;; amdgpu-corpus repo=pytorch/pytorch kind=compiled arch=gfx950 opt=O3
	.amdgcn_target "amdgcn-amd-amdhsa--gfx950"
	.amdhsa_code_object_version 6
	.section	.text._ZN7rocprim17ROCPRIM_400000_NS6detail44device_merge_sort_compile_time_verifier_archINS1_11comp_targetILNS1_3genE0ELNS1_11target_archE4294967295ELNS1_3gpuE0ELNS1_3repE0EEES8_NS0_14default_configES9_NS1_37merge_sort_block_sort_config_selectorIlNS0_10empty_typeEEENS1_38merge_sort_block_merge_config_selectorIlSB_EEEEvv,"axG",@progbits,_ZN7rocprim17ROCPRIM_400000_NS6detail44device_merge_sort_compile_time_verifier_archINS1_11comp_targetILNS1_3genE0ELNS1_11target_archE4294967295ELNS1_3gpuE0ELNS1_3repE0EEES8_NS0_14default_configES9_NS1_37merge_sort_block_sort_config_selectorIlNS0_10empty_typeEEENS1_38merge_sort_block_merge_config_selectorIlSB_EEEEvv,comdat
	.protected	_ZN7rocprim17ROCPRIM_400000_NS6detail44device_merge_sort_compile_time_verifier_archINS1_11comp_targetILNS1_3genE0ELNS1_11target_archE4294967295ELNS1_3gpuE0ELNS1_3repE0EEES8_NS0_14default_configES9_NS1_37merge_sort_block_sort_config_selectorIlNS0_10empty_typeEEENS1_38merge_sort_block_merge_config_selectorIlSB_EEEEvv ; -- Begin function _ZN7rocprim17ROCPRIM_400000_NS6detail44device_merge_sort_compile_time_verifier_archINS1_11comp_targetILNS1_3genE0ELNS1_11target_archE4294967295ELNS1_3gpuE0ELNS1_3repE0EEES8_NS0_14default_configES9_NS1_37merge_sort_block_sort_config_selectorIlNS0_10empty_typeEEENS1_38merge_sort_block_merge_config_selectorIlSB_EEEEvv
	.globl	_ZN7rocprim17ROCPRIM_400000_NS6detail44device_merge_sort_compile_time_verifier_archINS1_11comp_targetILNS1_3genE0ELNS1_11target_archE4294967295ELNS1_3gpuE0ELNS1_3repE0EEES8_NS0_14default_configES9_NS1_37merge_sort_block_sort_config_selectorIlNS0_10empty_typeEEENS1_38merge_sort_block_merge_config_selectorIlSB_EEEEvv
	.p2align	8
	.type	_ZN7rocprim17ROCPRIM_400000_NS6detail44device_merge_sort_compile_time_verifier_archINS1_11comp_targetILNS1_3genE0ELNS1_11target_archE4294967295ELNS1_3gpuE0ELNS1_3repE0EEES8_NS0_14default_configES9_NS1_37merge_sort_block_sort_config_selectorIlNS0_10empty_typeEEENS1_38merge_sort_block_merge_config_selectorIlSB_EEEEvv,@function
_ZN7rocprim17ROCPRIM_400000_NS6detail44device_merge_sort_compile_time_verifier_archINS1_11comp_targetILNS1_3genE0ELNS1_11target_archE4294967295ELNS1_3gpuE0ELNS1_3repE0EEES8_NS0_14default_configES9_NS1_37merge_sort_block_sort_config_selectorIlNS0_10empty_typeEEENS1_38merge_sort_block_merge_config_selectorIlSB_EEEEvv: ; @_ZN7rocprim17ROCPRIM_400000_NS6detail44device_merge_sort_compile_time_verifier_archINS1_11comp_targetILNS1_3genE0ELNS1_11target_archE4294967295ELNS1_3gpuE0ELNS1_3repE0EEES8_NS0_14default_configES9_NS1_37merge_sort_block_sort_config_selectorIlNS0_10empty_typeEEENS1_38merge_sort_block_merge_config_selectorIlSB_EEEEvv
; %bb.0:
	s_endpgm
	.section	.rodata,"a",@progbits
	.p2align	6, 0x0
	.amdhsa_kernel _ZN7rocprim17ROCPRIM_400000_NS6detail44device_merge_sort_compile_time_verifier_archINS1_11comp_targetILNS1_3genE0ELNS1_11target_archE4294967295ELNS1_3gpuE0ELNS1_3repE0EEES8_NS0_14default_configES9_NS1_37merge_sort_block_sort_config_selectorIlNS0_10empty_typeEEENS1_38merge_sort_block_merge_config_selectorIlSB_EEEEvv
		.amdhsa_group_segment_fixed_size 0
		.amdhsa_private_segment_fixed_size 0
		.amdhsa_kernarg_size 0
		.amdhsa_user_sgpr_count 0
		.amdhsa_user_sgpr_dispatch_ptr 0
		.amdhsa_user_sgpr_queue_ptr 0
		.amdhsa_user_sgpr_kernarg_segment_ptr 0
		.amdhsa_user_sgpr_dispatch_id 0
		.amdhsa_user_sgpr_kernarg_preload_length 0
		.amdhsa_user_sgpr_kernarg_preload_offset 0
		.amdhsa_user_sgpr_private_segment_size 0
		.amdhsa_uses_dynamic_stack 0
		.amdhsa_enable_private_segment 0
		.amdhsa_system_sgpr_workgroup_id_x 1
		.amdhsa_system_sgpr_workgroup_id_y 0
		.amdhsa_system_sgpr_workgroup_id_z 0
		.amdhsa_system_sgpr_workgroup_info 0
		.amdhsa_system_vgpr_workitem_id 0
		.amdhsa_next_free_vgpr 1
		.amdhsa_next_free_sgpr 0
		.amdhsa_accum_offset 4
		.amdhsa_reserve_vcc 0
		.amdhsa_float_round_mode_32 0
		.amdhsa_float_round_mode_16_64 0
		.amdhsa_float_denorm_mode_32 3
		.amdhsa_float_denorm_mode_16_64 3
		.amdhsa_dx10_clamp 1
		.amdhsa_ieee_mode 1
		.amdhsa_fp16_overflow 0
		.amdhsa_tg_split 0
		.amdhsa_exception_fp_ieee_invalid_op 0
		.amdhsa_exception_fp_denorm_src 0
		.amdhsa_exception_fp_ieee_div_zero 0
		.amdhsa_exception_fp_ieee_overflow 0
		.amdhsa_exception_fp_ieee_underflow 0
		.amdhsa_exception_fp_ieee_inexact 0
		.amdhsa_exception_int_div_zero 0
	.end_amdhsa_kernel
	.section	.text._ZN7rocprim17ROCPRIM_400000_NS6detail44device_merge_sort_compile_time_verifier_archINS1_11comp_targetILNS1_3genE0ELNS1_11target_archE4294967295ELNS1_3gpuE0ELNS1_3repE0EEES8_NS0_14default_configES9_NS1_37merge_sort_block_sort_config_selectorIlNS0_10empty_typeEEENS1_38merge_sort_block_merge_config_selectorIlSB_EEEEvv,"axG",@progbits,_ZN7rocprim17ROCPRIM_400000_NS6detail44device_merge_sort_compile_time_verifier_archINS1_11comp_targetILNS1_3genE0ELNS1_11target_archE4294967295ELNS1_3gpuE0ELNS1_3repE0EEES8_NS0_14default_configES9_NS1_37merge_sort_block_sort_config_selectorIlNS0_10empty_typeEEENS1_38merge_sort_block_merge_config_selectorIlSB_EEEEvv,comdat
.Lfunc_end0:
	.size	_ZN7rocprim17ROCPRIM_400000_NS6detail44device_merge_sort_compile_time_verifier_archINS1_11comp_targetILNS1_3genE0ELNS1_11target_archE4294967295ELNS1_3gpuE0ELNS1_3repE0EEES8_NS0_14default_configES9_NS1_37merge_sort_block_sort_config_selectorIlNS0_10empty_typeEEENS1_38merge_sort_block_merge_config_selectorIlSB_EEEEvv, .Lfunc_end0-_ZN7rocprim17ROCPRIM_400000_NS6detail44device_merge_sort_compile_time_verifier_archINS1_11comp_targetILNS1_3genE0ELNS1_11target_archE4294967295ELNS1_3gpuE0ELNS1_3repE0EEES8_NS0_14default_configES9_NS1_37merge_sort_block_sort_config_selectorIlNS0_10empty_typeEEENS1_38merge_sort_block_merge_config_selectorIlSB_EEEEvv
                                        ; -- End function
	.set _ZN7rocprim17ROCPRIM_400000_NS6detail44device_merge_sort_compile_time_verifier_archINS1_11comp_targetILNS1_3genE0ELNS1_11target_archE4294967295ELNS1_3gpuE0ELNS1_3repE0EEES8_NS0_14default_configES9_NS1_37merge_sort_block_sort_config_selectorIlNS0_10empty_typeEEENS1_38merge_sort_block_merge_config_selectorIlSB_EEEEvv.num_vgpr, 0
	.set _ZN7rocprim17ROCPRIM_400000_NS6detail44device_merge_sort_compile_time_verifier_archINS1_11comp_targetILNS1_3genE0ELNS1_11target_archE4294967295ELNS1_3gpuE0ELNS1_3repE0EEES8_NS0_14default_configES9_NS1_37merge_sort_block_sort_config_selectorIlNS0_10empty_typeEEENS1_38merge_sort_block_merge_config_selectorIlSB_EEEEvv.num_agpr, 0
	.set _ZN7rocprim17ROCPRIM_400000_NS6detail44device_merge_sort_compile_time_verifier_archINS1_11comp_targetILNS1_3genE0ELNS1_11target_archE4294967295ELNS1_3gpuE0ELNS1_3repE0EEES8_NS0_14default_configES9_NS1_37merge_sort_block_sort_config_selectorIlNS0_10empty_typeEEENS1_38merge_sort_block_merge_config_selectorIlSB_EEEEvv.numbered_sgpr, 0
	.set _ZN7rocprim17ROCPRIM_400000_NS6detail44device_merge_sort_compile_time_verifier_archINS1_11comp_targetILNS1_3genE0ELNS1_11target_archE4294967295ELNS1_3gpuE0ELNS1_3repE0EEES8_NS0_14default_configES9_NS1_37merge_sort_block_sort_config_selectorIlNS0_10empty_typeEEENS1_38merge_sort_block_merge_config_selectorIlSB_EEEEvv.num_named_barrier, 0
	.set _ZN7rocprim17ROCPRIM_400000_NS6detail44device_merge_sort_compile_time_verifier_archINS1_11comp_targetILNS1_3genE0ELNS1_11target_archE4294967295ELNS1_3gpuE0ELNS1_3repE0EEES8_NS0_14default_configES9_NS1_37merge_sort_block_sort_config_selectorIlNS0_10empty_typeEEENS1_38merge_sort_block_merge_config_selectorIlSB_EEEEvv.private_seg_size, 0
	.set _ZN7rocprim17ROCPRIM_400000_NS6detail44device_merge_sort_compile_time_verifier_archINS1_11comp_targetILNS1_3genE0ELNS1_11target_archE4294967295ELNS1_3gpuE0ELNS1_3repE0EEES8_NS0_14default_configES9_NS1_37merge_sort_block_sort_config_selectorIlNS0_10empty_typeEEENS1_38merge_sort_block_merge_config_selectorIlSB_EEEEvv.uses_vcc, 0
	.set _ZN7rocprim17ROCPRIM_400000_NS6detail44device_merge_sort_compile_time_verifier_archINS1_11comp_targetILNS1_3genE0ELNS1_11target_archE4294967295ELNS1_3gpuE0ELNS1_3repE0EEES8_NS0_14default_configES9_NS1_37merge_sort_block_sort_config_selectorIlNS0_10empty_typeEEENS1_38merge_sort_block_merge_config_selectorIlSB_EEEEvv.uses_flat_scratch, 0
	.set _ZN7rocprim17ROCPRIM_400000_NS6detail44device_merge_sort_compile_time_verifier_archINS1_11comp_targetILNS1_3genE0ELNS1_11target_archE4294967295ELNS1_3gpuE0ELNS1_3repE0EEES8_NS0_14default_configES9_NS1_37merge_sort_block_sort_config_selectorIlNS0_10empty_typeEEENS1_38merge_sort_block_merge_config_selectorIlSB_EEEEvv.has_dyn_sized_stack, 0
	.set _ZN7rocprim17ROCPRIM_400000_NS6detail44device_merge_sort_compile_time_verifier_archINS1_11comp_targetILNS1_3genE0ELNS1_11target_archE4294967295ELNS1_3gpuE0ELNS1_3repE0EEES8_NS0_14default_configES9_NS1_37merge_sort_block_sort_config_selectorIlNS0_10empty_typeEEENS1_38merge_sort_block_merge_config_selectorIlSB_EEEEvv.has_recursion, 0
	.set _ZN7rocprim17ROCPRIM_400000_NS6detail44device_merge_sort_compile_time_verifier_archINS1_11comp_targetILNS1_3genE0ELNS1_11target_archE4294967295ELNS1_3gpuE0ELNS1_3repE0EEES8_NS0_14default_configES9_NS1_37merge_sort_block_sort_config_selectorIlNS0_10empty_typeEEENS1_38merge_sort_block_merge_config_selectorIlSB_EEEEvv.has_indirect_call, 0
	.section	.AMDGPU.csdata,"",@progbits
; Kernel info:
; codeLenInByte = 4
; TotalNumSgprs: 6
; NumVgprs: 0
; NumAgprs: 0
; TotalNumVgprs: 0
; ScratchSize: 0
; MemoryBound: 0
; FloatMode: 240
; IeeeMode: 1
; LDSByteSize: 0 bytes/workgroup (compile time only)
; SGPRBlocks: 0
; VGPRBlocks: 0
; NumSGPRsForWavesPerEU: 6
; NumVGPRsForWavesPerEU: 1
; AccumOffset: 4
; Occupancy: 8
; WaveLimiterHint : 0
; COMPUTE_PGM_RSRC2:SCRATCH_EN: 0
; COMPUTE_PGM_RSRC2:USER_SGPR: 0
; COMPUTE_PGM_RSRC2:TRAP_HANDLER: 0
; COMPUTE_PGM_RSRC2:TGID_X_EN: 1
; COMPUTE_PGM_RSRC2:TGID_Y_EN: 0
; COMPUTE_PGM_RSRC2:TGID_Z_EN: 0
; COMPUTE_PGM_RSRC2:TIDIG_COMP_CNT: 0
; COMPUTE_PGM_RSRC3_GFX90A:ACCUM_OFFSET: 0
; COMPUTE_PGM_RSRC3_GFX90A:TG_SPLIT: 0
	.section	.text._ZN7rocprim17ROCPRIM_400000_NS6detail44device_merge_sort_compile_time_verifier_archINS1_11comp_targetILNS1_3genE5ELNS1_11target_archE942ELNS1_3gpuE9ELNS1_3repE0EEES8_NS0_14default_configES9_NS1_37merge_sort_block_sort_config_selectorIlNS0_10empty_typeEEENS1_38merge_sort_block_merge_config_selectorIlSB_EEEEvv,"axG",@progbits,_ZN7rocprim17ROCPRIM_400000_NS6detail44device_merge_sort_compile_time_verifier_archINS1_11comp_targetILNS1_3genE5ELNS1_11target_archE942ELNS1_3gpuE9ELNS1_3repE0EEES8_NS0_14default_configES9_NS1_37merge_sort_block_sort_config_selectorIlNS0_10empty_typeEEENS1_38merge_sort_block_merge_config_selectorIlSB_EEEEvv,comdat
	.protected	_ZN7rocprim17ROCPRIM_400000_NS6detail44device_merge_sort_compile_time_verifier_archINS1_11comp_targetILNS1_3genE5ELNS1_11target_archE942ELNS1_3gpuE9ELNS1_3repE0EEES8_NS0_14default_configES9_NS1_37merge_sort_block_sort_config_selectorIlNS0_10empty_typeEEENS1_38merge_sort_block_merge_config_selectorIlSB_EEEEvv ; -- Begin function _ZN7rocprim17ROCPRIM_400000_NS6detail44device_merge_sort_compile_time_verifier_archINS1_11comp_targetILNS1_3genE5ELNS1_11target_archE942ELNS1_3gpuE9ELNS1_3repE0EEES8_NS0_14default_configES9_NS1_37merge_sort_block_sort_config_selectorIlNS0_10empty_typeEEENS1_38merge_sort_block_merge_config_selectorIlSB_EEEEvv
	.globl	_ZN7rocprim17ROCPRIM_400000_NS6detail44device_merge_sort_compile_time_verifier_archINS1_11comp_targetILNS1_3genE5ELNS1_11target_archE942ELNS1_3gpuE9ELNS1_3repE0EEES8_NS0_14default_configES9_NS1_37merge_sort_block_sort_config_selectorIlNS0_10empty_typeEEENS1_38merge_sort_block_merge_config_selectorIlSB_EEEEvv
	.p2align	8
	.type	_ZN7rocprim17ROCPRIM_400000_NS6detail44device_merge_sort_compile_time_verifier_archINS1_11comp_targetILNS1_3genE5ELNS1_11target_archE942ELNS1_3gpuE9ELNS1_3repE0EEES8_NS0_14default_configES9_NS1_37merge_sort_block_sort_config_selectorIlNS0_10empty_typeEEENS1_38merge_sort_block_merge_config_selectorIlSB_EEEEvv,@function
_ZN7rocprim17ROCPRIM_400000_NS6detail44device_merge_sort_compile_time_verifier_archINS1_11comp_targetILNS1_3genE5ELNS1_11target_archE942ELNS1_3gpuE9ELNS1_3repE0EEES8_NS0_14default_configES9_NS1_37merge_sort_block_sort_config_selectorIlNS0_10empty_typeEEENS1_38merge_sort_block_merge_config_selectorIlSB_EEEEvv: ; @_ZN7rocprim17ROCPRIM_400000_NS6detail44device_merge_sort_compile_time_verifier_archINS1_11comp_targetILNS1_3genE5ELNS1_11target_archE942ELNS1_3gpuE9ELNS1_3repE0EEES8_NS0_14default_configES9_NS1_37merge_sort_block_sort_config_selectorIlNS0_10empty_typeEEENS1_38merge_sort_block_merge_config_selectorIlSB_EEEEvv
; %bb.0:
	s_endpgm
	.section	.rodata,"a",@progbits
	.p2align	6, 0x0
	.amdhsa_kernel _ZN7rocprim17ROCPRIM_400000_NS6detail44device_merge_sort_compile_time_verifier_archINS1_11comp_targetILNS1_3genE5ELNS1_11target_archE942ELNS1_3gpuE9ELNS1_3repE0EEES8_NS0_14default_configES9_NS1_37merge_sort_block_sort_config_selectorIlNS0_10empty_typeEEENS1_38merge_sort_block_merge_config_selectorIlSB_EEEEvv
		.amdhsa_group_segment_fixed_size 0
		.amdhsa_private_segment_fixed_size 0
		.amdhsa_kernarg_size 0
		.amdhsa_user_sgpr_count 0
		.amdhsa_user_sgpr_dispatch_ptr 0
		.amdhsa_user_sgpr_queue_ptr 0
		.amdhsa_user_sgpr_kernarg_segment_ptr 0
		.amdhsa_user_sgpr_dispatch_id 0
		.amdhsa_user_sgpr_kernarg_preload_length 0
		.amdhsa_user_sgpr_kernarg_preload_offset 0
		.amdhsa_user_sgpr_private_segment_size 0
		.amdhsa_uses_dynamic_stack 0
		.amdhsa_enable_private_segment 0
		.amdhsa_system_sgpr_workgroup_id_x 1
		.amdhsa_system_sgpr_workgroup_id_y 0
		.amdhsa_system_sgpr_workgroup_id_z 0
		.amdhsa_system_sgpr_workgroup_info 0
		.amdhsa_system_vgpr_workitem_id 0
		.amdhsa_next_free_vgpr 1
		.amdhsa_next_free_sgpr 0
		.amdhsa_accum_offset 4
		.amdhsa_reserve_vcc 0
		.amdhsa_float_round_mode_32 0
		.amdhsa_float_round_mode_16_64 0
		.amdhsa_float_denorm_mode_32 3
		.amdhsa_float_denorm_mode_16_64 3
		.amdhsa_dx10_clamp 1
		.amdhsa_ieee_mode 1
		.amdhsa_fp16_overflow 0
		.amdhsa_tg_split 0
		.amdhsa_exception_fp_ieee_invalid_op 0
		.amdhsa_exception_fp_denorm_src 0
		.amdhsa_exception_fp_ieee_div_zero 0
		.amdhsa_exception_fp_ieee_overflow 0
		.amdhsa_exception_fp_ieee_underflow 0
		.amdhsa_exception_fp_ieee_inexact 0
		.amdhsa_exception_int_div_zero 0
	.end_amdhsa_kernel
	.section	.text._ZN7rocprim17ROCPRIM_400000_NS6detail44device_merge_sort_compile_time_verifier_archINS1_11comp_targetILNS1_3genE5ELNS1_11target_archE942ELNS1_3gpuE9ELNS1_3repE0EEES8_NS0_14default_configES9_NS1_37merge_sort_block_sort_config_selectorIlNS0_10empty_typeEEENS1_38merge_sort_block_merge_config_selectorIlSB_EEEEvv,"axG",@progbits,_ZN7rocprim17ROCPRIM_400000_NS6detail44device_merge_sort_compile_time_verifier_archINS1_11comp_targetILNS1_3genE5ELNS1_11target_archE942ELNS1_3gpuE9ELNS1_3repE0EEES8_NS0_14default_configES9_NS1_37merge_sort_block_sort_config_selectorIlNS0_10empty_typeEEENS1_38merge_sort_block_merge_config_selectorIlSB_EEEEvv,comdat
.Lfunc_end1:
	.size	_ZN7rocprim17ROCPRIM_400000_NS6detail44device_merge_sort_compile_time_verifier_archINS1_11comp_targetILNS1_3genE5ELNS1_11target_archE942ELNS1_3gpuE9ELNS1_3repE0EEES8_NS0_14default_configES9_NS1_37merge_sort_block_sort_config_selectorIlNS0_10empty_typeEEENS1_38merge_sort_block_merge_config_selectorIlSB_EEEEvv, .Lfunc_end1-_ZN7rocprim17ROCPRIM_400000_NS6detail44device_merge_sort_compile_time_verifier_archINS1_11comp_targetILNS1_3genE5ELNS1_11target_archE942ELNS1_3gpuE9ELNS1_3repE0EEES8_NS0_14default_configES9_NS1_37merge_sort_block_sort_config_selectorIlNS0_10empty_typeEEENS1_38merge_sort_block_merge_config_selectorIlSB_EEEEvv
                                        ; -- End function
	.set _ZN7rocprim17ROCPRIM_400000_NS6detail44device_merge_sort_compile_time_verifier_archINS1_11comp_targetILNS1_3genE5ELNS1_11target_archE942ELNS1_3gpuE9ELNS1_3repE0EEES8_NS0_14default_configES9_NS1_37merge_sort_block_sort_config_selectorIlNS0_10empty_typeEEENS1_38merge_sort_block_merge_config_selectorIlSB_EEEEvv.num_vgpr, 0
	.set _ZN7rocprim17ROCPRIM_400000_NS6detail44device_merge_sort_compile_time_verifier_archINS1_11comp_targetILNS1_3genE5ELNS1_11target_archE942ELNS1_3gpuE9ELNS1_3repE0EEES8_NS0_14default_configES9_NS1_37merge_sort_block_sort_config_selectorIlNS0_10empty_typeEEENS1_38merge_sort_block_merge_config_selectorIlSB_EEEEvv.num_agpr, 0
	.set _ZN7rocprim17ROCPRIM_400000_NS6detail44device_merge_sort_compile_time_verifier_archINS1_11comp_targetILNS1_3genE5ELNS1_11target_archE942ELNS1_3gpuE9ELNS1_3repE0EEES8_NS0_14default_configES9_NS1_37merge_sort_block_sort_config_selectorIlNS0_10empty_typeEEENS1_38merge_sort_block_merge_config_selectorIlSB_EEEEvv.numbered_sgpr, 0
	.set _ZN7rocprim17ROCPRIM_400000_NS6detail44device_merge_sort_compile_time_verifier_archINS1_11comp_targetILNS1_3genE5ELNS1_11target_archE942ELNS1_3gpuE9ELNS1_3repE0EEES8_NS0_14default_configES9_NS1_37merge_sort_block_sort_config_selectorIlNS0_10empty_typeEEENS1_38merge_sort_block_merge_config_selectorIlSB_EEEEvv.num_named_barrier, 0
	.set _ZN7rocprim17ROCPRIM_400000_NS6detail44device_merge_sort_compile_time_verifier_archINS1_11comp_targetILNS1_3genE5ELNS1_11target_archE942ELNS1_3gpuE9ELNS1_3repE0EEES8_NS0_14default_configES9_NS1_37merge_sort_block_sort_config_selectorIlNS0_10empty_typeEEENS1_38merge_sort_block_merge_config_selectorIlSB_EEEEvv.private_seg_size, 0
	.set _ZN7rocprim17ROCPRIM_400000_NS6detail44device_merge_sort_compile_time_verifier_archINS1_11comp_targetILNS1_3genE5ELNS1_11target_archE942ELNS1_3gpuE9ELNS1_3repE0EEES8_NS0_14default_configES9_NS1_37merge_sort_block_sort_config_selectorIlNS0_10empty_typeEEENS1_38merge_sort_block_merge_config_selectorIlSB_EEEEvv.uses_vcc, 0
	.set _ZN7rocprim17ROCPRIM_400000_NS6detail44device_merge_sort_compile_time_verifier_archINS1_11comp_targetILNS1_3genE5ELNS1_11target_archE942ELNS1_3gpuE9ELNS1_3repE0EEES8_NS0_14default_configES9_NS1_37merge_sort_block_sort_config_selectorIlNS0_10empty_typeEEENS1_38merge_sort_block_merge_config_selectorIlSB_EEEEvv.uses_flat_scratch, 0
	.set _ZN7rocprim17ROCPRIM_400000_NS6detail44device_merge_sort_compile_time_verifier_archINS1_11comp_targetILNS1_3genE5ELNS1_11target_archE942ELNS1_3gpuE9ELNS1_3repE0EEES8_NS0_14default_configES9_NS1_37merge_sort_block_sort_config_selectorIlNS0_10empty_typeEEENS1_38merge_sort_block_merge_config_selectorIlSB_EEEEvv.has_dyn_sized_stack, 0
	.set _ZN7rocprim17ROCPRIM_400000_NS6detail44device_merge_sort_compile_time_verifier_archINS1_11comp_targetILNS1_3genE5ELNS1_11target_archE942ELNS1_3gpuE9ELNS1_3repE0EEES8_NS0_14default_configES9_NS1_37merge_sort_block_sort_config_selectorIlNS0_10empty_typeEEENS1_38merge_sort_block_merge_config_selectorIlSB_EEEEvv.has_recursion, 0
	.set _ZN7rocprim17ROCPRIM_400000_NS6detail44device_merge_sort_compile_time_verifier_archINS1_11comp_targetILNS1_3genE5ELNS1_11target_archE942ELNS1_3gpuE9ELNS1_3repE0EEES8_NS0_14default_configES9_NS1_37merge_sort_block_sort_config_selectorIlNS0_10empty_typeEEENS1_38merge_sort_block_merge_config_selectorIlSB_EEEEvv.has_indirect_call, 0
	.section	.AMDGPU.csdata,"",@progbits
; Kernel info:
; codeLenInByte = 4
; TotalNumSgprs: 6
; NumVgprs: 0
; NumAgprs: 0
; TotalNumVgprs: 0
; ScratchSize: 0
; MemoryBound: 0
; FloatMode: 240
; IeeeMode: 1
; LDSByteSize: 0 bytes/workgroup (compile time only)
; SGPRBlocks: 0
; VGPRBlocks: 0
; NumSGPRsForWavesPerEU: 6
; NumVGPRsForWavesPerEU: 1
; AccumOffset: 4
; Occupancy: 8
; WaveLimiterHint : 0
; COMPUTE_PGM_RSRC2:SCRATCH_EN: 0
; COMPUTE_PGM_RSRC2:USER_SGPR: 0
; COMPUTE_PGM_RSRC2:TRAP_HANDLER: 0
; COMPUTE_PGM_RSRC2:TGID_X_EN: 1
; COMPUTE_PGM_RSRC2:TGID_Y_EN: 0
; COMPUTE_PGM_RSRC2:TGID_Z_EN: 0
; COMPUTE_PGM_RSRC2:TIDIG_COMP_CNT: 0
; COMPUTE_PGM_RSRC3_GFX90A:ACCUM_OFFSET: 0
; COMPUTE_PGM_RSRC3_GFX90A:TG_SPLIT: 0
	.section	.text._ZN7rocprim17ROCPRIM_400000_NS6detail44device_merge_sort_compile_time_verifier_archINS1_11comp_targetILNS1_3genE4ELNS1_11target_archE910ELNS1_3gpuE8ELNS1_3repE0EEES8_NS0_14default_configES9_NS1_37merge_sort_block_sort_config_selectorIlNS0_10empty_typeEEENS1_38merge_sort_block_merge_config_selectorIlSB_EEEEvv,"axG",@progbits,_ZN7rocprim17ROCPRIM_400000_NS6detail44device_merge_sort_compile_time_verifier_archINS1_11comp_targetILNS1_3genE4ELNS1_11target_archE910ELNS1_3gpuE8ELNS1_3repE0EEES8_NS0_14default_configES9_NS1_37merge_sort_block_sort_config_selectorIlNS0_10empty_typeEEENS1_38merge_sort_block_merge_config_selectorIlSB_EEEEvv,comdat
	.protected	_ZN7rocprim17ROCPRIM_400000_NS6detail44device_merge_sort_compile_time_verifier_archINS1_11comp_targetILNS1_3genE4ELNS1_11target_archE910ELNS1_3gpuE8ELNS1_3repE0EEES8_NS0_14default_configES9_NS1_37merge_sort_block_sort_config_selectorIlNS0_10empty_typeEEENS1_38merge_sort_block_merge_config_selectorIlSB_EEEEvv ; -- Begin function _ZN7rocprim17ROCPRIM_400000_NS6detail44device_merge_sort_compile_time_verifier_archINS1_11comp_targetILNS1_3genE4ELNS1_11target_archE910ELNS1_3gpuE8ELNS1_3repE0EEES8_NS0_14default_configES9_NS1_37merge_sort_block_sort_config_selectorIlNS0_10empty_typeEEENS1_38merge_sort_block_merge_config_selectorIlSB_EEEEvv
	.globl	_ZN7rocprim17ROCPRIM_400000_NS6detail44device_merge_sort_compile_time_verifier_archINS1_11comp_targetILNS1_3genE4ELNS1_11target_archE910ELNS1_3gpuE8ELNS1_3repE0EEES8_NS0_14default_configES9_NS1_37merge_sort_block_sort_config_selectorIlNS0_10empty_typeEEENS1_38merge_sort_block_merge_config_selectorIlSB_EEEEvv
	.p2align	8
	.type	_ZN7rocprim17ROCPRIM_400000_NS6detail44device_merge_sort_compile_time_verifier_archINS1_11comp_targetILNS1_3genE4ELNS1_11target_archE910ELNS1_3gpuE8ELNS1_3repE0EEES8_NS0_14default_configES9_NS1_37merge_sort_block_sort_config_selectorIlNS0_10empty_typeEEENS1_38merge_sort_block_merge_config_selectorIlSB_EEEEvv,@function
_ZN7rocprim17ROCPRIM_400000_NS6detail44device_merge_sort_compile_time_verifier_archINS1_11comp_targetILNS1_3genE4ELNS1_11target_archE910ELNS1_3gpuE8ELNS1_3repE0EEES8_NS0_14default_configES9_NS1_37merge_sort_block_sort_config_selectorIlNS0_10empty_typeEEENS1_38merge_sort_block_merge_config_selectorIlSB_EEEEvv: ; @_ZN7rocprim17ROCPRIM_400000_NS6detail44device_merge_sort_compile_time_verifier_archINS1_11comp_targetILNS1_3genE4ELNS1_11target_archE910ELNS1_3gpuE8ELNS1_3repE0EEES8_NS0_14default_configES9_NS1_37merge_sort_block_sort_config_selectorIlNS0_10empty_typeEEENS1_38merge_sort_block_merge_config_selectorIlSB_EEEEvv
; %bb.0:
	s_endpgm
	.section	.rodata,"a",@progbits
	.p2align	6, 0x0
	.amdhsa_kernel _ZN7rocprim17ROCPRIM_400000_NS6detail44device_merge_sort_compile_time_verifier_archINS1_11comp_targetILNS1_3genE4ELNS1_11target_archE910ELNS1_3gpuE8ELNS1_3repE0EEES8_NS0_14default_configES9_NS1_37merge_sort_block_sort_config_selectorIlNS0_10empty_typeEEENS1_38merge_sort_block_merge_config_selectorIlSB_EEEEvv
		.amdhsa_group_segment_fixed_size 0
		.amdhsa_private_segment_fixed_size 0
		.amdhsa_kernarg_size 0
		.amdhsa_user_sgpr_count 0
		.amdhsa_user_sgpr_dispatch_ptr 0
		.amdhsa_user_sgpr_queue_ptr 0
		.amdhsa_user_sgpr_kernarg_segment_ptr 0
		.amdhsa_user_sgpr_dispatch_id 0
		.amdhsa_user_sgpr_kernarg_preload_length 0
		.amdhsa_user_sgpr_kernarg_preload_offset 0
		.amdhsa_user_sgpr_private_segment_size 0
		.amdhsa_uses_dynamic_stack 0
		.amdhsa_enable_private_segment 0
		.amdhsa_system_sgpr_workgroup_id_x 1
		.amdhsa_system_sgpr_workgroup_id_y 0
		.amdhsa_system_sgpr_workgroup_id_z 0
		.amdhsa_system_sgpr_workgroup_info 0
		.amdhsa_system_vgpr_workitem_id 0
		.amdhsa_next_free_vgpr 1
		.amdhsa_next_free_sgpr 0
		.amdhsa_accum_offset 4
		.amdhsa_reserve_vcc 0
		.amdhsa_float_round_mode_32 0
		.amdhsa_float_round_mode_16_64 0
		.amdhsa_float_denorm_mode_32 3
		.amdhsa_float_denorm_mode_16_64 3
		.amdhsa_dx10_clamp 1
		.amdhsa_ieee_mode 1
		.amdhsa_fp16_overflow 0
		.amdhsa_tg_split 0
		.amdhsa_exception_fp_ieee_invalid_op 0
		.amdhsa_exception_fp_denorm_src 0
		.amdhsa_exception_fp_ieee_div_zero 0
		.amdhsa_exception_fp_ieee_overflow 0
		.amdhsa_exception_fp_ieee_underflow 0
		.amdhsa_exception_fp_ieee_inexact 0
		.amdhsa_exception_int_div_zero 0
	.end_amdhsa_kernel
	.section	.text._ZN7rocprim17ROCPRIM_400000_NS6detail44device_merge_sort_compile_time_verifier_archINS1_11comp_targetILNS1_3genE4ELNS1_11target_archE910ELNS1_3gpuE8ELNS1_3repE0EEES8_NS0_14default_configES9_NS1_37merge_sort_block_sort_config_selectorIlNS0_10empty_typeEEENS1_38merge_sort_block_merge_config_selectorIlSB_EEEEvv,"axG",@progbits,_ZN7rocprim17ROCPRIM_400000_NS6detail44device_merge_sort_compile_time_verifier_archINS1_11comp_targetILNS1_3genE4ELNS1_11target_archE910ELNS1_3gpuE8ELNS1_3repE0EEES8_NS0_14default_configES9_NS1_37merge_sort_block_sort_config_selectorIlNS0_10empty_typeEEENS1_38merge_sort_block_merge_config_selectorIlSB_EEEEvv,comdat
.Lfunc_end2:
	.size	_ZN7rocprim17ROCPRIM_400000_NS6detail44device_merge_sort_compile_time_verifier_archINS1_11comp_targetILNS1_3genE4ELNS1_11target_archE910ELNS1_3gpuE8ELNS1_3repE0EEES8_NS0_14default_configES9_NS1_37merge_sort_block_sort_config_selectorIlNS0_10empty_typeEEENS1_38merge_sort_block_merge_config_selectorIlSB_EEEEvv, .Lfunc_end2-_ZN7rocprim17ROCPRIM_400000_NS6detail44device_merge_sort_compile_time_verifier_archINS1_11comp_targetILNS1_3genE4ELNS1_11target_archE910ELNS1_3gpuE8ELNS1_3repE0EEES8_NS0_14default_configES9_NS1_37merge_sort_block_sort_config_selectorIlNS0_10empty_typeEEENS1_38merge_sort_block_merge_config_selectorIlSB_EEEEvv
                                        ; -- End function
	.set _ZN7rocprim17ROCPRIM_400000_NS6detail44device_merge_sort_compile_time_verifier_archINS1_11comp_targetILNS1_3genE4ELNS1_11target_archE910ELNS1_3gpuE8ELNS1_3repE0EEES8_NS0_14default_configES9_NS1_37merge_sort_block_sort_config_selectorIlNS0_10empty_typeEEENS1_38merge_sort_block_merge_config_selectorIlSB_EEEEvv.num_vgpr, 0
	.set _ZN7rocprim17ROCPRIM_400000_NS6detail44device_merge_sort_compile_time_verifier_archINS1_11comp_targetILNS1_3genE4ELNS1_11target_archE910ELNS1_3gpuE8ELNS1_3repE0EEES8_NS0_14default_configES9_NS1_37merge_sort_block_sort_config_selectorIlNS0_10empty_typeEEENS1_38merge_sort_block_merge_config_selectorIlSB_EEEEvv.num_agpr, 0
	.set _ZN7rocprim17ROCPRIM_400000_NS6detail44device_merge_sort_compile_time_verifier_archINS1_11comp_targetILNS1_3genE4ELNS1_11target_archE910ELNS1_3gpuE8ELNS1_3repE0EEES8_NS0_14default_configES9_NS1_37merge_sort_block_sort_config_selectorIlNS0_10empty_typeEEENS1_38merge_sort_block_merge_config_selectorIlSB_EEEEvv.numbered_sgpr, 0
	.set _ZN7rocprim17ROCPRIM_400000_NS6detail44device_merge_sort_compile_time_verifier_archINS1_11comp_targetILNS1_3genE4ELNS1_11target_archE910ELNS1_3gpuE8ELNS1_3repE0EEES8_NS0_14default_configES9_NS1_37merge_sort_block_sort_config_selectorIlNS0_10empty_typeEEENS1_38merge_sort_block_merge_config_selectorIlSB_EEEEvv.num_named_barrier, 0
	.set _ZN7rocprim17ROCPRIM_400000_NS6detail44device_merge_sort_compile_time_verifier_archINS1_11comp_targetILNS1_3genE4ELNS1_11target_archE910ELNS1_3gpuE8ELNS1_3repE0EEES8_NS0_14default_configES9_NS1_37merge_sort_block_sort_config_selectorIlNS0_10empty_typeEEENS1_38merge_sort_block_merge_config_selectorIlSB_EEEEvv.private_seg_size, 0
	.set _ZN7rocprim17ROCPRIM_400000_NS6detail44device_merge_sort_compile_time_verifier_archINS1_11comp_targetILNS1_3genE4ELNS1_11target_archE910ELNS1_3gpuE8ELNS1_3repE0EEES8_NS0_14default_configES9_NS1_37merge_sort_block_sort_config_selectorIlNS0_10empty_typeEEENS1_38merge_sort_block_merge_config_selectorIlSB_EEEEvv.uses_vcc, 0
	.set _ZN7rocprim17ROCPRIM_400000_NS6detail44device_merge_sort_compile_time_verifier_archINS1_11comp_targetILNS1_3genE4ELNS1_11target_archE910ELNS1_3gpuE8ELNS1_3repE0EEES8_NS0_14default_configES9_NS1_37merge_sort_block_sort_config_selectorIlNS0_10empty_typeEEENS1_38merge_sort_block_merge_config_selectorIlSB_EEEEvv.uses_flat_scratch, 0
	.set _ZN7rocprim17ROCPRIM_400000_NS6detail44device_merge_sort_compile_time_verifier_archINS1_11comp_targetILNS1_3genE4ELNS1_11target_archE910ELNS1_3gpuE8ELNS1_3repE0EEES8_NS0_14default_configES9_NS1_37merge_sort_block_sort_config_selectorIlNS0_10empty_typeEEENS1_38merge_sort_block_merge_config_selectorIlSB_EEEEvv.has_dyn_sized_stack, 0
	.set _ZN7rocprim17ROCPRIM_400000_NS6detail44device_merge_sort_compile_time_verifier_archINS1_11comp_targetILNS1_3genE4ELNS1_11target_archE910ELNS1_3gpuE8ELNS1_3repE0EEES8_NS0_14default_configES9_NS1_37merge_sort_block_sort_config_selectorIlNS0_10empty_typeEEENS1_38merge_sort_block_merge_config_selectorIlSB_EEEEvv.has_recursion, 0
	.set _ZN7rocprim17ROCPRIM_400000_NS6detail44device_merge_sort_compile_time_verifier_archINS1_11comp_targetILNS1_3genE4ELNS1_11target_archE910ELNS1_3gpuE8ELNS1_3repE0EEES8_NS0_14default_configES9_NS1_37merge_sort_block_sort_config_selectorIlNS0_10empty_typeEEENS1_38merge_sort_block_merge_config_selectorIlSB_EEEEvv.has_indirect_call, 0
	.section	.AMDGPU.csdata,"",@progbits
; Kernel info:
; codeLenInByte = 4
; TotalNumSgprs: 6
; NumVgprs: 0
; NumAgprs: 0
; TotalNumVgprs: 0
; ScratchSize: 0
; MemoryBound: 0
; FloatMode: 240
; IeeeMode: 1
; LDSByteSize: 0 bytes/workgroup (compile time only)
; SGPRBlocks: 0
; VGPRBlocks: 0
; NumSGPRsForWavesPerEU: 6
; NumVGPRsForWavesPerEU: 1
; AccumOffset: 4
; Occupancy: 8
; WaveLimiterHint : 0
; COMPUTE_PGM_RSRC2:SCRATCH_EN: 0
; COMPUTE_PGM_RSRC2:USER_SGPR: 0
; COMPUTE_PGM_RSRC2:TRAP_HANDLER: 0
; COMPUTE_PGM_RSRC2:TGID_X_EN: 1
; COMPUTE_PGM_RSRC2:TGID_Y_EN: 0
; COMPUTE_PGM_RSRC2:TGID_Z_EN: 0
; COMPUTE_PGM_RSRC2:TIDIG_COMP_CNT: 0
; COMPUTE_PGM_RSRC3_GFX90A:ACCUM_OFFSET: 0
; COMPUTE_PGM_RSRC3_GFX90A:TG_SPLIT: 0
	.section	.text._ZN7rocprim17ROCPRIM_400000_NS6detail44device_merge_sort_compile_time_verifier_archINS1_11comp_targetILNS1_3genE3ELNS1_11target_archE908ELNS1_3gpuE7ELNS1_3repE0EEES8_NS0_14default_configES9_NS1_37merge_sort_block_sort_config_selectorIlNS0_10empty_typeEEENS1_38merge_sort_block_merge_config_selectorIlSB_EEEEvv,"axG",@progbits,_ZN7rocprim17ROCPRIM_400000_NS6detail44device_merge_sort_compile_time_verifier_archINS1_11comp_targetILNS1_3genE3ELNS1_11target_archE908ELNS1_3gpuE7ELNS1_3repE0EEES8_NS0_14default_configES9_NS1_37merge_sort_block_sort_config_selectorIlNS0_10empty_typeEEENS1_38merge_sort_block_merge_config_selectorIlSB_EEEEvv,comdat
	.protected	_ZN7rocprim17ROCPRIM_400000_NS6detail44device_merge_sort_compile_time_verifier_archINS1_11comp_targetILNS1_3genE3ELNS1_11target_archE908ELNS1_3gpuE7ELNS1_3repE0EEES8_NS0_14default_configES9_NS1_37merge_sort_block_sort_config_selectorIlNS0_10empty_typeEEENS1_38merge_sort_block_merge_config_selectorIlSB_EEEEvv ; -- Begin function _ZN7rocprim17ROCPRIM_400000_NS6detail44device_merge_sort_compile_time_verifier_archINS1_11comp_targetILNS1_3genE3ELNS1_11target_archE908ELNS1_3gpuE7ELNS1_3repE0EEES8_NS0_14default_configES9_NS1_37merge_sort_block_sort_config_selectorIlNS0_10empty_typeEEENS1_38merge_sort_block_merge_config_selectorIlSB_EEEEvv
	.globl	_ZN7rocprim17ROCPRIM_400000_NS6detail44device_merge_sort_compile_time_verifier_archINS1_11comp_targetILNS1_3genE3ELNS1_11target_archE908ELNS1_3gpuE7ELNS1_3repE0EEES8_NS0_14default_configES9_NS1_37merge_sort_block_sort_config_selectorIlNS0_10empty_typeEEENS1_38merge_sort_block_merge_config_selectorIlSB_EEEEvv
	.p2align	8
	.type	_ZN7rocprim17ROCPRIM_400000_NS6detail44device_merge_sort_compile_time_verifier_archINS1_11comp_targetILNS1_3genE3ELNS1_11target_archE908ELNS1_3gpuE7ELNS1_3repE0EEES8_NS0_14default_configES9_NS1_37merge_sort_block_sort_config_selectorIlNS0_10empty_typeEEENS1_38merge_sort_block_merge_config_selectorIlSB_EEEEvv,@function
_ZN7rocprim17ROCPRIM_400000_NS6detail44device_merge_sort_compile_time_verifier_archINS1_11comp_targetILNS1_3genE3ELNS1_11target_archE908ELNS1_3gpuE7ELNS1_3repE0EEES8_NS0_14default_configES9_NS1_37merge_sort_block_sort_config_selectorIlNS0_10empty_typeEEENS1_38merge_sort_block_merge_config_selectorIlSB_EEEEvv: ; @_ZN7rocprim17ROCPRIM_400000_NS6detail44device_merge_sort_compile_time_verifier_archINS1_11comp_targetILNS1_3genE3ELNS1_11target_archE908ELNS1_3gpuE7ELNS1_3repE0EEES8_NS0_14default_configES9_NS1_37merge_sort_block_sort_config_selectorIlNS0_10empty_typeEEENS1_38merge_sort_block_merge_config_selectorIlSB_EEEEvv
; %bb.0:
	s_endpgm
	.section	.rodata,"a",@progbits
	.p2align	6, 0x0
	.amdhsa_kernel _ZN7rocprim17ROCPRIM_400000_NS6detail44device_merge_sort_compile_time_verifier_archINS1_11comp_targetILNS1_3genE3ELNS1_11target_archE908ELNS1_3gpuE7ELNS1_3repE0EEES8_NS0_14default_configES9_NS1_37merge_sort_block_sort_config_selectorIlNS0_10empty_typeEEENS1_38merge_sort_block_merge_config_selectorIlSB_EEEEvv
		.amdhsa_group_segment_fixed_size 0
		.amdhsa_private_segment_fixed_size 0
		.amdhsa_kernarg_size 0
		.amdhsa_user_sgpr_count 0
		.amdhsa_user_sgpr_dispatch_ptr 0
		.amdhsa_user_sgpr_queue_ptr 0
		.amdhsa_user_sgpr_kernarg_segment_ptr 0
		.amdhsa_user_sgpr_dispatch_id 0
		.amdhsa_user_sgpr_kernarg_preload_length 0
		.amdhsa_user_sgpr_kernarg_preload_offset 0
		.amdhsa_user_sgpr_private_segment_size 0
		.amdhsa_uses_dynamic_stack 0
		.amdhsa_enable_private_segment 0
		.amdhsa_system_sgpr_workgroup_id_x 1
		.amdhsa_system_sgpr_workgroup_id_y 0
		.amdhsa_system_sgpr_workgroup_id_z 0
		.amdhsa_system_sgpr_workgroup_info 0
		.amdhsa_system_vgpr_workitem_id 0
		.amdhsa_next_free_vgpr 1
		.amdhsa_next_free_sgpr 0
		.amdhsa_accum_offset 4
		.amdhsa_reserve_vcc 0
		.amdhsa_float_round_mode_32 0
		.amdhsa_float_round_mode_16_64 0
		.amdhsa_float_denorm_mode_32 3
		.amdhsa_float_denorm_mode_16_64 3
		.amdhsa_dx10_clamp 1
		.amdhsa_ieee_mode 1
		.amdhsa_fp16_overflow 0
		.amdhsa_tg_split 0
		.amdhsa_exception_fp_ieee_invalid_op 0
		.amdhsa_exception_fp_denorm_src 0
		.amdhsa_exception_fp_ieee_div_zero 0
		.amdhsa_exception_fp_ieee_overflow 0
		.amdhsa_exception_fp_ieee_underflow 0
		.amdhsa_exception_fp_ieee_inexact 0
		.amdhsa_exception_int_div_zero 0
	.end_amdhsa_kernel
	.section	.text._ZN7rocprim17ROCPRIM_400000_NS6detail44device_merge_sort_compile_time_verifier_archINS1_11comp_targetILNS1_3genE3ELNS1_11target_archE908ELNS1_3gpuE7ELNS1_3repE0EEES8_NS0_14default_configES9_NS1_37merge_sort_block_sort_config_selectorIlNS0_10empty_typeEEENS1_38merge_sort_block_merge_config_selectorIlSB_EEEEvv,"axG",@progbits,_ZN7rocprim17ROCPRIM_400000_NS6detail44device_merge_sort_compile_time_verifier_archINS1_11comp_targetILNS1_3genE3ELNS1_11target_archE908ELNS1_3gpuE7ELNS1_3repE0EEES8_NS0_14default_configES9_NS1_37merge_sort_block_sort_config_selectorIlNS0_10empty_typeEEENS1_38merge_sort_block_merge_config_selectorIlSB_EEEEvv,comdat
.Lfunc_end3:
	.size	_ZN7rocprim17ROCPRIM_400000_NS6detail44device_merge_sort_compile_time_verifier_archINS1_11comp_targetILNS1_3genE3ELNS1_11target_archE908ELNS1_3gpuE7ELNS1_3repE0EEES8_NS0_14default_configES9_NS1_37merge_sort_block_sort_config_selectorIlNS0_10empty_typeEEENS1_38merge_sort_block_merge_config_selectorIlSB_EEEEvv, .Lfunc_end3-_ZN7rocprim17ROCPRIM_400000_NS6detail44device_merge_sort_compile_time_verifier_archINS1_11comp_targetILNS1_3genE3ELNS1_11target_archE908ELNS1_3gpuE7ELNS1_3repE0EEES8_NS0_14default_configES9_NS1_37merge_sort_block_sort_config_selectorIlNS0_10empty_typeEEENS1_38merge_sort_block_merge_config_selectorIlSB_EEEEvv
                                        ; -- End function
	.set _ZN7rocprim17ROCPRIM_400000_NS6detail44device_merge_sort_compile_time_verifier_archINS1_11comp_targetILNS1_3genE3ELNS1_11target_archE908ELNS1_3gpuE7ELNS1_3repE0EEES8_NS0_14default_configES9_NS1_37merge_sort_block_sort_config_selectorIlNS0_10empty_typeEEENS1_38merge_sort_block_merge_config_selectorIlSB_EEEEvv.num_vgpr, 0
	.set _ZN7rocprim17ROCPRIM_400000_NS6detail44device_merge_sort_compile_time_verifier_archINS1_11comp_targetILNS1_3genE3ELNS1_11target_archE908ELNS1_3gpuE7ELNS1_3repE0EEES8_NS0_14default_configES9_NS1_37merge_sort_block_sort_config_selectorIlNS0_10empty_typeEEENS1_38merge_sort_block_merge_config_selectorIlSB_EEEEvv.num_agpr, 0
	.set _ZN7rocprim17ROCPRIM_400000_NS6detail44device_merge_sort_compile_time_verifier_archINS1_11comp_targetILNS1_3genE3ELNS1_11target_archE908ELNS1_3gpuE7ELNS1_3repE0EEES8_NS0_14default_configES9_NS1_37merge_sort_block_sort_config_selectorIlNS0_10empty_typeEEENS1_38merge_sort_block_merge_config_selectorIlSB_EEEEvv.numbered_sgpr, 0
	.set _ZN7rocprim17ROCPRIM_400000_NS6detail44device_merge_sort_compile_time_verifier_archINS1_11comp_targetILNS1_3genE3ELNS1_11target_archE908ELNS1_3gpuE7ELNS1_3repE0EEES8_NS0_14default_configES9_NS1_37merge_sort_block_sort_config_selectorIlNS0_10empty_typeEEENS1_38merge_sort_block_merge_config_selectorIlSB_EEEEvv.num_named_barrier, 0
	.set _ZN7rocprim17ROCPRIM_400000_NS6detail44device_merge_sort_compile_time_verifier_archINS1_11comp_targetILNS1_3genE3ELNS1_11target_archE908ELNS1_3gpuE7ELNS1_3repE0EEES8_NS0_14default_configES9_NS1_37merge_sort_block_sort_config_selectorIlNS0_10empty_typeEEENS1_38merge_sort_block_merge_config_selectorIlSB_EEEEvv.private_seg_size, 0
	.set _ZN7rocprim17ROCPRIM_400000_NS6detail44device_merge_sort_compile_time_verifier_archINS1_11comp_targetILNS1_3genE3ELNS1_11target_archE908ELNS1_3gpuE7ELNS1_3repE0EEES8_NS0_14default_configES9_NS1_37merge_sort_block_sort_config_selectorIlNS0_10empty_typeEEENS1_38merge_sort_block_merge_config_selectorIlSB_EEEEvv.uses_vcc, 0
	.set _ZN7rocprim17ROCPRIM_400000_NS6detail44device_merge_sort_compile_time_verifier_archINS1_11comp_targetILNS1_3genE3ELNS1_11target_archE908ELNS1_3gpuE7ELNS1_3repE0EEES8_NS0_14default_configES9_NS1_37merge_sort_block_sort_config_selectorIlNS0_10empty_typeEEENS1_38merge_sort_block_merge_config_selectorIlSB_EEEEvv.uses_flat_scratch, 0
	.set _ZN7rocprim17ROCPRIM_400000_NS6detail44device_merge_sort_compile_time_verifier_archINS1_11comp_targetILNS1_3genE3ELNS1_11target_archE908ELNS1_3gpuE7ELNS1_3repE0EEES8_NS0_14default_configES9_NS1_37merge_sort_block_sort_config_selectorIlNS0_10empty_typeEEENS1_38merge_sort_block_merge_config_selectorIlSB_EEEEvv.has_dyn_sized_stack, 0
	.set _ZN7rocprim17ROCPRIM_400000_NS6detail44device_merge_sort_compile_time_verifier_archINS1_11comp_targetILNS1_3genE3ELNS1_11target_archE908ELNS1_3gpuE7ELNS1_3repE0EEES8_NS0_14default_configES9_NS1_37merge_sort_block_sort_config_selectorIlNS0_10empty_typeEEENS1_38merge_sort_block_merge_config_selectorIlSB_EEEEvv.has_recursion, 0
	.set _ZN7rocprim17ROCPRIM_400000_NS6detail44device_merge_sort_compile_time_verifier_archINS1_11comp_targetILNS1_3genE3ELNS1_11target_archE908ELNS1_3gpuE7ELNS1_3repE0EEES8_NS0_14default_configES9_NS1_37merge_sort_block_sort_config_selectorIlNS0_10empty_typeEEENS1_38merge_sort_block_merge_config_selectorIlSB_EEEEvv.has_indirect_call, 0
	.section	.AMDGPU.csdata,"",@progbits
; Kernel info:
; codeLenInByte = 4
; TotalNumSgprs: 6
; NumVgprs: 0
; NumAgprs: 0
; TotalNumVgprs: 0
; ScratchSize: 0
; MemoryBound: 0
; FloatMode: 240
; IeeeMode: 1
; LDSByteSize: 0 bytes/workgroup (compile time only)
; SGPRBlocks: 0
; VGPRBlocks: 0
; NumSGPRsForWavesPerEU: 6
; NumVGPRsForWavesPerEU: 1
; AccumOffset: 4
; Occupancy: 8
; WaveLimiterHint : 0
; COMPUTE_PGM_RSRC2:SCRATCH_EN: 0
; COMPUTE_PGM_RSRC2:USER_SGPR: 0
; COMPUTE_PGM_RSRC2:TRAP_HANDLER: 0
; COMPUTE_PGM_RSRC2:TGID_X_EN: 1
; COMPUTE_PGM_RSRC2:TGID_Y_EN: 0
; COMPUTE_PGM_RSRC2:TGID_Z_EN: 0
; COMPUTE_PGM_RSRC2:TIDIG_COMP_CNT: 0
; COMPUTE_PGM_RSRC3_GFX90A:ACCUM_OFFSET: 0
; COMPUTE_PGM_RSRC3_GFX90A:TG_SPLIT: 0
	.section	.text._ZN7rocprim17ROCPRIM_400000_NS6detail44device_merge_sort_compile_time_verifier_archINS1_11comp_targetILNS1_3genE2ELNS1_11target_archE906ELNS1_3gpuE6ELNS1_3repE0EEES8_NS0_14default_configES9_NS1_37merge_sort_block_sort_config_selectorIlNS0_10empty_typeEEENS1_38merge_sort_block_merge_config_selectorIlSB_EEEEvv,"axG",@progbits,_ZN7rocprim17ROCPRIM_400000_NS6detail44device_merge_sort_compile_time_verifier_archINS1_11comp_targetILNS1_3genE2ELNS1_11target_archE906ELNS1_3gpuE6ELNS1_3repE0EEES8_NS0_14default_configES9_NS1_37merge_sort_block_sort_config_selectorIlNS0_10empty_typeEEENS1_38merge_sort_block_merge_config_selectorIlSB_EEEEvv,comdat
	.protected	_ZN7rocprim17ROCPRIM_400000_NS6detail44device_merge_sort_compile_time_verifier_archINS1_11comp_targetILNS1_3genE2ELNS1_11target_archE906ELNS1_3gpuE6ELNS1_3repE0EEES8_NS0_14default_configES9_NS1_37merge_sort_block_sort_config_selectorIlNS0_10empty_typeEEENS1_38merge_sort_block_merge_config_selectorIlSB_EEEEvv ; -- Begin function _ZN7rocprim17ROCPRIM_400000_NS6detail44device_merge_sort_compile_time_verifier_archINS1_11comp_targetILNS1_3genE2ELNS1_11target_archE906ELNS1_3gpuE6ELNS1_3repE0EEES8_NS0_14default_configES9_NS1_37merge_sort_block_sort_config_selectorIlNS0_10empty_typeEEENS1_38merge_sort_block_merge_config_selectorIlSB_EEEEvv
	.globl	_ZN7rocprim17ROCPRIM_400000_NS6detail44device_merge_sort_compile_time_verifier_archINS1_11comp_targetILNS1_3genE2ELNS1_11target_archE906ELNS1_3gpuE6ELNS1_3repE0EEES8_NS0_14default_configES9_NS1_37merge_sort_block_sort_config_selectorIlNS0_10empty_typeEEENS1_38merge_sort_block_merge_config_selectorIlSB_EEEEvv
	.p2align	8
	.type	_ZN7rocprim17ROCPRIM_400000_NS6detail44device_merge_sort_compile_time_verifier_archINS1_11comp_targetILNS1_3genE2ELNS1_11target_archE906ELNS1_3gpuE6ELNS1_3repE0EEES8_NS0_14default_configES9_NS1_37merge_sort_block_sort_config_selectorIlNS0_10empty_typeEEENS1_38merge_sort_block_merge_config_selectorIlSB_EEEEvv,@function
_ZN7rocprim17ROCPRIM_400000_NS6detail44device_merge_sort_compile_time_verifier_archINS1_11comp_targetILNS1_3genE2ELNS1_11target_archE906ELNS1_3gpuE6ELNS1_3repE0EEES8_NS0_14default_configES9_NS1_37merge_sort_block_sort_config_selectorIlNS0_10empty_typeEEENS1_38merge_sort_block_merge_config_selectorIlSB_EEEEvv: ; @_ZN7rocprim17ROCPRIM_400000_NS6detail44device_merge_sort_compile_time_verifier_archINS1_11comp_targetILNS1_3genE2ELNS1_11target_archE906ELNS1_3gpuE6ELNS1_3repE0EEES8_NS0_14default_configES9_NS1_37merge_sort_block_sort_config_selectorIlNS0_10empty_typeEEENS1_38merge_sort_block_merge_config_selectorIlSB_EEEEvv
; %bb.0:
	s_endpgm
	.section	.rodata,"a",@progbits
	.p2align	6, 0x0
	.amdhsa_kernel _ZN7rocprim17ROCPRIM_400000_NS6detail44device_merge_sort_compile_time_verifier_archINS1_11comp_targetILNS1_3genE2ELNS1_11target_archE906ELNS1_3gpuE6ELNS1_3repE0EEES8_NS0_14default_configES9_NS1_37merge_sort_block_sort_config_selectorIlNS0_10empty_typeEEENS1_38merge_sort_block_merge_config_selectorIlSB_EEEEvv
		.amdhsa_group_segment_fixed_size 0
		.amdhsa_private_segment_fixed_size 0
		.amdhsa_kernarg_size 0
		.amdhsa_user_sgpr_count 0
		.amdhsa_user_sgpr_dispatch_ptr 0
		.amdhsa_user_sgpr_queue_ptr 0
		.amdhsa_user_sgpr_kernarg_segment_ptr 0
		.amdhsa_user_sgpr_dispatch_id 0
		.amdhsa_user_sgpr_kernarg_preload_length 0
		.amdhsa_user_sgpr_kernarg_preload_offset 0
		.amdhsa_user_sgpr_private_segment_size 0
		.amdhsa_uses_dynamic_stack 0
		.amdhsa_enable_private_segment 0
		.amdhsa_system_sgpr_workgroup_id_x 1
		.amdhsa_system_sgpr_workgroup_id_y 0
		.amdhsa_system_sgpr_workgroup_id_z 0
		.amdhsa_system_sgpr_workgroup_info 0
		.amdhsa_system_vgpr_workitem_id 0
		.amdhsa_next_free_vgpr 1
		.amdhsa_next_free_sgpr 0
		.amdhsa_accum_offset 4
		.amdhsa_reserve_vcc 0
		.amdhsa_float_round_mode_32 0
		.amdhsa_float_round_mode_16_64 0
		.amdhsa_float_denorm_mode_32 3
		.amdhsa_float_denorm_mode_16_64 3
		.amdhsa_dx10_clamp 1
		.amdhsa_ieee_mode 1
		.amdhsa_fp16_overflow 0
		.amdhsa_tg_split 0
		.amdhsa_exception_fp_ieee_invalid_op 0
		.amdhsa_exception_fp_denorm_src 0
		.amdhsa_exception_fp_ieee_div_zero 0
		.amdhsa_exception_fp_ieee_overflow 0
		.amdhsa_exception_fp_ieee_underflow 0
		.amdhsa_exception_fp_ieee_inexact 0
		.amdhsa_exception_int_div_zero 0
	.end_amdhsa_kernel
	.section	.text._ZN7rocprim17ROCPRIM_400000_NS6detail44device_merge_sort_compile_time_verifier_archINS1_11comp_targetILNS1_3genE2ELNS1_11target_archE906ELNS1_3gpuE6ELNS1_3repE0EEES8_NS0_14default_configES9_NS1_37merge_sort_block_sort_config_selectorIlNS0_10empty_typeEEENS1_38merge_sort_block_merge_config_selectorIlSB_EEEEvv,"axG",@progbits,_ZN7rocprim17ROCPRIM_400000_NS6detail44device_merge_sort_compile_time_verifier_archINS1_11comp_targetILNS1_3genE2ELNS1_11target_archE906ELNS1_3gpuE6ELNS1_3repE0EEES8_NS0_14default_configES9_NS1_37merge_sort_block_sort_config_selectorIlNS0_10empty_typeEEENS1_38merge_sort_block_merge_config_selectorIlSB_EEEEvv,comdat
.Lfunc_end4:
	.size	_ZN7rocprim17ROCPRIM_400000_NS6detail44device_merge_sort_compile_time_verifier_archINS1_11comp_targetILNS1_3genE2ELNS1_11target_archE906ELNS1_3gpuE6ELNS1_3repE0EEES8_NS0_14default_configES9_NS1_37merge_sort_block_sort_config_selectorIlNS0_10empty_typeEEENS1_38merge_sort_block_merge_config_selectorIlSB_EEEEvv, .Lfunc_end4-_ZN7rocprim17ROCPRIM_400000_NS6detail44device_merge_sort_compile_time_verifier_archINS1_11comp_targetILNS1_3genE2ELNS1_11target_archE906ELNS1_3gpuE6ELNS1_3repE0EEES8_NS0_14default_configES9_NS1_37merge_sort_block_sort_config_selectorIlNS0_10empty_typeEEENS1_38merge_sort_block_merge_config_selectorIlSB_EEEEvv
                                        ; -- End function
	.set _ZN7rocprim17ROCPRIM_400000_NS6detail44device_merge_sort_compile_time_verifier_archINS1_11comp_targetILNS1_3genE2ELNS1_11target_archE906ELNS1_3gpuE6ELNS1_3repE0EEES8_NS0_14default_configES9_NS1_37merge_sort_block_sort_config_selectorIlNS0_10empty_typeEEENS1_38merge_sort_block_merge_config_selectorIlSB_EEEEvv.num_vgpr, 0
	.set _ZN7rocprim17ROCPRIM_400000_NS6detail44device_merge_sort_compile_time_verifier_archINS1_11comp_targetILNS1_3genE2ELNS1_11target_archE906ELNS1_3gpuE6ELNS1_3repE0EEES8_NS0_14default_configES9_NS1_37merge_sort_block_sort_config_selectorIlNS0_10empty_typeEEENS1_38merge_sort_block_merge_config_selectorIlSB_EEEEvv.num_agpr, 0
	.set _ZN7rocprim17ROCPRIM_400000_NS6detail44device_merge_sort_compile_time_verifier_archINS1_11comp_targetILNS1_3genE2ELNS1_11target_archE906ELNS1_3gpuE6ELNS1_3repE0EEES8_NS0_14default_configES9_NS1_37merge_sort_block_sort_config_selectorIlNS0_10empty_typeEEENS1_38merge_sort_block_merge_config_selectorIlSB_EEEEvv.numbered_sgpr, 0
	.set _ZN7rocprim17ROCPRIM_400000_NS6detail44device_merge_sort_compile_time_verifier_archINS1_11comp_targetILNS1_3genE2ELNS1_11target_archE906ELNS1_3gpuE6ELNS1_3repE0EEES8_NS0_14default_configES9_NS1_37merge_sort_block_sort_config_selectorIlNS0_10empty_typeEEENS1_38merge_sort_block_merge_config_selectorIlSB_EEEEvv.num_named_barrier, 0
	.set _ZN7rocprim17ROCPRIM_400000_NS6detail44device_merge_sort_compile_time_verifier_archINS1_11comp_targetILNS1_3genE2ELNS1_11target_archE906ELNS1_3gpuE6ELNS1_3repE0EEES8_NS0_14default_configES9_NS1_37merge_sort_block_sort_config_selectorIlNS0_10empty_typeEEENS1_38merge_sort_block_merge_config_selectorIlSB_EEEEvv.private_seg_size, 0
	.set _ZN7rocprim17ROCPRIM_400000_NS6detail44device_merge_sort_compile_time_verifier_archINS1_11comp_targetILNS1_3genE2ELNS1_11target_archE906ELNS1_3gpuE6ELNS1_3repE0EEES8_NS0_14default_configES9_NS1_37merge_sort_block_sort_config_selectorIlNS0_10empty_typeEEENS1_38merge_sort_block_merge_config_selectorIlSB_EEEEvv.uses_vcc, 0
	.set _ZN7rocprim17ROCPRIM_400000_NS6detail44device_merge_sort_compile_time_verifier_archINS1_11comp_targetILNS1_3genE2ELNS1_11target_archE906ELNS1_3gpuE6ELNS1_3repE0EEES8_NS0_14default_configES9_NS1_37merge_sort_block_sort_config_selectorIlNS0_10empty_typeEEENS1_38merge_sort_block_merge_config_selectorIlSB_EEEEvv.uses_flat_scratch, 0
	.set _ZN7rocprim17ROCPRIM_400000_NS6detail44device_merge_sort_compile_time_verifier_archINS1_11comp_targetILNS1_3genE2ELNS1_11target_archE906ELNS1_3gpuE6ELNS1_3repE0EEES8_NS0_14default_configES9_NS1_37merge_sort_block_sort_config_selectorIlNS0_10empty_typeEEENS1_38merge_sort_block_merge_config_selectorIlSB_EEEEvv.has_dyn_sized_stack, 0
	.set _ZN7rocprim17ROCPRIM_400000_NS6detail44device_merge_sort_compile_time_verifier_archINS1_11comp_targetILNS1_3genE2ELNS1_11target_archE906ELNS1_3gpuE6ELNS1_3repE0EEES8_NS0_14default_configES9_NS1_37merge_sort_block_sort_config_selectorIlNS0_10empty_typeEEENS1_38merge_sort_block_merge_config_selectorIlSB_EEEEvv.has_recursion, 0
	.set _ZN7rocprim17ROCPRIM_400000_NS6detail44device_merge_sort_compile_time_verifier_archINS1_11comp_targetILNS1_3genE2ELNS1_11target_archE906ELNS1_3gpuE6ELNS1_3repE0EEES8_NS0_14default_configES9_NS1_37merge_sort_block_sort_config_selectorIlNS0_10empty_typeEEENS1_38merge_sort_block_merge_config_selectorIlSB_EEEEvv.has_indirect_call, 0
	.section	.AMDGPU.csdata,"",@progbits
; Kernel info:
; codeLenInByte = 4
; TotalNumSgprs: 6
; NumVgprs: 0
; NumAgprs: 0
; TotalNumVgprs: 0
; ScratchSize: 0
; MemoryBound: 0
; FloatMode: 240
; IeeeMode: 1
; LDSByteSize: 0 bytes/workgroup (compile time only)
; SGPRBlocks: 0
; VGPRBlocks: 0
; NumSGPRsForWavesPerEU: 6
; NumVGPRsForWavesPerEU: 1
; AccumOffset: 4
; Occupancy: 8
; WaveLimiterHint : 0
; COMPUTE_PGM_RSRC2:SCRATCH_EN: 0
; COMPUTE_PGM_RSRC2:USER_SGPR: 0
; COMPUTE_PGM_RSRC2:TRAP_HANDLER: 0
; COMPUTE_PGM_RSRC2:TGID_X_EN: 1
; COMPUTE_PGM_RSRC2:TGID_Y_EN: 0
; COMPUTE_PGM_RSRC2:TGID_Z_EN: 0
; COMPUTE_PGM_RSRC2:TIDIG_COMP_CNT: 0
; COMPUTE_PGM_RSRC3_GFX90A:ACCUM_OFFSET: 0
; COMPUTE_PGM_RSRC3_GFX90A:TG_SPLIT: 0
	.section	.text._ZN7rocprim17ROCPRIM_400000_NS6detail44device_merge_sort_compile_time_verifier_archINS1_11comp_targetILNS1_3genE10ELNS1_11target_archE1201ELNS1_3gpuE5ELNS1_3repE0EEES8_NS0_14default_configES9_NS1_37merge_sort_block_sort_config_selectorIlNS0_10empty_typeEEENS1_38merge_sort_block_merge_config_selectorIlSB_EEEEvv,"axG",@progbits,_ZN7rocprim17ROCPRIM_400000_NS6detail44device_merge_sort_compile_time_verifier_archINS1_11comp_targetILNS1_3genE10ELNS1_11target_archE1201ELNS1_3gpuE5ELNS1_3repE0EEES8_NS0_14default_configES9_NS1_37merge_sort_block_sort_config_selectorIlNS0_10empty_typeEEENS1_38merge_sort_block_merge_config_selectorIlSB_EEEEvv,comdat
	.protected	_ZN7rocprim17ROCPRIM_400000_NS6detail44device_merge_sort_compile_time_verifier_archINS1_11comp_targetILNS1_3genE10ELNS1_11target_archE1201ELNS1_3gpuE5ELNS1_3repE0EEES8_NS0_14default_configES9_NS1_37merge_sort_block_sort_config_selectorIlNS0_10empty_typeEEENS1_38merge_sort_block_merge_config_selectorIlSB_EEEEvv ; -- Begin function _ZN7rocprim17ROCPRIM_400000_NS6detail44device_merge_sort_compile_time_verifier_archINS1_11comp_targetILNS1_3genE10ELNS1_11target_archE1201ELNS1_3gpuE5ELNS1_3repE0EEES8_NS0_14default_configES9_NS1_37merge_sort_block_sort_config_selectorIlNS0_10empty_typeEEENS1_38merge_sort_block_merge_config_selectorIlSB_EEEEvv
	.globl	_ZN7rocprim17ROCPRIM_400000_NS6detail44device_merge_sort_compile_time_verifier_archINS1_11comp_targetILNS1_3genE10ELNS1_11target_archE1201ELNS1_3gpuE5ELNS1_3repE0EEES8_NS0_14default_configES9_NS1_37merge_sort_block_sort_config_selectorIlNS0_10empty_typeEEENS1_38merge_sort_block_merge_config_selectorIlSB_EEEEvv
	.p2align	8
	.type	_ZN7rocprim17ROCPRIM_400000_NS6detail44device_merge_sort_compile_time_verifier_archINS1_11comp_targetILNS1_3genE10ELNS1_11target_archE1201ELNS1_3gpuE5ELNS1_3repE0EEES8_NS0_14default_configES9_NS1_37merge_sort_block_sort_config_selectorIlNS0_10empty_typeEEENS1_38merge_sort_block_merge_config_selectorIlSB_EEEEvv,@function
_ZN7rocprim17ROCPRIM_400000_NS6detail44device_merge_sort_compile_time_verifier_archINS1_11comp_targetILNS1_3genE10ELNS1_11target_archE1201ELNS1_3gpuE5ELNS1_3repE0EEES8_NS0_14default_configES9_NS1_37merge_sort_block_sort_config_selectorIlNS0_10empty_typeEEENS1_38merge_sort_block_merge_config_selectorIlSB_EEEEvv: ; @_ZN7rocprim17ROCPRIM_400000_NS6detail44device_merge_sort_compile_time_verifier_archINS1_11comp_targetILNS1_3genE10ELNS1_11target_archE1201ELNS1_3gpuE5ELNS1_3repE0EEES8_NS0_14default_configES9_NS1_37merge_sort_block_sort_config_selectorIlNS0_10empty_typeEEENS1_38merge_sort_block_merge_config_selectorIlSB_EEEEvv
; %bb.0:
	s_endpgm
	.section	.rodata,"a",@progbits
	.p2align	6, 0x0
	.amdhsa_kernel _ZN7rocprim17ROCPRIM_400000_NS6detail44device_merge_sort_compile_time_verifier_archINS1_11comp_targetILNS1_3genE10ELNS1_11target_archE1201ELNS1_3gpuE5ELNS1_3repE0EEES8_NS0_14default_configES9_NS1_37merge_sort_block_sort_config_selectorIlNS0_10empty_typeEEENS1_38merge_sort_block_merge_config_selectorIlSB_EEEEvv
		.amdhsa_group_segment_fixed_size 0
		.amdhsa_private_segment_fixed_size 0
		.amdhsa_kernarg_size 0
		.amdhsa_user_sgpr_count 0
		.amdhsa_user_sgpr_dispatch_ptr 0
		.amdhsa_user_sgpr_queue_ptr 0
		.amdhsa_user_sgpr_kernarg_segment_ptr 0
		.amdhsa_user_sgpr_dispatch_id 0
		.amdhsa_user_sgpr_kernarg_preload_length 0
		.amdhsa_user_sgpr_kernarg_preload_offset 0
		.amdhsa_user_sgpr_private_segment_size 0
		.amdhsa_uses_dynamic_stack 0
		.amdhsa_enable_private_segment 0
		.amdhsa_system_sgpr_workgroup_id_x 1
		.amdhsa_system_sgpr_workgroup_id_y 0
		.amdhsa_system_sgpr_workgroup_id_z 0
		.amdhsa_system_sgpr_workgroup_info 0
		.amdhsa_system_vgpr_workitem_id 0
		.amdhsa_next_free_vgpr 1
		.amdhsa_next_free_sgpr 0
		.amdhsa_accum_offset 4
		.amdhsa_reserve_vcc 0
		.amdhsa_float_round_mode_32 0
		.amdhsa_float_round_mode_16_64 0
		.amdhsa_float_denorm_mode_32 3
		.amdhsa_float_denorm_mode_16_64 3
		.amdhsa_dx10_clamp 1
		.amdhsa_ieee_mode 1
		.amdhsa_fp16_overflow 0
		.amdhsa_tg_split 0
		.amdhsa_exception_fp_ieee_invalid_op 0
		.amdhsa_exception_fp_denorm_src 0
		.amdhsa_exception_fp_ieee_div_zero 0
		.amdhsa_exception_fp_ieee_overflow 0
		.amdhsa_exception_fp_ieee_underflow 0
		.amdhsa_exception_fp_ieee_inexact 0
		.amdhsa_exception_int_div_zero 0
	.end_amdhsa_kernel
	.section	.text._ZN7rocprim17ROCPRIM_400000_NS6detail44device_merge_sort_compile_time_verifier_archINS1_11comp_targetILNS1_3genE10ELNS1_11target_archE1201ELNS1_3gpuE5ELNS1_3repE0EEES8_NS0_14default_configES9_NS1_37merge_sort_block_sort_config_selectorIlNS0_10empty_typeEEENS1_38merge_sort_block_merge_config_selectorIlSB_EEEEvv,"axG",@progbits,_ZN7rocprim17ROCPRIM_400000_NS6detail44device_merge_sort_compile_time_verifier_archINS1_11comp_targetILNS1_3genE10ELNS1_11target_archE1201ELNS1_3gpuE5ELNS1_3repE0EEES8_NS0_14default_configES9_NS1_37merge_sort_block_sort_config_selectorIlNS0_10empty_typeEEENS1_38merge_sort_block_merge_config_selectorIlSB_EEEEvv,comdat
.Lfunc_end5:
	.size	_ZN7rocprim17ROCPRIM_400000_NS6detail44device_merge_sort_compile_time_verifier_archINS1_11comp_targetILNS1_3genE10ELNS1_11target_archE1201ELNS1_3gpuE5ELNS1_3repE0EEES8_NS0_14default_configES9_NS1_37merge_sort_block_sort_config_selectorIlNS0_10empty_typeEEENS1_38merge_sort_block_merge_config_selectorIlSB_EEEEvv, .Lfunc_end5-_ZN7rocprim17ROCPRIM_400000_NS6detail44device_merge_sort_compile_time_verifier_archINS1_11comp_targetILNS1_3genE10ELNS1_11target_archE1201ELNS1_3gpuE5ELNS1_3repE0EEES8_NS0_14default_configES9_NS1_37merge_sort_block_sort_config_selectorIlNS0_10empty_typeEEENS1_38merge_sort_block_merge_config_selectorIlSB_EEEEvv
                                        ; -- End function
	.set _ZN7rocprim17ROCPRIM_400000_NS6detail44device_merge_sort_compile_time_verifier_archINS1_11comp_targetILNS1_3genE10ELNS1_11target_archE1201ELNS1_3gpuE5ELNS1_3repE0EEES8_NS0_14default_configES9_NS1_37merge_sort_block_sort_config_selectorIlNS0_10empty_typeEEENS1_38merge_sort_block_merge_config_selectorIlSB_EEEEvv.num_vgpr, 0
	.set _ZN7rocprim17ROCPRIM_400000_NS6detail44device_merge_sort_compile_time_verifier_archINS1_11comp_targetILNS1_3genE10ELNS1_11target_archE1201ELNS1_3gpuE5ELNS1_3repE0EEES8_NS0_14default_configES9_NS1_37merge_sort_block_sort_config_selectorIlNS0_10empty_typeEEENS1_38merge_sort_block_merge_config_selectorIlSB_EEEEvv.num_agpr, 0
	.set _ZN7rocprim17ROCPRIM_400000_NS6detail44device_merge_sort_compile_time_verifier_archINS1_11comp_targetILNS1_3genE10ELNS1_11target_archE1201ELNS1_3gpuE5ELNS1_3repE0EEES8_NS0_14default_configES9_NS1_37merge_sort_block_sort_config_selectorIlNS0_10empty_typeEEENS1_38merge_sort_block_merge_config_selectorIlSB_EEEEvv.numbered_sgpr, 0
	.set _ZN7rocprim17ROCPRIM_400000_NS6detail44device_merge_sort_compile_time_verifier_archINS1_11comp_targetILNS1_3genE10ELNS1_11target_archE1201ELNS1_3gpuE5ELNS1_3repE0EEES8_NS0_14default_configES9_NS1_37merge_sort_block_sort_config_selectorIlNS0_10empty_typeEEENS1_38merge_sort_block_merge_config_selectorIlSB_EEEEvv.num_named_barrier, 0
	.set _ZN7rocprim17ROCPRIM_400000_NS6detail44device_merge_sort_compile_time_verifier_archINS1_11comp_targetILNS1_3genE10ELNS1_11target_archE1201ELNS1_3gpuE5ELNS1_3repE0EEES8_NS0_14default_configES9_NS1_37merge_sort_block_sort_config_selectorIlNS0_10empty_typeEEENS1_38merge_sort_block_merge_config_selectorIlSB_EEEEvv.private_seg_size, 0
	.set _ZN7rocprim17ROCPRIM_400000_NS6detail44device_merge_sort_compile_time_verifier_archINS1_11comp_targetILNS1_3genE10ELNS1_11target_archE1201ELNS1_3gpuE5ELNS1_3repE0EEES8_NS0_14default_configES9_NS1_37merge_sort_block_sort_config_selectorIlNS0_10empty_typeEEENS1_38merge_sort_block_merge_config_selectorIlSB_EEEEvv.uses_vcc, 0
	.set _ZN7rocprim17ROCPRIM_400000_NS6detail44device_merge_sort_compile_time_verifier_archINS1_11comp_targetILNS1_3genE10ELNS1_11target_archE1201ELNS1_3gpuE5ELNS1_3repE0EEES8_NS0_14default_configES9_NS1_37merge_sort_block_sort_config_selectorIlNS0_10empty_typeEEENS1_38merge_sort_block_merge_config_selectorIlSB_EEEEvv.uses_flat_scratch, 0
	.set _ZN7rocprim17ROCPRIM_400000_NS6detail44device_merge_sort_compile_time_verifier_archINS1_11comp_targetILNS1_3genE10ELNS1_11target_archE1201ELNS1_3gpuE5ELNS1_3repE0EEES8_NS0_14default_configES9_NS1_37merge_sort_block_sort_config_selectorIlNS0_10empty_typeEEENS1_38merge_sort_block_merge_config_selectorIlSB_EEEEvv.has_dyn_sized_stack, 0
	.set _ZN7rocprim17ROCPRIM_400000_NS6detail44device_merge_sort_compile_time_verifier_archINS1_11comp_targetILNS1_3genE10ELNS1_11target_archE1201ELNS1_3gpuE5ELNS1_3repE0EEES8_NS0_14default_configES9_NS1_37merge_sort_block_sort_config_selectorIlNS0_10empty_typeEEENS1_38merge_sort_block_merge_config_selectorIlSB_EEEEvv.has_recursion, 0
	.set _ZN7rocprim17ROCPRIM_400000_NS6detail44device_merge_sort_compile_time_verifier_archINS1_11comp_targetILNS1_3genE10ELNS1_11target_archE1201ELNS1_3gpuE5ELNS1_3repE0EEES8_NS0_14default_configES9_NS1_37merge_sort_block_sort_config_selectorIlNS0_10empty_typeEEENS1_38merge_sort_block_merge_config_selectorIlSB_EEEEvv.has_indirect_call, 0
	.section	.AMDGPU.csdata,"",@progbits
; Kernel info:
; codeLenInByte = 4
; TotalNumSgprs: 6
; NumVgprs: 0
; NumAgprs: 0
; TotalNumVgprs: 0
; ScratchSize: 0
; MemoryBound: 0
; FloatMode: 240
; IeeeMode: 1
; LDSByteSize: 0 bytes/workgroup (compile time only)
; SGPRBlocks: 0
; VGPRBlocks: 0
; NumSGPRsForWavesPerEU: 6
; NumVGPRsForWavesPerEU: 1
; AccumOffset: 4
; Occupancy: 8
; WaveLimiterHint : 0
; COMPUTE_PGM_RSRC2:SCRATCH_EN: 0
; COMPUTE_PGM_RSRC2:USER_SGPR: 0
; COMPUTE_PGM_RSRC2:TRAP_HANDLER: 0
; COMPUTE_PGM_RSRC2:TGID_X_EN: 1
; COMPUTE_PGM_RSRC2:TGID_Y_EN: 0
; COMPUTE_PGM_RSRC2:TGID_Z_EN: 0
; COMPUTE_PGM_RSRC2:TIDIG_COMP_CNT: 0
; COMPUTE_PGM_RSRC3_GFX90A:ACCUM_OFFSET: 0
; COMPUTE_PGM_RSRC3_GFX90A:TG_SPLIT: 0
	.section	.text._ZN7rocprim17ROCPRIM_400000_NS6detail44device_merge_sort_compile_time_verifier_archINS1_11comp_targetILNS1_3genE10ELNS1_11target_archE1200ELNS1_3gpuE4ELNS1_3repE0EEENS3_ILS4_10ELS5_1201ELS6_5ELS7_0EEENS0_14default_configESA_NS1_37merge_sort_block_sort_config_selectorIlNS0_10empty_typeEEENS1_38merge_sort_block_merge_config_selectorIlSC_EEEEvv,"axG",@progbits,_ZN7rocprim17ROCPRIM_400000_NS6detail44device_merge_sort_compile_time_verifier_archINS1_11comp_targetILNS1_3genE10ELNS1_11target_archE1200ELNS1_3gpuE4ELNS1_3repE0EEENS3_ILS4_10ELS5_1201ELS6_5ELS7_0EEENS0_14default_configESA_NS1_37merge_sort_block_sort_config_selectorIlNS0_10empty_typeEEENS1_38merge_sort_block_merge_config_selectorIlSC_EEEEvv,comdat
	.protected	_ZN7rocprim17ROCPRIM_400000_NS6detail44device_merge_sort_compile_time_verifier_archINS1_11comp_targetILNS1_3genE10ELNS1_11target_archE1200ELNS1_3gpuE4ELNS1_3repE0EEENS3_ILS4_10ELS5_1201ELS6_5ELS7_0EEENS0_14default_configESA_NS1_37merge_sort_block_sort_config_selectorIlNS0_10empty_typeEEENS1_38merge_sort_block_merge_config_selectorIlSC_EEEEvv ; -- Begin function _ZN7rocprim17ROCPRIM_400000_NS6detail44device_merge_sort_compile_time_verifier_archINS1_11comp_targetILNS1_3genE10ELNS1_11target_archE1200ELNS1_3gpuE4ELNS1_3repE0EEENS3_ILS4_10ELS5_1201ELS6_5ELS7_0EEENS0_14default_configESA_NS1_37merge_sort_block_sort_config_selectorIlNS0_10empty_typeEEENS1_38merge_sort_block_merge_config_selectorIlSC_EEEEvv
	.globl	_ZN7rocprim17ROCPRIM_400000_NS6detail44device_merge_sort_compile_time_verifier_archINS1_11comp_targetILNS1_3genE10ELNS1_11target_archE1200ELNS1_3gpuE4ELNS1_3repE0EEENS3_ILS4_10ELS5_1201ELS6_5ELS7_0EEENS0_14default_configESA_NS1_37merge_sort_block_sort_config_selectorIlNS0_10empty_typeEEENS1_38merge_sort_block_merge_config_selectorIlSC_EEEEvv
	.p2align	8
	.type	_ZN7rocprim17ROCPRIM_400000_NS6detail44device_merge_sort_compile_time_verifier_archINS1_11comp_targetILNS1_3genE10ELNS1_11target_archE1200ELNS1_3gpuE4ELNS1_3repE0EEENS3_ILS4_10ELS5_1201ELS6_5ELS7_0EEENS0_14default_configESA_NS1_37merge_sort_block_sort_config_selectorIlNS0_10empty_typeEEENS1_38merge_sort_block_merge_config_selectorIlSC_EEEEvv,@function
_ZN7rocprim17ROCPRIM_400000_NS6detail44device_merge_sort_compile_time_verifier_archINS1_11comp_targetILNS1_3genE10ELNS1_11target_archE1200ELNS1_3gpuE4ELNS1_3repE0EEENS3_ILS4_10ELS5_1201ELS6_5ELS7_0EEENS0_14default_configESA_NS1_37merge_sort_block_sort_config_selectorIlNS0_10empty_typeEEENS1_38merge_sort_block_merge_config_selectorIlSC_EEEEvv: ; @_ZN7rocprim17ROCPRIM_400000_NS6detail44device_merge_sort_compile_time_verifier_archINS1_11comp_targetILNS1_3genE10ELNS1_11target_archE1200ELNS1_3gpuE4ELNS1_3repE0EEENS3_ILS4_10ELS5_1201ELS6_5ELS7_0EEENS0_14default_configESA_NS1_37merge_sort_block_sort_config_selectorIlNS0_10empty_typeEEENS1_38merge_sort_block_merge_config_selectorIlSC_EEEEvv
; %bb.0:
	s_endpgm
	.section	.rodata,"a",@progbits
	.p2align	6, 0x0
	.amdhsa_kernel _ZN7rocprim17ROCPRIM_400000_NS6detail44device_merge_sort_compile_time_verifier_archINS1_11comp_targetILNS1_3genE10ELNS1_11target_archE1200ELNS1_3gpuE4ELNS1_3repE0EEENS3_ILS4_10ELS5_1201ELS6_5ELS7_0EEENS0_14default_configESA_NS1_37merge_sort_block_sort_config_selectorIlNS0_10empty_typeEEENS1_38merge_sort_block_merge_config_selectorIlSC_EEEEvv
		.amdhsa_group_segment_fixed_size 0
		.amdhsa_private_segment_fixed_size 0
		.amdhsa_kernarg_size 0
		.amdhsa_user_sgpr_count 0
		.amdhsa_user_sgpr_dispatch_ptr 0
		.amdhsa_user_sgpr_queue_ptr 0
		.amdhsa_user_sgpr_kernarg_segment_ptr 0
		.amdhsa_user_sgpr_dispatch_id 0
		.amdhsa_user_sgpr_kernarg_preload_length 0
		.amdhsa_user_sgpr_kernarg_preload_offset 0
		.amdhsa_user_sgpr_private_segment_size 0
		.amdhsa_uses_dynamic_stack 0
		.amdhsa_enable_private_segment 0
		.amdhsa_system_sgpr_workgroup_id_x 1
		.amdhsa_system_sgpr_workgroup_id_y 0
		.amdhsa_system_sgpr_workgroup_id_z 0
		.amdhsa_system_sgpr_workgroup_info 0
		.amdhsa_system_vgpr_workitem_id 0
		.amdhsa_next_free_vgpr 1
		.amdhsa_next_free_sgpr 0
		.amdhsa_accum_offset 4
		.amdhsa_reserve_vcc 0
		.amdhsa_float_round_mode_32 0
		.amdhsa_float_round_mode_16_64 0
		.amdhsa_float_denorm_mode_32 3
		.amdhsa_float_denorm_mode_16_64 3
		.amdhsa_dx10_clamp 1
		.amdhsa_ieee_mode 1
		.amdhsa_fp16_overflow 0
		.amdhsa_tg_split 0
		.amdhsa_exception_fp_ieee_invalid_op 0
		.amdhsa_exception_fp_denorm_src 0
		.amdhsa_exception_fp_ieee_div_zero 0
		.amdhsa_exception_fp_ieee_overflow 0
		.amdhsa_exception_fp_ieee_underflow 0
		.amdhsa_exception_fp_ieee_inexact 0
		.amdhsa_exception_int_div_zero 0
	.end_amdhsa_kernel
	.section	.text._ZN7rocprim17ROCPRIM_400000_NS6detail44device_merge_sort_compile_time_verifier_archINS1_11comp_targetILNS1_3genE10ELNS1_11target_archE1200ELNS1_3gpuE4ELNS1_3repE0EEENS3_ILS4_10ELS5_1201ELS6_5ELS7_0EEENS0_14default_configESA_NS1_37merge_sort_block_sort_config_selectorIlNS0_10empty_typeEEENS1_38merge_sort_block_merge_config_selectorIlSC_EEEEvv,"axG",@progbits,_ZN7rocprim17ROCPRIM_400000_NS6detail44device_merge_sort_compile_time_verifier_archINS1_11comp_targetILNS1_3genE10ELNS1_11target_archE1200ELNS1_3gpuE4ELNS1_3repE0EEENS3_ILS4_10ELS5_1201ELS6_5ELS7_0EEENS0_14default_configESA_NS1_37merge_sort_block_sort_config_selectorIlNS0_10empty_typeEEENS1_38merge_sort_block_merge_config_selectorIlSC_EEEEvv,comdat
.Lfunc_end6:
	.size	_ZN7rocprim17ROCPRIM_400000_NS6detail44device_merge_sort_compile_time_verifier_archINS1_11comp_targetILNS1_3genE10ELNS1_11target_archE1200ELNS1_3gpuE4ELNS1_3repE0EEENS3_ILS4_10ELS5_1201ELS6_5ELS7_0EEENS0_14default_configESA_NS1_37merge_sort_block_sort_config_selectorIlNS0_10empty_typeEEENS1_38merge_sort_block_merge_config_selectorIlSC_EEEEvv, .Lfunc_end6-_ZN7rocprim17ROCPRIM_400000_NS6detail44device_merge_sort_compile_time_verifier_archINS1_11comp_targetILNS1_3genE10ELNS1_11target_archE1200ELNS1_3gpuE4ELNS1_3repE0EEENS3_ILS4_10ELS5_1201ELS6_5ELS7_0EEENS0_14default_configESA_NS1_37merge_sort_block_sort_config_selectorIlNS0_10empty_typeEEENS1_38merge_sort_block_merge_config_selectorIlSC_EEEEvv
                                        ; -- End function
	.set _ZN7rocprim17ROCPRIM_400000_NS6detail44device_merge_sort_compile_time_verifier_archINS1_11comp_targetILNS1_3genE10ELNS1_11target_archE1200ELNS1_3gpuE4ELNS1_3repE0EEENS3_ILS4_10ELS5_1201ELS6_5ELS7_0EEENS0_14default_configESA_NS1_37merge_sort_block_sort_config_selectorIlNS0_10empty_typeEEENS1_38merge_sort_block_merge_config_selectorIlSC_EEEEvv.num_vgpr, 0
	.set _ZN7rocprim17ROCPRIM_400000_NS6detail44device_merge_sort_compile_time_verifier_archINS1_11comp_targetILNS1_3genE10ELNS1_11target_archE1200ELNS1_3gpuE4ELNS1_3repE0EEENS3_ILS4_10ELS5_1201ELS6_5ELS7_0EEENS0_14default_configESA_NS1_37merge_sort_block_sort_config_selectorIlNS0_10empty_typeEEENS1_38merge_sort_block_merge_config_selectorIlSC_EEEEvv.num_agpr, 0
	.set _ZN7rocprim17ROCPRIM_400000_NS6detail44device_merge_sort_compile_time_verifier_archINS1_11comp_targetILNS1_3genE10ELNS1_11target_archE1200ELNS1_3gpuE4ELNS1_3repE0EEENS3_ILS4_10ELS5_1201ELS6_5ELS7_0EEENS0_14default_configESA_NS1_37merge_sort_block_sort_config_selectorIlNS0_10empty_typeEEENS1_38merge_sort_block_merge_config_selectorIlSC_EEEEvv.numbered_sgpr, 0
	.set _ZN7rocprim17ROCPRIM_400000_NS6detail44device_merge_sort_compile_time_verifier_archINS1_11comp_targetILNS1_3genE10ELNS1_11target_archE1200ELNS1_3gpuE4ELNS1_3repE0EEENS3_ILS4_10ELS5_1201ELS6_5ELS7_0EEENS0_14default_configESA_NS1_37merge_sort_block_sort_config_selectorIlNS0_10empty_typeEEENS1_38merge_sort_block_merge_config_selectorIlSC_EEEEvv.num_named_barrier, 0
	.set _ZN7rocprim17ROCPRIM_400000_NS6detail44device_merge_sort_compile_time_verifier_archINS1_11comp_targetILNS1_3genE10ELNS1_11target_archE1200ELNS1_3gpuE4ELNS1_3repE0EEENS3_ILS4_10ELS5_1201ELS6_5ELS7_0EEENS0_14default_configESA_NS1_37merge_sort_block_sort_config_selectorIlNS0_10empty_typeEEENS1_38merge_sort_block_merge_config_selectorIlSC_EEEEvv.private_seg_size, 0
	.set _ZN7rocprim17ROCPRIM_400000_NS6detail44device_merge_sort_compile_time_verifier_archINS1_11comp_targetILNS1_3genE10ELNS1_11target_archE1200ELNS1_3gpuE4ELNS1_3repE0EEENS3_ILS4_10ELS5_1201ELS6_5ELS7_0EEENS0_14default_configESA_NS1_37merge_sort_block_sort_config_selectorIlNS0_10empty_typeEEENS1_38merge_sort_block_merge_config_selectorIlSC_EEEEvv.uses_vcc, 0
	.set _ZN7rocprim17ROCPRIM_400000_NS6detail44device_merge_sort_compile_time_verifier_archINS1_11comp_targetILNS1_3genE10ELNS1_11target_archE1200ELNS1_3gpuE4ELNS1_3repE0EEENS3_ILS4_10ELS5_1201ELS6_5ELS7_0EEENS0_14default_configESA_NS1_37merge_sort_block_sort_config_selectorIlNS0_10empty_typeEEENS1_38merge_sort_block_merge_config_selectorIlSC_EEEEvv.uses_flat_scratch, 0
	.set _ZN7rocprim17ROCPRIM_400000_NS6detail44device_merge_sort_compile_time_verifier_archINS1_11comp_targetILNS1_3genE10ELNS1_11target_archE1200ELNS1_3gpuE4ELNS1_3repE0EEENS3_ILS4_10ELS5_1201ELS6_5ELS7_0EEENS0_14default_configESA_NS1_37merge_sort_block_sort_config_selectorIlNS0_10empty_typeEEENS1_38merge_sort_block_merge_config_selectorIlSC_EEEEvv.has_dyn_sized_stack, 0
	.set _ZN7rocprim17ROCPRIM_400000_NS6detail44device_merge_sort_compile_time_verifier_archINS1_11comp_targetILNS1_3genE10ELNS1_11target_archE1200ELNS1_3gpuE4ELNS1_3repE0EEENS3_ILS4_10ELS5_1201ELS6_5ELS7_0EEENS0_14default_configESA_NS1_37merge_sort_block_sort_config_selectorIlNS0_10empty_typeEEENS1_38merge_sort_block_merge_config_selectorIlSC_EEEEvv.has_recursion, 0
	.set _ZN7rocprim17ROCPRIM_400000_NS6detail44device_merge_sort_compile_time_verifier_archINS1_11comp_targetILNS1_3genE10ELNS1_11target_archE1200ELNS1_3gpuE4ELNS1_3repE0EEENS3_ILS4_10ELS5_1201ELS6_5ELS7_0EEENS0_14default_configESA_NS1_37merge_sort_block_sort_config_selectorIlNS0_10empty_typeEEENS1_38merge_sort_block_merge_config_selectorIlSC_EEEEvv.has_indirect_call, 0
	.section	.AMDGPU.csdata,"",@progbits
; Kernel info:
; codeLenInByte = 4
; TotalNumSgprs: 6
; NumVgprs: 0
; NumAgprs: 0
; TotalNumVgprs: 0
; ScratchSize: 0
; MemoryBound: 0
; FloatMode: 240
; IeeeMode: 1
; LDSByteSize: 0 bytes/workgroup (compile time only)
; SGPRBlocks: 0
; VGPRBlocks: 0
; NumSGPRsForWavesPerEU: 6
; NumVGPRsForWavesPerEU: 1
; AccumOffset: 4
; Occupancy: 8
; WaveLimiterHint : 0
; COMPUTE_PGM_RSRC2:SCRATCH_EN: 0
; COMPUTE_PGM_RSRC2:USER_SGPR: 0
; COMPUTE_PGM_RSRC2:TRAP_HANDLER: 0
; COMPUTE_PGM_RSRC2:TGID_X_EN: 1
; COMPUTE_PGM_RSRC2:TGID_Y_EN: 0
; COMPUTE_PGM_RSRC2:TGID_Z_EN: 0
; COMPUTE_PGM_RSRC2:TIDIG_COMP_CNT: 0
; COMPUTE_PGM_RSRC3_GFX90A:ACCUM_OFFSET: 0
; COMPUTE_PGM_RSRC3_GFX90A:TG_SPLIT: 0
	.section	.text._ZN7rocprim17ROCPRIM_400000_NS6detail44device_merge_sort_compile_time_verifier_archINS1_11comp_targetILNS1_3genE9ELNS1_11target_archE1100ELNS1_3gpuE3ELNS1_3repE0EEES8_NS0_14default_configES9_NS1_37merge_sort_block_sort_config_selectorIlNS0_10empty_typeEEENS1_38merge_sort_block_merge_config_selectorIlSB_EEEEvv,"axG",@progbits,_ZN7rocprim17ROCPRIM_400000_NS6detail44device_merge_sort_compile_time_verifier_archINS1_11comp_targetILNS1_3genE9ELNS1_11target_archE1100ELNS1_3gpuE3ELNS1_3repE0EEES8_NS0_14default_configES9_NS1_37merge_sort_block_sort_config_selectorIlNS0_10empty_typeEEENS1_38merge_sort_block_merge_config_selectorIlSB_EEEEvv,comdat
	.protected	_ZN7rocprim17ROCPRIM_400000_NS6detail44device_merge_sort_compile_time_verifier_archINS1_11comp_targetILNS1_3genE9ELNS1_11target_archE1100ELNS1_3gpuE3ELNS1_3repE0EEES8_NS0_14default_configES9_NS1_37merge_sort_block_sort_config_selectorIlNS0_10empty_typeEEENS1_38merge_sort_block_merge_config_selectorIlSB_EEEEvv ; -- Begin function _ZN7rocprim17ROCPRIM_400000_NS6detail44device_merge_sort_compile_time_verifier_archINS1_11comp_targetILNS1_3genE9ELNS1_11target_archE1100ELNS1_3gpuE3ELNS1_3repE0EEES8_NS0_14default_configES9_NS1_37merge_sort_block_sort_config_selectorIlNS0_10empty_typeEEENS1_38merge_sort_block_merge_config_selectorIlSB_EEEEvv
	.globl	_ZN7rocprim17ROCPRIM_400000_NS6detail44device_merge_sort_compile_time_verifier_archINS1_11comp_targetILNS1_3genE9ELNS1_11target_archE1100ELNS1_3gpuE3ELNS1_3repE0EEES8_NS0_14default_configES9_NS1_37merge_sort_block_sort_config_selectorIlNS0_10empty_typeEEENS1_38merge_sort_block_merge_config_selectorIlSB_EEEEvv
	.p2align	8
	.type	_ZN7rocprim17ROCPRIM_400000_NS6detail44device_merge_sort_compile_time_verifier_archINS1_11comp_targetILNS1_3genE9ELNS1_11target_archE1100ELNS1_3gpuE3ELNS1_3repE0EEES8_NS0_14default_configES9_NS1_37merge_sort_block_sort_config_selectorIlNS0_10empty_typeEEENS1_38merge_sort_block_merge_config_selectorIlSB_EEEEvv,@function
_ZN7rocprim17ROCPRIM_400000_NS6detail44device_merge_sort_compile_time_verifier_archINS1_11comp_targetILNS1_3genE9ELNS1_11target_archE1100ELNS1_3gpuE3ELNS1_3repE0EEES8_NS0_14default_configES9_NS1_37merge_sort_block_sort_config_selectorIlNS0_10empty_typeEEENS1_38merge_sort_block_merge_config_selectorIlSB_EEEEvv: ; @_ZN7rocprim17ROCPRIM_400000_NS6detail44device_merge_sort_compile_time_verifier_archINS1_11comp_targetILNS1_3genE9ELNS1_11target_archE1100ELNS1_3gpuE3ELNS1_3repE0EEES8_NS0_14default_configES9_NS1_37merge_sort_block_sort_config_selectorIlNS0_10empty_typeEEENS1_38merge_sort_block_merge_config_selectorIlSB_EEEEvv
; %bb.0:
	s_endpgm
	.section	.rodata,"a",@progbits
	.p2align	6, 0x0
	.amdhsa_kernel _ZN7rocprim17ROCPRIM_400000_NS6detail44device_merge_sort_compile_time_verifier_archINS1_11comp_targetILNS1_3genE9ELNS1_11target_archE1100ELNS1_3gpuE3ELNS1_3repE0EEES8_NS0_14default_configES9_NS1_37merge_sort_block_sort_config_selectorIlNS0_10empty_typeEEENS1_38merge_sort_block_merge_config_selectorIlSB_EEEEvv
		.amdhsa_group_segment_fixed_size 0
		.amdhsa_private_segment_fixed_size 0
		.amdhsa_kernarg_size 0
		.amdhsa_user_sgpr_count 0
		.amdhsa_user_sgpr_dispatch_ptr 0
		.amdhsa_user_sgpr_queue_ptr 0
		.amdhsa_user_sgpr_kernarg_segment_ptr 0
		.amdhsa_user_sgpr_dispatch_id 0
		.amdhsa_user_sgpr_kernarg_preload_length 0
		.amdhsa_user_sgpr_kernarg_preload_offset 0
		.amdhsa_user_sgpr_private_segment_size 0
		.amdhsa_uses_dynamic_stack 0
		.amdhsa_enable_private_segment 0
		.amdhsa_system_sgpr_workgroup_id_x 1
		.amdhsa_system_sgpr_workgroup_id_y 0
		.amdhsa_system_sgpr_workgroup_id_z 0
		.amdhsa_system_sgpr_workgroup_info 0
		.amdhsa_system_vgpr_workitem_id 0
		.amdhsa_next_free_vgpr 1
		.amdhsa_next_free_sgpr 0
		.amdhsa_accum_offset 4
		.amdhsa_reserve_vcc 0
		.amdhsa_float_round_mode_32 0
		.amdhsa_float_round_mode_16_64 0
		.amdhsa_float_denorm_mode_32 3
		.amdhsa_float_denorm_mode_16_64 3
		.amdhsa_dx10_clamp 1
		.amdhsa_ieee_mode 1
		.amdhsa_fp16_overflow 0
		.amdhsa_tg_split 0
		.amdhsa_exception_fp_ieee_invalid_op 0
		.amdhsa_exception_fp_denorm_src 0
		.amdhsa_exception_fp_ieee_div_zero 0
		.amdhsa_exception_fp_ieee_overflow 0
		.amdhsa_exception_fp_ieee_underflow 0
		.amdhsa_exception_fp_ieee_inexact 0
		.amdhsa_exception_int_div_zero 0
	.end_amdhsa_kernel
	.section	.text._ZN7rocprim17ROCPRIM_400000_NS6detail44device_merge_sort_compile_time_verifier_archINS1_11comp_targetILNS1_3genE9ELNS1_11target_archE1100ELNS1_3gpuE3ELNS1_3repE0EEES8_NS0_14default_configES9_NS1_37merge_sort_block_sort_config_selectorIlNS0_10empty_typeEEENS1_38merge_sort_block_merge_config_selectorIlSB_EEEEvv,"axG",@progbits,_ZN7rocprim17ROCPRIM_400000_NS6detail44device_merge_sort_compile_time_verifier_archINS1_11comp_targetILNS1_3genE9ELNS1_11target_archE1100ELNS1_3gpuE3ELNS1_3repE0EEES8_NS0_14default_configES9_NS1_37merge_sort_block_sort_config_selectorIlNS0_10empty_typeEEENS1_38merge_sort_block_merge_config_selectorIlSB_EEEEvv,comdat
.Lfunc_end7:
	.size	_ZN7rocprim17ROCPRIM_400000_NS6detail44device_merge_sort_compile_time_verifier_archINS1_11comp_targetILNS1_3genE9ELNS1_11target_archE1100ELNS1_3gpuE3ELNS1_3repE0EEES8_NS0_14default_configES9_NS1_37merge_sort_block_sort_config_selectorIlNS0_10empty_typeEEENS1_38merge_sort_block_merge_config_selectorIlSB_EEEEvv, .Lfunc_end7-_ZN7rocprim17ROCPRIM_400000_NS6detail44device_merge_sort_compile_time_verifier_archINS1_11comp_targetILNS1_3genE9ELNS1_11target_archE1100ELNS1_3gpuE3ELNS1_3repE0EEES8_NS0_14default_configES9_NS1_37merge_sort_block_sort_config_selectorIlNS0_10empty_typeEEENS1_38merge_sort_block_merge_config_selectorIlSB_EEEEvv
                                        ; -- End function
	.set _ZN7rocprim17ROCPRIM_400000_NS6detail44device_merge_sort_compile_time_verifier_archINS1_11comp_targetILNS1_3genE9ELNS1_11target_archE1100ELNS1_3gpuE3ELNS1_3repE0EEES8_NS0_14default_configES9_NS1_37merge_sort_block_sort_config_selectorIlNS0_10empty_typeEEENS1_38merge_sort_block_merge_config_selectorIlSB_EEEEvv.num_vgpr, 0
	.set _ZN7rocprim17ROCPRIM_400000_NS6detail44device_merge_sort_compile_time_verifier_archINS1_11comp_targetILNS1_3genE9ELNS1_11target_archE1100ELNS1_3gpuE3ELNS1_3repE0EEES8_NS0_14default_configES9_NS1_37merge_sort_block_sort_config_selectorIlNS0_10empty_typeEEENS1_38merge_sort_block_merge_config_selectorIlSB_EEEEvv.num_agpr, 0
	.set _ZN7rocprim17ROCPRIM_400000_NS6detail44device_merge_sort_compile_time_verifier_archINS1_11comp_targetILNS1_3genE9ELNS1_11target_archE1100ELNS1_3gpuE3ELNS1_3repE0EEES8_NS0_14default_configES9_NS1_37merge_sort_block_sort_config_selectorIlNS0_10empty_typeEEENS1_38merge_sort_block_merge_config_selectorIlSB_EEEEvv.numbered_sgpr, 0
	.set _ZN7rocprim17ROCPRIM_400000_NS6detail44device_merge_sort_compile_time_verifier_archINS1_11comp_targetILNS1_3genE9ELNS1_11target_archE1100ELNS1_3gpuE3ELNS1_3repE0EEES8_NS0_14default_configES9_NS1_37merge_sort_block_sort_config_selectorIlNS0_10empty_typeEEENS1_38merge_sort_block_merge_config_selectorIlSB_EEEEvv.num_named_barrier, 0
	.set _ZN7rocprim17ROCPRIM_400000_NS6detail44device_merge_sort_compile_time_verifier_archINS1_11comp_targetILNS1_3genE9ELNS1_11target_archE1100ELNS1_3gpuE3ELNS1_3repE0EEES8_NS0_14default_configES9_NS1_37merge_sort_block_sort_config_selectorIlNS0_10empty_typeEEENS1_38merge_sort_block_merge_config_selectorIlSB_EEEEvv.private_seg_size, 0
	.set _ZN7rocprim17ROCPRIM_400000_NS6detail44device_merge_sort_compile_time_verifier_archINS1_11comp_targetILNS1_3genE9ELNS1_11target_archE1100ELNS1_3gpuE3ELNS1_3repE0EEES8_NS0_14default_configES9_NS1_37merge_sort_block_sort_config_selectorIlNS0_10empty_typeEEENS1_38merge_sort_block_merge_config_selectorIlSB_EEEEvv.uses_vcc, 0
	.set _ZN7rocprim17ROCPRIM_400000_NS6detail44device_merge_sort_compile_time_verifier_archINS1_11comp_targetILNS1_3genE9ELNS1_11target_archE1100ELNS1_3gpuE3ELNS1_3repE0EEES8_NS0_14default_configES9_NS1_37merge_sort_block_sort_config_selectorIlNS0_10empty_typeEEENS1_38merge_sort_block_merge_config_selectorIlSB_EEEEvv.uses_flat_scratch, 0
	.set _ZN7rocprim17ROCPRIM_400000_NS6detail44device_merge_sort_compile_time_verifier_archINS1_11comp_targetILNS1_3genE9ELNS1_11target_archE1100ELNS1_3gpuE3ELNS1_3repE0EEES8_NS0_14default_configES9_NS1_37merge_sort_block_sort_config_selectorIlNS0_10empty_typeEEENS1_38merge_sort_block_merge_config_selectorIlSB_EEEEvv.has_dyn_sized_stack, 0
	.set _ZN7rocprim17ROCPRIM_400000_NS6detail44device_merge_sort_compile_time_verifier_archINS1_11comp_targetILNS1_3genE9ELNS1_11target_archE1100ELNS1_3gpuE3ELNS1_3repE0EEES8_NS0_14default_configES9_NS1_37merge_sort_block_sort_config_selectorIlNS0_10empty_typeEEENS1_38merge_sort_block_merge_config_selectorIlSB_EEEEvv.has_recursion, 0
	.set _ZN7rocprim17ROCPRIM_400000_NS6detail44device_merge_sort_compile_time_verifier_archINS1_11comp_targetILNS1_3genE9ELNS1_11target_archE1100ELNS1_3gpuE3ELNS1_3repE0EEES8_NS0_14default_configES9_NS1_37merge_sort_block_sort_config_selectorIlNS0_10empty_typeEEENS1_38merge_sort_block_merge_config_selectorIlSB_EEEEvv.has_indirect_call, 0
	.section	.AMDGPU.csdata,"",@progbits
; Kernel info:
; codeLenInByte = 4
; TotalNumSgprs: 6
; NumVgprs: 0
; NumAgprs: 0
; TotalNumVgprs: 0
; ScratchSize: 0
; MemoryBound: 0
; FloatMode: 240
; IeeeMode: 1
; LDSByteSize: 0 bytes/workgroup (compile time only)
; SGPRBlocks: 0
; VGPRBlocks: 0
; NumSGPRsForWavesPerEU: 6
; NumVGPRsForWavesPerEU: 1
; AccumOffset: 4
; Occupancy: 8
; WaveLimiterHint : 0
; COMPUTE_PGM_RSRC2:SCRATCH_EN: 0
; COMPUTE_PGM_RSRC2:USER_SGPR: 0
; COMPUTE_PGM_RSRC2:TRAP_HANDLER: 0
; COMPUTE_PGM_RSRC2:TGID_X_EN: 1
; COMPUTE_PGM_RSRC2:TGID_Y_EN: 0
; COMPUTE_PGM_RSRC2:TGID_Z_EN: 0
; COMPUTE_PGM_RSRC2:TIDIG_COMP_CNT: 0
; COMPUTE_PGM_RSRC3_GFX90A:ACCUM_OFFSET: 0
; COMPUTE_PGM_RSRC3_GFX90A:TG_SPLIT: 0
	.section	.text._ZN7rocprim17ROCPRIM_400000_NS6detail44device_merge_sort_compile_time_verifier_archINS1_11comp_targetILNS1_3genE8ELNS1_11target_archE1030ELNS1_3gpuE2ELNS1_3repE0EEES8_NS0_14default_configES9_NS1_37merge_sort_block_sort_config_selectorIlNS0_10empty_typeEEENS1_38merge_sort_block_merge_config_selectorIlSB_EEEEvv,"axG",@progbits,_ZN7rocprim17ROCPRIM_400000_NS6detail44device_merge_sort_compile_time_verifier_archINS1_11comp_targetILNS1_3genE8ELNS1_11target_archE1030ELNS1_3gpuE2ELNS1_3repE0EEES8_NS0_14default_configES9_NS1_37merge_sort_block_sort_config_selectorIlNS0_10empty_typeEEENS1_38merge_sort_block_merge_config_selectorIlSB_EEEEvv,comdat
	.protected	_ZN7rocprim17ROCPRIM_400000_NS6detail44device_merge_sort_compile_time_verifier_archINS1_11comp_targetILNS1_3genE8ELNS1_11target_archE1030ELNS1_3gpuE2ELNS1_3repE0EEES8_NS0_14default_configES9_NS1_37merge_sort_block_sort_config_selectorIlNS0_10empty_typeEEENS1_38merge_sort_block_merge_config_selectorIlSB_EEEEvv ; -- Begin function _ZN7rocprim17ROCPRIM_400000_NS6detail44device_merge_sort_compile_time_verifier_archINS1_11comp_targetILNS1_3genE8ELNS1_11target_archE1030ELNS1_3gpuE2ELNS1_3repE0EEES8_NS0_14default_configES9_NS1_37merge_sort_block_sort_config_selectorIlNS0_10empty_typeEEENS1_38merge_sort_block_merge_config_selectorIlSB_EEEEvv
	.globl	_ZN7rocprim17ROCPRIM_400000_NS6detail44device_merge_sort_compile_time_verifier_archINS1_11comp_targetILNS1_3genE8ELNS1_11target_archE1030ELNS1_3gpuE2ELNS1_3repE0EEES8_NS0_14default_configES9_NS1_37merge_sort_block_sort_config_selectorIlNS0_10empty_typeEEENS1_38merge_sort_block_merge_config_selectorIlSB_EEEEvv
	.p2align	8
	.type	_ZN7rocprim17ROCPRIM_400000_NS6detail44device_merge_sort_compile_time_verifier_archINS1_11comp_targetILNS1_3genE8ELNS1_11target_archE1030ELNS1_3gpuE2ELNS1_3repE0EEES8_NS0_14default_configES9_NS1_37merge_sort_block_sort_config_selectorIlNS0_10empty_typeEEENS1_38merge_sort_block_merge_config_selectorIlSB_EEEEvv,@function
_ZN7rocprim17ROCPRIM_400000_NS6detail44device_merge_sort_compile_time_verifier_archINS1_11comp_targetILNS1_3genE8ELNS1_11target_archE1030ELNS1_3gpuE2ELNS1_3repE0EEES8_NS0_14default_configES9_NS1_37merge_sort_block_sort_config_selectorIlNS0_10empty_typeEEENS1_38merge_sort_block_merge_config_selectorIlSB_EEEEvv: ; @_ZN7rocprim17ROCPRIM_400000_NS6detail44device_merge_sort_compile_time_verifier_archINS1_11comp_targetILNS1_3genE8ELNS1_11target_archE1030ELNS1_3gpuE2ELNS1_3repE0EEES8_NS0_14default_configES9_NS1_37merge_sort_block_sort_config_selectorIlNS0_10empty_typeEEENS1_38merge_sort_block_merge_config_selectorIlSB_EEEEvv
; %bb.0:
	s_endpgm
	.section	.rodata,"a",@progbits
	.p2align	6, 0x0
	.amdhsa_kernel _ZN7rocprim17ROCPRIM_400000_NS6detail44device_merge_sort_compile_time_verifier_archINS1_11comp_targetILNS1_3genE8ELNS1_11target_archE1030ELNS1_3gpuE2ELNS1_3repE0EEES8_NS0_14default_configES9_NS1_37merge_sort_block_sort_config_selectorIlNS0_10empty_typeEEENS1_38merge_sort_block_merge_config_selectorIlSB_EEEEvv
		.amdhsa_group_segment_fixed_size 0
		.amdhsa_private_segment_fixed_size 0
		.amdhsa_kernarg_size 0
		.amdhsa_user_sgpr_count 0
		.amdhsa_user_sgpr_dispatch_ptr 0
		.amdhsa_user_sgpr_queue_ptr 0
		.amdhsa_user_sgpr_kernarg_segment_ptr 0
		.amdhsa_user_sgpr_dispatch_id 0
		.amdhsa_user_sgpr_kernarg_preload_length 0
		.amdhsa_user_sgpr_kernarg_preload_offset 0
		.amdhsa_user_sgpr_private_segment_size 0
		.amdhsa_uses_dynamic_stack 0
		.amdhsa_enable_private_segment 0
		.amdhsa_system_sgpr_workgroup_id_x 1
		.amdhsa_system_sgpr_workgroup_id_y 0
		.amdhsa_system_sgpr_workgroup_id_z 0
		.amdhsa_system_sgpr_workgroup_info 0
		.amdhsa_system_vgpr_workitem_id 0
		.amdhsa_next_free_vgpr 1
		.amdhsa_next_free_sgpr 0
		.amdhsa_accum_offset 4
		.amdhsa_reserve_vcc 0
		.amdhsa_float_round_mode_32 0
		.amdhsa_float_round_mode_16_64 0
		.amdhsa_float_denorm_mode_32 3
		.amdhsa_float_denorm_mode_16_64 3
		.amdhsa_dx10_clamp 1
		.amdhsa_ieee_mode 1
		.amdhsa_fp16_overflow 0
		.amdhsa_tg_split 0
		.amdhsa_exception_fp_ieee_invalid_op 0
		.amdhsa_exception_fp_denorm_src 0
		.amdhsa_exception_fp_ieee_div_zero 0
		.amdhsa_exception_fp_ieee_overflow 0
		.amdhsa_exception_fp_ieee_underflow 0
		.amdhsa_exception_fp_ieee_inexact 0
		.amdhsa_exception_int_div_zero 0
	.end_amdhsa_kernel
	.section	.text._ZN7rocprim17ROCPRIM_400000_NS6detail44device_merge_sort_compile_time_verifier_archINS1_11comp_targetILNS1_3genE8ELNS1_11target_archE1030ELNS1_3gpuE2ELNS1_3repE0EEES8_NS0_14default_configES9_NS1_37merge_sort_block_sort_config_selectorIlNS0_10empty_typeEEENS1_38merge_sort_block_merge_config_selectorIlSB_EEEEvv,"axG",@progbits,_ZN7rocprim17ROCPRIM_400000_NS6detail44device_merge_sort_compile_time_verifier_archINS1_11comp_targetILNS1_3genE8ELNS1_11target_archE1030ELNS1_3gpuE2ELNS1_3repE0EEES8_NS0_14default_configES9_NS1_37merge_sort_block_sort_config_selectorIlNS0_10empty_typeEEENS1_38merge_sort_block_merge_config_selectorIlSB_EEEEvv,comdat
.Lfunc_end8:
	.size	_ZN7rocprim17ROCPRIM_400000_NS6detail44device_merge_sort_compile_time_verifier_archINS1_11comp_targetILNS1_3genE8ELNS1_11target_archE1030ELNS1_3gpuE2ELNS1_3repE0EEES8_NS0_14default_configES9_NS1_37merge_sort_block_sort_config_selectorIlNS0_10empty_typeEEENS1_38merge_sort_block_merge_config_selectorIlSB_EEEEvv, .Lfunc_end8-_ZN7rocprim17ROCPRIM_400000_NS6detail44device_merge_sort_compile_time_verifier_archINS1_11comp_targetILNS1_3genE8ELNS1_11target_archE1030ELNS1_3gpuE2ELNS1_3repE0EEES8_NS0_14default_configES9_NS1_37merge_sort_block_sort_config_selectorIlNS0_10empty_typeEEENS1_38merge_sort_block_merge_config_selectorIlSB_EEEEvv
                                        ; -- End function
	.set _ZN7rocprim17ROCPRIM_400000_NS6detail44device_merge_sort_compile_time_verifier_archINS1_11comp_targetILNS1_3genE8ELNS1_11target_archE1030ELNS1_3gpuE2ELNS1_3repE0EEES8_NS0_14default_configES9_NS1_37merge_sort_block_sort_config_selectorIlNS0_10empty_typeEEENS1_38merge_sort_block_merge_config_selectorIlSB_EEEEvv.num_vgpr, 0
	.set _ZN7rocprim17ROCPRIM_400000_NS6detail44device_merge_sort_compile_time_verifier_archINS1_11comp_targetILNS1_3genE8ELNS1_11target_archE1030ELNS1_3gpuE2ELNS1_3repE0EEES8_NS0_14default_configES9_NS1_37merge_sort_block_sort_config_selectorIlNS0_10empty_typeEEENS1_38merge_sort_block_merge_config_selectorIlSB_EEEEvv.num_agpr, 0
	.set _ZN7rocprim17ROCPRIM_400000_NS6detail44device_merge_sort_compile_time_verifier_archINS1_11comp_targetILNS1_3genE8ELNS1_11target_archE1030ELNS1_3gpuE2ELNS1_3repE0EEES8_NS0_14default_configES9_NS1_37merge_sort_block_sort_config_selectorIlNS0_10empty_typeEEENS1_38merge_sort_block_merge_config_selectorIlSB_EEEEvv.numbered_sgpr, 0
	.set _ZN7rocprim17ROCPRIM_400000_NS6detail44device_merge_sort_compile_time_verifier_archINS1_11comp_targetILNS1_3genE8ELNS1_11target_archE1030ELNS1_3gpuE2ELNS1_3repE0EEES8_NS0_14default_configES9_NS1_37merge_sort_block_sort_config_selectorIlNS0_10empty_typeEEENS1_38merge_sort_block_merge_config_selectorIlSB_EEEEvv.num_named_barrier, 0
	.set _ZN7rocprim17ROCPRIM_400000_NS6detail44device_merge_sort_compile_time_verifier_archINS1_11comp_targetILNS1_3genE8ELNS1_11target_archE1030ELNS1_3gpuE2ELNS1_3repE0EEES8_NS0_14default_configES9_NS1_37merge_sort_block_sort_config_selectorIlNS0_10empty_typeEEENS1_38merge_sort_block_merge_config_selectorIlSB_EEEEvv.private_seg_size, 0
	.set _ZN7rocprim17ROCPRIM_400000_NS6detail44device_merge_sort_compile_time_verifier_archINS1_11comp_targetILNS1_3genE8ELNS1_11target_archE1030ELNS1_3gpuE2ELNS1_3repE0EEES8_NS0_14default_configES9_NS1_37merge_sort_block_sort_config_selectorIlNS0_10empty_typeEEENS1_38merge_sort_block_merge_config_selectorIlSB_EEEEvv.uses_vcc, 0
	.set _ZN7rocprim17ROCPRIM_400000_NS6detail44device_merge_sort_compile_time_verifier_archINS1_11comp_targetILNS1_3genE8ELNS1_11target_archE1030ELNS1_3gpuE2ELNS1_3repE0EEES8_NS0_14default_configES9_NS1_37merge_sort_block_sort_config_selectorIlNS0_10empty_typeEEENS1_38merge_sort_block_merge_config_selectorIlSB_EEEEvv.uses_flat_scratch, 0
	.set _ZN7rocprim17ROCPRIM_400000_NS6detail44device_merge_sort_compile_time_verifier_archINS1_11comp_targetILNS1_3genE8ELNS1_11target_archE1030ELNS1_3gpuE2ELNS1_3repE0EEES8_NS0_14default_configES9_NS1_37merge_sort_block_sort_config_selectorIlNS0_10empty_typeEEENS1_38merge_sort_block_merge_config_selectorIlSB_EEEEvv.has_dyn_sized_stack, 0
	.set _ZN7rocprim17ROCPRIM_400000_NS6detail44device_merge_sort_compile_time_verifier_archINS1_11comp_targetILNS1_3genE8ELNS1_11target_archE1030ELNS1_3gpuE2ELNS1_3repE0EEES8_NS0_14default_configES9_NS1_37merge_sort_block_sort_config_selectorIlNS0_10empty_typeEEENS1_38merge_sort_block_merge_config_selectorIlSB_EEEEvv.has_recursion, 0
	.set _ZN7rocprim17ROCPRIM_400000_NS6detail44device_merge_sort_compile_time_verifier_archINS1_11comp_targetILNS1_3genE8ELNS1_11target_archE1030ELNS1_3gpuE2ELNS1_3repE0EEES8_NS0_14default_configES9_NS1_37merge_sort_block_sort_config_selectorIlNS0_10empty_typeEEENS1_38merge_sort_block_merge_config_selectorIlSB_EEEEvv.has_indirect_call, 0
	.section	.AMDGPU.csdata,"",@progbits
; Kernel info:
; codeLenInByte = 4
; TotalNumSgprs: 6
; NumVgprs: 0
; NumAgprs: 0
; TotalNumVgprs: 0
; ScratchSize: 0
; MemoryBound: 0
; FloatMode: 240
; IeeeMode: 1
; LDSByteSize: 0 bytes/workgroup (compile time only)
; SGPRBlocks: 0
; VGPRBlocks: 0
; NumSGPRsForWavesPerEU: 6
; NumVGPRsForWavesPerEU: 1
; AccumOffset: 4
; Occupancy: 8
; WaveLimiterHint : 0
; COMPUTE_PGM_RSRC2:SCRATCH_EN: 0
; COMPUTE_PGM_RSRC2:USER_SGPR: 0
; COMPUTE_PGM_RSRC2:TRAP_HANDLER: 0
; COMPUTE_PGM_RSRC2:TGID_X_EN: 1
; COMPUTE_PGM_RSRC2:TGID_Y_EN: 0
; COMPUTE_PGM_RSRC2:TGID_Z_EN: 0
; COMPUTE_PGM_RSRC2:TIDIG_COMP_CNT: 0
; COMPUTE_PGM_RSRC3_GFX90A:ACCUM_OFFSET: 0
; COMPUTE_PGM_RSRC3_GFX90A:TG_SPLIT: 0
	.section	.text._ZN7rocprim17ROCPRIM_400000_NS6detail17trampoline_kernelINS0_14default_configENS1_37merge_sort_block_sort_config_selectorIlNS0_10empty_typeEEEZNS1_21merge_sort_block_sortIS3_PlS8_PS5_S9_ZN2at6native12_GLOBAL__N_124unique_dim_cuda_templateIhEESt5tupleIJNSA_6TensorESF_SF_EERKSF_lbbbEUlllE_EE10hipError_tT0_T1_T2_T3_mRjT4_P12ihipStream_tbNS1_7vsmem_tEEUlT_E_NS1_11comp_targetILNS1_3genE0ELNS1_11target_archE4294967295ELNS1_3gpuE0ELNS1_3repE0EEENS1_30default_config_static_selectorELNS0_4arch9wavefront6targetE1EEEvSM_,"axG",@progbits,_ZN7rocprim17ROCPRIM_400000_NS6detail17trampoline_kernelINS0_14default_configENS1_37merge_sort_block_sort_config_selectorIlNS0_10empty_typeEEEZNS1_21merge_sort_block_sortIS3_PlS8_PS5_S9_ZN2at6native12_GLOBAL__N_124unique_dim_cuda_templateIhEESt5tupleIJNSA_6TensorESF_SF_EERKSF_lbbbEUlllE_EE10hipError_tT0_T1_T2_T3_mRjT4_P12ihipStream_tbNS1_7vsmem_tEEUlT_E_NS1_11comp_targetILNS1_3genE0ELNS1_11target_archE4294967295ELNS1_3gpuE0ELNS1_3repE0EEENS1_30default_config_static_selectorELNS0_4arch9wavefront6targetE1EEEvSM_,comdat
	.globl	_ZN7rocprim17ROCPRIM_400000_NS6detail17trampoline_kernelINS0_14default_configENS1_37merge_sort_block_sort_config_selectorIlNS0_10empty_typeEEEZNS1_21merge_sort_block_sortIS3_PlS8_PS5_S9_ZN2at6native12_GLOBAL__N_124unique_dim_cuda_templateIhEESt5tupleIJNSA_6TensorESF_SF_EERKSF_lbbbEUlllE_EE10hipError_tT0_T1_T2_T3_mRjT4_P12ihipStream_tbNS1_7vsmem_tEEUlT_E_NS1_11comp_targetILNS1_3genE0ELNS1_11target_archE4294967295ELNS1_3gpuE0ELNS1_3repE0EEENS1_30default_config_static_selectorELNS0_4arch9wavefront6targetE1EEEvSM_ ; -- Begin function _ZN7rocprim17ROCPRIM_400000_NS6detail17trampoline_kernelINS0_14default_configENS1_37merge_sort_block_sort_config_selectorIlNS0_10empty_typeEEEZNS1_21merge_sort_block_sortIS3_PlS8_PS5_S9_ZN2at6native12_GLOBAL__N_124unique_dim_cuda_templateIhEESt5tupleIJNSA_6TensorESF_SF_EERKSF_lbbbEUlllE_EE10hipError_tT0_T1_T2_T3_mRjT4_P12ihipStream_tbNS1_7vsmem_tEEUlT_E_NS1_11comp_targetILNS1_3genE0ELNS1_11target_archE4294967295ELNS1_3gpuE0ELNS1_3repE0EEENS1_30default_config_static_selectorELNS0_4arch9wavefront6targetE1EEEvSM_
	.p2align	8
	.type	_ZN7rocprim17ROCPRIM_400000_NS6detail17trampoline_kernelINS0_14default_configENS1_37merge_sort_block_sort_config_selectorIlNS0_10empty_typeEEEZNS1_21merge_sort_block_sortIS3_PlS8_PS5_S9_ZN2at6native12_GLOBAL__N_124unique_dim_cuda_templateIhEESt5tupleIJNSA_6TensorESF_SF_EERKSF_lbbbEUlllE_EE10hipError_tT0_T1_T2_T3_mRjT4_P12ihipStream_tbNS1_7vsmem_tEEUlT_E_NS1_11comp_targetILNS1_3genE0ELNS1_11target_archE4294967295ELNS1_3gpuE0ELNS1_3repE0EEENS1_30default_config_static_selectorELNS0_4arch9wavefront6targetE1EEEvSM_,@function
_ZN7rocprim17ROCPRIM_400000_NS6detail17trampoline_kernelINS0_14default_configENS1_37merge_sort_block_sort_config_selectorIlNS0_10empty_typeEEEZNS1_21merge_sort_block_sortIS3_PlS8_PS5_S9_ZN2at6native12_GLOBAL__N_124unique_dim_cuda_templateIhEESt5tupleIJNSA_6TensorESF_SF_EERKSF_lbbbEUlllE_EE10hipError_tT0_T1_T2_T3_mRjT4_P12ihipStream_tbNS1_7vsmem_tEEUlT_E_NS1_11comp_targetILNS1_3genE0ELNS1_11target_archE4294967295ELNS1_3gpuE0ELNS1_3repE0EEENS1_30default_config_static_selectorELNS0_4arch9wavefront6targetE1EEEvSM_: ; @_ZN7rocprim17ROCPRIM_400000_NS6detail17trampoline_kernelINS0_14default_configENS1_37merge_sort_block_sort_config_selectorIlNS0_10empty_typeEEEZNS1_21merge_sort_block_sortIS3_PlS8_PS5_S9_ZN2at6native12_GLOBAL__N_124unique_dim_cuda_templateIhEESt5tupleIJNSA_6TensorESF_SF_EERKSF_lbbbEUlllE_EE10hipError_tT0_T1_T2_T3_mRjT4_P12ihipStream_tbNS1_7vsmem_tEEUlT_E_NS1_11comp_targetILNS1_3genE0ELNS1_11target_archE4294967295ELNS1_3gpuE0ELNS1_3repE0EEENS1_30default_config_static_selectorELNS0_4arch9wavefront6targetE1EEEvSM_
; %bb.0:
	s_load_dwordx2 s[16:17], s[0:1], 0x48
	s_load_dword s5, s[0:1], 0x0
	s_add_u32 s14, s0, 0x48
	s_addc_u32 s15, s1, 0
	s_waitcnt lgkmcnt(0)
	s_mul_i32 s4, s17, s4
	s_add_i32 s3, s4, s3
	s_mul_i32 s3, s3, s16
	s_add_i32 s6, s3, s2
	s_cmp_ge_u32 s6, s5
	s_cbranch_scc1 .LBB9_1484
; %bb.1:
	s_load_dwordx2 s[8:9], s[0:1], 0x8
	s_load_dwordx4 s[20:23], s[0:1], 0x18
	s_load_dwordx4 s[36:39], s[0:1], 0x38
	s_mov_b32 s7, 0
	s_lshl_b64 s[4:5], s[6:7], 14
	s_waitcnt lgkmcnt(0)
	s_lshr_b64 s[0:1], s[8:9], 11
	s_add_u32 s18, s20, s4
	s_addc_u32 s19, s21, s5
	s_add_u32 s30, s22, s4
	s_addc_u32 s31, s23, s5
	s_cmp_lg_u64 s[0:1], s[6:7]
	v_and_b32_e32 v18, 0x3ff, v0
	s_cbranch_scc0 .LBB9_8
; %bb.2:
	v_mov_b32_e32 v19, 0
	v_lshlrev_b32_e32 v20, 3, v18
	v_mov_b32_e32 v21, v19
	v_lshl_add_u64 v[2:3], s[18:19], 0, v[20:21]
	v_add_co_u32_e32 v8, vcc, 0x1000, v2
	global_load_dwordx2 v[4:5], v20, s[18:19]
	global_load_dwordx2 v[6:7], v20, s[18:19] offset:2048
	v_addc_co_u32_e32 v9, vcc, 0, v3, vcc
	v_add_co_u32_e32 v10, vcc, 0x2000, v2
	v_lshrrev_b32_e32 v1, 2, v18
	s_nop 0
	v_addc_co_u32_e32 v11, vcc, 0, v3, vcc
	v_add_co_u32_e32 v2, vcc, 0x3000, v2
	global_load_dwordx2 v[12:13], v[8:9], off
	global_load_dwordx2 v[14:15], v[8:9], off offset:2048
	global_load_dwordx2 v[16:17], v[10:11], off
	global_load_dwordx2 v[22:23], v[10:11], off offset:2048
	v_addc_co_u32_e32 v3, vcc, 0, v3, vcc
	global_load_dwordx2 v[8:9], v[2:3], off
	global_load_dwordx2 v[10:11], v[2:3], off offset:2048
	v_add_u32_e32 v2, 0x100, v18
	v_add_u32_e32 v3, 0x200, v18
	;; [unrolled: 1-line block ×3, first 2 shown]
	v_or_b32_e32 v24, 0x400, v18
	v_add_u32_e32 v25, 0x500, v18
	v_add_u32_e32 v26, 0x600, v18
	;; [unrolled: 1-line block ×3, first 2 shown]
	v_lshlrev_b32_e32 v28, 1, v18
	v_and_b32_e32 v1, 0xf8, v1
	v_lshrrev_b32_e32 v2, 2, v2
	v_lshrrev_b32_e32 v3, 2, v3
	;; [unrolled: 1-line block ×7, first 2 shown]
	v_and_b32_e32 v28, 0x7f8, v28
	v_add_u32_e32 v1, v1, v20
	v_and_b32_e32 v2, 0x1f8, v2
	v_and_b32_e32 v3, 0x1f8, v3
	;; [unrolled: 1-line block ×7, first 2 shown]
	v_lshl_add_u32 v34, v18, 6, v28
	v_add_u32_e32 v21, v2, v20
	v_add_u32_e32 v28, v3, v20
	;; [unrolled: 1-line block ×7, first 2 shown]
	v_bfe_u32 v24, v0, 20, 10
	v_cmp_gt_i64_e64 s[10:11], s[36:37], 0
	s_waitcnt vmcnt(7)
	ds_write_b64 v1, v[4:5]
	s_waitcnt vmcnt(6)
	ds_write_b64 v21, v[6:7] offset:2048
	s_waitcnt vmcnt(5)
	ds_write_b64 v28, v[12:13] offset:4096
	;; [unrolled: 2-line block ×7, first 2 shown]
	s_waitcnt lgkmcnt(0)
	s_barrier
	ds_read2_b64 v[14:17], v34 offset1:1
	ds_read2_b64 v[10:13], v34 offset0:2 offset1:3
	ds_read2_b64 v[6:9], v34 offset0:4 offset1:5
	;; [unrolled: 1-line block ×3, first 2 shown]
	s_waitcnt lgkmcnt(0)
	s_barrier
	s_load_dword s0, s[14:15], 0xc
	v_bfe_u32 v23, v0, 10, 10
	v_cndmask_b32_e64 v25, 0, 1, s[10:11]
	s_waitcnt lgkmcnt(0)
	s_lshr_b32 s3, s0, 16
	s_cmp_lt_u32 s2, s16
	s_cselect_b32 s0, 12, 18
	s_add_u32 s0, s14, s0
	s_addc_u32 s1, s15, 0
	global_load_ushort v22, v19, s[0:1]
	v_mad_u32_u24 v23, v24, s3, v23
	s_movk_i32 s0, 0x800
	s_waitcnt vmcnt(0)
	v_mul_lo_u32 v22, v23, v22
	v_add_lshl_u32 v26, v22, v18, 3
	v_cmp_gt_u32_e32 vcc, s0, v26
	v_cmp_ne_u32_e64 s[0:1], 1, v25
	s_and_saveexec_b64 s[4:5], vcc
	s_cbranch_execz .LBB9_188
; %bb.3:
	s_and_b64 vcc, exec, s[0:1]
	s_cbranch_vccnz .LBB9_18
; %bb.4:
	v_mov_b64_e32 v[24:25], s[38:39]
	v_mad_u64_u32 v[22:23], s[12:13], v16, s36, v[24:25]
	v_mul_lo_u32 v27, v16, s37
	v_mul_lo_u32 v35, v17, s36
	v_add3_u32 v23, v35, v23, v27
	v_mad_u64_u32 v[24:25], s[12:13], v14, s36, v[24:25]
	v_mul_lo_u32 v27, v14, s37
	v_mul_lo_u32 v35, v15, s36
	v_add3_u32 v25, v35, v25, v27
	s_mov_b64 s[20:21], 0
	s_mov_b64 s[34:35], s[36:37]
                                        ; implicit-def: $sgpr12_sgpr13
                                        ; implicit-def: $sgpr22_sgpr23
                                        ; implicit-def: $sgpr26_sgpr27
                                        ; implicit-def: $sgpr24_sgpr25
                                        ; implicit-def: $sgpr28_sgpr29
	s_branch .LBB9_6
.LBB9_5:                                ;   in Loop: Header=BB9_6 Depth=1
	s_or_b64 exec, exec, s[44:45]
	s_and_b64 s[42:43], s[42:43], s[28:29]
	s_or_b64 s[40:41], s[40:41], s[42:43]
	s_and_b64 s[42:43], exec, s[26:27]
	s_or_b64 s[20:21], s[42:43], s[20:21]
	s_andn2_b64 s[28:29], s[28:29], exec
	s_and_b64 s[40:41], s[40:41], exec
	s_andn2_b64 s[22:23], s[22:23], exec
	s_and_b64 s[42:43], s[24:25], exec
	s_andn2_b64 s[12:13], s[12:13], exec
	s_or_b64 s[28:29], s[28:29], s[40:41]
	s_or_b64 s[22:23], s[22:23], s[42:43]
	;; [unrolled: 1-line block ×3, first 2 shown]
	s_andn2_b64 exec, exec, s[20:21]
	s_cbranch_execz .LBB9_9
.LBB9_6:                                ; =>This Inner Loop Header: Depth=1
	global_load_ubyte v27, v[22:23], off
	global_load_ubyte v35, v[24:25], off
	s_or_b64 s[24:25], s[24:25], exec
	s_or_b64 s[26:27], s[26:27], exec
	s_waitcnt vmcnt(0)
	v_cmp_lt_u16_sdwa s[40:41], v27, v35 src0_sel:BYTE_0 src1_sel:BYTE_0
	v_cmp_le_u16_sdwa s[42:43], v27, v35 src0_sel:BYTE_0 src1_sel:BYTE_0
	v_cmp_eq_u16_sdwa s[46:47], v27, v35 src0_sel:BYTE_0 src1_sel:BYTE_0
	s_and_saveexec_b64 s[44:45], s[46:47]
	s_cbranch_execz .LBB9_5
; %bb.7:                                ;   in Loop: Header=BB9_6 Depth=1
	s_add_u32 s34, s34, -1
	s_addc_u32 s35, s35, -1
	s_cmp_eq_u64 s[34:35], 0
	s_cselect_b64 s[46:47], -1, 0
	s_andn2_b64 s[26:27], s[26:27], exec
	s_and_b64 s[46:47], s[46:47], exec
	v_lshl_add_u64 v[22:23], v[22:23], 0, 1
	v_lshl_add_u64 v[24:25], v[24:25], 0, 1
	s_andn2_b64 s[24:25], s[24:25], exec
	s_or_b64 s[26:27], s[26:27], s[46:47]
	s_branch .LBB9_5
.LBB9_8:
	s_mov_b64 s[34:35], 0
                                        ; implicit-def: $vgpr14_vgpr15
	s_cbranch_execnz .LBB9_697
	s_branch .LBB9_1482
.LBB9_9:
	s_or_b64 exec, exec, s[20:21]
	s_and_saveexec_b64 s[20:21], s[22:23]
	s_xor_b64 s[20:21], exec, s[20:21]
; %bb.10:
	v_cndmask_b32_e64 v23, v17, v15, s[12:13]
	v_cndmask_b32_e64 v22, v16, v14, s[12:13]
	;; [unrolled: 1-line block ×4, first 2 shown]
	v_mov_b64_e32 v[16:17], v[22:23]
; %bb.11:
	s_or_b64 exec, exec, s[20:21]
	v_mov_b64_e32 v[24:25], s[38:39]
	v_mad_u64_u32 v[22:23], s[12:13], v12, s36, v[24:25]
	v_mul_lo_u32 v27, v12, s37
	v_mul_lo_u32 v35, v13, s36
	v_add3_u32 v23, v35, v23, v27
	v_mad_u64_u32 v[24:25], s[12:13], v10, s36, v[24:25]
	v_mul_lo_u32 v27, v10, s37
	v_mul_lo_u32 v35, v11, s36
	v_add3_u32 v25, v35, v25, v27
	s_mov_b64 s[22:23], 0
	s_mov_b64 s[34:35], s[36:37]
                                        ; implicit-def: $sgpr12_sgpr13
                                        ; implicit-def: $sgpr20_sgpr21
                                        ; implicit-def: $sgpr26_sgpr27
                                        ; implicit-def: $sgpr24_sgpr25
                                        ; implicit-def: $sgpr28_sgpr29
	s_branch .LBB9_13
.LBB9_12:                               ;   in Loop: Header=BB9_13 Depth=1
	s_or_b64 exec, exec, s[44:45]
	s_and_b64 s[42:43], s[42:43], s[28:29]
	s_or_b64 s[40:41], s[40:41], s[42:43]
	s_and_b64 s[42:43], exec, s[26:27]
	s_or_b64 s[22:23], s[42:43], s[22:23]
	s_andn2_b64 s[28:29], s[28:29], exec
	s_and_b64 s[40:41], s[40:41], exec
	s_andn2_b64 s[20:21], s[20:21], exec
	s_and_b64 s[42:43], s[24:25], exec
	s_andn2_b64 s[12:13], s[12:13], exec
	s_or_b64 s[28:29], s[28:29], s[40:41]
	s_or_b64 s[20:21], s[20:21], s[42:43]
	;; [unrolled: 1-line block ×3, first 2 shown]
	s_andn2_b64 exec, exec, s[22:23]
	s_cbranch_execz .LBB9_15
.LBB9_13:                               ; =>This Inner Loop Header: Depth=1
	global_load_ubyte v27, v[22:23], off
	global_load_ubyte v35, v[24:25], off
	s_or_b64 s[24:25], s[24:25], exec
	s_or_b64 s[26:27], s[26:27], exec
	s_waitcnt vmcnt(0)
	v_cmp_lt_u16_sdwa s[40:41], v27, v35 src0_sel:BYTE_0 src1_sel:BYTE_0
	v_cmp_le_u16_sdwa s[42:43], v27, v35 src0_sel:BYTE_0 src1_sel:BYTE_0
	v_cmp_eq_u16_sdwa s[46:47], v27, v35 src0_sel:BYTE_0 src1_sel:BYTE_0
	s_and_saveexec_b64 s[44:45], s[46:47]
	s_cbranch_execz .LBB9_12
; %bb.14:                               ;   in Loop: Header=BB9_13 Depth=1
	s_add_u32 s34, s34, -1
	s_addc_u32 s35, s35, -1
	s_cmp_eq_u64 s[34:35], 0
	s_cselect_b64 s[46:47], -1, 0
	s_andn2_b64 s[26:27], s[26:27], exec
	s_and_b64 s[46:47], s[46:47], exec
	v_lshl_add_u64 v[22:23], v[22:23], 0, 1
	v_lshl_add_u64 v[24:25], v[24:25], 0, 1
	s_andn2_b64 s[24:25], s[24:25], exec
	s_or_b64 s[26:27], s[26:27], s[46:47]
	s_branch .LBB9_12
.LBB9_15:
	s_or_b64 exec, exec, s[22:23]
	s_and_saveexec_b64 s[22:23], s[20:21]
	s_xor_b64 s[20:21], exec, s[22:23]
; %bb.16:
	v_cndmask_b32_e64 v23, v11, v13, s[12:13]
	v_cndmask_b32_e64 v22, v10, v12, s[12:13]
	;; [unrolled: 1-line block ×4, first 2 shown]
	v_mov_b64_e32 v[10:11], v[22:23]
; %bb.17:
	s_or_b64 exec, exec, s[20:21]
.LBB9_18:
	s_and_b64 vcc, exec, s[0:1]
	s_cbranch_vccnz .LBB9_32
; %bb.19:
	v_mov_b64_e32 v[24:25], s[38:39]
	v_mad_u64_u32 v[22:23], s[12:13], v8, s36, v[24:25]
	v_mul_lo_u32 v27, v8, s37
	v_mul_lo_u32 v35, v9, s36
	v_add3_u32 v23, v35, v23, v27
	v_mad_u64_u32 v[24:25], s[12:13], v6, s36, v[24:25]
	v_mul_lo_u32 v27, v6, s37
	v_mul_lo_u32 v35, v7, s36
	v_add3_u32 v25, v35, v25, v27
	s_mov_b64 s[20:21], 0
	s_mov_b64 s[34:35], s[36:37]
                                        ; implicit-def: $sgpr12_sgpr13
                                        ; implicit-def: $sgpr22_sgpr23
                                        ; implicit-def: $sgpr26_sgpr27
                                        ; implicit-def: $sgpr24_sgpr25
                                        ; implicit-def: $sgpr28_sgpr29
	s_branch .LBB9_21
.LBB9_20:                               ;   in Loop: Header=BB9_21 Depth=1
	s_or_b64 exec, exec, s[44:45]
	s_and_b64 s[42:43], s[42:43], s[28:29]
	s_or_b64 s[40:41], s[40:41], s[42:43]
	s_and_b64 s[42:43], exec, s[26:27]
	s_or_b64 s[20:21], s[42:43], s[20:21]
	s_andn2_b64 s[28:29], s[28:29], exec
	s_and_b64 s[40:41], s[40:41], exec
	s_andn2_b64 s[22:23], s[22:23], exec
	s_and_b64 s[42:43], s[24:25], exec
	s_andn2_b64 s[12:13], s[12:13], exec
	s_or_b64 s[28:29], s[28:29], s[40:41]
	s_or_b64 s[22:23], s[22:23], s[42:43]
	;; [unrolled: 1-line block ×3, first 2 shown]
	s_andn2_b64 exec, exec, s[20:21]
	s_cbranch_execz .LBB9_23
.LBB9_21:                               ; =>This Inner Loop Header: Depth=1
	global_load_ubyte v27, v[22:23], off
	global_load_ubyte v35, v[24:25], off
	s_or_b64 s[24:25], s[24:25], exec
	s_or_b64 s[26:27], s[26:27], exec
	s_waitcnt vmcnt(0)
	v_cmp_lt_u16_sdwa s[40:41], v27, v35 src0_sel:BYTE_0 src1_sel:BYTE_0
	v_cmp_le_u16_sdwa s[42:43], v27, v35 src0_sel:BYTE_0 src1_sel:BYTE_0
	v_cmp_eq_u16_sdwa s[46:47], v27, v35 src0_sel:BYTE_0 src1_sel:BYTE_0
	s_and_saveexec_b64 s[44:45], s[46:47]
	s_cbranch_execz .LBB9_20
; %bb.22:                               ;   in Loop: Header=BB9_21 Depth=1
	s_add_u32 s34, s34, -1
	s_addc_u32 s35, s35, -1
	s_cmp_eq_u64 s[34:35], 0
	s_cselect_b64 s[46:47], -1, 0
	s_andn2_b64 s[26:27], s[26:27], exec
	s_and_b64 s[46:47], s[46:47], exec
	v_lshl_add_u64 v[22:23], v[22:23], 0, 1
	v_lshl_add_u64 v[24:25], v[24:25], 0, 1
	s_andn2_b64 s[24:25], s[24:25], exec
	s_or_b64 s[26:27], s[26:27], s[46:47]
	s_branch .LBB9_20
.LBB9_23:
	s_or_b64 exec, exec, s[20:21]
	s_and_saveexec_b64 s[20:21], s[22:23]
	s_xor_b64 s[20:21], exec, s[20:21]
; %bb.24:
	v_cndmask_b32_e64 v23, v7, v9, s[12:13]
	v_cndmask_b32_e64 v22, v6, v8, s[12:13]
	;; [unrolled: 1-line block ×4, first 2 shown]
	v_mov_b64_e32 v[6:7], v[22:23]
; %bb.25:
	s_or_b64 exec, exec, s[20:21]
	v_mov_b64_e32 v[24:25], s[38:39]
	v_mad_u64_u32 v[22:23], s[12:13], v4, s36, v[24:25]
	v_mul_lo_u32 v27, v4, s37
	v_mul_lo_u32 v35, v5, s36
	v_add3_u32 v23, v35, v23, v27
	v_mad_u64_u32 v[24:25], s[12:13], v2, s36, v[24:25]
	v_mul_lo_u32 v27, v2, s37
	v_mul_lo_u32 v35, v3, s36
	v_add3_u32 v25, v35, v25, v27
	s_mov_b64 s[22:23], 0
	s_mov_b64 s[34:35], s[36:37]
                                        ; implicit-def: $sgpr12_sgpr13
                                        ; implicit-def: $sgpr20_sgpr21
                                        ; implicit-def: $sgpr26_sgpr27
                                        ; implicit-def: $sgpr24_sgpr25
                                        ; implicit-def: $sgpr28_sgpr29
	s_branch .LBB9_27
.LBB9_26:                               ;   in Loop: Header=BB9_27 Depth=1
	s_or_b64 exec, exec, s[44:45]
	s_and_b64 s[42:43], s[42:43], s[28:29]
	s_or_b64 s[40:41], s[40:41], s[42:43]
	s_and_b64 s[42:43], exec, s[26:27]
	s_or_b64 s[22:23], s[42:43], s[22:23]
	s_andn2_b64 s[28:29], s[28:29], exec
	s_and_b64 s[40:41], s[40:41], exec
	s_andn2_b64 s[20:21], s[20:21], exec
	s_and_b64 s[42:43], s[24:25], exec
	s_andn2_b64 s[12:13], s[12:13], exec
	s_or_b64 s[28:29], s[28:29], s[40:41]
	s_or_b64 s[20:21], s[20:21], s[42:43]
	;; [unrolled: 1-line block ×3, first 2 shown]
	s_andn2_b64 exec, exec, s[22:23]
	s_cbranch_execz .LBB9_29
.LBB9_27:                               ; =>This Inner Loop Header: Depth=1
	global_load_ubyte v27, v[22:23], off
	global_load_ubyte v35, v[24:25], off
	s_or_b64 s[24:25], s[24:25], exec
	s_or_b64 s[26:27], s[26:27], exec
	s_waitcnt vmcnt(0)
	v_cmp_lt_u16_sdwa s[40:41], v27, v35 src0_sel:BYTE_0 src1_sel:BYTE_0
	v_cmp_le_u16_sdwa s[42:43], v27, v35 src0_sel:BYTE_0 src1_sel:BYTE_0
	v_cmp_eq_u16_sdwa s[46:47], v27, v35 src0_sel:BYTE_0 src1_sel:BYTE_0
	s_and_saveexec_b64 s[44:45], s[46:47]
	s_cbranch_execz .LBB9_26
; %bb.28:                               ;   in Loop: Header=BB9_27 Depth=1
	s_add_u32 s34, s34, -1
	s_addc_u32 s35, s35, -1
	s_cmp_eq_u64 s[34:35], 0
	s_cselect_b64 s[46:47], -1, 0
	s_andn2_b64 s[26:27], s[26:27], exec
	s_and_b64 s[46:47], s[46:47], exec
	v_lshl_add_u64 v[22:23], v[22:23], 0, 1
	v_lshl_add_u64 v[24:25], v[24:25], 0, 1
	s_andn2_b64 s[24:25], s[24:25], exec
	s_or_b64 s[26:27], s[26:27], s[46:47]
	s_branch .LBB9_26
.LBB9_29:
	s_or_b64 exec, exec, s[22:23]
	s_and_saveexec_b64 s[22:23], s[20:21]
	s_xor_b64 s[20:21], exec, s[22:23]
; %bb.30:
	v_cndmask_b32_e64 v23, v3, v5, s[12:13]
	v_cndmask_b32_e64 v22, v2, v4, s[12:13]
	;; [unrolled: 1-line block ×4, first 2 shown]
	v_mov_b64_e32 v[2:3], v[22:23]
; %bb.31:
	s_or_b64 exec, exec, s[20:21]
.LBB9_32:
	s_and_b64 vcc, exec, s[10:11]
	s_cbranch_vccz .LBB9_46
; %bb.33:
	v_mov_b64_e32 v[24:25], s[38:39]
	v_mad_u64_u32 v[22:23], s[10:11], v10, s36, v[24:25]
	v_mul_lo_u32 v27, v10, s37
	v_mul_lo_u32 v35, v11, s36
	v_add3_u32 v23, v35, v23, v27
	v_mad_u64_u32 v[24:25], s[10:11], v16, s36, v[24:25]
	v_mul_lo_u32 v27, v16, s37
	v_mul_lo_u32 v35, v17, s36
	v_add3_u32 v25, v35, v25, v27
	s_mov_b64 s[12:13], 0
	s_mov_b64 s[28:29], s[36:37]
                                        ; implicit-def: $sgpr10_sgpr11
                                        ; implicit-def: $sgpr20_sgpr21
                                        ; implicit-def: $sgpr24_sgpr25
                                        ; implicit-def: $sgpr22_sgpr23
                                        ; implicit-def: $sgpr26_sgpr27
	s_branch .LBB9_35
.LBB9_34:                               ;   in Loop: Header=BB9_35 Depth=1
	s_or_b64 exec, exec, s[42:43]
	s_and_b64 s[40:41], s[40:41], s[26:27]
	s_or_b64 s[34:35], s[34:35], s[40:41]
	s_and_b64 s[40:41], exec, s[24:25]
	s_or_b64 s[12:13], s[40:41], s[12:13]
	s_andn2_b64 s[26:27], s[26:27], exec
	s_and_b64 s[34:35], s[34:35], exec
	s_andn2_b64 s[20:21], s[20:21], exec
	s_and_b64 s[40:41], s[22:23], exec
	s_andn2_b64 s[10:11], s[10:11], exec
	s_or_b64 s[26:27], s[26:27], s[34:35]
	s_or_b64 s[20:21], s[20:21], s[40:41]
	;; [unrolled: 1-line block ×3, first 2 shown]
	s_andn2_b64 exec, exec, s[12:13]
	s_cbranch_execz .LBB9_37
.LBB9_35:                               ; =>This Inner Loop Header: Depth=1
	global_load_ubyte v27, v[22:23], off
	global_load_ubyte v35, v[24:25], off
	s_or_b64 s[22:23], s[22:23], exec
	s_or_b64 s[24:25], s[24:25], exec
	s_waitcnt vmcnt(0)
	v_cmp_lt_u16_sdwa s[34:35], v27, v35 src0_sel:BYTE_0 src1_sel:BYTE_0
	v_cmp_le_u16_sdwa s[40:41], v27, v35 src0_sel:BYTE_0 src1_sel:BYTE_0
	v_cmp_eq_u16_sdwa s[44:45], v27, v35 src0_sel:BYTE_0 src1_sel:BYTE_0
	s_and_saveexec_b64 s[42:43], s[44:45]
	s_cbranch_execz .LBB9_34
; %bb.36:                               ;   in Loop: Header=BB9_35 Depth=1
	s_add_u32 s28, s28, -1
	s_addc_u32 s29, s29, -1
	s_cmp_eq_u64 s[28:29], 0
	s_cselect_b64 s[44:45], -1, 0
	s_andn2_b64 s[24:25], s[24:25], exec
	s_and_b64 s[44:45], s[44:45], exec
	v_lshl_add_u64 v[22:23], v[22:23], 0, 1
	v_lshl_add_u64 v[24:25], v[24:25], 0, 1
	s_andn2_b64 s[22:23], s[22:23], exec
	s_or_b64 s[24:25], s[24:25], s[44:45]
	s_branch .LBB9_34
.LBB9_37:
	s_or_b64 exec, exec, s[12:13]
	s_and_saveexec_b64 s[12:13], s[20:21]
	s_xor_b64 s[12:13], exec, s[12:13]
; %bb.38:
	v_cndmask_b32_e64 v23, v17, v11, s[10:11]
	v_cndmask_b32_e64 v22, v16, v10, s[10:11]
	;; [unrolled: 1-line block ×4, first 2 shown]
	v_mov_b64_e32 v[16:17], v[22:23]
; %bb.39:
	s_or_b64 exec, exec, s[12:13]
	v_mov_b64_e32 v[24:25], s[38:39]
	v_mad_u64_u32 v[22:23], s[10:11], v6, s36, v[24:25]
	v_mul_lo_u32 v27, v6, s37
	v_mul_lo_u32 v35, v7, s36
	v_add3_u32 v23, v35, v23, v27
	v_mad_u64_u32 v[24:25], s[10:11], v12, s36, v[24:25]
	v_mul_lo_u32 v27, v12, s37
	v_mul_lo_u32 v35, v13, s36
	v_add3_u32 v25, v35, v25, v27
	s_mov_b64 s[20:21], 0
	s_mov_b64 s[28:29], s[36:37]
                                        ; implicit-def: $sgpr10_sgpr11
                                        ; implicit-def: $sgpr12_sgpr13
                                        ; implicit-def: $sgpr24_sgpr25
                                        ; implicit-def: $sgpr22_sgpr23
                                        ; implicit-def: $sgpr26_sgpr27
	s_branch .LBB9_41
.LBB9_40:                               ;   in Loop: Header=BB9_41 Depth=1
	s_or_b64 exec, exec, s[42:43]
	s_and_b64 s[40:41], s[40:41], s[26:27]
	s_or_b64 s[34:35], s[34:35], s[40:41]
	s_and_b64 s[40:41], exec, s[24:25]
	s_or_b64 s[20:21], s[40:41], s[20:21]
	s_andn2_b64 s[26:27], s[26:27], exec
	s_and_b64 s[34:35], s[34:35], exec
	s_andn2_b64 s[12:13], s[12:13], exec
	s_and_b64 s[40:41], s[22:23], exec
	s_andn2_b64 s[10:11], s[10:11], exec
	s_or_b64 s[26:27], s[26:27], s[34:35]
	s_or_b64 s[12:13], s[12:13], s[40:41]
	;; [unrolled: 1-line block ×3, first 2 shown]
	s_andn2_b64 exec, exec, s[20:21]
	s_cbranch_execz .LBB9_43
.LBB9_41:                               ; =>This Inner Loop Header: Depth=1
	global_load_ubyte v27, v[22:23], off
	global_load_ubyte v35, v[24:25], off
	s_or_b64 s[22:23], s[22:23], exec
	s_or_b64 s[24:25], s[24:25], exec
	s_waitcnt vmcnt(0)
	v_cmp_lt_u16_sdwa s[34:35], v27, v35 src0_sel:BYTE_0 src1_sel:BYTE_0
	v_cmp_le_u16_sdwa s[40:41], v27, v35 src0_sel:BYTE_0 src1_sel:BYTE_0
	v_cmp_eq_u16_sdwa s[44:45], v27, v35 src0_sel:BYTE_0 src1_sel:BYTE_0
	s_and_saveexec_b64 s[42:43], s[44:45]
	s_cbranch_execz .LBB9_40
; %bb.42:                               ;   in Loop: Header=BB9_41 Depth=1
	s_add_u32 s28, s28, -1
	s_addc_u32 s29, s29, -1
	s_cmp_eq_u64 s[28:29], 0
	s_cselect_b64 s[44:45], -1, 0
	s_andn2_b64 s[24:25], s[24:25], exec
	s_and_b64 s[44:45], s[44:45], exec
	v_lshl_add_u64 v[22:23], v[22:23], 0, 1
	v_lshl_add_u64 v[24:25], v[24:25], 0, 1
	s_andn2_b64 s[22:23], s[22:23], exec
	s_or_b64 s[24:25], s[24:25], s[44:45]
	s_branch .LBB9_40
.LBB9_43:
	s_or_b64 exec, exec, s[20:21]
	s_and_saveexec_b64 s[20:21], s[12:13]
	s_xor_b64 s[12:13], exec, s[20:21]
; %bb.44:
	v_cndmask_b32_e64 v23, v13, v7, s[10:11]
	v_cndmask_b32_e64 v22, v12, v6, s[10:11]
	;; [unrolled: 1-line block ×4, first 2 shown]
	v_mov_b64_e32 v[12:13], v[22:23]
; %bb.45:
	s_or_b64 exec, exec, s[12:13]
.LBB9_46:
	s_and_b64 vcc, exec, s[0:1]
	s_cbranch_vccnz .LBB9_72
; %bb.47:
	v_mov_b64_e32 v[24:25], s[38:39]
	v_mad_u64_u32 v[22:23], s[10:11], v2, s36, v[24:25]
	v_mul_lo_u32 v27, v2, s37
	v_mul_lo_u32 v35, v3, s36
	v_add3_u32 v23, v35, v23, v27
	v_mad_u64_u32 v[24:25], s[10:11], v8, s36, v[24:25]
	v_mul_lo_u32 v27, v8, s37
	v_mul_lo_u32 v35, v9, s36
	v_add3_u32 v25, v35, v25, v27
	s_mov_b64 s[12:13], 0
	s_mov_b64 s[28:29], s[36:37]
                                        ; implicit-def: $sgpr10_sgpr11
                                        ; implicit-def: $sgpr20_sgpr21
                                        ; implicit-def: $sgpr24_sgpr25
                                        ; implicit-def: $sgpr22_sgpr23
                                        ; implicit-def: $sgpr26_sgpr27
	s_branch .LBB9_49
.LBB9_48:                               ;   in Loop: Header=BB9_49 Depth=1
	s_or_b64 exec, exec, s[42:43]
	s_and_b64 s[40:41], s[40:41], s[26:27]
	s_or_b64 s[34:35], s[34:35], s[40:41]
	s_and_b64 s[40:41], exec, s[24:25]
	s_or_b64 s[12:13], s[40:41], s[12:13]
	s_andn2_b64 s[26:27], s[26:27], exec
	s_and_b64 s[34:35], s[34:35], exec
	s_andn2_b64 s[20:21], s[20:21], exec
	s_and_b64 s[40:41], s[22:23], exec
	s_andn2_b64 s[10:11], s[10:11], exec
	s_or_b64 s[26:27], s[26:27], s[34:35]
	s_or_b64 s[20:21], s[20:21], s[40:41]
	;; [unrolled: 1-line block ×3, first 2 shown]
	s_andn2_b64 exec, exec, s[12:13]
	s_cbranch_execz .LBB9_51
.LBB9_49:                               ; =>This Inner Loop Header: Depth=1
	global_load_ubyte v27, v[22:23], off
	global_load_ubyte v35, v[24:25], off
	s_or_b64 s[22:23], s[22:23], exec
	s_or_b64 s[24:25], s[24:25], exec
	s_waitcnt vmcnt(0)
	v_cmp_lt_u16_sdwa s[34:35], v27, v35 src0_sel:BYTE_0 src1_sel:BYTE_0
	v_cmp_le_u16_sdwa s[40:41], v27, v35 src0_sel:BYTE_0 src1_sel:BYTE_0
	v_cmp_eq_u16_sdwa s[44:45], v27, v35 src0_sel:BYTE_0 src1_sel:BYTE_0
	s_and_saveexec_b64 s[42:43], s[44:45]
	s_cbranch_execz .LBB9_48
; %bb.50:                               ;   in Loop: Header=BB9_49 Depth=1
	s_add_u32 s28, s28, -1
	s_addc_u32 s29, s29, -1
	s_cmp_eq_u64 s[28:29], 0
	s_cselect_b64 s[44:45], -1, 0
	s_andn2_b64 s[24:25], s[24:25], exec
	s_and_b64 s[44:45], s[44:45], exec
	v_lshl_add_u64 v[22:23], v[22:23], 0, 1
	v_lshl_add_u64 v[24:25], v[24:25], 0, 1
	s_andn2_b64 s[22:23], s[22:23], exec
	s_or_b64 s[24:25], s[24:25], s[44:45]
	s_branch .LBB9_48
.LBB9_51:
	s_or_b64 exec, exec, s[12:13]
	s_and_saveexec_b64 s[12:13], s[20:21]
	s_xor_b64 s[12:13], exec, s[12:13]
; %bb.52:
	v_cndmask_b32_e64 v23, v9, v3, s[10:11]
	v_cndmask_b32_e64 v22, v8, v2, s[10:11]
	;; [unrolled: 1-line block ×4, first 2 shown]
	v_mov_b64_e32 v[8:9], v[22:23]
; %bb.53:
	s_or_b64 exec, exec, s[12:13]
	v_mov_b64_e32 v[24:25], s[38:39]
	v_mad_u64_u32 v[22:23], s[10:11], v16, s36, v[24:25]
	v_mul_lo_u32 v27, v16, s37
	v_mul_lo_u32 v35, v17, s36
	v_add3_u32 v23, v35, v23, v27
	v_mad_u64_u32 v[24:25], s[10:11], v14, s36, v[24:25]
	v_mul_lo_u32 v27, v14, s37
	v_mul_lo_u32 v35, v15, s36
	v_add3_u32 v25, v35, v25, v27
	s_mov_b64 s[12:13], 0
	s_mov_b64 s[28:29], s[36:37]
                                        ; implicit-def: $sgpr10_sgpr11
                                        ; implicit-def: $sgpr20_sgpr21
                                        ; implicit-def: $sgpr24_sgpr25
                                        ; implicit-def: $sgpr22_sgpr23
                                        ; implicit-def: $sgpr26_sgpr27
	s_branch .LBB9_55
.LBB9_54:                               ;   in Loop: Header=BB9_55 Depth=1
	s_or_b64 exec, exec, s[42:43]
	s_and_b64 s[40:41], s[40:41], s[26:27]
	s_or_b64 s[34:35], s[34:35], s[40:41]
	s_and_b64 s[40:41], exec, s[24:25]
	s_or_b64 s[12:13], s[40:41], s[12:13]
	s_andn2_b64 s[26:27], s[26:27], exec
	s_and_b64 s[34:35], s[34:35], exec
	s_andn2_b64 s[20:21], s[20:21], exec
	s_and_b64 s[40:41], s[22:23], exec
	s_andn2_b64 s[10:11], s[10:11], exec
	s_or_b64 s[26:27], s[26:27], s[34:35]
	s_or_b64 s[20:21], s[20:21], s[40:41]
	;; [unrolled: 1-line block ×3, first 2 shown]
	s_andn2_b64 exec, exec, s[12:13]
	s_cbranch_execz .LBB9_57
.LBB9_55:                               ; =>This Inner Loop Header: Depth=1
	global_load_ubyte v27, v[22:23], off
	global_load_ubyte v35, v[24:25], off
	s_or_b64 s[22:23], s[22:23], exec
	s_or_b64 s[24:25], s[24:25], exec
	s_waitcnt vmcnt(0)
	v_cmp_lt_u16_sdwa s[34:35], v27, v35 src0_sel:BYTE_0 src1_sel:BYTE_0
	v_cmp_le_u16_sdwa s[40:41], v27, v35 src0_sel:BYTE_0 src1_sel:BYTE_0
	v_cmp_eq_u16_sdwa s[44:45], v27, v35 src0_sel:BYTE_0 src1_sel:BYTE_0
	s_and_saveexec_b64 s[42:43], s[44:45]
	s_cbranch_execz .LBB9_54
; %bb.56:                               ;   in Loop: Header=BB9_55 Depth=1
	s_add_u32 s28, s28, -1
	s_addc_u32 s29, s29, -1
	s_cmp_eq_u64 s[28:29], 0
	s_cselect_b64 s[44:45], -1, 0
	s_andn2_b64 s[24:25], s[24:25], exec
	s_and_b64 s[44:45], s[44:45], exec
	v_lshl_add_u64 v[22:23], v[22:23], 0, 1
	v_lshl_add_u64 v[24:25], v[24:25], 0, 1
	s_andn2_b64 s[22:23], s[22:23], exec
	s_or_b64 s[24:25], s[24:25], s[44:45]
	s_branch .LBB9_54
.LBB9_57:
	s_or_b64 exec, exec, s[12:13]
	s_and_saveexec_b64 s[12:13], s[20:21]
	s_xor_b64 s[12:13], exec, s[12:13]
; %bb.58:
	v_cndmask_b32_e64 v23, v17, v15, s[10:11]
	v_cndmask_b32_e64 v22, v16, v14, s[10:11]
	;; [unrolled: 1-line block ×4, first 2 shown]
	v_mov_b64_e32 v[16:17], v[22:23]
; %bb.59:
	s_or_b64 exec, exec, s[12:13]
	v_mov_b64_e32 v[24:25], s[38:39]
	v_mad_u64_u32 v[22:23], s[10:11], v12, s36, v[24:25]
	v_mul_lo_u32 v27, v12, s37
	v_mul_lo_u32 v35, v13, s36
	v_add3_u32 v23, v35, v23, v27
	v_mad_u64_u32 v[24:25], s[10:11], v10, s36, v[24:25]
	v_mul_lo_u32 v27, v10, s37
	v_mul_lo_u32 v35, v11, s36
	v_add3_u32 v25, v35, v25, v27
	s_mov_b64 s[12:13], 0
	s_mov_b64 s[28:29], s[36:37]
                                        ; implicit-def: $sgpr10_sgpr11
                                        ; implicit-def: $sgpr20_sgpr21
                                        ; implicit-def: $sgpr24_sgpr25
                                        ; implicit-def: $sgpr22_sgpr23
                                        ; implicit-def: $sgpr26_sgpr27
	s_branch .LBB9_61
.LBB9_60:                               ;   in Loop: Header=BB9_61 Depth=1
	s_or_b64 exec, exec, s[42:43]
	s_and_b64 s[40:41], s[40:41], s[26:27]
	s_or_b64 s[34:35], s[34:35], s[40:41]
	s_and_b64 s[40:41], exec, s[24:25]
	s_or_b64 s[12:13], s[40:41], s[12:13]
	s_andn2_b64 s[26:27], s[26:27], exec
	s_and_b64 s[34:35], s[34:35], exec
	s_andn2_b64 s[20:21], s[20:21], exec
	s_and_b64 s[40:41], s[22:23], exec
	s_andn2_b64 s[10:11], s[10:11], exec
	s_or_b64 s[26:27], s[26:27], s[34:35]
	s_or_b64 s[20:21], s[20:21], s[40:41]
	;; [unrolled: 1-line block ×3, first 2 shown]
	s_andn2_b64 exec, exec, s[12:13]
	s_cbranch_execz .LBB9_63
.LBB9_61:                               ; =>This Inner Loop Header: Depth=1
	global_load_ubyte v27, v[22:23], off
	global_load_ubyte v35, v[24:25], off
	s_or_b64 s[22:23], s[22:23], exec
	s_or_b64 s[24:25], s[24:25], exec
	s_waitcnt vmcnt(0)
	v_cmp_lt_u16_sdwa s[34:35], v27, v35 src0_sel:BYTE_0 src1_sel:BYTE_0
	v_cmp_le_u16_sdwa s[40:41], v27, v35 src0_sel:BYTE_0 src1_sel:BYTE_0
	v_cmp_eq_u16_sdwa s[44:45], v27, v35 src0_sel:BYTE_0 src1_sel:BYTE_0
	s_and_saveexec_b64 s[42:43], s[44:45]
	s_cbranch_execz .LBB9_60
; %bb.62:                               ;   in Loop: Header=BB9_61 Depth=1
	s_add_u32 s28, s28, -1
	s_addc_u32 s29, s29, -1
	s_cmp_eq_u64 s[28:29], 0
	s_cselect_b64 s[44:45], -1, 0
	s_andn2_b64 s[24:25], s[24:25], exec
	s_and_b64 s[44:45], s[44:45], exec
	v_lshl_add_u64 v[22:23], v[22:23], 0, 1
	v_lshl_add_u64 v[24:25], v[24:25], 0, 1
	s_andn2_b64 s[22:23], s[22:23], exec
	s_or_b64 s[24:25], s[24:25], s[44:45]
	s_branch .LBB9_60
.LBB9_63:
	s_or_b64 exec, exec, s[12:13]
	s_and_saveexec_b64 s[12:13], s[20:21]
	s_xor_b64 s[12:13], exec, s[12:13]
; %bb.64:
	v_cndmask_b32_e64 v23, v11, v13, s[10:11]
	v_cndmask_b32_e64 v22, v10, v12, s[10:11]
	;; [unrolled: 1-line block ×4, first 2 shown]
	v_mov_b64_e32 v[10:11], v[22:23]
; %bb.65:
	s_or_b64 exec, exec, s[12:13]
	v_mov_b64_e32 v[24:25], s[38:39]
	v_mad_u64_u32 v[22:23], s[10:11], v8, s36, v[24:25]
	v_mul_lo_u32 v27, v8, s37
	v_mul_lo_u32 v35, v9, s36
	v_add3_u32 v23, v35, v23, v27
	v_mad_u64_u32 v[24:25], s[10:11], v6, s36, v[24:25]
	v_mul_lo_u32 v27, v6, s37
	v_mul_lo_u32 v35, v7, s36
	v_add3_u32 v25, v35, v25, v27
	s_mov_b64 s[20:21], 0
	s_mov_b64 s[28:29], s[36:37]
                                        ; implicit-def: $sgpr10_sgpr11
                                        ; implicit-def: $sgpr12_sgpr13
                                        ; implicit-def: $sgpr24_sgpr25
                                        ; implicit-def: $sgpr22_sgpr23
                                        ; implicit-def: $sgpr26_sgpr27
	s_branch .LBB9_67
.LBB9_66:                               ;   in Loop: Header=BB9_67 Depth=1
	s_or_b64 exec, exec, s[42:43]
	s_and_b64 s[40:41], s[40:41], s[26:27]
	s_or_b64 s[34:35], s[34:35], s[40:41]
	s_and_b64 s[40:41], exec, s[24:25]
	s_or_b64 s[20:21], s[40:41], s[20:21]
	s_andn2_b64 s[26:27], s[26:27], exec
	s_and_b64 s[34:35], s[34:35], exec
	s_andn2_b64 s[12:13], s[12:13], exec
	s_and_b64 s[40:41], s[22:23], exec
	s_andn2_b64 s[10:11], s[10:11], exec
	s_or_b64 s[26:27], s[26:27], s[34:35]
	s_or_b64 s[12:13], s[12:13], s[40:41]
	;; [unrolled: 1-line block ×3, first 2 shown]
	s_andn2_b64 exec, exec, s[20:21]
	s_cbranch_execz .LBB9_69
.LBB9_67:                               ; =>This Inner Loop Header: Depth=1
	global_load_ubyte v27, v[22:23], off
	global_load_ubyte v35, v[24:25], off
	s_or_b64 s[22:23], s[22:23], exec
	s_or_b64 s[24:25], s[24:25], exec
	s_waitcnt vmcnt(0)
	v_cmp_lt_u16_sdwa s[34:35], v27, v35 src0_sel:BYTE_0 src1_sel:BYTE_0
	v_cmp_le_u16_sdwa s[40:41], v27, v35 src0_sel:BYTE_0 src1_sel:BYTE_0
	v_cmp_eq_u16_sdwa s[44:45], v27, v35 src0_sel:BYTE_0 src1_sel:BYTE_0
	s_and_saveexec_b64 s[42:43], s[44:45]
	s_cbranch_execz .LBB9_66
; %bb.68:                               ;   in Loop: Header=BB9_67 Depth=1
	s_add_u32 s28, s28, -1
	s_addc_u32 s29, s29, -1
	s_cmp_eq_u64 s[28:29], 0
	s_cselect_b64 s[44:45], -1, 0
	s_andn2_b64 s[24:25], s[24:25], exec
	s_and_b64 s[44:45], s[44:45], exec
	v_lshl_add_u64 v[22:23], v[22:23], 0, 1
	v_lshl_add_u64 v[24:25], v[24:25], 0, 1
	s_andn2_b64 s[22:23], s[22:23], exec
	s_or_b64 s[24:25], s[24:25], s[44:45]
	s_branch .LBB9_66
.LBB9_69:
	s_or_b64 exec, exec, s[20:21]
	s_and_saveexec_b64 s[20:21], s[12:13]
	s_xor_b64 s[12:13], exec, s[20:21]
; %bb.70:
	v_cndmask_b32_e64 v23, v7, v9, s[10:11]
	v_cndmask_b32_e64 v22, v6, v8, s[10:11]
	;; [unrolled: 1-line block ×4, first 2 shown]
	v_mov_b64_e32 v[6:7], v[22:23]
; %bb.71:
	s_or_b64 exec, exec, s[12:13]
.LBB9_72:
	s_and_b64 vcc, exec, s[0:1]
	s_cbranch_vccnz .LBB9_86
; %bb.73:
	v_mov_b64_e32 v[24:25], s[38:39]
	v_mad_u64_u32 v[22:23], s[10:11], v4, s36, v[24:25]
	v_mul_lo_u32 v27, v4, s37
	v_mul_lo_u32 v35, v5, s36
	v_add3_u32 v23, v35, v23, v27
	v_mad_u64_u32 v[24:25], s[10:11], v2, s36, v[24:25]
	v_mul_lo_u32 v27, v2, s37
	v_mul_lo_u32 v35, v3, s36
	v_add3_u32 v25, v35, v25, v27
	s_mov_b64 s[12:13], 0
	s_mov_b64 s[28:29], s[36:37]
                                        ; implicit-def: $sgpr10_sgpr11
                                        ; implicit-def: $sgpr20_sgpr21
                                        ; implicit-def: $sgpr24_sgpr25
                                        ; implicit-def: $sgpr22_sgpr23
                                        ; implicit-def: $sgpr26_sgpr27
	s_branch .LBB9_75
.LBB9_74:                               ;   in Loop: Header=BB9_75 Depth=1
	s_or_b64 exec, exec, s[42:43]
	s_and_b64 s[40:41], s[40:41], s[26:27]
	s_or_b64 s[34:35], s[34:35], s[40:41]
	s_and_b64 s[40:41], exec, s[24:25]
	s_or_b64 s[12:13], s[40:41], s[12:13]
	s_andn2_b64 s[26:27], s[26:27], exec
	s_and_b64 s[34:35], s[34:35], exec
	s_andn2_b64 s[20:21], s[20:21], exec
	s_and_b64 s[40:41], s[22:23], exec
	s_andn2_b64 s[10:11], s[10:11], exec
	s_or_b64 s[26:27], s[26:27], s[34:35]
	s_or_b64 s[20:21], s[20:21], s[40:41]
	;; [unrolled: 1-line block ×3, first 2 shown]
	s_andn2_b64 exec, exec, s[12:13]
	s_cbranch_execz .LBB9_77
.LBB9_75:                               ; =>This Inner Loop Header: Depth=1
	global_load_ubyte v27, v[22:23], off
	global_load_ubyte v35, v[24:25], off
	s_or_b64 s[22:23], s[22:23], exec
	s_or_b64 s[24:25], s[24:25], exec
	s_waitcnt vmcnt(0)
	v_cmp_lt_u16_sdwa s[34:35], v27, v35 src0_sel:BYTE_0 src1_sel:BYTE_0
	v_cmp_le_u16_sdwa s[40:41], v27, v35 src0_sel:BYTE_0 src1_sel:BYTE_0
	v_cmp_eq_u16_sdwa s[44:45], v27, v35 src0_sel:BYTE_0 src1_sel:BYTE_0
	s_and_saveexec_b64 s[42:43], s[44:45]
	s_cbranch_execz .LBB9_74
; %bb.76:                               ;   in Loop: Header=BB9_75 Depth=1
	s_add_u32 s28, s28, -1
	s_addc_u32 s29, s29, -1
	s_cmp_eq_u64 s[28:29], 0
	s_cselect_b64 s[44:45], -1, 0
	s_andn2_b64 s[24:25], s[24:25], exec
	s_and_b64 s[44:45], s[44:45], exec
	v_lshl_add_u64 v[22:23], v[22:23], 0, 1
	v_lshl_add_u64 v[24:25], v[24:25], 0, 1
	s_andn2_b64 s[22:23], s[22:23], exec
	s_or_b64 s[24:25], s[24:25], s[44:45]
	s_branch .LBB9_74
.LBB9_77:
	s_or_b64 exec, exec, s[12:13]
	s_and_saveexec_b64 s[12:13], s[20:21]
	s_xor_b64 s[12:13], exec, s[12:13]
; %bb.78:
	v_cndmask_b32_e64 v23, v3, v5, s[10:11]
	v_cndmask_b32_e64 v22, v2, v4, s[10:11]
	;; [unrolled: 1-line block ×4, first 2 shown]
	v_mov_b64_e32 v[2:3], v[22:23]
; %bb.79:
	s_or_b64 exec, exec, s[12:13]
	v_mov_b64_e32 v[24:25], s[38:39]
	v_mad_u64_u32 v[22:23], s[10:11], v10, s36, v[24:25]
	v_mul_lo_u32 v27, v10, s37
	v_mul_lo_u32 v35, v11, s36
	v_add3_u32 v23, v35, v23, v27
	v_mad_u64_u32 v[24:25], s[10:11], v16, s36, v[24:25]
	v_mul_lo_u32 v27, v16, s37
	v_mul_lo_u32 v35, v17, s36
	v_add3_u32 v25, v35, v25, v27
	s_mov_b64 s[20:21], 0
	s_mov_b64 s[28:29], s[36:37]
                                        ; implicit-def: $sgpr10_sgpr11
                                        ; implicit-def: $sgpr12_sgpr13
                                        ; implicit-def: $sgpr24_sgpr25
                                        ; implicit-def: $sgpr22_sgpr23
                                        ; implicit-def: $sgpr26_sgpr27
	s_branch .LBB9_81
.LBB9_80:                               ;   in Loop: Header=BB9_81 Depth=1
	s_or_b64 exec, exec, s[42:43]
	s_and_b64 s[40:41], s[40:41], s[26:27]
	s_or_b64 s[34:35], s[34:35], s[40:41]
	s_and_b64 s[40:41], exec, s[24:25]
	s_or_b64 s[20:21], s[40:41], s[20:21]
	s_andn2_b64 s[26:27], s[26:27], exec
	s_and_b64 s[34:35], s[34:35], exec
	s_andn2_b64 s[12:13], s[12:13], exec
	s_and_b64 s[40:41], s[22:23], exec
	s_andn2_b64 s[10:11], s[10:11], exec
	s_or_b64 s[26:27], s[26:27], s[34:35]
	s_or_b64 s[12:13], s[12:13], s[40:41]
	;; [unrolled: 1-line block ×3, first 2 shown]
	s_andn2_b64 exec, exec, s[20:21]
	s_cbranch_execz .LBB9_83
.LBB9_81:                               ; =>This Inner Loop Header: Depth=1
	global_load_ubyte v27, v[22:23], off
	global_load_ubyte v35, v[24:25], off
	s_or_b64 s[22:23], s[22:23], exec
	s_or_b64 s[24:25], s[24:25], exec
	s_waitcnt vmcnt(0)
	v_cmp_lt_u16_sdwa s[34:35], v27, v35 src0_sel:BYTE_0 src1_sel:BYTE_0
	v_cmp_le_u16_sdwa s[40:41], v27, v35 src0_sel:BYTE_0 src1_sel:BYTE_0
	v_cmp_eq_u16_sdwa s[44:45], v27, v35 src0_sel:BYTE_0 src1_sel:BYTE_0
	s_and_saveexec_b64 s[42:43], s[44:45]
	s_cbranch_execz .LBB9_80
; %bb.82:                               ;   in Loop: Header=BB9_81 Depth=1
	s_add_u32 s28, s28, -1
	s_addc_u32 s29, s29, -1
	s_cmp_eq_u64 s[28:29], 0
	s_cselect_b64 s[44:45], -1, 0
	s_andn2_b64 s[24:25], s[24:25], exec
	s_and_b64 s[44:45], s[44:45], exec
	v_lshl_add_u64 v[22:23], v[22:23], 0, 1
	v_lshl_add_u64 v[24:25], v[24:25], 0, 1
	s_andn2_b64 s[22:23], s[22:23], exec
	s_or_b64 s[24:25], s[24:25], s[44:45]
	s_branch .LBB9_80
.LBB9_83:
	s_or_b64 exec, exec, s[20:21]
	s_and_saveexec_b64 s[20:21], s[12:13]
	s_xor_b64 s[12:13], exec, s[20:21]
; %bb.84:
	v_cndmask_b32_e64 v23, v17, v11, s[10:11]
	v_cndmask_b32_e64 v22, v16, v10, s[10:11]
	;; [unrolled: 1-line block ×4, first 2 shown]
	v_mov_b64_e32 v[16:17], v[22:23]
; %bb.85:
	s_or_b64 exec, exec, s[12:13]
.LBB9_86:
	s_and_b64 vcc, exec, s[0:1]
	s_cbranch_vccnz .LBB9_100
; %bb.87:
	v_mov_b64_e32 v[24:25], s[38:39]
	v_mad_u64_u32 v[22:23], s[10:11], v6, s36, v[24:25]
	v_mul_lo_u32 v27, v6, s37
	v_mul_lo_u32 v35, v7, s36
	v_add3_u32 v23, v35, v23, v27
	v_mad_u64_u32 v[24:25], s[10:11], v12, s36, v[24:25]
	v_mul_lo_u32 v27, v12, s37
	v_mul_lo_u32 v35, v13, s36
	v_add3_u32 v25, v35, v25, v27
	s_mov_b64 s[12:13], 0
	s_mov_b64 s[28:29], s[36:37]
                                        ; implicit-def: $sgpr10_sgpr11
                                        ; implicit-def: $sgpr20_sgpr21
                                        ; implicit-def: $sgpr24_sgpr25
                                        ; implicit-def: $sgpr22_sgpr23
                                        ; implicit-def: $sgpr26_sgpr27
	s_branch .LBB9_89
.LBB9_88:                               ;   in Loop: Header=BB9_89 Depth=1
	s_or_b64 exec, exec, s[42:43]
	s_and_b64 s[40:41], s[40:41], s[26:27]
	s_or_b64 s[34:35], s[34:35], s[40:41]
	s_and_b64 s[40:41], exec, s[24:25]
	s_or_b64 s[12:13], s[40:41], s[12:13]
	s_andn2_b64 s[26:27], s[26:27], exec
	s_and_b64 s[34:35], s[34:35], exec
	s_andn2_b64 s[20:21], s[20:21], exec
	s_and_b64 s[40:41], s[22:23], exec
	s_andn2_b64 s[10:11], s[10:11], exec
	s_or_b64 s[26:27], s[26:27], s[34:35]
	s_or_b64 s[20:21], s[20:21], s[40:41]
	;; [unrolled: 1-line block ×3, first 2 shown]
	s_andn2_b64 exec, exec, s[12:13]
	s_cbranch_execz .LBB9_91
.LBB9_89:                               ; =>This Inner Loop Header: Depth=1
	global_load_ubyte v27, v[22:23], off
	global_load_ubyte v35, v[24:25], off
	s_or_b64 s[22:23], s[22:23], exec
	s_or_b64 s[24:25], s[24:25], exec
	s_waitcnt vmcnt(0)
	v_cmp_lt_u16_sdwa s[34:35], v27, v35 src0_sel:BYTE_0 src1_sel:BYTE_0
	v_cmp_le_u16_sdwa s[40:41], v27, v35 src0_sel:BYTE_0 src1_sel:BYTE_0
	v_cmp_eq_u16_sdwa s[44:45], v27, v35 src0_sel:BYTE_0 src1_sel:BYTE_0
	s_and_saveexec_b64 s[42:43], s[44:45]
	s_cbranch_execz .LBB9_88
; %bb.90:                               ;   in Loop: Header=BB9_89 Depth=1
	s_add_u32 s28, s28, -1
	s_addc_u32 s29, s29, -1
	s_cmp_eq_u64 s[28:29], 0
	s_cselect_b64 s[44:45], -1, 0
	s_andn2_b64 s[24:25], s[24:25], exec
	s_and_b64 s[44:45], s[44:45], exec
	v_lshl_add_u64 v[22:23], v[22:23], 0, 1
	v_lshl_add_u64 v[24:25], v[24:25], 0, 1
	s_andn2_b64 s[22:23], s[22:23], exec
	s_or_b64 s[24:25], s[24:25], s[44:45]
	s_branch .LBB9_88
.LBB9_91:
	s_or_b64 exec, exec, s[12:13]
	s_and_saveexec_b64 s[12:13], s[20:21]
	s_xor_b64 s[12:13], exec, s[12:13]
; %bb.92:
	v_cndmask_b32_e64 v23, v13, v7, s[10:11]
	v_cndmask_b32_e64 v22, v12, v6, s[10:11]
	;; [unrolled: 1-line block ×4, first 2 shown]
	v_mov_b64_e32 v[12:13], v[22:23]
; %bb.93:
	s_or_b64 exec, exec, s[12:13]
	v_mov_b64_e32 v[24:25], s[38:39]
	v_mad_u64_u32 v[22:23], s[10:11], v2, s36, v[24:25]
	v_mul_lo_u32 v27, v2, s37
	v_mul_lo_u32 v35, v3, s36
	v_add3_u32 v23, v35, v23, v27
	v_mad_u64_u32 v[24:25], s[10:11], v8, s36, v[24:25]
	v_mul_lo_u32 v27, v8, s37
	v_mul_lo_u32 v35, v9, s36
	v_add3_u32 v25, v35, v25, v27
	s_mov_b64 s[20:21], 0
	s_mov_b64 s[28:29], s[36:37]
                                        ; implicit-def: $sgpr10_sgpr11
                                        ; implicit-def: $sgpr12_sgpr13
                                        ; implicit-def: $sgpr24_sgpr25
                                        ; implicit-def: $sgpr22_sgpr23
                                        ; implicit-def: $sgpr26_sgpr27
	s_branch .LBB9_95
.LBB9_94:                               ;   in Loop: Header=BB9_95 Depth=1
	s_or_b64 exec, exec, s[42:43]
	s_and_b64 s[40:41], s[40:41], s[26:27]
	s_or_b64 s[34:35], s[34:35], s[40:41]
	s_and_b64 s[40:41], exec, s[24:25]
	s_or_b64 s[20:21], s[40:41], s[20:21]
	s_andn2_b64 s[26:27], s[26:27], exec
	s_and_b64 s[34:35], s[34:35], exec
	s_andn2_b64 s[12:13], s[12:13], exec
	s_and_b64 s[40:41], s[22:23], exec
	s_andn2_b64 s[10:11], s[10:11], exec
	s_or_b64 s[26:27], s[26:27], s[34:35]
	s_or_b64 s[12:13], s[12:13], s[40:41]
	;; [unrolled: 1-line block ×3, first 2 shown]
	s_andn2_b64 exec, exec, s[20:21]
	s_cbranch_execz .LBB9_97
.LBB9_95:                               ; =>This Inner Loop Header: Depth=1
	global_load_ubyte v27, v[22:23], off
	global_load_ubyte v35, v[24:25], off
	s_or_b64 s[22:23], s[22:23], exec
	s_or_b64 s[24:25], s[24:25], exec
	s_waitcnt vmcnt(0)
	v_cmp_lt_u16_sdwa s[34:35], v27, v35 src0_sel:BYTE_0 src1_sel:BYTE_0
	v_cmp_le_u16_sdwa s[40:41], v27, v35 src0_sel:BYTE_0 src1_sel:BYTE_0
	v_cmp_eq_u16_sdwa s[44:45], v27, v35 src0_sel:BYTE_0 src1_sel:BYTE_0
	s_and_saveexec_b64 s[42:43], s[44:45]
	s_cbranch_execz .LBB9_94
; %bb.96:                               ;   in Loop: Header=BB9_95 Depth=1
	s_add_u32 s28, s28, -1
	s_addc_u32 s29, s29, -1
	s_cmp_eq_u64 s[28:29], 0
	s_cselect_b64 s[44:45], -1, 0
	s_andn2_b64 s[24:25], s[24:25], exec
	s_and_b64 s[44:45], s[44:45], exec
	v_lshl_add_u64 v[22:23], v[22:23], 0, 1
	v_lshl_add_u64 v[24:25], v[24:25], 0, 1
	s_andn2_b64 s[22:23], s[22:23], exec
	s_or_b64 s[24:25], s[24:25], s[44:45]
	s_branch .LBB9_94
.LBB9_97:
	s_or_b64 exec, exec, s[20:21]
	s_and_saveexec_b64 s[20:21], s[12:13]
	s_xor_b64 s[12:13], exec, s[20:21]
; %bb.98:
	v_cndmask_b32_e64 v23, v9, v3, s[10:11]
	v_cndmask_b32_e64 v22, v8, v2, s[10:11]
	;; [unrolled: 1-line block ×4, first 2 shown]
	v_mov_b64_e32 v[8:9], v[22:23]
; %bb.99:
	s_or_b64 exec, exec, s[12:13]
.LBB9_100:
	s_and_b64 vcc, exec, s[0:1]
	s_cbranch_vccnz .LBB9_114
; %bb.101:
	v_mov_b64_e32 v[24:25], s[38:39]
	v_mad_u64_u32 v[22:23], s[10:11], v16, s36, v[24:25]
	v_mul_lo_u32 v27, v16, s37
	v_mul_lo_u32 v35, v17, s36
	v_add3_u32 v23, v35, v23, v27
	v_mad_u64_u32 v[24:25], s[10:11], v14, s36, v[24:25]
	v_mul_lo_u32 v27, v14, s37
	v_mul_lo_u32 v35, v15, s36
	v_add3_u32 v25, v35, v25, v27
	s_mov_b64 s[12:13], 0
	s_mov_b64 s[28:29], s[36:37]
                                        ; implicit-def: $sgpr10_sgpr11
                                        ; implicit-def: $sgpr20_sgpr21
                                        ; implicit-def: $sgpr24_sgpr25
                                        ; implicit-def: $sgpr22_sgpr23
                                        ; implicit-def: $sgpr26_sgpr27
	s_branch .LBB9_103
.LBB9_102:                              ;   in Loop: Header=BB9_103 Depth=1
	s_or_b64 exec, exec, s[42:43]
	s_and_b64 s[40:41], s[40:41], s[26:27]
	s_or_b64 s[34:35], s[34:35], s[40:41]
	s_and_b64 s[40:41], exec, s[24:25]
	s_or_b64 s[12:13], s[40:41], s[12:13]
	s_andn2_b64 s[26:27], s[26:27], exec
	s_and_b64 s[34:35], s[34:35], exec
	s_andn2_b64 s[20:21], s[20:21], exec
	s_and_b64 s[40:41], s[22:23], exec
	s_andn2_b64 s[10:11], s[10:11], exec
	s_or_b64 s[26:27], s[26:27], s[34:35]
	s_or_b64 s[20:21], s[20:21], s[40:41]
	;; [unrolled: 1-line block ×3, first 2 shown]
	s_andn2_b64 exec, exec, s[12:13]
	s_cbranch_execz .LBB9_105
.LBB9_103:                              ; =>This Inner Loop Header: Depth=1
	global_load_ubyte v27, v[22:23], off
	global_load_ubyte v35, v[24:25], off
	s_or_b64 s[22:23], s[22:23], exec
	s_or_b64 s[24:25], s[24:25], exec
	s_waitcnt vmcnt(0)
	v_cmp_lt_u16_sdwa s[34:35], v27, v35 src0_sel:BYTE_0 src1_sel:BYTE_0
	v_cmp_le_u16_sdwa s[40:41], v27, v35 src0_sel:BYTE_0 src1_sel:BYTE_0
	v_cmp_eq_u16_sdwa s[44:45], v27, v35 src0_sel:BYTE_0 src1_sel:BYTE_0
	s_and_saveexec_b64 s[42:43], s[44:45]
	s_cbranch_execz .LBB9_102
; %bb.104:                              ;   in Loop: Header=BB9_103 Depth=1
	s_add_u32 s28, s28, -1
	s_addc_u32 s29, s29, -1
	s_cmp_eq_u64 s[28:29], 0
	s_cselect_b64 s[44:45], -1, 0
	s_andn2_b64 s[24:25], s[24:25], exec
	s_and_b64 s[44:45], s[44:45], exec
	v_lshl_add_u64 v[22:23], v[22:23], 0, 1
	v_lshl_add_u64 v[24:25], v[24:25], 0, 1
	s_andn2_b64 s[22:23], s[22:23], exec
	s_or_b64 s[24:25], s[24:25], s[44:45]
	s_branch .LBB9_102
.LBB9_105:
	s_or_b64 exec, exec, s[12:13]
	s_and_saveexec_b64 s[12:13], s[20:21]
	s_xor_b64 s[12:13], exec, s[12:13]
; %bb.106:
	v_cndmask_b32_e64 v23, v17, v15, s[10:11]
	v_cndmask_b32_e64 v22, v16, v14, s[10:11]
	;; [unrolled: 1-line block ×4, first 2 shown]
	v_mov_b64_e32 v[16:17], v[22:23]
; %bb.107:
	s_or_b64 exec, exec, s[12:13]
	v_mov_b64_e32 v[24:25], s[38:39]
	v_mad_u64_u32 v[22:23], s[10:11], v12, s36, v[24:25]
	v_mul_lo_u32 v27, v12, s37
	v_mul_lo_u32 v35, v13, s36
	v_add3_u32 v23, v35, v23, v27
	v_mad_u64_u32 v[24:25], s[10:11], v10, s36, v[24:25]
	v_mul_lo_u32 v27, v10, s37
	v_mul_lo_u32 v35, v11, s36
	v_add3_u32 v25, v35, v25, v27
	s_mov_b64 s[20:21], 0
	s_mov_b64 s[28:29], s[36:37]
                                        ; implicit-def: $sgpr10_sgpr11
                                        ; implicit-def: $sgpr12_sgpr13
                                        ; implicit-def: $sgpr24_sgpr25
                                        ; implicit-def: $sgpr22_sgpr23
                                        ; implicit-def: $sgpr26_sgpr27
	s_branch .LBB9_109
.LBB9_108:                              ;   in Loop: Header=BB9_109 Depth=1
	s_or_b64 exec, exec, s[42:43]
	s_and_b64 s[40:41], s[40:41], s[26:27]
	s_or_b64 s[34:35], s[34:35], s[40:41]
	s_and_b64 s[40:41], exec, s[24:25]
	s_or_b64 s[20:21], s[40:41], s[20:21]
	s_andn2_b64 s[26:27], s[26:27], exec
	s_and_b64 s[34:35], s[34:35], exec
	s_andn2_b64 s[12:13], s[12:13], exec
	s_and_b64 s[40:41], s[22:23], exec
	s_andn2_b64 s[10:11], s[10:11], exec
	s_or_b64 s[26:27], s[26:27], s[34:35]
	s_or_b64 s[12:13], s[12:13], s[40:41]
	;; [unrolled: 1-line block ×3, first 2 shown]
	s_andn2_b64 exec, exec, s[20:21]
	s_cbranch_execz .LBB9_111
.LBB9_109:                              ; =>This Inner Loop Header: Depth=1
	global_load_ubyte v27, v[22:23], off
	global_load_ubyte v35, v[24:25], off
	s_or_b64 s[22:23], s[22:23], exec
	s_or_b64 s[24:25], s[24:25], exec
	s_waitcnt vmcnt(0)
	v_cmp_lt_u16_sdwa s[34:35], v27, v35 src0_sel:BYTE_0 src1_sel:BYTE_0
	v_cmp_le_u16_sdwa s[40:41], v27, v35 src0_sel:BYTE_0 src1_sel:BYTE_0
	v_cmp_eq_u16_sdwa s[44:45], v27, v35 src0_sel:BYTE_0 src1_sel:BYTE_0
	s_and_saveexec_b64 s[42:43], s[44:45]
	s_cbranch_execz .LBB9_108
; %bb.110:                              ;   in Loop: Header=BB9_109 Depth=1
	s_add_u32 s28, s28, -1
	s_addc_u32 s29, s29, -1
	s_cmp_eq_u64 s[28:29], 0
	s_cselect_b64 s[44:45], -1, 0
	s_andn2_b64 s[24:25], s[24:25], exec
	s_and_b64 s[44:45], s[44:45], exec
	v_lshl_add_u64 v[22:23], v[22:23], 0, 1
	v_lshl_add_u64 v[24:25], v[24:25], 0, 1
	s_andn2_b64 s[22:23], s[22:23], exec
	s_or_b64 s[24:25], s[24:25], s[44:45]
	s_branch .LBB9_108
.LBB9_111:
	s_or_b64 exec, exec, s[20:21]
	s_and_saveexec_b64 s[20:21], s[12:13]
	s_xor_b64 s[12:13], exec, s[20:21]
; %bb.112:
	v_cndmask_b32_e64 v23, v11, v13, s[10:11]
	v_cndmask_b32_e64 v22, v10, v12, s[10:11]
	;; [unrolled: 1-line block ×4, first 2 shown]
	v_mov_b64_e32 v[10:11], v[22:23]
; %bb.113:
	s_or_b64 exec, exec, s[12:13]
.LBB9_114:
	s_and_b64 vcc, exec, s[0:1]
	s_cbranch_vccnz .LBB9_188
; %bb.115:
	v_mov_b64_e32 v[24:25], s[38:39]
	v_mad_u64_u32 v[22:23], s[10:11], v8, s36, v[24:25]
	v_mul_lo_u32 v27, v8, s37
	v_mul_lo_u32 v35, v9, s36
	v_add3_u32 v23, v35, v23, v27
	v_mad_u64_u32 v[24:25], s[10:11], v6, s36, v[24:25]
	v_mul_lo_u32 v27, v6, s37
	v_mul_lo_u32 v35, v7, s36
	v_add3_u32 v25, v35, v25, v27
	s_mov_b64 s[12:13], 0
	s_mov_b64 s[28:29], s[36:37]
                                        ; implicit-def: $sgpr10_sgpr11
                                        ; implicit-def: $sgpr20_sgpr21
                                        ; implicit-def: $sgpr24_sgpr25
                                        ; implicit-def: $sgpr22_sgpr23
                                        ; implicit-def: $sgpr26_sgpr27
	s_branch .LBB9_117
.LBB9_116:                              ;   in Loop: Header=BB9_117 Depth=1
	s_or_b64 exec, exec, s[42:43]
	s_and_b64 s[40:41], s[40:41], s[26:27]
	s_or_b64 s[34:35], s[34:35], s[40:41]
	s_and_b64 s[40:41], exec, s[24:25]
	s_or_b64 s[12:13], s[40:41], s[12:13]
	s_andn2_b64 s[26:27], s[26:27], exec
	s_and_b64 s[34:35], s[34:35], exec
	s_andn2_b64 s[20:21], s[20:21], exec
	s_and_b64 s[40:41], s[22:23], exec
	s_andn2_b64 s[10:11], s[10:11], exec
	s_or_b64 s[26:27], s[26:27], s[34:35]
	s_or_b64 s[20:21], s[20:21], s[40:41]
	;; [unrolled: 1-line block ×3, first 2 shown]
	s_andn2_b64 exec, exec, s[12:13]
	s_cbranch_execz .LBB9_119
.LBB9_117:                              ; =>This Inner Loop Header: Depth=1
	global_load_ubyte v27, v[22:23], off
	global_load_ubyte v35, v[24:25], off
	s_or_b64 s[22:23], s[22:23], exec
	s_or_b64 s[24:25], s[24:25], exec
	s_waitcnt vmcnt(0)
	v_cmp_lt_u16_sdwa s[34:35], v27, v35 src0_sel:BYTE_0 src1_sel:BYTE_0
	v_cmp_le_u16_sdwa s[40:41], v27, v35 src0_sel:BYTE_0 src1_sel:BYTE_0
	v_cmp_eq_u16_sdwa s[44:45], v27, v35 src0_sel:BYTE_0 src1_sel:BYTE_0
	s_and_saveexec_b64 s[42:43], s[44:45]
	s_cbranch_execz .LBB9_116
; %bb.118:                              ;   in Loop: Header=BB9_117 Depth=1
	s_add_u32 s28, s28, -1
	s_addc_u32 s29, s29, -1
	s_cmp_eq_u64 s[28:29], 0
	s_cselect_b64 s[44:45], -1, 0
	s_andn2_b64 s[24:25], s[24:25], exec
	s_and_b64 s[44:45], s[44:45], exec
	v_lshl_add_u64 v[22:23], v[22:23], 0, 1
	v_lshl_add_u64 v[24:25], v[24:25], 0, 1
	s_andn2_b64 s[22:23], s[22:23], exec
	s_or_b64 s[24:25], s[24:25], s[44:45]
	s_branch .LBB9_116
.LBB9_119:
	s_or_b64 exec, exec, s[12:13]
	s_and_saveexec_b64 s[12:13], s[20:21]
	s_xor_b64 s[12:13], exec, s[12:13]
; %bb.120:
	v_cndmask_b32_e64 v23, v7, v9, s[10:11]
	v_cndmask_b32_e64 v22, v6, v8, s[10:11]
	;; [unrolled: 1-line block ×4, first 2 shown]
	v_mov_b64_e32 v[6:7], v[22:23]
; %bb.121:
	s_or_b64 exec, exec, s[12:13]
	v_mov_b64_e32 v[24:25], s[38:39]
	v_mad_u64_u32 v[22:23], s[10:11], v4, s36, v[24:25]
	v_mul_lo_u32 v27, v4, s37
	v_mul_lo_u32 v35, v5, s36
	v_add3_u32 v23, v35, v23, v27
	v_mad_u64_u32 v[24:25], s[10:11], v2, s36, v[24:25]
	v_mul_lo_u32 v27, v2, s37
	v_mul_lo_u32 v35, v3, s36
	v_add3_u32 v25, v35, v25, v27
	s_mov_b64 s[12:13], 0
	s_mov_b64 s[28:29], s[36:37]
                                        ; implicit-def: $sgpr10_sgpr11
                                        ; implicit-def: $sgpr20_sgpr21
                                        ; implicit-def: $sgpr24_sgpr25
                                        ; implicit-def: $sgpr22_sgpr23
                                        ; implicit-def: $sgpr26_sgpr27
	s_branch .LBB9_123
.LBB9_122:                              ;   in Loop: Header=BB9_123 Depth=1
	s_or_b64 exec, exec, s[42:43]
	s_and_b64 s[40:41], s[40:41], s[26:27]
	s_or_b64 s[34:35], s[34:35], s[40:41]
	s_and_b64 s[40:41], exec, s[24:25]
	s_or_b64 s[12:13], s[40:41], s[12:13]
	s_andn2_b64 s[26:27], s[26:27], exec
	s_and_b64 s[34:35], s[34:35], exec
	s_andn2_b64 s[20:21], s[20:21], exec
	s_and_b64 s[40:41], s[22:23], exec
	s_andn2_b64 s[10:11], s[10:11], exec
	s_or_b64 s[26:27], s[26:27], s[34:35]
	s_or_b64 s[20:21], s[20:21], s[40:41]
	s_or_b64 s[10:11], s[10:11], s[34:35]
	s_andn2_b64 exec, exec, s[12:13]
	s_cbranch_execz .LBB9_125
.LBB9_123:                              ; =>This Inner Loop Header: Depth=1
	global_load_ubyte v27, v[22:23], off
	global_load_ubyte v35, v[24:25], off
	s_or_b64 s[22:23], s[22:23], exec
	s_or_b64 s[24:25], s[24:25], exec
	s_waitcnt vmcnt(0)
	v_cmp_lt_u16_sdwa s[34:35], v27, v35 src0_sel:BYTE_0 src1_sel:BYTE_0
	v_cmp_le_u16_sdwa s[40:41], v27, v35 src0_sel:BYTE_0 src1_sel:BYTE_0
	v_cmp_eq_u16_sdwa s[44:45], v27, v35 src0_sel:BYTE_0 src1_sel:BYTE_0
	s_and_saveexec_b64 s[42:43], s[44:45]
	s_cbranch_execz .LBB9_122
; %bb.124:                              ;   in Loop: Header=BB9_123 Depth=1
	s_add_u32 s28, s28, -1
	s_addc_u32 s29, s29, -1
	s_cmp_eq_u64 s[28:29], 0
	s_cselect_b64 s[44:45], -1, 0
	s_andn2_b64 s[24:25], s[24:25], exec
	s_and_b64 s[44:45], s[44:45], exec
	v_lshl_add_u64 v[22:23], v[22:23], 0, 1
	v_lshl_add_u64 v[24:25], v[24:25], 0, 1
	s_andn2_b64 s[22:23], s[22:23], exec
	s_or_b64 s[24:25], s[24:25], s[44:45]
	s_branch .LBB9_122
.LBB9_125:
	s_or_b64 exec, exec, s[12:13]
	s_and_saveexec_b64 s[12:13], s[20:21]
	s_xor_b64 s[12:13], exec, s[12:13]
; %bb.126:
	v_cndmask_b32_e64 v23, v3, v5, s[10:11]
	v_cndmask_b32_e64 v22, v2, v4, s[10:11]
	;; [unrolled: 1-line block ×4, first 2 shown]
	v_mov_b64_e32 v[2:3], v[22:23]
; %bb.127:
	s_or_b64 exec, exec, s[12:13]
	v_mov_b64_e32 v[24:25], s[38:39]
	v_mad_u64_u32 v[22:23], s[10:11], v10, s36, v[24:25]
	v_mul_lo_u32 v27, v10, s37
	v_mul_lo_u32 v35, v11, s36
	v_add3_u32 v23, v35, v23, v27
	v_mad_u64_u32 v[24:25], s[10:11], v16, s36, v[24:25]
	v_mul_lo_u32 v27, v16, s37
	v_mul_lo_u32 v35, v17, s36
	v_add3_u32 v25, v35, v25, v27
	s_mov_b64 s[12:13], 0
	s_mov_b64 s[28:29], s[36:37]
                                        ; implicit-def: $sgpr10_sgpr11
                                        ; implicit-def: $sgpr20_sgpr21
                                        ; implicit-def: $sgpr24_sgpr25
                                        ; implicit-def: $sgpr22_sgpr23
                                        ; implicit-def: $sgpr26_sgpr27
	s_branch .LBB9_129
.LBB9_128:                              ;   in Loop: Header=BB9_129 Depth=1
	s_or_b64 exec, exec, s[42:43]
	s_and_b64 s[40:41], s[40:41], s[26:27]
	s_or_b64 s[34:35], s[34:35], s[40:41]
	s_and_b64 s[40:41], exec, s[24:25]
	s_or_b64 s[12:13], s[40:41], s[12:13]
	s_andn2_b64 s[26:27], s[26:27], exec
	s_and_b64 s[34:35], s[34:35], exec
	s_andn2_b64 s[20:21], s[20:21], exec
	s_and_b64 s[40:41], s[22:23], exec
	s_andn2_b64 s[10:11], s[10:11], exec
	s_or_b64 s[26:27], s[26:27], s[34:35]
	s_or_b64 s[20:21], s[20:21], s[40:41]
	;; [unrolled: 1-line block ×3, first 2 shown]
	s_andn2_b64 exec, exec, s[12:13]
	s_cbranch_execz .LBB9_131
.LBB9_129:                              ; =>This Inner Loop Header: Depth=1
	global_load_ubyte v27, v[22:23], off
	global_load_ubyte v35, v[24:25], off
	s_or_b64 s[22:23], s[22:23], exec
	s_or_b64 s[24:25], s[24:25], exec
	s_waitcnt vmcnt(0)
	v_cmp_lt_u16_sdwa s[34:35], v27, v35 src0_sel:BYTE_0 src1_sel:BYTE_0
	v_cmp_le_u16_sdwa s[40:41], v27, v35 src0_sel:BYTE_0 src1_sel:BYTE_0
	v_cmp_eq_u16_sdwa s[44:45], v27, v35 src0_sel:BYTE_0 src1_sel:BYTE_0
	s_and_saveexec_b64 s[42:43], s[44:45]
	s_cbranch_execz .LBB9_128
; %bb.130:                              ;   in Loop: Header=BB9_129 Depth=1
	s_add_u32 s28, s28, -1
	s_addc_u32 s29, s29, -1
	s_cmp_eq_u64 s[28:29], 0
	s_cselect_b64 s[44:45], -1, 0
	s_andn2_b64 s[24:25], s[24:25], exec
	s_and_b64 s[44:45], s[44:45], exec
	v_lshl_add_u64 v[22:23], v[22:23], 0, 1
	v_lshl_add_u64 v[24:25], v[24:25], 0, 1
	s_andn2_b64 s[22:23], s[22:23], exec
	s_or_b64 s[24:25], s[24:25], s[44:45]
	s_branch .LBB9_128
.LBB9_131:
	s_or_b64 exec, exec, s[12:13]
	s_and_saveexec_b64 s[12:13], s[20:21]
	s_xor_b64 s[12:13], exec, s[12:13]
; %bb.132:
	v_cndmask_b32_e64 v23, v17, v11, s[10:11]
	v_cndmask_b32_e64 v22, v16, v10, s[10:11]
	;; [unrolled: 1-line block ×4, first 2 shown]
	v_mov_b64_e32 v[16:17], v[22:23]
; %bb.133:
	s_or_b64 exec, exec, s[12:13]
	v_mov_b64_e32 v[24:25], s[38:39]
	v_mad_u64_u32 v[22:23], s[10:11], v6, s36, v[24:25]
	v_mul_lo_u32 v27, v6, s37
	v_mul_lo_u32 v35, v7, s36
	v_add3_u32 v23, v35, v23, v27
	v_mad_u64_u32 v[24:25], s[10:11], v12, s36, v[24:25]
	v_mul_lo_u32 v27, v12, s37
	v_mul_lo_u32 v35, v13, s36
	v_add3_u32 v25, v35, v25, v27
	s_mov_b64 s[12:13], 0
	s_mov_b64 s[28:29], s[36:37]
                                        ; implicit-def: $sgpr10_sgpr11
                                        ; implicit-def: $sgpr20_sgpr21
                                        ; implicit-def: $sgpr24_sgpr25
                                        ; implicit-def: $sgpr22_sgpr23
                                        ; implicit-def: $sgpr26_sgpr27
	s_branch .LBB9_135
.LBB9_134:                              ;   in Loop: Header=BB9_135 Depth=1
	s_or_b64 exec, exec, s[42:43]
	s_and_b64 s[40:41], s[40:41], s[26:27]
	s_or_b64 s[34:35], s[34:35], s[40:41]
	s_and_b64 s[40:41], exec, s[24:25]
	s_or_b64 s[12:13], s[40:41], s[12:13]
	s_andn2_b64 s[26:27], s[26:27], exec
	s_and_b64 s[34:35], s[34:35], exec
	s_andn2_b64 s[20:21], s[20:21], exec
	s_and_b64 s[40:41], s[22:23], exec
	s_andn2_b64 s[10:11], s[10:11], exec
	s_or_b64 s[26:27], s[26:27], s[34:35]
	s_or_b64 s[20:21], s[20:21], s[40:41]
	;; [unrolled: 1-line block ×3, first 2 shown]
	s_andn2_b64 exec, exec, s[12:13]
	s_cbranch_execz .LBB9_137
.LBB9_135:                              ; =>This Inner Loop Header: Depth=1
	global_load_ubyte v27, v[22:23], off
	global_load_ubyte v35, v[24:25], off
	s_or_b64 s[22:23], s[22:23], exec
	s_or_b64 s[24:25], s[24:25], exec
	s_waitcnt vmcnt(0)
	v_cmp_lt_u16_sdwa s[34:35], v27, v35 src0_sel:BYTE_0 src1_sel:BYTE_0
	v_cmp_le_u16_sdwa s[40:41], v27, v35 src0_sel:BYTE_0 src1_sel:BYTE_0
	v_cmp_eq_u16_sdwa s[44:45], v27, v35 src0_sel:BYTE_0 src1_sel:BYTE_0
	s_and_saveexec_b64 s[42:43], s[44:45]
	s_cbranch_execz .LBB9_134
; %bb.136:                              ;   in Loop: Header=BB9_135 Depth=1
	s_add_u32 s28, s28, -1
	s_addc_u32 s29, s29, -1
	s_cmp_eq_u64 s[28:29], 0
	s_cselect_b64 s[44:45], -1, 0
	s_andn2_b64 s[24:25], s[24:25], exec
	s_and_b64 s[44:45], s[44:45], exec
	v_lshl_add_u64 v[22:23], v[22:23], 0, 1
	v_lshl_add_u64 v[24:25], v[24:25], 0, 1
	s_andn2_b64 s[22:23], s[22:23], exec
	s_or_b64 s[24:25], s[24:25], s[44:45]
	s_branch .LBB9_134
.LBB9_137:
	s_or_b64 exec, exec, s[12:13]
	s_and_saveexec_b64 s[12:13], s[20:21]
	s_xor_b64 s[12:13], exec, s[12:13]
; %bb.138:
	v_cndmask_b32_e64 v23, v13, v7, s[10:11]
	v_cndmask_b32_e64 v22, v12, v6, s[10:11]
	v_cndmask_b32_e64 v7, v7, v13, s[10:11]
	v_cndmask_b32_e64 v6, v6, v12, s[10:11]
	v_mov_b64_e32 v[12:13], v[22:23]
; %bb.139:
	s_or_b64 exec, exec, s[12:13]
	v_mov_b64_e32 v[24:25], s[38:39]
	v_mad_u64_u32 v[22:23], s[10:11], v2, s36, v[24:25]
	v_mul_lo_u32 v27, v2, s37
	v_mul_lo_u32 v35, v3, s36
	v_add3_u32 v23, v35, v23, v27
	v_mad_u64_u32 v[24:25], s[10:11], v8, s36, v[24:25]
	v_mul_lo_u32 v27, v8, s37
	v_mul_lo_u32 v35, v9, s36
	v_add3_u32 v25, v35, v25, v27
	s_mov_b64 s[12:13], 0
	s_mov_b64 s[28:29], s[36:37]
                                        ; implicit-def: $sgpr10_sgpr11
                                        ; implicit-def: $sgpr20_sgpr21
                                        ; implicit-def: $sgpr24_sgpr25
                                        ; implicit-def: $sgpr22_sgpr23
                                        ; implicit-def: $sgpr26_sgpr27
	s_branch .LBB9_141
.LBB9_140:                              ;   in Loop: Header=BB9_141 Depth=1
	s_or_b64 exec, exec, s[42:43]
	s_and_b64 s[40:41], s[40:41], s[26:27]
	s_or_b64 s[34:35], s[34:35], s[40:41]
	s_and_b64 s[40:41], exec, s[24:25]
	s_or_b64 s[12:13], s[40:41], s[12:13]
	s_andn2_b64 s[26:27], s[26:27], exec
	s_and_b64 s[34:35], s[34:35], exec
	s_andn2_b64 s[20:21], s[20:21], exec
	s_and_b64 s[40:41], s[22:23], exec
	s_andn2_b64 s[10:11], s[10:11], exec
	s_or_b64 s[26:27], s[26:27], s[34:35]
	s_or_b64 s[20:21], s[20:21], s[40:41]
	;; [unrolled: 1-line block ×3, first 2 shown]
	s_andn2_b64 exec, exec, s[12:13]
	s_cbranch_execz .LBB9_143
.LBB9_141:                              ; =>This Inner Loop Header: Depth=1
	global_load_ubyte v27, v[22:23], off
	global_load_ubyte v35, v[24:25], off
	s_or_b64 s[22:23], s[22:23], exec
	s_or_b64 s[24:25], s[24:25], exec
	s_waitcnt vmcnt(0)
	v_cmp_lt_u16_sdwa s[34:35], v27, v35 src0_sel:BYTE_0 src1_sel:BYTE_0
	v_cmp_le_u16_sdwa s[40:41], v27, v35 src0_sel:BYTE_0 src1_sel:BYTE_0
	v_cmp_eq_u16_sdwa s[44:45], v27, v35 src0_sel:BYTE_0 src1_sel:BYTE_0
	s_and_saveexec_b64 s[42:43], s[44:45]
	s_cbranch_execz .LBB9_140
; %bb.142:                              ;   in Loop: Header=BB9_141 Depth=1
	s_add_u32 s28, s28, -1
	s_addc_u32 s29, s29, -1
	s_cmp_eq_u64 s[28:29], 0
	s_cselect_b64 s[44:45], -1, 0
	s_andn2_b64 s[24:25], s[24:25], exec
	s_and_b64 s[44:45], s[44:45], exec
	v_lshl_add_u64 v[22:23], v[22:23], 0, 1
	v_lshl_add_u64 v[24:25], v[24:25], 0, 1
	s_andn2_b64 s[22:23], s[22:23], exec
	s_or_b64 s[24:25], s[24:25], s[44:45]
	s_branch .LBB9_140
.LBB9_143:
	s_or_b64 exec, exec, s[12:13]
	s_and_saveexec_b64 s[12:13], s[20:21]
	s_xor_b64 s[12:13], exec, s[12:13]
; %bb.144:
	v_cndmask_b32_e64 v23, v9, v3, s[10:11]
	v_cndmask_b32_e64 v22, v8, v2, s[10:11]
	;; [unrolled: 1-line block ×4, first 2 shown]
	v_mov_b64_e32 v[8:9], v[22:23]
; %bb.145:
	s_or_b64 exec, exec, s[12:13]
	v_mov_b64_e32 v[24:25], s[38:39]
	v_mad_u64_u32 v[22:23], s[10:11], v16, s36, v[24:25]
	v_mul_lo_u32 v27, v16, s37
	v_mul_lo_u32 v35, v17, s36
	v_add3_u32 v23, v35, v23, v27
	v_mad_u64_u32 v[24:25], s[10:11], v14, s36, v[24:25]
	v_mul_lo_u32 v27, v14, s37
	v_mul_lo_u32 v35, v15, s36
	v_add3_u32 v25, v35, v25, v27
	s_mov_b64 s[12:13], 0
	s_mov_b64 s[28:29], s[36:37]
                                        ; implicit-def: $sgpr10_sgpr11
                                        ; implicit-def: $sgpr20_sgpr21
                                        ; implicit-def: $sgpr24_sgpr25
                                        ; implicit-def: $sgpr22_sgpr23
                                        ; implicit-def: $sgpr26_sgpr27
	s_branch .LBB9_147
.LBB9_146:                              ;   in Loop: Header=BB9_147 Depth=1
	s_or_b64 exec, exec, s[42:43]
	s_and_b64 s[40:41], s[40:41], s[26:27]
	s_or_b64 s[34:35], s[34:35], s[40:41]
	s_and_b64 s[40:41], exec, s[24:25]
	s_or_b64 s[12:13], s[40:41], s[12:13]
	s_andn2_b64 s[26:27], s[26:27], exec
	s_and_b64 s[34:35], s[34:35], exec
	s_andn2_b64 s[20:21], s[20:21], exec
	s_and_b64 s[40:41], s[22:23], exec
	s_andn2_b64 s[10:11], s[10:11], exec
	s_or_b64 s[26:27], s[26:27], s[34:35]
	s_or_b64 s[20:21], s[20:21], s[40:41]
	s_or_b64 s[10:11], s[10:11], s[34:35]
	s_andn2_b64 exec, exec, s[12:13]
	s_cbranch_execz .LBB9_149
.LBB9_147:                              ; =>This Inner Loop Header: Depth=1
	global_load_ubyte v27, v[22:23], off
	global_load_ubyte v35, v[24:25], off
	s_or_b64 s[22:23], s[22:23], exec
	s_or_b64 s[24:25], s[24:25], exec
	s_waitcnt vmcnt(0)
	v_cmp_lt_u16_sdwa s[34:35], v27, v35 src0_sel:BYTE_0 src1_sel:BYTE_0
	v_cmp_le_u16_sdwa s[40:41], v27, v35 src0_sel:BYTE_0 src1_sel:BYTE_0
	v_cmp_eq_u16_sdwa s[44:45], v27, v35 src0_sel:BYTE_0 src1_sel:BYTE_0
	s_and_saveexec_b64 s[42:43], s[44:45]
	s_cbranch_execz .LBB9_146
; %bb.148:                              ;   in Loop: Header=BB9_147 Depth=1
	s_add_u32 s28, s28, -1
	s_addc_u32 s29, s29, -1
	s_cmp_eq_u64 s[28:29], 0
	s_cselect_b64 s[44:45], -1, 0
	s_andn2_b64 s[24:25], s[24:25], exec
	s_and_b64 s[44:45], s[44:45], exec
	v_lshl_add_u64 v[22:23], v[22:23], 0, 1
	v_lshl_add_u64 v[24:25], v[24:25], 0, 1
	s_andn2_b64 s[22:23], s[22:23], exec
	s_or_b64 s[24:25], s[24:25], s[44:45]
	s_branch .LBB9_146
.LBB9_149:
	s_or_b64 exec, exec, s[12:13]
	s_and_saveexec_b64 s[12:13], s[20:21]
	s_xor_b64 s[12:13], exec, s[12:13]
; %bb.150:
	v_cndmask_b32_e64 v23, v17, v15, s[10:11]
	v_cndmask_b32_e64 v22, v16, v14, s[10:11]
	;; [unrolled: 1-line block ×4, first 2 shown]
	v_mov_b64_e32 v[16:17], v[22:23]
; %bb.151:
	s_or_b64 exec, exec, s[12:13]
	v_mov_b64_e32 v[24:25], s[38:39]
	v_mad_u64_u32 v[22:23], s[10:11], v12, s36, v[24:25]
	v_mul_lo_u32 v27, v12, s37
	v_mul_lo_u32 v35, v13, s36
	v_add3_u32 v23, v35, v23, v27
	v_mad_u64_u32 v[24:25], s[10:11], v10, s36, v[24:25]
	v_mul_lo_u32 v27, v10, s37
	v_mul_lo_u32 v35, v11, s36
	v_add3_u32 v25, v35, v25, v27
	s_mov_b64 s[12:13], 0
	s_mov_b64 s[28:29], s[36:37]
                                        ; implicit-def: $sgpr10_sgpr11
                                        ; implicit-def: $sgpr20_sgpr21
                                        ; implicit-def: $sgpr24_sgpr25
                                        ; implicit-def: $sgpr22_sgpr23
                                        ; implicit-def: $sgpr26_sgpr27
	s_branch .LBB9_153
.LBB9_152:                              ;   in Loop: Header=BB9_153 Depth=1
	s_or_b64 exec, exec, s[42:43]
	s_and_b64 s[40:41], s[40:41], s[26:27]
	s_or_b64 s[34:35], s[34:35], s[40:41]
	s_and_b64 s[40:41], exec, s[24:25]
	s_or_b64 s[12:13], s[40:41], s[12:13]
	s_andn2_b64 s[26:27], s[26:27], exec
	s_and_b64 s[34:35], s[34:35], exec
	s_andn2_b64 s[20:21], s[20:21], exec
	s_and_b64 s[40:41], s[22:23], exec
	s_andn2_b64 s[10:11], s[10:11], exec
	s_or_b64 s[26:27], s[26:27], s[34:35]
	s_or_b64 s[20:21], s[20:21], s[40:41]
	;; [unrolled: 1-line block ×3, first 2 shown]
	s_andn2_b64 exec, exec, s[12:13]
	s_cbranch_execz .LBB9_155
.LBB9_153:                              ; =>This Inner Loop Header: Depth=1
	global_load_ubyte v27, v[22:23], off
	global_load_ubyte v35, v[24:25], off
	s_or_b64 s[22:23], s[22:23], exec
	s_or_b64 s[24:25], s[24:25], exec
	s_waitcnt vmcnt(0)
	v_cmp_lt_u16_sdwa s[34:35], v27, v35 src0_sel:BYTE_0 src1_sel:BYTE_0
	v_cmp_le_u16_sdwa s[40:41], v27, v35 src0_sel:BYTE_0 src1_sel:BYTE_0
	v_cmp_eq_u16_sdwa s[44:45], v27, v35 src0_sel:BYTE_0 src1_sel:BYTE_0
	s_and_saveexec_b64 s[42:43], s[44:45]
	s_cbranch_execz .LBB9_152
; %bb.154:                              ;   in Loop: Header=BB9_153 Depth=1
	s_add_u32 s28, s28, -1
	s_addc_u32 s29, s29, -1
	s_cmp_eq_u64 s[28:29], 0
	s_cselect_b64 s[44:45], -1, 0
	s_andn2_b64 s[24:25], s[24:25], exec
	s_and_b64 s[44:45], s[44:45], exec
	v_lshl_add_u64 v[22:23], v[22:23], 0, 1
	v_lshl_add_u64 v[24:25], v[24:25], 0, 1
	s_andn2_b64 s[22:23], s[22:23], exec
	s_or_b64 s[24:25], s[24:25], s[44:45]
	s_branch .LBB9_152
.LBB9_155:
	s_or_b64 exec, exec, s[12:13]
	s_and_saveexec_b64 s[12:13], s[20:21]
	s_xor_b64 s[12:13], exec, s[12:13]
; %bb.156:
	v_cndmask_b32_e64 v23, v11, v13, s[10:11]
	v_cndmask_b32_e64 v22, v10, v12, s[10:11]
	;; [unrolled: 1-line block ×4, first 2 shown]
	v_mov_b64_e32 v[10:11], v[22:23]
; %bb.157:
	s_or_b64 exec, exec, s[12:13]
	v_mov_b64_e32 v[24:25], s[38:39]
	v_mad_u64_u32 v[22:23], s[10:11], v8, s36, v[24:25]
	v_mul_lo_u32 v27, v8, s37
	v_mul_lo_u32 v35, v9, s36
	v_add3_u32 v23, v35, v23, v27
	v_mad_u64_u32 v[24:25], s[10:11], v6, s36, v[24:25]
	v_mul_lo_u32 v27, v6, s37
	v_mul_lo_u32 v35, v7, s36
	v_add3_u32 v25, v35, v25, v27
	s_mov_b64 s[12:13], 0
	s_mov_b64 s[28:29], s[36:37]
                                        ; implicit-def: $sgpr10_sgpr11
                                        ; implicit-def: $sgpr20_sgpr21
                                        ; implicit-def: $sgpr24_sgpr25
                                        ; implicit-def: $sgpr22_sgpr23
                                        ; implicit-def: $sgpr26_sgpr27
	s_branch .LBB9_159
.LBB9_158:                              ;   in Loop: Header=BB9_159 Depth=1
	s_or_b64 exec, exec, s[42:43]
	s_and_b64 s[40:41], s[40:41], s[26:27]
	s_or_b64 s[34:35], s[34:35], s[40:41]
	s_and_b64 s[40:41], exec, s[24:25]
	s_or_b64 s[12:13], s[40:41], s[12:13]
	s_andn2_b64 s[26:27], s[26:27], exec
	s_and_b64 s[34:35], s[34:35], exec
	s_andn2_b64 s[20:21], s[20:21], exec
	s_and_b64 s[40:41], s[22:23], exec
	s_andn2_b64 s[10:11], s[10:11], exec
	s_or_b64 s[26:27], s[26:27], s[34:35]
	s_or_b64 s[20:21], s[20:21], s[40:41]
	s_or_b64 s[10:11], s[10:11], s[34:35]
	s_andn2_b64 exec, exec, s[12:13]
	s_cbranch_execz .LBB9_161
.LBB9_159:                              ; =>This Inner Loop Header: Depth=1
	global_load_ubyte v27, v[22:23], off
	global_load_ubyte v35, v[24:25], off
	s_or_b64 s[22:23], s[22:23], exec
	s_or_b64 s[24:25], s[24:25], exec
	s_waitcnt vmcnt(0)
	v_cmp_lt_u16_sdwa s[34:35], v27, v35 src0_sel:BYTE_0 src1_sel:BYTE_0
	v_cmp_le_u16_sdwa s[40:41], v27, v35 src0_sel:BYTE_0 src1_sel:BYTE_0
	v_cmp_eq_u16_sdwa s[44:45], v27, v35 src0_sel:BYTE_0 src1_sel:BYTE_0
	s_and_saveexec_b64 s[42:43], s[44:45]
	s_cbranch_execz .LBB9_158
; %bb.160:                              ;   in Loop: Header=BB9_159 Depth=1
	s_add_u32 s28, s28, -1
	s_addc_u32 s29, s29, -1
	s_cmp_eq_u64 s[28:29], 0
	s_cselect_b64 s[44:45], -1, 0
	s_andn2_b64 s[24:25], s[24:25], exec
	s_and_b64 s[44:45], s[44:45], exec
	v_lshl_add_u64 v[22:23], v[22:23], 0, 1
	v_lshl_add_u64 v[24:25], v[24:25], 0, 1
	s_andn2_b64 s[22:23], s[22:23], exec
	s_or_b64 s[24:25], s[24:25], s[44:45]
	s_branch .LBB9_158
.LBB9_161:
	s_or_b64 exec, exec, s[12:13]
	s_and_saveexec_b64 s[12:13], s[20:21]
	s_xor_b64 s[12:13], exec, s[12:13]
; %bb.162:
	v_cndmask_b32_e64 v23, v7, v9, s[10:11]
	v_cndmask_b32_e64 v22, v6, v8, s[10:11]
	;; [unrolled: 1-line block ×4, first 2 shown]
	v_mov_b64_e32 v[6:7], v[22:23]
; %bb.163:
	s_or_b64 exec, exec, s[12:13]
	v_mov_b64_e32 v[24:25], s[38:39]
	v_mad_u64_u32 v[22:23], s[10:11], v4, s36, v[24:25]
	v_mul_lo_u32 v27, v4, s37
	v_mul_lo_u32 v35, v5, s36
	v_add3_u32 v23, v35, v23, v27
	v_mad_u64_u32 v[24:25], s[10:11], v2, s36, v[24:25]
	v_mul_lo_u32 v27, v2, s37
	v_mul_lo_u32 v35, v3, s36
	v_add3_u32 v25, v35, v25, v27
	s_mov_b64 s[12:13], 0
	s_mov_b64 s[28:29], s[36:37]
                                        ; implicit-def: $sgpr10_sgpr11
                                        ; implicit-def: $sgpr20_sgpr21
                                        ; implicit-def: $sgpr24_sgpr25
                                        ; implicit-def: $sgpr22_sgpr23
                                        ; implicit-def: $sgpr26_sgpr27
	s_branch .LBB9_165
.LBB9_164:                              ;   in Loop: Header=BB9_165 Depth=1
	s_or_b64 exec, exec, s[42:43]
	s_and_b64 s[40:41], s[40:41], s[26:27]
	s_or_b64 s[34:35], s[34:35], s[40:41]
	s_and_b64 s[40:41], exec, s[24:25]
	s_or_b64 s[12:13], s[40:41], s[12:13]
	s_andn2_b64 s[26:27], s[26:27], exec
	s_and_b64 s[34:35], s[34:35], exec
	s_andn2_b64 s[20:21], s[20:21], exec
	s_and_b64 s[40:41], s[22:23], exec
	s_andn2_b64 s[10:11], s[10:11], exec
	s_or_b64 s[26:27], s[26:27], s[34:35]
	s_or_b64 s[20:21], s[20:21], s[40:41]
	;; [unrolled: 1-line block ×3, first 2 shown]
	s_andn2_b64 exec, exec, s[12:13]
	s_cbranch_execz .LBB9_167
.LBB9_165:                              ; =>This Inner Loop Header: Depth=1
	global_load_ubyte v27, v[22:23], off
	global_load_ubyte v35, v[24:25], off
	s_or_b64 s[22:23], s[22:23], exec
	s_or_b64 s[24:25], s[24:25], exec
	s_waitcnt vmcnt(0)
	v_cmp_lt_u16_sdwa s[34:35], v27, v35 src0_sel:BYTE_0 src1_sel:BYTE_0
	v_cmp_le_u16_sdwa s[40:41], v27, v35 src0_sel:BYTE_0 src1_sel:BYTE_0
	v_cmp_eq_u16_sdwa s[44:45], v27, v35 src0_sel:BYTE_0 src1_sel:BYTE_0
	s_and_saveexec_b64 s[42:43], s[44:45]
	s_cbranch_execz .LBB9_164
; %bb.166:                              ;   in Loop: Header=BB9_165 Depth=1
	s_add_u32 s28, s28, -1
	s_addc_u32 s29, s29, -1
	s_cmp_eq_u64 s[28:29], 0
	s_cselect_b64 s[44:45], -1, 0
	s_andn2_b64 s[24:25], s[24:25], exec
	s_and_b64 s[44:45], s[44:45], exec
	v_lshl_add_u64 v[22:23], v[22:23], 0, 1
	v_lshl_add_u64 v[24:25], v[24:25], 0, 1
	s_andn2_b64 s[22:23], s[22:23], exec
	s_or_b64 s[24:25], s[24:25], s[44:45]
	s_branch .LBB9_164
.LBB9_167:
	s_or_b64 exec, exec, s[12:13]
	s_and_saveexec_b64 s[12:13], s[20:21]
	s_xor_b64 s[12:13], exec, s[12:13]
; %bb.168:
	v_cndmask_b32_e64 v23, v3, v5, s[10:11]
	v_cndmask_b32_e64 v22, v2, v4, s[10:11]
	;; [unrolled: 1-line block ×4, first 2 shown]
	v_mov_b64_e32 v[2:3], v[22:23]
; %bb.169:
	s_or_b64 exec, exec, s[12:13]
	v_mov_b64_e32 v[24:25], s[38:39]
	v_mad_u64_u32 v[22:23], s[10:11], v10, s36, v[24:25]
	v_mul_lo_u32 v27, v10, s37
	v_mul_lo_u32 v35, v11, s36
	v_add3_u32 v23, v35, v23, v27
	v_mad_u64_u32 v[24:25], s[10:11], v16, s36, v[24:25]
	v_mul_lo_u32 v27, v16, s37
	v_mul_lo_u32 v35, v17, s36
	v_add3_u32 v25, v35, v25, v27
	s_mov_b64 s[12:13], 0
	s_mov_b64 s[28:29], s[36:37]
                                        ; implicit-def: $sgpr10_sgpr11
                                        ; implicit-def: $sgpr20_sgpr21
                                        ; implicit-def: $sgpr24_sgpr25
                                        ; implicit-def: $sgpr22_sgpr23
                                        ; implicit-def: $sgpr26_sgpr27
	s_branch .LBB9_171
.LBB9_170:                              ;   in Loop: Header=BB9_171 Depth=1
	s_or_b64 exec, exec, s[42:43]
	s_and_b64 s[40:41], s[40:41], s[26:27]
	s_or_b64 s[34:35], s[34:35], s[40:41]
	s_and_b64 s[40:41], exec, s[24:25]
	s_or_b64 s[12:13], s[40:41], s[12:13]
	s_andn2_b64 s[26:27], s[26:27], exec
	s_and_b64 s[34:35], s[34:35], exec
	s_andn2_b64 s[20:21], s[20:21], exec
	s_and_b64 s[40:41], s[22:23], exec
	s_andn2_b64 s[10:11], s[10:11], exec
	s_or_b64 s[26:27], s[26:27], s[34:35]
	s_or_b64 s[20:21], s[20:21], s[40:41]
	;; [unrolled: 1-line block ×3, first 2 shown]
	s_andn2_b64 exec, exec, s[12:13]
	s_cbranch_execz .LBB9_173
.LBB9_171:                              ; =>This Inner Loop Header: Depth=1
	global_load_ubyte v27, v[22:23], off
	global_load_ubyte v35, v[24:25], off
	s_or_b64 s[22:23], s[22:23], exec
	s_or_b64 s[24:25], s[24:25], exec
	s_waitcnt vmcnt(0)
	v_cmp_lt_u16_sdwa s[34:35], v27, v35 src0_sel:BYTE_0 src1_sel:BYTE_0
	v_cmp_le_u16_sdwa s[40:41], v27, v35 src0_sel:BYTE_0 src1_sel:BYTE_0
	v_cmp_eq_u16_sdwa s[44:45], v27, v35 src0_sel:BYTE_0 src1_sel:BYTE_0
	s_and_saveexec_b64 s[42:43], s[44:45]
	s_cbranch_execz .LBB9_170
; %bb.172:                              ;   in Loop: Header=BB9_171 Depth=1
	s_add_u32 s28, s28, -1
	s_addc_u32 s29, s29, -1
	s_cmp_eq_u64 s[28:29], 0
	s_cselect_b64 s[44:45], -1, 0
	s_andn2_b64 s[24:25], s[24:25], exec
	s_and_b64 s[44:45], s[44:45], exec
	v_lshl_add_u64 v[22:23], v[22:23], 0, 1
	v_lshl_add_u64 v[24:25], v[24:25], 0, 1
	s_andn2_b64 s[22:23], s[22:23], exec
	s_or_b64 s[24:25], s[24:25], s[44:45]
	s_branch .LBB9_170
.LBB9_173:
	s_or_b64 exec, exec, s[12:13]
	s_and_saveexec_b64 s[12:13], s[20:21]
	s_xor_b64 s[12:13], exec, s[12:13]
; %bb.174:
	v_cndmask_b32_e64 v23, v17, v11, s[10:11]
	v_cndmask_b32_e64 v22, v16, v10, s[10:11]
	;; [unrolled: 1-line block ×4, first 2 shown]
	v_mov_b64_e32 v[16:17], v[22:23]
; %bb.175:
	s_or_b64 exec, exec, s[12:13]
	v_mov_b64_e32 v[24:25], s[38:39]
	v_mad_u64_u32 v[22:23], s[10:11], v6, s36, v[24:25]
	v_mul_lo_u32 v27, v6, s37
	v_mul_lo_u32 v35, v7, s36
	v_add3_u32 v23, v35, v23, v27
	v_mad_u64_u32 v[24:25], s[10:11], v12, s36, v[24:25]
	v_mul_lo_u32 v27, v12, s37
	v_mul_lo_u32 v35, v13, s36
	v_add3_u32 v25, v35, v25, v27
	s_mov_b64 s[12:13], 0
	s_mov_b64 s[28:29], s[36:37]
                                        ; implicit-def: $sgpr10_sgpr11
                                        ; implicit-def: $sgpr20_sgpr21
                                        ; implicit-def: $sgpr24_sgpr25
                                        ; implicit-def: $sgpr22_sgpr23
                                        ; implicit-def: $sgpr26_sgpr27
	s_branch .LBB9_177
.LBB9_176:                              ;   in Loop: Header=BB9_177 Depth=1
	s_or_b64 exec, exec, s[42:43]
	s_and_b64 s[40:41], s[40:41], s[26:27]
	s_or_b64 s[34:35], s[34:35], s[40:41]
	s_and_b64 s[40:41], exec, s[24:25]
	s_or_b64 s[12:13], s[40:41], s[12:13]
	s_andn2_b64 s[26:27], s[26:27], exec
	s_and_b64 s[34:35], s[34:35], exec
	s_andn2_b64 s[20:21], s[20:21], exec
	s_and_b64 s[40:41], s[22:23], exec
	s_andn2_b64 s[10:11], s[10:11], exec
	s_or_b64 s[26:27], s[26:27], s[34:35]
	s_or_b64 s[20:21], s[20:21], s[40:41]
	;; [unrolled: 1-line block ×3, first 2 shown]
	s_andn2_b64 exec, exec, s[12:13]
	s_cbranch_execz .LBB9_179
.LBB9_177:                              ; =>This Inner Loop Header: Depth=1
	global_load_ubyte v27, v[22:23], off
	global_load_ubyte v35, v[24:25], off
	s_or_b64 s[22:23], s[22:23], exec
	s_or_b64 s[24:25], s[24:25], exec
	s_waitcnt vmcnt(0)
	v_cmp_lt_u16_sdwa s[34:35], v27, v35 src0_sel:BYTE_0 src1_sel:BYTE_0
	v_cmp_le_u16_sdwa s[40:41], v27, v35 src0_sel:BYTE_0 src1_sel:BYTE_0
	v_cmp_eq_u16_sdwa s[44:45], v27, v35 src0_sel:BYTE_0 src1_sel:BYTE_0
	s_and_saveexec_b64 s[42:43], s[44:45]
	s_cbranch_execz .LBB9_176
; %bb.178:                              ;   in Loop: Header=BB9_177 Depth=1
	s_add_u32 s28, s28, -1
	s_addc_u32 s29, s29, -1
	s_cmp_eq_u64 s[28:29], 0
	s_cselect_b64 s[44:45], -1, 0
	s_andn2_b64 s[24:25], s[24:25], exec
	s_and_b64 s[44:45], s[44:45], exec
	v_lshl_add_u64 v[22:23], v[22:23], 0, 1
	v_lshl_add_u64 v[24:25], v[24:25], 0, 1
	s_andn2_b64 s[22:23], s[22:23], exec
	s_or_b64 s[24:25], s[24:25], s[44:45]
	s_branch .LBB9_176
.LBB9_179:
	s_or_b64 exec, exec, s[12:13]
	s_and_saveexec_b64 s[12:13], s[20:21]
	s_xor_b64 s[12:13], exec, s[12:13]
; %bb.180:
	v_cndmask_b32_e64 v23, v13, v7, s[10:11]
	v_cndmask_b32_e64 v22, v12, v6, s[10:11]
	;; [unrolled: 1-line block ×4, first 2 shown]
	v_mov_b64_e32 v[12:13], v[22:23]
; %bb.181:
	s_or_b64 exec, exec, s[12:13]
	v_mov_b64_e32 v[24:25], s[38:39]
	v_mad_u64_u32 v[22:23], s[10:11], v2, s36, v[24:25]
	v_mul_lo_u32 v27, v2, s37
	v_mul_lo_u32 v35, v3, s36
	v_add3_u32 v23, v35, v23, v27
	v_mad_u64_u32 v[24:25], s[10:11], v8, s36, v[24:25]
	v_mul_lo_u32 v27, v8, s37
	v_mul_lo_u32 v35, v9, s36
	v_add3_u32 v25, v35, v25, v27
	s_mov_b64 s[20:21], 0
	s_mov_b64 s[28:29], s[36:37]
                                        ; implicit-def: $sgpr10_sgpr11
                                        ; implicit-def: $sgpr12_sgpr13
                                        ; implicit-def: $sgpr24_sgpr25
                                        ; implicit-def: $sgpr22_sgpr23
                                        ; implicit-def: $sgpr26_sgpr27
	s_branch .LBB9_183
.LBB9_182:                              ;   in Loop: Header=BB9_183 Depth=1
	s_or_b64 exec, exec, s[42:43]
	s_and_b64 s[40:41], s[40:41], s[26:27]
	s_or_b64 s[34:35], s[34:35], s[40:41]
	s_and_b64 s[40:41], exec, s[24:25]
	s_or_b64 s[20:21], s[40:41], s[20:21]
	s_andn2_b64 s[26:27], s[26:27], exec
	s_and_b64 s[34:35], s[34:35], exec
	s_andn2_b64 s[12:13], s[12:13], exec
	s_and_b64 s[40:41], s[22:23], exec
	s_andn2_b64 s[10:11], s[10:11], exec
	s_or_b64 s[26:27], s[26:27], s[34:35]
	s_or_b64 s[12:13], s[12:13], s[40:41]
	;; [unrolled: 1-line block ×3, first 2 shown]
	s_andn2_b64 exec, exec, s[20:21]
	s_cbranch_execz .LBB9_185
.LBB9_183:                              ; =>This Inner Loop Header: Depth=1
	global_load_ubyte v27, v[22:23], off
	global_load_ubyte v35, v[24:25], off
	s_or_b64 s[22:23], s[22:23], exec
	s_or_b64 s[24:25], s[24:25], exec
	s_waitcnt vmcnt(0)
	v_cmp_lt_u16_sdwa s[34:35], v27, v35 src0_sel:BYTE_0 src1_sel:BYTE_0
	v_cmp_le_u16_sdwa s[40:41], v27, v35 src0_sel:BYTE_0 src1_sel:BYTE_0
	v_cmp_eq_u16_sdwa s[44:45], v27, v35 src0_sel:BYTE_0 src1_sel:BYTE_0
	s_and_saveexec_b64 s[42:43], s[44:45]
	s_cbranch_execz .LBB9_182
; %bb.184:                              ;   in Loop: Header=BB9_183 Depth=1
	s_add_u32 s28, s28, -1
	s_addc_u32 s29, s29, -1
	s_cmp_eq_u64 s[28:29], 0
	s_cselect_b64 s[44:45], -1, 0
	s_andn2_b64 s[24:25], s[24:25], exec
	s_and_b64 s[44:45], s[44:45], exec
	v_lshl_add_u64 v[22:23], v[22:23], 0, 1
	v_lshl_add_u64 v[24:25], v[24:25], 0, 1
	s_andn2_b64 s[22:23], s[22:23], exec
	s_or_b64 s[24:25], s[24:25], s[44:45]
	s_branch .LBB9_182
.LBB9_185:
	s_or_b64 exec, exec, s[20:21]
	s_and_saveexec_b64 s[20:21], s[12:13]
	s_xor_b64 s[12:13], exec, s[20:21]
; %bb.186:
	v_cndmask_b32_e64 v23, v9, v3, s[10:11]
	v_cndmask_b32_e64 v22, v8, v2, s[10:11]
	;; [unrolled: 1-line block ×4, first 2 shown]
	v_mov_b64_e32 v[8:9], v[22:23]
; %bb.187:
	s_or_b64 exec, exec, s[12:13]
.LBB9_188:
	s_or_b64 exec, exec, s[4:5]
	v_mbcnt_lo_u32_b32 v22, -1, 0
	v_mbcnt_hi_u32_b32 v22, -1, v22
	v_and_b32_e32 v23, 0xfffffe00, v26
	s_movk_i32 s3, 0x800
	v_lshlrev_b32_e32 v35, 3, v23
	v_lshlrev_b32_e32 v37, 3, v22
	v_sub_u32_e64 v36, s3, v23 clamp
	v_lshl_add_u32 v38, v22, 6, v35
	v_or_b32_e32 v22, 8, v37
	v_min_u32_e32 v26, v36, v22
	v_add_u32_e32 v22, 8, v26
	v_and_b32_e32 v41, 0x3f0, v37
	v_min_u32_e32 v27, v36, v22
	v_and_b32_e32 v22, 8, v37
	v_min_u32_e32 v42, v36, v22
	v_sub_u32_e32 v22, v26, v41
	v_sub_u32_e32 v23, v27, v26
	v_sub_u32_e64 v40, v42, v23 clamp
	v_min_u32_e32 v43, v42, v22
	v_lshl_add_u32 v39, v41, 3, v35
	v_cmp_lt_u32_e32 vcc, v40, v43
	ds_write_b128 v38, v[14:17]
	ds_write_b128 v38, v[10:13] offset:16
	ds_write_b128 v38, v[6:9] offset:32
	;; [unrolled: 1-line block ×3, first 2 shown]
	; wave barrier
	s_and_saveexec_b64 s[4:5], vcc
	s_cbranch_execz .LBB9_198
; %bb.189:
	v_lshlrev_b32_e32 v22, 3, v26
	v_lshlrev_b32_e32 v23, 3, v42
	v_add3_u32 v44, v35, v22, v23
	s_mov_b64 s[10:11], 0
	s_branch .LBB9_192
.LBB9_190:                              ;   in Loop: Header=BB9_192 Depth=1
	s_or_b64 exec, exec, s[20:21]
.LBB9_191:                              ;   in Loop: Header=BB9_192 Depth=1
	v_add_u32_e32 v22, 1, v45
	v_cndmask_b32_e64 v43, v43, v45, s[12:13]
	v_cndmask_b32_e64 v40, v22, v40, s[12:13]
	v_cmp_ge_u32_e32 vcc, v40, v43
	s_or_b64 s[10:11], vcc, s[10:11]
	s_andn2_b64 exec, exec, s[10:11]
	s_cbranch_execz .LBB9_197
.LBB9_192:                              ; =>This Loop Header: Depth=1
                                        ;     Child Loop BB9_195 Depth 2
	v_add_u32_e32 v22, v43, v40
	v_lshrrev_b32_e32 v45, 1, v22
	s_and_b64 vcc, exec, s[0:1]
	s_mov_b64 s[12:13], 0
	s_cbranch_vccnz .LBB9_191
; %bb.193:                              ;   in Loop: Header=BB9_192 Depth=1
	v_not_b32_e32 v22, v45
	v_lshl_add_u32 v22, v22, 3, v44
	ds_read_b64 v[22:23], v22
	v_lshl_add_u32 v46, v45, 3, v39
	ds_read_b64 v[46:47], v46
	v_mov_b64_e32 v[24:25], s[38:39]
	s_mov_b64 s[20:21], 0
	s_waitcnt lgkmcnt(1)
	v_mul_lo_u32 v48, v22, s37
	v_mul_lo_u32 v49, v23, s36
	v_mad_u64_u32 v[22:23], s[12:13], v22, s36, v[24:25]
	v_add3_u32 v23, v49, v23, v48
	s_waitcnt lgkmcnt(0)
	v_mul_lo_u32 v48, v46, s37
	v_mul_lo_u32 v47, v47, s36
	v_mad_u64_u32 v[24:25], s[12:13], v46, s36, v[24:25]
	v_add3_u32 v25, v47, v25, v48
	s_mov_b64 s[24:25], s[36:37]
                                        ; implicit-def: $sgpr12_sgpr13
                                        ; implicit-def: $sgpr22_sgpr23
                                        ; implicit-def: $sgpr26_sgpr27
                                        ; implicit-def: $sgpr28_sgpr29
	s_branch .LBB9_195
.LBB9_194:                              ;   in Loop: Header=BB9_195 Depth=2
	s_or_b64 exec, exec, s[40:41]
	s_and_b64 s[40:41], exec, s[22:23]
	s_or_b64 s[20:21], s[40:41], s[20:21]
	s_andn2_b64 s[28:29], s[28:29], exec
	s_and_b64 s[34:35], s[34:35], exec
	s_or_b64 s[28:29], s[28:29], s[34:35]
	s_andn2_b64 s[12:13], s[12:13], exec
	s_and_b64 s[34:35], s[26:27], exec
	s_or_b64 s[12:13], s[12:13], s[34:35]
	s_andn2_b64 exec, exec, s[20:21]
	s_cbranch_execz .LBB9_190
.LBB9_195:                              ;   Parent Loop BB9_192 Depth=1
                                        ; =>  This Inner Loop Header: Depth=2
	global_load_ubyte v46, v[22:23], off
	global_load_ubyte v47, v[24:25], off
	s_andn2_b64 s[26:27], s[26:27], exec
	s_or_b64 s[22:23], s[22:23], exec
	s_waitcnt vmcnt(0)
	v_cmp_le_u16_sdwa s[40:41], v46, v47 src0_sel:BYTE_0 src1_sel:BYTE_0
	v_cmp_lt_u16_sdwa s[34:35], v46, v47 src0_sel:BYTE_0 src1_sel:BYTE_0
	s_and_b64 s[40:41], s[40:41], s[28:29]
	s_or_b64 s[34:35], s[34:35], s[40:41]
	s_and_b64 s[40:41], s[34:35], exec
	v_cmp_eq_u16_sdwa s[42:43], v46, v47 src0_sel:BYTE_0 src1_sel:BYTE_0
	s_or_b64 s[26:27], s[26:27], s[40:41]
	s_and_saveexec_b64 s[40:41], s[42:43]
	s_cbranch_execz .LBB9_194
; %bb.196:                              ;   in Loop: Header=BB9_195 Depth=2
	s_add_u32 s24, s24, -1
	s_addc_u32 s25, s25, -1
	s_cmp_eq_u64 s[24:25], 0
	s_cselect_b64 s[28:29], -1, 0
	s_andn2_b64 s[22:23], s[22:23], exec
	s_and_b64 s[28:29], s[28:29], exec
	v_lshl_add_u64 v[22:23], v[22:23], 0, 1
	v_lshl_add_u64 v[24:25], v[24:25], 0, 1
	s_andn2_b64 s[26:27], s[26:27], exec
	s_or_b64 s[22:23], s[22:23], s[28:29]
                                        ; implicit-def: $sgpr28_sgpr29
	s_branch .LBB9_194
.LBB9_197:
	s_or_b64 exec, exec, s[10:11]
.LBB9_198:
	s_or_b64 exec, exec, s[4:5]
	v_add_u32_e32 v22, v26, v42
	v_add_u32_e32 v23, v40, v41
	v_sub_u32_e32 v24, v22, v40
	v_cmp_le_u32_e32 vcc, v23, v26
	v_cmp_le_u32_e64 s[4:5], v24, v27
	s_or_b64 s[4:5], vcc, s[4:5]
	s_and_saveexec_b64 s[10:11], s[4:5]
	s_cbranch_execz .LBB9_289
; %bb.199:
	v_cmp_ge_u32_e32 vcc, v23, v26
	v_cmp_lt_u32_e64 s[4:5], v23, v26
                                        ; implicit-def: $vgpr2_vgpr3
	s_and_saveexec_b64 s[12:13], s[4:5]
; %bb.200:
	v_lshl_add_u32 v2, v40, 3, v39
	ds_read_b64 v[2:3], v2
; %bb.201:
	s_or_b64 exec, exec, s[12:13]
	v_cmp_ge_u32_e64 s[12:13], v24, v27
	v_cmp_lt_u32_e64 s[4:5], v24, v27
                                        ; implicit-def: $vgpr4_vgpr5
	s_and_saveexec_b64 s[20:21], s[4:5]
; %bb.202:
	v_lshl_add_u32 v4, v24, 3, v35
	ds_read_b64 v[4:5], v4
; %bb.203:
	s_or_b64 exec, exec, s[20:21]
	s_nor_b64 s[20:21], vcc, s[12:13]
	s_and_saveexec_b64 s[4:5], s[20:21]
	s_cbranch_execz .LBB9_212
; %bb.204:
	s_and_b64 vcc, exec, s[0:1]
	s_cbranch_vccnz .LBB9_210
; %bb.205:
	v_mov_b64_e32 v[8:9], s[38:39]
	s_waitcnt lgkmcnt(0)
	v_mad_u64_u32 v[6:7], s[20:21], v4, s36, v[8:9]
	v_mul_lo_u32 v10, v4, s37
	v_mul_lo_u32 v11, v5, s36
	v_add3_u32 v7, v11, v7, v10
	v_mad_u64_u32 v[8:9], s[20:21], v2, s36, v[8:9]
	v_mul_lo_u32 v10, v2, s37
	v_mul_lo_u32 v11, v3, s36
	v_add3_u32 v9, v11, v9, v10
	s_mov_b64 s[20:21], 0
	s_mov_b64 s[26:27], s[36:37]
                                        ; implicit-def: $sgpr22_sgpr23
                                        ; implicit-def: $sgpr24_sgpr25
                                        ; implicit-def: $sgpr28_sgpr29
                                        ; implicit-def: $sgpr34_sgpr35
	s_branch .LBB9_207
.LBB9_206:                              ;   in Loop: Header=BB9_207 Depth=1
	s_or_b64 exec, exec, s[42:43]
	s_and_b64 s[42:43], exec, s[24:25]
	s_or_b64 s[20:21], s[42:43], s[20:21]
	s_andn2_b64 s[34:35], s[34:35], exec
	s_and_b64 s[40:41], s[40:41], exec
	s_or_b64 s[34:35], s[34:35], s[40:41]
	s_andn2_b64 s[22:23], s[22:23], exec
	s_and_b64 s[40:41], s[28:29], exec
	s_or_b64 s[22:23], s[22:23], s[40:41]
	s_andn2_b64 exec, exec, s[20:21]
	s_cbranch_execz .LBB9_209
.LBB9_207:                              ; =>This Inner Loop Header: Depth=1
	global_load_ubyte v10, v[6:7], off
	global_load_ubyte v11, v[8:9], off
	s_andn2_b64 s[28:29], s[28:29], exec
	s_or_b64 s[24:25], s[24:25], exec
	s_waitcnt vmcnt(0)
	v_cmp_le_u16_sdwa s[42:43], v10, v11 src0_sel:BYTE_0 src1_sel:BYTE_0
	v_cmp_lt_u16_sdwa s[40:41], v10, v11 src0_sel:BYTE_0 src1_sel:BYTE_0
	s_and_b64 s[42:43], s[42:43], s[34:35]
	s_or_b64 s[40:41], s[40:41], s[42:43]
	s_and_b64 s[42:43], s[40:41], exec
	v_cmp_eq_u16_sdwa s[44:45], v10, v11 src0_sel:BYTE_0 src1_sel:BYTE_0
	s_or_b64 s[28:29], s[28:29], s[42:43]
	s_and_saveexec_b64 s[42:43], s[44:45]
	s_cbranch_execz .LBB9_206
; %bb.208:                              ;   in Loop: Header=BB9_207 Depth=1
	s_add_u32 s26, s26, -1
	s_addc_u32 s27, s27, -1
	s_cmp_eq_u64 s[26:27], 0
	s_cselect_b64 s[34:35], -1, 0
	s_andn2_b64 s[24:25], s[24:25], exec
	s_and_b64 s[34:35], s[34:35], exec
	v_lshl_add_u64 v[6:7], v[6:7], 0, 1
	v_lshl_add_u64 v[8:9], v[8:9], 0, 1
	s_andn2_b64 s[28:29], s[28:29], exec
	s_or_b64 s[24:25], s[24:25], s[34:35]
                                        ; implicit-def: $sgpr34_sgpr35
	s_branch .LBB9_206
.LBB9_209:
	s_or_b64 exec, exec, s[20:21]
	s_xor_b64 s[20:21], s[22:23], -1
	s_branch .LBB9_211
.LBB9_210:
	s_mov_b64 s[20:21], -1
.LBB9_211:
	s_andn2_b64 s[12:13], s[12:13], exec
	s_and_b64 s[20:21], s[20:21], exec
	s_or_b64 s[12:13], s[12:13], s[20:21]
.LBB9_212:
	s_or_b64 exec, exec, s[4:5]
	v_cndmask_b32_e64 v6, v24, v23, s[12:13]
	v_cndmask_b32_e64 v7, v27, v26, s[12:13]
	v_add_u32_e32 v8, 1, v6
	v_add_u32_e32 v6, -1, v7
	v_min_u32_e32 v6, v8, v6
	v_lshl_add_u32 v6, v6, 3, v35
	ds_read_b64 v[6:7], v6
	v_cndmask_b32_e64 v12, v8, v24, s[12:13]
	v_cndmask_b32_e64 v13, v23, v8, s[12:13]
	v_cmp_lt_u32_e32 vcc, v12, v27
	s_mov_b64 s[20:21], -1
	s_waitcnt lgkmcnt(0)
	v_cndmask_b32_e64 v14, v7, v5, s[12:13]
	v_cndmask_b32_e64 v15, v6, v4, s[12:13]
	;; [unrolled: 1-line block ×4, first 2 shown]
	s_mov_b64 s[4:5], -1
	s_and_saveexec_b64 s[22:23], vcc
	s_cbranch_execz .LBB9_223
; %bb.213:
	v_cmp_lt_u32_e32 vcc, v13, v26
	s_mov_b64 s[24:25], 0
	s_and_saveexec_b64 s[4:5], vcc
	s_cbranch_execz .LBB9_222
; %bb.214:
	s_and_b64 vcc, exec, s[0:1]
	s_cbranch_vccnz .LBB9_220
; %bb.215:
	v_mov_b64_e32 v[8:9], s[38:39]
	v_mad_u64_u32 v[6:7], s[24:25], v15, s36, v[8:9]
	v_mul_lo_u32 v10, v15, s37
	v_mul_lo_u32 v11, v14, s36
	v_add3_u32 v7, v11, v7, v10
	v_mad_u64_u32 v[8:9], s[24:25], v22, s36, v[8:9]
	v_mul_lo_u32 v10, v22, s37
	v_mul_lo_u32 v11, v16, s36
	v_add3_u32 v9, v11, v9, v10
	s_mov_b64 s[24:25], 0
	s_mov_b64 s[34:35], s[36:37]
                                        ; implicit-def: $sgpr26_sgpr27
                                        ; implicit-def: $sgpr28_sgpr29
                                        ; implicit-def: $sgpr40_sgpr41
                                        ; implicit-def: $sgpr42_sgpr43
	s_branch .LBB9_217
.LBB9_216:                              ;   in Loop: Header=BB9_217 Depth=1
	s_or_b64 exec, exec, s[46:47]
	s_and_b64 s[46:47], exec, s[28:29]
	s_or_b64 s[24:25], s[46:47], s[24:25]
	s_andn2_b64 s[42:43], s[42:43], exec
	s_and_b64 s[44:45], s[44:45], exec
	s_or_b64 s[42:43], s[42:43], s[44:45]
	s_andn2_b64 s[26:27], s[26:27], exec
	s_and_b64 s[44:45], s[40:41], exec
	s_or_b64 s[26:27], s[26:27], s[44:45]
	s_andn2_b64 exec, exec, s[24:25]
	s_cbranch_execz .LBB9_219
.LBB9_217:                              ; =>This Inner Loop Header: Depth=1
	global_load_ubyte v10, v[6:7], off
	global_load_ubyte v11, v[8:9], off
	s_andn2_b64 s[40:41], s[40:41], exec
	s_or_b64 s[28:29], s[28:29], exec
	s_waitcnt vmcnt(0)
	v_cmp_le_u16_sdwa s[46:47], v10, v11 src0_sel:BYTE_0 src1_sel:BYTE_0
	v_cmp_lt_u16_sdwa s[44:45], v10, v11 src0_sel:BYTE_0 src1_sel:BYTE_0
	s_and_b64 s[46:47], s[46:47], s[42:43]
	s_or_b64 s[44:45], s[44:45], s[46:47]
	s_and_b64 s[46:47], s[44:45], exec
	v_cmp_eq_u16_sdwa s[48:49], v10, v11 src0_sel:BYTE_0 src1_sel:BYTE_0
	s_or_b64 s[40:41], s[40:41], s[46:47]
	s_and_saveexec_b64 s[46:47], s[48:49]
	s_cbranch_execz .LBB9_216
; %bb.218:                              ;   in Loop: Header=BB9_217 Depth=1
	s_add_u32 s34, s34, -1
	s_addc_u32 s35, s35, -1
	s_cmp_eq_u64 s[34:35], 0
	s_cselect_b64 s[42:43], -1, 0
	s_andn2_b64 s[28:29], s[28:29], exec
	s_and_b64 s[42:43], s[42:43], exec
	v_lshl_add_u64 v[6:7], v[6:7], 0, 1
	v_lshl_add_u64 v[8:9], v[8:9], 0, 1
	s_andn2_b64 s[40:41], s[40:41], exec
	s_or_b64 s[28:29], s[28:29], s[42:43]
                                        ; implicit-def: $sgpr42_sgpr43
	s_branch .LBB9_216
.LBB9_219:
	s_or_b64 exec, exec, s[24:25]
	s_xor_b64 s[24:25], s[26:27], -1
	s_branch .LBB9_221
.LBB9_220:
	s_mov_b64 s[24:25], -1
.LBB9_221:
	s_and_b64 s[24:25], s[24:25], exec
.LBB9_222:
	s_or_b64 exec, exec, s[4:5]
	s_orn2_b64 s[4:5], s[24:25], exec
.LBB9_223:
	s_or_b64 exec, exec, s[22:23]
	v_cndmask_b32_e64 v6, v12, v13, s[4:5]
	v_cndmask_b32_e64 v7, v27, v26, s[4:5]
	v_add_u32_e32 v8, 1, v6
	v_add_u32_e32 v6, -1, v7
	v_min_u32_e32 v6, v8, v6
	v_lshl_add_u32 v6, v6, 3, v35
	ds_read_b64 v[6:7], v6
	v_cndmask_b32_e64 v39, v8, v12, s[4:5]
	v_cndmask_b32_e64 v40, v13, v8, s[4:5]
	v_cmp_lt_u32_e32 vcc, v39, v27
	s_waitcnt lgkmcnt(0)
	v_cndmask_b32_e64 v10, v7, v14, s[4:5]
	v_cndmask_b32_e64 v17, v6, v15, s[4:5]
	;; [unrolled: 1-line block ×4, first 2 shown]
	s_and_saveexec_b64 s[22:23], vcc
	s_cbranch_execz .LBB9_234
; %bb.224:
	v_cmp_lt_u32_e32 vcc, v40, v26
	s_mov_b64 s[24:25], 0
	s_and_saveexec_b64 s[20:21], vcc
	s_cbranch_execz .LBB9_233
; %bb.225:
	s_and_b64 vcc, exec, s[0:1]
	s_cbranch_vccnz .LBB9_231
; %bb.226:
	v_mov_b64_e32 v[8:9], s[38:39]
	v_mad_u64_u32 v[6:7], s[24:25], v17, s36, v[8:9]
	v_mul_lo_u32 v12, v17, s37
	v_mul_lo_u32 v13, v10, s36
	v_add3_u32 v7, v13, v7, v12
	v_mad_u64_u32 v[8:9], s[24:25], v23, s36, v[8:9]
	v_mul_lo_u32 v12, v23, s37
	v_mul_lo_u32 v13, v11, s36
	v_add3_u32 v9, v13, v9, v12
	s_mov_b64 s[24:25], 0
	s_mov_b64 s[34:35], s[36:37]
                                        ; implicit-def: $sgpr26_sgpr27
                                        ; implicit-def: $sgpr28_sgpr29
                                        ; implicit-def: $sgpr40_sgpr41
                                        ; implicit-def: $sgpr42_sgpr43
	s_branch .LBB9_228
.LBB9_227:                              ;   in Loop: Header=BB9_228 Depth=1
	s_or_b64 exec, exec, s[46:47]
	s_and_b64 s[46:47], exec, s[28:29]
	s_or_b64 s[24:25], s[46:47], s[24:25]
	s_andn2_b64 s[42:43], s[42:43], exec
	s_and_b64 s[44:45], s[44:45], exec
	s_or_b64 s[42:43], s[42:43], s[44:45]
	s_andn2_b64 s[26:27], s[26:27], exec
	s_and_b64 s[44:45], s[40:41], exec
	s_or_b64 s[26:27], s[26:27], s[44:45]
	s_andn2_b64 exec, exec, s[24:25]
	s_cbranch_execz .LBB9_230
.LBB9_228:                              ; =>This Inner Loop Header: Depth=1
	global_load_ubyte v12, v[6:7], off
	global_load_ubyte v13, v[8:9], off
	s_andn2_b64 s[40:41], s[40:41], exec
	s_or_b64 s[28:29], s[28:29], exec
	s_waitcnt vmcnt(0)
	v_cmp_le_u16_sdwa s[46:47], v12, v13 src0_sel:BYTE_0 src1_sel:BYTE_0
	v_cmp_lt_u16_sdwa s[44:45], v12, v13 src0_sel:BYTE_0 src1_sel:BYTE_0
	s_and_b64 s[46:47], s[46:47], s[42:43]
	s_or_b64 s[44:45], s[44:45], s[46:47]
	s_and_b64 s[46:47], s[44:45], exec
	v_cmp_eq_u16_sdwa s[48:49], v12, v13 src0_sel:BYTE_0 src1_sel:BYTE_0
	s_or_b64 s[40:41], s[40:41], s[46:47]
	s_and_saveexec_b64 s[46:47], s[48:49]
	s_cbranch_execz .LBB9_227
; %bb.229:                              ;   in Loop: Header=BB9_228 Depth=1
	s_add_u32 s34, s34, -1
	s_addc_u32 s35, s35, -1
	s_cmp_eq_u64 s[34:35], 0
	s_cselect_b64 s[42:43], -1, 0
	s_andn2_b64 s[28:29], s[28:29], exec
	s_and_b64 s[42:43], s[42:43], exec
	v_lshl_add_u64 v[6:7], v[6:7], 0, 1
	v_lshl_add_u64 v[8:9], v[8:9], 0, 1
	s_andn2_b64 s[40:41], s[40:41], exec
	s_or_b64 s[28:29], s[28:29], s[42:43]
                                        ; implicit-def: $sgpr42_sgpr43
	s_branch .LBB9_227
.LBB9_230:
	s_or_b64 exec, exec, s[24:25]
	s_xor_b64 s[24:25], s[26:27], -1
	s_branch .LBB9_232
.LBB9_231:
	s_mov_b64 s[24:25], -1
.LBB9_232:
	s_and_b64 s[24:25], s[24:25], exec
.LBB9_233:
	s_or_b64 exec, exec, s[20:21]
	s_orn2_b64 s[20:21], s[24:25], exec
.LBB9_234:
	s_or_b64 exec, exec, s[22:23]
	v_cndmask_b32_e64 v6, v39, v40, s[20:21]
	v_cndmask_b32_e64 v7, v27, v26, s[20:21]
	v_add_u32_e32 v8, 1, v6
	v_add_u32_e32 v6, -1, v7
	v_min_u32_e32 v6, v8, v6
	v_lshl_add_u32 v6, v6, 3, v35
	ds_read_b64 v[6:7], v6
	v_cndmask_b32_e64 v43, v8, v39, s[20:21]
	v_cndmask_b32_e64 v44, v40, v8, s[20:21]
	v_cmp_lt_u32_e32 vcc, v43, v27
	s_mov_b64 s[24:25], -1
	s_waitcnt lgkmcnt(0)
	v_cndmask_b32_e64 v12, v7, v10, s[20:21]
	v_cndmask_b32_e64 v24, v6, v17, s[20:21]
	;; [unrolled: 1-line block ×4, first 2 shown]
	s_mov_b64 s[22:23], -1
	s_and_saveexec_b64 s[26:27], vcc
	s_cbranch_execz .LBB9_245
; %bb.235:
	v_cmp_lt_u32_e32 vcc, v44, v26
	s_mov_b64 s[28:29], 0
	s_and_saveexec_b64 s[22:23], vcc
	s_cbranch_execz .LBB9_244
; %bb.236:
	s_and_b64 vcc, exec, s[0:1]
	s_cbranch_vccnz .LBB9_242
; %bb.237:
	v_mov_b64_e32 v[8:9], s[38:39]
	v_mad_u64_u32 v[6:7], s[28:29], v24, s36, v[8:9]
	v_mul_lo_u32 v39, v24, s37
	v_mul_lo_u32 v40, v12, s36
	v_add3_u32 v7, v40, v7, v39
	v_mad_u64_u32 v[8:9], s[28:29], v25, s36, v[8:9]
	v_mul_lo_u32 v39, v25, s37
	v_mul_lo_u32 v40, v13, s36
	v_add3_u32 v9, v40, v9, v39
	s_mov_b64 s[28:29], 0
	s_mov_b64 s[42:43], s[36:37]
                                        ; implicit-def: $sgpr34_sgpr35
                                        ; implicit-def: $sgpr40_sgpr41
                                        ; implicit-def: $sgpr44_sgpr45
                                        ; implicit-def: $sgpr46_sgpr47
	s_branch .LBB9_239
.LBB9_238:                              ;   in Loop: Header=BB9_239 Depth=1
	s_or_b64 exec, exec, s[50:51]
	s_and_b64 s[50:51], exec, s[40:41]
	s_or_b64 s[28:29], s[50:51], s[28:29]
	s_andn2_b64 s[46:47], s[46:47], exec
	s_and_b64 s[48:49], s[48:49], exec
	s_or_b64 s[46:47], s[46:47], s[48:49]
	s_andn2_b64 s[34:35], s[34:35], exec
	s_and_b64 s[48:49], s[44:45], exec
	s_or_b64 s[34:35], s[34:35], s[48:49]
	s_andn2_b64 exec, exec, s[28:29]
	s_cbranch_execz .LBB9_241
.LBB9_239:                              ; =>This Inner Loop Header: Depth=1
	global_load_ubyte v39, v[6:7], off
	global_load_ubyte v40, v[8:9], off
	s_andn2_b64 s[44:45], s[44:45], exec
	s_or_b64 s[40:41], s[40:41], exec
	s_waitcnt vmcnt(0)
	v_cmp_le_u16_sdwa s[50:51], v39, v40 src0_sel:BYTE_0 src1_sel:BYTE_0
	v_cmp_lt_u16_sdwa s[48:49], v39, v40 src0_sel:BYTE_0 src1_sel:BYTE_0
	s_and_b64 s[50:51], s[50:51], s[46:47]
	s_or_b64 s[48:49], s[48:49], s[50:51]
	s_and_b64 s[50:51], s[48:49], exec
	v_cmp_eq_u16_sdwa s[52:53], v39, v40 src0_sel:BYTE_0 src1_sel:BYTE_0
	s_or_b64 s[44:45], s[44:45], s[50:51]
	s_and_saveexec_b64 s[50:51], s[52:53]
	s_cbranch_execz .LBB9_238
; %bb.240:                              ;   in Loop: Header=BB9_239 Depth=1
	s_add_u32 s42, s42, -1
	s_addc_u32 s43, s43, -1
	s_cmp_eq_u64 s[42:43], 0
	s_cselect_b64 s[46:47], -1, 0
	s_andn2_b64 s[40:41], s[40:41], exec
	s_and_b64 s[46:47], s[46:47], exec
	v_lshl_add_u64 v[6:7], v[6:7], 0, 1
	v_lshl_add_u64 v[8:9], v[8:9], 0, 1
	s_andn2_b64 s[44:45], s[44:45], exec
	s_or_b64 s[40:41], s[40:41], s[46:47]
                                        ; implicit-def: $sgpr46_sgpr47
	s_branch .LBB9_238
.LBB9_241:
	s_or_b64 exec, exec, s[28:29]
	s_xor_b64 s[28:29], s[34:35], -1
	s_branch .LBB9_243
.LBB9_242:
	s_mov_b64 s[28:29], -1
.LBB9_243:
	s_and_b64 s[28:29], s[28:29], exec
.LBB9_244:
	s_or_b64 exec, exec, s[22:23]
	s_orn2_b64 s[22:23], s[28:29], exec
.LBB9_245:
	s_or_b64 exec, exec, s[26:27]
	v_cndmask_b32_e64 v6, v43, v44, s[22:23]
	v_cndmask_b32_e64 v7, v27, v26, s[22:23]
	v_add_u32_e32 v8, 1, v6
	v_add_u32_e32 v6, -1, v7
	v_min_u32_e32 v6, v8, v6
	v_lshl_add_u32 v6, v6, 3, v35
	ds_read_b64 v[6:7], v6
	v_cndmask_b32_e64 v47, v8, v43, s[22:23]
	v_cndmask_b32_e64 v48, v44, v8, s[22:23]
	v_cmp_lt_u32_e32 vcc, v47, v27
	s_waitcnt lgkmcnt(0)
	v_cndmask_b32_e64 v39, v7, v12, s[22:23]
	v_cndmask_b32_e64 v40, v6, v24, s[22:23]
	;; [unrolled: 1-line block ×4, first 2 shown]
	s_and_saveexec_b64 s[26:27], vcc
	s_cbranch_execz .LBB9_256
; %bb.246:
	v_cmp_lt_u32_e32 vcc, v48, v26
	s_mov_b64 s[28:29], 0
	s_and_saveexec_b64 s[24:25], vcc
	s_cbranch_execz .LBB9_255
; %bb.247:
	s_and_b64 vcc, exec, s[0:1]
	s_cbranch_vccnz .LBB9_253
; %bb.248:
	v_mov_b64_e32 v[8:9], s[38:39]
	v_mad_u64_u32 v[6:7], s[28:29], v40, s36, v[8:9]
	v_mul_lo_u32 v43, v40, s37
	v_mul_lo_u32 v44, v39, s36
	v_add3_u32 v7, v44, v7, v43
	v_mad_u64_u32 v[8:9], s[28:29], v42, s36, v[8:9]
	v_mul_lo_u32 v43, v42, s37
	v_mul_lo_u32 v44, v41, s36
	v_add3_u32 v9, v44, v9, v43
	s_mov_b64 s[28:29], 0
	s_mov_b64 s[42:43], s[36:37]
                                        ; implicit-def: $sgpr34_sgpr35
                                        ; implicit-def: $sgpr40_sgpr41
                                        ; implicit-def: $sgpr44_sgpr45
                                        ; implicit-def: $sgpr46_sgpr47
	s_branch .LBB9_250
.LBB9_249:                              ;   in Loop: Header=BB9_250 Depth=1
	s_or_b64 exec, exec, s[50:51]
	s_and_b64 s[50:51], exec, s[40:41]
	s_or_b64 s[28:29], s[50:51], s[28:29]
	s_andn2_b64 s[46:47], s[46:47], exec
	s_and_b64 s[48:49], s[48:49], exec
	s_or_b64 s[46:47], s[46:47], s[48:49]
	s_andn2_b64 s[34:35], s[34:35], exec
	s_and_b64 s[48:49], s[44:45], exec
	s_or_b64 s[34:35], s[34:35], s[48:49]
	s_andn2_b64 exec, exec, s[28:29]
	s_cbranch_execz .LBB9_252
.LBB9_250:                              ; =>This Inner Loop Header: Depth=1
	global_load_ubyte v43, v[6:7], off
	global_load_ubyte v44, v[8:9], off
	s_andn2_b64 s[44:45], s[44:45], exec
	s_or_b64 s[40:41], s[40:41], exec
	s_waitcnt vmcnt(0)
	v_cmp_le_u16_sdwa s[50:51], v43, v44 src0_sel:BYTE_0 src1_sel:BYTE_0
	v_cmp_lt_u16_sdwa s[48:49], v43, v44 src0_sel:BYTE_0 src1_sel:BYTE_0
	s_and_b64 s[50:51], s[50:51], s[46:47]
	s_or_b64 s[48:49], s[48:49], s[50:51]
	s_and_b64 s[50:51], s[48:49], exec
	v_cmp_eq_u16_sdwa s[52:53], v43, v44 src0_sel:BYTE_0 src1_sel:BYTE_0
	s_or_b64 s[44:45], s[44:45], s[50:51]
	s_and_saveexec_b64 s[50:51], s[52:53]
	s_cbranch_execz .LBB9_249
; %bb.251:                              ;   in Loop: Header=BB9_250 Depth=1
	s_add_u32 s42, s42, -1
	s_addc_u32 s43, s43, -1
	s_cmp_eq_u64 s[42:43], 0
	s_cselect_b64 s[46:47], -1, 0
	s_andn2_b64 s[40:41], s[40:41], exec
	s_and_b64 s[46:47], s[46:47], exec
	v_lshl_add_u64 v[6:7], v[6:7], 0, 1
	v_lshl_add_u64 v[8:9], v[8:9], 0, 1
	s_andn2_b64 s[44:45], s[44:45], exec
	s_or_b64 s[40:41], s[40:41], s[46:47]
                                        ; implicit-def: $sgpr46_sgpr47
	s_branch .LBB9_249
.LBB9_252:
	s_or_b64 exec, exec, s[28:29]
	s_xor_b64 s[28:29], s[34:35], -1
	s_branch .LBB9_254
.LBB9_253:
	s_mov_b64 s[28:29], -1
.LBB9_254:
	s_and_b64 s[28:29], s[28:29], exec
.LBB9_255:
	s_or_b64 exec, exec, s[24:25]
	s_orn2_b64 s[24:25], s[28:29], exec
.LBB9_256:
	s_or_b64 exec, exec, s[26:27]
	v_cndmask_b32_e64 v6, v47, v48, s[24:25]
	v_cndmask_b32_e64 v7, v27, v26, s[24:25]
	v_add_u32_e32 v8, 1, v6
	v_add_u32_e32 v6, -1, v7
	v_min_u32_e32 v6, v8, v6
	v_lshl_add_u32 v6, v6, 3, v35
	ds_read_b64 v[6:7], v6
	v_cndmask_b32_e64 v49, v8, v47, s[24:25]
	v_cndmask_b32_e64 v53, v48, v8, s[24:25]
	v_cmp_lt_u32_e32 vcc, v49, v27
	s_mov_b64 s[26:27], -1
	s_waitcnt lgkmcnt(0)
	v_cndmask_b32_e64 v43, v7, v39, s[24:25]
	v_cndmask_b32_e64 v44, v6, v40, s[24:25]
	;; [unrolled: 1-line block ×4, first 2 shown]
	s_mov_b64 s[28:29], -1
	s_and_saveexec_b64 s[34:35], vcc
	s_cbranch_execz .LBB9_267
; %bb.257:
	v_cmp_lt_u32_e32 vcc, v53, v26
	s_mov_b64 s[40:41], 0
	s_and_saveexec_b64 s[28:29], vcc
	s_cbranch_execz .LBB9_266
; %bb.258:
	s_and_b64 vcc, exec, s[0:1]
	s_cbranch_vccnz .LBB9_264
; %bb.259:
	v_mov_b64_e32 v[8:9], s[38:39]
	v_mad_u64_u32 v[6:7], s[40:41], v44, s36, v[8:9]
	v_mul_lo_u32 v47, v44, s37
	v_mul_lo_u32 v48, v43, s36
	v_add3_u32 v7, v48, v7, v47
	v_mad_u64_u32 v[8:9], s[40:41], v46, s36, v[8:9]
	v_mul_lo_u32 v47, v46, s37
	v_mul_lo_u32 v48, v45, s36
	v_add3_u32 v9, v48, v9, v47
	s_mov_b64 s[40:41], 0
	s_mov_b64 s[46:47], s[36:37]
                                        ; implicit-def: $sgpr42_sgpr43
                                        ; implicit-def: $sgpr44_sgpr45
                                        ; implicit-def: $sgpr48_sgpr49
                                        ; implicit-def: $sgpr50_sgpr51
	s_branch .LBB9_261
.LBB9_260:                              ;   in Loop: Header=BB9_261 Depth=1
	s_or_b64 exec, exec, s[54:55]
	s_and_b64 s[54:55], exec, s[44:45]
	s_or_b64 s[40:41], s[54:55], s[40:41]
	s_andn2_b64 s[50:51], s[50:51], exec
	s_and_b64 s[52:53], s[52:53], exec
	s_or_b64 s[50:51], s[50:51], s[52:53]
	s_andn2_b64 s[42:43], s[42:43], exec
	s_and_b64 s[52:53], s[48:49], exec
	s_or_b64 s[42:43], s[42:43], s[52:53]
	s_andn2_b64 exec, exec, s[40:41]
	s_cbranch_execz .LBB9_263
.LBB9_261:                              ; =>This Inner Loop Header: Depth=1
	global_load_ubyte v47, v[6:7], off
	global_load_ubyte v48, v[8:9], off
	s_andn2_b64 s[48:49], s[48:49], exec
	s_or_b64 s[44:45], s[44:45], exec
	s_waitcnt vmcnt(0)
	v_cmp_le_u16_sdwa s[54:55], v47, v48 src0_sel:BYTE_0 src1_sel:BYTE_0
	v_cmp_lt_u16_sdwa s[52:53], v47, v48 src0_sel:BYTE_0 src1_sel:BYTE_0
	s_and_b64 s[54:55], s[54:55], s[50:51]
	s_or_b64 s[52:53], s[52:53], s[54:55]
	s_and_b64 s[54:55], s[52:53], exec
	v_cmp_eq_u16_sdwa s[56:57], v47, v48 src0_sel:BYTE_0 src1_sel:BYTE_0
	s_or_b64 s[48:49], s[48:49], s[54:55]
	s_and_saveexec_b64 s[54:55], s[56:57]
	s_cbranch_execz .LBB9_260
; %bb.262:                              ;   in Loop: Header=BB9_261 Depth=1
	s_add_u32 s46, s46, -1
	s_addc_u32 s47, s47, -1
	s_cmp_eq_u64 s[46:47], 0
	s_cselect_b64 s[50:51], -1, 0
	s_andn2_b64 s[44:45], s[44:45], exec
	s_and_b64 s[50:51], s[50:51], exec
	v_lshl_add_u64 v[6:7], v[6:7], 0, 1
	v_lshl_add_u64 v[8:9], v[8:9], 0, 1
	s_andn2_b64 s[48:49], s[48:49], exec
	s_or_b64 s[44:45], s[44:45], s[50:51]
                                        ; implicit-def: $sgpr50_sgpr51
	s_branch .LBB9_260
.LBB9_263:
	s_or_b64 exec, exec, s[40:41]
	s_xor_b64 s[40:41], s[42:43], -1
	s_branch .LBB9_265
.LBB9_264:
	s_mov_b64 s[40:41], -1
.LBB9_265:
	s_and_b64 s[40:41], s[40:41], exec
.LBB9_266:
	s_or_b64 exec, exec, s[28:29]
	s_orn2_b64 s[28:29], s[40:41], exec
.LBB9_267:
	s_or_b64 exec, exec, s[34:35]
	v_cndmask_b32_e64 v6, v49, v53, s[28:29]
	v_cndmask_b32_e64 v7, v27, v26, s[28:29]
	v_add_u32_e32 v8, 1, v6
	v_add_u32_e32 v6, -1, v7
	v_min_u32_e32 v6, v8, v6
	v_lshl_add_u32 v6, v6, 3, v35
	ds_read_b64 v[6:7], v6
	v_cndmask_b32_e64 v50, v8, v49, s[28:29]
	v_cndmask_b32_e64 v49, v53, v8, s[28:29]
	v_cmp_lt_u32_e32 vcc, v50, v27
	s_waitcnt lgkmcnt(0)
	v_cndmask_b32_e64 v47, v7, v43, s[28:29]
	v_cndmask_b32_e64 v48, v6, v44, s[28:29]
	;; [unrolled: 1-line block ×4, first 2 shown]
	s_and_saveexec_b64 s[34:35], vcc
	s_cbranch_execz .LBB9_278
; %bb.268:
	v_cmp_lt_u32_e32 vcc, v49, v26
	s_mov_b64 s[40:41], 0
	s_and_saveexec_b64 s[26:27], vcc
	s_cbranch_execz .LBB9_277
; %bb.269:
	s_and_b64 vcc, exec, s[0:1]
	s_cbranch_vccnz .LBB9_275
; %bb.270:
	v_mov_b64_e32 v[8:9], s[38:39]
	v_mad_u64_u32 v[6:7], s[40:41], v48, s36, v[8:9]
	v_mul_lo_u32 v53, v48, s37
	v_mul_lo_u32 v54, v47, s36
	v_add3_u32 v7, v54, v7, v53
	v_mad_u64_u32 v[8:9], s[40:41], v52, s36, v[8:9]
	v_mul_lo_u32 v53, v52, s37
	v_mul_lo_u32 v54, v51, s36
	v_add3_u32 v9, v54, v9, v53
	s_mov_b64 s[40:41], 0
	s_mov_b64 s[46:47], s[36:37]
                                        ; implicit-def: $sgpr42_sgpr43
                                        ; implicit-def: $sgpr44_sgpr45
                                        ; implicit-def: $sgpr48_sgpr49
                                        ; implicit-def: $sgpr50_sgpr51
	s_branch .LBB9_272
.LBB9_271:                              ;   in Loop: Header=BB9_272 Depth=1
	s_or_b64 exec, exec, s[54:55]
	s_and_b64 s[54:55], exec, s[44:45]
	s_or_b64 s[40:41], s[54:55], s[40:41]
	s_andn2_b64 s[50:51], s[50:51], exec
	s_and_b64 s[52:53], s[52:53], exec
	s_or_b64 s[50:51], s[50:51], s[52:53]
	s_andn2_b64 s[42:43], s[42:43], exec
	s_and_b64 s[52:53], s[48:49], exec
	s_or_b64 s[42:43], s[42:43], s[52:53]
	s_andn2_b64 exec, exec, s[40:41]
	s_cbranch_execz .LBB9_274
.LBB9_272:                              ; =>This Inner Loop Header: Depth=1
	global_load_ubyte v53, v[6:7], off
	global_load_ubyte v54, v[8:9], off
	s_andn2_b64 s[48:49], s[48:49], exec
	s_or_b64 s[44:45], s[44:45], exec
	s_waitcnt vmcnt(0)
	v_cmp_le_u16_sdwa s[54:55], v53, v54 src0_sel:BYTE_0 src1_sel:BYTE_0
	v_cmp_lt_u16_sdwa s[52:53], v53, v54 src0_sel:BYTE_0 src1_sel:BYTE_0
	s_and_b64 s[54:55], s[54:55], s[50:51]
	s_or_b64 s[52:53], s[52:53], s[54:55]
	s_and_b64 s[54:55], s[52:53], exec
	v_cmp_eq_u16_sdwa s[56:57], v53, v54 src0_sel:BYTE_0 src1_sel:BYTE_0
	s_or_b64 s[48:49], s[48:49], s[54:55]
	s_and_saveexec_b64 s[54:55], s[56:57]
	s_cbranch_execz .LBB9_271
; %bb.273:                              ;   in Loop: Header=BB9_272 Depth=1
	s_add_u32 s46, s46, -1
	s_addc_u32 s47, s47, -1
	s_cmp_eq_u64 s[46:47], 0
	s_cselect_b64 s[50:51], -1, 0
	s_andn2_b64 s[44:45], s[44:45], exec
	s_and_b64 s[50:51], s[50:51], exec
	v_lshl_add_u64 v[6:7], v[6:7], 0, 1
	v_lshl_add_u64 v[8:9], v[8:9], 0, 1
	s_andn2_b64 s[48:49], s[48:49], exec
	s_or_b64 s[44:45], s[44:45], s[50:51]
                                        ; implicit-def: $sgpr50_sgpr51
	s_branch .LBB9_271
.LBB9_274:
	s_or_b64 exec, exec, s[40:41]
	s_xor_b64 s[40:41], s[42:43], -1
	s_branch .LBB9_276
.LBB9_275:
	s_mov_b64 s[40:41], -1
.LBB9_276:
	s_and_b64 s[40:41], s[40:41], exec
.LBB9_277:
	s_or_b64 exec, exec, s[26:27]
	s_orn2_b64 s[26:27], s[40:41], exec
.LBB9_278:
	s_or_b64 exec, exec, s[34:35]
	v_cndmask_b32_e64 v11, v10, v11, s[20:21]
	v_cndmask_b32_e64 v10, v17, v23, s[20:21]
	;; [unrolled: 1-line block ×8, first 2 shown]
	v_add_u32_e32 v24, 1, v14
	v_add_u32_e32 v14, -1, v15
	v_min_u32_e32 v14, v24, v14
	v_lshl_add_u32 v14, v14, 3, v35
	ds_read_b64 v[22:23], v14
	v_cndmask_b32_e64 v25, v24, v50, s[26:27]
	v_cndmask_b32_e64 v9, v43, v45, s[28:29]
	;; [unrolled: 1-line block ×9, first 2 shown]
	s_waitcnt lgkmcnt(0)
	v_cndmask_b32_e64 v5, v51, v23, s[26:27]
	v_cndmask_b32_e64 v4, v52, v22, s[26:27]
	v_cmp_lt_u32_e32 vcc, v25, v27
	s_and_saveexec_b64 s[4:5], vcc
	s_cbranch_execz .LBB9_288
; %bb.279:
	v_cndmask_b32_e64 v24, v49, v24, s[26:27]
	v_cndmask_b32_e64 v23, v23, v47, s[26:27]
	;; [unrolled: 1-line block ×3, first 2 shown]
	v_cmp_lt_u32_e32 vcc, v24, v26
	s_and_saveexec_b64 s[12:13], vcc
	s_cbranch_execz .LBB9_287
; %bb.280:
	s_and_b64 vcc, exec, s[0:1]
	s_cbranch_vccnz .LBB9_286
; %bb.281:
	v_mov_b64_e32 v[26:27], s[38:39]
	v_mad_u64_u32 v[24:25], s[20:21], v22, s36, v[26:27]
	v_mul_lo_u32 v39, v22, s37
	v_mul_lo_u32 v40, v23, s36
	v_add3_u32 v25, v40, v25, v39
	v_mad_u64_u32 v[26:27], s[20:21], v4, s36, v[26:27]
	v_mul_lo_u32 v39, v4, s37
	v_mul_lo_u32 v40, v5, s36
	v_add3_u32 v27, v40, v27, v39
	s_mov_b64 s[20:21], 0
	s_mov_b64 s[26:27], s[36:37]
                                        ; implicit-def: $sgpr22_sgpr23
                                        ; implicit-def: $sgpr24_sgpr25
                                        ; implicit-def: $sgpr28_sgpr29
                                        ; implicit-def: $sgpr34_sgpr35
	s_branch .LBB9_283
.LBB9_282:                              ;   in Loop: Header=BB9_283 Depth=1
	s_or_b64 exec, exec, s[42:43]
	s_and_b64 s[42:43], exec, s[24:25]
	s_or_b64 s[20:21], s[42:43], s[20:21]
	s_andn2_b64 s[34:35], s[34:35], exec
	s_and_b64 s[40:41], s[40:41], exec
	s_or_b64 s[34:35], s[34:35], s[40:41]
	s_andn2_b64 s[22:23], s[22:23], exec
	s_and_b64 s[40:41], s[28:29], exec
	s_or_b64 s[22:23], s[22:23], s[40:41]
	s_andn2_b64 exec, exec, s[20:21]
	s_cbranch_execz .LBB9_285
.LBB9_283:                              ; =>This Inner Loop Header: Depth=1
	global_load_ubyte v39, v[24:25], off
	global_load_ubyte v40, v[26:27], off
	s_andn2_b64 s[28:29], s[28:29], exec
	s_or_b64 s[24:25], s[24:25], exec
	s_waitcnt vmcnt(0)
	v_cmp_le_u16_sdwa s[42:43], v39, v40 src0_sel:BYTE_0 src1_sel:BYTE_0
	v_cmp_lt_u16_sdwa s[40:41], v39, v40 src0_sel:BYTE_0 src1_sel:BYTE_0
	s_and_b64 s[42:43], s[42:43], s[34:35]
	s_or_b64 s[40:41], s[40:41], s[42:43]
	s_and_b64 s[42:43], s[40:41], exec
	v_cmp_eq_u16_sdwa s[44:45], v39, v40 src0_sel:BYTE_0 src1_sel:BYTE_0
	s_or_b64 s[28:29], s[28:29], s[42:43]
	s_and_saveexec_b64 s[42:43], s[44:45]
	s_cbranch_execz .LBB9_282
; %bb.284:                              ;   in Loop: Header=BB9_283 Depth=1
	s_add_u32 s26, s26, -1
	s_addc_u32 s27, s27, -1
	s_cmp_eq_u64 s[26:27], 0
	s_cselect_b64 s[34:35], -1, 0
	s_andn2_b64 s[24:25], s[24:25], exec
	s_and_b64 s[34:35], s[34:35], exec
	v_lshl_add_u64 v[24:25], v[24:25], 0, 1
	v_lshl_add_u64 v[26:27], v[26:27], 0, 1
	s_andn2_b64 s[28:29], s[28:29], exec
	s_or_b64 s[24:25], s[24:25], s[34:35]
                                        ; implicit-def: $sgpr34_sgpr35
	s_branch .LBB9_282
.LBB9_285:
	s_or_b64 exec, exec, s[20:21]
	v_cndmask_b32_e64 v5, v5, v23, s[22:23]
	v_cndmask_b32_e64 v4, v4, v22, s[22:23]
.LBB9_286:
	v_mov_b64_e32 v[22:23], v[4:5]
.LBB9_287:
	s_or_b64 exec, exec, s[12:13]
	v_mov_b64_e32 v[4:5], v[22:23]
.LBB9_288:
	s_or_b64 exec, exec, s[4:5]
.LBB9_289:
	s_or_b64 exec, exec, s[10:11]
	v_and_b32_e32 v41, 0x3e0, v37
	v_or_b32_e32 v22, 16, v41
	v_min_u32_e32 v26, v36, v22
	v_add_u32_e32 v22, 16, v26
	v_min_u32_e32 v27, v36, v22
	v_and_b32_e32 v22, 24, v37
	v_min_u32_e32 v42, v36, v22
	v_sub_u32_e32 v22, v26, v41
	v_sub_u32_e32 v23, v27, v26
	v_sub_u32_e64 v40, v42, v23 clamp
	v_min_u32_e32 v43, v42, v22
	v_lshl_add_u32 v39, v41, 3, v35
	v_cmp_lt_u32_e32 vcc, v40, v43
	; wave barrier
	ds_write_b128 v38, v[14:17]
	ds_write_b128 v38, v[10:13] offset:16
	ds_write_b128 v38, v[6:9] offset:32
	;; [unrolled: 1-line block ×3, first 2 shown]
	; wave barrier
	s_and_saveexec_b64 s[4:5], vcc
	s_cbranch_execz .LBB9_299
; %bb.290:
	v_lshlrev_b32_e32 v22, 3, v26
	v_lshlrev_b32_e32 v23, 3, v42
	v_add3_u32 v44, v35, v22, v23
	s_mov_b64 s[10:11], 0
	s_branch .LBB9_293
.LBB9_291:                              ;   in Loop: Header=BB9_293 Depth=1
	s_or_b64 exec, exec, s[20:21]
.LBB9_292:                              ;   in Loop: Header=BB9_293 Depth=1
	v_add_u32_e32 v22, 1, v45
	v_cndmask_b32_e64 v43, v43, v45, s[12:13]
	v_cndmask_b32_e64 v40, v22, v40, s[12:13]
	v_cmp_ge_u32_e32 vcc, v40, v43
	s_or_b64 s[10:11], vcc, s[10:11]
	s_andn2_b64 exec, exec, s[10:11]
	s_cbranch_execz .LBB9_298
.LBB9_293:                              ; =>This Loop Header: Depth=1
                                        ;     Child Loop BB9_296 Depth 2
	v_add_u32_e32 v22, v43, v40
	v_lshrrev_b32_e32 v45, 1, v22
	s_and_b64 vcc, exec, s[0:1]
	s_mov_b64 s[12:13], 0
	s_cbranch_vccnz .LBB9_292
; %bb.294:                              ;   in Loop: Header=BB9_293 Depth=1
	v_not_b32_e32 v22, v45
	v_lshl_add_u32 v22, v22, 3, v44
	ds_read_b64 v[22:23], v22
	v_lshl_add_u32 v46, v45, 3, v39
	ds_read_b64 v[46:47], v46
	v_mov_b64_e32 v[24:25], s[38:39]
	s_mov_b64 s[20:21], 0
	s_waitcnt lgkmcnt(1)
	v_mul_lo_u32 v48, v22, s37
	v_mul_lo_u32 v49, v23, s36
	v_mad_u64_u32 v[22:23], s[12:13], v22, s36, v[24:25]
	v_add3_u32 v23, v49, v23, v48
	s_waitcnt lgkmcnt(0)
	v_mul_lo_u32 v48, v46, s37
	v_mul_lo_u32 v47, v47, s36
	v_mad_u64_u32 v[24:25], s[12:13], v46, s36, v[24:25]
	v_add3_u32 v25, v47, v25, v48
	s_mov_b64 s[24:25], s[36:37]
                                        ; implicit-def: $sgpr12_sgpr13
                                        ; implicit-def: $sgpr22_sgpr23
                                        ; implicit-def: $sgpr26_sgpr27
                                        ; implicit-def: $sgpr28_sgpr29
	s_branch .LBB9_296
.LBB9_295:                              ;   in Loop: Header=BB9_296 Depth=2
	s_or_b64 exec, exec, s[40:41]
	s_and_b64 s[40:41], exec, s[22:23]
	s_or_b64 s[20:21], s[40:41], s[20:21]
	s_andn2_b64 s[28:29], s[28:29], exec
	s_and_b64 s[34:35], s[34:35], exec
	s_or_b64 s[28:29], s[28:29], s[34:35]
	s_andn2_b64 s[12:13], s[12:13], exec
	s_and_b64 s[34:35], s[26:27], exec
	s_or_b64 s[12:13], s[12:13], s[34:35]
	s_andn2_b64 exec, exec, s[20:21]
	s_cbranch_execz .LBB9_291
.LBB9_296:                              ;   Parent Loop BB9_293 Depth=1
                                        ; =>  This Inner Loop Header: Depth=2
	global_load_ubyte v46, v[22:23], off
	global_load_ubyte v47, v[24:25], off
	s_andn2_b64 s[26:27], s[26:27], exec
	s_or_b64 s[22:23], s[22:23], exec
	s_waitcnt vmcnt(0)
	v_cmp_le_u16_sdwa s[40:41], v46, v47 src0_sel:BYTE_0 src1_sel:BYTE_0
	v_cmp_lt_u16_sdwa s[34:35], v46, v47 src0_sel:BYTE_0 src1_sel:BYTE_0
	s_and_b64 s[40:41], s[40:41], s[28:29]
	s_or_b64 s[34:35], s[34:35], s[40:41]
	s_and_b64 s[40:41], s[34:35], exec
	v_cmp_eq_u16_sdwa s[42:43], v46, v47 src0_sel:BYTE_0 src1_sel:BYTE_0
	s_or_b64 s[26:27], s[26:27], s[40:41]
	s_and_saveexec_b64 s[40:41], s[42:43]
	s_cbranch_execz .LBB9_295
; %bb.297:                              ;   in Loop: Header=BB9_296 Depth=2
	s_add_u32 s24, s24, -1
	s_addc_u32 s25, s25, -1
	s_cmp_eq_u64 s[24:25], 0
	s_cselect_b64 s[28:29], -1, 0
	s_andn2_b64 s[22:23], s[22:23], exec
	s_and_b64 s[28:29], s[28:29], exec
	v_lshl_add_u64 v[22:23], v[22:23], 0, 1
	v_lshl_add_u64 v[24:25], v[24:25], 0, 1
	s_andn2_b64 s[26:27], s[26:27], exec
	s_or_b64 s[22:23], s[22:23], s[28:29]
                                        ; implicit-def: $sgpr28_sgpr29
	s_branch .LBB9_295
.LBB9_298:
	s_or_b64 exec, exec, s[10:11]
.LBB9_299:
	s_or_b64 exec, exec, s[4:5]
	v_add_u32_e32 v22, v26, v42
	v_add_u32_e32 v23, v40, v41
	v_sub_u32_e32 v24, v22, v40
	v_cmp_le_u32_e32 vcc, v23, v26
	v_cmp_le_u32_e64 s[4:5], v24, v27
	s_or_b64 s[4:5], vcc, s[4:5]
	s_and_saveexec_b64 s[10:11], s[4:5]
	s_cbranch_execz .LBB9_390
; %bb.300:
	v_cmp_ge_u32_e32 vcc, v23, v26
	v_cmp_lt_u32_e64 s[4:5], v23, v26
                                        ; implicit-def: $vgpr2_vgpr3
	s_and_saveexec_b64 s[12:13], s[4:5]
; %bb.301:
	v_lshl_add_u32 v2, v40, 3, v39
	ds_read_b64 v[2:3], v2
; %bb.302:
	s_or_b64 exec, exec, s[12:13]
	v_cmp_ge_u32_e64 s[12:13], v24, v27
	v_cmp_lt_u32_e64 s[4:5], v24, v27
                                        ; implicit-def: $vgpr4_vgpr5
	s_and_saveexec_b64 s[20:21], s[4:5]
; %bb.303:
	v_lshl_add_u32 v4, v24, 3, v35
	ds_read_b64 v[4:5], v4
; %bb.304:
	s_or_b64 exec, exec, s[20:21]
	s_nor_b64 s[20:21], vcc, s[12:13]
	s_and_saveexec_b64 s[4:5], s[20:21]
	s_cbranch_execz .LBB9_313
; %bb.305:
	s_and_b64 vcc, exec, s[0:1]
	s_cbranch_vccnz .LBB9_311
; %bb.306:
	v_mov_b64_e32 v[8:9], s[38:39]
	s_waitcnt lgkmcnt(0)
	v_mad_u64_u32 v[6:7], s[20:21], v4, s36, v[8:9]
	v_mul_lo_u32 v10, v4, s37
	v_mul_lo_u32 v11, v5, s36
	v_add3_u32 v7, v11, v7, v10
	v_mad_u64_u32 v[8:9], s[20:21], v2, s36, v[8:9]
	v_mul_lo_u32 v10, v2, s37
	v_mul_lo_u32 v11, v3, s36
	v_add3_u32 v9, v11, v9, v10
	s_mov_b64 s[20:21], 0
	s_mov_b64 s[26:27], s[36:37]
                                        ; implicit-def: $sgpr22_sgpr23
                                        ; implicit-def: $sgpr24_sgpr25
                                        ; implicit-def: $sgpr28_sgpr29
                                        ; implicit-def: $sgpr34_sgpr35
	s_branch .LBB9_308
.LBB9_307:                              ;   in Loop: Header=BB9_308 Depth=1
	s_or_b64 exec, exec, s[42:43]
	s_and_b64 s[42:43], exec, s[24:25]
	s_or_b64 s[20:21], s[42:43], s[20:21]
	s_andn2_b64 s[34:35], s[34:35], exec
	s_and_b64 s[40:41], s[40:41], exec
	s_or_b64 s[34:35], s[34:35], s[40:41]
	s_andn2_b64 s[22:23], s[22:23], exec
	s_and_b64 s[40:41], s[28:29], exec
	s_or_b64 s[22:23], s[22:23], s[40:41]
	s_andn2_b64 exec, exec, s[20:21]
	s_cbranch_execz .LBB9_310
.LBB9_308:                              ; =>This Inner Loop Header: Depth=1
	global_load_ubyte v10, v[6:7], off
	global_load_ubyte v11, v[8:9], off
	s_andn2_b64 s[28:29], s[28:29], exec
	s_or_b64 s[24:25], s[24:25], exec
	s_waitcnt vmcnt(0)
	v_cmp_le_u16_sdwa s[42:43], v10, v11 src0_sel:BYTE_0 src1_sel:BYTE_0
	v_cmp_lt_u16_sdwa s[40:41], v10, v11 src0_sel:BYTE_0 src1_sel:BYTE_0
	s_and_b64 s[42:43], s[42:43], s[34:35]
	s_or_b64 s[40:41], s[40:41], s[42:43]
	s_and_b64 s[42:43], s[40:41], exec
	v_cmp_eq_u16_sdwa s[44:45], v10, v11 src0_sel:BYTE_0 src1_sel:BYTE_0
	s_or_b64 s[28:29], s[28:29], s[42:43]
	s_and_saveexec_b64 s[42:43], s[44:45]
	s_cbranch_execz .LBB9_307
; %bb.309:                              ;   in Loop: Header=BB9_308 Depth=1
	s_add_u32 s26, s26, -1
	s_addc_u32 s27, s27, -1
	s_cmp_eq_u64 s[26:27], 0
	s_cselect_b64 s[34:35], -1, 0
	s_andn2_b64 s[24:25], s[24:25], exec
	s_and_b64 s[34:35], s[34:35], exec
	v_lshl_add_u64 v[6:7], v[6:7], 0, 1
	v_lshl_add_u64 v[8:9], v[8:9], 0, 1
	s_andn2_b64 s[28:29], s[28:29], exec
	s_or_b64 s[24:25], s[24:25], s[34:35]
                                        ; implicit-def: $sgpr34_sgpr35
	s_branch .LBB9_307
.LBB9_310:
	s_or_b64 exec, exec, s[20:21]
	s_xor_b64 s[20:21], s[22:23], -1
	s_branch .LBB9_312
.LBB9_311:
	s_mov_b64 s[20:21], -1
.LBB9_312:
	s_andn2_b64 s[12:13], s[12:13], exec
	s_and_b64 s[20:21], s[20:21], exec
	s_or_b64 s[12:13], s[12:13], s[20:21]
.LBB9_313:
	s_or_b64 exec, exec, s[4:5]
	v_cndmask_b32_e64 v6, v24, v23, s[12:13]
	v_cndmask_b32_e64 v7, v27, v26, s[12:13]
	v_add_u32_e32 v8, 1, v6
	v_add_u32_e32 v6, -1, v7
	v_min_u32_e32 v6, v8, v6
	v_lshl_add_u32 v6, v6, 3, v35
	ds_read_b64 v[6:7], v6
	v_cndmask_b32_e64 v12, v8, v24, s[12:13]
	v_cndmask_b32_e64 v13, v23, v8, s[12:13]
	v_cmp_lt_u32_e32 vcc, v12, v27
	s_mov_b64 s[20:21], -1
	s_waitcnt lgkmcnt(0)
	v_cndmask_b32_e64 v14, v7, v5, s[12:13]
	v_cndmask_b32_e64 v15, v6, v4, s[12:13]
	;; [unrolled: 1-line block ×4, first 2 shown]
	s_mov_b64 s[4:5], -1
	s_and_saveexec_b64 s[22:23], vcc
	s_cbranch_execz .LBB9_324
; %bb.314:
	v_cmp_lt_u32_e32 vcc, v13, v26
	s_mov_b64 s[24:25], 0
	s_and_saveexec_b64 s[4:5], vcc
	s_cbranch_execz .LBB9_323
; %bb.315:
	s_and_b64 vcc, exec, s[0:1]
	s_cbranch_vccnz .LBB9_321
; %bb.316:
	v_mov_b64_e32 v[8:9], s[38:39]
	v_mad_u64_u32 v[6:7], s[24:25], v15, s36, v[8:9]
	v_mul_lo_u32 v10, v15, s37
	v_mul_lo_u32 v11, v14, s36
	v_add3_u32 v7, v11, v7, v10
	v_mad_u64_u32 v[8:9], s[24:25], v22, s36, v[8:9]
	v_mul_lo_u32 v10, v22, s37
	v_mul_lo_u32 v11, v16, s36
	v_add3_u32 v9, v11, v9, v10
	s_mov_b64 s[24:25], 0
	s_mov_b64 s[34:35], s[36:37]
                                        ; implicit-def: $sgpr26_sgpr27
                                        ; implicit-def: $sgpr28_sgpr29
                                        ; implicit-def: $sgpr40_sgpr41
                                        ; implicit-def: $sgpr42_sgpr43
	s_branch .LBB9_318
.LBB9_317:                              ;   in Loop: Header=BB9_318 Depth=1
	s_or_b64 exec, exec, s[46:47]
	s_and_b64 s[46:47], exec, s[28:29]
	s_or_b64 s[24:25], s[46:47], s[24:25]
	s_andn2_b64 s[42:43], s[42:43], exec
	s_and_b64 s[44:45], s[44:45], exec
	s_or_b64 s[42:43], s[42:43], s[44:45]
	s_andn2_b64 s[26:27], s[26:27], exec
	s_and_b64 s[44:45], s[40:41], exec
	s_or_b64 s[26:27], s[26:27], s[44:45]
	s_andn2_b64 exec, exec, s[24:25]
	s_cbranch_execz .LBB9_320
.LBB9_318:                              ; =>This Inner Loop Header: Depth=1
	global_load_ubyte v10, v[6:7], off
	global_load_ubyte v11, v[8:9], off
	s_andn2_b64 s[40:41], s[40:41], exec
	s_or_b64 s[28:29], s[28:29], exec
	s_waitcnt vmcnt(0)
	v_cmp_le_u16_sdwa s[46:47], v10, v11 src0_sel:BYTE_0 src1_sel:BYTE_0
	v_cmp_lt_u16_sdwa s[44:45], v10, v11 src0_sel:BYTE_0 src1_sel:BYTE_0
	s_and_b64 s[46:47], s[46:47], s[42:43]
	s_or_b64 s[44:45], s[44:45], s[46:47]
	s_and_b64 s[46:47], s[44:45], exec
	v_cmp_eq_u16_sdwa s[48:49], v10, v11 src0_sel:BYTE_0 src1_sel:BYTE_0
	s_or_b64 s[40:41], s[40:41], s[46:47]
	s_and_saveexec_b64 s[46:47], s[48:49]
	s_cbranch_execz .LBB9_317
; %bb.319:                              ;   in Loop: Header=BB9_318 Depth=1
	s_add_u32 s34, s34, -1
	s_addc_u32 s35, s35, -1
	s_cmp_eq_u64 s[34:35], 0
	s_cselect_b64 s[42:43], -1, 0
	s_andn2_b64 s[28:29], s[28:29], exec
	s_and_b64 s[42:43], s[42:43], exec
	v_lshl_add_u64 v[6:7], v[6:7], 0, 1
	v_lshl_add_u64 v[8:9], v[8:9], 0, 1
	s_andn2_b64 s[40:41], s[40:41], exec
	s_or_b64 s[28:29], s[28:29], s[42:43]
                                        ; implicit-def: $sgpr42_sgpr43
	s_branch .LBB9_317
.LBB9_320:
	s_or_b64 exec, exec, s[24:25]
	s_xor_b64 s[24:25], s[26:27], -1
	s_branch .LBB9_322
.LBB9_321:
	s_mov_b64 s[24:25], -1
.LBB9_322:
	s_and_b64 s[24:25], s[24:25], exec
.LBB9_323:
	s_or_b64 exec, exec, s[4:5]
	s_orn2_b64 s[4:5], s[24:25], exec
.LBB9_324:
	s_or_b64 exec, exec, s[22:23]
	v_cndmask_b32_e64 v6, v12, v13, s[4:5]
	v_cndmask_b32_e64 v7, v27, v26, s[4:5]
	v_add_u32_e32 v8, 1, v6
	v_add_u32_e32 v6, -1, v7
	v_min_u32_e32 v6, v8, v6
	v_lshl_add_u32 v6, v6, 3, v35
	ds_read_b64 v[6:7], v6
	v_cndmask_b32_e64 v39, v8, v12, s[4:5]
	v_cndmask_b32_e64 v40, v13, v8, s[4:5]
	v_cmp_lt_u32_e32 vcc, v39, v27
	s_waitcnt lgkmcnt(0)
	v_cndmask_b32_e64 v10, v7, v14, s[4:5]
	v_cndmask_b32_e64 v17, v6, v15, s[4:5]
	;; [unrolled: 1-line block ×4, first 2 shown]
	s_and_saveexec_b64 s[22:23], vcc
	s_cbranch_execz .LBB9_335
; %bb.325:
	v_cmp_lt_u32_e32 vcc, v40, v26
	s_mov_b64 s[24:25], 0
	s_and_saveexec_b64 s[20:21], vcc
	s_cbranch_execz .LBB9_334
; %bb.326:
	s_and_b64 vcc, exec, s[0:1]
	s_cbranch_vccnz .LBB9_332
; %bb.327:
	v_mov_b64_e32 v[8:9], s[38:39]
	v_mad_u64_u32 v[6:7], s[24:25], v17, s36, v[8:9]
	v_mul_lo_u32 v12, v17, s37
	v_mul_lo_u32 v13, v10, s36
	v_add3_u32 v7, v13, v7, v12
	v_mad_u64_u32 v[8:9], s[24:25], v23, s36, v[8:9]
	v_mul_lo_u32 v12, v23, s37
	v_mul_lo_u32 v13, v11, s36
	v_add3_u32 v9, v13, v9, v12
	s_mov_b64 s[24:25], 0
	s_mov_b64 s[34:35], s[36:37]
                                        ; implicit-def: $sgpr26_sgpr27
                                        ; implicit-def: $sgpr28_sgpr29
                                        ; implicit-def: $sgpr40_sgpr41
                                        ; implicit-def: $sgpr42_sgpr43
	s_branch .LBB9_329
.LBB9_328:                              ;   in Loop: Header=BB9_329 Depth=1
	s_or_b64 exec, exec, s[46:47]
	s_and_b64 s[46:47], exec, s[28:29]
	s_or_b64 s[24:25], s[46:47], s[24:25]
	s_andn2_b64 s[42:43], s[42:43], exec
	s_and_b64 s[44:45], s[44:45], exec
	s_or_b64 s[42:43], s[42:43], s[44:45]
	s_andn2_b64 s[26:27], s[26:27], exec
	s_and_b64 s[44:45], s[40:41], exec
	s_or_b64 s[26:27], s[26:27], s[44:45]
	s_andn2_b64 exec, exec, s[24:25]
	s_cbranch_execz .LBB9_331
.LBB9_329:                              ; =>This Inner Loop Header: Depth=1
	global_load_ubyte v12, v[6:7], off
	global_load_ubyte v13, v[8:9], off
	s_andn2_b64 s[40:41], s[40:41], exec
	s_or_b64 s[28:29], s[28:29], exec
	s_waitcnt vmcnt(0)
	v_cmp_le_u16_sdwa s[46:47], v12, v13 src0_sel:BYTE_0 src1_sel:BYTE_0
	v_cmp_lt_u16_sdwa s[44:45], v12, v13 src0_sel:BYTE_0 src1_sel:BYTE_0
	s_and_b64 s[46:47], s[46:47], s[42:43]
	s_or_b64 s[44:45], s[44:45], s[46:47]
	s_and_b64 s[46:47], s[44:45], exec
	v_cmp_eq_u16_sdwa s[48:49], v12, v13 src0_sel:BYTE_0 src1_sel:BYTE_0
	s_or_b64 s[40:41], s[40:41], s[46:47]
	s_and_saveexec_b64 s[46:47], s[48:49]
	s_cbranch_execz .LBB9_328
; %bb.330:                              ;   in Loop: Header=BB9_329 Depth=1
	s_add_u32 s34, s34, -1
	s_addc_u32 s35, s35, -1
	s_cmp_eq_u64 s[34:35], 0
	s_cselect_b64 s[42:43], -1, 0
	s_andn2_b64 s[28:29], s[28:29], exec
	s_and_b64 s[42:43], s[42:43], exec
	v_lshl_add_u64 v[6:7], v[6:7], 0, 1
	v_lshl_add_u64 v[8:9], v[8:9], 0, 1
	s_andn2_b64 s[40:41], s[40:41], exec
	s_or_b64 s[28:29], s[28:29], s[42:43]
                                        ; implicit-def: $sgpr42_sgpr43
	s_branch .LBB9_328
.LBB9_331:
	s_or_b64 exec, exec, s[24:25]
	s_xor_b64 s[24:25], s[26:27], -1
	s_branch .LBB9_333
.LBB9_332:
	s_mov_b64 s[24:25], -1
.LBB9_333:
	s_and_b64 s[24:25], s[24:25], exec
.LBB9_334:
	s_or_b64 exec, exec, s[20:21]
	s_orn2_b64 s[20:21], s[24:25], exec
.LBB9_335:
	s_or_b64 exec, exec, s[22:23]
	v_cndmask_b32_e64 v6, v39, v40, s[20:21]
	v_cndmask_b32_e64 v7, v27, v26, s[20:21]
	v_add_u32_e32 v8, 1, v6
	v_add_u32_e32 v6, -1, v7
	v_min_u32_e32 v6, v8, v6
	v_lshl_add_u32 v6, v6, 3, v35
	ds_read_b64 v[6:7], v6
	v_cndmask_b32_e64 v43, v8, v39, s[20:21]
	v_cndmask_b32_e64 v44, v40, v8, s[20:21]
	v_cmp_lt_u32_e32 vcc, v43, v27
	s_mov_b64 s[24:25], -1
	s_waitcnt lgkmcnt(0)
	v_cndmask_b32_e64 v12, v7, v10, s[20:21]
	v_cndmask_b32_e64 v24, v6, v17, s[20:21]
	;; [unrolled: 1-line block ×4, first 2 shown]
	s_mov_b64 s[22:23], -1
	s_and_saveexec_b64 s[26:27], vcc
	s_cbranch_execz .LBB9_346
; %bb.336:
	v_cmp_lt_u32_e32 vcc, v44, v26
	s_mov_b64 s[28:29], 0
	s_and_saveexec_b64 s[22:23], vcc
	s_cbranch_execz .LBB9_345
; %bb.337:
	s_and_b64 vcc, exec, s[0:1]
	s_cbranch_vccnz .LBB9_343
; %bb.338:
	v_mov_b64_e32 v[8:9], s[38:39]
	v_mad_u64_u32 v[6:7], s[28:29], v24, s36, v[8:9]
	v_mul_lo_u32 v39, v24, s37
	v_mul_lo_u32 v40, v12, s36
	v_add3_u32 v7, v40, v7, v39
	v_mad_u64_u32 v[8:9], s[28:29], v25, s36, v[8:9]
	v_mul_lo_u32 v39, v25, s37
	v_mul_lo_u32 v40, v13, s36
	v_add3_u32 v9, v40, v9, v39
	s_mov_b64 s[28:29], 0
	s_mov_b64 s[42:43], s[36:37]
                                        ; implicit-def: $sgpr34_sgpr35
                                        ; implicit-def: $sgpr40_sgpr41
                                        ; implicit-def: $sgpr44_sgpr45
                                        ; implicit-def: $sgpr46_sgpr47
	s_branch .LBB9_340
.LBB9_339:                              ;   in Loop: Header=BB9_340 Depth=1
	s_or_b64 exec, exec, s[50:51]
	s_and_b64 s[50:51], exec, s[40:41]
	s_or_b64 s[28:29], s[50:51], s[28:29]
	s_andn2_b64 s[46:47], s[46:47], exec
	s_and_b64 s[48:49], s[48:49], exec
	s_or_b64 s[46:47], s[46:47], s[48:49]
	s_andn2_b64 s[34:35], s[34:35], exec
	s_and_b64 s[48:49], s[44:45], exec
	s_or_b64 s[34:35], s[34:35], s[48:49]
	s_andn2_b64 exec, exec, s[28:29]
	s_cbranch_execz .LBB9_342
.LBB9_340:                              ; =>This Inner Loop Header: Depth=1
	global_load_ubyte v39, v[6:7], off
	global_load_ubyte v40, v[8:9], off
	s_andn2_b64 s[44:45], s[44:45], exec
	s_or_b64 s[40:41], s[40:41], exec
	s_waitcnt vmcnt(0)
	v_cmp_le_u16_sdwa s[50:51], v39, v40 src0_sel:BYTE_0 src1_sel:BYTE_0
	v_cmp_lt_u16_sdwa s[48:49], v39, v40 src0_sel:BYTE_0 src1_sel:BYTE_0
	s_and_b64 s[50:51], s[50:51], s[46:47]
	s_or_b64 s[48:49], s[48:49], s[50:51]
	s_and_b64 s[50:51], s[48:49], exec
	v_cmp_eq_u16_sdwa s[52:53], v39, v40 src0_sel:BYTE_0 src1_sel:BYTE_0
	s_or_b64 s[44:45], s[44:45], s[50:51]
	s_and_saveexec_b64 s[50:51], s[52:53]
	s_cbranch_execz .LBB9_339
; %bb.341:                              ;   in Loop: Header=BB9_340 Depth=1
	s_add_u32 s42, s42, -1
	s_addc_u32 s43, s43, -1
	s_cmp_eq_u64 s[42:43], 0
	s_cselect_b64 s[46:47], -1, 0
	s_andn2_b64 s[40:41], s[40:41], exec
	s_and_b64 s[46:47], s[46:47], exec
	v_lshl_add_u64 v[6:7], v[6:7], 0, 1
	v_lshl_add_u64 v[8:9], v[8:9], 0, 1
	s_andn2_b64 s[44:45], s[44:45], exec
	s_or_b64 s[40:41], s[40:41], s[46:47]
                                        ; implicit-def: $sgpr46_sgpr47
	s_branch .LBB9_339
.LBB9_342:
	s_or_b64 exec, exec, s[28:29]
	s_xor_b64 s[28:29], s[34:35], -1
	s_branch .LBB9_344
.LBB9_343:
	s_mov_b64 s[28:29], -1
.LBB9_344:
	s_and_b64 s[28:29], s[28:29], exec
.LBB9_345:
	s_or_b64 exec, exec, s[22:23]
	s_orn2_b64 s[22:23], s[28:29], exec
.LBB9_346:
	s_or_b64 exec, exec, s[26:27]
	v_cndmask_b32_e64 v6, v43, v44, s[22:23]
	v_cndmask_b32_e64 v7, v27, v26, s[22:23]
	v_add_u32_e32 v8, 1, v6
	v_add_u32_e32 v6, -1, v7
	v_min_u32_e32 v6, v8, v6
	v_lshl_add_u32 v6, v6, 3, v35
	ds_read_b64 v[6:7], v6
	v_cndmask_b32_e64 v47, v8, v43, s[22:23]
	v_cndmask_b32_e64 v48, v44, v8, s[22:23]
	v_cmp_lt_u32_e32 vcc, v47, v27
	s_waitcnt lgkmcnt(0)
	v_cndmask_b32_e64 v39, v7, v12, s[22:23]
	v_cndmask_b32_e64 v40, v6, v24, s[22:23]
	;; [unrolled: 1-line block ×4, first 2 shown]
	s_and_saveexec_b64 s[26:27], vcc
	s_cbranch_execz .LBB9_357
; %bb.347:
	v_cmp_lt_u32_e32 vcc, v48, v26
	s_mov_b64 s[28:29], 0
	s_and_saveexec_b64 s[24:25], vcc
	s_cbranch_execz .LBB9_356
; %bb.348:
	s_and_b64 vcc, exec, s[0:1]
	s_cbranch_vccnz .LBB9_354
; %bb.349:
	v_mov_b64_e32 v[8:9], s[38:39]
	v_mad_u64_u32 v[6:7], s[28:29], v40, s36, v[8:9]
	v_mul_lo_u32 v43, v40, s37
	v_mul_lo_u32 v44, v39, s36
	v_add3_u32 v7, v44, v7, v43
	v_mad_u64_u32 v[8:9], s[28:29], v42, s36, v[8:9]
	v_mul_lo_u32 v43, v42, s37
	v_mul_lo_u32 v44, v41, s36
	v_add3_u32 v9, v44, v9, v43
	s_mov_b64 s[28:29], 0
	s_mov_b64 s[42:43], s[36:37]
                                        ; implicit-def: $sgpr34_sgpr35
                                        ; implicit-def: $sgpr40_sgpr41
                                        ; implicit-def: $sgpr44_sgpr45
                                        ; implicit-def: $sgpr46_sgpr47
	s_branch .LBB9_351
.LBB9_350:                              ;   in Loop: Header=BB9_351 Depth=1
	s_or_b64 exec, exec, s[50:51]
	s_and_b64 s[50:51], exec, s[40:41]
	s_or_b64 s[28:29], s[50:51], s[28:29]
	s_andn2_b64 s[46:47], s[46:47], exec
	s_and_b64 s[48:49], s[48:49], exec
	s_or_b64 s[46:47], s[46:47], s[48:49]
	s_andn2_b64 s[34:35], s[34:35], exec
	s_and_b64 s[48:49], s[44:45], exec
	s_or_b64 s[34:35], s[34:35], s[48:49]
	s_andn2_b64 exec, exec, s[28:29]
	s_cbranch_execz .LBB9_353
.LBB9_351:                              ; =>This Inner Loop Header: Depth=1
	global_load_ubyte v43, v[6:7], off
	global_load_ubyte v44, v[8:9], off
	s_andn2_b64 s[44:45], s[44:45], exec
	s_or_b64 s[40:41], s[40:41], exec
	s_waitcnt vmcnt(0)
	v_cmp_le_u16_sdwa s[50:51], v43, v44 src0_sel:BYTE_0 src1_sel:BYTE_0
	v_cmp_lt_u16_sdwa s[48:49], v43, v44 src0_sel:BYTE_0 src1_sel:BYTE_0
	s_and_b64 s[50:51], s[50:51], s[46:47]
	s_or_b64 s[48:49], s[48:49], s[50:51]
	s_and_b64 s[50:51], s[48:49], exec
	v_cmp_eq_u16_sdwa s[52:53], v43, v44 src0_sel:BYTE_0 src1_sel:BYTE_0
	s_or_b64 s[44:45], s[44:45], s[50:51]
	s_and_saveexec_b64 s[50:51], s[52:53]
	s_cbranch_execz .LBB9_350
; %bb.352:                              ;   in Loop: Header=BB9_351 Depth=1
	s_add_u32 s42, s42, -1
	s_addc_u32 s43, s43, -1
	s_cmp_eq_u64 s[42:43], 0
	s_cselect_b64 s[46:47], -1, 0
	s_andn2_b64 s[40:41], s[40:41], exec
	s_and_b64 s[46:47], s[46:47], exec
	v_lshl_add_u64 v[6:7], v[6:7], 0, 1
	v_lshl_add_u64 v[8:9], v[8:9], 0, 1
	s_andn2_b64 s[44:45], s[44:45], exec
	s_or_b64 s[40:41], s[40:41], s[46:47]
                                        ; implicit-def: $sgpr46_sgpr47
	s_branch .LBB9_350
.LBB9_353:
	s_or_b64 exec, exec, s[28:29]
	s_xor_b64 s[28:29], s[34:35], -1
	s_branch .LBB9_355
.LBB9_354:
	s_mov_b64 s[28:29], -1
.LBB9_355:
	s_and_b64 s[28:29], s[28:29], exec
.LBB9_356:
	s_or_b64 exec, exec, s[24:25]
	s_orn2_b64 s[24:25], s[28:29], exec
.LBB9_357:
	s_or_b64 exec, exec, s[26:27]
	v_cndmask_b32_e64 v6, v47, v48, s[24:25]
	v_cndmask_b32_e64 v7, v27, v26, s[24:25]
	v_add_u32_e32 v8, 1, v6
	v_add_u32_e32 v6, -1, v7
	v_min_u32_e32 v6, v8, v6
	v_lshl_add_u32 v6, v6, 3, v35
	ds_read_b64 v[6:7], v6
	v_cndmask_b32_e64 v49, v8, v47, s[24:25]
	v_cndmask_b32_e64 v53, v48, v8, s[24:25]
	v_cmp_lt_u32_e32 vcc, v49, v27
	s_mov_b64 s[26:27], -1
	s_waitcnt lgkmcnt(0)
	v_cndmask_b32_e64 v43, v7, v39, s[24:25]
	v_cndmask_b32_e64 v44, v6, v40, s[24:25]
	;; [unrolled: 1-line block ×4, first 2 shown]
	s_mov_b64 s[28:29], -1
	s_and_saveexec_b64 s[34:35], vcc
	s_cbranch_execz .LBB9_368
; %bb.358:
	v_cmp_lt_u32_e32 vcc, v53, v26
	s_mov_b64 s[40:41], 0
	s_and_saveexec_b64 s[28:29], vcc
	s_cbranch_execz .LBB9_367
; %bb.359:
	s_and_b64 vcc, exec, s[0:1]
	s_cbranch_vccnz .LBB9_365
; %bb.360:
	v_mov_b64_e32 v[8:9], s[38:39]
	v_mad_u64_u32 v[6:7], s[40:41], v44, s36, v[8:9]
	v_mul_lo_u32 v47, v44, s37
	v_mul_lo_u32 v48, v43, s36
	v_add3_u32 v7, v48, v7, v47
	v_mad_u64_u32 v[8:9], s[40:41], v46, s36, v[8:9]
	v_mul_lo_u32 v47, v46, s37
	v_mul_lo_u32 v48, v45, s36
	v_add3_u32 v9, v48, v9, v47
	s_mov_b64 s[40:41], 0
	s_mov_b64 s[46:47], s[36:37]
                                        ; implicit-def: $sgpr42_sgpr43
                                        ; implicit-def: $sgpr44_sgpr45
                                        ; implicit-def: $sgpr48_sgpr49
                                        ; implicit-def: $sgpr50_sgpr51
	s_branch .LBB9_362
.LBB9_361:                              ;   in Loop: Header=BB9_362 Depth=1
	s_or_b64 exec, exec, s[54:55]
	s_and_b64 s[54:55], exec, s[44:45]
	s_or_b64 s[40:41], s[54:55], s[40:41]
	s_andn2_b64 s[50:51], s[50:51], exec
	s_and_b64 s[52:53], s[52:53], exec
	s_or_b64 s[50:51], s[50:51], s[52:53]
	s_andn2_b64 s[42:43], s[42:43], exec
	s_and_b64 s[52:53], s[48:49], exec
	s_or_b64 s[42:43], s[42:43], s[52:53]
	s_andn2_b64 exec, exec, s[40:41]
	s_cbranch_execz .LBB9_364
.LBB9_362:                              ; =>This Inner Loop Header: Depth=1
	global_load_ubyte v47, v[6:7], off
	global_load_ubyte v48, v[8:9], off
	s_andn2_b64 s[48:49], s[48:49], exec
	s_or_b64 s[44:45], s[44:45], exec
	s_waitcnt vmcnt(0)
	v_cmp_le_u16_sdwa s[54:55], v47, v48 src0_sel:BYTE_0 src1_sel:BYTE_0
	v_cmp_lt_u16_sdwa s[52:53], v47, v48 src0_sel:BYTE_0 src1_sel:BYTE_0
	s_and_b64 s[54:55], s[54:55], s[50:51]
	s_or_b64 s[52:53], s[52:53], s[54:55]
	s_and_b64 s[54:55], s[52:53], exec
	v_cmp_eq_u16_sdwa s[56:57], v47, v48 src0_sel:BYTE_0 src1_sel:BYTE_0
	s_or_b64 s[48:49], s[48:49], s[54:55]
	s_and_saveexec_b64 s[54:55], s[56:57]
	s_cbranch_execz .LBB9_361
; %bb.363:                              ;   in Loop: Header=BB9_362 Depth=1
	s_add_u32 s46, s46, -1
	s_addc_u32 s47, s47, -1
	s_cmp_eq_u64 s[46:47], 0
	s_cselect_b64 s[50:51], -1, 0
	s_andn2_b64 s[44:45], s[44:45], exec
	s_and_b64 s[50:51], s[50:51], exec
	v_lshl_add_u64 v[6:7], v[6:7], 0, 1
	v_lshl_add_u64 v[8:9], v[8:9], 0, 1
	s_andn2_b64 s[48:49], s[48:49], exec
	s_or_b64 s[44:45], s[44:45], s[50:51]
                                        ; implicit-def: $sgpr50_sgpr51
	s_branch .LBB9_361
.LBB9_364:
	s_or_b64 exec, exec, s[40:41]
	s_xor_b64 s[40:41], s[42:43], -1
	s_branch .LBB9_366
.LBB9_365:
	s_mov_b64 s[40:41], -1
.LBB9_366:
	s_and_b64 s[40:41], s[40:41], exec
.LBB9_367:
	s_or_b64 exec, exec, s[28:29]
	s_orn2_b64 s[28:29], s[40:41], exec
.LBB9_368:
	s_or_b64 exec, exec, s[34:35]
	v_cndmask_b32_e64 v6, v49, v53, s[28:29]
	v_cndmask_b32_e64 v7, v27, v26, s[28:29]
	v_add_u32_e32 v8, 1, v6
	v_add_u32_e32 v6, -1, v7
	v_min_u32_e32 v6, v8, v6
	v_lshl_add_u32 v6, v6, 3, v35
	ds_read_b64 v[6:7], v6
	v_cndmask_b32_e64 v50, v8, v49, s[28:29]
	v_cndmask_b32_e64 v49, v53, v8, s[28:29]
	v_cmp_lt_u32_e32 vcc, v50, v27
	s_waitcnt lgkmcnt(0)
	v_cndmask_b32_e64 v47, v7, v43, s[28:29]
	v_cndmask_b32_e64 v48, v6, v44, s[28:29]
	;; [unrolled: 1-line block ×4, first 2 shown]
	s_and_saveexec_b64 s[34:35], vcc
	s_cbranch_execz .LBB9_379
; %bb.369:
	v_cmp_lt_u32_e32 vcc, v49, v26
	s_mov_b64 s[40:41], 0
	s_and_saveexec_b64 s[26:27], vcc
	s_cbranch_execz .LBB9_378
; %bb.370:
	s_and_b64 vcc, exec, s[0:1]
	s_cbranch_vccnz .LBB9_376
; %bb.371:
	v_mov_b64_e32 v[8:9], s[38:39]
	v_mad_u64_u32 v[6:7], s[40:41], v48, s36, v[8:9]
	v_mul_lo_u32 v53, v48, s37
	v_mul_lo_u32 v54, v47, s36
	v_add3_u32 v7, v54, v7, v53
	v_mad_u64_u32 v[8:9], s[40:41], v52, s36, v[8:9]
	v_mul_lo_u32 v53, v52, s37
	v_mul_lo_u32 v54, v51, s36
	v_add3_u32 v9, v54, v9, v53
	s_mov_b64 s[40:41], 0
	s_mov_b64 s[46:47], s[36:37]
                                        ; implicit-def: $sgpr42_sgpr43
                                        ; implicit-def: $sgpr44_sgpr45
                                        ; implicit-def: $sgpr48_sgpr49
                                        ; implicit-def: $sgpr50_sgpr51
	s_branch .LBB9_373
.LBB9_372:                              ;   in Loop: Header=BB9_373 Depth=1
	s_or_b64 exec, exec, s[54:55]
	s_and_b64 s[54:55], exec, s[44:45]
	s_or_b64 s[40:41], s[54:55], s[40:41]
	s_andn2_b64 s[50:51], s[50:51], exec
	s_and_b64 s[52:53], s[52:53], exec
	s_or_b64 s[50:51], s[50:51], s[52:53]
	s_andn2_b64 s[42:43], s[42:43], exec
	s_and_b64 s[52:53], s[48:49], exec
	s_or_b64 s[42:43], s[42:43], s[52:53]
	s_andn2_b64 exec, exec, s[40:41]
	s_cbranch_execz .LBB9_375
.LBB9_373:                              ; =>This Inner Loop Header: Depth=1
	global_load_ubyte v53, v[6:7], off
	global_load_ubyte v54, v[8:9], off
	s_andn2_b64 s[48:49], s[48:49], exec
	s_or_b64 s[44:45], s[44:45], exec
	s_waitcnt vmcnt(0)
	v_cmp_le_u16_sdwa s[54:55], v53, v54 src0_sel:BYTE_0 src1_sel:BYTE_0
	v_cmp_lt_u16_sdwa s[52:53], v53, v54 src0_sel:BYTE_0 src1_sel:BYTE_0
	s_and_b64 s[54:55], s[54:55], s[50:51]
	s_or_b64 s[52:53], s[52:53], s[54:55]
	s_and_b64 s[54:55], s[52:53], exec
	v_cmp_eq_u16_sdwa s[56:57], v53, v54 src0_sel:BYTE_0 src1_sel:BYTE_0
	s_or_b64 s[48:49], s[48:49], s[54:55]
	s_and_saveexec_b64 s[54:55], s[56:57]
	s_cbranch_execz .LBB9_372
; %bb.374:                              ;   in Loop: Header=BB9_373 Depth=1
	s_add_u32 s46, s46, -1
	s_addc_u32 s47, s47, -1
	s_cmp_eq_u64 s[46:47], 0
	s_cselect_b64 s[50:51], -1, 0
	s_andn2_b64 s[44:45], s[44:45], exec
	s_and_b64 s[50:51], s[50:51], exec
	v_lshl_add_u64 v[6:7], v[6:7], 0, 1
	v_lshl_add_u64 v[8:9], v[8:9], 0, 1
	s_andn2_b64 s[48:49], s[48:49], exec
	s_or_b64 s[44:45], s[44:45], s[50:51]
                                        ; implicit-def: $sgpr50_sgpr51
	s_branch .LBB9_372
.LBB9_375:
	s_or_b64 exec, exec, s[40:41]
	s_xor_b64 s[40:41], s[42:43], -1
	s_branch .LBB9_377
.LBB9_376:
	s_mov_b64 s[40:41], -1
.LBB9_377:
	s_and_b64 s[40:41], s[40:41], exec
.LBB9_378:
	s_or_b64 exec, exec, s[26:27]
	s_orn2_b64 s[26:27], s[40:41], exec
.LBB9_379:
	s_or_b64 exec, exec, s[34:35]
	v_cndmask_b32_e64 v11, v10, v11, s[20:21]
	v_cndmask_b32_e64 v10, v17, v23, s[20:21]
	;; [unrolled: 1-line block ×8, first 2 shown]
	v_add_u32_e32 v24, 1, v14
	v_add_u32_e32 v14, -1, v15
	v_min_u32_e32 v14, v24, v14
	v_lshl_add_u32 v14, v14, 3, v35
	ds_read_b64 v[22:23], v14
	v_cndmask_b32_e64 v25, v24, v50, s[26:27]
	v_cndmask_b32_e64 v9, v43, v45, s[28:29]
	;; [unrolled: 1-line block ×9, first 2 shown]
	s_waitcnt lgkmcnt(0)
	v_cndmask_b32_e64 v5, v51, v23, s[26:27]
	v_cndmask_b32_e64 v4, v52, v22, s[26:27]
	v_cmp_lt_u32_e32 vcc, v25, v27
	s_and_saveexec_b64 s[4:5], vcc
	s_cbranch_execz .LBB9_389
; %bb.380:
	v_cndmask_b32_e64 v24, v49, v24, s[26:27]
	v_cndmask_b32_e64 v23, v23, v47, s[26:27]
	v_cndmask_b32_e64 v22, v22, v48, s[26:27]
	v_cmp_lt_u32_e32 vcc, v24, v26
	s_and_saveexec_b64 s[12:13], vcc
	s_cbranch_execz .LBB9_388
; %bb.381:
	s_and_b64 vcc, exec, s[0:1]
	s_cbranch_vccnz .LBB9_387
; %bb.382:
	v_mov_b64_e32 v[26:27], s[38:39]
	v_mad_u64_u32 v[24:25], s[20:21], v22, s36, v[26:27]
	v_mul_lo_u32 v39, v22, s37
	v_mul_lo_u32 v40, v23, s36
	v_add3_u32 v25, v40, v25, v39
	v_mad_u64_u32 v[26:27], s[20:21], v4, s36, v[26:27]
	v_mul_lo_u32 v39, v4, s37
	v_mul_lo_u32 v40, v5, s36
	v_add3_u32 v27, v40, v27, v39
	s_mov_b64 s[20:21], 0
	s_mov_b64 s[26:27], s[36:37]
                                        ; implicit-def: $sgpr22_sgpr23
                                        ; implicit-def: $sgpr24_sgpr25
                                        ; implicit-def: $sgpr28_sgpr29
                                        ; implicit-def: $sgpr34_sgpr35
	s_branch .LBB9_384
.LBB9_383:                              ;   in Loop: Header=BB9_384 Depth=1
	s_or_b64 exec, exec, s[42:43]
	s_and_b64 s[42:43], exec, s[24:25]
	s_or_b64 s[20:21], s[42:43], s[20:21]
	s_andn2_b64 s[34:35], s[34:35], exec
	s_and_b64 s[40:41], s[40:41], exec
	s_or_b64 s[34:35], s[34:35], s[40:41]
	s_andn2_b64 s[22:23], s[22:23], exec
	s_and_b64 s[40:41], s[28:29], exec
	s_or_b64 s[22:23], s[22:23], s[40:41]
	s_andn2_b64 exec, exec, s[20:21]
	s_cbranch_execz .LBB9_386
.LBB9_384:                              ; =>This Inner Loop Header: Depth=1
	global_load_ubyte v39, v[24:25], off
	global_load_ubyte v40, v[26:27], off
	s_andn2_b64 s[28:29], s[28:29], exec
	s_or_b64 s[24:25], s[24:25], exec
	s_waitcnt vmcnt(0)
	v_cmp_le_u16_sdwa s[42:43], v39, v40 src0_sel:BYTE_0 src1_sel:BYTE_0
	v_cmp_lt_u16_sdwa s[40:41], v39, v40 src0_sel:BYTE_0 src1_sel:BYTE_0
	s_and_b64 s[42:43], s[42:43], s[34:35]
	s_or_b64 s[40:41], s[40:41], s[42:43]
	s_and_b64 s[42:43], s[40:41], exec
	v_cmp_eq_u16_sdwa s[44:45], v39, v40 src0_sel:BYTE_0 src1_sel:BYTE_0
	s_or_b64 s[28:29], s[28:29], s[42:43]
	s_and_saveexec_b64 s[42:43], s[44:45]
	s_cbranch_execz .LBB9_383
; %bb.385:                              ;   in Loop: Header=BB9_384 Depth=1
	s_add_u32 s26, s26, -1
	s_addc_u32 s27, s27, -1
	s_cmp_eq_u64 s[26:27], 0
	s_cselect_b64 s[34:35], -1, 0
	s_andn2_b64 s[24:25], s[24:25], exec
	s_and_b64 s[34:35], s[34:35], exec
	v_lshl_add_u64 v[24:25], v[24:25], 0, 1
	v_lshl_add_u64 v[26:27], v[26:27], 0, 1
	s_andn2_b64 s[28:29], s[28:29], exec
	s_or_b64 s[24:25], s[24:25], s[34:35]
                                        ; implicit-def: $sgpr34_sgpr35
	s_branch .LBB9_383
.LBB9_386:
	s_or_b64 exec, exec, s[20:21]
	v_cndmask_b32_e64 v5, v5, v23, s[22:23]
	v_cndmask_b32_e64 v4, v4, v22, s[22:23]
.LBB9_387:
	v_mov_b64_e32 v[22:23], v[4:5]
.LBB9_388:
	s_or_b64 exec, exec, s[12:13]
	v_mov_b64_e32 v[4:5], v[22:23]
.LBB9_389:
	s_or_b64 exec, exec, s[4:5]
.LBB9_390:
	s_or_b64 exec, exec, s[10:11]
	v_and_b32_e32 v41, 0x3c0, v37
	v_or_b32_e32 v22, 32, v41
	v_min_u32_e32 v26, v36, v22
	v_add_u32_e32 v22, 32, v26
	v_min_u32_e32 v27, v36, v22
	v_and_b32_e32 v22, 56, v37
	v_min_u32_e32 v42, v36, v22
	v_sub_u32_e32 v22, v26, v41
	v_sub_u32_e32 v23, v27, v26
	v_sub_u32_e64 v40, v42, v23 clamp
	v_min_u32_e32 v43, v42, v22
	v_lshl_add_u32 v39, v41, 3, v35
	v_cmp_lt_u32_e32 vcc, v40, v43
	; wave barrier
	ds_write_b128 v38, v[14:17]
	ds_write_b128 v38, v[10:13] offset:16
	ds_write_b128 v38, v[6:9] offset:32
	;; [unrolled: 1-line block ×3, first 2 shown]
	; wave barrier
	s_and_saveexec_b64 s[4:5], vcc
	s_cbranch_execz .LBB9_400
; %bb.391:
	v_lshlrev_b32_e32 v22, 3, v26
	v_lshlrev_b32_e32 v23, 3, v42
	v_add3_u32 v44, v35, v22, v23
	s_mov_b64 s[10:11], 0
	s_branch .LBB9_394
.LBB9_392:                              ;   in Loop: Header=BB9_394 Depth=1
	s_or_b64 exec, exec, s[20:21]
.LBB9_393:                              ;   in Loop: Header=BB9_394 Depth=1
	v_add_u32_e32 v22, 1, v45
	v_cndmask_b32_e64 v43, v43, v45, s[12:13]
	v_cndmask_b32_e64 v40, v22, v40, s[12:13]
	v_cmp_ge_u32_e32 vcc, v40, v43
	s_or_b64 s[10:11], vcc, s[10:11]
	s_andn2_b64 exec, exec, s[10:11]
	s_cbranch_execz .LBB9_399
.LBB9_394:                              ; =>This Loop Header: Depth=1
                                        ;     Child Loop BB9_397 Depth 2
	v_add_u32_e32 v22, v43, v40
	v_lshrrev_b32_e32 v45, 1, v22
	s_and_b64 vcc, exec, s[0:1]
	s_mov_b64 s[12:13], 0
	s_cbranch_vccnz .LBB9_393
; %bb.395:                              ;   in Loop: Header=BB9_394 Depth=1
	v_not_b32_e32 v22, v45
	v_lshl_add_u32 v22, v22, 3, v44
	ds_read_b64 v[22:23], v22
	v_lshl_add_u32 v46, v45, 3, v39
	ds_read_b64 v[46:47], v46
	v_mov_b64_e32 v[24:25], s[38:39]
	s_mov_b64 s[20:21], 0
	s_waitcnt lgkmcnt(1)
	v_mul_lo_u32 v48, v22, s37
	v_mul_lo_u32 v49, v23, s36
	v_mad_u64_u32 v[22:23], s[12:13], v22, s36, v[24:25]
	v_add3_u32 v23, v49, v23, v48
	s_waitcnt lgkmcnt(0)
	v_mul_lo_u32 v48, v46, s37
	v_mul_lo_u32 v47, v47, s36
	v_mad_u64_u32 v[24:25], s[12:13], v46, s36, v[24:25]
	v_add3_u32 v25, v47, v25, v48
	s_mov_b64 s[24:25], s[36:37]
                                        ; implicit-def: $sgpr12_sgpr13
                                        ; implicit-def: $sgpr22_sgpr23
                                        ; implicit-def: $sgpr26_sgpr27
                                        ; implicit-def: $sgpr28_sgpr29
	s_branch .LBB9_397
.LBB9_396:                              ;   in Loop: Header=BB9_397 Depth=2
	s_or_b64 exec, exec, s[40:41]
	s_and_b64 s[40:41], exec, s[22:23]
	s_or_b64 s[20:21], s[40:41], s[20:21]
	s_andn2_b64 s[28:29], s[28:29], exec
	s_and_b64 s[34:35], s[34:35], exec
	s_or_b64 s[28:29], s[28:29], s[34:35]
	s_andn2_b64 s[12:13], s[12:13], exec
	s_and_b64 s[34:35], s[26:27], exec
	s_or_b64 s[12:13], s[12:13], s[34:35]
	s_andn2_b64 exec, exec, s[20:21]
	s_cbranch_execz .LBB9_392
.LBB9_397:                              ;   Parent Loop BB9_394 Depth=1
                                        ; =>  This Inner Loop Header: Depth=2
	global_load_ubyte v46, v[22:23], off
	global_load_ubyte v47, v[24:25], off
	s_andn2_b64 s[26:27], s[26:27], exec
	s_or_b64 s[22:23], s[22:23], exec
	s_waitcnt vmcnt(0)
	v_cmp_le_u16_sdwa s[40:41], v46, v47 src0_sel:BYTE_0 src1_sel:BYTE_0
	v_cmp_lt_u16_sdwa s[34:35], v46, v47 src0_sel:BYTE_0 src1_sel:BYTE_0
	s_and_b64 s[40:41], s[40:41], s[28:29]
	s_or_b64 s[34:35], s[34:35], s[40:41]
	s_and_b64 s[40:41], s[34:35], exec
	v_cmp_eq_u16_sdwa s[42:43], v46, v47 src0_sel:BYTE_0 src1_sel:BYTE_0
	s_or_b64 s[26:27], s[26:27], s[40:41]
	s_and_saveexec_b64 s[40:41], s[42:43]
	s_cbranch_execz .LBB9_396
; %bb.398:                              ;   in Loop: Header=BB9_397 Depth=2
	s_add_u32 s24, s24, -1
	s_addc_u32 s25, s25, -1
	s_cmp_eq_u64 s[24:25], 0
	s_cselect_b64 s[28:29], -1, 0
	s_andn2_b64 s[22:23], s[22:23], exec
	s_and_b64 s[28:29], s[28:29], exec
	v_lshl_add_u64 v[22:23], v[22:23], 0, 1
	v_lshl_add_u64 v[24:25], v[24:25], 0, 1
	s_andn2_b64 s[26:27], s[26:27], exec
	s_or_b64 s[22:23], s[22:23], s[28:29]
                                        ; implicit-def: $sgpr28_sgpr29
	s_branch .LBB9_396
.LBB9_399:
	s_or_b64 exec, exec, s[10:11]
.LBB9_400:
	s_or_b64 exec, exec, s[4:5]
	v_add_u32_e32 v22, v26, v42
	v_add_u32_e32 v23, v40, v41
	v_sub_u32_e32 v24, v22, v40
	v_cmp_le_u32_e32 vcc, v23, v26
	v_cmp_le_u32_e64 s[4:5], v24, v27
	s_or_b64 s[4:5], vcc, s[4:5]
	s_and_saveexec_b64 s[10:11], s[4:5]
	s_cbranch_execz .LBB9_491
; %bb.401:
	v_cmp_ge_u32_e32 vcc, v23, v26
	v_cmp_lt_u32_e64 s[4:5], v23, v26
                                        ; implicit-def: $vgpr2_vgpr3
	s_and_saveexec_b64 s[12:13], s[4:5]
; %bb.402:
	v_lshl_add_u32 v2, v40, 3, v39
	ds_read_b64 v[2:3], v2
; %bb.403:
	s_or_b64 exec, exec, s[12:13]
	v_cmp_ge_u32_e64 s[12:13], v24, v27
	v_cmp_lt_u32_e64 s[4:5], v24, v27
                                        ; implicit-def: $vgpr4_vgpr5
	s_and_saveexec_b64 s[20:21], s[4:5]
; %bb.404:
	v_lshl_add_u32 v4, v24, 3, v35
	ds_read_b64 v[4:5], v4
; %bb.405:
	s_or_b64 exec, exec, s[20:21]
	s_nor_b64 s[20:21], vcc, s[12:13]
	s_and_saveexec_b64 s[4:5], s[20:21]
	s_cbranch_execz .LBB9_414
; %bb.406:
	s_and_b64 vcc, exec, s[0:1]
	s_cbranch_vccnz .LBB9_412
; %bb.407:
	v_mov_b64_e32 v[8:9], s[38:39]
	s_waitcnt lgkmcnt(0)
	v_mad_u64_u32 v[6:7], s[20:21], v4, s36, v[8:9]
	v_mul_lo_u32 v10, v4, s37
	v_mul_lo_u32 v11, v5, s36
	v_add3_u32 v7, v11, v7, v10
	v_mad_u64_u32 v[8:9], s[20:21], v2, s36, v[8:9]
	v_mul_lo_u32 v10, v2, s37
	v_mul_lo_u32 v11, v3, s36
	v_add3_u32 v9, v11, v9, v10
	s_mov_b64 s[20:21], 0
	s_mov_b64 s[26:27], s[36:37]
                                        ; implicit-def: $sgpr22_sgpr23
                                        ; implicit-def: $sgpr24_sgpr25
                                        ; implicit-def: $sgpr28_sgpr29
                                        ; implicit-def: $sgpr34_sgpr35
	s_branch .LBB9_409
.LBB9_408:                              ;   in Loop: Header=BB9_409 Depth=1
	s_or_b64 exec, exec, s[42:43]
	s_and_b64 s[42:43], exec, s[24:25]
	s_or_b64 s[20:21], s[42:43], s[20:21]
	s_andn2_b64 s[34:35], s[34:35], exec
	s_and_b64 s[40:41], s[40:41], exec
	s_or_b64 s[34:35], s[34:35], s[40:41]
	s_andn2_b64 s[22:23], s[22:23], exec
	s_and_b64 s[40:41], s[28:29], exec
	s_or_b64 s[22:23], s[22:23], s[40:41]
	s_andn2_b64 exec, exec, s[20:21]
	s_cbranch_execz .LBB9_411
.LBB9_409:                              ; =>This Inner Loop Header: Depth=1
	global_load_ubyte v10, v[6:7], off
	global_load_ubyte v11, v[8:9], off
	s_andn2_b64 s[28:29], s[28:29], exec
	s_or_b64 s[24:25], s[24:25], exec
	s_waitcnt vmcnt(0)
	v_cmp_le_u16_sdwa s[42:43], v10, v11 src0_sel:BYTE_0 src1_sel:BYTE_0
	v_cmp_lt_u16_sdwa s[40:41], v10, v11 src0_sel:BYTE_0 src1_sel:BYTE_0
	s_and_b64 s[42:43], s[42:43], s[34:35]
	s_or_b64 s[40:41], s[40:41], s[42:43]
	s_and_b64 s[42:43], s[40:41], exec
	v_cmp_eq_u16_sdwa s[44:45], v10, v11 src0_sel:BYTE_0 src1_sel:BYTE_0
	s_or_b64 s[28:29], s[28:29], s[42:43]
	s_and_saveexec_b64 s[42:43], s[44:45]
	s_cbranch_execz .LBB9_408
; %bb.410:                              ;   in Loop: Header=BB9_409 Depth=1
	s_add_u32 s26, s26, -1
	s_addc_u32 s27, s27, -1
	s_cmp_eq_u64 s[26:27], 0
	s_cselect_b64 s[34:35], -1, 0
	s_andn2_b64 s[24:25], s[24:25], exec
	s_and_b64 s[34:35], s[34:35], exec
	v_lshl_add_u64 v[6:7], v[6:7], 0, 1
	v_lshl_add_u64 v[8:9], v[8:9], 0, 1
	s_andn2_b64 s[28:29], s[28:29], exec
	s_or_b64 s[24:25], s[24:25], s[34:35]
                                        ; implicit-def: $sgpr34_sgpr35
	s_branch .LBB9_408
.LBB9_411:
	s_or_b64 exec, exec, s[20:21]
	s_xor_b64 s[20:21], s[22:23], -1
	s_branch .LBB9_413
.LBB9_412:
	s_mov_b64 s[20:21], -1
.LBB9_413:
	s_andn2_b64 s[12:13], s[12:13], exec
	s_and_b64 s[20:21], s[20:21], exec
	s_or_b64 s[12:13], s[12:13], s[20:21]
.LBB9_414:
	s_or_b64 exec, exec, s[4:5]
	v_cndmask_b32_e64 v6, v24, v23, s[12:13]
	v_cndmask_b32_e64 v7, v27, v26, s[12:13]
	v_add_u32_e32 v8, 1, v6
	v_add_u32_e32 v6, -1, v7
	v_min_u32_e32 v6, v8, v6
	v_lshl_add_u32 v6, v6, 3, v35
	ds_read_b64 v[6:7], v6
	v_cndmask_b32_e64 v12, v8, v24, s[12:13]
	v_cndmask_b32_e64 v13, v23, v8, s[12:13]
	v_cmp_lt_u32_e32 vcc, v12, v27
	s_mov_b64 s[20:21], -1
	s_waitcnt lgkmcnt(0)
	v_cndmask_b32_e64 v14, v7, v5, s[12:13]
	v_cndmask_b32_e64 v15, v6, v4, s[12:13]
	;; [unrolled: 1-line block ×4, first 2 shown]
	s_mov_b64 s[4:5], -1
	s_and_saveexec_b64 s[22:23], vcc
	s_cbranch_execz .LBB9_425
; %bb.415:
	v_cmp_lt_u32_e32 vcc, v13, v26
	s_mov_b64 s[24:25], 0
	s_and_saveexec_b64 s[4:5], vcc
	s_cbranch_execz .LBB9_424
; %bb.416:
	s_and_b64 vcc, exec, s[0:1]
	s_cbranch_vccnz .LBB9_422
; %bb.417:
	v_mov_b64_e32 v[8:9], s[38:39]
	v_mad_u64_u32 v[6:7], s[24:25], v15, s36, v[8:9]
	v_mul_lo_u32 v10, v15, s37
	v_mul_lo_u32 v11, v14, s36
	v_add3_u32 v7, v11, v7, v10
	v_mad_u64_u32 v[8:9], s[24:25], v22, s36, v[8:9]
	v_mul_lo_u32 v10, v22, s37
	v_mul_lo_u32 v11, v16, s36
	v_add3_u32 v9, v11, v9, v10
	s_mov_b64 s[24:25], 0
	s_mov_b64 s[34:35], s[36:37]
                                        ; implicit-def: $sgpr26_sgpr27
                                        ; implicit-def: $sgpr28_sgpr29
                                        ; implicit-def: $sgpr40_sgpr41
                                        ; implicit-def: $sgpr42_sgpr43
	s_branch .LBB9_419
.LBB9_418:                              ;   in Loop: Header=BB9_419 Depth=1
	s_or_b64 exec, exec, s[46:47]
	s_and_b64 s[46:47], exec, s[28:29]
	s_or_b64 s[24:25], s[46:47], s[24:25]
	s_andn2_b64 s[42:43], s[42:43], exec
	s_and_b64 s[44:45], s[44:45], exec
	s_or_b64 s[42:43], s[42:43], s[44:45]
	s_andn2_b64 s[26:27], s[26:27], exec
	s_and_b64 s[44:45], s[40:41], exec
	s_or_b64 s[26:27], s[26:27], s[44:45]
	s_andn2_b64 exec, exec, s[24:25]
	s_cbranch_execz .LBB9_421
.LBB9_419:                              ; =>This Inner Loop Header: Depth=1
	global_load_ubyte v10, v[6:7], off
	global_load_ubyte v11, v[8:9], off
	s_andn2_b64 s[40:41], s[40:41], exec
	s_or_b64 s[28:29], s[28:29], exec
	s_waitcnt vmcnt(0)
	v_cmp_le_u16_sdwa s[46:47], v10, v11 src0_sel:BYTE_0 src1_sel:BYTE_0
	v_cmp_lt_u16_sdwa s[44:45], v10, v11 src0_sel:BYTE_0 src1_sel:BYTE_0
	s_and_b64 s[46:47], s[46:47], s[42:43]
	s_or_b64 s[44:45], s[44:45], s[46:47]
	s_and_b64 s[46:47], s[44:45], exec
	v_cmp_eq_u16_sdwa s[48:49], v10, v11 src0_sel:BYTE_0 src1_sel:BYTE_0
	s_or_b64 s[40:41], s[40:41], s[46:47]
	s_and_saveexec_b64 s[46:47], s[48:49]
	s_cbranch_execz .LBB9_418
; %bb.420:                              ;   in Loop: Header=BB9_419 Depth=1
	s_add_u32 s34, s34, -1
	s_addc_u32 s35, s35, -1
	s_cmp_eq_u64 s[34:35], 0
	s_cselect_b64 s[42:43], -1, 0
	s_andn2_b64 s[28:29], s[28:29], exec
	s_and_b64 s[42:43], s[42:43], exec
	v_lshl_add_u64 v[6:7], v[6:7], 0, 1
	v_lshl_add_u64 v[8:9], v[8:9], 0, 1
	s_andn2_b64 s[40:41], s[40:41], exec
	s_or_b64 s[28:29], s[28:29], s[42:43]
                                        ; implicit-def: $sgpr42_sgpr43
	s_branch .LBB9_418
.LBB9_421:
	s_or_b64 exec, exec, s[24:25]
	s_xor_b64 s[24:25], s[26:27], -1
	s_branch .LBB9_423
.LBB9_422:
	s_mov_b64 s[24:25], -1
.LBB9_423:
	s_and_b64 s[24:25], s[24:25], exec
.LBB9_424:
	s_or_b64 exec, exec, s[4:5]
	s_orn2_b64 s[4:5], s[24:25], exec
.LBB9_425:
	s_or_b64 exec, exec, s[22:23]
	v_cndmask_b32_e64 v6, v12, v13, s[4:5]
	v_cndmask_b32_e64 v7, v27, v26, s[4:5]
	v_add_u32_e32 v8, 1, v6
	v_add_u32_e32 v6, -1, v7
	v_min_u32_e32 v6, v8, v6
	v_lshl_add_u32 v6, v6, 3, v35
	ds_read_b64 v[6:7], v6
	v_cndmask_b32_e64 v39, v8, v12, s[4:5]
	v_cndmask_b32_e64 v40, v13, v8, s[4:5]
	v_cmp_lt_u32_e32 vcc, v39, v27
	s_waitcnt lgkmcnt(0)
	v_cndmask_b32_e64 v10, v7, v14, s[4:5]
	v_cndmask_b32_e64 v17, v6, v15, s[4:5]
	;; [unrolled: 1-line block ×4, first 2 shown]
	s_and_saveexec_b64 s[22:23], vcc
	s_cbranch_execz .LBB9_436
; %bb.426:
	v_cmp_lt_u32_e32 vcc, v40, v26
	s_mov_b64 s[24:25], 0
	s_and_saveexec_b64 s[20:21], vcc
	s_cbranch_execz .LBB9_435
; %bb.427:
	s_and_b64 vcc, exec, s[0:1]
	s_cbranch_vccnz .LBB9_433
; %bb.428:
	v_mov_b64_e32 v[8:9], s[38:39]
	v_mad_u64_u32 v[6:7], s[24:25], v17, s36, v[8:9]
	v_mul_lo_u32 v12, v17, s37
	v_mul_lo_u32 v13, v10, s36
	v_add3_u32 v7, v13, v7, v12
	v_mad_u64_u32 v[8:9], s[24:25], v23, s36, v[8:9]
	v_mul_lo_u32 v12, v23, s37
	v_mul_lo_u32 v13, v11, s36
	v_add3_u32 v9, v13, v9, v12
	s_mov_b64 s[24:25], 0
	s_mov_b64 s[34:35], s[36:37]
                                        ; implicit-def: $sgpr26_sgpr27
                                        ; implicit-def: $sgpr28_sgpr29
                                        ; implicit-def: $sgpr40_sgpr41
                                        ; implicit-def: $sgpr42_sgpr43
	s_branch .LBB9_430
.LBB9_429:                              ;   in Loop: Header=BB9_430 Depth=1
	s_or_b64 exec, exec, s[46:47]
	s_and_b64 s[46:47], exec, s[28:29]
	s_or_b64 s[24:25], s[46:47], s[24:25]
	s_andn2_b64 s[42:43], s[42:43], exec
	s_and_b64 s[44:45], s[44:45], exec
	s_or_b64 s[42:43], s[42:43], s[44:45]
	s_andn2_b64 s[26:27], s[26:27], exec
	s_and_b64 s[44:45], s[40:41], exec
	s_or_b64 s[26:27], s[26:27], s[44:45]
	s_andn2_b64 exec, exec, s[24:25]
	s_cbranch_execz .LBB9_432
.LBB9_430:                              ; =>This Inner Loop Header: Depth=1
	global_load_ubyte v12, v[6:7], off
	global_load_ubyte v13, v[8:9], off
	s_andn2_b64 s[40:41], s[40:41], exec
	s_or_b64 s[28:29], s[28:29], exec
	s_waitcnt vmcnt(0)
	v_cmp_le_u16_sdwa s[46:47], v12, v13 src0_sel:BYTE_0 src1_sel:BYTE_0
	v_cmp_lt_u16_sdwa s[44:45], v12, v13 src0_sel:BYTE_0 src1_sel:BYTE_0
	s_and_b64 s[46:47], s[46:47], s[42:43]
	s_or_b64 s[44:45], s[44:45], s[46:47]
	s_and_b64 s[46:47], s[44:45], exec
	v_cmp_eq_u16_sdwa s[48:49], v12, v13 src0_sel:BYTE_0 src1_sel:BYTE_0
	s_or_b64 s[40:41], s[40:41], s[46:47]
	s_and_saveexec_b64 s[46:47], s[48:49]
	s_cbranch_execz .LBB9_429
; %bb.431:                              ;   in Loop: Header=BB9_430 Depth=1
	s_add_u32 s34, s34, -1
	s_addc_u32 s35, s35, -1
	s_cmp_eq_u64 s[34:35], 0
	s_cselect_b64 s[42:43], -1, 0
	s_andn2_b64 s[28:29], s[28:29], exec
	s_and_b64 s[42:43], s[42:43], exec
	v_lshl_add_u64 v[6:7], v[6:7], 0, 1
	v_lshl_add_u64 v[8:9], v[8:9], 0, 1
	s_andn2_b64 s[40:41], s[40:41], exec
	s_or_b64 s[28:29], s[28:29], s[42:43]
                                        ; implicit-def: $sgpr42_sgpr43
	s_branch .LBB9_429
.LBB9_432:
	s_or_b64 exec, exec, s[24:25]
	s_xor_b64 s[24:25], s[26:27], -1
	s_branch .LBB9_434
.LBB9_433:
	s_mov_b64 s[24:25], -1
.LBB9_434:
	s_and_b64 s[24:25], s[24:25], exec
.LBB9_435:
	s_or_b64 exec, exec, s[20:21]
	s_orn2_b64 s[20:21], s[24:25], exec
.LBB9_436:
	s_or_b64 exec, exec, s[22:23]
	v_cndmask_b32_e64 v6, v39, v40, s[20:21]
	v_cndmask_b32_e64 v7, v27, v26, s[20:21]
	v_add_u32_e32 v8, 1, v6
	v_add_u32_e32 v6, -1, v7
	v_min_u32_e32 v6, v8, v6
	v_lshl_add_u32 v6, v6, 3, v35
	ds_read_b64 v[6:7], v6
	v_cndmask_b32_e64 v43, v8, v39, s[20:21]
	v_cndmask_b32_e64 v44, v40, v8, s[20:21]
	v_cmp_lt_u32_e32 vcc, v43, v27
	s_mov_b64 s[24:25], -1
	s_waitcnt lgkmcnt(0)
	v_cndmask_b32_e64 v12, v7, v10, s[20:21]
	v_cndmask_b32_e64 v24, v6, v17, s[20:21]
	;; [unrolled: 1-line block ×4, first 2 shown]
	s_mov_b64 s[22:23], -1
	s_and_saveexec_b64 s[26:27], vcc
	s_cbranch_execz .LBB9_447
; %bb.437:
	v_cmp_lt_u32_e32 vcc, v44, v26
	s_mov_b64 s[28:29], 0
	s_and_saveexec_b64 s[22:23], vcc
	s_cbranch_execz .LBB9_446
; %bb.438:
	s_and_b64 vcc, exec, s[0:1]
	s_cbranch_vccnz .LBB9_444
; %bb.439:
	v_mov_b64_e32 v[8:9], s[38:39]
	v_mad_u64_u32 v[6:7], s[28:29], v24, s36, v[8:9]
	v_mul_lo_u32 v39, v24, s37
	v_mul_lo_u32 v40, v12, s36
	v_add3_u32 v7, v40, v7, v39
	v_mad_u64_u32 v[8:9], s[28:29], v25, s36, v[8:9]
	v_mul_lo_u32 v39, v25, s37
	v_mul_lo_u32 v40, v13, s36
	v_add3_u32 v9, v40, v9, v39
	s_mov_b64 s[28:29], 0
	s_mov_b64 s[42:43], s[36:37]
                                        ; implicit-def: $sgpr34_sgpr35
                                        ; implicit-def: $sgpr40_sgpr41
                                        ; implicit-def: $sgpr44_sgpr45
                                        ; implicit-def: $sgpr46_sgpr47
	s_branch .LBB9_441
.LBB9_440:                              ;   in Loop: Header=BB9_441 Depth=1
	s_or_b64 exec, exec, s[50:51]
	s_and_b64 s[50:51], exec, s[40:41]
	s_or_b64 s[28:29], s[50:51], s[28:29]
	s_andn2_b64 s[46:47], s[46:47], exec
	s_and_b64 s[48:49], s[48:49], exec
	s_or_b64 s[46:47], s[46:47], s[48:49]
	s_andn2_b64 s[34:35], s[34:35], exec
	s_and_b64 s[48:49], s[44:45], exec
	s_or_b64 s[34:35], s[34:35], s[48:49]
	s_andn2_b64 exec, exec, s[28:29]
	s_cbranch_execz .LBB9_443
.LBB9_441:                              ; =>This Inner Loop Header: Depth=1
	global_load_ubyte v39, v[6:7], off
	global_load_ubyte v40, v[8:9], off
	s_andn2_b64 s[44:45], s[44:45], exec
	s_or_b64 s[40:41], s[40:41], exec
	s_waitcnt vmcnt(0)
	v_cmp_le_u16_sdwa s[50:51], v39, v40 src0_sel:BYTE_0 src1_sel:BYTE_0
	v_cmp_lt_u16_sdwa s[48:49], v39, v40 src0_sel:BYTE_0 src1_sel:BYTE_0
	s_and_b64 s[50:51], s[50:51], s[46:47]
	s_or_b64 s[48:49], s[48:49], s[50:51]
	s_and_b64 s[50:51], s[48:49], exec
	v_cmp_eq_u16_sdwa s[52:53], v39, v40 src0_sel:BYTE_0 src1_sel:BYTE_0
	s_or_b64 s[44:45], s[44:45], s[50:51]
	s_and_saveexec_b64 s[50:51], s[52:53]
	s_cbranch_execz .LBB9_440
; %bb.442:                              ;   in Loop: Header=BB9_441 Depth=1
	s_add_u32 s42, s42, -1
	s_addc_u32 s43, s43, -1
	s_cmp_eq_u64 s[42:43], 0
	s_cselect_b64 s[46:47], -1, 0
	s_andn2_b64 s[40:41], s[40:41], exec
	s_and_b64 s[46:47], s[46:47], exec
	v_lshl_add_u64 v[6:7], v[6:7], 0, 1
	v_lshl_add_u64 v[8:9], v[8:9], 0, 1
	s_andn2_b64 s[44:45], s[44:45], exec
	s_or_b64 s[40:41], s[40:41], s[46:47]
                                        ; implicit-def: $sgpr46_sgpr47
	s_branch .LBB9_440
.LBB9_443:
	s_or_b64 exec, exec, s[28:29]
	s_xor_b64 s[28:29], s[34:35], -1
	s_branch .LBB9_445
.LBB9_444:
	s_mov_b64 s[28:29], -1
.LBB9_445:
	s_and_b64 s[28:29], s[28:29], exec
.LBB9_446:
	s_or_b64 exec, exec, s[22:23]
	s_orn2_b64 s[22:23], s[28:29], exec
.LBB9_447:
	s_or_b64 exec, exec, s[26:27]
	v_cndmask_b32_e64 v6, v43, v44, s[22:23]
	v_cndmask_b32_e64 v7, v27, v26, s[22:23]
	v_add_u32_e32 v8, 1, v6
	v_add_u32_e32 v6, -1, v7
	v_min_u32_e32 v6, v8, v6
	v_lshl_add_u32 v6, v6, 3, v35
	ds_read_b64 v[6:7], v6
	v_cndmask_b32_e64 v47, v8, v43, s[22:23]
	v_cndmask_b32_e64 v48, v44, v8, s[22:23]
	v_cmp_lt_u32_e32 vcc, v47, v27
	s_waitcnt lgkmcnt(0)
	v_cndmask_b32_e64 v39, v7, v12, s[22:23]
	v_cndmask_b32_e64 v40, v6, v24, s[22:23]
	;; [unrolled: 1-line block ×4, first 2 shown]
	s_and_saveexec_b64 s[26:27], vcc
	s_cbranch_execz .LBB9_458
; %bb.448:
	v_cmp_lt_u32_e32 vcc, v48, v26
	s_mov_b64 s[28:29], 0
	s_and_saveexec_b64 s[24:25], vcc
	s_cbranch_execz .LBB9_457
; %bb.449:
	s_and_b64 vcc, exec, s[0:1]
	s_cbranch_vccnz .LBB9_455
; %bb.450:
	v_mov_b64_e32 v[8:9], s[38:39]
	v_mad_u64_u32 v[6:7], s[28:29], v40, s36, v[8:9]
	v_mul_lo_u32 v43, v40, s37
	v_mul_lo_u32 v44, v39, s36
	v_add3_u32 v7, v44, v7, v43
	v_mad_u64_u32 v[8:9], s[28:29], v42, s36, v[8:9]
	v_mul_lo_u32 v43, v42, s37
	v_mul_lo_u32 v44, v41, s36
	v_add3_u32 v9, v44, v9, v43
	s_mov_b64 s[28:29], 0
	s_mov_b64 s[42:43], s[36:37]
                                        ; implicit-def: $sgpr34_sgpr35
                                        ; implicit-def: $sgpr40_sgpr41
                                        ; implicit-def: $sgpr44_sgpr45
                                        ; implicit-def: $sgpr46_sgpr47
	s_branch .LBB9_452
.LBB9_451:                              ;   in Loop: Header=BB9_452 Depth=1
	s_or_b64 exec, exec, s[50:51]
	s_and_b64 s[50:51], exec, s[40:41]
	s_or_b64 s[28:29], s[50:51], s[28:29]
	s_andn2_b64 s[46:47], s[46:47], exec
	s_and_b64 s[48:49], s[48:49], exec
	s_or_b64 s[46:47], s[46:47], s[48:49]
	s_andn2_b64 s[34:35], s[34:35], exec
	s_and_b64 s[48:49], s[44:45], exec
	s_or_b64 s[34:35], s[34:35], s[48:49]
	s_andn2_b64 exec, exec, s[28:29]
	s_cbranch_execz .LBB9_454
.LBB9_452:                              ; =>This Inner Loop Header: Depth=1
	global_load_ubyte v43, v[6:7], off
	global_load_ubyte v44, v[8:9], off
	s_andn2_b64 s[44:45], s[44:45], exec
	s_or_b64 s[40:41], s[40:41], exec
	s_waitcnt vmcnt(0)
	v_cmp_le_u16_sdwa s[50:51], v43, v44 src0_sel:BYTE_0 src1_sel:BYTE_0
	v_cmp_lt_u16_sdwa s[48:49], v43, v44 src0_sel:BYTE_0 src1_sel:BYTE_0
	s_and_b64 s[50:51], s[50:51], s[46:47]
	s_or_b64 s[48:49], s[48:49], s[50:51]
	s_and_b64 s[50:51], s[48:49], exec
	v_cmp_eq_u16_sdwa s[52:53], v43, v44 src0_sel:BYTE_0 src1_sel:BYTE_0
	s_or_b64 s[44:45], s[44:45], s[50:51]
	s_and_saveexec_b64 s[50:51], s[52:53]
	s_cbranch_execz .LBB9_451
; %bb.453:                              ;   in Loop: Header=BB9_452 Depth=1
	s_add_u32 s42, s42, -1
	s_addc_u32 s43, s43, -1
	s_cmp_eq_u64 s[42:43], 0
	s_cselect_b64 s[46:47], -1, 0
	s_andn2_b64 s[40:41], s[40:41], exec
	s_and_b64 s[46:47], s[46:47], exec
	v_lshl_add_u64 v[6:7], v[6:7], 0, 1
	v_lshl_add_u64 v[8:9], v[8:9], 0, 1
	s_andn2_b64 s[44:45], s[44:45], exec
	s_or_b64 s[40:41], s[40:41], s[46:47]
                                        ; implicit-def: $sgpr46_sgpr47
	s_branch .LBB9_451
.LBB9_454:
	s_or_b64 exec, exec, s[28:29]
	s_xor_b64 s[28:29], s[34:35], -1
	s_branch .LBB9_456
.LBB9_455:
	s_mov_b64 s[28:29], -1
.LBB9_456:
	s_and_b64 s[28:29], s[28:29], exec
.LBB9_457:
	s_or_b64 exec, exec, s[24:25]
	s_orn2_b64 s[24:25], s[28:29], exec
.LBB9_458:
	s_or_b64 exec, exec, s[26:27]
	v_cndmask_b32_e64 v6, v47, v48, s[24:25]
	v_cndmask_b32_e64 v7, v27, v26, s[24:25]
	v_add_u32_e32 v8, 1, v6
	v_add_u32_e32 v6, -1, v7
	v_min_u32_e32 v6, v8, v6
	v_lshl_add_u32 v6, v6, 3, v35
	ds_read_b64 v[6:7], v6
	v_cndmask_b32_e64 v49, v8, v47, s[24:25]
	v_cndmask_b32_e64 v53, v48, v8, s[24:25]
	v_cmp_lt_u32_e32 vcc, v49, v27
	s_mov_b64 s[26:27], -1
	s_waitcnt lgkmcnt(0)
	v_cndmask_b32_e64 v43, v7, v39, s[24:25]
	v_cndmask_b32_e64 v44, v6, v40, s[24:25]
	;; [unrolled: 1-line block ×4, first 2 shown]
	s_mov_b64 s[28:29], -1
	s_and_saveexec_b64 s[34:35], vcc
	s_cbranch_execz .LBB9_469
; %bb.459:
	v_cmp_lt_u32_e32 vcc, v53, v26
	s_mov_b64 s[40:41], 0
	s_and_saveexec_b64 s[28:29], vcc
	s_cbranch_execz .LBB9_468
; %bb.460:
	s_and_b64 vcc, exec, s[0:1]
	s_cbranch_vccnz .LBB9_466
; %bb.461:
	v_mov_b64_e32 v[8:9], s[38:39]
	v_mad_u64_u32 v[6:7], s[40:41], v44, s36, v[8:9]
	v_mul_lo_u32 v47, v44, s37
	v_mul_lo_u32 v48, v43, s36
	v_add3_u32 v7, v48, v7, v47
	v_mad_u64_u32 v[8:9], s[40:41], v46, s36, v[8:9]
	v_mul_lo_u32 v47, v46, s37
	v_mul_lo_u32 v48, v45, s36
	v_add3_u32 v9, v48, v9, v47
	s_mov_b64 s[40:41], 0
	s_mov_b64 s[46:47], s[36:37]
                                        ; implicit-def: $sgpr42_sgpr43
                                        ; implicit-def: $sgpr44_sgpr45
                                        ; implicit-def: $sgpr48_sgpr49
                                        ; implicit-def: $sgpr50_sgpr51
	s_branch .LBB9_463
.LBB9_462:                              ;   in Loop: Header=BB9_463 Depth=1
	s_or_b64 exec, exec, s[54:55]
	s_and_b64 s[54:55], exec, s[44:45]
	s_or_b64 s[40:41], s[54:55], s[40:41]
	s_andn2_b64 s[50:51], s[50:51], exec
	s_and_b64 s[52:53], s[52:53], exec
	s_or_b64 s[50:51], s[50:51], s[52:53]
	s_andn2_b64 s[42:43], s[42:43], exec
	s_and_b64 s[52:53], s[48:49], exec
	s_or_b64 s[42:43], s[42:43], s[52:53]
	s_andn2_b64 exec, exec, s[40:41]
	s_cbranch_execz .LBB9_465
.LBB9_463:                              ; =>This Inner Loop Header: Depth=1
	global_load_ubyte v47, v[6:7], off
	global_load_ubyte v48, v[8:9], off
	s_andn2_b64 s[48:49], s[48:49], exec
	s_or_b64 s[44:45], s[44:45], exec
	s_waitcnt vmcnt(0)
	v_cmp_le_u16_sdwa s[54:55], v47, v48 src0_sel:BYTE_0 src1_sel:BYTE_0
	v_cmp_lt_u16_sdwa s[52:53], v47, v48 src0_sel:BYTE_0 src1_sel:BYTE_0
	s_and_b64 s[54:55], s[54:55], s[50:51]
	s_or_b64 s[52:53], s[52:53], s[54:55]
	s_and_b64 s[54:55], s[52:53], exec
	v_cmp_eq_u16_sdwa s[56:57], v47, v48 src0_sel:BYTE_0 src1_sel:BYTE_0
	s_or_b64 s[48:49], s[48:49], s[54:55]
	s_and_saveexec_b64 s[54:55], s[56:57]
	s_cbranch_execz .LBB9_462
; %bb.464:                              ;   in Loop: Header=BB9_463 Depth=1
	s_add_u32 s46, s46, -1
	s_addc_u32 s47, s47, -1
	s_cmp_eq_u64 s[46:47], 0
	s_cselect_b64 s[50:51], -1, 0
	s_andn2_b64 s[44:45], s[44:45], exec
	s_and_b64 s[50:51], s[50:51], exec
	v_lshl_add_u64 v[6:7], v[6:7], 0, 1
	v_lshl_add_u64 v[8:9], v[8:9], 0, 1
	s_andn2_b64 s[48:49], s[48:49], exec
	s_or_b64 s[44:45], s[44:45], s[50:51]
                                        ; implicit-def: $sgpr50_sgpr51
	s_branch .LBB9_462
.LBB9_465:
	s_or_b64 exec, exec, s[40:41]
	s_xor_b64 s[40:41], s[42:43], -1
	s_branch .LBB9_467
.LBB9_466:
	s_mov_b64 s[40:41], -1
.LBB9_467:
	s_and_b64 s[40:41], s[40:41], exec
.LBB9_468:
	s_or_b64 exec, exec, s[28:29]
	s_orn2_b64 s[28:29], s[40:41], exec
.LBB9_469:
	s_or_b64 exec, exec, s[34:35]
	v_cndmask_b32_e64 v6, v49, v53, s[28:29]
	v_cndmask_b32_e64 v7, v27, v26, s[28:29]
	v_add_u32_e32 v8, 1, v6
	v_add_u32_e32 v6, -1, v7
	v_min_u32_e32 v6, v8, v6
	v_lshl_add_u32 v6, v6, 3, v35
	ds_read_b64 v[6:7], v6
	v_cndmask_b32_e64 v50, v8, v49, s[28:29]
	v_cndmask_b32_e64 v49, v53, v8, s[28:29]
	v_cmp_lt_u32_e32 vcc, v50, v27
	s_waitcnt lgkmcnt(0)
	v_cndmask_b32_e64 v47, v7, v43, s[28:29]
	v_cndmask_b32_e64 v48, v6, v44, s[28:29]
	;; [unrolled: 1-line block ×4, first 2 shown]
	s_and_saveexec_b64 s[34:35], vcc
	s_cbranch_execz .LBB9_480
; %bb.470:
	v_cmp_lt_u32_e32 vcc, v49, v26
	s_mov_b64 s[40:41], 0
	s_and_saveexec_b64 s[26:27], vcc
	s_cbranch_execz .LBB9_479
; %bb.471:
	s_and_b64 vcc, exec, s[0:1]
	s_cbranch_vccnz .LBB9_477
; %bb.472:
	v_mov_b64_e32 v[8:9], s[38:39]
	v_mad_u64_u32 v[6:7], s[40:41], v48, s36, v[8:9]
	v_mul_lo_u32 v53, v48, s37
	v_mul_lo_u32 v54, v47, s36
	v_add3_u32 v7, v54, v7, v53
	v_mad_u64_u32 v[8:9], s[40:41], v52, s36, v[8:9]
	v_mul_lo_u32 v53, v52, s37
	v_mul_lo_u32 v54, v51, s36
	v_add3_u32 v9, v54, v9, v53
	s_mov_b64 s[40:41], 0
	s_mov_b64 s[46:47], s[36:37]
                                        ; implicit-def: $sgpr42_sgpr43
                                        ; implicit-def: $sgpr44_sgpr45
                                        ; implicit-def: $sgpr48_sgpr49
                                        ; implicit-def: $sgpr50_sgpr51
	s_branch .LBB9_474
.LBB9_473:                              ;   in Loop: Header=BB9_474 Depth=1
	s_or_b64 exec, exec, s[54:55]
	s_and_b64 s[54:55], exec, s[44:45]
	s_or_b64 s[40:41], s[54:55], s[40:41]
	s_andn2_b64 s[50:51], s[50:51], exec
	s_and_b64 s[52:53], s[52:53], exec
	s_or_b64 s[50:51], s[50:51], s[52:53]
	s_andn2_b64 s[42:43], s[42:43], exec
	s_and_b64 s[52:53], s[48:49], exec
	s_or_b64 s[42:43], s[42:43], s[52:53]
	s_andn2_b64 exec, exec, s[40:41]
	s_cbranch_execz .LBB9_476
.LBB9_474:                              ; =>This Inner Loop Header: Depth=1
	global_load_ubyte v53, v[6:7], off
	global_load_ubyte v54, v[8:9], off
	s_andn2_b64 s[48:49], s[48:49], exec
	s_or_b64 s[44:45], s[44:45], exec
	s_waitcnt vmcnt(0)
	v_cmp_le_u16_sdwa s[54:55], v53, v54 src0_sel:BYTE_0 src1_sel:BYTE_0
	v_cmp_lt_u16_sdwa s[52:53], v53, v54 src0_sel:BYTE_0 src1_sel:BYTE_0
	s_and_b64 s[54:55], s[54:55], s[50:51]
	s_or_b64 s[52:53], s[52:53], s[54:55]
	s_and_b64 s[54:55], s[52:53], exec
	v_cmp_eq_u16_sdwa s[56:57], v53, v54 src0_sel:BYTE_0 src1_sel:BYTE_0
	s_or_b64 s[48:49], s[48:49], s[54:55]
	s_and_saveexec_b64 s[54:55], s[56:57]
	s_cbranch_execz .LBB9_473
; %bb.475:                              ;   in Loop: Header=BB9_474 Depth=1
	s_add_u32 s46, s46, -1
	s_addc_u32 s47, s47, -1
	s_cmp_eq_u64 s[46:47], 0
	s_cselect_b64 s[50:51], -1, 0
	s_andn2_b64 s[44:45], s[44:45], exec
	s_and_b64 s[50:51], s[50:51], exec
	v_lshl_add_u64 v[6:7], v[6:7], 0, 1
	v_lshl_add_u64 v[8:9], v[8:9], 0, 1
	s_andn2_b64 s[48:49], s[48:49], exec
	s_or_b64 s[44:45], s[44:45], s[50:51]
                                        ; implicit-def: $sgpr50_sgpr51
	s_branch .LBB9_473
.LBB9_476:
	s_or_b64 exec, exec, s[40:41]
	s_xor_b64 s[40:41], s[42:43], -1
	s_branch .LBB9_478
.LBB9_477:
	s_mov_b64 s[40:41], -1
.LBB9_478:
	s_and_b64 s[40:41], s[40:41], exec
.LBB9_479:
	s_or_b64 exec, exec, s[26:27]
	s_orn2_b64 s[26:27], s[40:41], exec
.LBB9_480:
	s_or_b64 exec, exec, s[34:35]
	v_cndmask_b32_e64 v11, v10, v11, s[20:21]
	v_cndmask_b32_e64 v10, v17, v23, s[20:21]
	;; [unrolled: 1-line block ×8, first 2 shown]
	v_add_u32_e32 v24, 1, v14
	v_add_u32_e32 v14, -1, v15
	v_min_u32_e32 v14, v24, v14
	v_lshl_add_u32 v14, v14, 3, v35
	ds_read_b64 v[22:23], v14
	v_cndmask_b32_e64 v25, v24, v50, s[26:27]
	v_cndmask_b32_e64 v9, v43, v45, s[28:29]
	;; [unrolled: 1-line block ×9, first 2 shown]
	s_waitcnt lgkmcnt(0)
	v_cndmask_b32_e64 v5, v51, v23, s[26:27]
	v_cndmask_b32_e64 v4, v52, v22, s[26:27]
	v_cmp_lt_u32_e32 vcc, v25, v27
	s_and_saveexec_b64 s[4:5], vcc
	s_cbranch_execz .LBB9_490
; %bb.481:
	v_cndmask_b32_e64 v24, v49, v24, s[26:27]
	v_cndmask_b32_e64 v23, v23, v47, s[26:27]
	;; [unrolled: 1-line block ×3, first 2 shown]
	v_cmp_lt_u32_e32 vcc, v24, v26
	s_and_saveexec_b64 s[12:13], vcc
	s_cbranch_execz .LBB9_489
; %bb.482:
	s_and_b64 vcc, exec, s[0:1]
	s_cbranch_vccnz .LBB9_488
; %bb.483:
	v_mov_b64_e32 v[26:27], s[38:39]
	v_mad_u64_u32 v[24:25], s[20:21], v22, s36, v[26:27]
	v_mul_lo_u32 v39, v22, s37
	v_mul_lo_u32 v40, v23, s36
	v_add3_u32 v25, v40, v25, v39
	v_mad_u64_u32 v[26:27], s[20:21], v4, s36, v[26:27]
	v_mul_lo_u32 v39, v4, s37
	v_mul_lo_u32 v40, v5, s36
	v_add3_u32 v27, v40, v27, v39
	s_mov_b64 s[20:21], 0
	s_mov_b64 s[26:27], s[36:37]
                                        ; implicit-def: $sgpr22_sgpr23
                                        ; implicit-def: $sgpr24_sgpr25
                                        ; implicit-def: $sgpr28_sgpr29
                                        ; implicit-def: $sgpr34_sgpr35
	s_branch .LBB9_485
.LBB9_484:                              ;   in Loop: Header=BB9_485 Depth=1
	s_or_b64 exec, exec, s[42:43]
	s_and_b64 s[42:43], exec, s[24:25]
	s_or_b64 s[20:21], s[42:43], s[20:21]
	s_andn2_b64 s[34:35], s[34:35], exec
	s_and_b64 s[40:41], s[40:41], exec
	s_or_b64 s[34:35], s[34:35], s[40:41]
	s_andn2_b64 s[22:23], s[22:23], exec
	s_and_b64 s[40:41], s[28:29], exec
	s_or_b64 s[22:23], s[22:23], s[40:41]
	s_andn2_b64 exec, exec, s[20:21]
	s_cbranch_execz .LBB9_487
.LBB9_485:                              ; =>This Inner Loop Header: Depth=1
	global_load_ubyte v39, v[24:25], off
	global_load_ubyte v40, v[26:27], off
	s_andn2_b64 s[28:29], s[28:29], exec
	s_or_b64 s[24:25], s[24:25], exec
	s_waitcnt vmcnt(0)
	v_cmp_le_u16_sdwa s[42:43], v39, v40 src0_sel:BYTE_0 src1_sel:BYTE_0
	v_cmp_lt_u16_sdwa s[40:41], v39, v40 src0_sel:BYTE_0 src1_sel:BYTE_0
	s_and_b64 s[42:43], s[42:43], s[34:35]
	s_or_b64 s[40:41], s[40:41], s[42:43]
	s_and_b64 s[42:43], s[40:41], exec
	v_cmp_eq_u16_sdwa s[44:45], v39, v40 src0_sel:BYTE_0 src1_sel:BYTE_0
	s_or_b64 s[28:29], s[28:29], s[42:43]
	s_and_saveexec_b64 s[42:43], s[44:45]
	s_cbranch_execz .LBB9_484
; %bb.486:                              ;   in Loop: Header=BB9_485 Depth=1
	s_add_u32 s26, s26, -1
	s_addc_u32 s27, s27, -1
	s_cmp_eq_u64 s[26:27], 0
	s_cselect_b64 s[34:35], -1, 0
	s_andn2_b64 s[24:25], s[24:25], exec
	s_and_b64 s[34:35], s[34:35], exec
	v_lshl_add_u64 v[24:25], v[24:25], 0, 1
	v_lshl_add_u64 v[26:27], v[26:27], 0, 1
	s_andn2_b64 s[28:29], s[28:29], exec
	s_or_b64 s[24:25], s[24:25], s[34:35]
                                        ; implicit-def: $sgpr34_sgpr35
	s_branch .LBB9_484
.LBB9_487:
	s_or_b64 exec, exec, s[20:21]
	v_cndmask_b32_e64 v5, v5, v23, s[22:23]
	v_cndmask_b32_e64 v4, v4, v22, s[22:23]
.LBB9_488:
	v_mov_b64_e32 v[22:23], v[4:5]
.LBB9_489:
	s_or_b64 exec, exec, s[12:13]
	v_mov_b64_e32 v[4:5], v[22:23]
.LBB9_490:
	s_or_b64 exec, exec, s[4:5]
.LBB9_491:
	s_or_b64 exec, exec, s[10:11]
	; wave barrier
	ds_write_b128 v38, v[14:17]
	ds_write_b128 v38, v[10:13] offset:16
	ds_write_b128 v38, v[6:9] offset:32
	;; [unrolled: 1-line block ×3, first 2 shown]
	v_and_b32_e32 v38, 0x380, v37
	v_or_b32_e32 v22, 64, v38
	v_min_u32_e32 v26, v36, v22
	v_add_u32_e32 v22, 64, v26
	v_min_u32_e32 v27, v36, v22
	v_and_b32_e32 v22, 0x78, v37
	v_min_u32_e32 v39, v36, v22
	v_sub_u32_e32 v22, v26, v38
	v_sub_u32_e32 v23, v27, v26
	v_sub_u32_e64 v37, v39, v23 clamp
	v_min_u32_e32 v40, v39, v22
	v_lshl_add_u32 v36, v38, 3, v35
	v_cmp_lt_u32_e32 vcc, v37, v40
	; wave barrier
	s_and_saveexec_b64 s[4:5], vcc
	s_cbranch_execz .LBB9_501
; %bb.492:
	v_lshlrev_b32_e32 v22, 3, v26
	v_lshlrev_b32_e32 v23, 3, v39
	v_add3_u32 v41, v35, v22, v23
	s_mov_b64 s[10:11], 0
	s_branch .LBB9_495
.LBB9_493:                              ;   in Loop: Header=BB9_495 Depth=1
	s_or_b64 exec, exec, s[20:21]
.LBB9_494:                              ;   in Loop: Header=BB9_495 Depth=1
	v_add_u32_e32 v22, 1, v42
	v_cndmask_b32_e64 v40, v40, v42, s[12:13]
	v_cndmask_b32_e64 v37, v22, v37, s[12:13]
	v_cmp_ge_u32_e32 vcc, v37, v40
	s_or_b64 s[10:11], vcc, s[10:11]
	s_andn2_b64 exec, exec, s[10:11]
	s_cbranch_execz .LBB9_500
.LBB9_495:                              ; =>This Loop Header: Depth=1
                                        ;     Child Loop BB9_498 Depth 2
	v_add_u32_e32 v22, v40, v37
	v_lshrrev_b32_e32 v42, 1, v22
	s_and_b64 vcc, exec, s[0:1]
	s_mov_b64 s[12:13], 0
	s_cbranch_vccnz .LBB9_494
; %bb.496:                              ;   in Loop: Header=BB9_495 Depth=1
	v_not_b32_e32 v22, v42
	v_lshl_add_u32 v22, v22, 3, v41
	ds_read_b64 v[22:23], v22
	v_lshl_add_u32 v43, v42, 3, v36
	ds_read_b64 v[44:45], v43
	v_mov_b64_e32 v[24:25], s[38:39]
	s_mov_b64 s[20:21], 0
	s_waitcnt lgkmcnt(1)
	v_mul_lo_u32 v43, v22, s37
	v_mul_lo_u32 v46, v23, s36
	v_mad_u64_u32 v[22:23], s[12:13], v22, s36, v[24:25]
	v_add3_u32 v23, v46, v23, v43
	s_waitcnt lgkmcnt(0)
	v_mul_lo_u32 v43, v44, s37
	v_mul_lo_u32 v45, v45, s36
	v_mad_u64_u32 v[24:25], s[12:13], v44, s36, v[24:25]
	v_add3_u32 v25, v45, v25, v43
	s_mov_b64 s[24:25], s[36:37]
                                        ; implicit-def: $sgpr12_sgpr13
                                        ; implicit-def: $sgpr22_sgpr23
                                        ; implicit-def: $sgpr26_sgpr27
                                        ; implicit-def: $sgpr28_sgpr29
	s_branch .LBB9_498
.LBB9_497:                              ;   in Loop: Header=BB9_498 Depth=2
	s_or_b64 exec, exec, s[40:41]
	s_and_b64 s[40:41], exec, s[22:23]
	s_or_b64 s[20:21], s[40:41], s[20:21]
	s_andn2_b64 s[28:29], s[28:29], exec
	s_and_b64 s[34:35], s[34:35], exec
	s_or_b64 s[28:29], s[28:29], s[34:35]
	s_andn2_b64 s[12:13], s[12:13], exec
	s_and_b64 s[34:35], s[26:27], exec
	s_or_b64 s[12:13], s[12:13], s[34:35]
	s_andn2_b64 exec, exec, s[20:21]
	s_cbranch_execz .LBB9_493
.LBB9_498:                              ;   Parent Loop BB9_495 Depth=1
                                        ; =>  This Inner Loop Header: Depth=2
	global_load_ubyte v43, v[22:23], off
	global_load_ubyte v44, v[24:25], off
	s_andn2_b64 s[26:27], s[26:27], exec
	s_or_b64 s[22:23], s[22:23], exec
	s_waitcnt vmcnt(0)
	v_cmp_le_u16_sdwa s[40:41], v43, v44 src0_sel:BYTE_0 src1_sel:BYTE_0
	v_cmp_lt_u16_sdwa s[34:35], v43, v44 src0_sel:BYTE_0 src1_sel:BYTE_0
	s_and_b64 s[40:41], s[40:41], s[28:29]
	s_or_b64 s[34:35], s[34:35], s[40:41]
	s_and_b64 s[40:41], s[34:35], exec
	v_cmp_eq_u16_sdwa s[42:43], v43, v44 src0_sel:BYTE_0 src1_sel:BYTE_0
	s_or_b64 s[26:27], s[26:27], s[40:41]
	s_and_saveexec_b64 s[40:41], s[42:43]
	s_cbranch_execz .LBB9_497
; %bb.499:                              ;   in Loop: Header=BB9_498 Depth=2
	s_add_u32 s24, s24, -1
	s_addc_u32 s25, s25, -1
	s_cmp_eq_u64 s[24:25], 0
	s_cselect_b64 s[28:29], -1, 0
	s_andn2_b64 s[22:23], s[22:23], exec
	s_and_b64 s[28:29], s[28:29], exec
	v_lshl_add_u64 v[22:23], v[22:23], 0, 1
	v_lshl_add_u64 v[24:25], v[24:25], 0, 1
	s_andn2_b64 s[26:27], s[26:27], exec
	s_or_b64 s[22:23], s[22:23], s[28:29]
                                        ; implicit-def: $sgpr28_sgpr29
	s_branch .LBB9_497
.LBB9_500:
	s_or_b64 exec, exec, s[10:11]
.LBB9_501:
	s_or_b64 exec, exec, s[4:5]
	v_add_u32_e32 v22, v26, v39
	v_add_u32_e32 v23, v37, v38
	v_sub_u32_e32 v24, v22, v37
	v_cmp_le_u32_e32 vcc, v23, v26
	v_cmp_le_u32_e64 s[4:5], v24, v27
	s_or_b64 s[4:5], vcc, s[4:5]
	s_and_saveexec_b64 s[10:11], s[4:5]
	s_cbranch_execz .LBB9_592
; %bb.502:
	v_cmp_ge_u32_e32 vcc, v23, v26
	v_cmp_lt_u32_e64 s[4:5], v23, v26
                                        ; implicit-def: $vgpr2_vgpr3
	s_and_saveexec_b64 s[12:13], s[4:5]
; %bb.503:
	v_lshl_add_u32 v2, v37, 3, v36
	ds_read_b64 v[2:3], v2
; %bb.504:
	s_or_b64 exec, exec, s[12:13]
	v_cmp_ge_u32_e64 s[12:13], v24, v27
	v_cmp_lt_u32_e64 s[4:5], v24, v27
                                        ; implicit-def: $vgpr4_vgpr5
	s_and_saveexec_b64 s[20:21], s[4:5]
; %bb.505:
	v_lshl_add_u32 v4, v24, 3, v35
	ds_read_b64 v[4:5], v4
; %bb.506:
	s_or_b64 exec, exec, s[20:21]
	s_nor_b64 s[20:21], vcc, s[12:13]
	s_and_saveexec_b64 s[4:5], s[20:21]
	s_cbranch_execz .LBB9_515
; %bb.507:
	s_and_b64 vcc, exec, s[0:1]
	s_cbranch_vccnz .LBB9_513
; %bb.508:
	v_mov_b64_e32 v[8:9], s[38:39]
	s_waitcnt lgkmcnt(0)
	v_mad_u64_u32 v[6:7], s[20:21], v4, s36, v[8:9]
	v_mul_lo_u32 v10, v4, s37
	v_mul_lo_u32 v11, v5, s36
	v_add3_u32 v7, v11, v7, v10
	v_mad_u64_u32 v[8:9], s[20:21], v2, s36, v[8:9]
	v_mul_lo_u32 v10, v2, s37
	v_mul_lo_u32 v11, v3, s36
	v_add3_u32 v9, v11, v9, v10
	s_mov_b64 s[20:21], 0
	s_mov_b64 s[26:27], s[36:37]
                                        ; implicit-def: $sgpr22_sgpr23
                                        ; implicit-def: $sgpr24_sgpr25
                                        ; implicit-def: $sgpr28_sgpr29
                                        ; implicit-def: $sgpr34_sgpr35
	s_branch .LBB9_510
.LBB9_509:                              ;   in Loop: Header=BB9_510 Depth=1
	s_or_b64 exec, exec, s[42:43]
	s_and_b64 s[42:43], exec, s[24:25]
	s_or_b64 s[20:21], s[42:43], s[20:21]
	s_andn2_b64 s[34:35], s[34:35], exec
	s_and_b64 s[40:41], s[40:41], exec
	s_or_b64 s[34:35], s[34:35], s[40:41]
	s_andn2_b64 s[22:23], s[22:23], exec
	s_and_b64 s[40:41], s[28:29], exec
	s_or_b64 s[22:23], s[22:23], s[40:41]
	s_andn2_b64 exec, exec, s[20:21]
	s_cbranch_execz .LBB9_512
.LBB9_510:                              ; =>This Inner Loop Header: Depth=1
	global_load_ubyte v10, v[6:7], off
	global_load_ubyte v11, v[8:9], off
	s_andn2_b64 s[28:29], s[28:29], exec
	s_or_b64 s[24:25], s[24:25], exec
	s_waitcnt vmcnt(0)
	v_cmp_le_u16_sdwa s[42:43], v10, v11 src0_sel:BYTE_0 src1_sel:BYTE_0
	v_cmp_lt_u16_sdwa s[40:41], v10, v11 src0_sel:BYTE_0 src1_sel:BYTE_0
	s_and_b64 s[42:43], s[42:43], s[34:35]
	s_or_b64 s[40:41], s[40:41], s[42:43]
	s_and_b64 s[42:43], s[40:41], exec
	v_cmp_eq_u16_sdwa s[44:45], v10, v11 src0_sel:BYTE_0 src1_sel:BYTE_0
	s_or_b64 s[28:29], s[28:29], s[42:43]
	s_and_saveexec_b64 s[42:43], s[44:45]
	s_cbranch_execz .LBB9_509
; %bb.511:                              ;   in Loop: Header=BB9_510 Depth=1
	s_add_u32 s26, s26, -1
	s_addc_u32 s27, s27, -1
	s_cmp_eq_u64 s[26:27], 0
	s_cselect_b64 s[34:35], -1, 0
	s_andn2_b64 s[24:25], s[24:25], exec
	s_and_b64 s[34:35], s[34:35], exec
	v_lshl_add_u64 v[6:7], v[6:7], 0, 1
	v_lshl_add_u64 v[8:9], v[8:9], 0, 1
	s_andn2_b64 s[28:29], s[28:29], exec
	s_or_b64 s[24:25], s[24:25], s[34:35]
                                        ; implicit-def: $sgpr34_sgpr35
	s_branch .LBB9_509
.LBB9_512:
	s_or_b64 exec, exec, s[20:21]
	s_xor_b64 s[20:21], s[22:23], -1
	s_branch .LBB9_514
.LBB9_513:
	s_mov_b64 s[20:21], -1
.LBB9_514:
	s_andn2_b64 s[12:13], s[12:13], exec
	s_and_b64 s[20:21], s[20:21], exec
	s_or_b64 s[12:13], s[12:13], s[20:21]
.LBB9_515:
	s_or_b64 exec, exec, s[4:5]
	v_cndmask_b32_e64 v6, v24, v23, s[12:13]
	v_cndmask_b32_e64 v7, v27, v26, s[12:13]
	v_add_u32_e32 v8, 1, v6
	v_add_u32_e32 v6, -1, v7
	v_min_u32_e32 v6, v8, v6
	v_lshl_add_u32 v6, v6, 3, v35
	ds_read_b64 v[6:7], v6
	v_cndmask_b32_e64 v12, v8, v24, s[12:13]
	v_cndmask_b32_e64 v13, v23, v8, s[12:13]
	v_cmp_lt_u32_e32 vcc, v12, v27
	s_mov_b64 s[20:21], -1
	s_waitcnt lgkmcnt(0)
	v_cndmask_b32_e64 v14, v7, v5, s[12:13]
	v_cndmask_b32_e64 v15, v6, v4, s[12:13]
	;; [unrolled: 1-line block ×4, first 2 shown]
	s_mov_b64 s[4:5], -1
	s_and_saveexec_b64 s[22:23], vcc
	s_cbranch_execz .LBB9_526
; %bb.516:
	v_cmp_lt_u32_e32 vcc, v13, v26
	s_mov_b64 s[24:25], 0
	s_and_saveexec_b64 s[4:5], vcc
	s_cbranch_execz .LBB9_525
; %bb.517:
	s_and_b64 vcc, exec, s[0:1]
	s_cbranch_vccnz .LBB9_523
; %bb.518:
	v_mov_b64_e32 v[8:9], s[38:39]
	v_mad_u64_u32 v[6:7], s[24:25], v15, s36, v[8:9]
	v_mul_lo_u32 v10, v15, s37
	v_mul_lo_u32 v11, v14, s36
	v_add3_u32 v7, v11, v7, v10
	v_mad_u64_u32 v[8:9], s[24:25], v22, s36, v[8:9]
	v_mul_lo_u32 v10, v22, s37
	v_mul_lo_u32 v11, v16, s36
	v_add3_u32 v9, v11, v9, v10
	s_mov_b64 s[24:25], 0
	s_mov_b64 s[34:35], s[36:37]
                                        ; implicit-def: $sgpr26_sgpr27
                                        ; implicit-def: $sgpr28_sgpr29
                                        ; implicit-def: $sgpr40_sgpr41
                                        ; implicit-def: $sgpr42_sgpr43
	s_branch .LBB9_520
.LBB9_519:                              ;   in Loop: Header=BB9_520 Depth=1
	s_or_b64 exec, exec, s[46:47]
	s_and_b64 s[46:47], exec, s[28:29]
	s_or_b64 s[24:25], s[46:47], s[24:25]
	s_andn2_b64 s[42:43], s[42:43], exec
	s_and_b64 s[44:45], s[44:45], exec
	s_or_b64 s[42:43], s[42:43], s[44:45]
	s_andn2_b64 s[26:27], s[26:27], exec
	s_and_b64 s[44:45], s[40:41], exec
	s_or_b64 s[26:27], s[26:27], s[44:45]
	s_andn2_b64 exec, exec, s[24:25]
	s_cbranch_execz .LBB9_522
.LBB9_520:                              ; =>This Inner Loop Header: Depth=1
	global_load_ubyte v10, v[6:7], off
	global_load_ubyte v11, v[8:9], off
	s_andn2_b64 s[40:41], s[40:41], exec
	s_or_b64 s[28:29], s[28:29], exec
	s_waitcnt vmcnt(0)
	v_cmp_le_u16_sdwa s[46:47], v10, v11 src0_sel:BYTE_0 src1_sel:BYTE_0
	v_cmp_lt_u16_sdwa s[44:45], v10, v11 src0_sel:BYTE_0 src1_sel:BYTE_0
	s_and_b64 s[46:47], s[46:47], s[42:43]
	s_or_b64 s[44:45], s[44:45], s[46:47]
	s_and_b64 s[46:47], s[44:45], exec
	v_cmp_eq_u16_sdwa s[48:49], v10, v11 src0_sel:BYTE_0 src1_sel:BYTE_0
	s_or_b64 s[40:41], s[40:41], s[46:47]
	s_and_saveexec_b64 s[46:47], s[48:49]
	s_cbranch_execz .LBB9_519
; %bb.521:                              ;   in Loop: Header=BB9_520 Depth=1
	s_add_u32 s34, s34, -1
	s_addc_u32 s35, s35, -1
	s_cmp_eq_u64 s[34:35], 0
	s_cselect_b64 s[42:43], -1, 0
	s_andn2_b64 s[28:29], s[28:29], exec
	s_and_b64 s[42:43], s[42:43], exec
	v_lshl_add_u64 v[6:7], v[6:7], 0, 1
	v_lshl_add_u64 v[8:9], v[8:9], 0, 1
	s_andn2_b64 s[40:41], s[40:41], exec
	s_or_b64 s[28:29], s[28:29], s[42:43]
                                        ; implicit-def: $sgpr42_sgpr43
	s_branch .LBB9_519
.LBB9_522:
	s_or_b64 exec, exec, s[24:25]
	s_xor_b64 s[24:25], s[26:27], -1
	s_branch .LBB9_524
.LBB9_523:
	s_mov_b64 s[24:25], -1
.LBB9_524:
	s_and_b64 s[24:25], s[24:25], exec
.LBB9_525:
	s_or_b64 exec, exec, s[4:5]
	s_orn2_b64 s[4:5], s[24:25], exec
.LBB9_526:
	s_or_b64 exec, exec, s[22:23]
	v_cndmask_b32_e64 v6, v12, v13, s[4:5]
	v_cndmask_b32_e64 v7, v27, v26, s[4:5]
	v_add_u32_e32 v8, 1, v6
	v_add_u32_e32 v6, -1, v7
	v_min_u32_e32 v6, v8, v6
	v_lshl_add_u32 v6, v6, 3, v35
	ds_read_b64 v[6:7], v6
	v_cndmask_b32_e64 v36, v8, v12, s[4:5]
	v_cndmask_b32_e64 v37, v13, v8, s[4:5]
	v_cmp_lt_u32_e32 vcc, v36, v27
	s_waitcnt lgkmcnt(0)
	v_cndmask_b32_e64 v10, v7, v14, s[4:5]
	v_cndmask_b32_e64 v17, v6, v15, s[4:5]
	;; [unrolled: 1-line block ×4, first 2 shown]
	s_and_saveexec_b64 s[22:23], vcc
	s_cbranch_execz .LBB9_537
; %bb.527:
	v_cmp_lt_u32_e32 vcc, v37, v26
	s_mov_b64 s[24:25], 0
	s_and_saveexec_b64 s[20:21], vcc
	s_cbranch_execz .LBB9_536
; %bb.528:
	s_and_b64 vcc, exec, s[0:1]
	s_cbranch_vccnz .LBB9_534
; %bb.529:
	v_mov_b64_e32 v[8:9], s[38:39]
	v_mad_u64_u32 v[6:7], s[24:25], v17, s36, v[8:9]
	v_mul_lo_u32 v12, v17, s37
	v_mul_lo_u32 v13, v10, s36
	v_add3_u32 v7, v13, v7, v12
	v_mad_u64_u32 v[8:9], s[24:25], v23, s36, v[8:9]
	v_mul_lo_u32 v12, v23, s37
	v_mul_lo_u32 v13, v11, s36
	v_add3_u32 v9, v13, v9, v12
	s_mov_b64 s[24:25], 0
	s_mov_b64 s[34:35], s[36:37]
                                        ; implicit-def: $sgpr26_sgpr27
                                        ; implicit-def: $sgpr28_sgpr29
                                        ; implicit-def: $sgpr40_sgpr41
                                        ; implicit-def: $sgpr42_sgpr43
	s_branch .LBB9_531
.LBB9_530:                              ;   in Loop: Header=BB9_531 Depth=1
	s_or_b64 exec, exec, s[46:47]
	s_and_b64 s[46:47], exec, s[28:29]
	s_or_b64 s[24:25], s[46:47], s[24:25]
	s_andn2_b64 s[42:43], s[42:43], exec
	s_and_b64 s[44:45], s[44:45], exec
	s_or_b64 s[42:43], s[42:43], s[44:45]
	s_andn2_b64 s[26:27], s[26:27], exec
	s_and_b64 s[44:45], s[40:41], exec
	s_or_b64 s[26:27], s[26:27], s[44:45]
	s_andn2_b64 exec, exec, s[24:25]
	s_cbranch_execz .LBB9_533
.LBB9_531:                              ; =>This Inner Loop Header: Depth=1
	global_load_ubyte v12, v[6:7], off
	global_load_ubyte v13, v[8:9], off
	s_andn2_b64 s[40:41], s[40:41], exec
	s_or_b64 s[28:29], s[28:29], exec
	s_waitcnt vmcnt(0)
	v_cmp_le_u16_sdwa s[46:47], v12, v13 src0_sel:BYTE_0 src1_sel:BYTE_0
	v_cmp_lt_u16_sdwa s[44:45], v12, v13 src0_sel:BYTE_0 src1_sel:BYTE_0
	s_and_b64 s[46:47], s[46:47], s[42:43]
	s_or_b64 s[44:45], s[44:45], s[46:47]
	s_and_b64 s[46:47], s[44:45], exec
	v_cmp_eq_u16_sdwa s[48:49], v12, v13 src0_sel:BYTE_0 src1_sel:BYTE_0
	s_or_b64 s[40:41], s[40:41], s[46:47]
	s_and_saveexec_b64 s[46:47], s[48:49]
	s_cbranch_execz .LBB9_530
; %bb.532:                              ;   in Loop: Header=BB9_531 Depth=1
	s_add_u32 s34, s34, -1
	s_addc_u32 s35, s35, -1
	s_cmp_eq_u64 s[34:35], 0
	s_cselect_b64 s[42:43], -1, 0
	s_andn2_b64 s[28:29], s[28:29], exec
	s_and_b64 s[42:43], s[42:43], exec
	v_lshl_add_u64 v[6:7], v[6:7], 0, 1
	v_lshl_add_u64 v[8:9], v[8:9], 0, 1
	s_andn2_b64 s[40:41], s[40:41], exec
	s_or_b64 s[28:29], s[28:29], s[42:43]
                                        ; implicit-def: $sgpr42_sgpr43
	s_branch .LBB9_530
.LBB9_533:
	s_or_b64 exec, exec, s[24:25]
	s_xor_b64 s[24:25], s[26:27], -1
	s_branch .LBB9_535
.LBB9_534:
	s_mov_b64 s[24:25], -1
.LBB9_535:
	s_and_b64 s[24:25], s[24:25], exec
.LBB9_536:
	s_or_b64 exec, exec, s[20:21]
	s_orn2_b64 s[20:21], s[24:25], exec
.LBB9_537:
	s_or_b64 exec, exec, s[22:23]
	v_cndmask_b32_e64 v6, v36, v37, s[20:21]
	v_cndmask_b32_e64 v7, v27, v26, s[20:21]
	v_add_u32_e32 v8, 1, v6
	v_add_u32_e32 v6, -1, v7
	v_min_u32_e32 v6, v8, v6
	v_lshl_add_u32 v6, v6, 3, v35
	ds_read_b64 v[6:7], v6
	v_cndmask_b32_e64 v40, v8, v36, s[20:21]
	v_cndmask_b32_e64 v41, v37, v8, s[20:21]
	v_cmp_lt_u32_e32 vcc, v40, v27
	s_mov_b64 s[24:25], -1
	s_waitcnt lgkmcnt(0)
	v_cndmask_b32_e64 v12, v7, v10, s[20:21]
	v_cndmask_b32_e64 v24, v6, v17, s[20:21]
	;; [unrolled: 1-line block ×4, first 2 shown]
	s_mov_b64 s[22:23], -1
	s_and_saveexec_b64 s[26:27], vcc
	s_cbranch_execz .LBB9_548
; %bb.538:
	v_cmp_lt_u32_e32 vcc, v41, v26
	s_mov_b64 s[28:29], 0
	s_and_saveexec_b64 s[22:23], vcc
	s_cbranch_execz .LBB9_547
; %bb.539:
	s_and_b64 vcc, exec, s[0:1]
	s_cbranch_vccnz .LBB9_545
; %bb.540:
	v_mov_b64_e32 v[8:9], s[38:39]
	v_mad_u64_u32 v[6:7], s[28:29], v24, s36, v[8:9]
	v_mul_lo_u32 v36, v24, s37
	v_mul_lo_u32 v37, v12, s36
	v_add3_u32 v7, v37, v7, v36
	v_mad_u64_u32 v[8:9], s[28:29], v25, s36, v[8:9]
	v_mul_lo_u32 v36, v25, s37
	v_mul_lo_u32 v37, v13, s36
	v_add3_u32 v9, v37, v9, v36
	s_mov_b64 s[28:29], 0
	s_mov_b64 s[42:43], s[36:37]
                                        ; implicit-def: $sgpr34_sgpr35
                                        ; implicit-def: $sgpr40_sgpr41
                                        ; implicit-def: $sgpr44_sgpr45
                                        ; implicit-def: $sgpr46_sgpr47
	s_branch .LBB9_542
.LBB9_541:                              ;   in Loop: Header=BB9_542 Depth=1
	s_or_b64 exec, exec, s[50:51]
	s_and_b64 s[50:51], exec, s[40:41]
	s_or_b64 s[28:29], s[50:51], s[28:29]
	s_andn2_b64 s[46:47], s[46:47], exec
	s_and_b64 s[48:49], s[48:49], exec
	s_or_b64 s[46:47], s[46:47], s[48:49]
	s_andn2_b64 s[34:35], s[34:35], exec
	s_and_b64 s[48:49], s[44:45], exec
	s_or_b64 s[34:35], s[34:35], s[48:49]
	s_andn2_b64 exec, exec, s[28:29]
	s_cbranch_execz .LBB9_544
.LBB9_542:                              ; =>This Inner Loop Header: Depth=1
	global_load_ubyte v36, v[6:7], off
	global_load_ubyte v37, v[8:9], off
	s_andn2_b64 s[44:45], s[44:45], exec
	s_or_b64 s[40:41], s[40:41], exec
	s_waitcnt vmcnt(0)
	v_cmp_le_u16_sdwa s[50:51], v36, v37 src0_sel:BYTE_0 src1_sel:BYTE_0
	v_cmp_lt_u16_sdwa s[48:49], v36, v37 src0_sel:BYTE_0 src1_sel:BYTE_0
	s_and_b64 s[50:51], s[50:51], s[46:47]
	s_or_b64 s[48:49], s[48:49], s[50:51]
	s_and_b64 s[50:51], s[48:49], exec
	v_cmp_eq_u16_sdwa s[52:53], v36, v37 src0_sel:BYTE_0 src1_sel:BYTE_0
	s_or_b64 s[44:45], s[44:45], s[50:51]
	s_and_saveexec_b64 s[50:51], s[52:53]
	s_cbranch_execz .LBB9_541
; %bb.543:                              ;   in Loop: Header=BB9_542 Depth=1
	s_add_u32 s42, s42, -1
	s_addc_u32 s43, s43, -1
	s_cmp_eq_u64 s[42:43], 0
	s_cselect_b64 s[46:47], -1, 0
	s_andn2_b64 s[40:41], s[40:41], exec
	s_and_b64 s[46:47], s[46:47], exec
	v_lshl_add_u64 v[6:7], v[6:7], 0, 1
	v_lshl_add_u64 v[8:9], v[8:9], 0, 1
	s_andn2_b64 s[44:45], s[44:45], exec
	s_or_b64 s[40:41], s[40:41], s[46:47]
                                        ; implicit-def: $sgpr46_sgpr47
	s_branch .LBB9_541
.LBB9_544:
	s_or_b64 exec, exec, s[28:29]
	s_xor_b64 s[28:29], s[34:35], -1
	s_branch .LBB9_546
.LBB9_545:
	s_mov_b64 s[28:29], -1
.LBB9_546:
	s_and_b64 s[28:29], s[28:29], exec
.LBB9_547:
	s_or_b64 exec, exec, s[22:23]
	s_orn2_b64 s[22:23], s[28:29], exec
.LBB9_548:
	s_or_b64 exec, exec, s[26:27]
	v_cndmask_b32_e64 v6, v40, v41, s[22:23]
	v_cndmask_b32_e64 v7, v27, v26, s[22:23]
	v_add_u32_e32 v8, 1, v6
	v_add_u32_e32 v6, -1, v7
	v_min_u32_e32 v6, v8, v6
	v_lshl_add_u32 v6, v6, 3, v35
	ds_read_b64 v[6:7], v6
	v_cndmask_b32_e64 v44, v8, v40, s[22:23]
	v_cndmask_b32_e64 v45, v41, v8, s[22:23]
	v_cmp_lt_u32_e32 vcc, v44, v27
	s_waitcnt lgkmcnt(0)
	v_cndmask_b32_e64 v36, v7, v12, s[22:23]
	v_cndmask_b32_e64 v37, v6, v24, s[22:23]
	;; [unrolled: 1-line block ×4, first 2 shown]
	s_and_saveexec_b64 s[26:27], vcc
	s_cbranch_execz .LBB9_559
; %bb.549:
	v_cmp_lt_u32_e32 vcc, v45, v26
	s_mov_b64 s[28:29], 0
	s_and_saveexec_b64 s[24:25], vcc
	s_cbranch_execz .LBB9_558
; %bb.550:
	s_and_b64 vcc, exec, s[0:1]
	s_cbranch_vccnz .LBB9_556
; %bb.551:
	v_mov_b64_e32 v[8:9], s[38:39]
	v_mad_u64_u32 v[6:7], s[28:29], v37, s36, v[8:9]
	v_mul_lo_u32 v40, v37, s37
	v_mul_lo_u32 v41, v36, s36
	v_add3_u32 v7, v41, v7, v40
	v_mad_u64_u32 v[8:9], s[28:29], v39, s36, v[8:9]
	v_mul_lo_u32 v40, v39, s37
	v_mul_lo_u32 v41, v38, s36
	v_add3_u32 v9, v41, v9, v40
	s_mov_b64 s[28:29], 0
	s_mov_b64 s[42:43], s[36:37]
                                        ; implicit-def: $sgpr34_sgpr35
                                        ; implicit-def: $sgpr40_sgpr41
                                        ; implicit-def: $sgpr44_sgpr45
                                        ; implicit-def: $sgpr46_sgpr47
	s_branch .LBB9_553
.LBB9_552:                              ;   in Loop: Header=BB9_553 Depth=1
	s_or_b64 exec, exec, s[50:51]
	s_and_b64 s[50:51], exec, s[40:41]
	s_or_b64 s[28:29], s[50:51], s[28:29]
	s_andn2_b64 s[46:47], s[46:47], exec
	s_and_b64 s[48:49], s[48:49], exec
	s_or_b64 s[46:47], s[46:47], s[48:49]
	s_andn2_b64 s[34:35], s[34:35], exec
	s_and_b64 s[48:49], s[44:45], exec
	s_or_b64 s[34:35], s[34:35], s[48:49]
	s_andn2_b64 exec, exec, s[28:29]
	s_cbranch_execz .LBB9_555
.LBB9_553:                              ; =>This Inner Loop Header: Depth=1
	global_load_ubyte v40, v[6:7], off
	global_load_ubyte v41, v[8:9], off
	s_andn2_b64 s[44:45], s[44:45], exec
	s_or_b64 s[40:41], s[40:41], exec
	s_waitcnt vmcnt(0)
	v_cmp_le_u16_sdwa s[50:51], v40, v41 src0_sel:BYTE_0 src1_sel:BYTE_0
	v_cmp_lt_u16_sdwa s[48:49], v40, v41 src0_sel:BYTE_0 src1_sel:BYTE_0
	s_and_b64 s[50:51], s[50:51], s[46:47]
	s_or_b64 s[48:49], s[48:49], s[50:51]
	s_and_b64 s[50:51], s[48:49], exec
	v_cmp_eq_u16_sdwa s[52:53], v40, v41 src0_sel:BYTE_0 src1_sel:BYTE_0
	s_or_b64 s[44:45], s[44:45], s[50:51]
	s_and_saveexec_b64 s[50:51], s[52:53]
	s_cbranch_execz .LBB9_552
; %bb.554:                              ;   in Loop: Header=BB9_553 Depth=1
	s_add_u32 s42, s42, -1
	s_addc_u32 s43, s43, -1
	s_cmp_eq_u64 s[42:43], 0
	s_cselect_b64 s[46:47], -1, 0
	s_andn2_b64 s[40:41], s[40:41], exec
	s_and_b64 s[46:47], s[46:47], exec
	v_lshl_add_u64 v[6:7], v[6:7], 0, 1
	v_lshl_add_u64 v[8:9], v[8:9], 0, 1
	s_andn2_b64 s[44:45], s[44:45], exec
	s_or_b64 s[40:41], s[40:41], s[46:47]
                                        ; implicit-def: $sgpr46_sgpr47
	s_branch .LBB9_552
.LBB9_555:
	s_or_b64 exec, exec, s[28:29]
	s_xor_b64 s[28:29], s[34:35], -1
	s_branch .LBB9_557
.LBB9_556:
	s_mov_b64 s[28:29], -1
.LBB9_557:
	s_and_b64 s[28:29], s[28:29], exec
.LBB9_558:
	s_or_b64 exec, exec, s[24:25]
	s_orn2_b64 s[24:25], s[28:29], exec
.LBB9_559:
	s_or_b64 exec, exec, s[26:27]
	v_cndmask_b32_e64 v6, v44, v45, s[24:25]
	v_cndmask_b32_e64 v7, v27, v26, s[24:25]
	v_add_u32_e32 v8, 1, v6
	v_add_u32_e32 v6, -1, v7
	v_min_u32_e32 v6, v8, v6
	v_lshl_add_u32 v6, v6, 3, v35
	ds_read_b64 v[6:7], v6
	v_cndmask_b32_e64 v46, v8, v44, s[24:25]
	v_cndmask_b32_e64 v50, v45, v8, s[24:25]
	v_cmp_lt_u32_e32 vcc, v46, v27
	s_mov_b64 s[26:27], -1
	s_waitcnt lgkmcnt(0)
	v_cndmask_b32_e64 v40, v7, v36, s[24:25]
	v_cndmask_b32_e64 v41, v6, v37, s[24:25]
	;; [unrolled: 1-line block ×4, first 2 shown]
	s_mov_b64 s[28:29], -1
	s_and_saveexec_b64 s[34:35], vcc
	s_cbranch_execz .LBB9_570
; %bb.560:
	v_cmp_lt_u32_e32 vcc, v50, v26
	s_mov_b64 s[40:41], 0
	s_and_saveexec_b64 s[28:29], vcc
	s_cbranch_execz .LBB9_569
; %bb.561:
	s_and_b64 vcc, exec, s[0:1]
	s_cbranch_vccnz .LBB9_567
; %bb.562:
	v_mov_b64_e32 v[8:9], s[38:39]
	v_mad_u64_u32 v[6:7], s[40:41], v41, s36, v[8:9]
	v_mul_lo_u32 v44, v41, s37
	v_mul_lo_u32 v45, v40, s36
	v_add3_u32 v7, v45, v7, v44
	v_mad_u64_u32 v[8:9], s[40:41], v43, s36, v[8:9]
	v_mul_lo_u32 v44, v43, s37
	v_mul_lo_u32 v45, v42, s36
	v_add3_u32 v9, v45, v9, v44
	s_mov_b64 s[40:41], 0
	s_mov_b64 s[46:47], s[36:37]
                                        ; implicit-def: $sgpr42_sgpr43
                                        ; implicit-def: $sgpr44_sgpr45
                                        ; implicit-def: $sgpr48_sgpr49
                                        ; implicit-def: $sgpr50_sgpr51
	s_branch .LBB9_564
.LBB9_563:                              ;   in Loop: Header=BB9_564 Depth=1
	s_or_b64 exec, exec, s[54:55]
	s_and_b64 s[54:55], exec, s[44:45]
	s_or_b64 s[40:41], s[54:55], s[40:41]
	s_andn2_b64 s[50:51], s[50:51], exec
	s_and_b64 s[52:53], s[52:53], exec
	s_or_b64 s[50:51], s[50:51], s[52:53]
	s_andn2_b64 s[42:43], s[42:43], exec
	s_and_b64 s[52:53], s[48:49], exec
	s_or_b64 s[42:43], s[42:43], s[52:53]
	s_andn2_b64 exec, exec, s[40:41]
	s_cbranch_execz .LBB9_566
.LBB9_564:                              ; =>This Inner Loop Header: Depth=1
	global_load_ubyte v44, v[6:7], off
	global_load_ubyte v45, v[8:9], off
	s_andn2_b64 s[48:49], s[48:49], exec
	s_or_b64 s[44:45], s[44:45], exec
	s_waitcnt vmcnt(0)
	v_cmp_le_u16_sdwa s[54:55], v44, v45 src0_sel:BYTE_0 src1_sel:BYTE_0
	v_cmp_lt_u16_sdwa s[52:53], v44, v45 src0_sel:BYTE_0 src1_sel:BYTE_0
	s_and_b64 s[54:55], s[54:55], s[50:51]
	s_or_b64 s[52:53], s[52:53], s[54:55]
	s_and_b64 s[54:55], s[52:53], exec
	v_cmp_eq_u16_sdwa s[56:57], v44, v45 src0_sel:BYTE_0 src1_sel:BYTE_0
	s_or_b64 s[48:49], s[48:49], s[54:55]
	s_and_saveexec_b64 s[54:55], s[56:57]
	s_cbranch_execz .LBB9_563
; %bb.565:                              ;   in Loop: Header=BB9_564 Depth=1
	s_add_u32 s46, s46, -1
	s_addc_u32 s47, s47, -1
	s_cmp_eq_u64 s[46:47], 0
	s_cselect_b64 s[50:51], -1, 0
	s_andn2_b64 s[44:45], s[44:45], exec
	s_and_b64 s[50:51], s[50:51], exec
	v_lshl_add_u64 v[6:7], v[6:7], 0, 1
	v_lshl_add_u64 v[8:9], v[8:9], 0, 1
	s_andn2_b64 s[48:49], s[48:49], exec
	s_or_b64 s[44:45], s[44:45], s[50:51]
                                        ; implicit-def: $sgpr50_sgpr51
	s_branch .LBB9_563
.LBB9_566:
	s_or_b64 exec, exec, s[40:41]
	s_xor_b64 s[40:41], s[42:43], -1
	s_branch .LBB9_568
.LBB9_567:
	s_mov_b64 s[40:41], -1
.LBB9_568:
	s_and_b64 s[40:41], s[40:41], exec
.LBB9_569:
	s_or_b64 exec, exec, s[28:29]
	s_orn2_b64 s[28:29], s[40:41], exec
.LBB9_570:
	s_or_b64 exec, exec, s[34:35]
	v_cndmask_b32_e64 v6, v46, v50, s[28:29]
	v_cndmask_b32_e64 v7, v27, v26, s[28:29]
	v_add_u32_e32 v8, 1, v6
	v_add_u32_e32 v6, -1, v7
	v_min_u32_e32 v6, v8, v6
	v_lshl_add_u32 v6, v6, 3, v35
	ds_read_b64 v[6:7], v6
	v_cndmask_b32_e64 v47, v8, v46, s[28:29]
	v_cndmask_b32_e64 v46, v50, v8, s[28:29]
	v_cmp_lt_u32_e32 vcc, v47, v27
	s_waitcnt lgkmcnt(0)
	v_cndmask_b32_e64 v44, v7, v40, s[28:29]
	v_cndmask_b32_e64 v45, v6, v41, s[28:29]
	;; [unrolled: 1-line block ×4, first 2 shown]
	s_and_saveexec_b64 s[34:35], vcc
	s_cbranch_execz .LBB9_581
; %bb.571:
	v_cmp_lt_u32_e32 vcc, v46, v26
	s_mov_b64 s[40:41], 0
	s_and_saveexec_b64 s[26:27], vcc
	s_cbranch_execz .LBB9_580
; %bb.572:
	s_and_b64 vcc, exec, s[0:1]
	s_cbranch_vccnz .LBB9_578
; %bb.573:
	v_mov_b64_e32 v[8:9], s[38:39]
	v_mad_u64_u32 v[6:7], s[40:41], v45, s36, v[8:9]
	v_mul_lo_u32 v50, v45, s37
	v_mul_lo_u32 v51, v44, s36
	v_add3_u32 v7, v51, v7, v50
	v_mad_u64_u32 v[8:9], s[40:41], v49, s36, v[8:9]
	v_mul_lo_u32 v50, v49, s37
	v_mul_lo_u32 v51, v48, s36
	v_add3_u32 v9, v51, v9, v50
	s_mov_b64 s[40:41], 0
	s_mov_b64 s[46:47], s[36:37]
                                        ; implicit-def: $sgpr42_sgpr43
                                        ; implicit-def: $sgpr44_sgpr45
                                        ; implicit-def: $sgpr48_sgpr49
                                        ; implicit-def: $sgpr50_sgpr51
	s_branch .LBB9_575
.LBB9_574:                              ;   in Loop: Header=BB9_575 Depth=1
	s_or_b64 exec, exec, s[54:55]
	s_and_b64 s[54:55], exec, s[44:45]
	s_or_b64 s[40:41], s[54:55], s[40:41]
	s_andn2_b64 s[50:51], s[50:51], exec
	s_and_b64 s[52:53], s[52:53], exec
	s_or_b64 s[50:51], s[50:51], s[52:53]
	s_andn2_b64 s[42:43], s[42:43], exec
	s_and_b64 s[52:53], s[48:49], exec
	s_or_b64 s[42:43], s[42:43], s[52:53]
	s_andn2_b64 exec, exec, s[40:41]
	s_cbranch_execz .LBB9_577
.LBB9_575:                              ; =>This Inner Loop Header: Depth=1
	global_load_ubyte v50, v[6:7], off
	global_load_ubyte v51, v[8:9], off
	s_andn2_b64 s[48:49], s[48:49], exec
	s_or_b64 s[44:45], s[44:45], exec
	s_waitcnt vmcnt(0)
	v_cmp_le_u16_sdwa s[54:55], v50, v51 src0_sel:BYTE_0 src1_sel:BYTE_0
	v_cmp_lt_u16_sdwa s[52:53], v50, v51 src0_sel:BYTE_0 src1_sel:BYTE_0
	s_and_b64 s[54:55], s[54:55], s[50:51]
	s_or_b64 s[52:53], s[52:53], s[54:55]
	s_and_b64 s[54:55], s[52:53], exec
	v_cmp_eq_u16_sdwa s[56:57], v50, v51 src0_sel:BYTE_0 src1_sel:BYTE_0
	s_or_b64 s[48:49], s[48:49], s[54:55]
	s_and_saveexec_b64 s[54:55], s[56:57]
	s_cbranch_execz .LBB9_574
; %bb.576:                              ;   in Loop: Header=BB9_575 Depth=1
	s_add_u32 s46, s46, -1
	s_addc_u32 s47, s47, -1
	s_cmp_eq_u64 s[46:47], 0
	s_cselect_b64 s[50:51], -1, 0
	s_andn2_b64 s[44:45], s[44:45], exec
	s_and_b64 s[50:51], s[50:51], exec
	v_lshl_add_u64 v[6:7], v[6:7], 0, 1
	v_lshl_add_u64 v[8:9], v[8:9], 0, 1
	s_andn2_b64 s[48:49], s[48:49], exec
	s_or_b64 s[44:45], s[44:45], s[50:51]
                                        ; implicit-def: $sgpr50_sgpr51
	s_branch .LBB9_574
.LBB9_577:
	s_or_b64 exec, exec, s[40:41]
	s_xor_b64 s[40:41], s[42:43], -1
	s_branch .LBB9_579
.LBB9_578:
	s_mov_b64 s[40:41], -1
.LBB9_579:
	s_and_b64 s[40:41], s[40:41], exec
.LBB9_580:
	s_or_b64 exec, exec, s[26:27]
	s_orn2_b64 s[26:27], s[40:41], exec
.LBB9_581:
	s_or_b64 exec, exec, s[34:35]
	v_cndmask_b32_e64 v11, v10, v11, s[20:21]
	v_cndmask_b32_e64 v10, v17, v23, s[20:21]
	;; [unrolled: 1-line block ×8, first 2 shown]
	v_add_u32_e32 v24, 1, v14
	v_add_u32_e32 v14, -1, v15
	v_min_u32_e32 v14, v24, v14
	v_lshl_add_u32 v14, v14, 3, v35
	ds_read_b64 v[22:23], v14
	v_cndmask_b32_e64 v25, v24, v47, s[26:27]
	v_cndmask_b32_e64 v9, v40, v42, s[28:29]
	;; [unrolled: 1-line block ×9, first 2 shown]
	s_waitcnt lgkmcnt(0)
	v_cndmask_b32_e64 v5, v48, v23, s[26:27]
	v_cndmask_b32_e64 v4, v49, v22, s[26:27]
	v_cmp_lt_u32_e32 vcc, v25, v27
	s_and_saveexec_b64 s[4:5], vcc
	s_cbranch_execz .LBB9_591
; %bb.582:
	v_cndmask_b32_e64 v24, v46, v24, s[26:27]
	v_cndmask_b32_e64 v23, v23, v44, s[26:27]
	;; [unrolled: 1-line block ×3, first 2 shown]
	v_cmp_lt_u32_e32 vcc, v24, v26
	s_and_saveexec_b64 s[12:13], vcc
	s_cbranch_execz .LBB9_590
; %bb.583:
	s_and_b64 vcc, exec, s[0:1]
	s_cbranch_vccnz .LBB9_589
; %bb.584:
	v_mov_b64_e32 v[26:27], s[38:39]
	v_mad_u64_u32 v[24:25], s[20:21], v22, s36, v[26:27]
	v_mul_lo_u32 v35, v22, s37
	v_mul_lo_u32 v36, v23, s36
	v_add3_u32 v25, v36, v25, v35
	v_mad_u64_u32 v[26:27], s[20:21], v4, s36, v[26:27]
	v_mul_lo_u32 v35, v4, s37
	v_mul_lo_u32 v36, v5, s36
	v_add3_u32 v27, v36, v27, v35
	s_mov_b64 s[20:21], 0
	s_mov_b64 s[26:27], s[36:37]
                                        ; implicit-def: $sgpr22_sgpr23
                                        ; implicit-def: $sgpr24_sgpr25
                                        ; implicit-def: $sgpr28_sgpr29
                                        ; implicit-def: $sgpr34_sgpr35
	s_branch .LBB9_586
.LBB9_585:                              ;   in Loop: Header=BB9_586 Depth=1
	s_or_b64 exec, exec, s[42:43]
	s_and_b64 s[42:43], exec, s[24:25]
	s_or_b64 s[20:21], s[42:43], s[20:21]
	s_andn2_b64 s[34:35], s[34:35], exec
	s_and_b64 s[40:41], s[40:41], exec
	s_or_b64 s[34:35], s[34:35], s[40:41]
	s_andn2_b64 s[22:23], s[22:23], exec
	s_and_b64 s[40:41], s[28:29], exec
	s_or_b64 s[22:23], s[22:23], s[40:41]
	s_andn2_b64 exec, exec, s[20:21]
	s_cbranch_execz .LBB9_588
.LBB9_586:                              ; =>This Inner Loop Header: Depth=1
	global_load_ubyte v35, v[24:25], off
	global_load_ubyte v36, v[26:27], off
	s_andn2_b64 s[28:29], s[28:29], exec
	s_or_b64 s[24:25], s[24:25], exec
	s_waitcnt vmcnt(0)
	v_cmp_le_u16_sdwa s[42:43], v35, v36 src0_sel:BYTE_0 src1_sel:BYTE_0
	v_cmp_lt_u16_sdwa s[40:41], v35, v36 src0_sel:BYTE_0 src1_sel:BYTE_0
	s_and_b64 s[42:43], s[42:43], s[34:35]
	s_or_b64 s[40:41], s[40:41], s[42:43]
	s_and_b64 s[42:43], s[40:41], exec
	v_cmp_eq_u16_sdwa s[44:45], v35, v36 src0_sel:BYTE_0 src1_sel:BYTE_0
	s_or_b64 s[28:29], s[28:29], s[42:43]
	s_and_saveexec_b64 s[42:43], s[44:45]
	s_cbranch_execz .LBB9_585
; %bb.587:                              ;   in Loop: Header=BB9_586 Depth=1
	s_add_u32 s26, s26, -1
	s_addc_u32 s27, s27, -1
	s_cmp_eq_u64 s[26:27], 0
	s_cselect_b64 s[34:35], -1, 0
	s_andn2_b64 s[24:25], s[24:25], exec
	s_and_b64 s[34:35], s[34:35], exec
	v_lshl_add_u64 v[24:25], v[24:25], 0, 1
	v_lshl_add_u64 v[26:27], v[26:27], 0, 1
	s_andn2_b64 s[28:29], s[28:29], exec
	s_or_b64 s[24:25], s[24:25], s[34:35]
                                        ; implicit-def: $sgpr34_sgpr35
	s_branch .LBB9_585
.LBB9_588:
	s_or_b64 exec, exec, s[20:21]
	v_cndmask_b32_e64 v5, v5, v23, s[22:23]
	v_cndmask_b32_e64 v4, v4, v22, s[22:23]
.LBB9_589:
	v_mov_b64_e32 v[22:23], v[4:5]
.LBB9_590:
	s_or_b64 exec, exec, s[12:13]
	v_mov_b64_e32 v[4:5], v[22:23]
.LBB9_591:
	s_or_b64 exec, exec, s[4:5]
.LBB9_592:
	s_or_b64 exec, exec, s[10:11]
	v_lshlrev_b32_e32 v26, 3, v20
	s_movk_i32 s3, 0x80
	; wave barrier
	s_waitcnt lgkmcnt(0)
	s_barrier
.LBB9_593:                              ; =>This Loop Header: Depth=1
                                        ;     Child Loop BB9_597 Depth 2
                                        ;       Child Loop BB9_600 Depth 3
                                        ;     Child Loop BB9_612 Depth 2
                                        ;     Child Loop BB9_622 Depth 2
	;; [unrolled: 1-line block ×8, first 2 shown]
	s_lshl_b32 s9, s3, 1
	s_sub_i32 s5, 0, s9
	v_and_b32_e32 v38, s5, v20
	v_add_u32_e32 v22, s3, v38
	v_min_u32_e32 v27, 0x800, v22
	s_add_i32 s4, s9, -1
	v_add_u32_e32 v22, s3, v27
	v_min_u32_e32 v35, 0x800, v22
	v_and_b32_e32 v22, s4, v20
	v_min_u32_e32 v39, 0x800, v22
	v_sub_u32_e32 v22, v27, v38
	v_sub_u32_e32 v23, v35, v27
	v_sub_u32_e64 v37, v39, v23 clamp
	v_min_u32_e32 v40, v39, v22
	v_lshlrev_b32_e32 v36, 3, v38
	v_cmp_lt_u32_e32 vcc, v37, v40
	ds_write_b128 v26, v[14:17]
	ds_write_b128 v26, v[10:13] offset:16
	ds_write_b128 v26, v[6:9] offset:32
	;; [unrolled: 1-line block ×3, first 2 shown]
	s_waitcnt lgkmcnt(0)
	s_barrier
	s_and_saveexec_b64 s[4:5], vcc
	s_cbranch_execz .LBB9_603
; %bb.594:                              ;   in Loop: Header=BB9_593 Depth=1
	v_lshlrev_b32_e32 v22, 3, v39
	v_lshl_add_u32 v41, v27, 3, v22
	s_mov_b64 s[10:11], 0
	s_branch .LBB9_597
.LBB9_595:                              ;   in Loop: Header=BB9_597 Depth=2
	s_or_b64 exec, exec, s[20:21]
.LBB9_596:                              ;   in Loop: Header=BB9_597 Depth=2
	v_add_u32_e32 v22, 1, v42
	v_cndmask_b32_e64 v40, v40, v42, s[12:13]
	v_cndmask_b32_e64 v37, v22, v37, s[12:13]
	v_cmp_ge_u32_e32 vcc, v37, v40
	s_or_b64 s[10:11], vcc, s[10:11]
	s_andn2_b64 exec, exec, s[10:11]
	s_cbranch_execz .LBB9_602
.LBB9_597:                              ;   Parent Loop BB9_593 Depth=1
                                        ; =>  This Loop Header: Depth=2
                                        ;       Child Loop BB9_600 Depth 3
	v_add_u32_e32 v22, v40, v37
	v_lshrrev_b32_e32 v42, 1, v22
	s_and_b64 vcc, exec, s[0:1]
	s_mov_b64 s[12:13], 0
	s_cbranch_vccnz .LBB9_596
; %bb.598:                              ;   in Loop: Header=BB9_597 Depth=2
	v_not_b32_e32 v22, v42
	v_lshl_add_u32 v22, v22, 3, v41
	ds_read_b64 v[22:23], v22
	v_lshl_add_u32 v43, v42, 3, v36
	ds_read_b64 v[44:45], v43
	v_mov_b64_e32 v[24:25], s[38:39]
	s_mov_b64 s[20:21], 0
	s_waitcnt lgkmcnt(1)
	v_mul_lo_u32 v43, v22, s37
	v_mul_lo_u32 v46, v23, s36
	v_mad_u64_u32 v[22:23], s[12:13], v22, s36, v[24:25]
	v_add3_u32 v23, v46, v23, v43
	s_waitcnt lgkmcnt(0)
	v_mul_lo_u32 v43, v44, s37
	v_mul_lo_u32 v45, v45, s36
	v_mad_u64_u32 v[24:25], s[12:13], v44, s36, v[24:25]
	v_add3_u32 v25, v45, v25, v43
	s_mov_b64 s[24:25], s[36:37]
                                        ; implicit-def: $sgpr12_sgpr13
                                        ; implicit-def: $sgpr22_sgpr23
                                        ; implicit-def: $sgpr26_sgpr27
                                        ; implicit-def: $sgpr28_sgpr29
	s_branch .LBB9_600
.LBB9_599:                              ;   in Loop: Header=BB9_600 Depth=3
	s_or_b64 exec, exec, s[40:41]
	s_and_b64 s[40:41], exec, s[22:23]
	s_or_b64 s[20:21], s[40:41], s[20:21]
	s_andn2_b64 s[28:29], s[28:29], exec
	s_and_b64 s[34:35], s[34:35], exec
	s_or_b64 s[28:29], s[28:29], s[34:35]
	s_andn2_b64 s[12:13], s[12:13], exec
	s_and_b64 s[34:35], s[26:27], exec
	s_or_b64 s[12:13], s[12:13], s[34:35]
	s_andn2_b64 exec, exec, s[20:21]
	s_cbranch_execz .LBB9_595
.LBB9_600:                              ;   Parent Loop BB9_593 Depth=1
                                        ;     Parent Loop BB9_597 Depth=2
                                        ; =>    This Inner Loop Header: Depth=3
	global_load_ubyte v43, v[22:23], off
	global_load_ubyte v44, v[24:25], off
	s_andn2_b64 s[26:27], s[26:27], exec
	s_or_b64 s[22:23], s[22:23], exec
	s_waitcnt vmcnt(0)
	v_cmp_le_u16_sdwa s[40:41], v43, v44 src0_sel:BYTE_0 src1_sel:BYTE_0
	v_cmp_lt_u16_sdwa s[34:35], v43, v44 src0_sel:BYTE_0 src1_sel:BYTE_0
	s_and_b64 s[40:41], s[40:41], s[28:29]
	s_or_b64 s[34:35], s[34:35], s[40:41]
	s_and_b64 s[40:41], s[34:35], exec
	v_cmp_eq_u16_sdwa s[42:43], v43, v44 src0_sel:BYTE_0 src1_sel:BYTE_0
	s_or_b64 s[26:27], s[26:27], s[40:41]
	s_and_saveexec_b64 s[40:41], s[42:43]
	s_cbranch_execz .LBB9_599
; %bb.601:                              ;   in Loop: Header=BB9_600 Depth=3
	s_add_u32 s24, s24, -1
	s_addc_u32 s25, s25, -1
	s_cmp_eq_u64 s[24:25], 0
	s_cselect_b64 s[28:29], -1, 0
	s_andn2_b64 s[22:23], s[22:23], exec
	s_and_b64 s[28:29], s[28:29], exec
	v_lshl_add_u64 v[22:23], v[22:23], 0, 1
	v_lshl_add_u64 v[24:25], v[24:25], 0, 1
	s_andn2_b64 s[26:27], s[26:27], exec
	s_or_b64 s[22:23], s[22:23], s[28:29]
                                        ; implicit-def: $sgpr28_sgpr29
	s_branch .LBB9_599
.LBB9_602:                              ;   in Loop: Header=BB9_593 Depth=1
	s_or_b64 exec, exec, s[10:11]
.LBB9_603:                              ;   in Loop: Header=BB9_593 Depth=1
	s_or_b64 exec, exec, s[4:5]
	v_sub_u32_e32 v22, v39, v37
	v_add_u32_e32 v24, v37, v38
	v_add_u32_e32 v25, v22, v27
	v_cmp_le_u32_e32 vcc, v24, v27
	v_cmp_le_u32_e64 s[4:5], v25, v35
	s_or_b64 s[4:5], vcc, s[4:5]
	s_and_saveexec_b64 s[10:11], s[4:5]
	s_cbranch_execz .LBB9_694
; %bb.604:                              ;   in Loop: Header=BB9_593 Depth=1
	v_cmp_ge_u32_e32 vcc, v24, v27
	v_cmp_lt_u32_e64 s[4:5], v24, v27
                                        ; implicit-def: $vgpr2_vgpr3
	s_and_saveexec_b64 s[12:13], s[4:5]
; %bb.605:                              ;   in Loop: Header=BB9_593 Depth=1
	v_lshl_add_u32 v2, v37, 3, v36
	ds_read_b64 v[2:3], v2
; %bb.606:                              ;   in Loop: Header=BB9_593 Depth=1
	s_or_b64 exec, exec, s[12:13]
	v_cmp_ge_u32_e64 s[12:13], v25, v35
	v_cmp_lt_u32_e64 s[4:5], v25, v35
                                        ; implicit-def: $vgpr14_vgpr15
	s_and_saveexec_b64 s[20:21], s[4:5]
; %bb.607:                              ;   in Loop: Header=BB9_593 Depth=1
	v_lshlrev_b32_e32 v4, 3, v25
	ds_read_b64 v[14:15], v4
; %bb.608:                              ;   in Loop: Header=BB9_593 Depth=1
	s_or_b64 exec, exec, s[20:21]
	s_nor_b64 s[20:21], vcc, s[12:13]
	s_and_saveexec_b64 s[4:5], s[20:21]
	s_cbranch_execz .LBB9_617
; %bb.609:                              ;   in Loop: Header=BB9_593 Depth=1
	s_and_b64 vcc, exec, s[0:1]
	s_cbranch_vccnz .LBB9_615
; %bb.610:                              ;   in Loop: Header=BB9_593 Depth=1
	v_mov_b64_e32 v[6:7], s[38:39]
	s_waitcnt lgkmcnt(0)
	v_mad_u64_u32 v[4:5], s[20:21], v14, s36, v[6:7]
	v_mul_lo_u32 v8, v14, s37
	v_mul_lo_u32 v9, v15, s36
	v_add3_u32 v5, v9, v5, v8
	v_mad_u64_u32 v[6:7], s[20:21], v2, s36, v[6:7]
	v_mul_lo_u32 v8, v2, s37
	v_mul_lo_u32 v9, v3, s36
	v_add3_u32 v7, v9, v7, v8
	s_mov_b64 s[20:21], 0
	s_mov_b64 s[26:27], s[36:37]
                                        ; implicit-def: $sgpr22_sgpr23
                                        ; implicit-def: $sgpr24_sgpr25
                                        ; implicit-def: $sgpr28_sgpr29
                                        ; implicit-def: $sgpr34_sgpr35
	s_branch .LBB9_612
.LBB9_611:                              ;   in Loop: Header=BB9_612 Depth=2
	s_or_b64 exec, exec, s[42:43]
	s_and_b64 s[42:43], exec, s[24:25]
	s_or_b64 s[20:21], s[42:43], s[20:21]
	s_andn2_b64 s[34:35], s[34:35], exec
	s_and_b64 s[40:41], s[40:41], exec
	s_or_b64 s[34:35], s[34:35], s[40:41]
	s_andn2_b64 s[22:23], s[22:23], exec
	s_and_b64 s[40:41], s[28:29], exec
	s_or_b64 s[22:23], s[22:23], s[40:41]
	s_andn2_b64 exec, exec, s[20:21]
	s_cbranch_execz .LBB9_614
.LBB9_612:                              ;   Parent Loop BB9_593 Depth=1
                                        ; =>  This Inner Loop Header: Depth=2
	global_load_ubyte v8, v[4:5], off
	global_load_ubyte v9, v[6:7], off
	s_andn2_b64 s[28:29], s[28:29], exec
	s_or_b64 s[24:25], s[24:25], exec
	s_waitcnt vmcnt(0)
	v_cmp_le_u16_sdwa s[42:43], v8, v9 src0_sel:BYTE_0 src1_sel:BYTE_0
	v_cmp_lt_u16_sdwa s[40:41], v8, v9 src0_sel:BYTE_0 src1_sel:BYTE_0
	s_and_b64 s[42:43], s[42:43], s[34:35]
	s_or_b64 s[40:41], s[40:41], s[42:43]
	s_and_b64 s[42:43], s[40:41], exec
	v_cmp_eq_u16_sdwa s[44:45], v8, v9 src0_sel:BYTE_0 src1_sel:BYTE_0
	s_or_b64 s[28:29], s[28:29], s[42:43]
	s_and_saveexec_b64 s[42:43], s[44:45]
	s_cbranch_execz .LBB9_611
; %bb.613:                              ;   in Loop: Header=BB9_612 Depth=2
	s_add_u32 s26, s26, -1
	s_addc_u32 s27, s27, -1
	s_cmp_eq_u64 s[26:27], 0
	s_cselect_b64 s[34:35], -1, 0
	s_andn2_b64 s[24:25], s[24:25], exec
	s_and_b64 s[34:35], s[34:35], exec
	v_lshl_add_u64 v[4:5], v[4:5], 0, 1
	v_lshl_add_u64 v[6:7], v[6:7], 0, 1
	s_andn2_b64 s[28:29], s[28:29], exec
	s_or_b64 s[24:25], s[24:25], s[34:35]
                                        ; implicit-def: $sgpr34_sgpr35
	s_branch .LBB9_611
.LBB9_614:                              ;   in Loop: Header=BB9_593 Depth=1
	s_or_b64 exec, exec, s[20:21]
	s_xor_b64 s[20:21], s[22:23], -1
	s_branch .LBB9_616
.LBB9_615:                              ;   in Loop: Header=BB9_593 Depth=1
	s_mov_b64 s[20:21], -1
.LBB9_616:                              ;   in Loop: Header=BB9_593 Depth=1
	s_andn2_b64 s[12:13], s[12:13], exec
	s_and_b64 s[20:21], s[20:21], exec
	s_or_b64 s[12:13], s[12:13], s[20:21]
.LBB9_617:                              ;   in Loop: Header=BB9_593 Depth=1
	s_or_b64 exec, exec, s[4:5]
	v_cndmask_b32_e64 v4, v25, v24, s[12:13]
	v_cndmask_b32_e64 v5, v35, v27, s[12:13]
	v_add_u32_e32 v6, 1, v4
	v_add_u32_e32 v4, -1, v5
	v_min_u32_e32 v4, v6, v4
	v_lshlrev_b32_e32 v4, 3, v4
	ds_read_b64 v[4:5], v4
	v_cndmask_b32_e64 v8, v6, v25, s[12:13]
	v_cndmask_b32_e64 v9, v24, v6, s[12:13]
	v_cmp_lt_u32_e32 vcc, v8, v35
	s_mov_b64 s[20:21], -1
	s_waitcnt lgkmcnt(0)
	v_cndmask_b32_e64 v16, v5, v15, s[12:13]
	v_cndmask_b32_e64 v22, v4, v14, s[12:13]
	;; [unrolled: 1-line block ×4, first 2 shown]
	s_mov_b64 s[4:5], -1
	s_and_saveexec_b64 s[22:23], vcc
	s_cbranch_execz .LBB9_628
; %bb.618:                              ;   in Loop: Header=BB9_593 Depth=1
	v_cmp_lt_u32_e32 vcc, v9, v27
	s_mov_b64 s[24:25], 0
	s_and_saveexec_b64 s[4:5], vcc
	s_cbranch_execz .LBB9_627
; %bb.619:                              ;   in Loop: Header=BB9_593 Depth=1
	s_and_b64 vcc, exec, s[0:1]
	s_cbranch_vccnz .LBB9_625
; %bb.620:                              ;   in Loop: Header=BB9_593 Depth=1
	v_mov_b64_e32 v[6:7], s[38:39]
	v_mad_u64_u32 v[4:5], s[24:25], v22, s36, v[6:7]
	v_mul_lo_u32 v10, v22, s37
	v_mul_lo_u32 v11, v16, s36
	v_add3_u32 v5, v11, v5, v10
	v_mad_u64_u32 v[6:7], s[24:25], v23, s36, v[6:7]
	v_mul_lo_u32 v10, v23, s37
	v_mul_lo_u32 v11, v17, s36
	v_add3_u32 v7, v11, v7, v10
	s_mov_b64 s[24:25], 0
	s_mov_b64 s[34:35], s[36:37]
                                        ; implicit-def: $sgpr26_sgpr27
                                        ; implicit-def: $sgpr28_sgpr29
                                        ; implicit-def: $sgpr40_sgpr41
                                        ; implicit-def: $sgpr42_sgpr43
	s_branch .LBB9_622
.LBB9_621:                              ;   in Loop: Header=BB9_622 Depth=2
	s_or_b64 exec, exec, s[46:47]
	s_and_b64 s[46:47], exec, s[28:29]
	s_or_b64 s[24:25], s[46:47], s[24:25]
	s_andn2_b64 s[42:43], s[42:43], exec
	s_and_b64 s[44:45], s[44:45], exec
	s_or_b64 s[42:43], s[42:43], s[44:45]
	s_andn2_b64 s[26:27], s[26:27], exec
	s_and_b64 s[44:45], s[40:41], exec
	s_or_b64 s[26:27], s[26:27], s[44:45]
	s_andn2_b64 exec, exec, s[24:25]
	s_cbranch_execz .LBB9_624
.LBB9_622:                              ;   Parent Loop BB9_593 Depth=1
                                        ; =>  This Inner Loop Header: Depth=2
	global_load_ubyte v10, v[4:5], off
	global_load_ubyte v11, v[6:7], off
	s_andn2_b64 s[40:41], s[40:41], exec
	s_or_b64 s[28:29], s[28:29], exec
	s_waitcnt vmcnt(0)
	v_cmp_le_u16_sdwa s[46:47], v10, v11 src0_sel:BYTE_0 src1_sel:BYTE_0
	v_cmp_lt_u16_sdwa s[44:45], v10, v11 src0_sel:BYTE_0 src1_sel:BYTE_0
	s_and_b64 s[46:47], s[46:47], s[42:43]
	s_or_b64 s[44:45], s[44:45], s[46:47]
	s_and_b64 s[46:47], s[44:45], exec
	v_cmp_eq_u16_sdwa s[48:49], v10, v11 src0_sel:BYTE_0 src1_sel:BYTE_0
	s_or_b64 s[40:41], s[40:41], s[46:47]
	s_and_saveexec_b64 s[46:47], s[48:49]
	s_cbranch_execz .LBB9_621
; %bb.623:                              ;   in Loop: Header=BB9_622 Depth=2
	s_add_u32 s34, s34, -1
	s_addc_u32 s35, s35, -1
	s_cmp_eq_u64 s[34:35], 0
	s_cselect_b64 s[42:43], -1, 0
	s_andn2_b64 s[28:29], s[28:29], exec
	s_and_b64 s[42:43], s[42:43], exec
	v_lshl_add_u64 v[4:5], v[4:5], 0, 1
	v_lshl_add_u64 v[6:7], v[6:7], 0, 1
	s_andn2_b64 s[40:41], s[40:41], exec
	s_or_b64 s[28:29], s[28:29], s[42:43]
                                        ; implicit-def: $sgpr42_sgpr43
	s_branch .LBB9_621
.LBB9_624:                              ;   in Loop: Header=BB9_593 Depth=1
	s_or_b64 exec, exec, s[24:25]
	s_xor_b64 s[24:25], s[26:27], -1
	s_branch .LBB9_626
.LBB9_625:                              ;   in Loop: Header=BB9_593 Depth=1
	s_mov_b64 s[24:25], -1
.LBB9_626:                              ;   in Loop: Header=BB9_593 Depth=1
	s_and_b64 s[24:25], s[24:25], exec
.LBB9_627:                              ;   in Loop: Header=BB9_593 Depth=1
	s_or_b64 exec, exec, s[4:5]
	s_orn2_b64 s[4:5], s[24:25], exec
.LBB9_628:                              ;   in Loop: Header=BB9_593 Depth=1
	s_or_b64 exec, exec, s[22:23]
	v_cndmask_b32_e64 v4, v8, v9, s[4:5]
	v_cndmask_b32_e64 v5, v35, v27, s[4:5]
	v_add_u32_e32 v6, 1, v4
	v_add_u32_e32 v4, -1, v5
	v_min_u32_e32 v4, v6, v4
	v_lshlrev_b32_e32 v4, 3, v4
	ds_read_b64 v[4:5], v4
	v_cndmask_b32_e64 v8, v6, v8, s[4:5]
	v_cndmask_b32_e64 v9, v9, v6, s[4:5]
	v_cmp_lt_u32_e32 vcc, v8, v35
	s_waitcnt lgkmcnt(0)
	v_cndmask_b32_e64 v24, v5, v16, s[4:5]
	v_cndmask_b32_e64 v25, v4, v22, s[4:5]
	;; [unrolled: 1-line block ×4, first 2 shown]
	s_and_saveexec_b64 s[22:23], vcc
	s_cbranch_execz .LBB9_639
; %bb.629:                              ;   in Loop: Header=BB9_593 Depth=1
	v_cmp_lt_u32_e32 vcc, v9, v27
	s_mov_b64 s[24:25], 0
	s_and_saveexec_b64 s[20:21], vcc
	s_cbranch_execz .LBB9_638
; %bb.630:                              ;   in Loop: Header=BB9_593 Depth=1
	s_and_b64 vcc, exec, s[0:1]
	s_cbranch_vccnz .LBB9_636
; %bb.631:                              ;   in Loop: Header=BB9_593 Depth=1
	v_mov_b64_e32 v[6:7], s[38:39]
	v_mad_u64_u32 v[4:5], s[24:25], v25, s36, v[6:7]
	v_mul_lo_u32 v10, v25, s37
	v_mul_lo_u32 v11, v24, s36
	v_add3_u32 v5, v11, v5, v10
	v_mad_u64_u32 v[6:7], s[24:25], v37, s36, v[6:7]
	v_mul_lo_u32 v10, v37, s37
	v_mul_lo_u32 v11, v36, s36
	v_add3_u32 v7, v11, v7, v10
	s_mov_b64 s[24:25], 0
	s_mov_b64 s[34:35], s[36:37]
                                        ; implicit-def: $sgpr26_sgpr27
                                        ; implicit-def: $sgpr28_sgpr29
                                        ; implicit-def: $sgpr40_sgpr41
                                        ; implicit-def: $sgpr42_sgpr43
	s_branch .LBB9_633
.LBB9_632:                              ;   in Loop: Header=BB9_633 Depth=2
	s_or_b64 exec, exec, s[46:47]
	s_and_b64 s[46:47], exec, s[28:29]
	s_or_b64 s[24:25], s[46:47], s[24:25]
	s_andn2_b64 s[42:43], s[42:43], exec
	s_and_b64 s[44:45], s[44:45], exec
	s_or_b64 s[42:43], s[42:43], s[44:45]
	s_andn2_b64 s[26:27], s[26:27], exec
	s_and_b64 s[44:45], s[40:41], exec
	s_or_b64 s[26:27], s[26:27], s[44:45]
	s_andn2_b64 exec, exec, s[24:25]
	s_cbranch_execz .LBB9_635
.LBB9_633:                              ;   Parent Loop BB9_593 Depth=1
                                        ; =>  This Inner Loop Header: Depth=2
	global_load_ubyte v10, v[4:5], off
	global_load_ubyte v11, v[6:7], off
	s_andn2_b64 s[40:41], s[40:41], exec
	s_or_b64 s[28:29], s[28:29], exec
	s_waitcnt vmcnt(0)
	v_cmp_le_u16_sdwa s[46:47], v10, v11 src0_sel:BYTE_0 src1_sel:BYTE_0
	v_cmp_lt_u16_sdwa s[44:45], v10, v11 src0_sel:BYTE_0 src1_sel:BYTE_0
	s_and_b64 s[46:47], s[46:47], s[42:43]
	s_or_b64 s[44:45], s[44:45], s[46:47]
	s_and_b64 s[46:47], s[44:45], exec
	v_cmp_eq_u16_sdwa s[48:49], v10, v11 src0_sel:BYTE_0 src1_sel:BYTE_0
	s_or_b64 s[40:41], s[40:41], s[46:47]
	s_and_saveexec_b64 s[46:47], s[48:49]
	s_cbranch_execz .LBB9_632
; %bb.634:                              ;   in Loop: Header=BB9_633 Depth=2
	s_add_u32 s34, s34, -1
	s_addc_u32 s35, s35, -1
	s_cmp_eq_u64 s[34:35], 0
	s_cselect_b64 s[42:43], -1, 0
	s_andn2_b64 s[28:29], s[28:29], exec
	s_and_b64 s[42:43], s[42:43], exec
	v_lshl_add_u64 v[4:5], v[4:5], 0, 1
	v_lshl_add_u64 v[6:7], v[6:7], 0, 1
	s_andn2_b64 s[40:41], s[40:41], exec
	s_or_b64 s[28:29], s[28:29], s[42:43]
                                        ; implicit-def: $sgpr42_sgpr43
	s_branch .LBB9_632
.LBB9_635:                              ;   in Loop: Header=BB9_593 Depth=1
	s_or_b64 exec, exec, s[24:25]
	s_xor_b64 s[24:25], s[26:27], -1
	s_branch .LBB9_637
.LBB9_636:                              ;   in Loop: Header=BB9_593 Depth=1
	s_mov_b64 s[24:25], -1
.LBB9_637:                              ;   in Loop: Header=BB9_593 Depth=1
	s_and_b64 s[24:25], s[24:25], exec
.LBB9_638:                              ;   in Loop: Header=BB9_593 Depth=1
	s_or_b64 exec, exec, s[20:21]
	s_orn2_b64 s[20:21], s[24:25], exec
.LBB9_639:                              ;   in Loop: Header=BB9_593 Depth=1
	s_or_b64 exec, exec, s[22:23]
	v_cndmask_b32_e64 v4, v8, v9, s[20:21]
	v_cndmask_b32_e64 v5, v35, v27, s[20:21]
	v_add_u32_e32 v6, 1, v4
	v_add_u32_e32 v4, -1, v5
	v_min_u32_e32 v4, v6, v4
	v_lshlrev_b32_e32 v4, 3, v4
	ds_read_b64 v[4:5], v4
	v_cndmask_b32_e64 v8, v6, v8, s[20:21]
	v_cndmask_b32_e64 v9, v9, v6, s[20:21]
	v_cmp_lt_u32_e32 vcc, v8, v35
	s_mov_b64 s[24:25], -1
	s_waitcnt lgkmcnt(0)
	v_cndmask_b32_e64 v12, v5, v24, s[20:21]
	v_cndmask_b32_e64 v38, v4, v25, s[20:21]
	;; [unrolled: 1-line block ×4, first 2 shown]
	s_mov_b64 s[22:23], -1
	s_and_saveexec_b64 s[26:27], vcc
	s_cbranch_execz .LBB9_650
; %bb.640:                              ;   in Loop: Header=BB9_593 Depth=1
	v_cmp_lt_u32_e32 vcc, v9, v27
	s_mov_b64 s[28:29], 0
	s_and_saveexec_b64 s[22:23], vcc
	s_cbranch_execz .LBB9_649
; %bb.641:                              ;   in Loop: Header=BB9_593 Depth=1
	s_and_b64 vcc, exec, s[0:1]
	s_cbranch_vccnz .LBB9_647
; %bb.642:                              ;   in Loop: Header=BB9_593 Depth=1
	v_mov_b64_e32 v[6:7], s[38:39]
	v_mad_u64_u32 v[4:5], s[28:29], v38, s36, v[6:7]
	v_mul_lo_u32 v10, v38, s37
	v_mul_lo_u32 v11, v12, s36
	v_add3_u32 v5, v11, v5, v10
	v_mad_u64_u32 v[6:7], s[28:29], v39, s36, v[6:7]
	v_mul_lo_u32 v10, v39, s37
	v_mul_lo_u32 v11, v13, s36
	v_add3_u32 v7, v11, v7, v10
	s_mov_b64 s[28:29], 0
	s_mov_b64 s[42:43], s[36:37]
                                        ; implicit-def: $sgpr34_sgpr35
                                        ; implicit-def: $sgpr40_sgpr41
                                        ; implicit-def: $sgpr44_sgpr45
                                        ; implicit-def: $sgpr46_sgpr47
	s_branch .LBB9_644
.LBB9_643:                              ;   in Loop: Header=BB9_644 Depth=2
	s_or_b64 exec, exec, s[50:51]
	s_and_b64 s[50:51], exec, s[40:41]
	s_or_b64 s[28:29], s[50:51], s[28:29]
	s_andn2_b64 s[46:47], s[46:47], exec
	s_and_b64 s[48:49], s[48:49], exec
	s_or_b64 s[46:47], s[46:47], s[48:49]
	s_andn2_b64 s[34:35], s[34:35], exec
	s_and_b64 s[48:49], s[44:45], exec
	s_or_b64 s[34:35], s[34:35], s[48:49]
	s_andn2_b64 exec, exec, s[28:29]
	s_cbranch_execz .LBB9_646
.LBB9_644:                              ;   Parent Loop BB9_593 Depth=1
                                        ; =>  This Inner Loop Header: Depth=2
	global_load_ubyte v10, v[4:5], off
	global_load_ubyte v11, v[6:7], off
	s_andn2_b64 s[44:45], s[44:45], exec
	s_or_b64 s[40:41], s[40:41], exec
	s_waitcnt vmcnt(0)
	v_cmp_le_u16_sdwa s[50:51], v10, v11 src0_sel:BYTE_0 src1_sel:BYTE_0
	v_cmp_lt_u16_sdwa s[48:49], v10, v11 src0_sel:BYTE_0 src1_sel:BYTE_0
	s_and_b64 s[50:51], s[50:51], s[46:47]
	s_or_b64 s[48:49], s[48:49], s[50:51]
	s_and_b64 s[50:51], s[48:49], exec
	v_cmp_eq_u16_sdwa s[52:53], v10, v11 src0_sel:BYTE_0 src1_sel:BYTE_0
	s_or_b64 s[44:45], s[44:45], s[50:51]
	s_and_saveexec_b64 s[50:51], s[52:53]
	s_cbranch_execz .LBB9_643
; %bb.645:                              ;   in Loop: Header=BB9_644 Depth=2
	s_add_u32 s42, s42, -1
	s_addc_u32 s43, s43, -1
	s_cmp_eq_u64 s[42:43], 0
	s_cselect_b64 s[46:47], -1, 0
	s_andn2_b64 s[40:41], s[40:41], exec
	s_and_b64 s[46:47], s[46:47], exec
	v_lshl_add_u64 v[4:5], v[4:5], 0, 1
	v_lshl_add_u64 v[6:7], v[6:7], 0, 1
	s_andn2_b64 s[44:45], s[44:45], exec
	s_or_b64 s[40:41], s[40:41], s[46:47]
                                        ; implicit-def: $sgpr46_sgpr47
	s_branch .LBB9_643
.LBB9_646:                              ;   in Loop: Header=BB9_593 Depth=1
	s_or_b64 exec, exec, s[28:29]
	s_xor_b64 s[28:29], s[34:35], -1
	s_branch .LBB9_648
.LBB9_647:                              ;   in Loop: Header=BB9_593 Depth=1
	s_mov_b64 s[28:29], -1
.LBB9_648:                              ;   in Loop: Header=BB9_593 Depth=1
	s_and_b64 s[28:29], s[28:29], exec
.LBB9_649:                              ;   in Loop: Header=BB9_593 Depth=1
	s_or_b64 exec, exec, s[22:23]
	s_orn2_b64 s[22:23], s[28:29], exec
.LBB9_650:                              ;   in Loop: Header=BB9_593 Depth=1
	s_or_b64 exec, exec, s[26:27]
	v_cndmask_b32_e64 v4, v8, v9, s[22:23]
	v_cndmask_b32_e64 v5, v35, v27, s[22:23]
	v_add_u32_e32 v6, 1, v4
	v_add_u32_e32 v4, -1, v5
	v_min_u32_e32 v4, v6, v4
	v_lshlrev_b32_e32 v4, 3, v4
	ds_read_b64 v[4:5], v4
	v_cndmask_b32_e64 v8, v6, v8, s[22:23]
	v_cndmask_b32_e64 v9, v9, v6, s[22:23]
	v_cmp_lt_u32_e32 vcc, v8, v35
	s_waitcnt lgkmcnt(0)
	v_cndmask_b32_e64 v40, v5, v12, s[22:23]
	v_cndmask_b32_e64 v41, v4, v38, s[22:23]
	;; [unrolled: 1-line block ×4, first 2 shown]
	s_and_saveexec_b64 s[26:27], vcc
	s_cbranch_execz .LBB9_661
; %bb.651:                              ;   in Loop: Header=BB9_593 Depth=1
	v_cmp_lt_u32_e32 vcc, v9, v27
	s_mov_b64 s[28:29], 0
	s_and_saveexec_b64 s[24:25], vcc
	s_cbranch_execz .LBB9_660
; %bb.652:                              ;   in Loop: Header=BB9_593 Depth=1
	s_and_b64 vcc, exec, s[0:1]
	s_cbranch_vccnz .LBB9_658
; %bb.653:                              ;   in Loop: Header=BB9_593 Depth=1
	v_mov_b64_e32 v[6:7], s[38:39]
	v_mad_u64_u32 v[4:5], s[28:29], v41, s36, v[6:7]
	v_mul_lo_u32 v10, v41, s37
	v_mul_lo_u32 v11, v40, s36
	v_add3_u32 v5, v11, v5, v10
	v_mad_u64_u32 v[6:7], s[28:29], v43, s36, v[6:7]
	v_mul_lo_u32 v10, v43, s37
	v_mul_lo_u32 v11, v42, s36
	v_add3_u32 v7, v11, v7, v10
	s_mov_b64 s[28:29], 0
	s_mov_b64 s[42:43], s[36:37]
                                        ; implicit-def: $sgpr34_sgpr35
                                        ; implicit-def: $sgpr40_sgpr41
                                        ; implicit-def: $sgpr44_sgpr45
                                        ; implicit-def: $sgpr46_sgpr47
	s_branch .LBB9_655
.LBB9_654:                              ;   in Loop: Header=BB9_655 Depth=2
	s_or_b64 exec, exec, s[50:51]
	s_and_b64 s[50:51], exec, s[40:41]
	s_or_b64 s[28:29], s[50:51], s[28:29]
	s_andn2_b64 s[46:47], s[46:47], exec
	s_and_b64 s[48:49], s[48:49], exec
	s_or_b64 s[46:47], s[46:47], s[48:49]
	s_andn2_b64 s[34:35], s[34:35], exec
	s_and_b64 s[48:49], s[44:45], exec
	s_or_b64 s[34:35], s[34:35], s[48:49]
	s_andn2_b64 exec, exec, s[28:29]
	s_cbranch_execz .LBB9_657
.LBB9_655:                              ;   Parent Loop BB9_593 Depth=1
                                        ; =>  This Inner Loop Header: Depth=2
	global_load_ubyte v10, v[4:5], off
	global_load_ubyte v11, v[6:7], off
	s_andn2_b64 s[44:45], s[44:45], exec
	s_or_b64 s[40:41], s[40:41], exec
	s_waitcnt vmcnt(0)
	v_cmp_le_u16_sdwa s[50:51], v10, v11 src0_sel:BYTE_0 src1_sel:BYTE_0
	v_cmp_lt_u16_sdwa s[48:49], v10, v11 src0_sel:BYTE_0 src1_sel:BYTE_0
	s_and_b64 s[50:51], s[50:51], s[46:47]
	s_or_b64 s[48:49], s[48:49], s[50:51]
	s_and_b64 s[50:51], s[48:49], exec
	v_cmp_eq_u16_sdwa s[52:53], v10, v11 src0_sel:BYTE_0 src1_sel:BYTE_0
	s_or_b64 s[44:45], s[44:45], s[50:51]
	s_and_saveexec_b64 s[50:51], s[52:53]
	s_cbranch_execz .LBB9_654
; %bb.656:                              ;   in Loop: Header=BB9_655 Depth=2
	s_add_u32 s42, s42, -1
	s_addc_u32 s43, s43, -1
	s_cmp_eq_u64 s[42:43], 0
	s_cselect_b64 s[46:47], -1, 0
	s_andn2_b64 s[40:41], s[40:41], exec
	s_and_b64 s[46:47], s[46:47], exec
	v_lshl_add_u64 v[4:5], v[4:5], 0, 1
	v_lshl_add_u64 v[6:7], v[6:7], 0, 1
	s_andn2_b64 s[44:45], s[44:45], exec
	s_or_b64 s[40:41], s[40:41], s[46:47]
                                        ; implicit-def: $sgpr46_sgpr47
	s_branch .LBB9_654
.LBB9_657:                              ;   in Loop: Header=BB9_593 Depth=1
	s_or_b64 exec, exec, s[28:29]
	s_xor_b64 s[28:29], s[34:35], -1
	s_branch .LBB9_659
.LBB9_658:                              ;   in Loop: Header=BB9_593 Depth=1
	s_mov_b64 s[28:29], -1
.LBB9_659:                              ;   in Loop: Header=BB9_593 Depth=1
	s_and_b64 s[28:29], s[28:29], exec
.LBB9_660:                              ;   in Loop: Header=BB9_593 Depth=1
	s_or_b64 exec, exec, s[24:25]
	s_orn2_b64 s[24:25], s[28:29], exec
.LBB9_661:                              ;   in Loop: Header=BB9_593 Depth=1
	s_or_b64 exec, exec, s[26:27]
	v_cndmask_b32_e64 v4, v8, v9, s[24:25]
	v_cndmask_b32_e64 v5, v35, v27, s[24:25]
	v_add_u32_e32 v6, 1, v4
	v_add_u32_e32 v4, -1, v5
	v_min_u32_e32 v4, v6, v4
	v_lshlrev_b32_e32 v4, 3, v4
	ds_read_b64 v[4:5], v4
	v_cndmask_b32_e64 v8, v6, v8, s[24:25]
	v_cndmask_b32_e64 v9, v9, v6, s[24:25]
	v_cmp_lt_u32_e32 vcc, v8, v35
	s_mov_b64 s[26:27], -1
	s_waitcnt lgkmcnt(0)
	v_cndmask_b32_e64 v44, v5, v40, s[24:25]
	v_cndmask_b32_e64 v45, v4, v41, s[24:25]
	;; [unrolled: 1-line block ×4, first 2 shown]
	s_mov_b64 s[28:29], -1
	s_and_saveexec_b64 s[34:35], vcc
	s_cbranch_execz .LBB9_672
; %bb.662:                              ;   in Loop: Header=BB9_593 Depth=1
	v_cmp_lt_u32_e32 vcc, v9, v27
	s_mov_b64 s[40:41], 0
	s_and_saveexec_b64 s[28:29], vcc
	s_cbranch_execz .LBB9_671
; %bb.663:                              ;   in Loop: Header=BB9_593 Depth=1
	s_and_b64 vcc, exec, s[0:1]
	s_cbranch_vccnz .LBB9_669
; %bb.664:                              ;   in Loop: Header=BB9_593 Depth=1
	v_mov_b64_e32 v[6:7], s[38:39]
	v_mad_u64_u32 v[4:5], s[40:41], v45, s36, v[6:7]
	v_mul_lo_u32 v10, v45, s37
	v_mul_lo_u32 v11, v44, s36
	v_add3_u32 v5, v11, v5, v10
	v_mad_u64_u32 v[6:7], s[40:41], v47, s36, v[6:7]
	v_mul_lo_u32 v10, v47, s37
	v_mul_lo_u32 v11, v46, s36
	v_add3_u32 v7, v11, v7, v10
	s_mov_b64 s[40:41], 0
	s_mov_b64 s[46:47], s[36:37]
                                        ; implicit-def: $sgpr42_sgpr43
                                        ; implicit-def: $sgpr44_sgpr45
                                        ; implicit-def: $sgpr48_sgpr49
                                        ; implicit-def: $sgpr50_sgpr51
	s_branch .LBB9_666
.LBB9_665:                              ;   in Loop: Header=BB9_666 Depth=2
	s_or_b64 exec, exec, s[54:55]
	s_and_b64 s[54:55], exec, s[44:45]
	s_or_b64 s[40:41], s[54:55], s[40:41]
	s_andn2_b64 s[50:51], s[50:51], exec
	s_and_b64 s[52:53], s[52:53], exec
	s_or_b64 s[50:51], s[50:51], s[52:53]
	s_andn2_b64 s[42:43], s[42:43], exec
	s_and_b64 s[52:53], s[48:49], exec
	s_or_b64 s[42:43], s[42:43], s[52:53]
	s_andn2_b64 exec, exec, s[40:41]
	s_cbranch_execz .LBB9_668
.LBB9_666:                              ;   Parent Loop BB9_593 Depth=1
                                        ; =>  This Inner Loop Header: Depth=2
	global_load_ubyte v10, v[4:5], off
	global_load_ubyte v11, v[6:7], off
	s_andn2_b64 s[48:49], s[48:49], exec
	s_or_b64 s[44:45], s[44:45], exec
	s_waitcnt vmcnt(0)
	v_cmp_le_u16_sdwa s[54:55], v10, v11 src0_sel:BYTE_0 src1_sel:BYTE_0
	v_cmp_lt_u16_sdwa s[52:53], v10, v11 src0_sel:BYTE_0 src1_sel:BYTE_0
	s_and_b64 s[54:55], s[54:55], s[50:51]
	s_or_b64 s[52:53], s[52:53], s[54:55]
	s_and_b64 s[54:55], s[52:53], exec
	v_cmp_eq_u16_sdwa s[56:57], v10, v11 src0_sel:BYTE_0 src1_sel:BYTE_0
	s_or_b64 s[48:49], s[48:49], s[54:55]
	s_and_saveexec_b64 s[54:55], s[56:57]
	s_cbranch_execz .LBB9_665
; %bb.667:                              ;   in Loop: Header=BB9_666 Depth=2
	s_add_u32 s46, s46, -1
	s_addc_u32 s47, s47, -1
	s_cmp_eq_u64 s[46:47], 0
	s_cselect_b64 s[50:51], -1, 0
	s_andn2_b64 s[44:45], s[44:45], exec
	s_and_b64 s[50:51], s[50:51], exec
	v_lshl_add_u64 v[4:5], v[4:5], 0, 1
	v_lshl_add_u64 v[6:7], v[6:7], 0, 1
	s_andn2_b64 s[48:49], s[48:49], exec
	s_or_b64 s[44:45], s[44:45], s[50:51]
                                        ; implicit-def: $sgpr50_sgpr51
	s_branch .LBB9_665
.LBB9_668:                              ;   in Loop: Header=BB9_593 Depth=1
	s_or_b64 exec, exec, s[40:41]
	s_xor_b64 s[40:41], s[42:43], -1
	s_branch .LBB9_670
.LBB9_669:                              ;   in Loop: Header=BB9_593 Depth=1
	s_mov_b64 s[40:41], -1
.LBB9_670:                              ;   in Loop: Header=BB9_593 Depth=1
	s_and_b64 s[40:41], s[40:41], exec
.LBB9_671:                              ;   in Loop: Header=BB9_593 Depth=1
	s_or_b64 exec, exec, s[28:29]
	s_orn2_b64 s[28:29], s[40:41], exec
.LBB9_672:                              ;   in Loop: Header=BB9_593 Depth=1
	s_or_b64 exec, exec, s[34:35]
	v_cndmask_b32_e64 v4, v8, v9, s[28:29]
	v_cndmask_b32_e64 v5, v35, v27, s[28:29]
	v_add_u32_e32 v6, 1, v4
	v_add_u32_e32 v4, -1, v5
	v_min_u32_e32 v4, v6, v4
	v_lshlrev_b32_e32 v4, 3, v4
	ds_read_b64 v[4:5], v4
	v_cndmask_b32_e64 v10, v6, v8, s[28:29]
	v_cndmask_b32_e64 v8, v9, v6, s[28:29]
	v_cmp_lt_u32_e32 vcc, v10, v35
	s_waitcnt lgkmcnt(0)
	v_cndmask_b32_e64 v48, v5, v44, s[28:29]
	v_cndmask_b32_e64 v49, v4, v45, s[28:29]
	;; [unrolled: 1-line block ×4, first 2 shown]
	s_and_saveexec_b64 s[34:35], vcc
	s_cbranch_execz .LBB9_683
; %bb.673:                              ;   in Loop: Header=BB9_593 Depth=1
	v_cmp_lt_u32_e32 vcc, v8, v27
	s_mov_b64 s[40:41], 0
	s_and_saveexec_b64 s[26:27], vcc
	s_cbranch_execz .LBB9_682
; %bb.674:                              ;   in Loop: Header=BB9_593 Depth=1
	s_and_b64 vcc, exec, s[0:1]
	s_cbranch_vccnz .LBB9_680
; %bb.675:                              ;   in Loop: Header=BB9_593 Depth=1
	v_mov_b64_e32 v[6:7], s[38:39]
	v_mad_u64_u32 v[4:5], s[40:41], v49, s36, v[6:7]
	v_mul_lo_u32 v9, v49, s37
	v_mul_lo_u32 v11, v48, s36
	v_add3_u32 v5, v11, v5, v9
	v_mad_u64_u32 v[6:7], s[40:41], v51, s36, v[6:7]
	v_mul_lo_u32 v9, v51, s37
	v_mul_lo_u32 v11, v50, s36
	v_add3_u32 v7, v11, v7, v9
	s_mov_b64 s[40:41], 0
	s_mov_b64 s[46:47], s[36:37]
                                        ; implicit-def: $sgpr42_sgpr43
                                        ; implicit-def: $sgpr44_sgpr45
                                        ; implicit-def: $sgpr48_sgpr49
                                        ; implicit-def: $sgpr50_sgpr51
	s_branch .LBB9_677
.LBB9_676:                              ;   in Loop: Header=BB9_677 Depth=2
	s_or_b64 exec, exec, s[54:55]
	s_and_b64 s[54:55], exec, s[44:45]
	s_or_b64 s[40:41], s[54:55], s[40:41]
	s_andn2_b64 s[50:51], s[50:51], exec
	s_and_b64 s[52:53], s[52:53], exec
	s_or_b64 s[50:51], s[50:51], s[52:53]
	s_andn2_b64 s[42:43], s[42:43], exec
	s_and_b64 s[52:53], s[48:49], exec
	s_or_b64 s[42:43], s[42:43], s[52:53]
	s_andn2_b64 exec, exec, s[40:41]
	s_cbranch_execz .LBB9_679
.LBB9_677:                              ;   Parent Loop BB9_593 Depth=1
                                        ; =>  This Inner Loop Header: Depth=2
	global_load_ubyte v9, v[4:5], off
	global_load_ubyte v11, v[6:7], off
	s_andn2_b64 s[48:49], s[48:49], exec
	s_or_b64 s[44:45], s[44:45], exec
	s_waitcnt vmcnt(0)
	v_cmp_le_u16_sdwa s[54:55], v9, v11 src0_sel:BYTE_0 src1_sel:BYTE_0
	v_cmp_lt_u16_sdwa s[52:53], v9, v11 src0_sel:BYTE_0 src1_sel:BYTE_0
	s_and_b64 s[54:55], s[54:55], s[50:51]
	s_or_b64 s[52:53], s[52:53], s[54:55]
	s_and_b64 s[54:55], s[52:53], exec
	v_cmp_eq_u16_sdwa s[56:57], v9, v11 src0_sel:BYTE_0 src1_sel:BYTE_0
	s_or_b64 s[48:49], s[48:49], s[54:55]
	s_and_saveexec_b64 s[54:55], s[56:57]
	s_cbranch_execz .LBB9_676
; %bb.678:                              ;   in Loop: Header=BB9_677 Depth=2
	s_add_u32 s46, s46, -1
	s_addc_u32 s47, s47, -1
	s_cmp_eq_u64 s[46:47], 0
	s_cselect_b64 s[50:51], -1, 0
	s_andn2_b64 s[44:45], s[44:45], exec
	s_and_b64 s[50:51], s[50:51], exec
	v_lshl_add_u64 v[4:5], v[4:5], 0, 1
	v_lshl_add_u64 v[6:7], v[6:7], 0, 1
	s_andn2_b64 s[48:49], s[48:49], exec
	s_or_b64 s[44:45], s[44:45], s[50:51]
                                        ; implicit-def: $sgpr50_sgpr51
	s_branch .LBB9_676
.LBB9_679:                              ;   in Loop: Header=BB9_593 Depth=1
	s_or_b64 exec, exec, s[40:41]
	s_xor_b64 s[40:41], s[42:43], -1
	s_branch .LBB9_681
.LBB9_680:                              ;   in Loop: Header=BB9_593 Depth=1
	s_mov_b64 s[40:41], -1
.LBB9_681:                              ;   in Loop: Header=BB9_593 Depth=1
	s_and_b64 s[40:41], s[40:41], exec
.LBB9_682:                              ;   in Loop: Header=BB9_593 Depth=1
	s_or_b64 exec, exec, s[26:27]
	s_orn2_b64 s[26:27], s[40:41], exec
.LBB9_683:                              ;   in Loop: Header=BB9_593 Depth=1
	s_or_b64 exec, exec, s[34:35]
	v_cndmask_b32_e64 v4, v10, v8, s[26:27]
	v_cndmask_b32_e64 v5, v35, v27, s[26:27]
	v_add_u32_e32 v9, 1, v4
	v_add_u32_e32 v4, -1, v5
	v_min_u32_e32 v4, v9, v4
	v_lshlrev_b32_e32 v4, 3, v4
	ds_read_b64 v[6:7], v4
	v_cndmask_b32_e64 v10, v9, v10, s[26:27]
	v_cmp_lt_u32_e32 vcc, v10, v35
	s_waitcnt lgkmcnt(0)
	v_cndmask_b32_e64 v5, v50, v7, s[26:27]
	v_cndmask_b32_e64 v4, v51, v6, s[26:27]
	s_and_saveexec_b64 s[34:35], vcc
	s_cbranch_execz .LBB9_693
; %bb.684:                              ;   in Loop: Header=BB9_593 Depth=1
	v_cndmask_b32_e64 v8, v8, v9, s[26:27]
	v_cndmask_b32_e64 v7, v7, v48, s[26:27]
	v_cndmask_b32_e64 v6, v6, v49, s[26:27]
	v_cmp_lt_u32_e32 vcc, v8, v27
	s_and_saveexec_b64 s[40:41], vcc
	s_cbranch_execz .LBB9_692
; %bb.685:                              ;   in Loop: Header=BB9_593 Depth=1
	s_and_b64 vcc, exec, s[0:1]
	s_cbranch_vccnz .LBB9_691
; %bb.686:                              ;   in Loop: Header=BB9_593 Depth=1
	v_mov_b64_e32 v[10:11], s[38:39]
	v_mad_u64_u32 v[8:9], s[42:43], v6, s36, v[10:11]
	v_mul_lo_u32 v27, v6, s37
	v_mul_lo_u32 v35, v7, s36
	v_add3_u32 v9, v35, v9, v27
	v_mad_u64_u32 v[10:11], s[42:43], v4, s36, v[10:11]
	v_mul_lo_u32 v27, v4, s37
	v_mul_lo_u32 v35, v5, s36
	v_add3_u32 v11, v35, v11, v27
	s_mov_b64 s[42:43], 0
	s_mov_b64 s[48:49], s[36:37]
                                        ; implicit-def: $sgpr44_sgpr45
                                        ; implicit-def: $sgpr46_sgpr47
                                        ; implicit-def: $sgpr50_sgpr51
                                        ; implicit-def: $sgpr52_sgpr53
	s_branch .LBB9_688
.LBB9_687:                              ;   in Loop: Header=BB9_688 Depth=2
	s_or_b64 exec, exec, s[56:57]
	s_and_b64 s[56:57], exec, s[46:47]
	s_or_b64 s[42:43], s[56:57], s[42:43]
	s_andn2_b64 s[52:53], s[52:53], exec
	s_and_b64 s[54:55], s[54:55], exec
	s_or_b64 s[52:53], s[52:53], s[54:55]
	s_andn2_b64 s[44:45], s[44:45], exec
	s_and_b64 s[54:55], s[50:51], exec
	s_or_b64 s[44:45], s[44:45], s[54:55]
	s_andn2_b64 exec, exec, s[42:43]
	s_cbranch_execz .LBB9_690
.LBB9_688:                              ;   Parent Loop BB9_593 Depth=1
                                        ; =>  This Inner Loop Header: Depth=2
	global_load_ubyte v27, v[8:9], off
	global_load_ubyte v35, v[10:11], off
	s_andn2_b64 s[50:51], s[50:51], exec
	s_or_b64 s[46:47], s[46:47], exec
	s_waitcnt vmcnt(0)
	v_cmp_le_u16_sdwa s[56:57], v27, v35 src0_sel:BYTE_0 src1_sel:BYTE_0
	v_cmp_lt_u16_sdwa s[54:55], v27, v35 src0_sel:BYTE_0 src1_sel:BYTE_0
	s_and_b64 s[56:57], s[56:57], s[52:53]
	s_or_b64 s[54:55], s[54:55], s[56:57]
	s_and_b64 s[56:57], s[54:55], exec
	v_cmp_eq_u16_sdwa s[58:59], v27, v35 src0_sel:BYTE_0 src1_sel:BYTE_0
	s_or_b64 s[50:51], s[50:51], s[56:57]
	s_and_saveexec_b64 s[56:57], s[58:59]
	s_cbranch_execz .LBB9_687
; %bb.689:                              ;   in Loop: Header=BB9_688 Depth=2
	s_add_u32 s48, s48, -1
	s_addc_u32 s49, s49, -1
	s_cmp_eq_u64 s[48:49], 0
	s_cselect_b64 s[52:53], -1, 0
	s_andn2_b64 s[46:47], s[46:47], exec
	s_and_b64 s[52:53], s[52:53], exec
	v_lshl_add_u64 v[8:9], v[8:9], 0, 1
	v_lshl_add_u64 v[10:11], v[10:11], 0, 1
	s_andn2_b64 s[50:51], s[50:51], exec
	s_or_b64 s[46:47], s[46:47], s[52:53]
                                        ; implicit-def: $sgpr52_sgpr53
	s_branch .LBB9_687
.LBB9_690:                              ;   in Loop: Header=BB9_593 Depth=1
	s_or_b64 exec, exec, s[42:43]
	v_cndmask_b32_e64 v5, v5, v7, s[44:45]
	v_cndmask_b32_e64 v4, v4, v6, s[44:45]
.LBB9_691:                              ;   in Loop: Header=BB9_593 Depth=1
	v_mov_b64_e32 v[6:7], v[4:5]
.LBB9_692:                              ;   in Loop: Header=BB9_593 Depth=1
	s_or_b64 exec, exec, s[40:41]
	v_mov_b64_e32 v[4:5], v[6:7]
.LBB9_693:                              ;   in Loop: Header=BB9_593 Depth=1
	s_or_b64 exec, exec, s[34:35]
	v_cndmask_b32_e64 v9, v44, v46, s[28:29]
	v_cndmask_b32_e64 v8, v45, v47, s[28:29]
	;; [unrolled: 1-line block ×14, first 2 shown]
.LBB9_694:                              ;   in Loop: Header=BB9_593 Depth=1
	s_or_b64 exec, exec, s[10:11]
	s_cmpk_lt_u32 s3, 0x400
	s_barrier
	s_cbranch_scc0 .LBB9_696
; %bb.695:                              ;   in Loop: Header=BB9_593 Depth=1
	s_mov_b32 s3, s9
	s_branch .LBB9_593
.LBB9_696:
	s_barrier
	ds_write2_b64 v34, v[14:15], v[16:17] offset1:1
	ds_write2_b64 v34, v[10:11], v[12:13] offset0:2 offset1:3
	ds_write2_b64 v34, v[6:7], v[8:9] offset0:4 offset1:5
	;; [unrolled: 1-line block ×3, first 2 shown]
	s_waitcnt lgkmcnt(0)
	s_barrier
	ds_read_b64 v[2:3], v1
	ds_read_b64 v[4:5], v21 offset:2048
	ds_read_b64 v[6:7], v28 offset:4096
	;; [unrolled: 1-line block ×7, first 2 shown]
	v_mov_b32_e32 v21, 0
	v_lshl_add_u64 v[22:23], s[30:31], 0, v[20:21]
	s_movk_i32 s0, 0x1000
	s_waitcnt lgkmcnt(7)
	global_store_dwordx2 v20, v[2:3], s[30:31]
	s_waitcnt lgkmcnt(6)
	global_store_dwordx2 v20, v[4:5], s[30:31] offset:2048
	v_add_co_u32_e32 v2, vcc, s0, v22
	s_nop 1
	v_addc_co_u32_e32 v3, vcc, 0, v23, vcc
	s_waitcnt lgkmcnt(5)
	global_store_dwordx2 v[2:3], v[6:7], off
	s_waitcnt lgkmcnt(4)
	global_store_dwordx2 v[2:3], v[8:9], off offset:2048
	v_add_co_u32_e32 v2, vcc, 0x2000, v22
	s_mov_b64 s[34:35], -1
	s_nop 0
	v_addc_co_u32_e32 v3, vcc, 0, v23, vcc
	s_waitcnt lgkmcnt(3)
	global_store_dwordx2 v[2:3], v[10:11], off
	s_waitcnt lgkmcnt(2)
	global_store_dwordx2 v[2:3], v[12:13], off offset:2048
	v_add_co_u32_e32 v2, vcc, 0x3000, v22
	s_nop 1
	v_addc_co_u32_e32 v3, vcc, 0, v23, vcc
	s_waitcnt lgkmcnt(1)
	global_store_dwordx2 v[2:3], v[16:17], off
	s_branch .LBB9_1482
.LBB9_697:
	s_lshl_b64 s[0:1], s[6:7], 11
	s_sub_i32 s33, s8, s0
	v_cmp_gt_u32_e64 s[0:1], s33, v18
	v_lshlrev_b32_e32 v20, 3, v18
                                        ; implicit-def: $vgpr8_vgpr9
	s_and_saveexec_b64 s[4:5], s[0:1]
	s_cbranch_execz .LBB9_699
; %bb.698:
	global_load_dwordx2 v[8:9], v20, s[18:19]
.LBB9_699:
	s_or_b64 exec, exec, s[4:5]
	v_add_u32_e32 v1, 0x100, v18
	v_cmp_gt_u32_e64 s[28:29], s33, v1
                                        ; implicit-def: $vgpr10_vgpr11
	s_and_saveexec_b64 s[4:5], s[28:29]
	s_cbranch_execz .LBB9_701
; %bb.700:
	global_load_dwordx2 v[10:11], v20, s[18:19] offset:2048
.LBB9_701:
	s_or_b64 exec, exec, s[4:5]
	v_add_u32_e32 v2, 0x200, v18
	v_cmp_gt_u32_e64 s[4:5], s33, v2
                                        ; implicit-def: $vgpr12_vgpr13
	s_and_saveexec_b64 s[6:7], s[4:5]
	s_cbranch_execz .LBB9_703
; %bb.702:
	v_lshlrev_b32_e32 v3, 3, v2
	global_load_dwordx2 v[12:13], v3, s[18:19]
.LBB9_703:
	s_or_b64 exec, exec, s[6:7]
	v_add_u32_e32 v3, 0x300, v18
	v_cmp_gt_u32_e64 s[6:7], s33, v3
                                        ; implicit-def: $vgpr14_vgpr15
	s_and_saveexec_b64 s[8:9], s[6:7]
	s_cbranch_execz .LBB9_705
; %bb.704:
	v_lshlrev_b32_e32 v4, 3, v3
	s_waitcnt lgkmcnt(0)
	global_load_dwordx2 v[14:15], v4, s[18:19]
.LBB9_705:
	s_or_b64 exec, exec, s[8:9]
	v_or_b32_e32 v4, 0x400, v18
	v_cmp_gt_u32_e64 s[8:9], s33, v4
                                        ; implicit-def: $vgpr16_vgpr17
	s_and_saveexec_b64 s[10:11], s[8:9]
	s_cbranch_execz .LBB9_707
; %bb.706:
	v_lshlrev_b32_e32 v5, 3, v4
	global_load_dwordx2 v[16:17], v5, s[18:19]
.LBB9_707:
	s_or_b64 exec, exec, s[10:11]
	v_add_u32_e32 v5, 0x500, v18
	v_cmp_gt_u32_e64 s[10:11], s33, v5
                                        ; implicit-def: $vgpr22_vgpr23
	s_and_saveexec_b64 s[12:13], s[10:11]
	s_cbranch_execz .LBB9_709
; %bb.708:
	v_lshlrev_b32_e32 v6, 3, v5
	global_load_dwordx2 v[22:23], v6, s[18:19]
.LBB9_709:
	s_or_b64 exec, exec, s[12:13]
	v_add_u32_e32 v6, 0x600, v18
	v_cmp_gt_u32_e64 s[12:13], s33, v6
                                        ; implicit-def: $vgpr24_vgpr25
	s_and_saveexec_b64 s[20:21], s[12:13]
	s_cbranch_execz .LBB9_711
; %bb.710:
	v_lshlrev_b32_e32 v7, 3, v6
	global_load_dwordx2 v[24:25], v7, s[18:19]
.LBB9_711:
	s_or_b64 exec, exec, s[20:21]
	v_add_u32_e32 v7, 0x700, v18
	v_cmp_gt_u32_e64 s[34:35], s33, v7
                                        ; implicit-def: $vgpr32_vgpr33
	s_and_saveexec_b64 s[20:21], s[34:35]
	s_cbranch_execz .LBB9_713
; %bb.712:
	v_lshlrev_b32_e32 v19, 3, v7
	global_load_dwordx2 v[32:33], v19, s[18:19]
.LBB9_713:
	s_or_b64 exec, exec, s[20:21]
	v_lshrrev_b32_e32 v1, 2, v1
	v_and_b32_e32 v1, 0x1f8, v1
	v_add_u32_e32 v21, v1, v20
	v_lshrrev_b32_e32 v1, 2, v2
	v_and_b32_e32 v1, 0x1f8, v1
	v_add_u32_e32 v26, v1, v20
	;; [unrolled: 3-line block ×6, first 2 shown]
	v_lshrrev_b32_e32 v1, 2, v7
	v_and_b32_e32 v1, 0x3f8, v1
	v_lshrrev_b32_e32 v19, 2, v18
	v_add_u32_e32 v31, v1, v20
	v_lshlrev_b32_e32 v1, 1, v18
	v_and_b32_e32 v19, 0xf8, v19
	v_and_b32_e32 v1, 0x7f8, v1
	v_add_u32_e32 v19, v19, v20
	s_waitcnt vmcnt(0)
	ds_write_b64 v31, v[32:33] offset:14336
	v_lshl_add_u32 v32, v18, 6, v1
	ds_write_b64 v19, v[8:9]
	ds_write_b64 v21, v[10:11] offset:2048
	ds_write_b64 v26, v[12:13] offset:4096
	s_waitcnt lgkmcnt(4)
	ds_write_b64 v27, v[14:15] offset:6144
	ds_write_b64 v28, v[16:17] offset:8192
	;; [unrolled: 1-line block ×4, first 2 shown]
	s_waitcnt lgkmcnt(0)
	s_barrier
	ds_read2_b64 v[14:17], v32 offset1:1
	ds_read2_b64 v[10:13], v32 offset0:2 offset1:3
	ds_read2_b64 v[6:9], v32 offset0:4 offset1:5
	;; [unrolled: 1-line block ×3, first 2 shown]
	s_waitcnt lgkmcnt(0)
	s_barrier
	s_load_dword s3, s[14:15], 0xc
	v_mov_b32_e32 v1, 0
	v_bfe_u32 v22, v0, 10, 10
	v_bfe_u32 v0, v0, 20, 10
	v_cmp_gt_i64_e64 s[40:41], s[36:37], 0
	s_waitcnt lgkmcnt(0)
	s_lshr_b32 s17, s3, 16
	s_cmp_lt_u32 s2, s16
	s_cselect_b32 s2, 12, 18
	s_add_u32 s2, s14, s2
	s_addc_u32 s3, s15, 0
	global_load_ushort v1, v1, s[2:3]
	v_mad_u32_u24 v0, v0, s17, v22
	s_waitcnt vmcnt(0)
	v_mul_lo_u32 v0, v0, v1
	v_add_lshl_u32 v24, v0, v18, 3
	v_sub_u32_e64 v25, s33, v24 clamp
	v_cmp_lt_u32_e64 s[14:15], 1, v25
	s_and_saveexec_b64 s[2:3], s[14:15]
	s_cbranch_execz .LBB9_722
; %bb.714:
	s_andn2_b64 vcc, exec, s[40:41]
	s_cbranch_vccnz .LBB9_722
; %bb.715:
	v_mov_b64_e32 v[22:23], s[38:39]
	v_mad_u64_u32 v[0:1], s[16:17], v16, s36, v[22:23]
	v_mul_lo_u32 v33, v16, s37
	v_mul_lo_u32 v34, v17, s36
	v_add3_u32 v1, v34, v1, v33
	v_mad_u64_u32 v[22:23], s[16:17], v14, s36, v[22:23]
	v_mul_lo_u32 v33, v14, s37
	v_mul_lo_u32 v34, v15, s36
	v_add3_u32 v23, v34, v23, v33
	s_mov_b64 s[18:19], 0
	s_mov_b64 s[42:43], s[36:37]
                                        ; implicit-def: $sgpr16_sgpr17
                                        ; implicit-def: $sgpr20_sgpr21
                                        ; implicit-def: $sgpr24_sgpr25
                                        ; implicit-def: $sgpr22_sgpr23
                                        ; implicit-def: $sgpr26_sgpr27
	s_branch .LBB9_717
.LBB9_716:                              ;   in Loop: Header=BB9_717 Depth=1
	s_or_b64 exec, exec, s[48:49]
	s_and_b64 s[46:47], s[46:47], s[26:27]
	s_or_b64 s[44:45], s[44:45], s[46:47]
	s_and_b64 s[46:47], exec, s[24:25]
	s_or_b64 s[18:19], s[46:47], s[18:19]
	s_andn2_b64 s[26:27], s[26:27], exec
	s_and_b64 s[44:45], s[44:45], exec
	s_andn2_b64 s[20:21], s[20:21], exec
	s_and_b64 s[46:47], s[22:23], exec
	s_andn2_b64 s[16:17], s[16:17], exec
	s_or_b64 s[26:27], s[26:27], s[44:45]
	s_or_b64 s[20:21], s[20:21], s[46:47]
	;; [unrolled: 1-line block ×3, first 2 shown]
	s_andn2_b64 exec, exec, s[18:19]
	s_cbranch_execz .LBB9_719
.LBB9_717:                              ; =>This Inner Loop Header: Depth=1
	global_load_ubyte v33, v[0:1], off
	global_load_ubyte v34, v[22:23], off
	s_or_b64 s[22:23], s[22:23], exec
	s_or_b64 s[24:25], s[24:25], exec
	s_waitcnt vmcnt(0)
	v_cmp_lt_u16_sdwa s[44:45], v33, v34 src0_sel:BYTE_0 src1_sel:BYTE_0
	v_cmp_le_u16_sdwa s[46:47], v33, v34 src0_sel:BYTE_0 src1_sel:BYTE_0
	v_cmp_eq_u16_sdwa s[50:51], v33, v34 src0_sel:BYTE_0 src1_sel:BYTE_0
	s_and_saveexec_b64 s[48:49], s[50:51]
	s_cbranch_execz .LBB9_716
; %bb.718:                              ;   in Loop: Header=BB9_717 Depth=1
	s_add_u32 s42, s42, -1
	s_addc_u32 s43, s43, -1
	s_cmp_eq_u64 s[42:43], 0
	s_cselect_b64 s[50:51], -1, 0
	s_andn2_b64 s[24:25], s[24:25], exec
	s_and_b64 s[50:51], s[50:51], exec
	v_lshl_add_u64 v[0:1], v[0:1], 0, 1
	v_lshl_add_u64 v[22:23], v[22:23], 0, 1
	s_andn2_b64 s[22:23], s[22:23], exec
	s_or_b64 s[24:25], s[24:25], s[50:51]
	s_branch .LBB9_716
.LBB9_719:
	s_or_b64 exec, exec, s[18:19]
	s_and_saveexec_b64 s[18:19], s[20:21]
	s_xor_b64 s[18:19], exec, s[18:19]
; %bb.720:
	v_cndmask_b32_e64 v1, v17, v15, s[16:17]
	v_cndmask_b32_e64 v0, v16, v14, s[16:17]
	;; [unrolled: 1-line block ×4, first 2 shown]
	v_mov_b64_e32 v[16:17], v[0:1]
; %bb.721:
	s_or_b64 exec, exec, s[18:19]
.LBB9_722:
	s_or_b64 exec, exec, s[2:3]
	v_cmp_lt_u32_e64 s[16:17], 3, v25
	s_and_saveexec_b64 s[2:3], s[16:17]
	s_cbranch_execz .LBB9_731
; %bb.723:
	s_andn2_b64 vcc, exec, s[40:41]
	s_cbranch_vccnz .LBB9_731
; %bb.724:
	v_mov_b64_e32 v[22:23], s[38:39]
	v_mad_u64_u32 v[0:1], s[18:19], v12, s36, v[22:23]
	v_mul_lo_u32 v33, v12, s37
	v_mul_lo_u32 v34, v13, s36
	v_add3_u32 v1, v34, v1, v33
	v_mad_u64_u32 v[22:23], s[18:19], v10, s36, v[22:23]
	v_mul_lo_u32 v33, v10, s37
	v_mul_lo_u32 v34, v11, s36
	v_add3_u32 v23, v34, v23, v33
	s_mov_b64 s[20:21], 0
	s_mov_b64 s[44:45], s[36:37]
                                        ; implicit-def: $sgpr18_sgpr19
                                        ; implicit-def: $sgpr22_sgpr23
                                        ; implicit-def: $sgpr26_sgpr27
                                        ; implicit-def: $sgpr24_sgpr25
                                        ; implicit-def: $sgpr42_sgpr43
	s_branch .LBB9_726
.LBB9_725:                              ;   in Loop: Header=BB9_726 Depth=1
	s_or_b64 exec, exec, s[50:51]
	s_and_b64 s[48:49], s[48:49], s[42:43]
	s_or_b64 s[46:47], s[46:47], s[48:49]
	s_and_b64 s[48:49], exec, s[26:27]
	s_or_b64 s[20:21], s[48:49], s[20:21]
	s_andn2_b64 s[42:43], s[42:43], exec
	s_and_b64 s[46:47], s[46:47], exec
	s_andn2_b64 s[22:23], s[22:23], exec
	s_and_b64 s[48:49], s[24:25], exec
	s_andn2_b64 s[18:19], s[18:19], exec
	s_or_b64 s[42:43], s[42:43], s[46:47]
	s_or_b64 s[22:23], s[22:23], s[48:49]
	;; [unrolled: 1-line block ×3, first 2 shown]
	s_andn2_b64 exec, exec, s[20:21]
	s_cbranch_execz .LBB9_728
.LBB9_726:                              ; =>This Inner Loop Header: Depth=1
	global_load_ubyte v33, v[0:1], off
	global_load_ubyte v34, v[22:23], off
	s_or_b64 s[24:25], s[24:25], exec
	s_or_b64 s[26:27], s[26:27], exec
	s_waitcnt vmcnt(0)
	v_cmp_lt_u16_sdwa s[46:47], v33, v34 src0_sel:BYTE_0 src1_sel:BYTE_0
	v_cmp_le_u16_sdwa s[48:49], v33, v34 src0_sel:BYTE_0 src1_sel:BYTE_0
	v_cmp_eq_u16_sdwa s[52:53], v33, v34 src0_sel:BYTE_0 src1_sel:BYTE_0
	s_and_saveexec_b64 s[50:51], s[52:53]
	s_cbranch_execz .LBB9_725
; %bb.727:                              ;   in Loop: Header=BB9_726 Depth=1
	s_add_u32 s44, s44, -1
	s_addc_u32 s45, s45, -1
	s_cmp_eq_u64 s[44:45], 0
	s_cselect_b64 s[52:53], -1, 0
	s_andn2_b64 s[26:27], s[26:27], exec
	s_and_b64 s[52:53], s[52:53], exec
	v_lshl_add_u64 v[0:1], v[0:1], 0, 1
	v_lshl_add_u64 v[22:23], v[22:23], 0, 1
	s_andn2_b64 s[24:25], s[24:25], exec
	s_or_b64 s[26:27], s[26:27], s[52:53]
	s_branch .LBB9_725
.LBB9_728:
	s_or_b64 exec, exec, s[20:21]
	s_and_saveexec_b64 s[20:21], s[22:23]
	s_xor_b64 s[20:21], exec, s[20:21]
; %bb.729:
	v_cndmask_b32_e64 v1, v11, v13, s[18:19]
	v_cndmask_b32_e64 v0, v10, v12, s[18:19]
	;; [unrolled: 1-line block ×4, first 2 shown]
	v_mov_b64_e32 v[10:11], v[0:1]
; %bb.730:
	s_or_b64 exec, exec, s[20:21]
.LBB9_731:
	s_or_b64 exec, exec, s[2:3]
	v_cmp_lt_u32_e64 s[18:19], 5, v25
	s_and_saveexec_b64 s[2:3], s[18:19]
	s_cbranch_execz .LBB9_740
; %bb.732:
	s_andn2_b64 vcc, exec, s[40:41]
	s_cbranch_vccnz .LBB9_740
; %bb.733:
	v_mov_b64_e32 v[22:23], s[38:39]
	v_mad_u64_u32 v[0:1], s[20:21], v8, s36, v[22:23]
	v_mul_lo_u32 v33, v8, s37
	v_mul_lo_u32 v34, v9, s36
	v_add3_u32 v1, v34, v1, v33
	v_mad_u64_u32 v[22:23], s[20:21], v6, s36, v[22:23]
	v_mul_lo_u32 v33, v6, s37
	v_mul_lo_u32 v34, v7, s36
	v_add3_u32 v23, v34, v23, v33
	s_mov_b64 s[22:23], 0
	s_mov_b64 s[46:47], s[36:37]
                                        ; implicit-def: $sgpr20_sgpr21
                                        ; implicit-def: $sgpr24_sgpr25
                                        ; implicit-def: $sgpr42_sgpr43
                                        ; implicit-def: $sgpr26_sgpr27
                                        ; implicit-def: $sgpr44_sgpr45
	s_branch .LBB9_735
.LBB9_734:                              ;   in Loop: Header=BB9_735 Depth=1
	s_or_b64 exec, exec, s[52:53]
	s_and_b64 s[50:51], s[50:51], s[44:45]
	s_or_b64 s[48:49], s[48:49], s[50:51]
	s_and_b64 s[50:51], exec, s[42:43]
	s_or_b64 s[22:23], s[50:51], s[22:23]
	s_andn2_b64 s[44:45], s[44:45], exec
	s_and_b64 s[48:49], s[48:49], exec
	s_andn2_b64 s[24:25], s[24:25], exec
	s_and_b64 s[50:51], s[26:27], exec
	s_andn2_b64 s[20:21], s[20:21], exec
	s_or_b64 s[44:45], s[44:45], s[48:49]
	s_or_b64 s[24:25], s[24:25], s[50:51]
	;; [unrolled: 1-line block ×3, first 2 shown]
	s_andn2_b64 exec, exec, s[22:23]
	s_cbranch_execz .LBB9_737
.LBB9_735:                              ; =>This Inner Loop Header: Depth=1
	global_load_ubyte v33, v[0:1], off
	global_load_ubyte v34, v[22:23], off
	s_or_b64 s[26:27], s[26:27], exec
	s_or_b64 s[42:43], s[42:43], exec
	s_waitcnt vmcnt(0)
	v_cmp_lt_u16_sdwa s[48:49], v33, v34 src0_sel:BYTE_0 src1_sel:BYTE_0
	v_cmp_le_u16_sdwa s[50:51], v33, v34 src0_sel:BYTE_0 src1_sel:BYTE_0
	v_cmp_eq_u16_sdwa s[54:55], v33, v34 src0_sel:BYTE_0 src1_sel:BYTE_0
	s_and_saveexec_b64 s[52:53], s[54:55]
	s_cbranch_execz .LBB9_734
; %bb.736:                              ;   in Loop: Header=BB9_735 Depth=1
	s_add_u32 s46, s46, -1
	s_addc_u32 s47, s47, -1
	s_cmp_eq_u64 s[46:47], 0
	s_cselect_b64 s[54:55], -1, 0
	s_andn2_b64 s[42:43], s[42:43], exec
	s_and_b64 s[54:55], s[54:55], exec
	v_lshl_add_u64 v[0:1], v[0:1], 0, 1
	v_lshl_add_u64 v[22:23], v[22:23], 0, 1
	s_andn2_b64 s[26:27], s[26:27], exec
	s_or_b64 s[42:43], s[42:43], s[54:55]
	s_branch .LBB9_734
.LBB9_737:
	s_or_b64 exec, exec, s[22:23]
	s_and_saveexec_b64 s[22:23], s[24:25]
	s_xor_b64 s[22:23], exec, s[22:23]
; %bb.738:
	v_cndmask_b32_e64 v1, v7, v9, s[20:21]
	v_cndmask_b32_e64 v0, v6, v8, s[20:21]
	v_cndmask_b32_e64 v9, v9, v7, s[20:21]
	v_cndmask_b32_e64 v8, v8, v6, s[20:21]
	v_mov_b64_e32 v[6:7], v[0:1]
; %bb.739:
	s_or_b64 exec, exec, s[22:23]
.LBB9_740:
	s_or_b64 exec, exec, s[2:3]
	v_cmp_lt_u32_e64 s[20:21], 7, v25
	s_and_saveexec_b64 s[2:3], s[20:21]
	s_cbranch_execz .LBB9_749
; %bb.741:
	s_andn2_b64 vcc, exec, s[40:41]
	s_cbranch_vccnz .LBB9_749
; %bb.742:
	v_mov_b64_e32 v[22:23], s[38:39]
	v_mad_u64_u32 v[0:1], s[22:23], v4, s36, v[22:23]
	v_mul_lo_u32 v33, v4, s37
	v_mul_lo_u32 v34, v5, s36
	v_add3_u32 v1, v34, v1, v33
	v_mad_u64_u32 v[22:23], s[22:23], v2, s36, v[22:23]
	v_mul_lo_u32 v33, v2, s37
	v_mul_lo_u32 v34, v3, s36
	v_add3_u32 v23, v34, v23, v33
	s_mov_b64 s[24:25], 0
	s_mov_b64 s[48:49], s[36:37]
                                        ; implicit-def: $sgpr22_sgpr23
                                        ; implicit-def: $sgpr26_sgpr27
                                        ; implicit-def: $sgpr44_sgpr45
                                        ; implicit-def: $sgpr42_sgpr43
                                        ; implicit-def: $sgpr46_sgpr47
	s_branch .LBB9_744
.LBB9_743:                              ;   in Loop: Header=BB9_744 Depth=1
	s_or_b64 exec, exec, s[54:55]
	s_and_b64 s[52:53], s[52:53], s[46:47]
	s_or_b64 s[50:51], s[50:51], s[52:53]
	s_and_b64 s[52:53], exec, s[44:45]
	s_or_b64 s[24:25], s[52:53], s[24:25]
	s_andn2_b64 s[46:47], s[46:47], exec
	s_and_b64 s[50:51], s[50:51], exec
	s_andn2_b64 s[26:27], s[26:27], exec
	s_and_b64 s[52:53], s[42:43], exec
	s_andn2_b64 s[22:23], s[22:23], exec
	s_or_b64 s[46:47], s[46:47], s[50:51]
	s_or_b64 s[26:27], s[26:27], s[52:53]
	;; [unrolled: 1-line block ×3, first 2 shown]
	s_andn2_b64 exec, exec, s[24:25]
	s_cbranch_execz .LBB9_746
.LBB9_744:                              ; =>This Inner Loop Header: Depth=1
	global_load_ubyte v33, v[0:1], off
	global_load_ubyte v34, v[22:23], off
	s_or_b64 s[42:43], s[42:43], exec
	s_or_b64 s[44:45], s[44:45], exec
	s_waitcnt vmcnt(0)
	v_cmp_lt_u16_sdwa s[50:51], v33, v34 src0_sel:BYTE_0 src1_sel:BYTE_0
	v_cmp_le_u16_sdwa s[52:53], v33, v34 src0_sel:BYTE_0 src1_sel:BYTE_0
	v_cmp_eq_u16_sdwa s[56:57], v33, v34 src0_sel:BYTE_0 src1_sel:BYTE_0
	s_and_saveexec_b64 s[54:55], s[56:57]
	s_cbranch_execz .LBB9_743
; %bb.745:                              ;   in Loop: Header=BB9_744 Depth=1
	s_add_u32 s48, s48, -1
	s_addc_u32 s49, s49, -1
	s_cmp_eq_u64 s[48:49], 0
	s_cselect_b64 s[56:57], -1, 0
	s_andn2_b64 s[44:45], s[44:45], exec
	s_and_b64 s[56:57], s[56:57], exec
	v_lshl_add_u64 v[0:1], v[0:1], 0, 1
	v_lshl_add_u64 v[22:23], v[22:23], 0, 1
	s_andn2_b64 s[42:43], s[42:43], exec
	s_or_b64 s[44:45], s[44:45], s[56:57]
	s_branch .LBB9_743
.LBB9_746:
	s_or_b64 exec, exec, s[24:25]
	s_and_saveexec_b64 s[24:25], s[26:27]
	s_xor_b64 s[24:25], exec, s[24:25]
; %bb.747:
	v_cndmask_b32_e64 v1, v3, v5, s[22:23]
	v_cndmask_b32_e64 v0, v2, v4, s[22:23]
	;; [unrolled: 1-line block ×4, first 2 shown]
	v_mov_b64_e32 v[2:3], v[0:1]
; %bb.748:
	s_or_b64 exec, exec, s[24:25]
.LBB9_749:
	s_or_b64 exec, exec, s[2:3]
	v_cmp_lt_u32_e64 s[22:23], 2, v25
	s_and_saveexec_b64 s[2:3], s[22:23]
	s_xor_b64 s[2:3], exec, s[2:3]
	s_cbranch_execz .LBB9_758
; %bb.750:
	s_andn2_b64 vcc, exec, s[40:41]
	s_cbranch_vccnz .LBB9_758
; %bb.751:
	v_mov_b64_e32 v[22:23], s[38:39]
	v_mad_u64_u32 v[0:1], s[24:25], v10, s36, v[22:23]
	v_mul_lo_u32 v33, v10, s37
	v_mul_lo_u32 v34, v11, s36
	v_add3_u32 v1, v34, v1, v33
	v_mad_u64_u32 v[22:23], s[24:25], v16, s36, v[22:23]
	v_mul_lo_u32 v33, v16, s37
	v_mul_lo_u32 v34, v17, s36
	v_add3_u32 v23, v34, v23, v33
	s_mov_b64 s[26:27], 0
	s_mov_b64 s[50:51], s[36:37]
                                        ; implicit-def: $sgpr24_sgpr25
                                        ; implicit-def: $sgpr42_sgpr43
                                        ; implicit-def: $sgpr46_sgpr47
                                        ; implicit-def: $sgpr44_sgpr45
                                        ; implicit-def: $sgpr48_sgpr49
	s_branch .LBB9_753
.LBB9_752:                              ;   in Loop: Header=BB9_753 Depth=1
	s_or_b64 exec, exec, s[56:57]
	s_and_b64 s[54:55], s[54:55], s[48:49]
	s_or_b64 s[52:53], s[52:53], s[54:55]
	s_and_b64 s[54:55], exec, s[46:47]
	s_or_b64 s[26:27], s[54:55], s[26:27]
	s_andn2_b64 s[48:49], s[48:49], exec
	s_and_b64 s[52:53], s[52:53], exec
	s_andn2_b64 s[42:43], s[42:43], exec
	s_and_b64 s[54:55], s[44:45], exec
	s_andn2_b64 s[24:25], s[24:25], exec
	s_or_b64 s[48:49], s[48:49], s[52:53]
	s_or_b64 s[42:43], s[42:43], s[54:55]
	s_or_b64 s[24:25], s[24:25], s[52:53]
	s_andn2_b64 exec, exec, s[26:27]
	s_cbranch_execz .LBB9_755
.LBB9_753:                              ; =>This Inner Loop Header: Depth=1
	global_load_ubyte v33, v[0:1], off
	global_load_ubyte v34, v[22:23], off
	s_or_b64 s[44:45], s[44:45], exec
	s_or_b64 s[46:47], s[46:47], exec
	s_waitcnt vmcnt(0)
	v_cmp_lt_u16_sdwa s[52:53], v33, v34 src0_sel:BYTE_0 src1_sel:BYTE_0
	v_cmp_le_u16_sdwa s[54:55], v33, v34 src0_sel:BYTE_0 src1_sel:BYTE_0
	v_cmp_eq_u16_sdwa s[58:59], v33, v34 src0_sel:BYTE_0 src1_sel:BYTE_0
	s_and_saveexec_b64 s[56:57], s[58:59]
	s_cbranch_execz .LBB9_752
; %bb.754:                              ;   in Loop: Header=BB9_753 Depth=1
	s_add_u32 s50, s50, -1
	s_addc_u32 s51, s51, -1
	s_cmp_eq_u64 s[50:51], 0
	s_cselect_b64 s[58:59], -1, 0
	s_andn2_b64 s[46:47], s[46:47], exec
	s_and_b64 s[58:59], s[58:59], exec
	v_lshl_add_u64 v[0:1], v[0:1], 0, 1
	v_lshl_add_u64 v[22:23], v[22:23], 0, 1
	s_andn2_b64 s[44:45], s[44:45], exec
	s_or_b64 s[46:47], s[46:47], s[58:59]
	s_branch .LBB9_752
.LBB9_755:
	s_or_b64 exec, exec, s[26:27]
	s_and_saveexec_b64 s[26:27], s[42:43]
	s_xor_b64 s[26:27], exec, s[26:27]
; %bb.756:
	v_cndmask_b32_e64 v1, v17, v11, s[24:25]
	v_cndmask_b32_e64 v0, v16, v10, s[24:25]
	;; [unrolled: 1-line block ×4, first 2 shown]
	v_mov_b64_e32 v[16:17], v[0:1]
; %bb.757:
	s_or_b64 exec, exec, s[26:27]
.LBB9_758:
	s_or_b64 exec, exec, s[2:3]
	v_cmp_lt_u32_e64 s[24:25], 4, v25
	s_and_saveexec_b64 s[2:3], s[24:25]
	s_cbranch_execz .LBB9_767
; %bb.759:
	s_andn2_b64 vcc, exec, s[40:41]
	s_cbranch_vccnz .LBB9_767
; %bb.760:
	v_mov_b64_e32 v[22:23], s[38:39]
	v_mad_u64_u32 v[0:1], s[26:27], v6, s36, v[22:23]
	v_mul_lo_u32 v33, v6, s37
	v_mul_lo_u32 v34, v7, s36
	v_add3_u32 v1, v34, v1, v33
	v_mad_u64_u32 v[22:23], s[26:27], v12, s36, v[22:23]
	v_mul_lo_u32 v33, v12, s37
	v_mul_lo_u32 v34, v13, s36
	v_add3_u32 v23, v34, v23, v33
	s_mov_b64 s[42:43], 0
	s_mov_b64 s[52:53], s[36:37]
                                        ; implicit-def: $sgpr26_sgpr27
                                        ; implicit-def: $sgpr44_sgpr45
                                        ; implicit-def: $sgpr48_sgpr49
                                        ; implicit-def: $sgpr46_sgpr47
                                        ; implicit-def: $sgpr50_sgpr51
	s_branch .LBB9_762
.LBB9_761:                              ;   in Loop: Header=BB9_762 Depth=1
	s_or_b64 exec, exec, s[58:59]
	s_and_b64 s[56:57], s[56:57], s[50:51]
	s_or_b64 s[54:55], s[54:55], s[56:57]
	s_and_b64 s[56:57], exec, s[48:49]
	s_or_b64 s[42:43], s[56:57], s[42:43]
	s_andn2_b64 s[50:51], s[50:51], exec
	s_and_b64 s[54:55], s[54:55], exec
	s_andn2_b64 s[44:45], s[44:45], exec
	s_and_b64 s[56:57], s[46:47], exec
	s_andn2_b64 s[26:27], s[26:27], exec
	s_or_b64 s[50:51], s[50:51], s[54:55]
	s_or_b64 s[44:45], s[44:45], s[56:57]
	;; [unrolled: 1-line block ×3, first 2 shown]
	s_andn2_b64 exec, exec, s[42:43]
	s_cbranch_execz .LBB9_764
.LBB9_762:                              ; =>This Inner Loop Header: Depth=1
	global_load_ubyte v33, v[0:1], off
	global_load_ubyte v34, v[22:23], off
	s_or_b64 s[46:47], s[46:47], exec
	s_or_b64 s[48:49], s[48:49], exec
	s_waitcnt vmcnt(0)
	v_cmp_lt_u16_sdwa s[54:55], v33, v34 src0_sel:BYTE_0 src1_sel:BYTE_0
	v_cmp_le_u16_sdwa s[56:57], v33, v34 src0_sel:BYTE_0 src1_sel:BYTE_0
	v_cmp_eq_u16_sdwa s[60:61], v33, v34 src0_sel:BYTE_0 src1_sel:BYTE_0
	s_and_saveexec_b64 s[58:59], s[60:61]
	s_cbranch_execz .LBB9_761
; %bb.763:                              ;   in Loop: Header=BB9_762 Depth=1
	s_add_u32 s52, s52, -1
	s_addc_u32 s53, s53, -1
	s_cmp_eq_u64 s[52:53], 0
	s_cselect_b64 s[60:61], -1, 0
	s_andn2_b64 s[48:49], s[48:49], exec
	s_and_b64 s[60:61], s[60:61], exec
	v_lshl_add_u64 v[0:1], v[0:1], 0, 1
	v_lshl_add_u64 v[22:23], v[22:23], 0, 1
	s_andn2_b64 s[46:47], s[46:47], exec
	s_or_b64 s[48:49], s[48:49], s[60:61]
	s_branch .LBB9_761
.LBB9_764:
	s_or_b64 exec, exec, s[42:43]
	s_and_saveexec_b64 s[42:43], s[44:45]
	s_xor_b64 s[42:43], exec, s[42:43]
; %bb.765:
	v_cndmask_b32_e64 v1, v13, v7, s[26:27]
	v_cndmask_b32_e64 v0, v12, v6, s[26:27]
	;; [unrolled: 1-line block ×4, first 2 shown]
	v_mov_b64_e32 v[12:13], v[0:1]
; %bb.766:
	s_or_b64 exec, exec, s[42:43]
.LBB9_767:
	s_or_b64 exec, exec, s[2:3]
	v_cmp_lt_u32_e64 s[26:27], 6, v25
	s_and_saveexec_b64 s[2:3], s[26:27]
	s_cbranch_execz .LBB9_776
; %bb.768:
	s_andn2_b64 vcc, exec, s[40:41]
	s_cbranch_vccnz .LBB9_776
; %bb.769:
	v_mov_b64_e32 v[22:23], s[38:39]
	v_mad_u64_u32 v[0:1], s[42:43], v2, s36, v[22:23]
	v_mul_lo_u32 v25, v2, s37
	v_mul_lo_u32 v33, v3, s36
	v_add3_u32 v1, v33, v1, v25
	v_mad_u64_u32 v[22:23], s[42:43], v8, s36, v[22:23]
	v_mul_lo_u32 v25, v8, s37
	v_mul_lo_u32 v33, v9, s36
	v_add3_u32 v23, v33, v23, v25
	s_mov_b64 s[44:45], 0
	s_mov_b64 s[54:55], s[36:37]
                                        ; implicit-def: $sgpr42_sgpr43
                                        ; implicit-def: $sgpr46_sgpr47
                                        ; implicit-def: $sgpr50_sgpr51
                                        ; implicit-def: $sgpr48_sgpr49
                                        ; implicit-def: $sgpr52_sgpr53
	s_branch .LBB9_771
.LBB9_770:                              ;   in Loop: Header=BB9_771 Depth=1
	s_or_b64 exec, exec, s[60:61]
	s_and_b64 s[58:59], s[58:59], s[52:53]
	s_or_b64 s[56:57], s[56:57], s[58:59]
	s_and_b64 s[58:59], exec, s[50:51]
	s_or_b64 s[44:45], s[58:59], s[44:45]
	s_andn2_b64 s[52:53], s[52:53], exec
	s_and_b64 s[56:57], s[56:57], exec
	s_andn2_b64 s[46:47], s[46:47], exec
	s_and_b64 s[58:59], s[48:49], exec
	s_andn2_b64 s[42:43], s[42:43], exec
	s_or_b64 s[52:53], s[52:53], s[56:57]
	s_or_b64 s[46:47], s[46:47], s[58:59]
	;; [unrolled: 1-line block ×3, first 2 shown]
	s_andn2_b64 exec, exec, s[44:45]
	s_cbranch_execz .LBB9_773
.LBB9_771:                              ; =>This Inner Loop Header: Depth=1
	global_load_ubyte v25, v[0:1], off
	global_load_ubyte v33, v[22:23], off
	s_or_b64 s[48:49], s[48:49], exec
	s_or_b64 s[50:51], s[50:51], exec
	s_waitcnt vmcnt(0)
	v_cmp_lt_u16_sdwa s[56:57], v25, v33 src0_sel:BYTE_0 src1_sel:BYTE_0
	v_cmp_le_u16_sdwa s[58:59], v25, v33 src0_sel:BYTE_0 src1_sel:BYTE_0
	v_cmp_eq_u16_sdwa s[62:63], v25, v33 src0_sel:BYTE_0 src1_sel:BYTE_0
	s_and_saveexec_b64 s[60:61], s[62:63]
	s_cbranch_execz .LBB9_770
; %bb.772:                              ;   in Loop: Header=BB9_771 Depth=1
	s_add_u32 s54, s54, -1
	s_addc_u32 s55, s55, -1
	s_cmp_eq_u64 s[54:55], 0
	s_cselect_b64 s[62:63], -1, 0
	s_andn2_b64 s[50:51], s[50:51], exec
	s_and_b64 s[62:63], s[62:63], exec
	v_lshl_add_u64 v[0:1], v[0:1], 0, 1
	v_lshl_add_u64 v[22:23], v[22:23], 0, 1
	s_andn2_b64 s[48:49], s[48:49], exec
	s_or_b64 s[50:51], s[50:51], s[62:63]
	s_branch .LBB9_770
.LBB9_773:
	s_or_b64 exec, exec, s[44:45]
	s_and_saveexec_b64 s[44:45], s[46:47]
	s_xor_b64 s[44:45], exec, s[44:45]
; %bb.774:
	v_cndmask_b32_e64 v1, v9, v3, s[42:43]
	v_cndmask_b32_e64 v0, v8, v2, s[42:43]
	;; [unrolled: 1-line block ×4, first 2 shown]
	v_mov_b64_e32 v[8:9], v[0:1]
; %bb.775:
	s_or_b64 exec, exec, s[44:45]
.LBB9_776:
	s_or_b64 exec, exec, s[2:3]
	s_and_saveexec_b64 s[2:3], s[14:15]
	s_cbranch_execz .LBB9_785
; %bb.777:
	s_andn2_b64 vcc, exec, s[40:41]
	s_cbranch_vccnz .LBB9_785
; %bb.778:
	v_mov_b64_e32 v[22:23], s[38:39]
	v_mad_u64_u32 v[0:1], s[42:43], v16, s36, v[22:23]
	v_mul_lo_u32 v25, v16, s37
	v_mul_lo_u32 v33, v17, s36
	v_add3_u32 v1, v33, v1, v25
	v_mad_u64_u32 v[22:23], s[42:43], v14, s36, v[22:23]
	v_mul_lo_u32 v25, v14, s37
	v_mul_lo_u32 v33, v15, s36
	v_add3_u32 v23, v33, v23, v25
	s_mov_b64 s[44:45], 0
	s_mov_b64 s[54:55], s[36:37]
                                        ; implicit-def: $sgpr42_sgpr43
                                        ; implicit-def: $sgpr46_sgpr47
                                        ; implicit-def: $sgpr50_sgpr51
                                        ; implicit-def: $sgpr48_sgpr49
                                        ; implicit-def: $sgpr52_sgpr53
	s_branch .LBB9_780
.LBB9_779:                              ;   in Loop: Header=BB9_780 Depth=1
	s_or_b64 exec, exec, s[60:61]
	s_and_b64 s[58:59], s[58:59], s[52:53]
	s_or_b64 s[56:57], s[56:57], s[58:59]
	s_and_b64 s[58:59], exec, s[50:51]
	s_or_b64 s[44:45], s[58:59], s[44:45]
	s_andn2_b64 s[52:53], s[52:53], exec
	s_and_b64 s[56:57], s[56:57], exec
	s_andn2_b64 s[46:47], s[46:47], exec
	s_and_b64 s[58:59], s[48:49], exec
	s_andn2_b64 s[42:43], s[42:43], exec
	s_or_b64 s[52:53], s[52:53], s[56:57]
	s_or_b64 s[46:47], s[46:47], s[58:59]
	;; [unrolled: 1-line block ×3, first 2 shown]
	s_andn2_b64 exec, exec, s[44:45]
	s_cbranch_execz .LBB9_782
.LBB9_780:                              ; =>This Inner Loop Header: Depth=1
	global_load_ubyte v25, v[0:1], off
	global_load_ubyte v33, v[22:23], off
	s_or_b64 s[48:49], s[48:49], exec
	s_or_b64 s[50:51], s[50:51], exec
	s_waitcnt vmcnt(0)
	v_cmp_lt_u16_sdwa s[56:57], v25, v33 src0_sel:BYTE_0 src1_sel:BYTE_0
	v_cmp_le_u16_sdwa s[58:59], v25, v33 src0_sel:BYTE_0 src1_sel:BYTE_0
	v_cmp_eq_u16_sdwa s[62:63], v25, v33 src0_sel:BYTE_0 src1_sel:BYTE_0
	s_and_saveexec_b64 s[60:61], s[62:63]
	s_cbranch_execz .LBB9_779
; %bb.781:                              ;   in Loop: Header=BB9_780 Depth=1
	s_add_u32 s54, s54, -1
	s_addc_u32 s55, s55, -1
	s_cmp_eq_u64 s[54:55], 0
	s_cselect_b64 s[62:63], -1, 0
	s_andn2_b64 s[50:51], s[50:51], exec
	s_and_b64 s[62:63], s[62:63], exec
	v_lshl_add_u64 v[0:1], v[0:1], 0, 1
	v_lshl_add_u64 v[22:23], v[22:23], 0, 1
	s_andn2_b64 s[48:49], s[48:49], exec
	s_or_b64 s[50:51], s[50:51], s[62:63]
	s_branch .LBB9_779
.LBB9_782:
	s_or_b64 exec, exec, s[44:45]
	s_and_saveexec_b64 s[44:45], s[46:47]
	s_xor_b64 s[44:45], exec, s[44:45]
; %bb.783:
	v_cndmask_b32_e64 v1, v17, v15, s[42:43]
	v_cndmask_b32_e64 v0, v16, v14, s[42:43]
	;; [unrolled: 1-line block ×4, first 2 shown]
	v_mov_b64_e32 v[16:17], v[0:1]
; %bb.784:
	s_or_b64 exec, exec, s[44:45]
.LBB9_785:
	s_or_b64 exec, exec, s[2:3]
	s_and_saveexec_b64 s[2:3], s[16:17]
	s_cbranch_execz .LBB9_794
; %bb.786:
	s_andn2_b64 vcc, exec, s[40:41]
	s_cbranch_vccnz .LBB9_794
; %bb.787:
	v_mov_b64_e32 v[22:23], s[38:39]
	v_mad_u64_u32 v[0:1], s[42:43], v12, s36, v[22:23]
	v_mul_lo_u32 v25, v12, s37
	v_mul_lo_u32 v33, v13, s36
	v_add3_u32 v1, v33, v1, v25
	v_mad_u64_u32 v[22:23], s[42:43], v10, s36, v[22:23]
	v_mul_lo_u32 v25, v10, s37
	v_mul_lo_u32 v33, v11, s36
	v_add3_u32 v23, v33, v23, v25
	s_mov_b64 s[44:45], 0
	s_mov_b64 s[54:55], s[36:37]
                                        ; implicit-def: $sgpr42_sgpr43
                                        ; implicit-def: $sgpr46_sgpr47
                                        ; implicit-def: $sgpr50_sgpr51
                                        ; implicit-def: $sgpr48_sgpr49
                                        ; implicit-def: $sgpr52_sgpr53
	s_branch .LBB9_789
.LBB9_788:                              ;   in Loop: Header=BB9_789 Depth=1
	s_or_b64 exec, exec, s[60:61]
	s_and_b64 s[58:59], s[58:59], s[52:53]
	s_or_b64 s[56:57], s[56:57], s[58:59]
	s_and_b64 s[58:59], exec, s[50:51]
	s_or_b64 s[44:45], s[58:59], s[44:45]
	s_andn2_b64 s[52:53], s[52:53], exec
	s_and_b64 s[56:57], s[56:57], exec
	s_andn2_b64 s[46:47], s[46:47], exec
	s_and_b64 s[58:59], s[48:49], exec
	s_andn2_b64 s[42:43], s[42:43], exec
	s_or_b64 s[52:53], s[52:53], s[56:57]
	s_or_b64 s[46:47], s[46:47], s[58:59]
	;; [unrolled: 1-line block ×3, first 2 shown]
	s_andn2_b64 exec, exec, s[44:45]
	s_cbranch_execz .LBB9_791
.LBB9_789:                              ; =>This Inner Loop Header: Depth=1
	global_load_ubyte v25, v[0:1], off
	global_load_ubyte v33, v[22:23], off
	s_or_b64 s[48:49], s[48:49], exec
	s_or_b64 s[50:51], s[50:51], exec
	s_waitcnt vmcnt(0)
	v_cmp_lt_u16_sdwa s[56:57], v25, v33 src0_sel:BYTE_0 src1_sel:BYTE_0
	v_cmp_le_u16_sdwa s[58:59], v25, v33 src0_sel:BYTE_0 src1_sel:BYTE_0
	v_cmp_eq_u16_sdwa s[62:63], v25, v33 src0_sel:BYTE_0 src1_sel:BYTE_0
	s_and_saveexec_b64 s[60:61], s[62:63]
	s_cbranch_execz .LBB9_788
; %bb.790:                              ;   in Loop: Header=BB9_789 Depth=1
	s_add_u32 s54, s54, -1
	s_addc_u32 s55, s55, -1
	s_cmp_eq_u64 s[54:55], 0
	s_cselect_b64 s[62:63], -1, 0
	s_andn2_b64 s[50:51], s[50:51], exec
	s_and_b64 s[62:63], s[62:63], exec
	v_lshl_add_u64 v[0:1], v[0:1], 0, 1
	v_lshl_add_u64 v[22:23], v[22:23], 0, 1
	s_andn2_b64 s[48:49], s[48:49], exec
	s_or_b64 s[50:51], s[50:51], s[62:63]
	s_branch .LBB9_788
.LBB9_791:
	s_or_b64 exec, exec, s[44:45]
	s_and_saveexec_b64 s[44:45], s[46:47]
	s_xor_b64 s[44:45], exec, s[44:45]
; %bb.792:
	v_cndmask_b32_e64 v1, v11, v13, s[42:43]
	v_cndmask_b32_e64 v0, v10, v12, s[42:43]
	v_cndmask_b32_e64 v13, v13, v11, s[42:43]
	v_cndmask_b32_e64 v12, v12, v10, s[42:43]
	v_mov_b64_e32 v[10:11], v[0:1]
; %bb.793:
	s_or_b64 exec, exec, s[44:45]
.LBB9_794:
	s_or_b64 exec, exec, s[2:3]
	s_and_saveexec_b64 s[2:3], s[18:19]
	s_cbranch_execz .LBB9_803
; %bb.795:
	s_andn2_b64 vcc, exec, s[40:41]
	s_cbranch_vccnz .LBB9_803
; %bb.796:
	v_mov_b64_e32 v[22:23], s[38:39]
	v_mad_u64_u32 v[0:1], s[42:43], v8, s36, v[22:23]
	v_mul_lo_u32 v25, v8, s37
	v_mul_lo_u32 v33, v9, s36
	v_add3_u32 v1, v33, v1, v25
	v_mad_u64_u32 v[22:23], s[42:43], v6, s36, v[22:23]
	v_mul_lo_u32 v25, v6, s37
	v_mul_lo_u32 v33, v7, s36
	v_add3_u32 v23, v33, v23, v25
	s_mov_b64 s[44:45], 0
	s_mov_b64 s[54:55], s[36:37]
                                        ; implicit-def: $sgpr42_sgpr43
                                        ; implicit-def: $sgpr46_sgpr47
                                        ; implicit-def: $sgpr50_sgpr51
                                        ; implicit-def: $sgpr48_sgpr49
                                        ; implicit-def: $sgpr52_sgpr53
	s_branch .LBB9_798
.LBB9_797:                              ;   in Loop: Header=BB9_798 Depth=1
	s_or_b64 exec, exec, s[60:61]
	s_and_b64 s[58:59], s[58:59], s[52:53]
	s_or_b64 s[56:57], s[56:57], s[58:59]
	s_and_b64 s[58:59], exec, s[50:51]
	s_or_b64 s[44:45], s[58:59], s[44:45]
	s_andn2_b64 s[52:53], s[52:53], exec
	s_and_b64 s[56:57], s[56:57], exec
	s_andn2_b64 s[46:47], s[46:47], exec
	s_and_b64 s[58:59], s[48:49], exec
	s_andn2_b64 s[42:43], s[42:43], exec
	s_or_b64 s[52:53], s[52:53], s[56:57]
	s_or_b64 s[46:47], s[46:47], s[58:59]
	;; [unrolled: 1-line block ×3, first 2 shown]
	s_andn2_b64 exec, exec, s[44:45]
	s_cbranch_execz .LBB9_800
.LBB9_798:                              ; =>This Inner Loop Header: Depth=1
	global_load_ubyte v25, v[0:1], off
	global_load_ubyte v33, v[22:23], off
	s_or_b64 s[48:49], s[48:49], exec
	s_or_b64 s[50:51], s[50:51], exec
	s_waitcnt vmcnt(0)
	v_cmp_lt_u16_sdwa s[56:57], v25, v33 src0_sel:BYTE_0 src1_sel:BYTE_0
	v_cmp_le_u16_sdwa s[58:59], v25, v33 src0_sel:BYTE_0 src1_sel:BYTE_0
	v_cmp_eq_u16_sdwa s[62:63], v25, v33 src0_sel:BYTE_0 src1_sel:BYTE_0
	s_and_saveexec_b64 s[60:61], s[62:63]
	s_cbranch_execz .LBB9_797
; %bb.799:                              ;   in Loop: Header=BB9_798 Depth=1
	s_add_u32 s54, s54, -1
	s_addc_u32 s55, s55, -1
	s_cmp_eq_u64 s[54:55], 0
	s_cselect_b64 s[62:63], -1, 0
	s_andn2_b64 s[50:51], s[50:51], exec
	s_and_b64 s[62:63], s[62:63], exec
	v_lshl_add_u64 v[0:1], v[0:1], 0, 1
	v_lshl_add_u64 v[22:23], v[22:23], 0, 1
	s_andn2_b64 s[48:49], s[48:49], exec
	s_or_b64 s[50:51], s[50:51], s[62:63]
	s_branch .LBB9_797
.LBB9_800:
	s_or_b64 exec, exec, s[44:45]
	s_and_saveexec_b64 s[44:45], s[46:47]
	s_xor_b64 s[44:45], exec, s[44:45]
; %bb.801:
	v_cndmask_b32_e64 v1, v7, v9, s[42:43]
	v_cndmask_b32_e64 v0, v6, v8, s[42:43]
	;; [unrolled: 1-line block ×4, first 2 shown]
	v_mov_b64_e32 v[6:7], v[0:1]
; %bb.802:
	s_or_b64 exec, exec, s[44:45]
.LBB9_803:
	s_or_b64 exec, exec, s[2:3]
	s_and_saveexec_b64 s[2:3], s[20:21]
	s_cbranch_execz .LBB9_812
; %bb.804:
	s_andn2_b64 vcc, exec, s[40:41]
	s_cbranch_vccnz .LBB9_812
; %bb.805:
	v_mov_b64_e32 v[22:23], s[38:39]
	v_mad_u64_u32 v[0:1], s[42:43], v4, s36, v[22:23]
	v_mul_lo_u32 v25, v4, s37
	v_mul_lo_u32 v33, v5, s36
	v_add3_u32 v1, v33, v1, v25
	v_mad_u64_u32 v[22:23], s[42:43], v2, s36, v[22:23]
	v_mul_lo_u32 v25, v2, s37
	v_mul_lo_u32 v33, v3, s36
	v_add3_u32 v23, v33, v23, v25
	s_mov_b64 s[44:45], 0
	s_mov_b64 s[54:55], s[36:37]
                                        ; implicit-def: $sgpr42_sgpr43
                                        ; implicit-def: $sgpr46_sgpr47
                                        ; implicit-def: $sgpr50_sgpr51
                                        ; implicit-def: $sgpr48_sgpr49
                                        ; implicit-def: $sgpr52_sgpr53
	s_branch .LBB9_807
.LBB9_806:                              ;   in Loop: Header=BB9_807 Depth=1
	s_or_b64 exec, exec, s[60:61]
	s_and_b64 s[58:59], s[58:59], s[52:53]
	s_or_b64 s[56:57], s[56:57], s[58:59]
	s_and_b64 s[58:59], exec, s[50:51]
	s_or_b64 s[44:45], s[58:59], s[44:45]
	s_andn2_b64 s[52:53], s[52:53], exec
	s_and_b64 s[56:57], s[56:57], exec
	s_andn2_b64 s[46:47], s[46:47], exec
	s_and_b64 s[58:59], s[48:49], exec
	s_andn2_b64 s[42:43], s[42:43], exec
	s_or_b64 s[52:53], s[52:53], s[56:57]
	s_or_b64 s[46:47], s[46:47], s[58:59]
	;; [unrolled: 1-line block ×3, first 2 shown]
	s_andn2_b64 exec, exec, s[44:45]
	s_cbranch_execz .LBB9_809
.LBB9_807:                              ; =>This Inner Loop Header: Depth=1
	global_load_ubyte v25, v[0:1], off
	global_load_ubyte v33, v[22:23], off
	s_or_b64 s[48:49], s[48:49], exec
	s_or_b64 s[50:51], s[50:51], exec
	s_waitcnt vmcnt(0)
	v_cmp_lt_u16_sdwa s[56:57], v25, v33 src0_sel:BYTE_0 src1_sel:BYTE_0
	v_cmp_le_u16_sdwa s[58:59], v25, v33 src0_sel:BYTE_0 src1_sel:BYTE_0
	v_cmp_eq_u16_sdwa s[62:63], v25, v33 src0_sel:BYTE_0 src1_sel:BYTE_0
	s_and_saveexec_b64 s[60:61], s[62:63]
	s_cbranch_execz .LBB9_806
; %bb.808:                              ;   in Loop: Header=BB9_807 Depth=1
	s_add_u32 s54, s54, -1
	s_addc_u32 s55, s55, -1
	s_cmp_eq_u64 s[54:55], 0
	s_cselect_b64 s[62:63], -1, 0
	s_andn2_b64 s[50:51], s[50:51], exec
	s_and_b64 s[62:63], s[62:63], exec
	v_lshl_add_u64 v[0:1], v[0:1], 0, 1
	v_lshl_add_u64 v[22:23], v[22:23], 0, 1
	s_andn2_b64 s[48:49], s[48:49], exec
	s_or_b64 s[50:51], s[50:51], s[62:63]
	s_branch .LBB9_806
.LBB9_809:
	s_or_b64 exec, exec, s[44:45]
	s_and_saveexec_b64 s[44:45], s[46:47]
	s_xor_b64 s[44:45], exec, s[44:45]
; %bb.810:
	v_cndmask_b32_e64 v1, v3, v5, s[42:43]
	v_cndmask_b32_e64 v0, v2, v4, s[42:43]
	;; [unrolled: 1-line block ×4, first 2 shown]
	v_mov_b64_e32 v[2:3], v[0:1]
; %bb.811:
	s_or_b64 exec, exec, s[44:45]
.LBB9_812:
	s_or_b64 exec, exec, s[2:3]
	s_and_saveexec_b64 s[2:3], s[22:23]
	s_cbranch_execz .LBB9_821
; %bb.813:
	s_andn2_b64 vcc, exec, s[40:41]
	s_cbranch_vccnz .LBB9_821
; %bb.814:
	v_mov_b64_e32 v[22:23], s[38:39]
	v_mad_u64_u32 v[0:1], s[42:43], v10, s36, v[22:23]
	v_mul_lo_u32 v25, v10, s37
	v_mul_lo_u32 v33, v11, s36
	v_add3_u32 v1, v33, v1, v25
	v_mad_u64_u32 v[22:23], s[42:43], v16, s36, v[22:23]
	v_mul_lo_u32 v25, v16, s37
	v_mul_lo_u32 v33, v17, s36
	v_add3_u32 v23, v33, v23, v25
	s_mov_b64 s[44:45], 0
	s_mov_b64 s[54:55], s[36:37]
                                        ; implicit-def: $sgpr42_sgpr43
                                        ; implicit-def: $sgpr46_sgpr47
                                        ; implicit-def: $sgpr50_sgpr51
                                        ; implicit-def: $sgpr48_sgpr49
                                        ; implicit-def: $sgpr52_sgpr53
	s_branch .LBB9_816
.LBB9_815:                              ;   in Loop: Header=BB9_816 Depth=1
	s_or_b64 exec, exec, s[60:61]
	s_and_b64 s[58:59], s[58:59], s[52:53]
	s_or_b64 s[56:57], s[56:57], s[58:59]
	s_and_b64 s[58:59], exec, s[50:51]
	s_or_b64 s[44:45], s[58:59], s[44:45]
	s_andn2_b64 s[52:53], s[52:53], exec
	s_and_b64 s[56:57], s[56:57], exec
	s_andn2_b64 s[46:47], s[46:47], exec
	s_and_b64 s[58:59], s[48:49], exec
	s_andn2_b64 s[42:43], s[42:43], exec
	s_or_b64 s[52:53], s[52:53], s[56:57]
	s_or_b64 s[46:47], s[46:47], s[58:59]
	;; [unrolled: 1-line block ×3, first 2 shown]
	s_andn2_b64 exec, exec, s[44:45]
	s_cbranch_execz .LBB9_818
.LBB9_816:                              ; =>This Inner Loop Header: Depth=1
	global_load_ubyte v25, v[0:1], off
	global_load_ubyte v33, v[22:23], off
	s_or_b64 s[48:49], s[48:49], exec
	s_or_b64 s[50:51], s[50:51], exec
	s_waitcnt vmcnt(0)
	v_cmp_lt_u16_sdwa s[56:57], v25, v33 src0_sel:BYTE_0 src1_sel:BYTE_0
	v_cmp_le_u16_sdwa s[58:59], v25, v33 src0_sel:BYTE_0 src1_sel:BYTE_0
	v_cmp_eq_u16_sdwa s[62:63], v25, v33 src0_sel:BYTE_0 src1_sel:BYTE_0
	s_and_saveexec_b64 s[60:61], s[62:63]
	s_cbranch_execz .LBB9_815
; %bb.817:                              ;   in Loop: Header=BB9_816 Depth=1
	s_add_u32 s54, s54, -1
	s_addc_u32 s55, s55, -1
	s_cmp_eq_u64 s[54:55], 0
	s_cselect_b64 s[62:63], -1, 0
	s_andn2_b64 s[50:51], s[50:51], exec
	s_and_b64 s[62:63], s[62:63], exec
	v_lshl_add_u64 v[0:1], v[0:1], 0, 1
	v_lshl_add_u64 v[22:23], v[22:23], 0, 1
	s_andn2_b64 s[48:49], s[48:49], exec
	s_or_b64 s[50:51], s[50:51], s[62:63]
	s_branch .LBB9_815
.LBB9_818:
	s_or_b64 exec, exec, s[44:45]
	s_and_saveexec_b64 s[44:45], s[46:47]
	s_xor_b64 s[44:45], exec, s[44:45]
; %bb.819:
	v_cndmask_b32_e64 v1, v17, v11, s[42:43]
	v_cndmask_b32_e64 v0, v16, v10, s[42:43]
	;; [unrolled: 1-line block ×4, first 2 shown]
	v_mov_b64_e32 v[16:17], v[0:1]
; %bb.820:
	s_or_b64 exec, exec, s[44:45]
.LBB9_821:
	s_or_b64 exec, exec, s[2:3]
	s_and_saveexec_b64 s[2:3], s[24:25]
	s_cbranch_execz .LBB9_830
; %bb.822:
	s_andn2_b64 vcc, exec, s[40:41]
	s_cbranch_vccnz .LBB9_830
; %bb.823:
	v_mov_b64_e32 v[22:23], s[38:39]
	v_mad_u64_u32 v[0:1], s[42:43], v6, s36, v[22:23]
	v_mul_lo_u32 v25, v6, s37
	v_mul_lo_u32 v33, v7, s36
	v_add3_u32 v1, v33, v1, v25
	v_mad_u64_u32 v[22:23], s[42:43], v12, s36, v[22:23]
	v_mul_lo_u32 v25, v12, s37
	v_mul_lo_u32 v33, v13, s36
	v_add3_u32 v23, v33, v23, v25
	s_mov_b64 s[44:45], 0
	s_mov_b64 s[54:55], s[36:37]
                                        ; implicit-def: $sgpr42_sgpr43
                                        ; implicit-def: $sgpr46_sgpr47
                                        ; implicit-def: $sgpr50_sgpr51
                                        ; implicit-def: $sgpr48_sgpr49
                                        ; implicit-def: $sgpr52_sgpr53
	s_branch .LBB9_825
.LBB9_824:                              ;   in Loop: Header=BB9_825 Depth=1
	s_or_b64 exec, exec, s[60:61]
	s_and_b64 s[58:59], s[58:59], s[52:53]
	s_or_b64 s[56:57], s[56:57], s[58:59]
	s_and_b64 s[58:59], exec, s[50:51]
	s_or_b64 s[44:45], s[58:59], s[44:45]
	s_andn2_b64 s[52:53], s[52:53], exec
	s_and_b64 s[56:57], s[56:57], exec
	s_andn2_b64 s[46:47], s[46:47], exec
	s_and_b64 s[58:59], s[48:49], exec
	s_andn2_b64 s[42:43], s[42:43], exec
	s_or_b64 s[52:53], s[52:53], s[56:57]
	s_or_b64 s[46:47], s[46:47], s[58:59]
	;; [unrolled: 1-line block ×3, first 2 shown]
	s_andn2_b64 exec, exec, s[44:45]
	s_cbranch_execz .LBB9_827
.LBB9_825:                              ; =>This Inner Loop Header: Depth=1
	global_load_ubyte v25, v[0:1], off
	global_load_ubyte v33, v[22:23], off
	s_or_b64 s[48:49], s[48:49], exec
	s_or_b64 s[50:51], s[50:51], exec
	s_waitcnt vmcnt(0)
	v_cmp_lt_u16_sdwa s[56:57], v25, v33 src0_sel:BYTE_0 src1_sel:BYTE_0
	v_cmp_le_u16_sdwa s[58:59], v25, v33 src0_sel:BYTE_0 src1_sel:BYTE_0
	v_cmp_eq_u16_sdwa s[62:63], v25, v33 src0_sel:BYTE_0 src1_sel:BYTE_0
	s_and_saveexec_b64 s[60:61], s[62:63]
	s_cbranch_execz .LBB9_824
; %bb.826:                              ;   in Loop: Header=BB9_825 Depth=1
	s_add_u32 s54, s54, -1
	s_addc_u32 s55, s55, -1
	s_cmp_eq_u64 s[54:55], 0
	s_cselect_b64 s[62:63], -1, 0
	s_andn2_b64 s[50:51], s[50:51], exec
	s_and_b64 s[62:63], s[62:63], exec
	v_lshl_add_u64 v[0:1], v[0:1], 0, 1
	v_lshl_add_u64 v[22:23], v[22:23], 0, 1
	s_andn2_b64 s[48:49], s[48:49], exec
	s_or_b64 s[50:51], s[50:51], s[62:63]
	s_branch .LBB9_824
.LBB9_827:
	s_or_b64 exec, exec, s[44:45]
	s_and_saveexec_b64 s[44:45], s[46:47]
	s_xor_b64 s[44:45], exec, s[44:45]
; %bb.828:
	v_cndmask_b32_e64 v1, v13, v7, s[42:43]
	v_cndmask_b32_e64 v0, v12, v6, s[42:43]
	;; [unrolled: 1-line block ×4, first 2 shown]
	v_mov_b64_e32 v[12:13], v[0:1]
; %bb.829:
	s_or_b64 exec, exec, s[44:45]
.LBB9_830:
	s_or_b64 exec, exec, s[2:3]
	s_and_saveexec_b64 s[2:3], s[26:27]
	s_cbranch_execz .LBB9_839
; %bb.831:
	s_andn2_b64 vcc, exec, s[40:41]
	s_cbranch_vccnz .LBB9_839
; %bb.832:
	v_mov_b64_e32 v[22:23], s[38:39]
	v_mad_u64_u32 v[0:1], s[42:43], v2, s36, v[22:23]
	v_mul_lo_u32 v25, v2, s37
	v_mul_lo_u32 v33, v3, s36
	v_add3_u32 v1, v33, v1, v25
	v_mad_u64_u32 v[22:23], s[42:43], v8, s36, v[22:23]
	v_mul_lo_u32 v25, v8, s37
	v_mul_lo_u32 v33, v9, s36
	v_add3_u32 v23, v33, v23, v25
	s_mov_b64 s[44:45], 0
	s_mov_b64 s[54:55], s[36:37]
                                        ; implicit-def: $sgpr42_sgpr43
                                        ; implicit-def: $sgpr46_sgpr47
                                        ; implicit-def: $sgpr50_sgpr51
                                        ; implicit-def: $sgpr48_sgpr49
                                        ; implicit-def: $sgpr52_sgpr53
	s_branch .LBB9_834
.LBB9_833:                              ;   in Loop: Header=BB9_834 Depth=1
	s_or_b64 exec, exec, s[60:61]
	s_and_b64 s[58:59], s[58:59], s[52:53]
	s_or_b64 s[56:57], s[56:57], s[58:59]
	s_and_b64 s[58:59], exec, s[50:51]
	s_or_b64 s[44:45], s[58:59], s[44:45]
	s_andn2_b64 s[52:53], s[52:53], exec
	s_and_b64 s[56:57], s[56:57], exec
	s_andn2_b64 s[46:47], s[46:47], exec
	s_and_b64 s[58:59], s[48:49], exec
	s_andn2_b64 s[42:43], s[42:43], exec
	s_or_b64 s[52:53], s[52:53], s[56:57]
	s_or_b64 s[46:47], s[46:47], s[58:59]
	;; [unrolled: 1-line block ×3, first 2 shown]
	s_andn2_b64 exec, exec, s[44:45]
	s_cbranch_execz .LBB9_836
.LBB9_834:                              ; =>This Inner Loop Header: Depth=1
	global_load_ubyte v25, v[0:1], off
	global_load_ubyte v33, v[22:23], off
	s_or_b64 s[48:49], s[48:49], exec
	s_or_b64 s[50:51], s[50:51], exec
	s_waitcnt vmcnt(0)
	v_cmp_lt_u16_sdwa s[56:57], v25, v33 src0_sel:BYTE_0 src1_sel:BYTE_0
	v_cmp_le_u16_sdwa s[58:59], v25, v33 src0_sel:BYTE_0 src1_sel:BYTE_0
	v_cmp_eq_u16_sdwa s[62:63], v25, v33 src0_sel:BYTE_0 src1_sel:BYTE_0
	s_and_saveexec_b64 s[60:61], s[62:63]
	s_cbranch_execz .LBB9_833
; %bb.835:                              ;   in Loop: Header=BB9_834 Depth=1
	s_add_u32 s54, s54, -1
	s_addc_u32 s55, s55, -1
	s_cmp_eq_u64 s[54:55], 0
	s_cselect_b64 s[62:63], -1, 0
	s_andn2_b64 s[50:51], s[50:51], exec
	s_and_b64 s[62:63], s[62:63], exec
	v_lshl_add_u64 v[0:1], v[0:1], 0, 1
	v_lshl_add_u64 v[22:23], v[22:23], 0, 1
	s_andn2_b64 s[48:49], s[48:49], exec
	s_or_b64 s[50:51], s[50:51], s[62:63]
	s_branch .LBB9_833
.LBB9_836:
	s_or_b64 exec, exec, s[44:45]
	s_and_saveexec_b64 s[44:45], s[46:47]
	s_xor_b64 s[44:45], exec, s[44:45]
; %bb.837:
	v_cndmask_b32_e64 v1, v9, v3, s[42:43]
	v_cndmask_b32_e64 v0, v8, v2, s[42:43]
	;; [unrolled: 1-line block ×4, first 2 shown]
	v_mov_b64_e32 v[8:9], v[0:1]
; %bb.838:
	s_or_b64 exec, exec, s[44:45]
.LBB9_839:
	s_or_b64 exec, exec, s[2:3]
	s_and_saveexec_b64 s[2:3], s[14:15]
	s_cbranch_execz .LBB9_848
; %bb.840:
	s_andn2_b64 vcc, exec, s[40:41]
	s_cbranch_vccnz .LBB9_848
; %bb.841:
	v_mov_b64_e32 v[22:23], s[38:39]
	v_mad_u64_u32 v[0:1], s[42:43], v16, s36, v[22:23]
	v_mul_lo_u32 v25, v16, s37
	v_mul_lo_u32 v33, v17, s36
	v_add3_u32 v1, v33, v1, v25
	v_mad_u64_u32 v[22:23], s[42:43], v14, s36, v[22:23]
	v_mul_lo_u32 v25, v14, s37
	v_mul_lo_u32 v33, v15, s36
	v_add3_u32 v23, v33, v23, v25
	s_mov_b64 s[44:45], 0
	s_mov_b64 s[54:55], s[36:37]
                                        ; implicit-def: $sgpr42_sgpr43
                                        ; implicit-def: $sgpr46_sgpr47
                                        ; implicit-def: $sgpr50_sgpr51
                                        ; implicit-def: $sgpr48_sgpr49
                                        ; implicit-def: $sgpr52_sgpr53
	s_branch .LBB9_843
.LBB9_842:                              ;   in Loop: Header=BB9_843 Depth=1
	s_or_b64 exec, exec, s[60:61]
	s_and_b64 s[58:59], s[58:59], s[52:53]
	s_or_b64 s[56:57], s[56:57], s[58:59]
	s_and_b64 s[58:59], exec, s[50:51]
	s_or_b64 s[44:45], s[58:59], s[44:45]
	s_andn2_b64 s[52:53], s[52:53], exec
	s_and_b64 s[56:57], s[56:57], exec
	s_andn2_b64 s[46:47], s[46:47], exec
	s_and_b64 s[58:59], s[48:49], exec
	s_andn2_b64 s[42:43], s[42:43], exec
	s_or_b64 s[52:53], s[52:53], s[56:57]
	s_or_b64 s[46:47], s[46:47], s[58:59]
	;; [unrolled: 1-line block ×3, first 2 shown]
	s_andn2_b64 exec, exec, s[44:45]
	s_cbranch_execz .LBB9_845
.LBB9_843:                              ; =>This Inner Loop Header: Depth=1
	global_load_ubyte v25, v[0:1], off
	global_load_ubyte v33, v[22:23], off
	s_or_b64 s[48:49], s[48:49], exec
	s_or_b64 s[50:51], s[50:51], exec
	s_waitcnt vmcnt(0)
	v_cmp_lt_u16_sdwa s[56:57], v25, v33 src0_sel:BYTE_0 src1_sel:BYTE_0
	v_cmp_le_u16_sdwa s[58:59], v25, v33 src0_sel:BYTE_0 src1_sel:BYTE_0
	v_cmp_eq_u16_sdwa s[62:63], v25, v33 src0_sel:BYTE_0 src1_sel:BYTE_0
	s_and_saveexec_b64 s[60:61], s[62:63]
	s_cbranch_execz .LBB9_842
; %bb.844:                              ;   in Loop: Header=BB9_843 Depth=1
	s_add_u32 s54, s54, -1
	s_addc_u32 s55, s55, -1
	s_cmp_eq_u64 s[54:55], 0
	s_cselect_b64 s[62:63], -1, 0
	s_andn2_b64 s[50:51], s[50:51], exec
	s_and_b64 s[62:63], s[62:63], exec
	v_lshl_add_u64 v[0:1], v[0:1], 0, 1
	v_lshl_add_u64 v[22:23], v[22:23], 0, 1
	s_andn2_b64 s[48:49], s[48:49], exec
	s_or_b64 s[50:51], s[50:51], s[62:63]
	s_branch .LBB9_842
.LBB9_845:
	s_or_b64 exec, exec, s[44:45]
	s_and_saveexec_b64 s[44:45], s[46:47]
	s_xor_b64 s[44:45], exec, s[44:45]
; %bb.846:
	v_cndmask_b32_e64 v1, v17, v15, s[42:43]
	v_cndmask_b32_e64 v0, v16, v14, s[42:43]
	;; [unrolled: 1-line block ×4, first 2 shown]
	v_mov_b64_e32 v[16:17], v[0:1]
; %bb.847:
	s_or_b64 exec, exec, s[44:45]
.LBB9_848:
	s_or_b64 exec, exec, s[2:3]
	s_and_saveexec_b64 s[2:3], s[16:17]
	s_cbranch_execz .LBB9_857
; %bb.849:
	s_andn2_b64 vcc, exec, s[40:41]
	s_cbranch_vccnz .LBB9_857
; %bb.850:
	v_mov_b64_e32 v[22:23], s[38:39]
	v_mad_u64_u32 v[0:1], s[42:43], v12, s36, v[22:23]
	v_mul_lo_u32 v25, v12, s37
	v_mul_lo_u32 v33, v13, s36
	v_add3_u32 v1, v33, v1, v25
	v_mad_u64_u32 v[22:23], s[42:43], v10, s36, v[22:23]
	v_mul_lo_u32 v25, v10, s37
	v_mul_lo_u32 v33, v11, s36
	v_add3_u32 v23, v33, v23, v25
	s_mov_b64 s[44:45], 0
	s_mov_b64 s[54:55], s[36:37]
                                        ; implicit-def: $sgpr42_sgpr43
                                        ; implicit-def: $sgpr46_sgpr47
                                        ; implicit-def: $sgpr50_sgpr51
                                        ; implicit-def: $sgpr48_sgpr49
                                        ; implicit-def: $sgpr52_sgpr53
	s_branch .LBB9_852
.LBB9_851:                              ;   in Loop: Header=BB9_852 Depth=1
	s_or_b64 exec, exec, s[60:61]
	s_and_b64 s[58:59], s[58:59], s[52:53]
	s_or_b64 s[56:57], s[56:57], s[58:59]
	s_and_b64 s[58:59], exec, s[50:51]
	s_or_b64 s[44:45], s[58:59], s[44:45]
	s_andn2_b64 s[52:53], s[52:53], exec
	s_and_b64 s[56:57], s[56:57], exec
	s_andn2_b64 s[46:47], s[46:47], exec
	s_and_b64 s[58:59], s[48:49], exec
	s_andn2_b64 s[42:43], s[42:43], exec
	s_or_b64 s[52:53], s[52:53], s[56:57]
	s_or_b64 s[46:47], s[46:47], s[58:59]
	;; [unrolled: 1-line block ×3, first 2 shown]
	s_andn2_b64 exec, exec, s[44:45]
	s_cbranch_execz .LBB9_854
.LBB9_852:                              ; =>This Inner Loop Header: Depth=1
	global_load_ubyte v25, v[0:1], off
	global_load_ubyte v33, v[22:23], off
	s_or_b64 s[48:49], s[48:49], exec
	s_or_b64 s[50:51], s[50:51], exec
	s_waitcnt vmcnt(0)
	v_cmp_lt_u16_sdwa s[56:57], v25, v33 src0_sel:BYTE_0 src1_sel:BYTE_0
	v_cmp_le_u16_sdwa s[58:59], v25, v33 src0_sel:BYTE_0 src1_sel:BYTE_0
	v_cmp_eq_u16_sdwa s[62:63], v25, v33 src0_sel:BYTE_0 src1_sel:BYTE_0
	s_and_saveexec_b64 s[60:61], s[62:63]
	s_cbranch_execz .LBB9_851
; %bb.853:                              ;   in Loop: Header=BB9_852 Depth=1
	s_add_u32 s54, s54, -1
	s_addc_u32 s55, s55, -1
	s_cmp_eq_u64 s[54:55], 0
	s_cselect_b64 s[62:63], -1, 0
	s_andn2_b64 s[50:51], s[50:51], exec
	s_and_b64 s[62:63], s[62:63], exec
	v_lshl_add_u64 v[0:1], v[0:1], 0, 1
	v_lshl_add_u64 v[22:23], v[22:23], 0, 1
	s_andn2_b64 s[48:49], s[48:49], exec
	s_or_b64 s[50:51], s[50:51], s[62:63]
	s_branch .LBB9_851
.LBB9_854:
	s_or_b64 exec, exec, s[44:45]
	s_and_saveexec_b64 s[44:45], s[46:47]
	s_xor_b64 s[44:45], exec, s[44:45]
; %bb.855:
	v_cndmask_b32_e64 v1, v11, v13, s[42:43]
	v_cndmask_b32_e64 v0, v10, v12, s[42:43]
	;; [unrolled: 1-line block ×4, first 2 shown]
	v_mov_b64_e32 v[10:11], v[0:1]
; %bb.856:
	s_or_b64 exec, exec, s[44:45]
.LBB9_857:
	s_or_b64 exec, exec, s[2:3]
	s_and_saveexec_b64 s[2:3], s[18:19]
	s_cbranch_execz .LBB9_866
; %bb.858:
	s_andn2_b64 vcc, exec, s[40:41]
	s_cbranch_vccnz .LBB9_866
; %bb.859:
	v_mov_b64_e32 v[22:23], s[38:39]
	v_mad_u64_u32 v[0:1], s[42:43], v8, s36, v[22:23]
	v_mul_lo_u32 v25, v8, s37
	v_mul_lo_u32 v33, v9, s36
	v_add3_u32 v1, v33, v1, v25
	v_mad_u64_u32 v[22:23], s[42:43], v6, s36, v[22:23]
	v_mul_lo_u32 v25, v6, s37
	v_mul_lo_u32 v33, v7, s36
	v_add3_u32 v23, v33, v23, v25
	s_mov_b64 s[44:45], 0
	s_mov_b64 s[54:55], s[36:37]
                                        ; implicit-def: $sgpr42_sgpr43
                                        ; implicit-def: $sgpr46_sgpr47
                                        ; implicit-def: $sgpr50_sgpr51
                                        ; implicit-def: $sgpr48_sgpr49
                                        ; implicit-def: $sgpr52_sgpr53
	s_branch .LBB9_861
.LBB9_860:                              ;   in Loop: Header=BB9_861 Depth=1
	s_or_b64 exec, exec, s[60:61]
	s_and_b64 s[58:59], s[58:59], s[52:53]
	s_or_b64 s[56:57], s[56:57], s[58:59]
	s_and_b64 s[58:59], exec, s[50:51]
	s_or_b64 s[44:45], s[58:59], s[44:45]
	s_andn2_b64 s[52:53], s[52:53], exec
	s_and_b64 s[56:57], s[56:57], exec
	s_andn2_b64 s[46:47], s[46:47], exec
	s_and_b64 s[58:59], s[48:49], exec
	s_andn2_b64 s[42:43], s[42:43], exec
	s_or_b64 s[52:53], s[52:53], s[56:57]
	s_or_b64 s[46:47], s[46:47], s[58:59]
	;; [unrolled: 1-line block ×3, first 2 shown]
	s_andn2_b64 exec, exec, s[44:45]
	s_cbranch_execz .LBB9_863
.LBB9_861:                              ; =>This Inner Loop Header: Depth=1
	global_load_ubyte v25, v[0:1], off
	global_load_ubyte v33, v[22:23], off
	s_or_b64 s[48:49], s[48:49], exec
	s_or_b64 s[50:51], s[50:51], exec
	s_waitcnt vmcnt(0)
	v_cmp_lt_u16_sdwa s[56:57], v25, v33 src0_sel:BYTE_0 src1_sel:BYTE_0
	v_cmp_le_u16_sdwa s[58:59], v25, v33 src0_sel:BYTE_0 src1_sel:BYTE_0
	v_cmp_eq_u16_sdwa s[62:63], v25, v33 src0_sel:BYTE_0 src1_sel:BYTE_0
	s_and_saveexec_b64 s[60:61], s[62:63]
	s_cbranch_execz .LBB9_860
; %bb.862:                              ;   in Loop: Header=BB9_861 Depth=1
	s_add_u32 s54, s54, -1
	s_addc_u32 s55, s55, -1
	s_cmp_eq_u64 s[54:55], 0
	s_cselect_b64 s[62:63], -1, 0
	s_andn2_b64 s[50:51], s[50:51], exec
	s_and_b64 s[62:63], s[62:63], exec
	v_lshl_add_u64 v[0:1], v[0:1], 0, 1
	v_lshl_add_u64 v[22:23], v[22:23], 0, 1
	s_andn2_b64 s[48:49], s[48:49], exec
	s_or_b64 s[50:51], s[50:51], s[62:63]
	s_branch .LBB9_860
.LBB9_863:
	s_or_b64 exec, exec, s[44:45]
	s_and_saveexec_b64 s[44:45], s[46:47]
	s_xor_b64 s[44:45], exec, s[44:45]
; %bb.864:
	v_cndmask_b32_e64 v1, v7, v9, s[42:43]
	v_cndmask_b32_e64 v0, v6, v8, s[42:43]
	;; [unrolled: 1-line block ×4, first 2 shown]
	v_mov_b64_e32 v[6:7], v[0:1]
; %bb.865:
	s_or_b64 exec, exec, s[44:45]
.LBB9_866:
	s_or_b64 exec, exec, s[2:3]
	s_and_saveexec_b64 s[2:3], s[20:21]
	s_cbranch_execz .LBB9_875
; %bb.867:
	s_andn2_b64 vcc, exec, s[40:41]
	s_cbranch_vccnz .LBB9_875
; %bb.868:
	v_mov_b64_e32 v[22:23], s[38:39]
	v_mad_u64_u32 v[0:1], s[42:43], v4, s36, v[22:23]
	v_mul_lo_u32 v25, v4, s37
	v_mul_lo_u32 v33, v5, s36
	v_add3_u32 v1, v33, v1, v25
	v_mad_u64_u32 v[22:23], s[42:43], v2, s36, v[22:23]
	v_mul_lo_u32 v25, v2, s37
	v_mul_lo_u32 v33, v3, s36
	v_add3_u32 v23, v33, v23, v25
	s_mov_b64 s[44:45], 0
	s_mov_b64 s[54:55], s[36:37]
                                        ; implicit-def: $sgpr42_sgpr43
                                        ; implicit-def: $sgpr46_sgpr47
                                        ; implicit-def: $sgpr50_sgpr51
                                        ; implicit-def: $sgpr48_sgpr49
                                        ; implicit-def: $sgpr52_sgpr53
	s_branch .LBB9_870
.LBB9_869:                              ;   in Loop: Header=BB9_870 Depth=1
	s_or_b64 exec, exec, s[60:61]
	s_and_b64 s[58:59], s[58:59], s[52:53]
	s_or_b64 s[56:57], s[56:57], s[58:59]
	s_and_b64 s[58:59], exec, s[50:51]
	s_or_b64 s[44:45], s[58:59], s[44:45]
	s_andn2_b64 s[52:53], s[52:53], exec
	s_and_b64 s[56:57], s[56:57], exec
	s_andn2_b64 s[46:47], s[46:47], exec
	s_and_b64 s[58:59], s[48:49], exec
	s_andn2_b64 s[42:43], s[42:43], exec
	s_or_b64 s[52:53], s[52:53], s[56:57]
	s_or_b64 s[46:47], s[46:47], s[58:59]
	;; [unrolled: 1-line block ×3, first 2 shown]
	s_andn2_b64 exec, exec, s[44:45]
	s_cbranch_execz .LBB9_872
.LBB9_870:                              ; =>This Inner Loop Header: Depth=1
	global_load_ubyte v25, v[0:1], off
	global_load_ubyte v33, v[22:23], off
	s_or_b64 s[48:49], s[48:49], exec
	s_or_b64 s[50:51], s[50:51], exec
	s_waitcnt vmcnt(0)
	v_cmp_lt_u16_sdwa s[56:57], v25, v33 src0_sel:BYTE_0 src1_sel:BYTE_0
	v_cmp_le_u16_sdwa s[58:59], v25, v33 src0_sel:BYTE_0 src1_sel:BYTE_0
	v_cmp_eq_u16_sdwa s[62:63], v25, v33 src0_sel:BYTE_0 src1_sel:BYTE_0
	s_and_saveexec_b64 s[60:61], s[62:63]
	s_cbranch_execz .LBB9_869
; %bb.871:                              ;   in Loop: Header=BB9_870 Depth=1
	s_add_u32 s54, s54, -1
	s_addc_u32 s55, s55, -1
	s_cmp_eq_u64 s[54:55], 0
	s_cselect_b64 s[62:63], -1, 0
	s_andn2_b64 s[50:51], s[50:51], exec
	s_and_b64 s[62:63], s[62:63], exec
	v_lshl_add_u64 v[0:1], v[0:1], 0, 1
	v_lshl_add_u64 v[22:23], v[22:23], 0, 1
	s_andn2_b64 s[48:49], s[48:49], exec
	s_or_b64 s[50:51], s[50:51], s[62:63]
	s_branch .LBB9_869
.LBB9_872:
	s_or_b64 exec, exec, s[44:45]
	s_and_saveexec_b64 s[44:45], s[46:47]
	s_xor_b64 s[44:45], exec, s[44:45]
; %bb.873:
	v_cndmask_b32_e64 v1, v3, v5, s[42:43]
	v_cndmask_b32_e64 v0, v2, v4, s[42:43]
	;; [unrolled: 1-line block ×4, first 2 shown]
	v_mov_b64_e32 v[2:3], v[0:1]
; %bb.874:
	s_or_b64 exec, exec, s[44:45]
.LBB9_875:
	s_or_b64 exec, exec, s[2:3]
	s_and_saveexec_b64 s[2:3], s[22:23]
	s_cbranch_execz .LBB9_884
; %bb.876:
	s_andn2_b64 vcc, exec, s[40:41]
	s_cbranch_vccnz .LBB9_884
; %bb.877:
	v_mov_b64_e32 v[22:23], s[38:39]
	v_mad_u64_u32 v[0:1], s[42:43], v10, s36, v[22:23]
	v_mul_lo_u32 v25, v10, s37
	v_mul_lo_u32 v33, v11, s36
	v_add3_u32 v1, v33, v1, v25
	v_mad_u64_u32 v[22:23], s[42:43], v16, s36, v[22:23]
	v_mul_lo_u32 v25, v16, s37
	v_mul_lo_u32 v33, v17, s36
	v_add3_u32 v23, v33, v23, v25
	s_mov_b64 s[44:45], 0
	s_mov_b64 s[54:55], s[36:37]
                                        ; implicit-def: $sgpr42_sgpr43
                                        ; implicit-def: $sgpr46_sgpr47
                                        ; implicit-def: $sgpr50_sgpr51
                                        ; implicit-def: $sgpr48_sgpr49
                                        ; implicit-def: $sgpr52_sgpr53
	s_branch .LBB9_879
.LBB9_878:                              ;   in Loop: Header=BB9_879 Depth=1
	s_or_b64 exec, exec, s[60:61]
	s_and_b64 s[58:59], s[58:59], s[52:53]
	s_or_b64 s[56:57], s[56:57], s[58:59]
	s_and_b64 s[58:59], exec, s[50:51]
	s_or_b64 s[44:45], s[58:59], s[44:45]
	s_andn2_b64 s[52:53], s[52:53], exec
	s_and_b64 s[56:57], s[56:57], exec
	s_andn2_b64 s[46:47], s[46:47], exec
	s_and_b64 s[58:59], s[48:49], exec
	s_andn2_b64 s[42:43], s[42:43], exec
	s_or_b64 s[52:53], s[52:53], s[56:57]
	s_or_b64 s[46:47], s[46:47], s[58:59]
	;; [unrolled: 1-line block ×3, first 2 shown]
	s_andn2_b64 exec, exec, s[44:45]
	s_cbranch_execz .LBB9_881
.LBB9_879:                              ; =>This Inner Loop Header: Depth=1
	global_load_ubyte v25, v[0:1], off
	global_load_ubyte v33, v[22:23], off
	s_or_b64 s[48:49], s[48:49], exec
	s_or_b64 s[50:51], s[50:51], exec
	s_waitcnt vmcnt(0)
	v_cmp_lt_u16_sdwa s[56:57], v25, v33 src0_sel:BYTE_0 src1_sel:BYTE_0
	v_cmp_le_u16_sdwa s[58:59], v25, v33 src0_sel:BYTE_0 src1_sel:BYTE_0
	v_cmp_eq_u16_sdwa s[62:63], v25, v33 src0_sel:BYTE_0 src1_sel:BYTE_0
	s_and_saveexec_b64 s[60:61], s[62:63]
	s_cbranch_execz .LBB9_878
; %bb.880:                              ;   in Loop: Header=BB9_879 Depth=1
	s_add_u32 s54, s54, -1
	s_addc_u32 s55, s55, -1
	s_cmp_eq_u64 s[54:55], 0
	s_cselect_b64 s[62:63], -1, 0
	s_andn2_b64 s[50:51], s[50:51], exec
	s_and_b64 s[62:63], s[62:63], exec
	v_lshl_add_u64 v[0:1], v[0:1], 0, 1
	v_lshl_add_u64 v[22:23], v[22:23], 0, 1
	s_andn2_b64 s[48:49], s[48:49], exec
	s_or_b64 s[50:51], s[50:51], s[62:63]
	s_branch .LBB9_878
.LBB9_881:
	s_or_b64 exec, exec, s[44:45]
	s_and_saveexec_b64 s[44:45], s[46:47]
	s_xor_b64 s[44:45], exec, s[44:45]
; %bb.882:
	v_cndmask_b32_e64 v1, v17, v11, s[42:43]
	v_cndmask_b32_e64 v0, v16, v10, s[42:43]
	;; [unrolled: 1-line block ×4, first 2 shown]
	v_mov_b64_e32 v[16:17], v[0:1]
; %bb.883:
	s_or_b64 exec, exec, s[44:45]
.LBB9_884:
	s_or_b64 exec, exec, s[2:3]
	s_and_saveexec_b64 s[2:3], s[24:25]
	s_cbranch_execz .LBB9_893
; %bb.885:
	s_andn2_b64 vcc, exec, s[40:41]
	s_cbranch_vccnz .LBB9_893
; %bb.886:
	v_mov_b64_e32 v[22:23], s[38:39]
	v_mad_u64_u32 v[0:1], s[42:43], v6, s36, v[22:23]
	v_mul_lo_u32 v25, v6, s37
	v_mul_lo_u32 v33, v7, s36
	v_add3_u32 v1, v33, v1, v25
	v_mad_u64_u32 v[22:23], s[42:43], v12, s36, v[22:23]
	v_mul_lo_u32 v25, v12, s37
	v_mul_lo_u32 v33, v13, s36
	v_add3_u32 v23, v33, v23, v25
	s_mov_b64 s[44:45], 0
	s_mov_b64 s[54:55], s[36:37]
                                        ; implicit-def: $sgpr42_sgpr43
                                        ; implicit-def: $sgpr46_sgpr47
                                        ; implicit-def: $sgpr50_sgpr51
                                        ; implicit-def: $sgpr48_sgpr49
                                        ; implicit-def: $sgpr52_sgpr53
	s_branch .LBB9_888
.LBB9_887:                              ;   in Loop: Header=BB9_888 Depth=1
	s_or_b64 exec, exec, s[60:61]
	s_and_b64 s[58:59], s[58:59], s[52:53]
	s_or_b64 s[56:57], s[56:57], s[58:59]
	s_and_b64 s[58:59], exec, s[50:51]
	s_or_b64 s[44:45], s[58:59], s[44:45]
	s_andn2_b64 s[52:53], s[52:53], exec
	s_and_b64 s[56:57], s[56:57], exec
	s_andn2_b64 s[46:47], s[46:47], exec
	s_and_b64 s[58:59], s[48:49], exec
	s_andn2_b64 s[42:43], s[42:43], exec
	s_or_b64 s[52:53], s[52:53], s[56:57]
	s_or_b64 s[46:47], s[46:47], s[58:59]
	;; [unrolled: 1-line block ×3, first 2 shown]
	s_andn2_b64 exec, exec, s[44:45]
	s_cbranch_execz .LBB9_890
.LBB9_888:                              ; =>This Inner Loop Header: Depth=1
	global_load_ubyte v25, v[0:1], off
	global_load_ubyte v33, v[22:23], off
	s_or_b64 s[48:49], s[48:49], exec
	s_or_b64 s[50:51], s[50:51], exec
	s_waitcnt vmcnt(0)
	v_cmp_lt_u16_sdwa s[56:57], v25, v33 src0_sel:BYTE_0 src1_sel:BYTE_0
	v_cmp_le_u16_sdwa s[58:59], v25, v33 src0_sel:BYTE_0 src1_sel:BYTE_0
	v_cmp_eq_u16_sdwa s[62:63], v25, v33 src0_sel:BYTE_0 src1_sel:BYTE_0
	s_and_saveexec_b64 s[60:61], s[62:63]
	s_cbranch_execz .LBB9_887
; %bb.889:                              ;   in Loop: Header=BB9_888 Depth=1
	s_add_u32 s54, s54, -1
	s_addc_u32 s55, s55, -1
	s_cmp_eq_u64 s[54:55], 0
	s_cselect_b64 s[62:63], -1, 0
	s_andn2_b64 s[50:51], s[50:51], exec
	s_and_b64 s[62:63], s[62:63], exec
	v_lshl_add_u64 v[0:1], v[0:1], 0, 1
	v_lshl_add_u64 v[22:23], v[22:23], 0, 1
	s_andn2_b64 s[48:49], s[48:49], exec
	s_or_b64 s[50:51], s[50:51], s[62:63]
	s_branch .LBB9_887
.LBB9_890:
	s_or_b64 exec, exec, s[44:45]
	s_and_saveexec_b64 s[44:45], s[46:47]
	s_xor_b64 s[44:45], exec, s[44:45]
; %bb.891:
	v_cndmask_b32_e64 v1, v13, v7, s[42:43]
	v_cndmask_b32_e64 v0, v12, v6, s[42:43]
	;; [unrolled: 1-line block ×4, first 2 shown]
	v_mov_b64_e32 v[12:13], v[0:1]
; %bb.892:
	s_or_b64 exec, exec, s[44:45]
.LBB9_893:
	s_or_b64 exec, exec, s[2:3]
	s_and_saveexec_b64 s[2:3], s[26:27]
	s_cbranch_execz .LBB9_902
; %bb.894:
	s_andn2_b64 vcc, exec, s[40:41]
	s_cbranch_vccnz .LBB9_902
; %bb.895:
	v_mov_b64_e32 v[22:23], s[38:39]
	v_mad_u64_u32 v[0:1], s[42:43], v2, s36, v[22:23]
	v_mul_lo_u32 v25, v2, s37
	v_mul_lo_u32 v33, v3, s36
	v_add3_u32 v1, v33, v1, v25
	v_mad_u64_u32 v[22:23], s[42:43], v8, s36, v[22:23]
	v_mul_lo_u32 v25, v8, s37
	v_mul_lo_u32 v33, v9, s36
	v_add3_u32 v23, v33, v23, v25
	s_mov_b64 s[44:45], 0
	s_mov_b64 s[54:55], s[36:37]
                                        ; implicit-def: $sgpr42_sgpr43
                                        ; implicit-def: $sgpr46_sgpr47
                                        ; implicit-def: $sgpr50_sgpr51
                                        ; implicit-def: $sgpr48_sgpr49
                                        ; implicit-def: $sgpr52_sgpr53
	s_branch .LBB9_897
.LBB9_896:                              ;   in Loop: Header=BB9_897 Depth=1
	s_or_b64 exec, exec, s[60:61]
	s_and_b64 s[58:59], s[58:59], s[52:53]
	s_or_b64 s[56:57], s[56:57], s[58:59]
	s_and_b64 s[58:59], exec, s[50:51]
	s_or_b64 s[44:45], s[58:59], s[44:45]
	s_andn2_b64 s[52:53], s[52:53], exec
	s_and_b64 s[56:57], s[56:57], exec
	s_andn2_b64 s[46:47], s[46:47], exec
	s_and_b64 s[58:59], s[48:49], exec
	s_andn2_b64 s[42:43], s[42:43], exec
	s_or_b64 s[52:53], s[52:53], s[56:57]
	s_or_b64 s[46:47], s[46:47], s[58:59]
	;; [unrolled: 1-line block ×3, first 2 shown]
	s_andn2_b64 exec, exec, s[44:45]
	s_cbranch_execz .LBB9_899
.LBB9_897:                              ; =>This Inner Loop Header: Depth=1
	global_load_ubyte v25, v[0:1], off
	global_load_ubyte v33, v[22:23], off
	s_or_b64 s[48:49], s[48:49], exec
	s_or_b64 s[50:51], s[50:51], exec
	s_waitcnt vmcnt(0)
	v_cmp_lt_u16_sdwa s[56:57], v25, v33 src0_sel:BYTE_0 src1_sel:BYTE_0
	v_cmp_le_u16_sdwa s[58:59], v25, v33 src0_sel:BYTE_0 src1_sel:BYTE_0
	v_cmp_eq_u16_sdwa s[62:63], v25, v33 src0_sel:BYTE_0 src1_sel:BYTE_0
	s_and_saveexec_b64 s[60:61], s[62:63]
	s_cbranch_execz .LBB9_896
; %bb.898:                              ;   in Loop: Header=BB9_897 Depth=1
	s_add_u32 s54, s54, -1
	s_addc_u32 s55, s55, -1
	s_cmp_eq_u64 s[54:55], 0
	s_cselect_b64 s[62:63], -1, 0
	s_andn2_b64 s[50:51], s[50:51], exec
	s_and_b64 s[62:63], s[62:63], exec
	v_lshl_add_u64 v[0:1], v[0:1], 0, 1
	v_lshl_add_u64 v[22:23], v[22:23], 0, 1
	s_andn2_b64 s[48:49], s[48:49], exec
	s_or_b64 s[50:51], s[50:51], s[62:63]
	s_branch .LBB9_896
.LBB9_899:
	s_or_b64 exec, exec, s[44:45]
	s_and_saveexec_b64 s[44:45], s[46:47]
	s_xor_b64 s[44:45], exec, s[44:45]
; %bb.900:
	v_cndmask_b32_e64 v1, v9, v3, s[42:43]
	v_cndmask_b32_e64 v0, v8, v2, s[42:43]
	;; [unrolled: 1-line block ×4, first 2 shown]
	v_mov_b64_e32 v[8:9], v[0:1]
; %bb.901:
	s_or_b64 exec, exec, s[44:45]
.LBB9_902:
	s_or_b64 exec, exec, s[2:3]
	s_and_saveexec_b64 s[2:3], s[14:15]
	s_cbranch_execz .LBB9_911
; %bb.903:
	s_andn2_b64 vcc, exec, s[40:41]
	s_cbranch_vccnz .LBB9_911
; %bb.904:
	v_mov_b64_e32 v[22:23], s[38:39]
	v_mad_u64_u32 v[0:1], s[14:15], v16, s36, v[22:23]
	v_mul_lo_u32 v25, v16, s37
	v_mul_lo_u32 v33, v17, s36
	v_add3_u32 v1, v33, v1, v25
	v_mad_u64_u32 v[22:23], s[14:15], v14, s36, v[22:23]
	v_mul_lo_u32 v25, v14, s37
	v_mul_lo_u32 v33, v15, s36
	v_add3_u32 v23, v33, v23, v25
	s_mov_b64 s[42:43], 0
	s_mov_b64 s[52:53], s[36:37]
                                        ; implicit-def: $sgpr14_sgpr15
                                        ; implicit-def: $sgpr44_sgpr45
                                        ; implicit-def: $sgpr48_sgpr49
                                        ; implicit-def: $sgpr46_sgpr47
                                        ; implicit-def: $sgpr50_sgpr51
	s_branch .LBB9_906
.LBB9_905:                              ;   in Loop: Header=BB9_906 Depth=1
	s_or_b64 exec, exec, s[58:59]
	s_and_b64 s[56:57], s[56:57], s[50:51]
	s_or_b64 s[54:55], s[54:55], s[56:57]
	s_and_b64 s[56:57], exec, s[48:49]
	s_or_b64 s[42:43], s[56:57], s[42:43]
	s_andn2_b64 s[50:51], s[50:51], exec
	s_and_b64 s[54:55], s[54:55], exec
	s_andn2_b64 s[44:45], s[44:45], exec
	s_and_b64 s[56:57], s[46:47], exec
	s_andn2_b64 s[14:15], s[14:15], exec
	s_or_b64 s[50:51], s[50:51], s[54:55]
	s_or_b64 s[44:45], s[44:45], s[56:57]
	;; [unrolled: 1-line block ×3, first 2 shown]
	s_andn2_b64 exec, exec, s[42:43]
	s_cbranch_execz .LBB9_908
.LBB9_906:                              ; =>This Inner Loop Header: Depth=1
	global_load_ubyte v25, v[0:1], off
	global_load_ubyte v33, v[22:23], off
	s_or_b64 s[46:47], s[46:47], exec
	s_or_b64 s[48:49], s[48:49], exec
	s_waitcnt vmcnt(0)
	v_cmp_lt_u16_sdwa s[54:55], v25, v33 src0_sel:BYTE_0 src1_sel:BYTE_0
	v_cmp_le_u16_sdwa s[56:57], v25, v33 src0_sel:BYTE_0 src1_sel:BYTE_0
	v_cmp_eq_u16_sdwa s[60:61], v25, v33 src0_sel:BYTE_0 src1_sel:BYTE_0
	s_and_saveexec_b64 s[58:59], s[60:61]
	s_cbranch_execz .LBB9_905
; %bb.907:                              ;   in Loop: Header=BB9_906 Depth=1
	s_add_u32 s52, s52, -1
	s_addc_u32 s53, s53, -1
	s_cmp_eq_u64 s[52:53], 0
	s_cselect_b64 s[60:61], -1, 0
	s_andn2_b64 s[48:49], s[48:49], exec
	s_and_b64 s[60:61], s[60:61], exec
	v_lshl_add_u64 v[0:1], v[0:1], 0, 1
	v_lshl_add_u64 v[22:23], v[22:23], 0, 1
	s_andn2_b64 s[46:47], s[46:47], exec
	s_or_b64 s[48:49], s[48:49], s[60:61]
	s_branch .LBB9_905
.LBB9_908:
	s_or_b64 exec, exec, s[42:43]
	s_and_saveexec_b64 s[42:43], s[44:45]
	s_xor_b64 s[42:43], exec, s[42:43]
; %bb.909:
	v_cndmask_b32_e64 v1, v17, v15, s[14:15]
	v_cndmask_b32_e64 v0, v16, v14, s[14:15]
	;; [unrolled: 1-line block ×4, first 2 shown]
	v_mov_b64_e32 v[16:17], v[0:1]
; %bb.910:
	s_or_b64 exec, exec, s[42:43]
.LBB9_911:
	s_or_b64 exec, exec, s[2:3]
	s_and_saveexec_b64 s[2:3], s[16:17]
	s_cbranch_execz .LBB9_920
; %bb.912:
	s_andn2_b64 vcc, exec, s[40:41]
	s_cbranch_vccnz .LBB9_920
; %bb.913:
	v_mov_b64_e32 v[22:23], s[38:39]
	v_mad_u64_u32 v[0:1], s[14:15], v12, s36, v[22:23]
	v_mul_lo_u32 v25, v12, s37
	v_mul_lo_u32 v33, v13, s36
	v_add3_u32 v1, v33, v1, v25
	v_mad_u64_u32 v[22:23], s[14:15], v10, s36, v[22:23]
	v_mul_lo_u32 v25, v10, s37
	v_mul_lo_u32 v33, v11, s36
	v_add3_u32 v23, v33, v23, v25
	s_mov_b64 s[16:17], 0
	s_mov_b64 s[50:51], s[36:37]
                                        ; implicit-def: $sgpr14_sgpr15
                                        ; implicit-def: $sgpr42_sgpr43
                                        ; implicit-def: $sgpr46_sgpr47
                                        ; implicit-def: $sgpr44_sgpr45
                                        ; implicit-def: $sgpr48_sgpr49
	s_branch .LBB9_915
.LBB9_914:                              ;   in Loop: Header=BB9_915 Depth=1
	s_or_b64 exec, exec, s[56:57]
	s_and_b64 s[54:55], s[54:55], s[48:49]
	s_or_b64 s[52:53], s[52:53], s[54:55]
	s_and_b64 s[54:55], exec, s[46:47]
	s_or_b64 s[16:17], s[54:55], s[16:17]
	s_andn2_b64 s[48:49], s[48:49], exec
	s_and_b64 s[52:53], s[52:53], exec
	s_andn2_b64 s[42:43], s[42:43], exec
	s_and_b64 s[54:55], s[44:45], exec
	s_andn2_b64 s[14:15], s[14:15], exec
	s_or_b64 s[48:49], s[48:49], s[52:53]
	s_or_b64 s[42:43], s[42:43], s[54:55]
	;; [unrolled: 1-line block ×3, first 2 shown]
	s_andn2_b64 exec, exec, s[16:17]
	s_cbranch_execz .LBB9_917
.LBB9_915:                              ; =>This Inner Loop Header: Depth=1
	global_load_ubyte v25, v[0:1], off
	global_load_ubyte v33, v[22:23], off
	s_or_b64 s[44:45], s[44:45], exec
	s_or_b64 s[46:47], s[46:47], exec
	s_waitcnt vmcnt(0)
	v_cmp_lt_u16_sdwa s[52:53], v25, v33 src0_sel:BYTE_0 src1_sel:BYTE_0
	v_cmp_le_u16_sdwa s[54:55], v25, v33 src0_sel:BYTE_0 src1_sel:BYTE_0
	v_cmp_eq_u16_sdwa s[58:59], v25, v33 src0_sel:BYTE_0 src1_sel:BYTE_0
	s_and_saveexec_b64 s[56:57], s[58:59]
	s_cbranch_execz .LBB9_914
; %bb.916:                              ;   in Loop: Header=BB9_915 Depth=1
	s_add_u32 s50, s50, -1
	s_addc_u32 s51, s51, -1
	s_cmp_eq_u64 s[50:51], 0
	s_cselect_b64 s[58:59], -1, 0
	s_andn2_b64 s[46:47], s[46:47], exec
	s_and_b64 s[58:59], s[58:59], exec
	v_lshl_add_u64 v[0:1], v[0:1], 0, 1
	v_lshl_add_u64 v[22:23], v[22:23], 0, 1
	s_andn2_b64 s[44:45], s[44:45], exec
	s_or_b64 s[46:47], s[46:47], s[58:59]
	s_branch .LBB9_914
.LBB9_917:
	s_or_b64 exec, exec, s[16:17]
	s_and_saveexec_b64 s[16:17], s[42:43]
	s_xor_b64 s[16:17], exec, s[16:17]
; %bb.918:
	v_cndmask_b32_e64 v1, v11, v13, s[14:15]
	v_cndmask_b32_e64 v0, v10, v12, s[14:15]
	;; [unrolled: 1-line block ×4, first 2 shown]
	v_mov_b64_e32 v[10:11], v[0:1]
; %bb.919:
	s_or_b64 exec, exec, s[16:17]
.LBB9_920:
	s_or_b64 exec, exec, s[2:3]
	s_and_saveexec_b64 s[2:3], s[18:19]
	s_cbranch_execz .LBB9_929
; %bb.921:
	s_andn2_b64 vcc, exec, s[40:41]
	s_cbranch_vccnz .LBB9_929
; %bb.922:
	v_mov_b64_e32 v[22:23], s[38:39]
	v_mad_u64_u32 v[0:1], s[14:15], v8, s36, v[22:23]
	v_mul_lo_u32 v25, v8, s37
	v_mul_lo_u32 v33, v9, s36
	v_add3_u32 v1, v33, v1, v25
	v_mad_u64_u32 v[22:23], s[14:15], v6, s36, v[22:23]
	v_mul_lo_u32 v25, v6, s37
	v_mul_lo_u32 v33, v7, s36
	v_add3_u32 v23, v33, v23, v25
	s_mov_b64 s[16:17], 0
	s_mov_b64 s[48:49], s[36:37]
                                        ; implicit-def: $sgpr14_sgpr15
                                        ; implicit-def: $sgpr18_sgpr19
                                        ; implicit-def: $sgpr44_sgpr45
                                        ; implicit-def: $sgpr42_sgpr43
                                        ; implicit-def: $sgpr46_sgpr47
	s_branch .LBB9_924
.LBB9_923:                              ;   in Loop: Header=BB9_924 Depth=1
	s_or_b64 exec, exec, s[54:55]
	s_and_b64 s[52:53], s[52:53], s[46:47]
	s_or_b64 s[50:51], s[50:51], s[52:53]
	s_and_b64 s[52:53], exec, s[44:45]
	s_or_b64 s[16:17], s[52:53], s[16:17]
	s_andn2_b64 s[46:47], s[46:47], exec
	s_and_b64 s[50:51], s[50:51], exec
	s_andn2_b64 s[18:19], s[18:19], exec
	s_and_b64 s[52:53], s[42:43], exec
	s_andn2_b64 s[14:15], s[14:15], exec
	s_or_b64 s[46:47], s[46:47], s[50:51]
	s_or_b64 s[18:19], s[18:19], s[52:53]
	;; [unrolled: 1-line block ×3, first 2 shown]
	s_andn2_b64 exec, exec, s[16:17]
	s_cbranch_execz .LBB9_926
.LBB9_924:                              ; =>This Inner Loop Header: Depth=1
	global_load_ubyte v25, v[0:1], off
	global_load_ubyte v33, v[22:23], off
	s_or_b64 s[42:43], s[42:43], exec
	s_or_b64 s[44:45], s[44:45], exec
	s_waitcnt vmcnt(0)
	v_cmp_lt_u16_sdwa s[50:51], v25, v33 src0_sel:BYTE_0 src1_sel:BYTE_0
	v_cmp_le_u16_sdwa s[52:53], v25, v33 src0_sel:BYTE_0 src1_sel:BYTE_0
	v_cmp_eq_u16_sdwa s[56:57], v25, v33 src0_sel:BYTE_0 src1_sel:BYTE_0
	s_and_saveexec_b64 s[54:55], s[56:57]
	s_cbranch_execz .LBB9_923
; %bb.925:                              ;   in Loop: Header=BB9_924 Depth=1
	s_add_u32 s48, s48, -1
	s_addc_u32 s49, s49, -1
	s_cmp_eq_u64 s[48:49], 0
	s_cselect_b64 s[56:57], -1, 0
	s_andn2_b64 s[44:45], s[44:45], exec
	s_and_b64 s[56:57], s[56:57], exec
	v_lshl_add_u64 v[0:1], v[0:1], 0, 1
	v_lshl_add_u64 v[22:23], v[22:23], 0, 1
	s_andn2_b64 s[42:43], s[42:43], exec
	s_or_b64 s[44:45], s[44:45], s[56:57]
	s_branch .LBB9_923
.LBB9_926:
	s_or_b64 exec, exec, s[16:17]
	s_and_saveexec_b64 s[16:17], s[18:19]
	s_xor_b64 s[16:17], exec, s[16:17]
; %bb.927:
	v_cndmask_b32_e64 v1, v7, v9, s[14:15]
	v_cndmask_b32_e64 v0, v6, v8, s[14:15]
	;; [unrolled: 1-line block ×4, first 2 shown]
	v_mov_b64_e32 v[6:7], v[0:1]
; %bb.928:
	s_or_b64 exec, exec, s[16:17]
.LBB9_929:
	s_or_b64 exec, exec, s[2:3]
	s_and_saveexec_b64 s[2:3], s[20:21]
	s_cbranch_execz .LBB9_938
; %bb.930:
	s_andn2_b64 vcc, exec, s[40:41]
	s_cbranch_vccnz .LBB9_938
; %bb.931:
	v_mov_b64_e32 v[22:23], s[38:39]
	v_mad_u64_u32 v[0:1], s[14:15], v4, s36, v[22:23]
	v_mul_lo_u32 v25, v4, s37
	v_mul_lo_u32 v33, v5, s36
	v_add3_u32 v1, v33, v1, v25
	v_mad_u64_u32 v[22:23], s[14:15], v2, s36, v[22:23]
	v_mul_lo_u32 v25, v2, s37
	v_mul_lo_u32 v33, v3, s36
	v_add3_u32 v23, v33, v23, v25
	s_mov_b64 s[16:17], 0
	s_mov_b64 s[46:47], s[36:37]
                                        ; implicit-def: $sgpr14_sgpr15
                                        ; implicit-def: $sgpr18_sgpr19
                                        ; implicit-def: $sgpr42_sgpr43
                                        ; implicit-def: $sgpr20_sgpr21
                                        ; implicit-def: $sgpr44_sgpr45
	s_branch .LBB9_933
.LBB9_932:                              ;   in Loop: Header=BB9_933 Depth=1
	s_or_b64 exec, exec, s[52:53]
	s_and_b64 s[50:51], s[50:51], s[44:45]
	s_or_b64 s[48:49], s[48:49], s[50:51]
	s_and_b64 s[50:51], exec, s[42:43]
	s_or_b64 s[16:17], s[50:51], s[16:17]
	s_andn2_b64 s[44:45], s[44:45], exec
	s_and_b64 s[48:49], s[48:49], exec
	s_andn2_b64 s[18:19], s[18:19], exec
	s_and_b64 s[50:51], s[20:21], exec
	s_andn2_b64 s[14:15], s[14:15], exec
	s_or_b64 s[44:45], s[44:45], s[48:49]
	s_or_b64 s[18:19], s[18:19], s[50:51]
	;; [unrolled: 1-line block ×3, first 2 shown]
	s_andn2_b64 exec, exec, s[16:17]
	s_cbranch_execz .LBB9_935
.LBB9_933:                              ; =>This Inner Loop Header: Depth=1
	global_load_ubyte v25, v[0:1], off
	global_load_ubyte v33, v[22:23], off
	s_or_b64 s[20:21], s[20:21], exec
	s_or_b64 s[42:43], s[42:43], exec
	s_waitcnt vmcnt(0)
	v_cmp_lt_u16_sdwa s[48:49], v25, v33 src0_sel:BYTE_0 src1_sel:BYTE_0
	v_cmp_le_u16_sdwa s[50:51], v25, v33 src0_sel:BYTE_0 src1_sel:BYTE_0
	v_cmp_eq_u16_sdwa s[54:55], v25, v33 src0_sel:BYTE_0 src1_sel:BYTE_0
	s_and_saveexec_b64 s[52:53], s[54:55]
	s_cbranch_execz .LBB9_932
; %bb.934:                              ;   in Loop: Header=BB9_933 Depth=1
	s_add_u32 s46, s46, -1
	s_addc_u32 s47, s47, -1
	s_cmp_eq_u64 s[46:47], 0
	s_cselect_b64 s[54:55], -1, 0
	s_andn2_b64 s[42:43], s[42:43], exec
	s_and_b64 s[54:55], s[54:55], exec
	v_lshl_add_u64 v[0:1], v[0:1], 0, 1
	v_lshl_add_u64 v[22:23], v[22:23], 0, 1
	s_andn2_b64 s[20:21], s[20:21], exec
	s_or_b64 s[42:43], s[42:43], s[54:55]
	s_branch .LBB9_932
.LBB9_935:
	s_or_b64 exec, exec, s[16:17]
	s_and_saveexec_b64 s[16:17], s[18:19]
	s_xor_b64 s[16:17], exec, s[16:17]
; %bb.936:
	v_cndmask_b32_e64 v1, v3, v5, s[14:15]
	v_cndmask_b32_e64 v0, v2, v4, s[14:15]
	;; [unrolled: 1-line block ×4, first 2 shown]
	v_mov_b64_e32 v[2:3], v[0:1]
; %bb.937:
	s_or_b64 exec, exec, s[16:17]
.LBB9_938:
	s_or_b64 exec, exec, s[2:3]
	s_and_saveexec_b64 s[2:3], s[22:23]
	s_cbranch_execz .LBB9_947
; %bb.939:
	s_andn2_b64 vcc, exec, s[40:41]
	s_cbranch_vccnz .LBB9_947
; %bb.940:
	v_mov_b64_e32 v[22:23], s[38:39]
	v_mad_u64_u32 v[0:1], s[14:15], v10, s36, v[22:23]
	v_mul_lo_u32 v25, v10, s37
	v_mul_lo_u32 v33, v11, s36
	v_add3_u32 v1, v33, v1, v25
	v_mad_u64_u32 v[22:23], s[14:15], v16, s36, v[22:23]
	v_mul_lo_u32 v25, v16, s37
	v_mul_lo_u32 v33, v17, s36
	v_add3_u32 v23, v33, v23, v25
	s_mov_b64 s[16:17], 0
	s_mov_b64 s[44:45], s[36:37]
                                        ; implicit-def: $sgpr14_sgpr15
                                        ; implicit-def: $sgpr18_sgpr19
                                        ; implicit-def: $sgpr22_sgpr23
                                        ; implicit-def: $sgpr20_sgpr21
                                        ; implicit-def: $sgpr42_sgpr43
	s_branch .LBB9_942
.LBB9_941:                              ;   in Loop: Header=BB9_942 Depth=1
	s_or_b64 exec, exec, s[50:51]
	s_and_b64 s[48:49], s[48:49], s[42:43]
	s_or_b64 s[46:47], s[46:47], s[48:49]
	s_and_b64 s[48:49], exec, s[22:23]
	s_or_b64 s[16:17], s[48:49], s[16:17]
	s_andn2_b64 s[42:43], s[42:43], exec
	s_and_b64 s[46:47], s[46:47], exec
	s_andn2_b64 s[18:19], s[18:19], exec
	s_and_b64 s[48:49], s[20:21], exec
	s_andn2_b64 s[14:15], s[14:15], exec
	s_or_b64 s[42:43], s[42:43], s[46:47]
	s_or_b64 s[18:19], s[18:19], s[48:49]
	;; [unrolled: 1-line block ×3, first 2 shown]
	s_andn2_b64 exec, exec, s[16:17]
	s_cbranch_execz .LBB9_944
.LBB9_942:                              ; =>This Inner Loop Header: Depth=1
	global_load_ubyte v25, v[0:1], off
	global_load_ubyte v33, v[22:23], off
	s_or_b64 s[20:21], s[20:21], exec
	s_or_b64 s[22:23], s[22:23], exec
	s_waitcnt vmcnt(0)
	v_cmp_lt_u16_sdwa s[46:47], v25, v33 src0_sel:BYTE_0 src1_sel:BYTE_0
	v_cmp_le_u16_sdwa s[48:49], v25, v33 src0_sel:BYTE_0 src1_sel:BYTE_0
	v_cmp_eq_u16_sdwa s[52:53], v25, v33 src0_sel:BYTE_0 src1_sel:BYTE_0
	s_and_saveexec_b64 s[50:51], s[52:53]
	s_cbranch_execz .LBB9_941
; %bb.943:                              ;   in Loop: Header=BB9_942 Depth=1
	s_add_u32 s44, s44, -1
	s_addc_u32 s45, s45, -1
	s_cmp_eq_u64 s[44:45], 0
	s_cselect_b64 s[52:53], -1, 0
	s_andn2_b64 s[22:23], s[22:23], exec
	s_and_b64 s[52:53], s[52:53], exec
	v_lshl_add_u64 v[0:1], v[0:1], 0, 1
	v_lshl_add_u64 v[22:23], v[22:23], 0, 1
	s_andn2_b64 s[20:21], s[20:21], exec
	s_or_b64 s[22:23], s[22:23], s[52:53]
	s_branch .LBB9_941
.LBB9_944:
	s_or_b64 exec, exec, s[16:17]
	s_and_saveexec_b64 s[16:17], s[18:19]
	s_xor_b64 s[16:17], exec, s[16:17]
; %bb.945:
	v_cndmask_b32_e64 v1, v17, v11, s[14:15]
	v_cndmask_b32_e64 v0, v16, v10, s[14:15]
	;; [unrolled: 1-line block ×4, first 2 shown]
	v_mov_b64_e32 v[16:17], v[0:1]
; %bb.946:
	s_or_b64 exec, exec, s[16:17]
.LBB9_947:
	s_or_b64 exec, exec, s[2:3]
	s_and_saveexec_b64 s[2:3], s[24:25]
	s_cbranch_execz .LBB9_956
; %bb.948:
	s_andn2_b64 vcc, exec, s[40:41]
	s_cbranch_vccnz .LBB9_956
; %bb.949:
	v_mov_b64_e32 v[22:23], s[38:39]
	v_mad_u64_u32 v[0:1], s[14:15], v6, s36, v[22:23]
	v_mul_lo_u32 v25, v6, s37
	v_mul_lo_u32 v33, v7, s36
	v_add3_u32 v1, v33, v1, v25
	v_mad_u64_u32 v[22:23], s[14:15], v12, s36, v[22:23]
	v_mul_lo_u32 v25, v12, s37
	v_mul_lo_u32 v33, v13, s36
	v_add3_u32 v23, v33, v23, v25
	s_mov_b64 s[16:17], 0
	s_mov_b64 s[42:43], s[36:37]
                                        ; implicit-def: $sgpr14_sgpr15
                                        ; implicit-def: $sgpr18_sgpr19
                                        ; implicit-def: $sgpr22_sgpr23
                                        ; implicit-def: $sgpr20_sgpr21
                                        ; implicit-def: $sgpr24_sgpr25
	s_branch .LBB9_951
.LBB9_950:                              ;   in Loop: Header=BB9_951 Depth=1
	s_or_b64 exec, exec, s[48:49]
	s_and_b64 s[46:47], s[46:47], s[24:25]
	s_or_b64 s[44:45], s[44:45], s[46:47]
	s_and_b64 s[46:47], exec, s[22:23]
	s_or_b64 s[16:17], s[46:47], s[16:17]
	s_andn2_b64 s[24:25], s[24:25], exec
	s_and_b64 s[44:45], s[44:45], exec
	s_andn2_b64 s[18:19], s[18:19], exec
	s_and_b64 s[46:47], s[20:21], exec
	s_andn2_b64 s[14:15], s[14:15], exec
	s_or_b64 s[24:25], s[24:25], s[44:45]
	s_or_b64 s[18:19], s[18:19], s[46:47]
	;; [unrolled: 1-line block ×3, first 2 shown]
	s_andn2_b64 exec, exec, s[16:17]
	s_cbranch_execz .LBB9_953
.LBB9_951:                              ; =>This Inner Loop Header: Depth=1
	global_load_ubyte v25, v[0:1], off
	global_load_ubyte v33, v[22:23], off
	s_or_b64 s[20:21], s[20:21], exec
	s_or_b64 s[22:23], s[22:23], exec
	s_waitcnt vmcnt(0)
	v_cmp_lt_u16_sdwa s[44:45], v25, v33 src0_sel:BYTE_0 src1_sel:BYTE_0
	v_cmp_le_u16_sdwa s[46:47], v25, v33 src0_sel:BYTE_0 src1_sel:BYTE_0
	v_cmp_eq_u16_sdwa s[50:51], v25, v33 src0_sel:BYTE_0 src1_sel:BYTE_0
	s_and_saveexec_b64 s[48:49], s[50:51]
	s_cbranch_execz .LBB9_950
; %bb.952:                              ;   in Loop: Header=BB9_951 Depth=1
	s_add_u32 s42, s42, -1
	s_addc_u32 s43, s43, -1
	s_cmp_eq_u64 s[42:43], 0
	s_cselect_b64 s[50:51], -1, 0
	s_andn2_b64 s[22:23], s[22:23], exec
	s_and_b64 s[50:51], s[50:51], exec
	v_lshl_add_u64 v[0:1], v[0:1], 0, 1
	v_lshl_add_u64 v[22:23], v[22:23], 0, 1
	s_andn2_b64 s[20:21], s[20:21], exec
	s_or_b64 s[22:23], s[22:23], s[50:51]
	s_branch .LBB9_950
.LBB9_953:
	s_or_b64 exec, exec, s[16:17]
	s_and_saveexec_b64 s[16:17], s[18:19]
	s_xor_b64 s[16:17], exec, s[16:17]
; %bb.954:
	v_cndmask_b32_e64 v1, v13, v7, s[14:15]
	v_cndmask_b32_e64 v0, v12, v6, s[14:15]
	;; [unrolled: 1-line block ×4, first 2 shown]
	v_mov_b64_e32 v[12:13], v[0:1]
; %bb.955:
	s_or_b64 exec, exec, s[16:17]
.LBB9_956:
	s_or_b64 exec, exec, s[2:3]
	s_and_saveexec_b64 s[2:3], s[26:27]
	s_cbranch_execz .LBB9_965
; %bb.957:
	s_andn2_b64 vcc, exec, s[40:41]
	s_cbranch_vccnz .LBB9_965
; %bb.958:
	v_mov_b64_e32 v[22:23], s[38:39]
	v_mad_u64_u32 v[0:1], s[14:15], v2, s36, v[22:23]
	v_mul_lo_u32 v25, v2, s37
	v_mul_lo_u32 v33, v3, s36
	v_add3_u32 v1, v33, v1, v25
	v_mad_u64_u32 v[22:23], s[14:15], v8, s36, v[22:23]
	v_mul_lo_u32 v25, v8, s37
	v_mul_lo_u32 v33, v9, s36
	v_add3_u32 v23, v33, v23, v25
	s_mov_b64 s[16:17], 0
	s_mov_b64 s[26:27], s[36:37]
                                        ; implicit-def: $sgpr14_sgpr15
                                        ; implicit-def: $sgpr18_sgpr19
                                        ; implicit-def: $sgpr22_sgpr23
                                        ; implicit-def: $sgpr20_sgpr21
                                        ; implicit-def: $sgpr24_sgpr25
	s_branch .LBB9_960
.LBB9_959:                              ;   in Loop: Header=BB9_960 Depth=1
	s_or_b64 exec, exec, s[46:47]
	s_and_b64 s[44:45], s[44:45], s[24:25]
	s_or_b64 s[42:43], s[42:43], s[44:45]
	s_and_b64 s[44:45], exec, s[22:23]
	s_or_b64 s[16:17], s[44:45], s[16:17]
	s_andn2_b64 s[24:25], s[24:25], exec
	s_and_b64 s[42:43], s[42:43], exec
	s_andn2_b64 s[18:19], s[18:19], exec
	s_and_b64 s[44:45], s[20:21], exec
	s_andn2_b64 s[14:15], s[14:15], exec
	s_or_b64 s[24:25], s[24:25], s[42:43]
	s_or_b64 s[18:19], s[18:19], s[44:45]
	;; [unrolled: 1-line block ×3, first 2 shown]
	s_andn2_b64 exec, exec, s[16:17]
	s_cbranch_execz .LBB9_962
.LBB9_960:                              ; =>This Inner Loop Header: Depth=1
	global_load_ubyte v25, v[0:1], off
	global_load_ubyte v33, v[22:23], off
	s_or_b64 s[20:21], s[20:21], exec
	s_or_b64 s[22:23], s[22:23], exec
	s_waitcnt vmcnt(0)
	v_cmp_lt_u16_sdwa s[42:43], v25, v33 src0_sel:BYTE_0 src1_sel:BYTE_0
	v_cmp_le_u16_sdwa s[44:45], v25, v33 src0_sel:BYTE_0 src1_sel:BYTE_0
	v_cmp_eq_u16_sdwa s[48:49], v25, v33 src0_sel:BYTE_0 src1_sel:BYTE_0
	s_and_saveexec_b64 s[46:47], s[48:49]
	s_cbranch_execz .LBB9_959
; %bb.961:                              ;   in Loop: Header=BB9_960 Depth=1
	s_add_u32 s26, s26, -1
	s_addc_u32 s27, s27, -1
	s_cmp_eq_u64 s[26:27], 0
	s_cselect_b64 s[48:49], -1, 0
	s_andn2_b64 s[22:23], s[22:23], exec
	s_and_b64 s[48:49], s[48:49], exec
	v_lshl_add_u64 v[0:1], v[0:1], 0, 1
	v_lshl_add_u64 v[22:23], v[22:23], 0, 1
	s_andn2_b64 s[20:21], s[20:21], exec
	s_or_b64 s[22:23], s[22:23], s[48:49]
	s_branch .LBB9_959
.LBB9_962:
	s_or_b64 exec, exec, s[16:17]
	s_and_saveexec_b64 s[16:17], s[18:19]
	s_xor_b64 s[16:17], exec, s[16:17]
; %bb.963:
	v_cndmask_b32_e64 v1, v9, v3, s[14:15]
	v_cndmask_b32_e64 v0, v8, v2, s[14:15]
	;; [unrolled: 1-line block ×4, first 2 shown]
	v_mov_b64_e32 v[8:9], v[0:1]
; %bb.964:
	s_or_b64 exec, exec, s[16:17]
.LBB9_965:
	s_or_b64 exec, exec, s[2:3]
	v_mbcnt_lo_u32_b32 v0, -1, 0
	v_mbcnt_hi_u32_b32 v0, -1, v0
	v_and_b32_e32 v1, 0xfffffe00, v24
	v_lshlrev_b32_e32 v33, 3, v1
	v_lshlrev_b32_e32 v35, 3, v0
	v_sub_u32_e64 v34, s33, v1 clamp
	v_lshl_add_u32 v36, v0, 6, v33
	v_or_b32_e32 v0, 8, v35
	v_min_u32_e32 v24, v34, v0
	v_add_u32_e32 v0, 8, v24
	v_and_b32_e32 v39, 0x3f0, v35
	v_min_u32_e32 v25, v34, v0
	v_and_b32_e32 v0, 8, v35
	v_min_u32_e32 v40, v34, v0
	v_sub_u32_e32 v0, v24, v39
	v_sub_u32_e32 v1, v25, v24
	v_sub_u32_e64 v38, v40, v1 clamp
	v_min_u32_e32 v41, v40, v0
	v_lshl_add_u32 v37, v39, 3, v33
	v_cmp_lt_u32_e32 vcc, v38, v41
	ds_write_b128 v36, v[14:17]
	ds_write_b128 v36, v[10:13] offset:16
	ds_write_b128 v36, v[6:9] offset:32
	;; [unrolled: 1-line block ×3, first 2 shown]
	; wave barrier
	s_and_saveexec_b64 s[2:3], vcc
	s_cbranch_execz .LBB9_975
; %bb.966:
	v_lshlrev_b32_e32 v0, 3, v24
	v_lshlrev_b32_e32 v1, 3, v40
	v_add3_u32 v42, v33, v0, v1
	v_cndmask_b32_e64 v0, 0, 1, s[40:41]
	s_mov_b64 s[16:17], 0
	v_cmp_ne_u32_e64 s[14:15], 1, v0
	s_branch .LBB9_969
.LBB9_967:                              ;   in Loop: Header=BB9_969 Depth=1
	s_or_b64 exec, exec, s[20:21]
.LBB9_968:                              ;   in Loop: Header=BB9_969 Depth=1
	v_add_u32_e32 v0, 1, v43
	v_cndmask_b32_e64 v41, v41, v43, s[18:19]
	v_cndmask_b32_e64 v38, v0, v38, s[18:19]
	v_cmp_ge_u32_e32 vcc, v38, v41
	s_or_b64 s[16:17], vcc, s[16:17]
	s_andn2_b64 exec, exec, s[16:17]
	s_cbranch_execz .LBB9_974
.LBB9_969:                              ; =>This Loop Header: Depth=1
                                        ;     Child Loop BB9_972 Depth 2
	v_add_u32_e32 v0, v41, v38
	v_lshrrev_b32_e32 v43, 1, v0
	s_and_b64 vcc, exec, s[14:15]
	s_mov_b64 s[18:19], 0
	s_cbranch_vccnz .LBB9_968
; %bb.970:                              ;   in Loop: Header=BB9_969 Depth=1
	v_not_b32_e32 v0, v43
	v_lshl_add_u32 v0, v0, 3, v42
	ds_read_b64 v[0:1], v0
	v_lshl_add_u32 v44, v43, 3, v37
	ds_read_b64 v[44:45], v44
	v_mov_b64_e32 v[22:23], s[38:39]
	s_mov_b64 s[20:21], 0
	s_waitcnt lgkmcnt(1)
	v_mul_lo_u32 v46, v0, s37
	v_mul_lo_u32 v47, v1, s36
	v_mad_u64_u32 v[0:1], s[18:19], v0, s36, v[22:23]
	v_add3_u32 v1, v47, v1, v46
	s_waitcnt lgkmcnt(0)
	v_mul_lo_u32 v46, v44, s37
	v_mul_lo_u32 v45, v45, s36
	v_mad_u64_u32 v[22:23], s[18:19], v44, s36, v[22:23]
	v_add3_u32 v23, v45, v23, v46
	s_mov_b64 s[24:25], s[36:37]
                                        ; implicit-def: $sgpr18_sgpr19
                                        ; implicit-def: $sgpr22_sgpr23
                                        ; implicit-def: $sgpr26_sgpr27
                                        ; implicit-def: $sgpr42_sgpr43
	s_branch .LBB9_972
.LBB9_971:                              ;   in Loop: Header=BB9_972 Depth=2
	s_or_b64 exec, exec, s[46:47]
	s_and_b64 s[46:47], exec, s[22:23]
	s_or_b64 s[20:21], s[46:47], s[20:21]
	s_andn2_b64 s[42:43], s[42:43], exec
	s_and_b64 s[44:45], s[44:45], exec
	s_or_b64 s[42:43], s[42:43], s[44:45]
	s_andn2_b64 s[18:19], s[18:19], exec
	s_and_b64 s[44:45], s[26:27], exec
	s_or_b64 s[18:19], s[18:19], s[44:45]
	s_andn2_b64 exec, exec, s[20:21]
	s_cbranch_execz .LBB9_967
.LBB9_972:                              ;   Parent Loop BB9_969 Depth=1
                                        ; =>  This Inner Loop Header: Depth=2
	global_load_ubyte v44, v[0:1], off
	global_load_ubyte v45, v[22:23], off
	s_andn2_b64 s[26:27], s[26:27], exec
	s_or_b64 s[22:23], s[22:23], exec
	s_waitcnt vmcnt(0)
	v_cmp_le_u16_sdwa s[46:47], v44, v45 src0_sel:BYTE_0 src1_sel:BYTE_0
	v_cmp_lt_u16_sdwa s[44:45], v44, v45 src0_sel:BYTE_0 src1_sel:BYTE_0
	s_and_b64 s[46:47], s[46:47], s[42:43]
	s_or_b64 s[44:45], s[44:45], s[46:47]
	s_and_b64 s[46:47], s[44:45], exec
	v_cmp_eq_u16_sdwa s[48:49], v44, v45 src0_sel:BYTE_0 src1_sel:BYTE_0
	s_or_b64 s[26:27], s[26:27], s[46:47]
	s_and_saveexec_b64 s[46:47], s[48:49]
	s_cbranch_execz .LBB9_971
; %bb.973:                              ;   in Loop: Header=BB9_972 Depth=2
	s_add_u32 s24, s24, -1
	s_addc_u32 s25, s25, -1
	s_cmp_eq_u64 s[24:25], 0
	s_cselect_b64 s[42:43], -1, 0
	s_andn2_b64 s[22:23], s[22:23], exec
	s_and_b64 s[42:43], s[42:43], exec
	v_lshl_add_u64 v[0:1], v[0:1], 0, 1
	v_lshl_add_u64 v[22:23], v[22:23], 0, 1
	s_andn2_b64 s[26:27], s[26:27], exec
	s_or_b64 s[22:23], s[22:23], s[42:43]
                                        ; implicit-def: $sgpr42_sgpr43
	s_branch .LBB9_971
.LBB9_974:
	s_or_b64 exec, exec, s[16:17]
.LBB9_975:
	s_or_b64 exec, exec, s[2:3]
	v_add_u32_e32 v0, v24, v40
	v_add_u32_e32 v23, v38, v39
	v_sub_u32_e32 v39, v0, v38
	v_cmp_le_u32_e32 vcc, v23, v24
	v_cmp_le_u32_e64 s[2:3], v39, v25
	s_or_b64 s[2:3], vcc, s[2:3]
	s_and_saveexec_b64 s[14:15], s[2:3]
	s_cbranch_execz .LBB9_1066
; %bb.976:
	v_cmp_ge_u32_e32 vcc, v23, v24
	v_cmp_lt_u32_e64 s[2:3], v23, v24
                                        ; implicit-def: $vgpr0_vgpr1
	s_and_saveexec_b64 s[16:17], s[2:3]
; %bb.977:
	v_lshl_add_u32 v0, v38, 3, v37
	ds_read_b64 v[0:1], v0
; %bb.978:
	s_or_b64 exec, exec, s[16:17]
	v_cmp_ge_u32_e64 s[16:17], v39, v25
	v_cmp_lt_u32_e64 s[2:3], v39, v25
                                        ; implicit-def: $vgpr2_vgpr3
	s_and_saveexec_b64 s[18:19], s[2:3]
; %bb.979:
	v_lshl_add_u32 v2, v39, 3, v33
	ds_read_b64 v[2:3], v2
; %bb.980:
	s_or_b64 exec, exec, s[18:19]
	s_nor_b64 s[18:19], vcc, s[16:17]
	s_and_saveexec_b64 s[2:3], s[18:19]
	s_cbranch_execz .LBB9_989
; %bb.981:
	s_andn2_b64 vcc, exec, s[40:41]
	s_cbranch_vccnz .LBB9_987
; %bb.982:
	v_mov_b64_e32 v[6:7], s[38:39]
	s_waitcnt lgkmcnt(0)
	v_mad_u64_u32 v[4:5], s[18:19], v2, s36, v[6:7]
	v_mul_lo_u32 v8, v2, s37
	v_mul_lo_u32 v9, v3, s36
	v_add3_u32 v5, v9, v5, v8
	v_mad_u64_u32 v[6:7], s[18:19], v0, s36, v[6:7]
	v_mul_lo_u32 v8, v0, s37
	v_mul_lo_u32 v9, v1, s36
	v_add3_u32 v7, v9, v7, v8
	s_mov_b64 s[18:19], 0
	s_mov_b64 s[24:25], s[36:37]
                                        ; implicit-def: $sgpr20_sgpr21
                                        ; implicit-def: $sgpr22_sgpr23
                                        ; implicit-def: $sgpr26_sgpr27
                                        ; implicit-def: $sgpr42_sgpr43
	s_branch .LBB9_984
.LBB9_983:                              ;   in Loop: Header=BB9_984 Depth=1
	s_or_b64 exec, exec, s[46:47]
	s_and_b64 s[46:47], exec, s[22:23]
	s_or_b64 s[18:19], s[46:47], s[18:19]
	s_andn2_b64 s[42:43], s[42:43], exec
	s_and_b64 s[44:45], s[44:45], exec
	s_or_b64 s[42:43], s[42:43], s[44:45]
	s_andn2_b64 s[20:21], s[20:21], exec
	s_and_b64 s[44:45], s[26:27], exec
	s_or_b64 s[20:21], s[20:21], s[44:45]
	s_andn2_b64 exec, exec, s[18:19]
	s_cbranch_execz .LBB9_986
.LBB9_984:                              ; =>This Inner Loop Header: Depth=1
	global_load_ubyte v8, v[4:5], off
	global_load_ubyte v9, v[6:7], off
	s_andn2_b64 s[26:27], s[26:27], exec
	s_or_b64 s[22:23], s[22:23], exec
	s_waitcnt vmcnt(0)
	v_cmp_le_u16_sdwa s[46:47], v8, v9 src0_sel:BYTE_0 src1_sel:BYTE_0
	v_cmp_lt_u16_sdwa s[44:45], v8, v9 src0_sel:BYTE_0 src1_sel:BYTE_0
	s_and_b64 s[46:47], s[46:47], s[42:43]
	s_or_b64 s[44:45], s[44:45], s[46:47]
	s_and_b64 s[46:47], s[44:45], exec
	v_cmp_eq_u16_sdwa s[48:49], v8, v9 src0_sel:BYTE_0 src1_sel:BYTE_0
	s_or_b64 s[26:27], s[26:27], s[46:47]
	s_and_saveexec_b64 s[46:47], s[48:49]
	s_cbranch_execz .LBB9_983
; %bb.985:                              ;   in Loop: Header=BB9_984 Depth=1
	s_add_u32 s24, s24, -1
	s_addc_u32 s25, s25, -1
	s_cmp_eq_u64 s[24:25], 0
	s_cselect_b64 s[42:43], -1, 0
	s_andn2_b64 s[22:23], s[22:23], exec
	s_and_b64 s[42:43], s[42:43], exec
	v_lshl_add_u64 v[4:5], v[4:5], 0, 1
	v_lshl_add_u64 v[6:7], v[6:7], 0, 1
	s_andn2_b64 s[26:27], s[26:27], exec
	s_or_b64 s[22:23], s[22:23], s[42:43]
                                        ; implicit-def: $sgpr42_sgpr43
	s_branch .LBB9_983
.LBB9_986:
	s_or_b64 exec, exec, s[18:19]
	s_xor_b64 s[18:19], s[20:21], -1
	s_branch .LBB9_988
.LBB9_987:
	s_mov_b64 s[18:19], -1
.LBB9_988:
	s_andn2_b64 s[16:17], s[16:17], exec
	s_and_b64 s[18:19], s[18:19], exec
	s_or_b64 s[16:17], s[16:17], s[18:19]
.LBB9_989:
	s_or_b64 exec, exec, s[2:3]
	v_cndmask_b32_e64 v4, v39, v23, s[16:17]
	v_cndmask_b32_e64 v5, v25, v24, s[16:17]
	v_add_u32_e32 v6, 1, v4
	v_add_u32_e32 v4, -1, v5
	v_min_u32_e32 v4, v6, v4
	v_lshl_add_u32 v4, v4, 3, v33
	ds_read_b64 v[4:5], v4
	v_cndmask_b32_e64 v8, v6, v39, s[16:17]
	v_cndmask_b32_e64 v9, v23, v6, s[16:17]
	v_cmp_lt_u32_e32 vcc, v8, v25
	s_mov_b64 s[18:19], -1
	s_waitcnt lgkmcnt(0)
	v_cndmask_b32_e64 v14, v5, v3, s[16:17]
	v_cndmask_b32_e64 v15, v4, v2, s[16:17]
	;; [unrolled: 1-line block ×4, first 2 shown]
	s_mov_b64 s[2:3], -1
	s_and_saveexec_b64 s[20:21], vcc
	s_cbranch_execz .LBB9_1000
; %bb.990:
	v_cmp_lt_u32_e32 vcc, v9, v24
	s_mov_b64 s[22:23], 0
	s_and_saveexec_b64 s[2:3], vcc
	s_cbranch_execz .LBB9_999
; %bb.991:
	s_andn2_b64 vcc, exec, s[40:41]
	s_cbranch_vccnz .LBB9_997
; %bb.992:
	v_mov_b64_e32 v[6:7], s[38:39]
	v_mad_u64_u32 v[4:5], s[22:23], v15, s36, v[6:7]
	v_mul_lo_u32 v10, v15, s37
	v_mul_lo_u32 v11, v14, s36
	v_add3_u32 v5, v11, v5, v10
	v_mad_u64_u32 v[6:7], s[22:23], v22, s36, v[6:7]
	v_mul_lo_u32 v10, v22, s37
	v_mul_lo_u32 v11, v16, s36
	v_add3_u32 v7, v11, v7, v10
	s_mov_b64 s[22:23], 0
	s_mov_b64 s[42:43], s[36:37]
                                        ; implicit-def: $sgpr24_sgpr25
                                        ; implicit-def: $sgpr26_sgpr27
                                        ; implicit-def: $sgpr44_sgpr45
                                        ; implicit-def: $sgpr46_sgpr47
	s_branch .LBB9_994
.LBB9_993:                              ;   in Loop: Header=BB9_994 Depth=1
	s_or_b64 exec, exec, s[50:51]
	s_and_b64 s[50:51], exec, s[26:27]
	s_or_b64 s[22:23], s[50:51], s[22:23]
	s_andn2_b64 s[46:47], s[46:47], exec
	s_and_b64 s[48:49], s[48:49], exec
	s_or_b64 s[46:47], s[46:47], s[48:49]
	s_andn2_b64 s[24:25], s[24:25], exec
	s_and_b64 s[48:49], s[44:45], exec
	s_or_b64 s[24:25], s[24:25], s[48:49]
	s_andn2_b64 exec, exec, s[22:23]
	s_cbranch_execz .LBB9_996
.LBB9_994:                              ; =>This Inner Loop Header: Depth=1
	global_load_ubyte v10, v[4:5], off
	global_load_ubyte v11, v[6:7], off
	s_andn2_b64 s[44:45], s[44:45], exec
	s_or_b64 s[26:27], s[26:27], exec
	s_waitcnt vmcnt(0)
	v_cmp_le_u16_sdwa s[50:51], v10, v11 src0_sel:BYTE_0 src1_sel:BYTE_0
	v_cmp_lt_u16_sdwa s[48:49], v10, v11 src0_sel:BYTE_0 src1_sel:BYTE_0
	s_and_b64 s[50:51], s[50:51], s[46:47]
	s_or_b64 s[48:49], s[48:49], s[50:51]
	s_and_b64 s[50:51], s[48:49], exec
	v_cmp_eq_u16_sdwa s[52:53], v10, v11 src0_sel:BYTE_0 src1_sel:BYTE_0
	s_or_b64 s[44:45], s[44:45], s[50:51]
	s_and_saveexec_b64 s[50:51], s[52:53]
	s_cbranch_execz .LBB9_993
; %bb.995:                              ;   in Loop: Header=BB9_994 Depth=1
	s_add_u32 s42, s42, -1
	s_addc_u32 s43, s43, -1
	s_cmp_eq_u64 s[42:43], 0
	s_cselect_b64 s[46:47], -1, 0
	s_andn2_b64 s[26:27], s[26:27], exec
	s_and_b64 s[46:47], s[46:47], exec
	v_lshl_add_u64 v[4:5], v[4:5], 0, 1
	v_lshl_add_u64 v[6:7], v[6:7], 0, 1
	s_andn2_b64 s[44:45], s[44:45], exec
	s_or_b64 s[26:27], s[26:27], s[46:47]
                                        ; implicit-def: $sgpr46_sgpr47
	s_branch .LBB9_993
.LBB9_996:
	s_or_b64 exec, exec, s[22:23]
	s_xor_b64 s[22:23], s[24:25], -1
	s_branch .LBB9_998
.LBB9_997:
	s_mov_b64 s[22:23], -1
.LBB9_998:
	s_and_b64 s[22:23], s[22:23], exec
.LBB9_999:
	s_or_b64 exec, exec, s[2:3]
	s_orn2_b64 s[2:3], s[22:23], exec
.LBB9_1000:
	s_or_b64 exec, exec, s[20:21]
	v_cndmask_b32_e64 v4, v8, v9, s[2:3]
	v_cndmask_b32_e64 v5, v25, v24, s[2:3]
	v_add_u32_e32 v6, 1, v4
	v_add_u32_e32 v4, -1, v5
	v_min_u32_e32 v4, v6, v4
	v_lshl_add_u32 v4, v4, 3, v33
	ds_read_b64 v[4:5], v4
	v_cndmask_b32_e64 v8, v6, v8, s[2:3]
	v_cndmask_b32_e64 v9, v9, v6, s[2:3]
	v_cmp_lt_u32_e32 vcc, v8, v25
	s_waitcnt lgkmcnt(0)
	v_cndmask_b32_e64 v10, v5, v14, s[2:3]
	v_cndmask_b32_e64 v17, v4, v15, s[2:3]
	;; [unrolled: 1-line block ×4, first 2 shown]
	s_and_saveexec_b64 s[20:21], vcc
	s_cbranch_execz .LBB9_1011
; %bb.1001:
	v_cmp_lt_u32_e32 vcc, v9, v24
	s_mov_b64 s[22:23], 0
	s_and_saveexec_b64 s[18:19], vcc
	s_cbranch_execz .LBB9_1010
; %bb.1002:
	s_andn2_b64 vcc, exec, s[40:41]
	s_cbranch_vccnz .LBB9_1008
; %bb.1003:
	v_mov_b64_e32 v[6:7], s[38:39]
	v_mad_u64_u32 v[4:5], s[22:23], v17, s36, v[6:7]
	v_mul_lo_u32 v12, v17, s37
	v_mul_lo_u32 v13, v10, s36
	v_add3_u32 v5, v13, v5, v12
	v_mad_u64_u32 v[6:7], s[22:23], v23, s36, v[6:7]
	v_mul_lo_u32 v12, v23, s37
	v_mul_lo_u32 v13, v11, s36
	v_add3_u32 v7, v13, v7, v12
	s_mov_b64 s[22:23], 0
	s_mov_b64 s[42:43], s[36:37]
                                        ; implicit-def: $sgpr24_sgpr25
                                        ; implicit-def: $sgpr26_sgpr27
                                        ; implicit-def: $sgpr44_sgpr45
                                        ; implicit-def: $sgpr46_sgpr47
	s_branch .LBB9_1005
.LBB9_1004:                             ;   in Loop: Header=BB9_1005 Depth=1
	s_or_b64 exec, exec, s[50:51]
	s_and_b64 s[50:51], exec, s[26:27]
	s_or_b64 s[22:23], s[50:51], s[22:23]
	s_andn2_b64 s[46:47], s[46:47], exec
	s_and_b64 s[48:49], s[48:49], exec
	s_or_b64 s[46:47], s[46:47], s[48:49]
	s_andn2_b64 s[24:25], s[24:25], exec
	s_and_b64 s[48:49], s[44:45], exec
	s_or_b64 s[24:25], s[24:25], s[48:49]
	s_andn2_b64 exec, exec, s[22:23]
	s_cbranch_execz .LBB9_1007
.LBB9_1005:                             ; =>This Inner Loop Header: Depth=1
	global_load_ubyte v12, v[4:5], off
	global_load_ubyte v13, v[6:7], off
	s_andn2_b64 s[44:45], s[44:45], exec
	s_or_b64 s[26:27], s[26:27], exec
	s_waitcnt vmcnt(0)
	v_cmp_le_u16_sdwa s[50:51], v12, v13 src0_sel:BYTE_0 src1_sel:BYTE_0
	v_cmp_lt_u16_sdwa s[48:49], v12, v13 src0_sel:BYTE_0 src1_sel:BYTE_0
	s_and_b64 s[50:51], s[50:51], s[46:47]
	s_or_b64 s[48:49], s[48:49], s[50:51]
	s_and_b64 s[50:51], s[48:49], exec
	v_cmp_eq_u16_sdwa s[52:53], v12, v13 src0_sel:BYTE_0 src1_sel:BYTE_0
	s_or_b64 s[44:45], s[44:45], s[50:51]
	s_and_saveexec_b64 s[50:51], s[52:53]
	s_cbranch_execz .LBB9_1004
; %bb.1006:                             ;   in Loop: Header=BB9_1005 Depth=1
	s_add_u32 s42, s42, -1
	s_addc_u32 s43, s43, -1
	s_cmp_eq_u64 s[42:43], 0
	s_cselect_b64 s[46:47], -1, 0
	s_andn2_b64 s[26:27], s[26:27], exec
	s_and_b64 s[46:47], s[46:47], exec
	v_lshl_add_u64 v[4:5], v[4:5], 0, 1
	v_lshl_add_u64 v[6:7], v[6:7], 0, 1
	s_andn2_b64 s[44:45], s[44:45], exec
	s_or_b64 s[26:27], s[26:27], s[46:47]
                                        ; implicit-def: $sgpr46_sgpr47
	s_branch .LBB9_1004
.LBB9_1007:
	s_or_b64 exec, exec, s[22:23]
	s_xor_b64 s[22:23], s[24:25], -1
	s_branch .LBB9_1009
.LBB9_1008:
	s_mov_b64 s[22:23], -1
.LBB9_1009:
	s_and_b64 s[22:23], s[22:23], exec
.LBB9_1010:
	s_or_b64 exec, exec, s[18:19]
	s_orn2_b64 s[18:19], s[22:23], exec
.LBB9_1011:
	s_or_b64 exec, exec, s[20:21]
	v_cndmask_b32_e64 v4, v8, v9, s[18:19]
	v_cndmask_b32_e64 v5, v25, v24, s[18:19]
	v_add_u32_e32 v6, 1, v4
	v_add_u32_e32 v4, -1, v5
	v_min_u32_e32 v4, v6, v4
	v_lshl_add_u32 v4, v4, 3, v33
	ds_read_b64 v[4:5], v4
	v_cndmask_b32_e64 v8, v6, v8, s[18:19]
	v_cndmask_b32_e64 v9, v9, v6, s[18:19]
	v_cmp_lt_u32_e32 vcc, v8, v25
	s_mov_b64 s[22:23], -1
	s_waitcnt lgkmcnt(0)
	v_cndmask_b32_e64 v12, v5, v10, s[18:19]
	v_cndmask_b32_e64 v37, v4, v17, s[18:19]
	v_cndmask_b32_e64 v13, v11, v5, s[18:19]
	v_cndmask_b32_e64 v38, v23, v4, s[18:19]
	s_mov_b64 s[20:21], -1
	s_and_saveexec_b64 s[24:25], vcc
	s_cbranch_execz .LBB9_1022
; %bb.1012:
	v_cmp_lt_u32_e32 vcc, v9, v24
	s_mov_b64 s[26:27], 0
	s_and_saveexec_b64 s[20:21], vcc
	s_cbranch_execz .LBB9_1021
; %bb.1013:
	s_andn2_b64 vcc, exec, s[40:41]
	s_cbranch_vccnz .LBB9_1019
; %bb.1014:
	v_mov_b64_e32 v[6:7], s[38:39]
	v_mad_u64_u32 v[4:5], s[26:27], v37, s36, v[6:7]
	v_mul_lo_u32 v39, v37, s37
	v_mul_lo_u32 v40, v12, s36
	v_add3_u32 v5, v40, v5, v39
	v_mad_u64_u32 v[6:7], s[26:27], v38, s36, v[6:7]
	v_mul_lo_u32 v39, v38, s37
	v_mul_lo_u32 v40, v13, s36
	v_add3_u32 v7, v40, v7, v39
	s_mov_b64 s[26:27], 0
	s_mov_b64 s[46:47], s[36:37]
                                        ; implicit-def: $sgpr42_sgpr43
                                        ; implicit-def: $sgpr44_sgpr45
                                        ; implicit-def: $sgpr48_sgpr49
                                        ; implicit-def: $sgpr50_sgpr51
	s_branch .LBB9_1016
.LBB9_1015:                             ;   in Loop: Header=BB9_1016 Depth=1
	s_or_b64 exec, exec, s[54:55]
	s_and_b64 s[54:55], exec, s[44:45]
	s_or_b64 s[26:27], s[54:55], s[26:27]
	s_andn2_b64 s[50:51], s[50:51], exec
	s_and_b64 s[52:53], s[52:53], exec
	s_or_b64 s[50:51], s[50:51], s[52:53]
	s_andn2_b64 s[42:43], s[42:43], exec
	s_and_b64 s[52:53], s[48:49], exec
	s_or_b64 s[42:43], s[42:43], s[52:53]
	s_andn2_b64 exec, exec, s[26:27]
	s_cbranch_execz .LBB9_1018
.LBB9_1016:                             ; =>This Inner Loop Header: Depth=1
	global_load_ubyte v39, v[4:5], off
	global_load_ubyte v40, v[6:7], off
	s_andn2_b64 s[48:49], s[48:49], exec
	s_or_b64 s[44:45], s[44:45], exec
	s_waitcnt vmcnt(0)
	v_cmp_le_u16_sdwa s[54:55], v39, v40 src0_sel:BYTE_0 src1_sel:BYTE_0
	v_cmp_lt_u16_sdwa s[52:53], v39, v40 src0_sel:BYTE_0 src1_sel:BYTE_0
	s_and_b64 s[54:55], s[54:55], s[50:51]
	s_or_b64 s[52:53], s[52:53], s[54:55]
	s_and_b64 s[54:55], s[52:53], exec
	v_cmp_eq_u16_sdwa s[56:57], v39, v40 src0_sel:BYTE_0 src1_sel:BYTE_0
	s_or_b64 s[48:49], s[48:49], s[54:55]
	s_and_saveexec_b64 s[54:55], s[56:57]
	s_cbranch_execz .LBB9_1015
; %bb.1017:                             ;   in Loop: Header=BB9_1016 Depth=1
	s_add_u32 s46, s46, -1
	s_addc_u32 s47, s47, -1
	s_cmp_eq_u64 s[46:47], 0
	s_cselect_b64 s[50:51], -1, 0
	s_andn2_b64 s[44:45], s[44:45], exec
	s_and_b64 s[50:51], s[50:51], exec
	v_lshl_add_u64 v[4:5], v[4:5], 0, 1
	v_lshl_add_u64 v[6:7], v[6:7], 0, 1
	s_andn2_b64 s[48:49], s[48:49], exec
	s_or_b64 s[44:45], s[44:45], s[50:51]
                                        ; implicit-def: $sgpr50_sgpr51
	s_branch .LBB9_1015
.LBB9_1018:
	s_or_b64 exec, exec, s[26:27]
	s_xor_b64 s[26:27], s[42:43], -1
	s_branch .LBB9_1020
.LBB9_1019:
	s_mov_b64 s[26:27], -1
.LBB9_1020:
	s_and_b64 s[26:27], s[26:27], exec
.LBB9_1021:
	s_or_b64 exec, exec, s[20:21]
	s_orn2_b64 s[20:21], s[26:27], exec
.LBB9_1022:
	s_or_b64 exec, exec, s[24:25]
	v_cndmask_b32_e64 v4, v8, v9, s[20:21]
	v_cndmask_b32_e64 v5, v25, v24, s[20:21]
	v_add_u32_e32 v6, 1, v4
	v_add_u32_e32 v4, -1, v5
	v_min_u32_e32 v4, v6, v4
	v_lshl_add_u32 v4, v4, 3, v33
	ds_read_b64 v[4:5], v4
	v_cndmask_b32_e64 v45, v6, v8, s[20:21]
	v_cndmask_b32_e64 v46, v9, v6, s[20:21]
	v_cmp_lt_u32_e32 vcc, v45, v25
	s_waitcnt lgkmcnt(0)
	v_cndmask_b32_e64 v39, v5, v12, s[20:21]
	v_cndmask_b32_e64 v40, v4, v37, s[20:21]
	;; [unrolled: 1-line block ×4, first 2 shown]
	s_and_saveexec_b64 s[24:25], vcc
	s_cbranch_execz .LBB9_1033
; %bb.1023:
	v_cmp_lt_u32_e32 vcc, v46, v24
	s_mov_b64 s[26:27], 0
	s_and_saveexec_b64 s[22:23], vcc
	s_cbranch_execz .LBB9_1032
; %bb.1024:
	s_andn2_b64 vcc, exec, s[40:41]
	s_cbranch_vccnz .LBB9_1030
; %bb.1025:
	v_mov_b64_e32 v[6:7], s[38:39]
	v_mad_u64_u32 v[4:5], s[26:27], v40, s36, v[6:7]
	v_mul_lo_u32 v8, v40, s37
	v_mul_lo_u32 v9, v39, s36
	v_add3_u32 v5, v9, v5, v8
	v_mad_u64_u32 v[6:7], s[26:27], v42, s36, v[6:7]
	v_mul_lo_u32 v8, v42, s37
	v_mul_lo_u32 v9, v41, s36
	v_add3_u32 v7, v9, v7, v8
	s_mov_b64 s[26:27], 0
	s_mov_b64 s[46:47], s[36:37]
                                        ; implicit-def: $sgpr42_sgpr43
                                        ; implicit-def: $sgpr44_sgpr45
                                        ; implicit-def: $sgpr48_sgpr49
                                        ; implicit-def: $sgpr50_sgpr51
	s_branch .LBB9_1027
.LBB9_1026:                             ;   in Loop: Header=BB9_1027 Depth=1
	s_or_b64 exec, exec, s[54:55]
	s_and_b64 s[54:55], exec, s[44:45]
	s_or_b64 s[26:27], s[54:55], s[26:27]
	s_andn2_b64 s[50:51], s[50:51], exec
	s_and_b64 s[52:53], s[52:53], exec
	s_or_b64 s[50:51], s[50:51], s[52:53]
	s_andn2_b64 s[42:43], s[42:43], exec
	s_and_b64 s[52:53], s[48:49], exec
	s_or_b64 s[42:43], s[42:43], s[52:53]
	s_andn2_b64 exec, exec, s[26:27]
	s_cbranch_execz .LBB9_1029
.LBB9_1027:                             ; =>This Inner Loop Header: Depth=1
	global_load_ubyte v8, v[4:5], off
	global_load_ubyte v9, v[6:7], off
	s_andn2_b64 s[48:49], s[48:49], exec
	s_or_b64 s[44:45], s[44:45], exec
	s_waitcnt vmcnt(0)
	v_cmp_le_u16_sdwa s[54:55], v8, v9 src0_sel:BYTE_0 src1_sel:BYTE_0
	v_cmp_lt_u16_sdwa s[52:53], v8, v9 src0_sel:BYTE_0 src1_sel:BYTE_0
	s_and_b64 s[54:55], s[54:55], s[50:51]
	s_or_b64 s[52:53], s[52:53], s[54:55]
	s_and_b64 s[54:55], s[52:53], exec
	v_cmp_eq_u16_sdwa s[56:57], v8, v9 src0_sel:BYTE_0 src1_sel:BYTE_0
	s_or_b64 s[48:49], s[48:49], s[54:55]
	s_and_saveexec_b64 s[54:55], s[56:57]
	s_cbranch_execz .LBB9_1026
; %bb.1028:                             ;   in Loop: Header=BB9_1027 Depth=1
	s_add_u32 s46, s46, -1
	s_addc_u32 s47, s47, -1
	s_cmp_eq_u64 s[46:47], 0
	s_cselect_b64 s[50:51], -1, 0
	s_andn2_b64 s[44:45], s[44:45], exec
	s_and_b64 s[50:51], s[50:51], exec
	v_lshl_add_u64 v[4:5], v[4:5], 0, 1
	v_lshl_add_u64 v[6:7], v[6:7], 0, 1
	s_andn2_b64 s[48:49], s[48:49], exec
	s_or_b64 s[44:45], s[44:45], s[50:51]
                                        ; implicit-def: $sgpr50_sgpr51
	s_branch .LBB9_1026
.LBB9_1029:
	s_or_b64 exec, exec, s[26:27]
	s_xor_b64 s[26:27], s[42:43], -1
	s_branch .LBB9_1031
.LBB9_1030:
	s_mov_b64 s[26:27], -1
.LBB9_1031:
	s_and_b64 s[26:27], s[26:27], exec
.LBB9_1032:
	s_or_b64 exec, exec, s[22:23]
	s_orn2_b64 s[22:23], s[26:27], exec
.LBB9_1033:
	s_or_b64 exec, exec, s[24:25]
	v_cndmask_b32_e64 v4, v45, v46, s[22:23]
	v_cndmask_b32_e64 v5, v25, v24, s[22:23]
	v_add_u32_e32 v6, 1, v4
	v_add_u32_e32 v4, -1, v5
	v_min_u32_e32 v4, v6, v4
	v_lshl_add_u32 v4, v4, 3, v33
	ds_read_b64 v[4:5], v4
	v_cndmask_b32_e64 v47, v6, v45, s[22:23]
	v_cndmask_b32_e64 v51, v46, v6, s[22:23]
	v_cmp_lt_u32_e32 vcc, v47, v25
	s_mov_b64 s[24:25], -1
	s_waitcnt lgkmcnt(0)
	v_cndmask_b32_e64 v8, v5, v39, s[22:23]
	v_cndmask_b32_e64 v43, v4, v40, s[22:23]
	;; [unrolled: 1-line block ×4, first 2 shown]
	s_mov_b64 s[26:27], -1
	s_and_saveexec_b64 s[42:43], vcc
	s_cbranch_execz .LBB9_1044
; %bb.1034:
	v_cmp_lt_u32_e32 vcc, v51, v24
	s_mov_b64 s[44:45], 0
	s_and_saveexec_b64 s[26:27], vcc
	s_cbranch_execz .LBB9_1043
; %bb.1035:
	s_andn2_b64 vcc, exec, s[40:41]
	s_cbranch_vccnz .LBB9_1041
; %bb.1036:
	v_mov_b64_e32 v[6:7], s[38:39]
	v_mad_u64_u32 v[4:5], s[44:45], v43, s36, v[6:7]
	v_mul_lo_u32 v45, v43, s37
	v_mul_lo_u32 v46, v8, s36
	v_add3_u32 v5, v46, v5, v45
	v_mad_u64_u32 v[6:7], s[44:45], v44, s36, v[6:7]
	v_mul_lo_u32 v45, v44, s37
	v_mul_lo_u32 v46, v9, s36
	v_add3_u32 v7, v46, v7, v45
	s_mov_b64 s[44:45], 0
	s_mov_b64 s[50:51], s[36:37]
                                        ; implicit-def: $sgpr46_sgpr47
                                        ; implicit-def: $sgpr48_sgpr49
                                        ; implicit-def: $sgpr52_sgpr53
                                        ; implicit-def: $sgpr54_sgpr55
	s_branch .LBB9_1038
.LBB9_1037:                             ;   in Loop: Header=BB9_1038 Depth=1
	s_or_b64 exec, exec, s[58:59]
	s_and_b64 s[58:59], exec, s[48:49]
	s_or_b64 s[44:45], s[58:59], s[44:45]
	s_andn2_b64 s[54:55], s[54:55], exec
	s_and_b64 s[56:57], s[56:57], exec
	s_or_b64 s[54:55], s[54:55], s[56:57]
	s_andn2_b64 s[46:47], s[46:47], exec
	s_and_b64 s[56:57], s[52:53], exec
	s_or_b64 s[46:47], s[46:47], s[56:57]
	s_andn2_b64 exec, exec, s[44:45]
	s_cbranch_execz .LBB9_1040
.LBB9_1038:                             ; =>This Inner Loop Header: Depth=1
	global_load_ubyte v45, v[4:5], off
	global_load_ubyte v46, v[6:7], off
	s_andn2_b64 s[52:53], s[52:53], exec
	s_or_b64 s[48:49], s[48:49], exec
	s_waitcnt vmcnt(0)
	v_cmp_le_u16_sdwa s[58:59], v45, v46 src0_sel:BYTE_0 src1_sel:BYTE_0
	v_cmp_lt_u16_sdwa s[56:57], v45, v46 src0_sel:BYTE_0 src1_sel:BYTE_0
	s_and_b64 s[58:59], s[58:59], s[54:55]
	s_or_b64 s[56:57], s[56:57], s[58:59]
	s_and_b64 s[58:59], s[56:57], exec
	v_cmp_eq_u16_sdwa s[60:61], v45, v46 src0_sel:BYTE_0 src1_sel:BYTE_0
	s_or_b64 s[52:53], s[52:53], s[58:59]
	s_and_saveexec_b64 s[58:59], s[60:61]
	s_cbranch_execz .LBB9_1037
; %bb.1039:                             ;   in Loop: Header=BB9_1038 Depth=1
	s_add_u32 s50, s50, -1
	s_addc_u32 s51, s51, -1
	s_cmp_eq_u64 s[50:51], 0
	s_cselect_b64 s[54:55], -1, 0
	s_andn2_b64 s[48:49], s[48:49], exec
	s_and_b64 s[54:55], s[54:55], exec
	v_lshl_add_u64 v[4:5], v[4:5], 0, 1
	v_lshl_add_u64 v[6:7], v[6:7], 0, 1
	s_andn2_b64 s[52:53], s[52:53], exec
	s_or_b64 s[48:49], s[48:49], s[54:55]
                                        ; implicit-def: $sgpr54_sgpr55
	s_branch .LBB9_1037
.LBB9_1040:
	s_or_b64 exec, exec, s[44:45]
	s_xor_b64 s[44:45], s[46:47], -1
	s_branch .LBB9_1042
.LBB9_1041:
	s_mov_b64 s[44:45], -1
.LBB9_1042:
	s_and_b64 s[44:45], s[44:45], exec
.LBB9_1043:
	s_or_b64 exec, exec, s[26:27]
	s_orn2_b64 s[26:27], s[44:45], exec
.LBB9_1044:
	s_or_b64 exec, exec, s[42:43]
	v_cndmask_b32_e64 v4, v47, v51, s[26:27]
	v_cndmask_b32_e64 v5, v25, v24, s[26:27]
	v_add_u32_e32 v6, 1, v4
	v_add_u32_e32 v4, -1, v5
	v_min_u32_e32 v4, v6, v4
	v_lshl_add_u32 v4, v4, 3, v33
	ds_read_b64 v[4:5], v4
	v_cndmask_b32_e64 v48, v6, v47, s[26:27]
	v_cndmask_b32_e64 v47, v51, v6, s[26:27]
	v_cmp_lt_u32_e32 vcc, v48, v25
	s_waitcnt lgkmcnt(0)
	v_cndmask_b32_e64 v45, v5, v8, s[26:27]
	v_cndmask_b32_e64 v46, v4, v43, s[26:27]
	;; [unrolled: 1-line block ×4, first 2 shown]
	s_and_saveexec_b64 s[42:43], vcc
	s_cbranch_execz .LBB9_1055
; %bb.1045:
	v_cmp_lt_u32_e32 vcc, v47, v24
	s_mov_b64 s[44:45], 0
	s_and_saveexec_b64 s[24:25], vcc
	s_cbranch_execz .LBB9_1054
; %bb.1046:
	s_andn2_b64 vcc, exec, s[40:41]
	s_cbranch_vccnz .LBB9_1052
; %bb.1047:
	v_mov_b64_e32 v[6:7], s[38:39]
	v_mad_u64_u32 v[4:5], s[44:45], v46, s36, v[6:7]
	v_mul_lo_u32 v51, v46, s37
	v_mul_lo_u32 v52, v45, s36
	v_add3_u32 v5, v52, v5, v51
	v_mad_u64_u32 v[6:7], s[44:45], v50, s36, v[6:7]
	v_mul_lo_u32 v51, v50, s37
	v_mul_lo_u32 v52, v49, s36
	v_add3_u32 v7, v52, v7, v51
	s_mov_b64 s[44:45], 0
	s_mov_b64 s[50:51], s[36:37]
                                        ; implicit-def: $sgpr46_sgpr47
                                        ; implicit-def: $sgpr48_sgpr49
                                        ; implicit-def: $sgpr52_sgpr53
                                        ; implicit-def: $sgpr54_sgpr55
	s_branch .LBB9_1049
.LBB9_1048:                             ;   in Loop: Header=BB9_1049 Depth=1
	s_or_b64 exec, exec, s[58:59]
	s_and_b64 s[58:59], exec, s[48:49]
	s_or_b64 s[44:45], s[58:59], s[44:45]
	s_andn2_b64 s[54:55], s[54:55], exec
	s_and_b64 s[56:57], s[56:57], exec
	s_or_b64 s[54:55], s[54:55], s[56:57]
	s_andn2_b64 s[46:47], s[46:47], exec
	s_and_b64 s[56:57], s[52:53], exec
	s_or_b64 s[46:47], s[46:47], s[56:57]
	s_andn2_b64 exec, exec, s[44:45]
	s_cbranch_execz .LBB9_1051
.LBB9_1049:                             ; =>This Inner Loop Header: Depth=1
	global_load_ubyte v51, v[4:5], off
	global_load_ubyte v52, v[6:7], off
	s_andn2_b64 s[52:53], s[52:53], exec
	s_or_b64 s[48:49], s[48:49], exec
	s_waitcnt vmcnt(0)
	v_cmp_le_u16_sdwa s[58:59], v51, v52 src0_sel:BYTE_0 src1_sel:BYTE_0
	v_cmp_lt_u16_sdwa s[56:57], v51, v52 src0_sel:BYTE_0 src1_sel:BYTE_0
	s_and_b64 s[58:59], s[58:59], s[54:55]
	s_or_b64 s[56:57], s[56:57], s[58:59]
	s_and_b64 s[58:59], s[56:57], exec
	v_cmp_eq_u16_sdwa s[60:61], v51, v52 src0_sel:BYTE_0 src1_sel:BYTE_0
	s_or_b64 s[52:53], s[52:53], s[58:59]
	s_and_saveexec_b64 s[58:59], s[60:61]
	s_cbranch_execz .LBB9_1048
; %bb.1050:                             ;   in Loop: Header=BB9_1049 Depth=1
	s_add_u32 s50, s50, -1
	s_addc_u32 s51, s51, -1
	s_cmp_eq_u64 s[50:51], 0
	s_cselect_b64 s[54:55], -1, 0
	s_andn2_b64 s[48:49], s[48:49], exec
	s_and_b64 s[54:55], s[54:55], exec
	v_lshl_add_u64 v[4:5], v[4:5], 0, 1
	v_lshl_add_u64 v[6:7], v[6:7], 0, 1
	s_andn2_b64 s[52:53], s[52:53], exec
	s_or_b64 s[48:49], s[48:49], s[54:55]
                                        ; implicit-def: $sgpr54_sgpr55
	s_branch .LBB9_1048
.LBB9_1051:
	s_or_b64 exec, exec, s[44:45]
	s_xor_b64 s[44:45], s[46:47], -1
	s_branch .LBB9_1053
.LBB9_1052:
	s_mov_b64 s[44:45], -1
.LBB9_1053:
	s_and_b64 s[44:45], s[44:45], exec
.LBB9_1054:
	s_or_b64 exec, exec, s[24:25]
	s_orn2_b64 s[24:25], s[44:45], exec
.LBB9_1055:
	s_or_b64 exec, exec, s[42:43]
	v_cndmask_b32_e64 v4, v48, v47, s[24:25]
	v_cndmask_b32_e64 v5, v25, v24, s[24:25]
	;; [unrolled: 1-line block ×4, first 2 shown]
	v_add_u32_e32 v37, 1, v4
	v_add_u32_e32 v4, -1, v5
	v_min_u32_e32 v4, v37, v4
	v_lshl_add_u32 v4, v4, 3, v33
	v_cndmask_b32_e64 v11, v10, v11, s[18:19]
	v_cndmask_b32_e64 v10, v17, v23, s[18:19]
	;; [unrolled: 1-line block ×4, first 2 shown]
	ds_read_b64 v[22:23], v4
	v_cndmask_b32_e64 v14, v2, v0, s[16:17]
	v_cndmask_b32_e64 v0, v37, v48, s[24:25]
	;; [unrolled: 1-line block ×9, first 2 shown]
	s_waitcnt lgkmcnt(0)
	v_cndmask_b32_e64 v5, v49, v23, s[24:25]
	v_cndmask_b32_e64 v4, v50, v22, s[24:25]
	v_cmp_lt_u32_e32 vcc, v0, v25
	s_and_saveexec_b64 s[2:3], vcc
	s_cbranch_execz .LBB9_1065
; %bb.1056:
	v_cndmask_b32_e64 v0, v22, v46, s[24:25]
	v_cndmask_b32_e64 v22, v47, v37, s[24:25]
	;; [unrolled: 1-line block ×3, first 2 shown]
	v_cmp_lt_u32_e32 vcc, v22, v24
	s_and_saveexec_b64 s[16:17], vcc
	s_cbranch_execz .LBB9_1064
; %bb.1057:
	s_andn2_b64 vcc, exec, s[40:41]
	s_cbranch_vccnz .LBB9_1063
; %bb.1058:
	v_mov_b64_e32 v[24:25], s[38:39]
	v_mad_u64_u32 v[22:23], s[18:19], v0, s36, v[24:25]
	v_mul_lo_u32 v37, v0, s37
	v_mul_lo_u32 v38, v1, s36
	v_add3_u32 v23, v38, v23, v37
	v_mad_u64_u32 v[24:25], s[18:19], v4, s36, v[24:25]
	v_mul_lo_u32 v37, v4, s37
	v_mul_lo_u32 v38, v5, s36
	v_add3_u32 v25, v38, v25, v37
	s_mov_b64 s[18:19], 0
	s_mov_b64 s[24:25], s[36:37]
                                        ; implicit-def: $sgpr20_sgpr21
                                        ; implicit-def: $sgpr22_sgpr23
                                        ; implicit-def: $sgpr26_sgpr27
                                        ; implicit-def: $sgpr42_sgpr43
	s_branch .LBB9_1060
.LBB9_1059:                             ;   in Loop: Header=BB9_1060 Depth=1
	s_or_b64 exec, exec, s[46:47]
	s_and_b64 s[46:47], exec, s[22:23]
	s_or_b64 s[18:19], s[46:47], s[18:19]
	s_andn2_b64 s[42:43], s[42:43], exec
	s_and_b64 s[44:45], s[44:45], exec
	s_or_b64 s[42:43], s[42:43], s[44:45]
	s_andn2_b64 s[20:21], s[20:21], exec
	s_and_b64 s[44:45], s[26:27], exec
	s_or_b64 s[20:21], s[20:21], s[44:45]
	s_andn2_b64 exec, exec, s[18:19]
	s_cbranch_execz .LBB9_1062
.LBB9_1060:                             ; =>This Inner Loop Header: Depth=1
	global_load_ubyte v37, v[22:23], off
	global_load_ubyte v38, v[24:25], off
	s_andn2_b64 s[26:27], s[26:27], exec
	s_or_b64 s[22:23], s[22:23], exec
	s_waitcnt vmcnt(0)
	v_cmp_le_u16_sdwa s[46:47], v37, v38 src0_sel:BYTE_0 src1_sel:BYTE_0
	v_cmp_lt_u16_sdwa s[44:45], v37, v38 src0_sel:BYTE_0 src1_sel:BYTE_0
	s_and_b64 s[46:47], s[46:47], s[42:43]
	s_or_b64 s[44:45], s[44:45], s[46:47]
	s_and_b64 s[46:47], s[44:45], exec
	v_cmp_eq_u16_sdwa s[48:49], v37, v38 src0_sel:BYTE_0 src1_sel:BYTE_0
	s_or_b64 s[26:27], s[26:27], s[46:47]
	s_and_saveexec_b64 s[46:47], s[48:49]
	s_cbranch_execz .LBB9_1059
; %bb.1061:                             ;   in Loop: Header=BB9_1060 Depth=1
	s_add_u32 s24, s24, -1
	s_addc_u32 s25, s25, -1
	s_cmp_eq_u64 s[24:25], 0
	s_cselect_b64 s[42:43], -1, 0
	s_andn2_b64 s[22:23], s[22:23], exec
	s_and_b64 s[42:43], s[42:43], exec
	v_lshl_add_u64 v[22:23], v[22:23], 0, 1
	v_lshl_add_u64 v[24:25], v[24:25], 0, 1
	s_andn2_b64 s[26:27], s[26:27], exec
	s_or_b64 s[22:23], s[22:23], s[42:43]
                                        ; implicit-def: $sgpr42_sgpr43
	s_branch .LBB9_1059
.LBB9_1062:
	s_or_b64 exec, exec, s[18:19]
	v_cndmask_b32_e64 v5, v5, v1, s[20:21]
	v_cndmask_b32_e64 v4, v4, v0, s[20:21]
.LBB9_1063:
	v_mov_b64_e32 v[0:1], v[4:5]
.LBB9_1064:
	s_or_b64 exec, exec, s[16:17]
	v_mov_b64_e32 v[4:5], v[0:1]
.LBB9_1065:
	s_or_b64 exec, exec, s[2:3]
.LBB9_1066:
	s_or_b64 exec, exec, s[14:15]
	v_and_b32_e32 v39, 0x3e0, v35
	v_or_b32_e32 v0, 16, v39
	v_min_u32_e32 v24, v34, v0
	v_add_u32_e32 v0, 16, v24
	v_min_u32_e32 v25, v34, v0
	v_and_b32_e32 v0, 24, v35
	v_min_u32_e32 v40, v34, v0
	v_sub_u32_e32 v0, v24, v39
	v_sub_u32_e32 v1, v25, v24
	v_sub_u32_e64 v38, v40, v1 clamp
	v_min_u32_e32 v41, v40, v0
	v_lshl_add_u32 v37, v39, 3, v33
	v_cmp_lt_u32_e32 vcc, v38, v41
	; wave barrier
	ds_write_b128 v36, v[14:17]
	ds_write_b128 v36, v[10:13] offset:16
	ds_write_b128 v36, v[6:9] offset:32
	ds_write_b128 v36, v[2:5] offset:48
	; wave barrier
	s_and_saveexec_b64 s[2:3], vcc
	s_cbranch_execz .LBB9_1076
; %bb.1067:
	v_lshlrev_b32_e32 v0, 3, v24
	v_lshlrev_b32_e32 v1, 3, v40
	v_add3_u32 v42, v33, v0, v1
	v_cndmask_b32_e64 v0, 0, 1, s[40:41]
	s_mov_b64 s[16:17], 0
	v_cmp_ne_u32_e64 s[14:15], 1, v0
	s_branch .LBB9_1070
.LBB9_1068:                             ;   in Loop: Header=BB9_1070 Depth=1
	s_or_b64 exec, exec, s[20:21]
.LBB9_1069:                             ;   in Loop: Header=BB9_1070 Depth=1
	v_add_u32_e32 v0, 1, v43
	v_cndmask_b32_e64 v41, v41, v43, s[18:19]
	v_cndmask_b32_e64 v38, v0, v38, s[18:19]
	v_cmp_ge_u32_e32 vcc, v38, v41
	s_or_b64 s[16:17], vcc, s[16:17]
	s_andn2_b64 exec, exec, s[16:17]
	s_cbranch_execz .LBB9_1075
.LBB9_1070:                             ; =>This Loop Header: Depth=1
                                        ;     Child Loop BB9_1073 Depth 2
	v_add_u32_e32 v0, v41, v38
	v_lshrrev_b32_e32 v43, 1, v0
	s_and_b64 vcc, exec, s[14:15]
	s_mov_b64 s[18:19], 0
	s_cbranch_vccnz .LBB9_1069
; %bb.1071:                             ;   in Loop: Header=BB9_1070 Depth=1
	v_not_b32_e32 v0, v43
	v_lshl_add_u32 v0, v0, 3, v42
	ds_read_b64 v[0:1], v0
	v_lshl_add_u32 v44, v43, 3, v37
	ds_read_b64 v[44:45], v44
	v_mov_b64_e32 v[22:23], s[38:39]
	s_mov_b64 s[20:21], 0
	s_waitcnt lgkmcnt(1)
	v_mul_lo_u32 v46, v0, s37
	v_mul_lo_u32 v47, v1, s36
	v_mad_u64_u32 v[0:1], s[18:19], v0, s36, v[22:23]
	v_add3_u32 v1, v47, v1, v46
	s_waitcnt lgkmcnt(0)
	v_mul_lo_u32 v46, v44, s37
	v_mul_lo_u32 v45, v45, s36
	v_mad_u64_u32 v[22:23], s[18:19], v44, s36, v[22:23]
	v_add3_u32 v23, v45, v23, v46
	s_mov_b64 s[24:25], s[36:37]
                                        ; implicit-def: $sgpr18_sgpr19
                                        ; implicit-def: $sgpr22_sgpr23
                                        ; implicit-def: $sgpr26_sgpr27
                                        ; implicit-def: $sgpr42_sgpr43
	s_branch .LBB9_1073
.LBB9_1072:                             ;   in Loop: Header=BB9_1073 Depth=2
	s_or_b64 exec, exec, s[46:47]
	s_and_b64 s[46:47], exec, s[22:23]
	s_or_b64 s[20:21], s[46:47], s[20:21]
	s_andn2_b64 s[42:43], s[42:43], exec
	s_and_b64 s[44:45], s[44:45], exec
	s_or_b64 s[42:43], s[42:43], s[44:45]
	s_andn2_b64 s[18:19], s[18:19], exec
	s_and_b64 s[44:45], s[26:27], exec
	s_or_b64 s[18:19], s[18:19], s[44:45]
	s_andn2_b64 exec, exec, s[20:21]
	s_cbranch_execz .LBB9_1068
.LBB9_1073:                             ;   Parent Loop BB9_1070 Depth=1
                                        ; =>  This Inner Loop Header: Depth=2
	global_load_ubyte v44, v[0:1], off
	global_load_ubyte v45, v[22:23], off
	s_andn2_b64 s[26:27], s[26:27], exec
	s_or_b64 s[22:23], s[22:23], exec
	s_waitcnt vmcnt(0)
	v_cmp_le_u16_sdwa s[46:47], v44, v45 src0_sel:BYTE_0 src1_sel:BYTE_0
	v_cmp_lt_u16_sdwa s[44:45], v44, v45 src0_sel:BYTE_0 src1_sel:BYTE_0
	s_and_b64 s[46:47], s[46:47], s[42:43]
	s_or_b64 s[44:45], s[44:45], s[46:47]
	s_and_b64 s[46:47], s[44:45], exec
	v_cmp_eq_u16_sdwa s[48:49], v44, v45 src0_sel:BYTE_0 src1_sel:BYTE_0
	s_or_b64 s[26:27], s[26:27], s[46:47]
	s_and_saveexec_b64 s[46:47], s[48:49]
	s_cbranch_execz .LBB9_1072
; %bb.1074:                             ;   in Loop: Header=BB9_1073 Depth=2
	s_add_u32 s24, s24, -1
	s_addc_u32 s25, s25, -1
	s_cmp_eq_u64 s[24:25], 0
	s_cselect_b64 s[42:43], -1, 0
	s_andn2_b64 s[22:23], s[22:23], exec
	s_and_b64 s[42:43], s[42:43], exec
	v_lshl_add_u64 v[0:1], v[0:1], 0, 1
	v_lshl_add_u64 v[22:23], v[22:23], 0, 1
	s_andn2_b64 s[26:27], s[26:27], exec
	s_or_b64 s[22:23], s[22:23], s[42:43]
                                        ; implicit-def: $sgpr42_sgpr43
	s_branch .LBB9_1072
.LBB9_1075:
	s_or_b64 exec, exec, s[16:17]
.LBB9_1076:
	s_or_b64 exec, exec, s[2:3]
	v_add_u32_e32 v0, v24, v40
	v_add_u32_e32 v23, v38, v39
	v_sub_u32_e32 v39, v0, v38
	v_cmp_le_u32_e32 vcc, v23, v24
	v_cmp_le_u32_e64 s[2:3], v39, v25
	s_or_b64 s[2:3], vcc, s[2:3]
	s_and_saveexec_b64 s[14:15], s[2:3]
	s_cbranch_execz .LBB9_1167
; %bb.1077:
	v_cmp_ge_u32_e32 vcc, v23, v24
	v_cmp_lt_u32_e64 s[2:3], v23, v24
                                        ; implicit-def: $vgpr0_vgpr1
	s_and_saveexec_b64 s[16:17], s[2:3]
; %bb.1078:
	v_lshl_add_u32 v0, v38, 3, v37
	ds_read_b64 v[0:1], v0
; %bb.1079:
	s_or_b64 exec, exec, s[16:17]
	v_cmp_ge_u32_e64 s[16:17], v39, v25
	v_cmp_lt_u32_e64 s[2:3], v39, v25
                                        ; implicit-def: $vgpr2_vgpr3
	s_and_saveexec_b64 s[18:19], s[2:3]
; %bb.1080:
	v_lshl_add_u32 v2, v39, 3, v33
	ds_read_b64 v[2:3], v2
; %bb.1081:
	s_or_b64 exec, exec, s[18:19]
	s_nor_b64 s[18:19], vcc, s[16:17]
	s_and_saveexec_b64 s[2:3], s[18:19]
	s_cbranch_execz .LBB9_1090
; %bb.1082:
	s_andn2_b64 vcc, exec, s[40:41]
	s_cbranch_vccnz .LBB9_1088
; %bb.1083:
	v_mov_b64_e32 v[6:7], s[38:39]
	s_waitcnt lgkmcnt(0)
	v_mad_u64_u32 v[4:5], s[18:19], v2, s36, v[6:7]
	v_mul_lo_u32 v8, v2, s37
	v_mul_lo_u32 v9, v3, s36
	v_add3_u32 v5, v9, v5, v8
	v_mad_u64_u32 v[6:7], s[18:19], v0, s36, v[6:7]
	v_mul_lo_u32 v8, v0, s37
	v_mul_lo_u32 v9, v1, s36
	v_add3_u32 v7, v9, v7, v8
	s_mov_b64 s[18:19], 0
	s_mov_b64 s[24:25], s[36:37]
                                        ; implicit-def: $sgpr20_sgpr21
                                        ; implicit-def: $sgpr22_sgpr23
                                        ; implicit-def: $sgpr26_sgpr27
                                        ; implicit-def: $sgpr42_sgpr43
	s_branch .LBB9_1085
.LBB9_1084:                             ;   in Loop: Header=BB9_1085 Depth=1
	s_or_b64 exec, exec, s[46:47]
	s_and_b64 s[46:47], exec, s[22:23]
	s_or_b64 s[18:19], s[46:47], s[18:19]
	s_andn2_b64 s[42:43], s[42:43], exec
	s_and_b64 s[44:45], s[44:45], exec
	s_or_b64 s[42:43], s[42:43], s[44:45]
	s_andn2_b64 s[20:21], s[20:21], exec
	s_and_b64 s[44:45], s[26:27], exec
	s_or_b64 s[20:21], s[20:21], s[44:45]
	s_andn2_b64 exec, exec, s[18:19]
	s_cbranch_execz .LBB9_1087
.LBB9_1085:                             ; =>This Inner Loop Header: Depth=1
	global_load_ubyte v8, v[4:5], off
	global_load_ubyte v9, v[6:7], off
	s_andn2_b64 s[26:27], s[26:27], exec
	s_or_b64 s[22:23], s[22:23], exec
	s_waitcnt vmcnt(0)
	v_cmp_le_u16_sdwa s[46:47], v8, v9 src0_sel:BYTE_0 src1_sel:BYTE_0
	v_cmp_lt_u16_sdwa s[44:45], v8, v9 src0_sel:BYTE_0 src1_sel:BYTE_0
	s_and_b64 s[46:47], s[46:47], s[42:43]
	s_or_b64 s[44:45], s[44:45], s[46:47]
	s_and_b64 s[46:47], s[44:45], exec
	v_cmp_eq_u16_sdwa s[48:49], v8, v9 src0_sel:BYTE_0 src1_sel:BYTE_0
	s_or_b64 s[26:27], s[26:27], s[46:47]
	s_and_saveexec_b64 s[46:47], s[48:49]
	s_cbranch_execz .LBB9_1084
; %bb.1086:                             ;   in Loop: Header=BB9_1085 Depth=1
	s_add_u32 s24, s24, -1
	s_addc_u32 s25, s25, -1
	s_cmp_eq_u64 s[24:25], 0
	s_cselect_b64 s[42:43], -1, 0
	s_andn2_b64 s[22:23], s[22:23], exec
	s_and_b64 s[42:43], s[42:43], exec
	v_lshl_add_u64 v[4:5], v[4:5], 0, 1
	v_lshl_add_u64 v[6:7], v[6:7], 0, 1
	s_andn2_b64 s[26:27], s[26:27], exec
	s_or_b64 s[22:23], s[22:23], s[42:43]
                                        ; implicit-def: $sgpr42_sgpr43
	s_branch .LBB9_1084
.LBB9_1087:
	s_or_b64 exec, exec, s[18:19]
	s_xor_b64 s[18:19], s[20:21], -1
	s_branch .LBB9_1089
.LBB9_1088:
	s_mov_b64 s[18:19], -1
.LBB9_1089:
	s_andn2_b64 s[16:17], s[16:17], exec
	s_and_b64 s[18:19], s[18:19], exec
	s_or_b64 s[16:17], s[16:17], s[18:19]
.LBB9_1090:
	s_or_b64 exec, exec, s[2:3]
	v_cndmask_b32_e64 v4, v39, v23, s[16:17]
	v_cndmask_b32_e64 v5, v25, v24, s[16:17]
	v_add_u32_e32 v6, 1, v4
	v_add_u32_e32 v4, -1, v5
	v_min_u32_e32 v4, v6, v4
	v_lshl_add_u32 v4, v4, 3, v33
	ds_read_b64 v[4:5], v4
	v_cndmask_b32_e64 v8, v6, v39, s[16:17]
	v_cndmask_b32_e64 v9, v23, v6, s[16:17]
	v_cmp_lt_u32_e32 vcc, v8, v25
	s_mov_b64 s[18:19], -1
	s_waitcnt lgkmcnt(0)
	v_cndmask_b32_e64 v14, v5, v3, s[16:17]
	v_cndmask_b32_e64 v15, v4, v2, s[16:17]
	v_cndmask_b32_e64 v16, v1, v5, s[16:17]
	v_cndmask_b32_e64 v22, v0, v4, s[16:17]
	s_mov_b64 s[2:3], -1
	s_and_saveexec_b64 s[20:21], vcc
	s_cbranch_execz .LBB9_1101
; %bb.1091:
	v_cmp_lt_u32_e32 vcc, v9, v24
	s_mov_b64 s[22:23], 0
	s_and_saveexec_b64 s[2:3], vcc
	s_cbranch_execz .LBB9_1100
; %bb.1092:
	s_andn2_b64 vcc, exec, s[40:41]
	s_cbranch_vccnz .LBB9_1098
; %bb.1093:
	v_mov_b64_e32 v[6:7], s[38:39]
	v_mad_u64_u32 v[4:5], s[22:23], v15, s36, v[6:7]
	v_mul_lo_u32 v10, v15, s37
	v_mul_lo_u32 v11, v14, s36
	v_add3_u32 v5, v11, v5, v10
	v_mad_u64_u32 v[6:7], s[22:23], v22, s36, v[6:7]
	v_mul_lo_u32 v10, v22, s37
	v_mul_lo_u32 v11, v16, s36
	v_add3_u32 v7, v11, v7, v10
	s_mov_b64 s[22:23], 0
	s_mov_b64 s[42:43], s[36:37]
                                        ; implicit-def: $sgpr24_sgpr25
                                        ; implicit-def: $sgpr26_sgpr27
                                        ; implicit-def: $sgpr44_sgpr45
                                        ; implicit-def: $sgpr46_sgpr47
	s_branch .LBB9_1095
.LBB9_1094:                             ;   in Loop: Header=BB9_1095 Depth=1
	s_or_b64 exec, exec, s[50:51]
	s_and_b64 s[50:51], exec, s[26:27]
	s_or_b64 s[22:23], s[50:51], s[22:23]
	s_andn2_b64 s[46:47], s[46:47], exec
	s_and_b64 s[48:49], s[48:49], exec
	s_or_b64 s[46:47], s[46:47], s[48:49]
	s_andn2_b64 s[24:25], s[24:25], exec
	s_and_b64 s[48:49], s[44:45], exec
	s_or_b64 s[24:25], s[24:25], s[48:49]
	s_andn2_b64 exec, exec, s[22:23]
	s_cbranch_execz .LBB9_1097
.LBB9_1095:                             ; =>This Inner Loop Header: Depth=1
	global_load_ubyte v10, v[4:5], off
	global_load_ubyte v11, v[6:7], off
	s_andn2_b64 s[44:45], s[44:45], exec
	s_or_b64 s[26:27], s[26:27], exec
	s_waitcnt vmcnt(0)
	v_cmp_le_u16_sdwa s[50:51], v10, v11 src0_sel:BYTE_0 src1_sel:BYTE_0
	v_cmp_lt_u16_sdwa s[48:49], v10, v11 src0_sel:BYTE_0 src1_sel:BYTE_0
	s_and_b64 s[50:51], s[50:51], s[46:47]
	s_or_b64 s[48:49], s[48:49], s[50:51]
	s_and_b64 s[50:51], s[48:49], exec
	v_cmp_eq_u16_sdwa s[52:53], v10, v11 src0_sel:BYTE_0 src1_sel:BYTE_0
	s_or_b64 s[44:45], s[44:45], s[50:51]
	s_and_saveexec_b64 s[50:51], s[52:53]
	s_cbranch_execz .LBB9_1094
; %bb.1096:                             ;   in Loop: Header=BB9_1095 Depth=1
	s_add_u32 s42, s42, -1
	s_addc_u32 s43, s43, -1
	s_cmp_eq_u64 s[42:43], 0
	s_cselect_b64 s[46:47], -1, 0
	s_andn2_b64 s[26:27], s[26:27], exec
	s_and_b64 s[46:47], s[46:47], exec
	v_lshl_add_u64 v[4:5], v[4:5], 0, 1
	v_lshl_add_u64 v[6:7], v[6:7], 0, 1
	s_andn2_b64 s[44:45], s[44:45], exec
	s_or_b64 s[26:27], s[26:27], s[46:47]
                                        ; implicit-def: $sgpr46_sgpr47
	s_branch .LBB9_1094
.LBB9_1097:
	s_or_b64 exec, exec, s[22:23]
	s_xor_b64 s[22:23], s[24:25], -1
	s_branch .LBB9_1099
.LBB9_1098:
	s_mov_b64 s[22:23], -1
.LBB9_1099:
	s_and_b64 s[22:23], s[22:23], exec
.LBB9_1100:
	s_or_b64 exec, exec, s[2:3]
	s_orn2_b64 s[2:3], s[22:23], exec
.LBB9_1101:
	s_or_b64 exec, exec, s[20:21]
	v_cndmask_b32_e64 v4, v8, v9, s[2:3]
	v_cndmask_b32_e64 v5, v25, v24, s[2:3]
	v_add_u32_e32 v6, 1, v4
	v_add_u32_e32 v4, -1, v5
	v_min_u32_e32 v4, v6, v4
	v_lshl_add_u32 v4, v4, 3, v33
	ds_read_b64 v[4:5], v4
	v_cndmask_b32_e64 v8, v6, v8, s[2:3]
	v_cndmask_b32_e64 v9, v9, v6, s[2:3]
	v_cmp_lt_u32_e32 vcc, v8, v25
	s_waitcnt lgkmcnt(0)
	v_cndmask_b32_e64 v10, v5, v14, s[2:3]
	v_cndmask_b32_e64 v17, v4, v15, s[2:3]
	;; [unrolled: 1-line block ×4, first 2 shown]
	s_and_saveexec_b64 s[20:21], vcc
	s_cbranch_execz .LBB9_1112
; %bb.1102:
	v_cmp_lt_u32_e32 vcc, v9, v24
	s_mov_b64 s[22:23], 0
	s_and_saveexec_b64 s[18:19], vcc
	s_cbranch_execz .LBB9_1111
; %bb.1103:
	s_andn2_b64 vcc, exec, s[40:41]
	s_cbranch_vccnz .LBB9_1109
; %bb.1104:
	v_mov_b64_e32 v[6:7], s[38:39]
	v_mad_u64_u32 v[4:5], s[22:23], v17, s36, v[6:7]
	v_mul_lo_u32 v12, v17, s37
	v_mul_lo_u32 v13, v10, s36
	v_add3_u32 v5, v13, v5, v12
	v_mad_u64_u32 v[6:7], s[22:23], v23, s36, v[6:7]
	v_mul_lo_u32 v12, v23, s37
	v_mul_lo_u32 v13, v11, s36
	v_add3_u32 v7, v13, v7, v12
	s_mov_b64 s[22:23], 0
	s_mov_b64 s[42:43], s[36:37]
                                        ; implicit-def: $sgpr24_sgpr25
                                        ; implicit-def: $sgpr26_sgpr27
                                        ; implicit-def: $sgpr44_sgpr45
                                        ; implicit-def: $sgpr46_sgpr47
	s_branch .LBB9_1106
.LBB9_1105:                             ;   in Loop: Header=BB9_1106 Depth=1
	s_or_b64 exec, exec, s[50:51]
	s_and_b64 s[50:51], exec, s[26:27]
	s_or_b64 s[22:23], s[50:51], s[22:23]
	s_andn2_b64 s[46:47], s[46:47], exec
	s_and_b64 s[48:49], s[48:49], exec
	s_or_b64 s[46:47], s[46:47], s[48:49]
	s_andn2_b64 s[24:25], s[24:25], exec
	s_and_b64 s[48:49], s[44:45], exec
	s_or_b64 s[24:25], s[24:25], s[48:49]
	s_andn2_b64 exec, exec, s[22:23]
	s_cbranch_execz .LBB9_1108
.LBB9_1106:                             ; =>This Inner Loop Header: Depth=1
	global_load_ubyte v12, v[4:5], off
	global_load_ubyte v13, v[6:7], off
	s_andn2_b64 s[44:45], s[44:45], exec
	s_or_b64 s[26:27], s[26:27], exec
	s_waitcnt vmcnt(0)
	v_cmp_le_u16_sdwa s[50:51], v12, v13 src0_sel:BYTE_0 src1_sel:BYTE_0
	v_cmp_lt_u16_sdwa s[48:49], v12, v13 src0_sel:BYTE_0 src1_sel:BYTE_0
	s_and_b64 s[50:51], s[50:51], s[46:47]
	s_or_b64 s[48:49], s[48:49], s[50:51]
	s_and_b64 s[50:51], s[48:49], exec
	v_cmp_eq_u16_sdwa s[52:53], v12, v13 src0_sel:BYTE_0 src1_sel:BYTE_0
	s_or_b64 s[44:45], s[44:45], s[50:51]
	s_and_saveexec_b64 s[50:51], s[52:53]
	s_cbranch_execz .LBB9_1105
; %bb.1107:                             ;   in Loop: Header=BB9_1106 Depth=1
	s_add_u32 s42, s42, -1
	s_addc_u32 s43, s43, -1
	s_cmp_eq_u64 s[42:43], 0
	s_cselect_b64 s[46:47], -1, 0
	s_andn2_b64 s[26:27], s[26:27], exec
	s_and_b64 s[46:47], s[46:47], exec
	v_lshl_add_u64 v[4:5], v[4:5], 0, 1
	v_lshl_add_u64 v[6:7], v[6:7], 0, 1
	s_andn2_b64 s[44:45], s[44:45], exec
	s_or_b64 s[26:27], s[26:27], s[46:47]
                                        ; implicit-def: $sgpr46_sgpr47
	s_branch .LBB9_1105
.LBB9_1108:
	s_or_b64 exec, exec, s[22:23]
	s_xor_b64 s[22:23], s[24:25], -1
	s_branch .LBB9_1110
.LBB9_1109:
	s_mov_b64 s[22:23], -1
.LBB9_1110:
	s_and_b64 s[22:23], s[22:23], exec
.LBB9_1111:
	s_or_b64 exec, exec, s[18:19]
	s_orn2_b64 s[18:19], s[22:23], exec
.LBB9_1112:
	s_or_b64 exec, exec, s[20:21]
	v_cndmask_b32_e64 v4, v8, v9, s[18:19]
	v_cndmask_b32_e64 v5, v25, v24, s[18:19]
	v_add_u32_e32 v6, 1, v4
	v_add_u32_e32 v4, -1, v5
	v_min_u32_e32 v4, v6, v4
	v_lshl_add_u32 v4, v4, 3, v33
	ds_read_b64 v[4:5], v4
	v_cndmask_b32_e64 v8, v6, v8, s[18:19]
	v_cndmask_b32_e64 v9, v9, v6, s[18:19]
	v_cmp_lt_u32_e32 vcc, v8, v25
	s_mov_b64 s[22:23], -1
	s_waitcnt lgkmcnt(0)
	v_cndmask_b32_e64 v12, v5, v10, s[18:19]
	v_cndmask_b32_e64 v37, v4, v17, s[18:19]
	;; [unrolled: 1-line block ×4, first 2 shown]
	s_mov_b64 s[20:21], -1
	s_and_saveexec_b64 s[24:25], vcc
	s_cbranch_execz .LBB9_1123
; %bb.1113:
	v_cmp_lt_u32_e32 vcc, v9, v24
	s_mov_b64 s[26:27], 0
	s_and_saveexec_b64 s[20:21], vcc
	s_cbranch_execz .LBB9_1122
; %bb.1114:
	s_andn2_b64 vcc, exec, s[40:41]
	s_cbranch_vccnz .LBB9_1120
; %bb.1115:
	v_mov_b64_e32 v[6:7], s[38:39]
	v_mad_u64_u32 v[4:5], s[26:27], v37, s36, v[6:7]
	v_mul_lo_u32 v39, v37, s37
	v_mul_lo_u32 v40, v12, s36
	v_add3_u32 v5, v40, v5, v39
	v_mad_u64_u32 v[6:7], s[26:27], v38, s36, v[6:7]
	v_mul_lo_u32 v39, v38, s37
	v_mul_lo_u32 v40, v13, s36
	v_add3_u32 v7, v40, v7, v39
	s_mov_b64 s[26:27], 0
	s_mov_b64 s[46:47], s[36:37]
                                        ; implicit-def: $sgpr42_sgpr43
                                        ; implicit-def: $sgpr44_sgpr45
                                        ; implicit-def: $sgpr48_sgpr49
                                        ; implicit-def: $sgpr50_sgpr51
	s_branch .LBB9_1117
.LBB9_1116:                             ;   in Loop: Header=BB9_1117 Depth=1
	s_or_b64 exec, exec, s[54:55]
	s_and_b64 s[54:55], exec, s[44:45]
	s_or_b64 s[26:27], s[54:55], s[26:27]
	s_andn2_b64 s[50:51], s[50:51], exec
	s_and_b64 s[52:53], s[52:53], exec
	s_or_b64 s[50:51], s[50:51], s[52:53]
	s_andn2_b64 s[42:43], s[42:43], exec
	s_and_b64 s[52:53], s[48:49], exec
	s_or_b64 s[42:43], s[42:43], s[52:53]
	s_andn2_b64 exec, exec, s[26:27]
	s_cbranch_execz .LBB9_1119
.LBB9_1117:                             ; =>This Inner Loop Header: Depth=1
	global_load_ubyte v39, v[4:5], off
	global_load_ubyte v40, v[6:7], off
	s_andn2_b64 s[48:49], s[48:49], exec
	s_or_b64 s[44:45], s[44:45], exec
	s_waitcnt vmcnt(0)
	v_cmp_le_u16_sdwa s[54:55], v39, v40 src0_sel:BYTE_0 src1_sel:BYTE_0
	v_cmp_lt_u16_sdwa s[52:53], v39, v40 src0_sel:BYTE_0 src1_sel:BYTE_0
	s_and_b64 s[54:55], s[54:55], s[50:51]
	s_or_b64 s[52:53], s[52:53], s[54:55]
	s_and_b64 s[54:55], s[52:53], exec
	v_cmp_eq_u16_sdwa s[56:57], v39, v40 src0_sel:BYTE_0 src1_sel:BYTE_0
	s_or_b64 s[48:49], s[48:49], s[54:55]
	s_and_saveexec_b64 s[54:55], s[56:57]
	s_cbranch_execz .LBB9_1116
; %bb.1118:                             ;   in Loop: Header=BB9_1117 Depth=1
	s_add_u32 s46, s46, -1
	s_addc_u32 s47, s47, -1
	s_cmp_eq_u64 s[46:47], 0
	s_cselect_b64 s[50:51], -1, 0
	s_andn2_b64 s[44:45], s[44:45], exec
	s_and_b64 s[50:51], s[50:51], exec
	v_lshl_add_u64 v[4:5], v[4:5], 0, 1
	v_lshl_add_u64 v[6:7], v[6:7], 0, 1
	s_andn2_b64 s[48:49], s[48:49], exec
	s_or_b64 s[44:45], s[44:45], s[50:51]
                                        ; implicit-def: $sgpr50_sgpr51
	s_branch .LBB9_1116
.LBB9_1119:
	s_or_b64 exec, exec, s[26:27]
	s_xor_b64 s[26:27], s[42:43], -1
	s_branch .LBB9_1121
.LBB9_1120:
	s_mov_b64 s[26:27], -1
.LBB9_1121:
	s_and_b64 s[26:27], s[26:27], exec
.LBB9_1122:
	s_or_b64 exec, exec, s[20:21]
	s_orn2_b64 s[20:21], s[26:27], exec
.LBB9_1123:
	s_or_b64 exec, exec, s[24:25]
	v_cndmask_b32_e64 v4, v8, v9, s[20:21]
	v_cndmask_b32_e64 v5, v25, v24, s[20:21]
	v_add_u32_e32 v6, 1, v4
	v_add_u32_e32 v4, -1, v5
	v_min_u32_e32 v4, v6, v4
	v_lshl_add_u32 v4, v4, 3, v33
	ds_read_b64 v[4:5], v4
	v_cndmask_b32_e64 v45, v6, v8, s[20:21]
	v_cndmask_b32_e64 v46, v9, v6, s[20:21]
	v_cmp_lt_u32_e32 vcc, v45, v25
	s_waitcnt lgkmcnt(0)
	v_cndmask_b32_e64 v39, v5, v12, s[20:21]
	v_cndmask_b32_e64 v40, v4, v37, s[20:21]
	;; [unrolled: 1-line block ×4, first 2 shown]
	s_and_saveexec_b64 s[24:25], vcc
	s_cbranch_execz .LBB9_1134
; %bb.1124:
	v_cmp_lt_u32_e32 vcc, v46, v24
	s_mov_b64 s[26:27], 0
	s_and_saveexec_b64 s[22:23], vcc
	s_cbranch_execz .LBB9_1133
; %bb.1125:
	s_andn2_b64 vcc, exec, s[40:41]
	s_cbranch_vccnz .LBB9_1131
; %bb.1126:
	v_mov_b64_e32 v[6:7], s[38:39]
	v_mad_u64_u32 v[4:5], s[26:27], v40, s36, v[6:7]
	v_mul_lo_u32 v8, v40, s37
	v_mul_lo_u32 v9, v39, s36
	v_add3_u32 v5, v9, v5, v8
	v_mad_u64_u32 v[6:7], s[26:27], v42, s36, v[6:7]
	v_mul_lo_u32 v8, v42, s37
	v_mul_lo_u32 v9, v41, s36
	v_add3_u32 v7, v9, v7, v8
	s_mov_b64 s[26:27], 0
	s_mov_b64 s[46:47], s[36:37]
                                        ; implicit-def: $sgpr42_sgpr43
                                        ; implicit-def: $sgpr44_sgpr45
                                        ; implicit-def: $sgpr48_sgpr49
                                        ; implicit-def: $sgpr50_sgpr51
	s_branch .LBB9_1128
.LBB9_1127:                             ;   in Loop: Header=BB9_1128 Depth=1
	s_or_b64 exec, exec, s[54:55]
	s_and_b64 s[54:55], exec, s[44:45]
	s_or_b64 s[26:27], s[54:55], s[26:27]
	s_andn2_b64 s[50:51], s[50:51], exec
	s_and_b64 s[52:53], s[52:53], exec
	s_or_b64 s[50:51], s[50:51], s[52:53]
	s_andn2_b64 s[42:43], s[42:43], exec
	s_and_b64 s[52:53], s[48:49], exec
	s_or_b64 s[42:43], s[42:43], s[52:53]
	s_andn2_b64 exec, exec, s[26:27]
	s_cbranch_execz .LBB9_1130
.LBB9_1128:                             ; =>This Inner Loop Header: Depth=1
	global_load_ubyte v8, v[4:5], off
	global_load_ubyte v9, v[6:7], off
	s_andn2_b64 s[48:49], s[48:49], exec
	s_or_b64 s[44:45], s[44:45], exec
	s_waitcnt vmcnt(0)
	v_cmp_le_u16_sdwa s[54:55], v8, v9 src0_sel:BYTE_0 src1_sel:BYTE_0
	v_cmp_lt_u16_sdwa s[52:53], v8, v9 src0_sel:BYTE_0 src1_sel:BYTE_0
	s_and_b64 s[54:55], s[54:55], s[50:51]
	s_or_b64 s[52:53], s[52:53], s[54:55]
	s_and_b64 s[54:55], s[52:53], exec
	v_cmp_eq_u16_sdwa s[56:57], v8, v9 src0_sel:BYTE_0 src1_sel:BYTE_0
	s_or_b64 s[48:49], s[48:49], s[54:55]
	s_and_saveexec_b64 s[54:55], s[56:57]
	s_cbranch_execz .LBB9_1127
; %bb.1129:                             ;   in Loop: Header=BB9_1128 Depth=1
	s_add_u32 s46, s46, -1
	s_addc_u32 s47, s47, -1
	s_cmp_eq_u64 s[46:47], 0
	s_cselect_b64 s[50:51], -1, 0
	s_andn2_b64 s[44:45], s[44:45], exec
	s_and_b64 s[50:51], s[50:51], exec
	v_lshl_add_u64 v[4:5], v[4:5], 0, 1
	v_lshl_add_u64 v[6:7], v[6:7], 0, 1
	s_andn2_b64 s[48:49], s[48:49], exec
	s_or_b64 s[44:45], s[44:45], s[50:51]
                                        ; implicit-def: $sgpr50_sgpr51
	s_branch .LBB9_1127
.LBB9_1130:
	s_or_b64 exec, exec, s[26:27]
	s_xor_b64 s[26:27], s[42:43], -1
	s_branch .LBB9_1132
.LBB9_1131:
	s_mov_b64 s[26:27], -1
.LBB9_1132:
	s_and_b64 s[26:27], s[26:27], exec
.LBB9_1133:
	s_or_b64 exec, exec, s[22:23]
	s_orn2_b64 s[22:23], s[26:27], exec
.LBB9_1134:
	s_or_b64 exec, exec, s[24:25]
	v_cndmask_b32_e64 v4, v45, v46, s[22:23]
	v_cndmask_b32_e64 v5, v25, v24, s[22:23]
	v_add_u32_e32 v6, 1, v4
	v_add_u32_e32 v4, -1, v5
	v_min_u32_e32 v4, v6, v4
	v_lshl_add_u32 v4, v4, 3, v33
	ds_read_b64 v[4:5], v4
	v_cndmask_b32_e64 v47, v6, v45, s[22:23]
	v_cndmask_b32_e64 v51, v46, v6, s[22:23]
	v_cmp_lt_u32_e32 vcc, v47, v25
	s_mov_b64 s[24:25], -1
	s_waitcnt lgkmcnt(0)
	v_cndmask_b32_e64 v8, v5, v39, s[22:23]
	v_cndmask_b32_e64 v43, v4, v40, s[22:23]
	;; [unrolled: 1-line block ×4, first 2 shown]
	s_mov_b64 s[26:27], -1
	s_and_saveexec_b64 s[42:43], vcc
	s_cbranch_execz .LBB9_1145
; %bb.1135:
	v_cmp_lt_u32_e32 vcc, v51, v24
	s_mov_b64 s[44:45], 0
	s_and_saveexec_b64 s[26:27], vcc
	s_cbranch_execz .LBB9_1144
; %bb.1136:
	s_andn2_b64 vcc, exec, s[40:41]
	s_cbranch_vccnz .LBB9_1142
; %bb.1137:
	v_mov_b64_e32 v[6:7], s[38:39]
	v_mad_u64_u32 v[4:5], s[44:45], v43, s36, v[6:7]
	v_mul_lo_u32 v45, v43, s37
	v_mul_lo_u32 v46, v8, s36
	v_add3_u32 v5, v46, v5, v45
	v_mad_u64_u32 v[6:7], s[44:45], v44, s36, v[6:7]
	v_mul_lo_u32 v45, v44, s37
	v_mul_lo_u32 v46, v9, s36
	v_add3_u32 v7, v46, v7, v45
	s_mov_b64 s[44:45], 0
	s_mov_b64 s[50:51], s[36:37]
                                        ; implicit-def: $sgpr46_sgpr47
                                        ; implicit-def: $sgpr48_sgpr49
                                        ; implicit-def: $sgpr52_sgpr53
                                        ; implicit-def: $sgpr54_sgpr55
	s_branch .LBB9_1139
.LBB9_1138:                             ;   in Loop: Header=BB9_1139 Depth=1
	s_or_b64 exec, exec, s[58:59]
	s_and_b64 s[58:59], exec, s[48:49]
	s_or_b64 s[44:45], s[58:59], s[44:45]
	s_andn2_b64 s[54:55], s[54:55], exec
	s_and_b64 s[56:57], s[56:57], exec
	s_or_b64 s[54:55], s[54:55], s[56:57]
	s_andn2_b64 s[46:47], s[46:47], exec
	s_and_b64 s[56:57], s[52:53], exec
	s_or_b64 s[46:47], s[46:47], s[56:57]
	s_andn2_b64 exec, exec, s[44:45]
	s_cbranch_execz .LBB9_1141
.LBB9_1139:                             ; =>This Inner Loop Header: Depth=1
	global_load_ubyte v45, v[4:5], off
	global_load_ubyte v46, v[6:7], off
	s_andn2_b64 s[52:53], s[52:53], exec
	s_or_b64 s[48:49], s[48:49], exec
	s_waitcnt vmcnt(0)
	v_cmp_le_u16_sdwa s[58:59], v45, v46 src0_sel:BYTE_0 src1_sel:BYTE_0
	v_cmp_lt_u16_sdwa s[56:57], v45, v46 src0_sel:BYTE_0 src1_sel:BYTE_0
	s_and_b64 s[58:59], s[58:59], s[54:55]
	s_or_b64 s[56:57], s[56:57], s[58:59]
	s_and_b64 s[58:59], s[56:57], exec
	v_cmp_eq_u16_sdwa s[60:61], v45, v46 src0_sel:BYTE_0 src1_sel:BYTE_0
	s_or_b64 s[52:53], s[52:53], s[58:59]
	s_and_saveexec_b64 s[58:59], s[60:61]
	s_cbranch_execz .LBB9_1138
; %bb.1140:                             ;   in Loop: Header=BB9_1139 Depth=1
	s_add_u32 s50, s50, -1
	s_addc_u32 s51, s51, -1
	s_cmp_eq_u64 s[50:51], 0
	s_cselect_b64 s[54:55], -1, 0
	s_andn2_b64 s[48:49], s[48:49], exec
	s_and_b64 s[54:55], s[54:55], exec
	v_lshl_add_u64 v[4:5], v[4:5], 0, 1
	v_lshl_add_u64 v[6:7], v[6:7], 0, 1
	s_andn2_b64 s[52:53], s[52:53], exec
	s_or_b64 s[48:49], s[48:49], s[54:55]
                                        ; implicit-def: $sgpr54_sgpr55
	s_branch .LBB9_1138
.LBB9_1141:
	s_or_b64 exec, exec, s[44:45]
	s_xor_b64 s[44:45], s[46:47], -1
	s_branch .LBB9_1143
.LBB9_1142:
	s_mov_b64 s[44:45], -1
.LBB9_1143:
	s_and_b64 s[44:45], s[44:45], exec
.LBB9_1144:
	s_or_b64 exec, exec, s[26:27]
	s_orn2_b64 s[26:27], s[44:45], exec
.LBB9_1145:
	s_or_b64 exec, exec, s[42:43]
	v_cndmask_b32_e64 v4, v47, v51, s[26:27]
	v_cndmask_b32_e64 v5, v25, v24, s[26:27]
	v_add_u32_e32 v6, 1, v4
	v_add_u32_e32 v4, -1, v5
	v_min_u32_e32 v4, v6, v4
	v_lshl_add_u32 v4, v4, 3, v33
	ds_read_b64 v[4:5], v4
	v_cndmask_b32_e64 v48, v6, v47, s[26:27]
	v_cndmask_b32_e64 v47, v51, v6, s[26:27]
	v_cmp_lt_u32_e32 vcc, v48, v25
	s_waitcnt lgkmcnt(0)
	v_cndmask_b32_e64 v45, v5, v8, s[26:27]
	v_cndmask_b32_e64 v46, v4, v43, s[26:27]
	;; [unrolled: 1-line block ×4, first 2 shown]
	s_and_saveexec_b64 s[42:43], vcc
	s_cbranch_execz .LBB9_1156
; %bb.1146:
	v_cmp_lt_u32_e32 vcc, v47, v24
	s_mov_b64 s[44:45], 0
	s_and_saveexec_b64 s[24:25], vcc
	s_cbranch_execz .LBB9_1155
; %bb.1147:
	s_andn2_b64 vcc, exec, s[40:41]
	s_cbranch_vccnz .LBB9_1153
; %bb.1148:
	v_mov_b64_e32 v[6:7], s[38:39]
	v_mad_u64_u32 v[4:5], s[44:45], v46, s36, v[6:7]
	v_mul_lo_u32 v51, v46, s37
	v_mul_lo_u32 v52, v45, s36
	v_add3_u32 v5, v52, v5, v51
	v_mad_u64_u32 v[6:7], s[44:45], v50, s36, v[6:7]
	v_mul_lo_u32 v51, v50, s37
	v_mul_lo_u32 v52, v49, s36
	v_add3_u32 v7, v52, v7, v51
	s_mov_b64 s[44:45], 0
	s_mov_b64 s[50:51], s[36:37]
                                        ; implicit-def: $sgpr46_sgpr47
                                        ; implicit-def: $sgpr48_sgpr49
                                        ; implicit-def: $sgpr52_sgpr53
                                        ; implicit-def: $sgpr54_sgpr55
	s_branch .LBB9_1150
.LBB9_1149:                             ;   in Loop: Header=BB9_1150 Depth=1
	s_or_b64 exec, exec, s[58:59]
	s_and_b64 s[58:59], exec, s[48:49]
	s_or_b64 s[44:45], s[58:59], s[44:45]
	s_andn2_b64 s[54:55], s[54:55], exec
	s_and_b64 s[56:57], s[56:57], exec
	s_or_b64 s[54:55], s[54:55], s[56:57]
	s_andn2_b64 s[46:47], s[46:47], exec
	s_and_b64 s[56:57], s[52:53], exec
	s_or_b64 s[46:47], s[46:47], s[56:57]
	s_andn2_b64 exec, exec, s[44:45]
	s_cbranch_execz .LBB9_1152
.LBB9_1150:                             ; =>This Inner Loop Header: Depth=1
	global_load_ubyte v51, v[4:5], off
	global_load_ubyte v52, v[6:7], off
	s_andn2_b64 s[52:53], s[52:53], exec
	s_or_b64 s[48:49], s[48:49], exec
	s_waitcnt vmcnt(0)
	v_cmp_le_u16_sdwa s[58:59], v51, v52 src0_sel:BYTE_0 src1_sel:BYTE_0
	v_cmp_lt_u16_sdwa s[56:57], v51, v52 src0_sel:BYTE_0 src1_sel:BYTE_0
	s_and_b64 s[58:59], s[58:59], s[54:55]
	s_or_b64 s[56:57], s[56:57], s[58:59]
	s_and_b64 s[58:59], s[56:57], exec
	v_cmp_eq_u16_sdwa s[60:61], v51, v52 src0_sel:BYTE_0 src1_sel:BYTE_0
	s_or_b64 s[52:53], s[52:53], s[58:59]
	s_and_saveexec_b64 s[58:59], s[60:61]
	s_cbranch_execz .LBB9_1149
; %bb.1151:                             ;   in Loop: Header=BB9_1150 Depth=1
	s_add_u32 s50, s50, -1
	s_addc_u32 s51, s51, -1
	s_cmp_eq_u64 s[50:51], 0
	s_cselect_b64 s[54:55], -1, 0
	s_andn2_b64 s[48:49], s[48:49], exec
	s_and_b64 s[54:55], s[54:55], exec
	v_lshl_add_u64 v[4:5], v[4:5], 0, 1
	v_lshl_add_u64 v[6:7], v[6:7], 0, 1
	s_andn2_b64 s[52:53], s[52:53], exec
	s_or_b64 s[48:49], s[48:49], s[54:55]
                                        ; implicit-def: $sgpr54_sgpr55
	s_branch .LBB9_1149
.LBB9_1152:
	s_or_b64 exec, exec, s[44:45]
	s_xor_b64 s[44:45], s[46:47], -1
	s_branch .LBB9_1154
.LBB9_1153:
	s_mov_b64 s[44:45], -1
.LBB9_1154:
	s_and_b64 s[44:45], s[44:45], exec
.LBB9_1155:
	s_or_b64 exec, exec, s[24:25]
	s_orn2_b64 s[24:25], s[44:45], exec
.LBB9_1156:
	s_or_b64 exec, exec, s[42:43]
	v_cndmask_b32_e64 v4, v48, v47, s[24:25]
	v_cndmask_b32_e64 v5, v25, v24, s[24:25]
	;; [unrolled: 1-line block ×4, first 2 shown]
	v_add_u32_e32 v37, 1, v4
	v_add_u32_e32 v4, -1, v5
	v_min_u32_e32 v4, v37, v4
	v_lshl_add_u32 v4, v4, 3, v33
	v_cndmask_b32_e64 v11, v10, v11, s[18:19]
	v_cndmask_b32_e64 v10, v17, v23, s[18:19]
	;; [unrolled: 1-line block ×4, first 2 shown]
	ds_read_b64 v[22:23], v4
	v_cndmask_b32_e64 v14, v2, v0, s[16:17]
	v_cndmask_b32_e64 v0, v37, v48, s[24:25]
	;; [unrolled: 1-line block ×9, first 2 shown]
	s_waitcnt lgkmcnt(0)
	v_cndmask_b32_e64 v5, v49, v23, s[24:25]
	v_cndmask_b32_e64 v4, v50, v22, s[24:25]
	v_cmp_lt_u32_e32 vcc, v0, v25
	s_and_saveexec_b64 s[2:3], vcc
	s_cbranch_execz .LBB9_1166
; %bb.1157:
	v_cndmask_b32_e64 v0, v22, v46, s[24:25]
	v_cndmask_b32_e64 v22, v47, v37, s[24:25]
	;; [unrolled: 1-line block ×3, first 2 shown]
	v_cmp_lt_u32_e32 vcc, v22, v24
	s_and_saveexec_b64 s[16:17], vcc
	s_cbranch_execz .LBB9_1165
; %bb.1158:
	s_andn2_b64 vcc, exec, s[40:41]
	s_cbranch_vccnz .LBB9_1164
; %bb.1159:
	v_mov_b64_e32 v[24:25], s[38:39]
	v_mad_u64_u32 v[22:23], s[18:19], v0, s36, v[24:25]
	v_mul_lo_u32 v37, v0, s37
	v_mul_lo_u32 v38, v1, s36
	v_add3_u32 v23, v38, v23, v37
	v_mad_u64_u32 v[24:25], s[18:19], v4, s36, v[24:25]
	v_mul_lo_u32 v37, v4, s37
	v_mul_lo_u32 v38, v5, s36
	v_add3_u32 v25, v38, v25, v37
	s_mov_b64 s[18:19], 0
	s_mov_b64 s[24:25], s[36:37]
                                        ; implicit-def: $sgpr20_sgpr21
                                        ; implicit-def: $sgpr22_sgpr23
                                        ; implicit-def: $sgpr26_sgpr27
                                        ; implicit-def: $sgpr42_sgpr43
	s_branch .LBB9_1161
.LBB9_1160:                             ;   in Loop: Header=BB9_1161 Depth=1
	s_or_b64 exec, exec, s[46:47]
	s_and_b64 s[46:47], exec, s[22:23]
	s_or_b64 s[18:19], s[46:47], s[18:19]
	s_andn2_b64 s[42:43], s[42:43], exec
	s_and_b64 s[44:45], s[44:45], exec
	s_or_b64 s[42:43], s[42:43], s[44:45]
	s_andn2_b64 s[20:21], s[20:21], exec
	s_and_b64 s[44:45], s[26:27], exec
	s_or_b64 s[20:21], s[20:21], s[44:45]
	s_andn2_b64 exec, exec, s[18:19]
	s_cbranch_execz .LBB9_1163
.LBB9_1161:                             ; =>This Inner Loop Header: Depth=1
	global_load_ubyte v37, v[22:23], off
	global_load_ubyte v38, v[24:25], off
	s_andn2_b64 s[26:27], s[26:27], exec
	s_or_b64 s[22:23], s[22:23], exec
	s_waitcnt vmcnt(0)
	v_cmp_le_u16_sdwa s[46:47], v37, v38 src0_sel:BYTE_0 src1_sel:BYTE_0
	v_cmp_lt_u16_sdwa s[44:45], v37, v38 src0_sel:BYTE_0 src1_sel:BYTE_0
	s_and_b64 s[46:47], s[46:47], s[42:43]
	s_or_b64 s[44:45], s[44:45], s[46:47]
	s_and_b64 s[46:47], s[44:45], exec
	v_cmp_eq_u16_sdwa s[48:49], v37, v38 src0_sel:BYTE_0 src1_sel:BYTE_0
	s_or_b64 s[26:27], s[26:27], s[46:47]
	s_and_saveexec_b64 s[46:47], s[48:49]
	s_cbranch_execz .LBB9_1160
; %bb.1162:                             ;   in Loop: Header=BB9_1161 Depth=1
	s_add_u32 s24, s24, -1
	s_addc_u32 s25, s25, -1
	s_cmp_eq_u64 s[24:25], 0
	s_cselect_b64 s[42:43], -1, 0
	s_andn2_b64 s[22:23], s[22:23], exec
	s_and_b64 s[42:43], s[42:43], exec
	v_lshl_add_u64 v[22:23], v[22:23], 0, 1
	v_lshl_add_u64 v[24:25], v[24:25], 0, 1
	s_andn2_b64 s[26:27], s[26:27], exec
	s_or_b64 s[22:23], s[22:23], s[42:43]
                                        ; implicit-def: $sgpr42_sgpr43
	s_branch .LBB9_1160
.LBB9_1163:
	s_or_b64 exec, exec, s[18:19]
	v_cndmask_b32_e64 v5, v5, v1, s[20:21]
	v_cndmask_b32_e64 v4, v4, v0, s[20:21]
.LBB9_1164:
	v_mov_b64_e32 v[0:1], v[4:5]
.LBB9_1165:
	s_or_b64 exec, exec, s[16:17]
	v_mov_b64_e32 v[4:5], v[0:1]
.LBB9_1166:
	s_or_b64 exec, exec, s[2:3]
.LBB9_1167:
	s_or_b64 exec, exec, s[14:15]
	v_and_b32_e32 v39, 0x3c0, v35
	v_or_b32_e32 v0, 32, v39
	v_min_u32_e32 v24, v34, v0
	v_add_u32_e32 v0, 32, v24
	v_min_u32_e32 v25, v34, v0
	v_and_b32_e32 v0, 56, v35
	v_min_u32_e32 v40, v34, v0
	v_sub_u32_e32 v0, v24, v39
	v_sub_u32_e32 v1, v25, v24
	v_sub_u32_e64 v38, v40, v1 clamp
	v_min_u32_e32 v41, v40, v0
	v_lshl_add_u32 v37, v39, 3, v33
	v_cmp_lt_u32_e32 vcc, v38, v41
	; wave barrier
	ds_write_b128 v36, v[14:17]
	ds_write_b128 v36, v[10:13] offset:16
	ds_write_b128 v36, v[6:9] offset:32
	;; [unrolled: 1-line block ×3, first 2 shown]
	; wave barrier
	s_and_saveexec_b64 s[2:3], vcc
	s_cbranch_execz .LBB9_1177
; %bb.1168:
	v_lshlrev_b32_e32 v0, 3, v24
	v_lshlrev_b32_e32 v1, 3, v40
	v_add3_u32 v42, v33, v0, v1
	v_cndmask_b32_e64 v0, 0, 1, s[40:41]
	s_mov_b64 s[16:17], 0
	v_cmp_ne_u32_e64 s[14:15], 1, v0
	s_branch .LBB9_1171
.LBB9_1169:                             ;   in Loop: Header=BB9_1171 Depth=1
	s_or_b64 exec, exec, s[20:21]
.LBB9_1170:                             ;   in Loop: Header=BB9_1171 Depth=1
	v_add_u32_e32 v0, 1, v43
	v_cndmask_b32_e64 v41, v41, v43, s[18:19]
	v_cndmask_b32_e64 v38, v0, v38, s[18:19]
	v_cmp_ge_u32_e32 vcc, v38, v41
	s_or_b64 s[16:17], vcc, s[16:17]
	s_andn2_b64 exec, exec, s[16:17]
	s_cbranch_execz .LBB9_1176
.LBB9_1171:                             ; =>This Loop Header: Depth=1
                                        ;     Child Loop BB9_1174 Depth 2
	v_add_u32_e32 v0, v41, v38
	v_lshrrev_b32_e32 v43, 1, v0
	s_and_b64 vcc, exec, s[14:15]
	s_mov_b64 s[18:19], 0
	s_cbranch_vccnz .LBB9_1170
; %bb.1172:                             ;   in Loop: Header=BB9_1171 Depth=1
	v_not_b32_e32 v0, v43
	v_lshl_add_u32 v0, v0, 3, v42
	ds_read_b64 v[0:1], v0
	v_lshl_add_u32 v44, v43, 3, v37
	ds_read_b64 v[44:45], v44
	v_mov_b64_e32 v[22:23], s[38:39]
	s_mov_b64 s[20:21], 0
	s_waitcnt lgkmcnt(1)
	v_mul_lo_u32 v46, v0, s37
	v_mul_lo_u32 v47, v1, s36
	v_mad_u64_u32 v[0:1], s[18:19], v0, s36, v[22:23]
	v_add3_u32 v1, v47, v1, v46
	s_waitcnt lgkmcnt(0)
	v_mul_lo_u32 v46, v44, s37
	v_mul_lo_u32 v45, v45, s36
	v_mad_u64_u32 v[22:23], s[18:19], v44, s36, v[22:23]
	v_add3_u32 v23, v45, v23, v46
	s_mov_b64 s[24:25], s[36:37]
                                        ; implicit-def: $sgpr18_sgpr19
                                        ; implicit-def: $sgpr22_sgpr23
                                        ; implicit-def: $sgpr26_sgpr27
                                        ; implicit-def: $sgpr42_sgpr43
	s_branch .LBB9_1174
.LBB9_1173:                             ;   in Loop: Header=BB9_1174 Depth=2
	s_or_b64 exec, exec, s[46:47]
	s_and_b64 s[46:47], exec, s[22:23]
	s_or_b64 s[20:21], s[46:47], s[20:21]
	s_andn2_b64 s[42:43], s[42:43], exec
	s_and_b64 s[44:45], s[44:45], exec
	s_or_b64 s[42:43], s[42:43], s[44:45]
	s_andn2_b64 s[18:19], s[18:19], exec
	s_and_b64 s[44:45], s[26:27], exec
	s_or_b64 s[18:19], s[18:19], s[44:45]
	s_andn2_b64 exec, exec, s[20:21]
	s_cbranch_execz .LBB9_1169
.LBB9_1174:                             ;   Parent Loop BB9_1171 Depth=1
                                        ; =>  This Inner Loop Header: Depth=2
	global_load_ubyte v44, v[0:1], off
	global_load_ubyte v45, v[22:23], off
	s_andn2_b64 s[26:27], s[26:27], exec
	s_or_b64 s[22:23], s[22:23], exec
	s_waitcnt vmcnt(0)
	v_cmp_le_u16_sdwa s[46:47], v44, v45 src0_sel:BYTE_0 src1_sel:BYTE_0
	v_cmp_lt_u16_sdwa s[44:45], v44, v45 src0_sel:BYTE_0 src1_sel:BYTE_0
	s_and_b64 s[46:47], s[46:47], s[42:43]
	s_or_b64 s[44:45], s[44:45], s[46:47]
	s_and_b64 s[46:47], s[44:45], exec
	v_cmp_eq_u16_sdwa s[48:49], v44, v45 src0_sel:BYTE_0 src1_sel:BYTE_0
	s_or_b64 s[26:27], s[26:27], s[46:47]
	s_and_saveexec_b64 s[46:47], s[48:49]
	s_cbranch_execz .LBB9_1173
; %bb.1175:                             ;   in Loop: Header=BB9_1174 Depth=2
	s_add_u32 s24, s24, -1
	s_addc_u32 s25, s25, -1
	s_cmp_eq_u64 s[24:25], 0
	s_cselect_b64 s[42:43], -1, 0
	s_andn2_b64 s[22:23], s[22:23], exec
	s_and_b64 s[42:43], s[42:43], exec
	v_lshl_add_u64 v[0:1], v[0:1], 0, 1
	v_lshl_add_u64 v[22:23], v[22:23], 0, 1
	s_andn2_b64 s[26:27], s[26:27], exec
	s_or_b64 s[22:23], s[22:23], s[42:43]
                                        ; implicit-def: $sgpr42_sgpr43
	s_branch .LBB9_1173
.LBB9_1176:
	s_or_b64 exec, exec, s[16:17]
.LBB9_1177:
	s_or_b64 exec, exec, s[2:3]
	v_add_u32_e32 v0, v24, v40
	v_add_u32_e32 v23, v38, v39
	v_sub_u32_e32 v39, v0, v38
	v_cmp_le_u32_e32 vcc, v23, v24
	v_cmp_le_u32_e64 s[2:3], v39, v25
	s_or_b64 s[2:3], vcc, s[2:3]
	s_and_saveexec_b64 s[14:15], s[2:3]
	s_cbranch_execz .LBB9_1268
; %bb.1178:
	v_cmp_ge_u32_e32 vcc, v23, v24
	v_cmp_lt_u32_e64 s[2:3], v23, v24
                                        ; implicit-def: $vgpr0_vgpr1
	s_and_saveexec_b64 s[16:17], s[2:3]
; %bb.1179:
	v_lshl_add_u32 v0, v38, 3, v37
	ds_read_b64 v[0:1], v0
; %bb.1180:
	s_or_b64 exec, exec, s[16:17]
	v_cmp_ge_u32_e64 s[16:17], v39, v25
	v_cmp_lt_u32_e64 s[2:3], v39, v25
                                        ; implicit-def: $vgpr2_vgpr3
	s_and_saveexec_b64 s[18:19], s[2:3]
; %bb.1181:
	v_lshl_add_u32 v2, v39, 3, v33
	ds_read_b64 v[2:3], v2
; %bb.1182:
	s_or_b64 exec, exec, s[18:19]
	s_nor_b64 s[18:19], vcc, s[16:17]
	s_and_saveexec_b64 s[2:3], s[18:19]
	s_cbranch_execz .LBB9_1191
; %bb.1183:
	s_andn2_b64 vcc, exec, s[40:41]
	s_cbranch_vccnz .LBB9_1189
; %bb.1184:
	v_mov_b64_e32 v[6:7], s[38:39]
	s_waitcnt lgkmcnt(0)
	v_mad_u64_u32 v[4:5], s[18:19], v2, s36, v[6:7]
	v_mul_lo_u32 v8, v2, s37
	v_mul_lo_u32 v9, v3, s36
	v_add3_u32 v5, v9, v5, v8
	v_mad_u64_u32 v[6:7], s[18:19], v0, s36, v[6:7]
	v_mul_lo_u32 v8, v0, s37
	v_mul_lo_u32 v9, v1, s36
	v_add3_u32 v7, v9, v7, v8
	s_mov_b64 s[18:19], 0
	s_mov_b64 s[24:25], s[36:37]
                                        ; implicit-def: $sgpr20_sgpr21
                                        ; implicit-def: $sgpr22_sgpr23
                                        ; implicit-def: $sgpr26_sgpr27
                                        ; implicit-def: $sgpr42_sgpr43
	s_branch .LBB9_1186
.LBB9_1185:                             ;   in Loop: Header=BB9_1186 Depth=1
	s_or_b64 exec, exec, s[46:47]
	s_and_b64 s[46:47], exec, s[22:23]
	s_or_b64 s[18:19], s[46:47], s[18:19]
	s_andn2_b64 s[42:43], s[42:43], exec
	s_and_b64 s[44:45], s[44:45], exec
	s_or_b64 s[42:43], s[42:43], s[44:45]
	s_andn2_b64 s[20:21], s[20:21], exec
	s_and_b64 s[44:45], s[26:27], exec
	s_or_b64 s[20:21], s[20:21], s[44:45]
	s_andn2_b64 exec, exec, s[18:19]
	s_cbranch_execz .LBB9_1188
.LBB9_1186:                             ; =>This Inner Loop Header: Depth=1
	global_load_ubyte v8, v[4:5], off
	global_load_ubyte v9, v[6:7], off
	s_andn2_b64 s[26:27], s[26:27], exec
	s_or_b64 s[22:23], s[22:23], exec
	s_waitcnt vmcnt(0)
	v_cmp_le_u16_sdwa s[46:47], v8, v9 src0_sel:BYTE_0 src1_sel:BYTE_0
	v_cmp_lt_u16_sdwa s[44:45], v8, v9 src0_sel:BYTE_0 src1_sel:BYTE_0
	s_and_b64 s[46:47], s[46:47], s[42:43]
	s_or_b64 s[44:45], s[44:45], s[46:47]
	s_and_b64 s[46:47], s[44:45], exec
	v_cmp_eq_u16_sdwa s[48:49], v8, v9 src0_sel:BYTE_0 src1_sel:BYTE_0
	s_or_b64 s[26:27], s[26:27], s[46:47]
	s_and_saveexec_b64 s[46:47], s[48:49]
	s_cbranch_execz .LBB9_1185
; %bb.1187:                             ;   in Loop: Header=BB9_1186 Depth=1
	s_add_u32 s24, s24, -1
	s_addc_u32 s25, s25, -1
	s_cmp_eq_u64 s[24:25], 0
	s_cselect_b64 s[42:43], -1, 0
	s_andn2_b64 s[22:23], s[22:23], exec
	s_and_b64 s[42:43], s[42:43], exec
	v_lshl_add_u64 v[4:5], v[4:5], 0, 1
	v_lshl_add_u64 v[6:7], v[6:7], 0, 1
	s_andn2_b64 s[26:27], s[26:27], exec
	s_or_b64 s[22:23], s[22:23], s[42:43]
                                        ; implicit-def: $sgpr42_sgpr43
	s_branch .LBB9_1185
.LBB9_1188:
	s_or_b64 exec, exec, s[18:19]
	s_xor_b64 s[18:19], s[20:21], -1
	s_branch .LBB9_1190
.LBB9_1189:
	s_mov_b64 s[18:19], -1
.LBB9_1190:
	s_andn2_b64 s[16:17], s[16:17], exec
	s_and_b64 s[18:19], s[18:19], exec
	s_or_b64 s[16:17], s[16:17], s[18:19]
.LBB9_1191:
	s_or_b64 exec, exec, s[2:3]
	v_cndmask_b32_e64 v4, v39, v23, s[16:17]
	v_cndmask_b32_e64 v5, v25, v24, s[16:17]
	v_add_u32_e32 v6, 1, v4
	v_add_u32_e32 v4, -1, v5
	v_min_u32_e32 v4, v6, v4
	v_lshl_add_u32 v4, v4, 3, v33
	ds_read_b64 v[4:5], v4
	v_cndmask_b32_e64 v8, v6, v39, s[16:17]
	v_cndmask_b32_e64 v9, v23, v6, s[16:17]
	v_cmp_lt_u32_e32 vcc, v8, v25
	s_mov_b64 s[18:19], -1
	s_waitcnt lgkmcnt(0)
	v_cndmask_b32_e64 v14, v5, v3, s[16:17]
	v_cndmask_b32_e64 v15, v4, v2, s[16:17]
	;; [unrolled: 1-line block ×4, first 2 shown]
	s_mov_b64 s[2:3], -1
	s_and_saveexec_b64 s[20:21], vcc
	s_cbranch_execz .LBB9_1202
; %bb.1192:
	v_cmp_lt_u32_e32 vcc, v9, v24
	s_mov_b64 s[22:23], 0
	s_and_saveexec_b64 s[2:3], vcc
	s_cbranch_execz .LBB9_1201
; %bb.1193:
	s_andn2_b64 vcc, exec, s[40:41]
	s_cbranch_vccnz .LBB9_1199
; %bb.1194:
	v_mov_b64_e32 v[6:7], s[38:39]
	v_mad_u64_u32 v[4:5], s[22:23], v15, s36, v[6:7]
	v_mul_lo_u32 v10, v15, s37
	v_mul_lo_u32 v11, v14, s36
	v_add3_u32 v5, v11, v5, v10
	v_mad_u64_u32 v[6:7], s[22:23], v22, s36, v[6:7]
	v_mul_lo_u32 v10, v22, s37
	v_mul_lo_u32 v11, v16, s36
	v_add3_u32 v7, v11, v7, v10
	s_mov_b64 s[22:23], 0
	s_mov_b64 s[42:43], s[36:37]
                                        ; implicit-def: $sgpr24_sgpr25
                                        ; implicit-def: $sgpr26_sgpr27
                                        ; implicit-def: $sgpr44_sgpr45
                                        ; implicit-def: $sgpr46_sgpr47
	s_branch .LBB9_1196
.LBB9_1195:                             ;   in Loop: Header=BB9_1196 Depth=1
	s_or_b64 exec, exec, s[50:51]
	s_and_b64 s[50:51], exec, s[26:27]
	s_or_b64 s[22:23], s[50:51], s[22:23]
	s_andn2_b64 s[46:47], s[46:47], exec
	s_and_b64 s[48:49], s[48:49], exec
	s_or_b64 s[46:47], s[46:47], s[48:49]
	s_andn2_b64 s[24:25], s[24:25], exec
	s_and_b64 s[48:49], s[44:45], exec
	s_or_b64 s[24:25], s[24:25], s[48:49]
	s_andn2_b64 exec, exec, s[22:23]
	s_cbranch_execz .LBB9_1198
.LBB9_1196:                             ; =>This Inner Loop Header: Depth=1
	global_load_ubyte v10, v[4:5], off
	global_load_ubyte v11, v[6:7], off
	s_andn2_b64 s[44:45], s[44:45], exec
	s_or_b64 s[26:27], s[26:27], exec
	s_waitcnt vmcnt(0)
	v_cmp_le_u16_sdwa s[50:51], v10, v11 src0_sel:BYTE_0 src1_sel:BYTE_0
	v_cmp_lt_u16_sdwa s[48:49], v10, v11 src0_sel:BYTE_0 src1_sel:BYTE_0
	s_and_b64 s[50:51], s[50:51], s[46:47]
	s_or_b64 s[48:49], s[48:49], s[50:51]
	s_and_b64 s[50:51], s[48:49], exec
	v_cmp_eq_u16_sdwa s[52:53], v10, v11 src0_sel:BYTE_0 src1_sel:BYTE_0
	s_or_b64 s[44:45], s[44:45], s[50:51]
	s_and_saveexec_b64 s[50:51], s[52:53]
	s_cbranch_execz .LBB9_1195
; %bb.1197:                             ;   in Loop: Header=BB9_1196 Depth=1
	s_add_u32 s42, s42, -1
	s_addc_u32 s43, s43, -1
	s_cmp_eq_u64 s[42:43], 0
	s_cselect_b64 s[46:47], -1, 0
	s_andn2_b64 s[26:27], s[26:27], exec
	s_and_b64 s[46:47], s[46:47], exec
	v_lshl_add_u64 v[4:5], v[4:5], 0, 1
	v_lshl_add_u64 v[6:7], v[6:7], 0, 1
	s_andn2_b64 s[44:45], s[44:45], exec
	s_or_b64 s[26:27], s[26:27], s[46:47]
                                        ; implicit-def: $sgpr46_sgpr47
	s_branch .LBB9_1195
.LBB9_1198:
	s_or_b64 exec, exec, s[22:23]
	s_xor_b64 s[22:23], s[24:25], -1
	s_branch .LBB9_1200
.LBB9_1199:
	s_mov_b64 s[22:23], -1
.LBB9_1200:
	s_and_b64 s[22:23], s[22:23], exec
.LBB9_1201:
	s_or_b64 exec, exec, s[2:3]
	s_orn2_b64 s[2:3], s[22:23], exec
.LBB9_1202:
	s_or_b64 exec, exec, s[20:21]
	v_cndmask_b32_e64 v4, v8, v9, s[2:3]
	v_cndmask_b32_e64 v5, v25, v24, s[2:3]
	v_add_u32_e32 v6, 1, v4
	v_add_u32_e32 v4, -1, v5
	v_min_u32_e32 v4, v6, v4
	v_lshl_add_u32 v4, v4, 3, v33
	ds_read_b64 v[4:5], v4
	v_cndmask_b32_e64 v8, v6, v8, s[2:3]
	v_cndmask_b32_e64 v9, v9, v6, s[2:3]
	v_cmp_lt_u32_e32 vcc, v8, v25
	s_waitcnt lgkmcnt(0)
	v_cndmask_b32_e64 v10, v5, v14, s[2:3]
	v_cndmask_b32_e64 v17, v4, v15, s[2:3]
	;; [unrolled: 1-line block ×4, first 2 shown]
	s_and_saveexec_b64 s[20:21], vcc
	s_cbranch_execz .LBB9_1213
; %bb.1203:
	v_cmp_lt_u32_e32 vcc, v9, v24
	s_mov_b64 s[22:23], 0
	s_and_saveexec_b64 s[18:19], vcc
	s_cbranch_execz .LBB9_1212
; %bb.1204:
	s_andn2_b64 vcc, exec, s[40:41]
	s_cbranch_vccnz .LBB9_1210
; %bb.1205:
	v_mov_b64_e32 v[6:7], s[38:39]
	v_mad_u64_u32 v[4:5], s[22:23], v17, s36, v[6:7]
	v_mul_lo_u32 v12, v17, s37
	v_mul_lo_u32 v13, v10, s36
	v_add3_u32 v5, v13, v5, v12
	v_mad_u64_u32 v[6:7], s[22:23], v23, s36, v[6:7]
	v_mul_lo_u32 v12, v23, s37
	v_mul_lo_u32 v13, v11, s36
	v_add3_u32 v7, v13, v7, v12
	s_mov_b64 s[22:23], 0
	s_mov_b64 s[42:43], s[36:37]
                                        ; implicit-def: $sgpr24_sgpr25
                                        ; implicit-def: $sgpr26_sgpr27
                                        ; implicit-def: $sgpr44_sgpr45
                                        ; implicit-def: $sgpr46_sgpr47
	s_branch .LBB9_1207
.LBB9_1206:                             ;   in Loop: Header=BB9_1207 Depth=1
	s_or_b64 exec, exec, s[50:51]
	s_and_b64 s[50:51], exec, s[26:27]
	s_or_b64 s[22:23], s[50:51], s[22:23]
	s_andn2_b64 s[46:47], s[46:47], exec
	s_and_b64 s[48:49], s[48:49], exec
	s_or_b64 s[46:47], s[46:47], s[48:49]
	s_andn2_b64 s[24:25], s[24:25], exec
	s_and_b64 s[48:49], s[44:45], exec
	s_or_b64 s[24:25], s[24:25], s[48:49]
	s_andn2_b64 exec, exec, s[22:23]
	s_cbranch_execz .LBB9_1209
.LBB9_1207:                             ; =>This Inner Loop Header: Depth=1
	global_load_ubyte v12, v[4:5], off
	global_load_ubyte v13, v[6:7], off
	s_andn2_b64 s[44:45], s[44:45], exec
	s_or_b64 s[26:27], s[26:27], exec
	s_waitcnt vmcnt(0)
	v_cmp_le_u16_sdwa s[50:51], v12, v13 src0_sel:BYTE_0 src1_sel:BYTE_0
	v_cmp_lt_u16_sdwa s[48:49], v12, v13 src0_sel:BYTE_0 src1_sel:BYTE_0
	s_and_b64 s[50:51], s[50:51], s[46:47]
	s_or_b64 s[48:49], s[48:49], s[50:51]
	s_and_b64 s[50:51], s[48:49], exec
	v_cmp_eq_u16_sdwa s[52:53], v12, v13 src0_sel:BYTE_0 src1_sel:BYTE_0
	s_or_b64 s[44:45], s[44:45], s[50:51]
	s_and_saveexec_b64 s[50:51], s[52:53]
	s_cbranch_execz .LBB9_1206
; %bb.1208:                             ;   in Loop: Header=BB9_1207 Depth=1
	s_add_u32 s42, s42, -1
	s_addc_u32 s43, s43, -1
	s_cmp_eq_u64 s[42:43], 0
	s_cselect_b64 s[46:47], -1, 0
	s_andn2_b64 s[26:27], s[26:27], exec
	s_and_b64 s[46:47], s[46:47], exec
	v_lshl_add_u64 v[4:5], v[4:5], 0, 1
	v_lshl_add_u64 v[6:7], v[6:7], 0, 1
	s_andn2_b64 s[44:45], s[44:45], exec
	s_or_b64 s[26:27], s[26:27], s[46:47]
                                        ; implicit-def: $sgpr46_sgpr47
	s_branch .LBB9_1206
.LBB9_1209:
	s_or_b64 exec, exec, s[22:23]
	s_xor_b64 s[22:23], s[24:25], -1
	s_branch .LBB9_1211
.LBB9_1210:
	s_mov_b64 s[22:23], -1
.LBB9_1211:
	s_and_b64 s[22:23], s[22:23], exec
.LBB9_1212:
	s_or_b64 exec, exec, s[18:19]
	s_orn2_b64 s[18:19], s[22:23], exec
.LBB9_1213:
	s_or_b64 exec, exec, s[20:21]
	v_cndmask_b32_e64 v4, v8, v9, s[18:19]
	v_cndmask_b32_e64 v5, v25, v24, s[18:19]
	v_add_u32_e32 v6, 1, v4
	v_add_u32_e32 v4, -1, v5
	v_min_u32_e32 v4, v6, v4
	v_lshl_add_u32 v4, v4, 3, v33
	ds_read_b64 v[4:5], v4
	v_cndmask_b32_e64 v8, v6, v8, s[18:19]
	v_cndmask_b32_e64 v9, v9, v6, s[18:19]
	v_cmp_lt_u32_e32 vcc, v8, v25
	s_mov_b64 s[22:23], -1
	s_waitcnt lgkmcnt(0)
	v_cndmask_b32_e64 v12, v5, v10, s[18:19]
	v_cndmask_b32_e64 v37, v4, v17, s[18:19]
	;; [unrolled: 1-line block ×4, first 2 shown]
	s_mov_b64 s[20:21], -1
	s_and_saveexec_b64 s[24:25], vcc
	s_cbranch_execz .LBB9_1224
; %bb.1214:
	v_cmp_lt_u32_e32 vcc, v9, v24
	s_mov_b64 s[26:27], 0
	s_and_saveexec_b64 s[20:21], vcc
	s_cbranch_execz .LBB9_1223
; %bb.1215:
	s_andn2_b64 vcc, exec, s[40:41]
	s_cbranch_vccnz .LBB9_1221
; %bb.1216:
	v_mov_b64_e32 v[6:7], s[38:39]
	v_mad_u64_u32 v[4:5], s[26:27], v37, s36, v[6:7]
	v_mul_lo_u32 v39, v37, s37
	v_mul_lo_u32 v40, v12, s36
	v_add3_u32 v5, v40, v5, v39
	v_mad_u64_u32 v[6:7], s[26:27], v38, s36, v[6:7]
	v_mul_lo_u32 v39, v38, s37
	v_mul_lo_u32 v40, v13, s36
	v_add3_u32 v7, v40, v7, v39
	s_mov_b64 s[26:27], 0
	s_mov_b64 s[46:47], s[36:37]
                                        ; implicit-def: $sgpr42_sgpr43
                                        ; implicit-def: $sgpr44_sgpr45
                                        ; implicit-def: $sgpr48_sgpr49
                                        ; implicit-def: $sgpr50_sgpr51
	s_branch .LBB9_1218
.LBB9_1217:                             ;   in Loop: Header=BB9_1218 Depth=1
	s_or_b64 exec, exec, s[54:55]
	s_and_b64 s[54:55], exec, s[44:45]
	s_or_b64 s[26:27], s[54:55], s[26:27]
	s_andn2_b64 s[50:51], s[50:51], exec
	s_and_b64 s[52:53], s[52:53], exec
	s_or_b64 s[50:51], s[50:51], s[52:53]
	s_andn2_b64 s[42:43], s[42:43], exec
	s_and_b64 s[52:53], s[48:49], exec
	s_or_b64 s[42:43], s[42:43], s[52:53]
	s_andn2_b64 exec, exec, s[26:27]
	s_cbranch_execz .LBB9_1220
.LBB9_1218:                             ; =>This Inner Loop Header: Depth=1
	global_load_ubyte v39, v[4:5], off
	global_load_ubyte v40, v[6:7], off
	s_andn2_b64 s[48:49], s[48:49], exec
	s_or_b64 s[44:45], s[44:45], exec
	s_waitcnt vmcnt(0)
	v_cmp_le_u16_sdwa s[54:55], v39, v40 src0_sel:BYTE_0 src1_sel:BYTE_0
	v_cmp_lt_u16_sdwa s[52:53], v39, v40 src0_sel:BYTE_0 src1_sel:BYTE_0
	s_and_b64 s[54:55], s[54:55], s[50:51]
	s_or_b64 s[52:53], s[52:53], s[54:55]
	s_and_b64 s[54:55], s[52:53], exec
	v_cmp_eq_u16_sdwa s[56:57], v39, v40 src0_sel:BYTE_0 src1_sel:BYTE_0
	s_or_b64 s[48:49], s[48:49], s[54:55]
	s_and_saveexec_b64 s[54:55], s[56:57]
	s_cbranch_execz .LBB9_1217
; %bb.1219:                             ;   in Loop: Header=BB9_1218 Depth=1
	s_add_u32 s46, s46, -1
	s_addc_u32 s47, s47, -1
	s_cmp_eq_u64 s[46:47], 0
	s_cselect_b64 s[50:51], -1, 0
	s_andn2_b64 s[44:45], s[44:45], exec
	s_and_b64 s[50:51], s[50:51], exec
	v_lshl_add_u64 v[4:5], v[4:5], 0, 1
	v_lshl_add_u64 v[6:7], v[6:7], 0, 1
	s_andn2_b64 s[48:49], s[48:49], exec
	s_or_b64 s[44:45], s[44:45], s[50:51]
                                        ; implicit-def: $sgpr50_sgpr51
	s_branch .LBB9_1217
.LBB9_1220:
	s_or_b64 exec, exec, s[26:27]
	s_xor_b64 s[26:27], s[42:43], -1
	s_branch .LBB9_1222
.LBB9_1221:
	s_mov_b64 s[26:27], -1
.LBB9_1222:
	s_and_b64 s[26:27], s[26:27], exec
.LBB9_1223:
	s_or_b64 exec, exec, s[20:21]
	s_orn2_b64 s[20:21], s[26:27], exec
.LBB9_1224:
	s_or_b64 exec, exec, s[24:25]
	v_cndmask_b32_e64 v4, v8, v9, s[20:21]
	v_cndmask_b32_e64 v5, v25, v24, s[20:21]
	v_add_u32_e32 v6, 1, v4
	v_add_u32_e32 v4, -1, v5
	v_min_u32_e32 v4, v6, v4
	v_lshl_add_u32 v4, v4, 3, v33
	ds_read_b64 v[4:5], v4
	v_cndmask_b32_e64 v45, v6, v8, s[20:21]
	v_cndmask_b32_e64 v46, v9, v6, s[20:21]
	v_cmp_lt_u32_e32 vcc, v45, v25
	s_waitcnt lgkmcnt(0)
	v_cndmask_b32_e64 v39, v5, v12, s[20:21]
	v_cndmask_b32_e64 v40, v4, v37, s[20:21]
	;; [unrolled: 1-line block ×4, first 2 shown]
	s_and_saveexec_b64 s[24:25], vcc
	s_cbranch_execz .LBB9_1235
; %bb.1225:
	v_cmp_lt_u32_e32 vcc, v46, v24
	s_mov_b64 s[26:27], 0
	s_and_saveexec_b64 s[22:23], vcc
	s_cbranch_execz .LBB9_1234
; %bb.1226:
	s_andn2_b64 vcc, exec, s[40:41]
	s_cbranch_vccnz .LBB9_1232
; %bb.1227:
	v_mov_b64_e32 v[6:7], s[38:39]
	v_mad_u64_u32 v[4:5], s[26:27], v40, s36, v[6:7]
	v_mul_lo_u32 v8, v40, s37
	v_mul_lo_u32 v9, v39, s36
	v_add3_u32 v5, v9, v5, v8
	v_mad_u64_u32 v[6:7], s[26:27], v42, s36, v[6:7]
	v_mul_lo_u32 v8, v42, s37
	v_mul_lo_u32 v9, v41, s36
	v_add3_u32 v7, v9, v7, v8
	s_mov_b64 s[26:27], 0
	s_mov_b64 s[46:47], s[36:37]
                                        ; implicit-def: $sgpr42_sgpr43
                                        ; implicit-def: $sgpr44_sgpr45
                                        ; implicit-def: $sgpr48_sgpr49
                                        ; implicit-def: $sgpr50_sgpr51
	s_branch .LBB9_1229
.LBB9_1228:                             ;   in Loop: Header=BB9_1229 Depth=1
	s_or_b64 exec, exec, s[54:55]
	s_and_b64 s[54:55], exec, s[44:45]
	s_or_b64 s[26:27], s[54:55], s[26:27]
	s_andn2_b64 s[50:51], s[50:51], exec
	s_and_b64 s[52:53], s[52:53], exec
	s_or_b64 s[50:51], s[50:51], s[52:53]
	s_andn2_b64 s[42:43], s[42:43], exec
	s_and_b64 s[52:53], s[48:49], exec
	s_or_b64 s[42:43], s[42:43], s[52:53]
	s_andn2_b64 exec, exec, s[26:27]
	s_cbranch_execz .LBB9_1231
.LBB9_1229:                             ; =>This Inner Loop Header: Depth=1
	global_load_ubyte v8, v[4:5], off
	global_load_ubyte v9, v[6:7], off
	s_andn2_b64 s[48:49], s[48:49], exec
	s_or_b64 s[44:45], s[44:45], exec
	s_waitcnt vmcnt(0)
	v_cmp_le_u16_sdwa s[54:55], v8, v9 src0_sel:BYTE_0 src1_sel:BYTE_0
	v_cmp_lt_u16_sdwa s[52:53], v8, v9 src0_sel:BYTE_0 src1_sel:BYTE_0
	s_and_b64 s[54:55], s[54:55], s[50:51]
	s_or_b64 s[52:53], s[52:53], s[54:55]
	s_and_b64 s[54:55], s[52:53], exec
	v_cmp_eq_u16_sdwa s[56:57], v8, v9 src0_sel:BYTE_0 src1_sel:BYTE_0
	s_or_b64 s[48:49], s[48:49], s[54:55]
	s_and_saveexec_b64 s[54:55], s[56:57]
	s_cbranch_execz .LBB9_1228
; %bb.1230:                             ;   in Loop: Header=BB9_1229 Depth=1
	s_add_u32 s46, s46, -1
	s_addc_u32 s47, s47, -1
	s_cmp_eq_u64 s[46:47], 0
	s_cselect_b64 s[50:51], -1, 0
	s_andn2_b64 s[44:45], s[44:45], exec
	s_and_b64 s[50:51], s[50:51], exec
	v_lshl_add_u64 v[4:5], v[4:5], 0, 1
	v_lshl_add_u64 v[6:7], v[6:7], 0, 1
	s_andn2_b64 s[48:49], s[48:49], exec
	s_or_b64 s[44:45], s[44:45], s[50:51]
                                        ; implicit-def: $sgpr50_sgpr51
	s_branch .LBB9_1228
.LBB9_1231:
	s_or_b64 exec, exec, s[26:27]
	s_xor_b64 s[26:27], s[42:43], -1
	s_branch .LBB9_1233
.LBB9_1232:
	s_mov_b64 s[26:27], -1
.LBB9_1233:
	s_and_b64 s[26:27], s[26:27], exec
.LBB9_1234:
	s_or_b64 exec, exec, s[22:23]
	s_orn2_b64 s[22:23], s[26:27], exec
.LBB9_1235:
	s_or_b64 exec, exec, s[24:25]
	v_cndmask_b32_e64 v4, v45, v46, s[22:23]
	v_cndmask_b32_e64 v5, v25, v24, s[22:23]
	v_add_u32_e32 v6, 1, v4
	v_add_u32_e32 v4, -1, v5
	v_min_u32_e32 v4, v6, v4
	v_lshl_add_u32 v4, v4, 3, v33
	ds_read_b64 v[4:5], v4
	v_cndmask_b32_e64 v47, v6, v45, s[22:23]
	v_cndmask_b32_e64 v51, v46, v6, s[22:23]
	v_cmp_lt_u32_e32 vcc, v47, v25
	s_mov_b64 s[24:25], -1
	s_waitcnt lgkmcnt(0)
	v_cndmask_b32_e64 v8, v5, v39, s[22:23]
	v_cndmask_b32_e64 v43, v4, v40, s[22:23]
	v_cndmask_b32_e64 v9, v41, v5, s[22:23]
	v_cndmask_b32_e64 v44, v42, v4, s[22:23]
	s_mov_b64 s[26:27], -1
	s_and_saveexec_b64 s[42:43], vcc
	s_cbranch_execz .LBB9_1246
; %bb.1236:
	v_cmp_lt_u32_e32 vcc, v51, v24
	s_mov_b64 s[44:45], 0
	s_and_saveexec_b64 s[26:27], vcc
	s_cbranch_execz .LBB9_1245
; %bb.1237:
	s_andn2_b64 vcc, exec, s[40:41]
	s_cbranch_vccnz .LBB9_1243
; %bb.1238:
	v_mov_b64_e32 v[6:7], s[38:39]
	v_mad_u64_u32 v[4:5], s[44:45], v43, s36, v[6:7]
	v_mul_lo_u32 v45, v43, s37
	v_mul_lo_u32 v46, v8, s36
	v_add3_u32 v5, v46, v5, v45
	v_mad_u64_u32 v[6:7], s[44:45], v44, s36, v[6:7]
	v_mul_lo_u32 v45, v44, s37
	v_mul_lo_u32 v46, v9, s36
	v_add3_u32 v7, v46, v7, v45
	s_mov_b64 s[44:45], 0
	s_mov_b64 s[50:51], s[36:37]
                                        ; implicit-def: $sgpr46_sgpr47
                                        ; implicit-def: $sgpr48_sgpr49
                                        ; implicit-def: $sgpr52_sgpr53
                                        ; implicit-def: $sgpr54_sgpr55
	s_branch .LBB9_1240
.LBB9_1239:                             ;   in Loop: Header=BB9_1240 Depth=1
	s_or_b64 exec, exec, s[58:59]
	s_and_b64 s[58:59], exec, s[48:49]
	s_or_b64 s[44:45], s[58:59], s[44:45]
	s_andn2_b64 s[54:55], s[54:55], exec
	s_and_b64 s[56:57], s[56:57], exec
	s_or_b64 s[54:55], s[54:55], s[56:57]
	s_andn2_b64 s[46:47], s[46:47], exec
	s_and_b64 s[56:57], s[52:53], exec
	s_or_b64 s[46:47], s[46:47], s[56:57]
	s_andn2_b64 exec, exec, s[44:45]
	s_cbranch_execz .LBB9_1242
.LBB9_1240:                             ; =>This Inner Loop Header: Depth=1
	global_load_ubyte v45, v[4:5], off
	global_load_ubyte v46, v[6:7], off
	s_andn2_b64 s[52:53], s[52:53], exec
	s_or_b64 s[48:49], s[48:49], exec
	s_waitcnt vmcnt(0)
	v_cmp_le_u16_sdwa s[58:59], v45, v46 src0_sel:BYTE_0 src1_sel:BYTE_0
	v_cmp_lt_u16_sdwa s[56:57], v45, v46 src0_sel:BYTE_0 src1_sel:BYTE_0
	s_and_b64 s[58:59], s[58:59], s[54:55]
	s_or_b64 s[56:57], s[56:57], s[58:59]
	s_and_b64 s[58:59], s[56:57], exec
	v_cmp_eq_u16_sdwa s[60:61], v45, v46 src0_sel:BYTE_0 src1_sel:BYTE_0
	s_or_b64 s[52:53], s[52:53], s[58:59]
	s_and_saveexec_b64 s[58:59], s[60:61]
	s_cbranch_execz .LBB9_1239
; %bb.1241:                             ;   in Loop: Header=BB9_1240 Depth=1
	s_add_u32 s50, s50, -1
	s_addc_u32 s51, s51, -1
	s_cmp_eq_u64 s[50:51], 0
	s_cselect_b64 s[54:55], -1, 0
	s_andn2_b64 s[48:49], s[48:49], exec
	s_and_b64 s[54:55], s[54:55], exec
	v_lshl_add_u64 v[4:5], v[4:5], 0, 1
	v_lshl_add_u64 v[6:7], v[6:7], 0, 1
	s_andn2_b64 s[52:53], s[52:53], exec
	s_or_b64 s[48:49], s[48:49], s[54:55]
                                        ; implicit-def: $sgpr54_sgpr55
	s_branch .LBB9_1239
.LBB9_1242:
	s_or_b64 exec, exec, s[44:45]
	s_xor_b64 s[44:45], s[46:47], -1
	s_branch .LBB9_1244
.LBB9_1243:
	s_mov_b64 s[44:45], -1
.LBB9_1244:
	s_and_b64 s[44:45], s[44:45], exec
.LBB9_1245:
	s_or_b64 exec, exec, s[26:27]
	s_orn2_b64 s[26:27], s[44:45], exec
.LBB9_1246:
	s_or_b64 exec, exec, s[42:43]
	v_cndmask_b32_e64 v4, v47, v51, s[26:27]
	v_cndmask_b32_e64 v5, v25, v24, s[26:27]
	v_add_u32_e32 v6, 1, v4
	v_add_u32_e32 v4, -1, v5
	v_min_u32_e32 v4, v6, v4
	v_lshl_add_u32 v4, v4, 3, v33
	ds_read_b64 v[4:5], v4
	v_cndmask_b32_e64 v48, v6, v47, s[26:27]
	v_cndmask_b32_e64 v47, v51, v6, s[26:27]
	v_cmp_lt_u32_e32 vcc, v48, v25
	s_waitcnt lgkmcnt(0)
	v_cndmask_b32_e64 v45, v5, v8, s[26:27]
	v_cndmask_b32_e64 v46, v4, v43, s[26:27]
	;; [unrolled: 1-line block ×4, first 2 shown]
	s_and_saveexec_b64 s[42:43], vcc
	s_cbranch_execz .LBB9_1257
; %bb.1247:
	v_cmp_lt_u32_e32 vcc, v47, v24
	s_mov_b64 s[44:45], 0
	s_and_saveexec_b64 s[24:25], vcc
	s_cbranch_execz .LBB9_1256
; %bb.1248:
	s_andn2_b64 vcc, exec, s[40:41]
	s_cbranch_vccnz .LBB9_1254
; %bb.1249:
	v_mov_b64_e32 v[6:7], s[38:39]
	v_mad_u64_u32 v[4:5], s[44:45], v46, s36, v[6:7]
	v_mul_lo_u32 v51, v46, s37
	v_mul_lo_u32 v52, v45, s36
	v_add3_u32 v5, v52, v5, v51
	v_mad_u64_u32 v[6:7], s[44:45], v50, s36, v[6:7]
	v_mul_lo_u32 v51, v50, s37
	v_mul_lo_u32 v52, v49, s36
	v_add3_u32 v7, v52, v7, v51
	s_mov_b64 s[44:45], 0
	s_mov_b64 s[50:51], s[36:37]
                                        ; implicit-def: $sgpr46_sgpr47
                                        ; implicit-def: $sgpr48_sgpr49
                                        ; implicit-def: $sgpr52_sgpr53
                                        ; implicit-def: $sgpr54_sgpr55
	s_branch .LBB9_1251
.LBB9_1250:                             ;   in Loop: Header=BB9_1251 Depth=1
	s_or_b64 exec, exec, s[58:59]
	s_and_b64 s[58:59], exec, s[48:49]
	s_or_b64 s[44:45], s[58:59], s[44:45]
	s_andn2_b64 s[54:55], s[54:55], exec
	s_and_b64 s[56:57], s[56:57], exec
	s_or_b64 s[54:55], s[54:55], s[56:57]
	s_andn2_b64 s[46:47], s[46:47], exec
	s_and_b64 s[56:57], s[52:53], exec
	s_or_b64 s[46:47], s[46:47], s[56:57]
	s_andn2_b64 exec, exec, s[44:45]
	s_cbranch_execz .LBB9_1253
.LBB9_1251:                             ; =>This Inner Loop Header: Depth=1
	global_load_ubyte v51, v[4:5], off
	global_load_ubyte v52, v[6:7], off
	s_andn2_b64 s[52:53], s[52:53], exec
	s_or_b64 s[48:49], s[48:49], exec
	s_waitcnt vmcnt(0)
	v_cmp_le_u16_sdwa s[58:59], v51, v52 src0_sel:BYTE_0 src1_sel:BYTE_0
	v_cmp_lt_u16_sdwa s[56:57], v51, v52 src0_sel:BYTE_0 src1_sel:BYTE_0
	s_and_b64 s[58:59], s[58:59], s[54:55]
	s_or_b64 s[56:57], s[56:57], s[58:59]
	s_and_b64 s[58:59], s[56:57], exec
	v_cmp_eq_u16_sdwa s[60:61], v51, v52 src0_sel:BYTE_0 src1_sel:BYTE_0
	s_or_b64 s[52:53], s[52:53], s[58:59]
	s_and_saveexec_b64 s[58:59], s[60:61]
	s_cbranch_execz .LBB9_1250
; %bb.1252:                             ;   in Loop: Header=BB9_1251 Depth=1
	s_add_u32 s50, s50, -1
	s_addc_u32 s51, s51, -1
	s_cmp_eq_u64 s[50:51], 0
	s_cselect_b64 s[54:55], -1, 0
	s_andn2_b64 s[48:49], s[48:49], exec
	s_and_b64 s[54:55], s[54:55], exec
	v_lshl_add_u64 v[4:5], v[4:5], 0, 1
	v_lshl_add_u64 v[6:7], v[6:7], 0, 1
	s_andn2_b64 s[52:53], s[52:53], exec
	s_or_b64 s[48:49], s[48:49], s[54:55]
                                        ; implicit-def: $sgpr54_sgpr55
	s_branch .LBB9_1250
.LBB9_1253:
	s_or_b64 exec, exec, s[44:45]
	s_xor_b64 s[44:45], s[46:47], -1
	s_branch .LBB9_1255
.LBB9_1254:
	s_mov_b64 s[44:45], -1
.LBB9_1255:
	s_and_b64 s[44:45], s[44:45], exec
.LBB9_1256:
	s_or_b64 exec, exec, s[24:25]
	s_orn2_b64 s[24:25], s[44:45], exec
.LBB9_1257:
	s_or_b64 exec, exec, s[42:43]
	v_cndmask_b32_e64 v4, v48, v47, s[24:25]
	v_cndmask_b32_e64 v5, v25, v24, s[24:25]
	v_cndmask_b32_e64 v13, v12, v13, s[20:21]
	v_cndmask_b32_e64 v12, v37, v38, s[20:21]
	v_add_u32_e32 v37, 1, v4
	v_add_u32_e32 v4, -1, v5
	v_min_u32_e32 v4, v37, v4
	v_lshl_add_u32 v4, v4, 3, v33
	v_cndmask_b32_e64 v11, v10, v11, s[18:19]
	v_cndmask_b32_e64 v10, v17, v23, s[18:19]
	;; [unrolled: 1-line block ×4, first 2 shown]
	ds_read_b64 v[22:23], v4
	v_cndmask_b32_e64 v14, v2, v0, s[16:17]
	v_cndmask_b32_e64 v0, v37, v48, s[24:25]
	;; [unrolled: 1-line block ×9, first 2 shown]
	s_waitcnt lgkmcnt(0)
	v_cndmask_b32_e64 v5, v49, v23, s[24:25]
	v_cndmask_b32_e64 v4, v50, v22, s[24:25]
	v_cmp_lt_u32_e32 vcc, v0, v25
	s_and_saveexec_b64 s[2:3], vcc
	s_cbranch_execz .LBB9_1267
; %bb.1258:
	v_cndmask_b32_e64 v0, v22, v46, s[24:25]
	v_cndmask_b32_e64 v22, v47, v37, s[24:25]
	;; [unrolled: 1-line block ×3, first 2 shown]
	v_cmp_lt_u32_e32 vcc, v22, v24
	s_and_saveexec_b64 s[16:17], vcc
	s_cbranch_execz .LBB9_1266
; %bb.1259:
	s_andn2_b64 vcc, exec, s[40:41]
	s_cbranch_vccnz .LBB9_1265
; %bb.1260:
	v_mov_b64_e32 v[24:25], s[38:39]
	v_mad_u64_u32 v[22:23], s[18:19], v0, s36, v[24:25]
	v_mul_lo_u32 v37, v0, s37
	v_mul_lo_u32 v38, v1, s36
	v_add3_u32 v23, v38, v23, v37
	v_mad_u64_u32 v[24:25], s[18:19], v4, s36, v[24:25]
	v_mul_lo_u32 v37, v4, s37
	v_mul_lo_u32 v38, v5, s36
	v_add3_u32 v25, v38, v25, v37
	s_mov_b64 s[18:19], 0
	s_mov_b64 s[24:25], s[36:37]
                                        ; implicit-def: $sgpr20_sgpr21
                                        ; implicit-def: $sgpr22_sgpr23
                                        ; implicit-def: $sgpr26_sgpr27
                                        ; implicit-def: $sgpr42_sgpr43
	s_branch .LBB9_1262
.LBB9_1261:                             ;   in Loop: Header=BB9_1262 Depth=1
	s_or_b64 exec, exec, s[46:47]
	s_and_b64 s[46:47], exec, s[22:23]
	s_or_b64 s[18:19], s[46:47], s[18:19]
	s_andn2_b64 s[42:43], s[42:43], exec
	s_and_b64 s[44:45], s[44:45], exec
	s_or_b64 s[42:43], s[42:43], s[44:45]
	s_andn2_b64 s[20:21], s[20:21], exec
	s_and_b64 s[44:45], s[26:27], exec
	s_or_b64 s[20:21], s[20:21], s[44:45]
	s_andn2_b64 exec, exec, s[18:19]
	s_cbranch_execz .LBB9_1264
.LBB9_1262:                             ; =>This Inner Loop Header: Depth=1
	global_load_ubyte v37, v[22:23], off
	global_load_ubyte v38, v[24:25], off
	s_andn2_b64 s[26:27], s[26:27], exec
	s_or_b64 s[22:23], s[22:23], exec
	s_waitcnt vmcnt(0)
	v_cmp_le_u16_sdwa s[46:47], v37, v38 src0_sel:BYTE_0 src1_sel:BYTE_0
	v_cmp_lt_u16_sdwa s[44:45], v37, v38 src0_sel:BYTE_0 src1_sel:BYTE_0
	s_and_b64 s[46:47], s[46:47], s[42:43]
	s_or_b64 s[44:45], s[44:45], s[46:47]
	s_and_b64 s[46:47], s[44:45], exec
	v_cmp_eq_u16_sdwa s[48:49], v37, v38 src0_sel:BYTE_0 src1_sel:BYTE_0
	s_or_b64 s[26:27], s[26:27], s[46:47]
	s_and_saveexec_b64 s[46:47], s[48:49]
	s_cbranch_execz .LBB9_1261
; %bb.1263:                             ;   in Loop: Header=BB9_1262 Depth=1
	s_add_u32 s24, s24, -1
	s_addc_u32 s25, s25, -1
	s_cmp_eq_u64 s[24:25], 0
	s_cselect_b64 s[42:43], -1, 0
	s_andn2_b64 s[22:23], s[22:23], exec
	s_and_b64 s[42:43], s[42:43], exec
	v_lshl_add_u64 v[22:23], v[22:23], 0, 1
	v_lshl_add_u64 v[24:25], v[24:25], 0, 1
	s_andn2_b64 s[26:27], s[26:27], exec
	s_or_b64 s[22:23], s[22:23], s[42:43]
                                        ; implicit-def: $sgpr42_sgpr43
	s_branch .LBB9_1261
.LBB9_1264:
	s_or_b64 exec, exec, s[18:19]
	v_cndmask_b32_e64 v5, v5, v1, s[20:21]
	v_cndmask_b32_e64 v4, v4, v0, s[20:21]
.LBB9_1265:
	v_mov_b64_e32 v[0:1], v[4:5]
.LBB9_1266:
	s_or_b64 exec, exec, s[16:17]
	v_mov_b64_e32 v[4:5], v[0:1]
.LBB9_1267:
	s_or_b64 exec, exec, s[2:3]
.LBB9_1268:
	s_or_b64 exec, exec, s[14:15]
	; wave barrier
	ds_write_b128 v36, v[14:17]
	ds_write_b128 v36, v[10:13] offset:16
	ds_write_b128 v36, v[6:9] offset:32
	;; [unrolled: 1-line block ×3, first 2 shown]
	v_and_b32_e32 v36, 0x380, v35
	v_or_b32_e32 v0, 64, v36
	v_min_u32_e32 v24, v34, v0
	v_add_u32_e32 v0, 64, v24
	v_min_u32_e32 v25, v34, v0
	v_and_b32_e32 v0, 0x78, v35
	v_min_u32_e32 v37, v34, v0
	v_sub_u32_e32 v0, v24, v36
	v_sub_u32_e32 v1, v25, v24
	v_sub_u32_e64 v35, v37, v1 clamp
	v_min_u32_e32 v38, v37, v0
	v_lshl_add_u32 v34, v36, 3, v33
	v_cmp_lt_u32_e32 vcc, v35, v38
	; wave barrier
	s_and_saveexec_b64 s[2:3], vcc
	s_cbranch_execz .LBB9_1278
; %bb.1269:
	v_lshlrev_b32_e32 v0, 3, v24
	v_lshlrev_b32_e32 v1, 3, v37
	v_add3_u32 v39, v33, v0, v1
	v_cndmask_b32_e64 v0, 0, 1, s[40:41]
	s_mov_b64 s[16:17], 0
	v_cmp_ne_u32_e64 s[14:15], 1, v0
	s_branch .LBB9_1272
.LBB9_1270:                             ;   in Loop: Header=BB9_1272 Depth=1
	s_or_b64 exec, exec, s[20:21]
.LBB9_1271:                             ;   in Loop: Header=BB9_1272 Depth=1
	v_add_u32_e32 v0, 1, v40
	v_cndmask_b32_e64 v38, v38, v40, s[18:19]
	v_cndmask_b32_e64 v35, v0, v35, s[18:19]
	v_cmp_ge_u32_e32 vcc, v35, v38
	s_or_b64 s[16:17], vcc, s[16:17]
	s_andn2_b64 exec, exec, s[16:17]
	s_cbranch_execz .LBB9_1277
.LBB9_1272:                             ; =>This Loop Header: Depth=1
                                        ;     Child Loop BB9_1275 Depth 2
	v_add_u32_e32 v0, v38, v35
	v_lshrrev_b32_e32 v40, 1, v0
	s_and_b64 vcc, exec, s[14:15]
	s_mov_b64 s[18:19], 0
	s_cbranch_vccnz .LBB9_1271
; %bb.1273:                             ;   in Loop: Header=BB9_1272 Depth=1
	v_not_b32_e32 v0, v40
	v_lshl_add_u32 v0, v0, 3, v39
	ds_read_b64 v[0:1], v0
	v_lshl_add_u32 v41, v40, 3, v34
	ds_read_b64 v[42:43], v41
	v_mov_b64_e32 v[22:23], s[38:39]
	s_mov_b64 s[20:21], 0
	s_waitcnt lgkmcnt(1)
	v_mul_lo_u32 v41, v0, s37
	v_mul_lo_u32 v44, v1, s36
	v_mad_u64_u32 v[0:1], s[18:19], v0, s36, v[22:23]
	v_add3_u32 v1, v44, v1, v41
	s_waitcnt lgkmcnt(0)
	v_mul_lo_u32 v41, v42, s37
	v_mul_lo_u32 v43, v43, s36
	v_mad_u64_u32 v[22:23], s[18:19], v42, s36, v[22:23]
	v_add3_u32 v23, v43, v23, v41
	s_mov_b64 s[24:25], s[36:37]
                                        ; implicit-def: $sgpr18_sgpr19
                                        ; implicit-def: $sgpr22_sgpr23
                                        ; implicit-def: $sgpr26_sgpr27
                                        ; implicit-def: $sgpr42_sgpr43
	s_branch .LBB9_1275
.LBB9_1274:                             ;   in Loop: Header=BB9_1275 Depth=2
	s_or_b64 exec, exec, s[46:47]
	s_and_b64 s[46:47], exec, s[22:23]
	s_or_b64 s[20:21], s[46:47], s[20:21]
	s_andn2_b64 s[42:43], s[42:43], exec
	s_and_b64 s[44:45], s[44:45], exec
	s_or_b64 s[42:43], s[42:43], s[44:45]
	s_andn2_b64 s[18:19], s[18:19], exec
	s_and_b64 s[44:45], s[26:27], exec
	s_or_b64 s[18:19], s[18:19], s[44:45]
	s_andn2_b64 exec, exec, s[20:21]
	s_cbranch_execz .LBB9_1270
.LBB9_1275:                             ;   Parent Loop BB9_1272 Depth=1
                                        ; =>  This Inner Loop Header: Depth=2
	global_load_ubyte v41, v[0:1], off
	global_load_ubyte v42, v[22:23], off
	s_andn2_b64 s[26:27], s[26:27], exec
	s_or_b64 s[22:23], s[22:23], exec
	s_waitcnt vmcnt(0)
	v_cmp_le_u16_sdwa s[46:47], v41, v42 src0_sel:BYTE_0 src1_sel:BYTE_0
	v_cmp_lt_u16_sdwa s[44:45], v41, v42 src0_sel:BYTE_0 src1_sel:BYTE_0
	s_and_b64 s[46:47], s[46:47], s[42:43]
	s_or_b64 s[44:45], s[44:45], s[46:47]
	s_and_b64 s[46:47], s[44:45], exec
	v_cmp_eq_u16_sdwa s[48:49], v41, v42 src0_sel:BYTE_0 src1_sel:BYTE_0
	s_or_b64 s[26:27], s[26:27], s[46:47]
	s_and_saveexec_b64 s[46:47], s[48:49]
	s_cbranch_execz .LBB9_1274
; %bb.1276:                             ;   in Loop: Header=BB9_1275 Depth=2
	s_add_u32 s24, s24, -1
	s_addc_u32 s25, s25, -1
	s_cmp_eq_u64 s[24:25], 0
	s_cselect_b64 s[42:43], -1, 0
	s_andn2_b64 s[22:23], s[22:23], exec
	s_and_b64 s[42:43], s[42:43], exec
	v_lshl_add_u64 v[0:1], v[0:1], 0, 1
	v_lshl_add_u64 v[22:23], v[22:23], 0, 1
	s_andn2_b64 s[26:27], s[26:27], exec
	s_or_b64 s[22:23], s[22:23], s[42:43]
                                        ; implicit-def: $sgpr42_sgpr43
	s_branch .LBB9_1274
.LBB9_1277:
	s_or_b64 exec, exec, s[16:17]
.LBB9_1278:
	s_or_b64 exec, exec, s[2:3]
	v_add_u32_e32 v0, v24, v37
	v_add_u32_e32 v23, v35, v36
	v_sub_u32_e32 v36, v0, v35
	v_cmp_le_u32_e32 vcc, v23, v24
	v_cmp_le_u32_e64 s[2:3], v36, v25
	s_or_b64 s[2:3], vcc, s[2:3]
	s_and_saveexec_b64 s[14:15], s[2:3]
	s_cbranch_execz .LBB9_1369
; %bb.1279:
	v_cmp_ge_u32_e32 vcc, v23, v24
	v_cmp_lt_u32_e64 s[2:3], v23, v24
                                        ; implicit-def: $vgpr0_vgpr1
	s_and_saveexec_b64 s[16:17], s[2:3]
; %bb.1280:
	v_lshl_add_u32 v0, v35, 3, v34
	ds_read_b64 v[0:1], v0
; %bb.1281:
	s_or_b64 exec, exec, s[16:17]
	v_cmp_ge_u32_e64 s[16:17], v36, v25
	v_cmp_lt_u32_e64 s[2:3], v36, v25
                                        ; implicit-def: $vgpr2_vgpr3
	s_and_saveexec_b64 s[18:19], s[2:3]
; %bb.1282:
	v_lshl_add_u32 v2, v36, 3, v33
	ds_read_b64 v[2:3], v2
; %bb.1283:
	s_or_b64 exec, exec, s[18:19]
	s_nor_b64 s[18:19], vcc, s[16:17]
	s_and_saveexec_b64 s[2:3], s[18:19]
	s_cbranch_execz .LBB9_1292
; %bb.1284:
	s_andn2_b64 vcc, exec, s[40:41]
	s_cbranch_vccnz .LBB9_1290
; %bb.1285:
	v_mov_b64_e32 v[6:7], s[38:39]
	s_waitcnt lgkmcnt(0)
	v_mad_u64_u32 v[4:5], s[18:19], v2, s36, v[6:7]
	v_mul_lo_u32 v8, v2, s37
	v_mul_lo_u32 v9, v3, s36
	v_add3_u32 v5, v9, v5, v8
	v_mad_u64_u32 v[6:7], s[18:19], v0, s36, v[6:7]
	v_mul_lo_u32 v8, v0, s37
	v_mul_lo_u32 v9, v1, s36
	v_add3_u32 v7, v9, v7, v8
	s_mov_b64 s[18:19], 0
	s_mov_b64 s[24:25], s[36:37]
                                        ; implicit-def: $sgpr20_sgpr21
                                        ; implicit-def: $sgpr22_sgpr23
                                        ; implicit-def: $sgpr26_sgpr27
                                        ; implicit-def: $sgpr42_sgpr43
	s_branch .LBB9_1287
.LBB9_1286:                             ;   in Loop: Header=BB9_1287 Depth=1
	s_or_b64 exec, exec, s[46:47]
	s_and_b64 s[46:47], exec, s[22:23]
	s_or_b64 s[18:19], s[46:47], s[18:19]
	s_andn2_b64 s[42:43], s[42:43], exec
	s_and_b64 s[44:45], s[44:45], exec
	s_or_b64 s[42:43], s[42:43], s[44:45]
	s_andn2_b64 s[20:21], s[20:21], exec
	s_and_b64 s[44:45], s[26:27], exec
	s_or_b64 s[20:21], s[20:21], s[44:45]
	s_andn2_b64 exec, exec, s[18:19]
	s_cbranch_execz .LBB9_1289
.LBB9_1287:                             ; =>This Inner Loop Header: Depth=1
	global_load_ubyte v8, v[4:5], off
	global_load_ubyte v9, v[6:7], off
	s_andn2_b64 s[26:27], s[26:27], exec
	s_or_b64 s[22:23], s[22:23], exec
	s_waitcnt vmcnt(0)
	v_cmp_le_u16_sdwa s[46:47], v8, v9 src0_sel:BYTE_0 src1_sel:BYTE_0
	v_cmp_lt_u16_sdwa s[44:45], v8, v9 src0_sel:BYTE_0 src1_sel:BYTE_0
	s_and_b64 s[46:47], s[46:47], s[42:43]
	s_or_b64 s[44:45], s[44:45], s[46:47]
	s_and_b64 s[46:47], s[44:45], exec
	v_cmp_eq_u16_sdwa s[48:49], v8, v9 src0_sel:BYTE_0 src1_sel:BYTE_0
	s_or_b64 s[26:27], s[26:27], s[46:47]
	s_and_saveexec_b64 s[46:47], s[48:49]
	s_cbranch_execz .LBB9_1286
; %bb.1288:                             ;   in Loop: Header=BB9_1287 Depth=1
	s_add_u32 s24, s24, -1
	s_addc_u32 s25, s25, -1
	s_cmp_eq_u64 s[24:25], 0
	s_cselect_b64 s[42:43], -1, 0
	s_andn2_b64 s[22:23], s[22:23], exec
	s_and_b64 s[42:43], s[42:43], exec
	v_lshl_add_u64 v[4:5], v[4:5], 0, 1
	v_lshl_add_u64 v[6:7], v[6:7], 0, 1
	s_andn2_b64 s[26:27], s[26:27], exec
	s_or_b64 s[22:23], s[22:23], s[42:43]
                                        ; implicit-def: $sgpr42_sgpr43
	s_branch .LBB9_1286
.LBB9_1289:
	s_or_b64 exec, exec, s[18:19]
	s_xor_b64 s[18:19], s[20:21], -1
	s_branch .LBB9_1291
.LBB9_1290:
	s_mov_b64 s[18:19], -1
.LBB9_1291:
	s_andn2_b64 s[16:17], s[16:17], exec
	s_and_b64 s[18:19], s[18:19], exec
	s_or_b64 s[16:17], s[16:17], s[18:19]
.LBB9_1292:
	s_or_b64 exec, exec, s[2:3]
	v_cndmask_b32_e64 v4, v36, v23, s[16:17]
	v_cndmask_b32_e64 v5, v25, v24, s[16:17]
	v_add_u32_e32 v6, 1, v4
	v_add_u32_e32 v4, -1, v5
	v_min_u32_e32 v4, v6, v4
	v_lshl_add_u32 v4, v4, 3, v33
	ds_read_b64 v[4:5], v4
	v_cndmask_b32_e64 v8, v6, v36, s[16:17]
	v_cndmask_b32_e64 v9, v23, v6, s[16:17]
	v_cmp_lt_u32_e32 vcc, v8, v25
	s_mov_b64 s[18:19], -1
	s_waitcnt lgkmcnt(0)
	v_cndmask_b32_e64 v14, v5, v3, s[16:17]
	v_cndmask_b32_e64 v15, v4, v2, s[16:17]
	;; [unrolled: 1-line block ×4, first 2 shown]
	s_mov_b64 s[2:3], -1
	s_and_saveexec_b64 s[20:21], vcc
	s_cbranch_execz .LBB9_1303
; %bb.1293:
	v_cmp_lt_u32_e32 vcc, v9, v24
	s_mov_b64 s[22:23], 0
	s_and_saveexec_b64 s[2:3], vcc
	s_cbranch_execz .LBB9_1302
; %bb.1294:
	s_andn2_b64 vcc, exec, s[40:41]
	s_cbranch_vccnz .LBB9_1300
; %bb.1295:
	v_mov_b64_e32 v[6:7], s[38:39]
	v_mad_u64_u32 v[4:5], s[22:23], v15, s36, v[6:7]
	v_mul_lo_u32 v10, v15, s37
	v_mul_lo_u32 v11, v14, s36
	v_add3_u32 v5, v11, v5, v10
	v_mad_u64_u32 v[6:7], s[22:23], v22, s36, v[6:7]
	v_mul_lo_u32 v10, v22, s37
	v_mul_lo_u32 v11, v16, s36
	v_add3_u32 v7, v11, v7, v10
	s_mov_b64 s[22:23], 0
	s_mov_b64 s[42:43], s[36:37]
                                        ; implicit-def: $sgpr24_sgpr25
                                        ; implicit-def: $sgpr26_sgpr27
                                        ; implicit-def: $sgpr44_sgpr45
                                        ; implicit-def: $sgpr46_sgpr47
	s_branch .LBB9_1297
.LBB9_1296:                             ;   in Loop: Header=BB9_1297 Depth=1
	s_or_b64 exec, exec, s[50:51]
	s_and_b64 s[50:51], exec, s[26:27]
	s_or_b64 s[22:23], s[50:51], s[22:23]
	s_andn2_b64 s[46:47], s[46:47], exec
	s_and_b64 s[48:49], s[48:49], exec
	s_or_b64 s[46:47], s[46:47], s[48:49]
	s_andn2_b64 s[24:25], s[24:25], exec
	s_and_b64 s[48:49], s[44:45], exec
	s_or_b64 s[24:25], s[24:25], s[48:49]
	s_andn2_b64 exec, exec, s[22:23]
	s_cbranch_execz .LBB9_1299
.LBB9_1297:                             ; =>This Inner Loop Header: Depth=1
	global_load_ubyte v10, v[4:5], off
	global_load_ubyte v11, v[6:7], off
	s_andn2_b64 s[44:45], s[44:45], exec
	s_or_b64 s[26:27], s[26:27], exec
	s_waitcnt vmcnt(0)
	v_cmp_le_u16_sdwa s[50:51], v10, v11 src0_sel:BYTE_0 src1_sel:BYTE_0
	v_cmp_lt_u16_sdwa s[48:49], v10, v11 src0_sel:BYTE_0 src1_sel:BYTE_0
	s_and_b64 s[50:51], s[50:51], s[46:47]
	s_or_b64 s[48:49], s[48:49], s[50:51]
	s_and_b64 s[50:51], s[48:49], exec
	v_cmp_eq_u16_sdwa s[52:53], v10, v11 src0_sel:BYTE_0 src1_sel:BYTE_0
	s_or_b64 s[44:45], s[44:45], s[50:51]
	s_and_saveexec_b64 s[50:51], s[52:53]
	s_cbranch_execz .LBB9_1296
; %bb.1298:                             ;   in Loop: Header=BB9_1297 Depth=1
	s_add_u32 s42, s42, -1
	s_addc_u32 s43, s43, -1
	s_cmp_eq_u64 s[42:43], 0
	s_cselect_b64 s[46:47], -1, 0
	s_andn2_b64 s[26:27], s[26:27], exec
	s_and_b64 s[46:47], s[46:47], exec
	v_lshl_add_u64 v[4:5], v[4:5], 0, 1
	v_lshl_add_u64 v[6:7], v[6:7], 0, 1
	s_andn2_b64 s[44:45], s[44:45], exec
	s_or_b64 s[26:27], s[26:27], s[46:47]
                                        ; implicit-def: $sgpr46_sgpr47
	s_branch .LBB9_1296
.LBB9_1299:
	s_or_b64 exec, exec, s[22:23]
	s_xor_b64 s[22:23], s[24:25], -1
	s_branch .LBB9_1301
.LBB9_1300:
	s_mov_b64 s[22:23], -1
.LBB9_1301:
	s_and_b64 s[22:23], s[22:23], exec
.LBB9_1302:
	s_or_b64 exec, exec, s[2:3]
	s_orn2_b64 s[2:3], s[22:23], exec
.LBB9_1303:
	s_or_b64 exec, exec, s[20:21]
	v_cndmask_b32_e64 v4, v8, v9, s[2:3]
	v_cndmask_b32_e64 v5, v25, v24, s[2:3]
	v_add_u32_e32 v6, 1, v4
	v_add_u32_e32 v4, -1, v5
	v_min_u32_e32 v4, v6, v4
	v_lshl_add_u32 v4, v4, 3, v33
	ds_read_b64 v[4:5], v4
	v_cndmask_b32_e64 v8, v6, v8, s[2:3]
	v_cndmask_b32_e64 v9, v9, v6, s[2:3]
	v_cmp_lt_u32_e32 vcc, v8, v25
	s_waitcnt lgkmcnt(0)
	v_cndmask_b32_e64 v10, v5, v14, s[2:3]
	v_cndmask_b32_e64 v17, v4, v15, s[2:3]
	;; [unrolled: 1-line block ×4, first 2 shown]
	s_and_saveexec_b64 s[20:21], vcc
	s_cbranch_execz .LBB9_1314
; %bb.1304:
	v_cmp_lt_u32_e32 vcc, v9, v24
	s_mov_b64 s[22:23], 0
	s_and_saveexec_b64 s[18:19], vcc
	s_cbranch_execz .LBB9_1313
; %bb.1305:
	s_andn2_b64 vcc, exec, s[40:41]
	s_cbranch_vccnz .LBB9_1311
; %bb.1306:
	v_mov_b64_e32 v[6:7], s[38:39]
	v_mad_u64_u32 v[4:5], s[22:23], v17, s36, v[6:7]
	v_mul_lo_u32 v12, v17, s37
	v_mul_lo_u32 v13, v10, s36
	v_add3_u32 v5, v13, v5, v12
	v_mad_u64_u32 v[6:7], s[22:23], v23, s36, v[6:7]
	v_mul_lo_u32 v12, v23, s37
	v_mul_lo_u32 v13, v11, s36
	v_add3_u32 v7, v13, v7, v12
	s_mov_b64 s[22:23], 0
	s_mov_b64 s[42:43], s[36:37]
                                        ; implicit-def: $sgpr24_sgpr25
                                        ; implicit-def: $sgpr26_sgpr27
                                        ; implicit-def: $sgpr44_sgpr45
                                        ; implicit-def: $sgpr46_sgpr47
	s_branch .LBB9_1308
.LBB9_1307:                             ;   in Loop: Header=BB9_1308 Depth=1
	s_or_b64 exec, exec, s[50:51]
	s_and_b64 s[50:51], exec, s[26:27]
	s_or_b64 s[22:23], s[50:51], s[22:23]
	s_andn2_b64 s[46:47], s[46:47], exec
	s_and_b64 s[48:49], s[48:49], exec
	s_or_b64 s[46:47], s[46:47], s[48:49]
	s_andn2_b64 s[24:25], s[24:25], exec
	s_and_b64 s[48:49], s[44:45], exec
	s_or_b64 s[24:25], s[24:25], s[48:49]
	s_andn2_b64 exec, exec, s[22:23]
	s_cbranch_execz .LBB9_1310
.LBB9_1308:                             ; =>This Inner Loop Header: Depth=1
	global_load_ubyte v12, v[4:5], off
	global_load_ubyte v13, v[6:7], off
	s_andn2_b64 s[44:45], s[44:45], exec
	s_or_b64 s[26:27], s[26:27], exec
	s_waitcnt vmcnt(0)
	v_cmp_le_u16_sdwa s[50:51], v12, v13 src0_sel:BYTE_0 src1_sel:BYTE_0
	v_cmp_lt_u16_sdwa s[48:49], v12, v13 src0_sel:BYTE_0 src1_sel:BYTE_0
	s_and_b64 s[50:51], s[50:51], s[46:47]
	s_or_b64 s[48:49], s[48:49], s[50:51]
	s_and_b64 s[50:51], s[48:49], exec
	v_cmp_eq_u16_sdwa s[52:53], v12, v13 src0_sel:BYTE_0 src1_sel:BYTE_0
	s_or_b64 s[44:45], s[44:45], s[50:51]
	s_and_saveexec_b64 s[50:51], s[52:53]
	s_cbranch_execz .LBB9_1307
; %bb.1309:                             ;   in Loop: Header=BB9_1308 Depth=1
	s_add_u32 s42, s42, -1
	s_addc_u32 s43, s43, -1
	s_cmp_eq_u64 s[42:43], 0
	s_cselect_b64 s[46:47], -1, 0
	s_andn2_b64 s[26:27], s[26:27], exec
	s_and_b64 s[46:47], s[46:47], exec
	v_lshl_add_u64 v[4:5], v[4:5], 0, 1
	v_lshl_add_u64 v[6:7], v[6:7], 0, 1
	s_andn2_b64 s[44:45], s[44:45], exec
	s_or_b64 s[26:27], s[26:27], s[46:47]
                                        ; implicit-def: $sgpr46_sgpr47
	s_branch .LBB9_1307
.LBB9_1310:
	s_or_b64 exec, exec, s[22:23]
	s_xor_b64 s[22:23], s[24:25], -1
	s_branch .LBB9_1312
.LBB9_1311:
	s_mov_b64 s[22:23], -1
.LBB9_1312:
	s_and_b64 s[22:23], s[22:23], exec
.LBB9_1313:
	s_or_b64 exec, exec, s[18:19]
	s_orn2_b64 s[18:19], s[22:23], exec
.LBB9_1314:
	s_or_b64 exec, exec, s[20:21]
	v_cndmask_b32_e64 v4, v8, v9, s[18:19]
	v_cndmask_b32_e64 v5, v25, v24, s[18:19]
	v_add_u32_e32 v6, 1, v4
	v_add_u32_e32 v4, -1, v5
	v_min_u32_e32 v4, v6, v4
	v_lshl_add_u32 v4, v4, 3, v33
	ds_read_b64 v[4:5], v4
	v_cndmask_b32_e64 v8, v6, v8, s[18:19]
	v_cndmask_b32_e64 v9, v9, v6, s[18:19]
	v_cmp_lt_u32_e32 vcc, v8, v25
	s_mov_b64 s[22:23], -1
	s_waitcnt lgkmcnt(0)
	v_cndmask_b32_e64 v12, v5, v10, s[18:19]
	v_cndmask_b32_e64 v34, v4, v17, s[18:19]
	;; [unrolled: 1-line block ×4, first 2 shown]
	s_mov_b64 s[20:21], -1
	s_and_saveexec_b64 s[24:25], vcc
	s_cbranch_execz .LBB9_1325
; %bb.1315:
	v_cmp_lt_u32_e32 vcc, v9, v24
	s_mov_b64 s[26:27], 0
	s_and_saveexec_b64 s[20:21], vcc
	s_cbranch_execz .LBB9_1324
; %bb.1316:
	s_andn2_b64 vcc, exec, s[40:41]
	s_cbranch_vccnz .LBB9_1322
; %bb.1317:
	v_mov_b64_e32 v[6:7], s[38:39]
	v_mad_u64_u32 v[4:5], s[26:27], v34, s36, v[6:7]
	v_mul_lo_u32 v36, v34, s37
	v_mul_lo_u32 v37, v12, s36
	v_add3_u32 v5, v37, v5, v36
	v_mad_u64_u32 v[6:7], s[26:27], v35, s36, v[6:7]
	v_mul_lo_u32 v36, v35, s37
	v_mul_lo_u32 v37, v13, s36
	v_add3_u32 v7, v37, v7, v36
	s_mov_b64 s[26:27], 0
	s_mov_b64 s[46:47], s[36:37]
                                        ; implicit-def: $sgpr42_sgpr43
                                        ; implicit-def: $sgpr44_sgpr45
                                        ; implicit-def: $sgpr48_sgpr49
                                        ; implicit-def: $sgpr50_sgpr51
	s_branch .LBB9_1319
.LBB9_1318:                             ;   in Loop: Header=BB9_1319 Depth=1
	s_or_b64 exec, exec, s[54:55]
	s_and_b64 s[54:55], exec, s[44:45]
	s_or_b64 s[26:27], s[54:55], s[26:27]
	s_andn2_b64 s[50:51], s[50:51], exec
	s_and_b64 s[52:53], s[52:53], exec
	s_or_b64 s[50:51], s[50:51], s[52:53]
	s_andn2_b64 s[42:43], s[42:43], exec
	s_and_b64 s[52:53], s[48:49], exec
	s_or_b64 s[42:43], s[42:43], s[52:53]
	s_andn2_b64 exec, exec, s[26:27]
	s_cbranch_execz .LBB9_1321
.LBB9_1319:                             ; =>This Inner Loop Header: Depth=1
	global_load_ubyte v36, v[4:5], off
	global_load_ubyte v37, v[6:7], off
	s_andn2_b64 s[48:49], s[48:49], exec
	s_or_b64 s[44:45], s[44:45], exec
	s_waitcnt vmcnt(0)
	v_cmp_le_u16_sdwa s[54:55], v36, v37 src0_sel:BYTE_0 src1_sel:BYTE_0
	v_cmp_lt_u16_sdwa s[52:53], v36, v37 src0_sel:BYTE_0 src1_sel:BYTE_0
	s_and_b64 s[54:55], s[54:55], s[50:51]
	s_or_b64 s[52:53], s[52:53], s[54:55]
	s_and_b64 s[54:55], s[52:53], exec
	v_cmp_eq_u16_sdwa s[56:57], v36, v37 src0_sel:BYTE_0 src1_sel:BYTE_0
	s_or_b64 s[48:49], s[48:49], s[54:55]
	s_and_saveexec_b64 s[54:55], s[56:57]
	s_cbranch_execz .LBB9_1318
; %bb.1320:                             ;   in Loop: Header=BB9_1319 Depth=1
	s_add_u32 s46, s46, -1
	s_addc_u32 s47, s47, -1
	s_cmp_eq_u64 s[46:47], 0
	s_cselect_b64 s[50:51], -1, 0
	s_andn2_b64 s[44:45], s[44:45], exec
	s_and_b64 s[50:51], s[50:51], exec
	v_lshl_add_u64 v[4:5], v[4:5], 0, 1
	v_lshl_add_u64 v[6:7], v[6:7], 0, 1
	s_andn2_b64 s[48:49], s[48:49], exec
	s_or_b64 s[44:45], s[44:45], s[50:51]
                                        ; implicit-def: $sgpr50_sgpr51
	s_branch .LBB9_1318
.LBB9_1321:
	s_or_b64 exec, exec, s[26:27]
	s_xor_b64 s[26:27], s[42:43], -1
	s_branch .LBB9_1323
.LBB9_1322:
	s_mov_b64 s[26:27], -1
.LBB9_1323:
	s_and_b64 s[26:27], s[26:27], exec
.LBB9_1324:
	s_or_b64 exec, exec, s[20:21]
	s_orn2_b64 s[20:21], s[26:27], exec
.LBB9_1325:
	s_or_b64 exec, exec, s[24:25]
	v_cndmask_b32_e64 v4, v8, v9, s[20:21]
	v_cndmask_b32_e64 v5, v25, v24, s[20:21]
	v_add_u32_e32 v6, 1, v4
	v_add_u32_e32 v4, -1, v5
	v_min_u32_e32 v4, v6, v4
	v_lshl_add_u32 v4, v4, 3, v33
	ds_read_b64 v[4:5], v4
	v_cndmask_b32_e64 v42, v6, v8, s[20:21]
	v_cndmask_b32_e64 v43, v9, v6, s[20:21]
	v_cmp_lt_u32_e32 vcc, v42, v25
	s_waitcnt lgkmcnt(0)
	v_cndmask_b32_e64 v36, v5, v12, s[20:21]
	v_cndmask_b32_e64 v37, v4, v34, s[20:21]
	;; [unrolled: 1-line block ×4, first 2 shown]
	s_and_saveexec_b64 s[24:25], vcc
	s_cbranch_execz .LBB9_1336
; %bb.1326:
	v_cmp_lt_u32_e32 vcc, v43, v24
	s_mov_b64 s[26:27], 0
	s_and_saveexec_b64 s[22:23], vcc
	s_cbranch_execz .LBB9_1335
; %bb.1327:
	s_andn2_b64 vcc, exec, s[40:41]
	s_cbranch_vccnz .LBB9_1333
; %bb.1328:
	v_mov_b64_e32 v[6:7], s[38:39]
	v_mad_u64_u32 v[4:5], s[26:27], v37, s36, v[6:7]
	v_mul_lo_u32 v8, v37, s37
	v_mul_lo_u32 v9, v36, s36
	v_add3_u32 v5, v9, v5, v8
	v_mad_u64_u32 v[6:7], s[26:27], v39, s36, v[6:7]
	v_mul_lo_u32 v8, v39, s37
	v_mul_lo_u32 v9, v38, s36
	v_add3_u32 v7, v9, v7, v8
	s_mov_b64 s[26:27], 0
	s_mov_b64 s[46:47], s[36:37]
                                        ; implicit-def: $sgpr42_sgpr43
                                        ; implicit-def: $sgpr44_sgpr45
                                        ; implicit-def: $sgpr48_sgpr49
                                        ; implicit-def: $sgpr50_sgpr51
	s_branch .LBB9_1330
.LBB9_1329:                             ;   in Loop: Header=BB9_1330 Depth=1
	s_or_b64 exec, exec, s[54:55]
	s_and_b64 s[54:55], exec, s[44:45]
	s_or_b64 s[26:27], s[54:55], s[26:27]
	s_andn2_b64 s[50:51], s[50:51], exec
	s_and_b64 s[52:53], s[52:53], exec
	s_or_b64 s[50:51], s[50:51], s[52:53]
	s_andn2_b64 s[42:43], s[42:43], exec
	s_and_b64 s[52:53], s[48:49], exec
	s_or_b64 s[42:43], s[42:43], s[52:53]
	s_andn2_b64 exec, exec, s[26:27]
	s_cbranch_execz .LBB9_1332
.LBB9_1330:                             ; =>This Inner Loop Header: Depth=1
	global_load_ubyte v8, v[4:5], off
	global_load_ubyte v9, v[6:7], off
	s_andn2_b64 s[48:49], s[48:49], exec
	s_or_b64 s[44:45], s[44:45], exec
	s_waitcnt vmcnt(0)
	v_cmp_le_u16_sdwa s[54:55], v8, v9 src0_sel:BYTE_0 src1_sel:BYTE_0
	v_cmp_lt_u16_sdwa s[52:53], v8, v9 src0_sel:BYTE_0 src1_sel:BYTE_0
	s_and_b64 s[54:55], s[54:55], s[50:51]
	s_or_b64 s[52:53], s[52:53], s[54:55]
	s_and_b64 s[54:55], s[52:53], exec
	v_cmp_eq_u16_sdwa s[56:57], v8, v9 src0_sel:BYTE_0 src1_sel:BYTE_0
	s_or_b64 s[48:49], s[48:49], s[54:55]
	s_and_saveexec_b64 s[54:55], s[56:57]
	s_cbranch_execz .LBB9_1329
; %bb.1331:                             ;   in Loop: Header=BB9_1330 Depth=1
	s_add_u32 s46, s46, -1
	s_addc_u32 s47, s47, -1
	s_cmp_eq_u64 s[46:47], 0
	s_cselect_b64 s[50:51], -1, 0
	s_andn2_b64 s[44:45], s[44:45], exec
	s_and_b64 s[50:51], s[50:51], exec
	v_lshl_add_u64 v[4:5], v[4:5], 0, 1
	v_lshl_add_u64 v[6:7], v[6:7], 0, 1
	s_andn2_b64 s[48:49], s[48:49], exec
	s_or_b64 s[44:45], s[44:45], s[50:51]
                                        ; implicit-def: $sgpr50_sgpr51
	s_branch .LBB9_1329
.LBB9_1332:
	s_or_b64 exec, exec, s[26:27]
	s_xor_b64 s[26:27], s[42:43], -1
	s_branch .LBB9_1334
.LBB9_1333:
	s_mov_b64 s[26:27], -1
.LBB9_1334:
	s_and_b64 s[26:27], s[26:27], exec
.LBB9_1335:
	s_or_b64 exec, exec, s[22:23]
	s_orn2_b64 s[22:23], s[26:27], exec
.LBB9_1336:
	s_or_b64 exec, exec, s[24:25]
	v_cndmask_b32_e64 v4, v42, v43, s[22:23]
	v_cndmask_b32_e64 v5, v25, v24, s[22:23]
	v_add_u32_e32 v6, 1, v4
	v_add_u32_e32 v4, -1, v5
	v_min_u32_e32 v4, v6, v4
	v_lshl_add_u32 v4, v4, 3, v33
	ds_read_b64 v[4:5], v4
	v_cndmask_b32_e64 v44, v6, v42, s[22:23]
	v_cndmask_b32_e64 v48, v43, v6, s[22:23]
	v_cmp_lt_u32_e32 vcc, v44, v25
	s_mov_b64 s[24:25], -1
	s_waitcnt lgkmcnt(0)
	v_cndmask_b32_e64 v8, v5, v36, s[22:23]
	v_cndmask_b32_e64 v40, v4, v37, s[22:23]
	;; [unrolled: 1-line block ×4, first 2 shown]
	s_mov_b64 s[26:27], -1
	s_and_saveexec_b64 s[42:43], vcc
	s_cbranch_execz .LBB9_1347
; %bb.1337:
	v_cmp_lt_u32_e32 vcc, v48, v24
	s_mov_b64 s[44:45], 0
	s_and_saveexec_b64 s[26:27], vcc
	s_cbranch_execz .LBB9_1346
; %bb.1338:
	s_andn2_b64 vcc, exec, s[40:41]
	s_cbranch_vccnz .LBB9_1344
; %bb.1339:
	v_mov_b64_e32 v[6:7], s[38:39]
	v_mad_u64_u32 v[4:5], s[44:45], v40, s36, v[6:7]
	v_mul_lo_u32 v42, v40, s37
	v_mul_lo_u32 v43, v8, s36
	v_add3_u32 v5, v43, v5, v42
	v_mad_u64_u32 v[6:7], s[44:45], v41, s36, v[6:7]
	v_mul_lo_u32 v42, v41, s37
	v_mul_lo_u32 v43, v9, s36
	v_add3_u32 v7, v43, v7, v42
	s_mov_b64 s[44:45], 0
	s_mov_b64 s[50:51], s[36:37]
                                        ; implicit-def: $sgpr46_sgpr47
                                        ; implicit-def: $sgpr48_sgpr49
                                        ; implicit-def: $sgpr52_sgpr53
                                        ; implicit-def: $sgpr54_sgpr55
	s_branch .LBB9_1341
.LBB9_1340:                             ;   in Loop: Header=BB9_1341 Depth=1
	s_or_b64 exec, exec, s[58:59]
	s_and_b64 s[58:59], exec, s[48:49]
	s_or_b64 s[44:45], s[58:59], s[44:45]
	s_andn2_b64 s[54:55], s[54:55], exec
	s_and_b64 s[56:57], s[56:57], exec
	s_or_b64 s[54:55], s[54:55], s[56:57]
	s_andn2_b64 s[46:47], s[46:47], exec
	s_and_b64 s[56:57], s[52:53], exec
	s_or_b64 s[46:47], s[46:47], s[56:57]
	s_andn2_b64 exec, exec, s[44:45]
	s_cbranch_execz .LBB9_1343
.LBB9_1341:                             ; =>This Inner Loop Header: Depth=1
	global_load_ubyte v42, v[4:5], off
	global_load_ubyte v43, v[6:7], off
	s_andn2_b64 s[52:53], s[52:53], exec
	s_or_b64 s[48:49], s[48:49], exec
	s_waitcnt vmcnt(0)
	v_cmp_le_u16_sdwa s[58:59], v42, v43 src0_sel:BYTE_0 src1_sel:BYTE_0
	v_cmp_lt_u16_sdwa s[56:57], v42, v43 src0_sel:BYTE_0 src1_sel:BYTE_0
	s_and_b64 s[58:59], s[58:59], s[54:55]
	s_or_b64 s[56:57], s[56:57], s[58:59]
	s_and_b64 s[58:59], s[56:57], exec
	v_cmp_eq_u16_sdwa s[60:61], v42, v43 src0_sel:BYTE_0 src1_sel:BYTE_0
	s_or_b64 s[52:53], s[52:53], s[58:59]
	s_and_saveexec_b64 s[58:59], s[60:61]
	s_cbranch_execz .LBB9_1340
; %bb.1342:                             ;   in Loop: Header=BB9_1341 Depth=1
	s_add_u32 s50, s50, -1
	s_addc_u32 s51, s51, -1
	s_cmp_eq_u64 s[50:51], 0
	s_cselect_b64 s[54:55], -1, 0
	s_andn2_b64 s[48:49], s[48:49], exec
	s_and_b64 s[54:55], s[54:55], exec
	v_lshl_add_u64 v[4:5], v[4:5], 0, 1
	v_lshl_add_u64 v[6:7], v[6:7], 0, 1
	s_andn2_b64 s[52:53], s[52:53], exec
	s_or_b64 s[48:49], s[48:49], s[54:55]
                                        ; implicit-def: $sgpr54_sgpr55
	s_branch .LBB9_1340
.LBB9_1343:
	s_or_b64 exec, exec, s[44:45]
	s_xor_b64 s[44:45], s[46:47], -1
	s_branch .LBB9_1345
.LBB9_1344:
	s_mov_b64 s[44:45], -1
.LBB9_1345:
	s_and_b64 s[44:45], s[44:45], exec
.LBB9_1346:
	s_or_b64 exec, exec, s[26:27]
	s_orn2_b64 s[26:27], s[44:45], exec
.LBB9_1347:
	s_or_b64 exec, exec, s[42:43]
	v_cndmask_b32_e64 v4, v44, v48, s[26:27]
	v_cndmask_b32_e64 v5, v25, v24, s[26:27]
	v_add_u32_e32 v6, 1, v4
	v_add_u32_e32 v4, -1, v5
	v_min_u32_e32 v4, v6, v4
	v_lshl_add_u32 v4, v4, 3, v33
	ds_read_b64 v[4:5], v4
	v_cndmask_b32_e64 v45, v6, v44, s[26:27]
	v_cndmask_b32_e64 v44, v48, v6, s[26:27]
	v_cmp_lt_u32_e32 vcc, v45, v25
	s_waitcnt lgkmcnt(0)
	v_cndmask_b32_e64 v42, v5, v8, s[26:27]
	v_cndmask_b32_e64 v43, v4, v40, s[26:27]
	;; [unrolled: 1-line block ×4, first 2 shown]
	s_and_saveexec_b64 s[42:43], vcc
	s_cbranch_execz .LBB9_1358
; %bb.1348:
	v_cmp_lt_u32_e32 vcc, v44, v24
	s_mov_b64 s[44:45], 0
	s_and_saveexec_b64 s[24:25], vcc
	s_cbranch_execz .LBB9_1357
; %bb.1349:
	s_andn2_b64 vcc, exec, s[40:41]
	s_cbranch_vccnz .LBB9_1355
; %bb.1350:
	v_mov_b64_e32 v[6:7], s[38:39]
	v_mad_u64_u32 v[4:5], s[44:45], v43, s36, v[6:7]
	v_mul_lo_u32 v48, v43, s37
	v_mul_lo_u32 v49, v42, s36
	v_add3_u32 v5, v49, v5, v48
	v_mad_u64_u32 v[6:7], s[44:45], v47, s36, v[6:7]
	v_mul_lo_u32 v48, v47, s37
	v_mul_lo_u32 v49, v46, s36
	v_add3_u32 v7, v49, v7, v48
	s_mov_b64 s[44:45], 0
	s_mov_b64 s[50:51], s[36:37]
                                        ; implicit-def: $sgpr46_sgpr47
                                        ; implicit-def: $sgpr48_sgpr49
                                        ; implicit-def: $sgpr52_sgpr53
                                        ; implicit-def: $sgpr54_sgpr55
	s_branch .LBB9_1352
.LBB9_1351:                             ;   in Loop: Header=BB9_1352 Depth=1
	s_or_b64 exec, exec, s[58:59]
	s_and_b64 s[58:59], exec, s[48:49]
	s_or_b64 s[44:45], s[58:59], s[44:45]
	s_andn2_b64 s[54:55], s[54:55], exec
	s_and_b64 s[56:57], s[56:57], exec
	s_or_b64 s[54:55], s[54:55], s[56:57]
	s_andn2_b64 s[46:47], s[46:47], exec
	s_and_b64 s[56:57], s[52:53], exec
	s_or_b64 s[46:47], s[46:47], s[56:57]
	s_andn2_b64 exec, exec, s[44:45]
	s_cbranch_execz .LBB9_1354
.LBB9_1352:                             ; =>This Inner Loop Header: Depth=1
	global_load_ubyte v48, v[4:5], off
	global_load_ubyte v49, v[6:7], off
	s_andn2_b64 s[52:53], s[52:53], exec
	s_or_b64 s[48:49], s[48:49], exec
	s_waitcnt vmcnt(0)
	v_cmp_le_u16_sdwa s[58:59], v48, v49 src0_sel:BYTE_0 src1_sel:BYTE_0
	v_cmp_lt_u16_sdwa s[56:57], v48, v49 src0_sel:BYTE_0 src1_sel:BYTE_0
	s_and_b64 s[58:59], s[58:59], s[54:55]
	s_or_b64 s[56:57], s[56:57], s[58:59]
	s_and_b64 s[58:59], s[56:57], exec
	v_cmp_eq_u16_sdwa s[60:61], v48, v49 src0_sel:BYTE_0 src1_sel:BYTE_0
	s_or_b64 s[52:53], s[52:53], s[58:59]
	s_and_saveexec_b64 s[58:59], s[60:61]
	s_cbranch_execz .LBB9_1351
; %bb.1353:                             ;   in Loop: Header=BB9_1352 Depth=1
	s_add_u32 s50, s50, -1
	s_addc_u32 s51, s51, -1
	s_cmp_eq_u64 s[50:51], 0
	s_cselect_b64 s[54:55], -1, 0
	s_andn2_b64 s[48:49], s[48:49], exec
	s_and_b64 s[54:55], s[54:55], exec
	v_lshl_add_u64 v[4:5], v[4:5], 0, 1
	v_lshl_add_u64 v[6:7], v[6:7], 0, 1
	s_andn2_b64 s[52:53], s[52:53], exec
	s_or_b64 s[48:49], s[48:49], s[54:55]
                                        ; implicit-def: $sgpr54_sgpr55
	s_branch .LBB9_1351
.LBB9_1354:
	s_or_b64 exec, exec, s[44:45]
	s_xor_b64 s[44:45], s[46:47], -1
	s_branch .LBB9_1356
.LBB9_1355:
	s_mov_b64 s[44:45], -1
.LBB9_1356:
	s_and_b64 s[44:45], s[44:45], exec
.LBB9_1357:
	s_or_b64 exec, exec, s[24:25]
	s_orn2_b64 s[24:25], s[44:45], exec
.LBB9_1358:
	s_or_b64 exec, exec, s[42:43]
	v_cndmask_b32_e64 v4, v45, v44, s[24:25]
	v_cndmask_b32_e64 v5, v25, v24, s[24:25]
	;; [unrolled: 1-line block ×4, first 2 shown]
	v_add_u32_e32 v34, 1, v4
	v_add_u32_e32 v4, -1, v5
	v_min_u32_e32 v4, v34, v4
	v_lshl_add_u32 v4, v4, 3, v33
	v_cndmask_b32_e64 v11, v10, v11, s[18:19]
	v_cndmask_b32_e64 v10, v17, v23, s[18:19]
	;; [unrolled: 1-line block ×4, first 2 shown]
	ds_read_b64 v[22:23], v4
	v_cndmask_b32_e64 v14, v2, v0, s[16:17]
	v_cndmask_b32_e64 v0, v34, v45, s[24:25]
	;; [unrolled: 1-line block ×9, first 2 shown]
	s_waitcnt lgkmcnt(0)
	v_cndmask_b32_e64 v5, v46, v23, s[24:25]
	v_cndmask_b32_e64 v4, v47, v22, s[24:25]
	v_cmp_lt_u32_e32 vcc, v0, v25
	s_and_saveexec_b64 s[2:3], vcc
	s_cbranch_execz .LBB9_1368
; %bb.1359:
	v_cndmask_b32_e64 v0, v22, v43, s[24:25]
	v_cndmask_b32_e64 v22, v44, v34, s[24:25]
	;; [unrolled: 1-line block ×3, first 2 shown]
	v_cmp_lt_u32_e32 vcc, v22, v24
	s_and_saveexec_b64 s[16:17], vcc
	s_cbranch_execz .LBB9_1367
; %bb.1360:
	s_andn2_b64 vcc, exec, s[40:41]
	s_cbranch_vccnz .LBB9_1366
; %bb.1361:
	v_mov_b64_e32 v[24:25], s[38:39]
	v_mad_u64_u32 v[22:23], s[18:19], v0, s36, v[24:25]
	v_mul_lo_u32 v33, v0, s37
	v_mul_lo_u32 v34, v1, s36
	v_add3_u32 v23, v34, v23, v33
	v_mad_u64_u32 v[24:25], s[18:19], v4, s36, v[24:25]
	v_mul_lo_u32 v33, v4, s37
	v_mul_lo_u32 v34, v5, s36
	v_add3_u32 v25, v34, v25, v33
	s_mov_b64 s[18:19], 0
	s_mov_b64 s[24:25], s[36:37]
                                        ; implicit-def: $sgpr20_sgpr21
                                        ; implicit-def: $sgpr22_sgpr23
                                        ; implicit-def: $sgpr26_sgpr27
                                        ; implicit-def: $sgpr42_sgpr43
	s_branch .LBB9_1363
.LBB9_1362:                             ;   in Loop: Header=BB9_1363 Depth=1
	s_or_b64 exec, exec, s[46:47]
	s_and_b64 s[46:47], exec, s[22:23]
	s_or_b64 s[18:19], s[46:47], s[18:19]
	s_andn2_b64 s[42:43], s[42:43], exec
	s_and_b64 s[44:45], s[44:45], exec
	s_or_b64 s[42:43], s[42:43], s[44:45]
	s_andn2_b64 s[20:21], s[20:21], exec
	s_and_b64 s[44:45], s[26:27], exec
	s_or_b64 s[20:21], s[20:21], s[44:45]
	s_andn2_b64 exec, exec, s[18:19]
	s_cbranch_execz .LBB9_1365
.LBB9_1363:                             ; =>This Inner Loop Header: Depth=1
	global_load_ubyte v33, v[22:23], off
	global_load_ubyte v34, v[24:25], off
	s_andn2_b64 s[26:27], s[26:27], exec
	s_or_b64 s[22:23], s[22:23], exec
	s_waitcnt vmcnt(0)
	v_cmp_le_u16_sdwa s[46:47], v33, v34 src0_sel:BYTE_0 src1_sel:BYTE_0
	v_cmp_lt_u16_sdwa s[44:45], v33, v34 src0_sel:BYTE_0 src1_sel:BYTE_0
	s_and_b64 s[46:47], s[46:47], s[42:43]
	s_or_b64 s[44:45], s[44:45], s[46:47]
	s_and_b64 s[46:47], s[44:45], exec
	v_cmp_eq_u16_sdwa s[48:49], v33, v34 src0_sel:BYTE_0 src1_sel:BYTE_0
	s_or_b64 s[26:27], s[26:27], s[46:47]
	s_and_saveexec_b64 s[46:47], s[48:49]
	s_cbranch_execz .LBB9_1362
; %bb.1364:                             ;   in Loop: Header=BB9_1363 Depth=1
	s_add_u32 s24, s24, -1
	s_addc_u32 s25, s25, -1
	s_cmp_eq_u64 s[24:25], 0
	s_cselect_b64 s[42:43], -1, 0
	s_andn2_b64 s[22:23], s[22:23], exec
	s_and_b64 s[42:43], s[42:43], exec
	v_lshl_add_u64 v[22:23], v[22:23], 0, 1
	v_lshl_add_u64 v[24:25], v[24:25], 0, 1
	s_andn2_b64 s[26:27], s[26:27], exec
	s_or_b64 s[22:23], s[22:23], s[42:43]
                                        ; implicit-def: $sgpr42_sgpr43
	s_branch .LBB9_1362
.LBB9_1365:
	s_or_b64 exec, exec, s[18:19]
	v_cndmask_b32_e64 v5, v5, v1, s[20:21]
	v_cndmask_b32_e64 v4, v4, v0, s[20:21]
.LBB9_1366:
	v_mov_b64_e32 v[0:1], v[4:5]
.LBB9_1367:
	s_or_b64 exec, exec, s[16:17]
	v_mov_b64_e32 v[4:5], v[0:1]
.LBB9_1368:
	s_or_b64 exec, exec, s[2:3]
.LBB9_1369:
	s_or_b64 exec, exec, s[14:15]
	s_cmpk_lt_u32 s33, 0x81
	; wave barrier
	s_waitcnt lgkmcnt(0)
	s_barrier
	s_cbranch_scc1 .LBB9_1473
; %bb.1370:
	v_cndmask_b32_e64 v0, 0, 1, s[40:41]
	v_lshlrev_b32_e32 v24, 3, v20
	s_movk_i32 s62, 0x80
	v_cmp_ne_u32_e64 s[14:15], 1, v0
	s_branch .LBB9_1376
.LBB9_1371:                             ;   in Loop: Header=BB9_1376 Depth=1
	s_or_b64 exec, exec, s[46:47]
	v_cndmask_b32_e64 v5, v5, v7, s[48:49]
	v_cndmask_b32_e64 v4, v4, v6, s[48:49]
.LBB9_1372:                             ;   in Loop: Header=BB9_1376 Depth=1
	v_mov_b64_e32 v[6:7], v[4:5]
.LBB9_1373:                             ;   in Loop: Header=BB9_1376 Depth=1
	s_or_b64 exec, exec, s[44:45]
	v_mov_b64_e32 v[4:5], v[6:7]
.LBB9_1374:                             ;   in Loop: Header=BB9_1376 Depth=1
	s_or_b64 exec, exec, s[42:43]
	v_cndmask_b32_e64 v9, v42, v44, s[40:41]
	v_cndmask_b32_e64 v8, v43, v45, s[40:41]
	;; [unrolled: 1-line block ×14, first 2 shown]
.LBB9_1375:                             ;   in Loop: Header=BB9_1376 Depth=1
	s_or_b64 exec, exec, s[16:17]
	s_cmp_lt_u32 s62, s33
	s_barrier
	s_cbranch_scc0 .LBB9_1473
.LBB9_1376:                             ; =>This Loop Header: Depth=1
                                        ;     Child Loop BB9_1380 Depth 2
                                        ;       Child Loop BB9_1383 Depth 3
                                        ;     Child Loop BB9_1395 Depth 2
                                        ;     Child Loop BB9_1405 Depth 2
	;; [unrolled: 1-line block ×8, first 2 shown]
	s_mov_b32 s2, s62
	s_lshl_b32 s62, s62, 1
	s_sub_i32 s16, 0, s62
	v_and_b32_e32 v36, s16, v20
	v_add_u32_e32 v0, s2, v36
	v_min_u32_e32 v25, s33, v0
	s_add_i32 s3, s62, -1
	v_add_u32_e32 v0, s2, v25
	v_min_u32_e32 v33, s33, v0
	v_and_b32_e32 v0, s3, v20
	v_min_u32_e32 v37, s33, v0
	v_sub_u32_e32 v0, v25, v36
	v_sub_u32_e32 v1, v33, v25
	v_sub_u32_e64 v35, v37, v1 clamp
	v_min_u32_e32 v38, v37, v0
	v_lshlrev_b32_e32 v34, 3, v36
	v_cmp_lt_u32_e32 vcc, v35, v38
	ds_write_b128 v24, v[14:17]
	ds_write_b128 v24, v[10:13] offset:16
	ds_write_b128 v24, v[6:9] offset:32
	;; [unrolled: 1-line block ×3, first 2 shown]
	s_waitcnt lgkmcnt(0)
	s_barrier
	s_and_saveexec_b64 s[2:3], vcc
	s_cbranch_execz .LBB9_1386
; %bb.1377:                             ;   in Loop: Header=BB9_1376 Depth=1
	v_lshlrev_b32_e32 v0, 3, v37
	v_lshl_add_u32 v39, v25, 3, v0
	s_mov_b64 s[16:17], 0
	s_branch .LBB9_1380
.LBB9_1378:                             ;   in Loop: Header=BB9_1380 Depth=2
	s_or_b64 exec, exec, s[20:21]
.LBB9_1379:                             ;   in Loop: Header=BB9_1380 Depth=2
	v_add_u32_e32 v0, 1, v40
	v_cndmask_b32_e64 v38, v38, v40, s[18:19]
	v_cndmask_b32_e64 v35, v0, v35, s[18:19]
	v_cmp_ge_u32_e32 vcc, v35, v38
	s_or_b64 s[16:17], vcc, s[16:17]
	s_andn2_b64 exec, exec, s[16:17]
	s_cbranch_execz .LBB9_1385
.LBB9_1380:                             ;   Parent Loop BB9_1376 Depth=1
                                        ; =>  This Loop Header: Depth=2
                                        ;       Child Loop BB9_1383 Depth 3
	v_add_u32_e32 v0, v38, v35
	v_lshrrev_b32_e32 v40, 1, v0
	s_and_b64 vcc, exec, s[14:15]
	s_mov_b64 s[18:19], 0
	s_cbranch_vccnz .LBB9_1379
; %bb.1381:                             ;   in Loop: Header=BB9_1380 Depth=2
	v_not_b32_e32 v0, v40
	v_lshl_add_u32 v0, v0, 3, v39
	ds_read_b64 v[0:1], v0
	v_lshl_add_u32 v41, v40, 3, v34
	ds_read_b64 v[42:43], v41
	v_mov_b64_e32 v[22:23], s[38:39]
	s_mov_b64 s[20:21], 0
	s_waitcnt lgkmcnt(1)
	v_mul_lo_u32 v41, v0, s37
	v_mul_lo_u32 v44, v1, s36
	v_mad_u64_u32 v[0:1], s[18:19], v0, s36, v[22:23]
	v_add3_u32 v1, v44, v1, v41
	s_waitcnt lgkmcnt(0)
	v_mul_lo_u32 v41, v42, s37
	v_mul_lo_u32 v43, v43, s36
	v_mad_u64_u32 v[22:23], s[18:19], v42, s36, v[22:23]
	v_add3_u32 v23, v43, v23, v41
	s_mov_b64 s[24:25], s[36:37]
                                        ; implicit-def: $sgpr18_sgpr19
                                        ; implicit-def: $sgpr22_sgpr23
                                        ; implicit-def: $sgpr26_sgpr27
                                        ; implicit-def: $sgpr40_sgpr41
	s_branch .LBB9_1383
.LBB9_1382:                             ;   in Loop: Header=BB9_1383 Depth=3
	s_or_b64 exec, exec, s[44:45]
	s_and_b64 s[44:45], exec, s[22:23]
	s_or_b64 s[20:21], s[44:45], s[20:21]
	s_andn2_b64 s[40:41], s[40:41], exec
	s_and_b64 s[42:43], s[42:43], exec
	s_or_b64 s[40:41], s[40:41], s[42:43]
	s_andn2_b64 s[18:19], s[18:19], exec
	s_and_b64 s[42:43], s[26:27], exec
	s_or_b64 s[18:19], s[18:19], s[42:43]
	s_andn2_b64 exec, exec, s[20:21]
	s_cbranch_execz .LBB9_1378
.LBB9_1383:                             ;   Parent Loop BB9_1376 Depth=1
                                        ;     Parent Loop BB9_1380 Depth=2
                                        ; =>    This Inner Loop Header: Depth=3
	global_load_ubyte v41, v[0:1], off
	global_load_ubyte v42, v[22:23], off
	s_andn2_b64 s[26:27], s[26:27], exec
	s_or_b64 s[22:23], s[22:23], exec
	s_waitcnt vmcnt(0)
	v_cmp_le_u16_sdwa s[44:45], v41, v42 src0_sel:BYTE_0 src1_sel:BYTE_0
	v_cmp_lt_u16_sdwa s[42:43], v41, v42 src0_sel:BYTE_0 src1_sel:BYTE_0
	s_and_b64 s[44:45], s[44:45], s[40:41]
	s_or_b64 s[42:43], s[42:43], s[44:45]
	s_and_b64 s[44:45], s[42:43], exec
	v_cmp_eq_u16_sdwa s[46:47], v41, v42 src0_sel:BYTE_0 src1_sel:BYTE_0
	s_or_b64 s[26:27], s[26:27], s[44:45]
	s_and_saveexec_b64 s[44:45], s[46:47]
	s_cbranch_execz .LBB9_1382
; %bb.1384:                             ;   in Loop: Header=BB9_1383 Depth=3
	s_add_u32 s24, s24, -1
	s_addc_u32 s25, s25, -1
	s_cmp_eq_u64 s[24:25], 0
	s_cselect_b64 s[40:41], -1, 0
	s_andn2_b64 s[22:23], s[22:23], exec
	s_and_b64 s[40:41], s[40:41], exec
	v_lshl_add_u64 v[0:1], v[0:1], 0, 1
	v_lshl_add_u64 v[22:23], v[22:23], 0, 1
	s_andn2_b64 s[26:27], s[26:27], exec
	s_or_b64 s[22:23], s[22:23], s[40:41]
                                        ; implicit-def: $sgpr40_sgpr41
	s_branch .LBB9_1382
.LBB9_1385:                             ;   in Loop: Header=BB9_1376 Depth=1
	s_or_b64 exec, exec, s[16:17]
.LBB9_1386:                             ;   in Loop: Header=BB9_1376 Depth=1
	s_or_b64 exec, exec, s[2:3]
	v_sub_u32_e32 v0, v37, v35
	v_add_u32_e32 v23, v35, v36
	v_add_u32_e32 v36, v0, v25
	v_cmp_le_u32_e32 vcc, v23, v25
	v_cmp_le_u32_e64 s[2:3], v36, v33
	s_or_b64 s[2:3], vcc, s[2:3]
	s_and_saveexec_b64 s[16:17], s[2:3]
	s_cbranch_execz .LBB9_1375
; %bb.1387:                             ;   in Loop: Header=BB9_1376 Depth=1
	v_cmp_ge_u32_e32 vcc, v23, v25
	v_cmp_lt_u32_e64 s[2:3], v23, v25
                                        ; implicit-def: $vgpr0_vgpr1
	s_and_saveexec_b64 s[18:19], s[2:3]
; %bb.1388:                             ;   in Loop: Header=BB9_1376 Depth=1
	v_lshl_add_u32 v0, v35, 3, v34
	ds_read_b64 v[0:1], v0
; %bb.1389:                             ;   in Loop: Header=BB9_1376 Depth=1
	s_or_b64 exec, exec, s[18:19]
	v_cmp_ge_u32_e64 s[18:19], v36, v33
	v_cmp_lt_u32_e64 s[2:3], v36, v33
                                        ; implicit-def: $vgpr2_vgpr3
	s_and_saveexec_b64 s[20:21], s[2:3]
; %bb.1390:                             ;   in Loop: Header=BB9_1376 Depth=1
	v_lshlrev_b32_e32 v2, 3, v36
	ds_read_b64 v[2:3], v2
; %bb.1391:                             ;   in Loop: Header=BB9_1376 Depth=1
	s_or_b64 exec, exec, s[20:21]
	s_nor_b64 s[20:21], vcc, s[18:19]
	s_and_saveexec_b64 s[2:3], s[20:21]
	s_cbranch_execz .LBB9_1400
; %bb.1392:                             ;   in Loop: Header=BB9_1376 Depth=1
	s_and_b64 vcc, exec, s[14:15]
	s_cbranch_vccnz .LBB9_1398
; %bb.1393:                             ;   in Loop: Header=BB9_1376 Depth=1
	v_mov_b64_e32 v[6:7], s[38:39]
	s_waitcnt lgkmcnt(0)
	v_mad_u64_u32 v[4:5], s[20:21], v2, s36, v[6:7]
	v_mul_lo_u32 v8, v2, s37
	v_mul_lo_u32 v9, v3, s36
	v_add3_u32 v5, v9, v5, v8
	v_mad_u64_u32 v[6:7], s[20:21], v0, s36, v[6:7]
	v_mul_lo_u32 v8, v0, s37
	v_mul_lo_u32 v9, v1, s36
	v_add3_u32 v7, v9, v7, v8
	s_mov_b64 s[20:21], 0
	s_mov_b64 s[26:27], s[36:37]
                                        ; implicit-def: $sgpr22_sgpr23
                                        ; implicit-def: $sgpr24_sgpr25
                                        ; implicit-def: $sgpr40_sgpr41
                                        ; implicit-def: $sgpr42_sgpr43
	s_branch .LBB9_1395
.LBB9_1394:                             ;   in Loop: Header=BB9_1395 Depth=2
	s_or_b64 exec, exec, s[46:47]
	s_and_b64 s[46:47], exec, s[24:25]
	s_or_b64 s[20:21], s[46:47], s[20:21]
	s_andn2_b64 s[42:43], s[42:43], exec
	s_and_b64 s[44:45], s[44:45], exec
	s_or_b64 s[42:43], s[42:43], s[44:45]
	s_andn2_b64 s[22:23], s[22:23], exec
	s_and_b64 s[44:45], s[40:41], exec
	s_or_b64 s[22:23], s[22:23], s[44:45]
	s_andn2_b64 exec, exec, s[20:21]
	s_cbranch_execz .LBB9_1397
.LBB9_1395:                             ;   Parent Loop BB9_1376 Depth=1
                                        ; =>  This Inner Loop Header: Depth=2
	global_load_ubyte v8, v[4:5], off
	global_load_ubyte v9, v[6:7], off
	s_andn2_b64 s[40:41], s[40:41], exec
	s_or_b64 s[24:25], s[24:25], exec
	s_waitcnt vmcnt(0)
	v_cmp_le_u16_sdwa s[46:47], v8, v9 src0_sel:BYTE_0 src1_sel:BYTE_0
	v_cmp_lt_u16_sdwa s[44:45], v8, v9 src0_sel:BYTE_0 src1_sel:BYTE_0
	s_and_b64 s[46:47], s[46:47], s[42:43]
	s_or_b64 s[44:45], s[44:45], s[46:47]
	s_and_b64 s[46:47], s[44:45], exec
	v_cmp_eq_u16_sdwa s[48:49], v8, v9 src0_sel:BYTE_0 src1_sel:BYTE_0
	s_or_b64 s[40:41], s[40:41], s[46:47]
	s_and_saveexec_b64 s[46:47], s[48:49]
	s_cbranch_execz .LBB9_1394
; %bb.1396:                             ;   in Loop: Header=BB9_1395 Depth=2
	s_add_u32 s26, s26, -1
	s_addc_u32 s27, s27, -1
	s_cmp_eq_u64 s[26:27], 0
	s_cselect_b64 s[42:43], -1, 0
	s_andn2_b64 s[24:25], s[24:25], exec
	s_and_b64 s[42:43], s[42:43], exec
	v_lshl_add_u64 v[4:5], v[4:5], 0, 1
	v_lshl_add_u64 v[6:7], v[6:7], 0, 1
	s_andn2_b64 s[40:41], s[40:41], exec
	s_or_b64 s[24:25], s[24:25], s[42:43]
                                        ; implicit-def: $sgpr42_sgpr43
	s_branch .LBB9_1394
.LBB9_1397:                             ;   in Loop: Header=BB9_1376 Depth=1
	s_or_b64 exec, exec, s[20:21]
	s_xor_b64 s[20:21], s[22:23], -1
	s_branch .LBB9_1399
.LBB9_1398:                             ;   in Loop: Header=BB9_1376 Depth=1
	s_mov_b64 s[20:21], -1
.LBB9_1399:                             ;   in Loop: Header=BB9_1376 Depth=1
	s_andn2_b64 s[18:19], s[18:19], exec
	s_and_b64 s[20:21], s[20:21], exec
	s_or_b64 s[18:19], s[18:19], s[20:21]
.LBB9_1400:                             ;   in Loop: Header=BB9_1376 Depth=1
	s_or_b64 exec, exec, s[2:3]
	v_cndmask_b32_e64 v4, v36, v23, s[18:19]
	v_cndmask_b32_e64 v5, v33, v25, s[18:19]
	v_add_u32_e32 v6, 1, v4
	v_add_u32_e32 v4, -1, v5
	v_min_u32_e32 v4, v6, v4
	v_lshlrev_b32_e32 v4, 3, v4
	ds_read_b64 v[4:5], v4
	v_cndmask_b32_e64 v8, v6, v36, s[18:19]
	v_cndmask_b32_e64 v9, v23, v6, s[18:19]
	v_cmp_lt_u32_e32 vcc, v8, v33
	s_mov_b64 s[20:21], -1
	s_waitcnt lgkmcnt(0)
	v_cndmask_b32_e64 v14, v5, v3, s[18:19]
	v_cndmask_b32_e64 v15, v4, v2, s[18:19]
	;; [unrolled: 1-line block ×4, first 2 shown]
	s_mov_b64 s[2:3], -1
	s_and_saveexec_b64 s[22:23], vcc
	s_cbranch_execz .LBB9_1411
; %bb.1401:                             ;   in Loop: Header=BB9_1376 Depth=1
	v_cmp_lt_u32_e32 vcc, v9, v25
	s_mov_b64 s[24:25], 0
	s_and_saveexec_b64 s[2:3], vcc
	s_cbranch_execz .LBB9_1410
; %bb.1402:                             ;   in Loop: Header=BB9_1376 Depth=1
	s_and_b64 vcc, exec, s[14:15]
	s_cbranch_vccnz .LBB9_1408
; %bb.1403:                             ;   in Loop: Header=BB9_1376 Depth=1
	v_mov_b64_e32 v[6:7], s[38:39]
	v_mad_u64_u32 v[4:5], s[24:25], v15, s36, v[6:7]
	v_mul_lo_u32 v10, v15, s37
	v_mul_lo_u32 v11, v14, s36
	v_add3_u32 v5, v11, v5, v10
	v_mad_u64_u32 v[6:7], s[24:25], v22, s36, v[6:7]
	v_mul_lo_u32 v10, v22, s37
	v_mul_lo_u32 v11, v16, s36
	v_add3_u32 v7, v11, v7, v10
	s_mov_b64 s[24:25], 0
	s_mov_b64 s[42:43], s[36:37]
                                        ; implicit-def: $sgpr26_sgpr27
                                        ; implicit-def: $sgpr40_sgpr41
                                        ; implicit-def: $sgpr44_sgpr45
                                        ; implicit-def: $sgpr46_sgpr47
	s_branch .LBB9_1405
.LBB9_1404:                             ;   in Loop: Header=BB9_1405 Depth=2
	s_or_b64 exec, exec, s[50:51]
	s_and_b64 s[50:51], exec, s[40:41]
	s_or_b64 s[24:25], s[50:51], s[24:25]
	s_andn2_b64 s[46:47], s[46:47], exec
	s_and_b64 s[48:49], s[48:49], exec
	s_or_b64 s[46:47], s[46:47], s[48:49]
	s_andn2_b64 s[26:27], s[26:27], exec
	s_and_b64 s[48:49], s[44:45], exec
	s_or_b64 s[26:27], s[26:27], s[48:49]
	s_andn2_b64 exec, exec, s[24:25]
	s_cbranch_execz .LBB9_1407
.LBB9_1405:                             ;   Parent Loop BB9_1376 Depth=1
                                        ; =>  This Inner Loop Header: Depth=2
	global_load_ubyte v10, v[4:5], off
	global_load_ubyte v11, v[6:7], off
	s_andn2_b64 s[44:45], s[44:45], exec
	s_or_b64 s[40:41], s[40:41], exec
	s_waitcnt vmcnt(0)
	v_cmp_le_u16_sdwa s[50:51], v10, v11 src0_sel:BYTE_0 src1_sel:BYTE_0
	v_cmp_lt_u16_sdwa s[48:49], v10, v11 src0_sel:BYTE_0 src1_sel:BYTE_0
	s_and_b64 s[50:51], s[50:51], s[46:47]
	s_or_b64 s[48:49], s[48:49], s[50:51]
	s_and_b64 s[50:51], s[48:49], exec
	v_cmp_eq_u16_sdwa s[52:53], v10, v11 src0_sel:BYTE_0 src1_sel:BYTE_0
	s_or_b64 s[44:45], s[44:45], s[50:51]
	s_and_saveexec_b64 s[50:51], s[52:53]
	s_cbranch_execz .LBB9_1404
; %bb.1406:                             ;   in Loop: Header=BB9_1405 Depth=2
	s_add_u32 s42, s42, -1
	s_addc_u32 s43, s43, -1
	s_cmp_eq_u64 s[42:43], 0
	s_cselect_b64 s[46:47], -1, 0
	s_andn2_b64 s[40:41], s[40:41], exec
	s_and_b64 s[46:47], s[46:47], exec
	v_lshl_add_u64 v[4:5], v[4:5], 0, 1
	v_lshl_add_u64 v[6:7], v[6:7], 0, 1
	s_andn2_b64 s[44:45], s[44:45], exec
	s_or_b64 s[40:41], s[40:41], s[46:47]
                                        ; implicit-def: $sgpr46_sgpr47
	s_branch .LBB9_1404
.LBB9_1407:                             ;   in Loop: Header=BB9_1376 Depth=1
	s_or_b64 exec, exec, s[24:25]
	s_xor_b64 s[24:25], s[26:27], -1
	s_branch .LBB9_1409
.LBB9_1408:                             ;   in Loop: Header=BB9_1376 Depth=1
	s_mov_b64 s[24:25], -1
.LBB9_1409:                             ;   in Loop: Header=BB9_1376 Depth=1
	s_and_b64 s[24:25], s[24:25], exec
.LBB9_1410:                             ;   in Loop: Header=BB9_1376 Depth=1
	s_or_b64 exec, exec, s[2:3]
	s_orn2_b64 s[2:3], s[24:25], exec
.LBB9_1411:                             ;   in Loop: Header=BB9_1376 Depth=1
	s_or_b64 exec, exec, s[22:23]
	v_cndmask_b32_e64 v4, v8, v9, s[2:3]
	v_cndmask_b32_e64 v5, v33, v25, s[2:3]
	v_add_u32_e32 v6, 1, v4
	v_add_u32_e32 v4, -1, v5
	v_min_u32_e32 v4, v6, v4
	v_lshlrev_b32_e32 v4, 3, v4
	ds_read_b64 v[4:5], v4
	v_cndmask_b32_e64 v8, v6, v8, s[2:3]
	v_cndmask_b32_e64 v9, v9, v6, s[2:3]
	v_cmp_lt_u32_e32 vcc, v8, v33
	s_waitcnt lgkmcnt(0)
	v_cndmask_b32_e64 v17, v5, v14, s[2:3]
	v_cndmask_b32_e64 v23, v4, v15, s[2:3]
	;; [unrolled: 1-line block ×4, first 2 shown]
	s_and_saveexec_b64 s[22:23], vcc
	s_cbranch_execz .LBB9_1422
; %bb.1412:                             ;   in Loop: Header=BB9_1376 Depth=1
	v_cmp_lt_u32_e32 vcc, v9, v25
	s_mov_b64 s[24:25], 0
	s_and_saveexec_b64 s[20:21], vcc
	s_cbranch_execz .LBB9_1421
; %bb.1413:                             ;   in Loop: Header=BB9_1376 Depth=1
	s_and_b64 vcc, exec, s[14:15]
	s_cbranch_vccnz .LBB9_1419
; %bb.1414:                             ;   in Loop: Header=BB9_1376 Depth=1
	v_mov_b64_e32 v[6:7], s[38:39]
	v_mad_u64_u32 v[4:5], s[24:25], v23, s36, v[6:7]
	v_mul_lo_u32 v10, v23, s37
	v_mul_lo_u32 v11, v17, s36
	v_add3_u32 v5, v11, v5, v10
	v_mad_u64_u32 v[6:7], s[24:25], v35, s36, v[6:7]
	v_mul_lo_u32 v10, v35, s37
	v_mul_lo_u32 v11, v34, s36
	v_add3_u32 v7, v11, v7, v10
	s_mov_b64 s[24:25], 0
	s_mov_b64 s[42:43], s[36:37]
                                        ; implicit-def: $sgpr26_sgpr27
                                        ; implicit-def: $sgpr40_sgpr41
                                        ; implicit-def: $sgpr44_sgpr45
                                        ; implicit-def: $sgpr46_sgpr47
	s_branch .LBB9_1416
.LBB9_1415:                             ;   in Loop: Header=BB9_1416 Depth=2
	s_or_b64 exec, exec, s[50:51]
	s_and_b64 s[50:51], exec, s[40:41]
	s_or_b64 s[24:25], s[50:51], s[24:25]
	s_andn2_b64 s[46:47], s[46:47], exec
	s_and_b64 s[48:49], s[48:49], exec
	s_or_b64 s[46:47], s[46:47], s[48:49]
	s_andn2_b64 s[26:27], s[26:27], exec
	s_and_b64 s[48:49], s[44:45], exec
	s_or_b64 s[26:27], s[26:27], s[48:49]
	s_andn2_b64 exec, exec, s[24:25]
	s_cbranch_execz .LBB9_1418
.LBB9_1416:                             ;   Parent Loop BB9_1376 Depth=1
                                        ; =>  This Inner Loop Header: Depth=2
	global_load_ubyte v10, v[4:5], off
	global_load_ubyte v11, v[6:7], off
	s_andn2_b64 s[44:45], s[44:45], exec
	s_or_b64 s[40:41], s[40:41], exec
	s_waitcnt vmcnt(0)
	v_cmp_le_u16_sdwa s[50:51], v10, v11 src0_sel:BYTE_0 src1_sel:BYTE_0
	v_cmp_lt_u16_sdwa s[48:49], v10, v11 src0_sel:BYTE_0 src1_sel:BYTE_0
	s_and_b64 s[50:51], s[50:51], s[46:47]
	s_or_b64 s[48:49], s[48:49], s[50:51]
	s_and_b64 s[50:51], s[48:49], exec
	v_cmp_eq_u16_sdwa s[52:53], v10, v11 src0_sel:BYTE_0 src1_sel:BYTE_0
	s_or_b64 s[44:45], s[44:45], s[50:51]
	s_and_saveexec_b64 s[50:51], s[52:53]
	s_cbranch_execz .LBB9_1415
; %bb.1417:                             ;   in Loop: Header=BB9_1416 Depth=2
	s_add_u32 s42, s42, -1
	s_addc_u32 s43, s43, -1
	s_cmp_eq_u64 s[42:43], 0
	s_cselect_b64 s[46:47], -1, 0
	s_andn2_b64 s[40:41], s[40:41], exec
	s_and_b64 s[46:47], s[46:47], exec
	v_lshl_add_u64 v[4:5], v[4:5], 0, 1
	v_lshl_add_u64 v[6:7], v[6:7], 0, 1
	s_andn2_b64 s[44:45], s[44:45], exec
	s_or_b64 s[40:41], s[40:41], s[46:47]
                                        ; implicit-def: $sgpr46_sgpr47
	s_branch .LBB9_1415
.LBB9_1418:                             ;   in Loop: Header=BB9_1376 Depth=1
	s_or_b64 exec, exec, s[24:25]
	s_xor_b64 s[24:25], s[26:27], -1
	s_branch .LBB9_1420
.LBB9_1419:                             ;   in Loop: Header=BB9_1376 Depth=1
	s_mov_b64 s[24:25], -1
.LBB9_1420:                             ;   in Loop: Header=BB9_1376 Depth=1
	s_and_b64 s[24:25], s[24:25], exec
.LBB9_1421:                             ;   in Loop: Header=BB9_1376 Depth=1
	s_or_b64 exec, exec, s[20:21]
	s_orn2_b64 s[20:21], s[24:25], exec
.LBB9_1422:                             ;   in Loop: Header=BB9_1376 Depth=1
	s_or_b64 exec, exec, s[22:23]
	v_cndmask_b32_e64 v4, v8, v9, s[20:21]
	v_cndmask_b32_e64 v5, v33, v25, s[20:21]
	v_add_u32_e32 v6, 1, v4
	v_add_u32_e32 v4, -1, v5
	v_min_u32_e32 v4, v6, v4
	v_lshlrev_b32_e32 v4, 3, v4
	ds_read_b64 v[4:5], v4
	v_cndmask_b32_e64 v8, v6, v8, s[20:21]
	v_cndmask_b32_e64 v9, v9, v6, s[20:21]
	v_cmp_lt_u32_e32 vcc, v8, v33
	s_mov_b64 s[24:25], -1
	s_waitcnt lgkmcnt(0)
	v_cndmask_b32_e64 v12, v5, v17, s[20:21]
	v_cndmask_b32_e64 v36, v4, v23, s[20:21]
	v_cndmask_b32_e64 v13, v34, v5, s[20:21]
	v_cndmask_b32_e64 v37, v35, v4, s[20:21]
	s_mov_b64 s[22:23], -1
	s_and_saveexec_b64 s[26:27], vcc
	s_cbranch_execz .LBB9_1433
; %bb.1423:                             ;   in Loop: Header=BB9_1376 Depth=1
	v_cmp_lt_u32_e32 vcc, v9, v25
	s_mov_b64 s[40:41], 0
	s_and_saveexec_b64 s[22:23], vcc
	s_cbranch_execz .LBB9_1432
; %bb.1424:                             ;   in Loop: Header=BB9_1376 Depth=1
	s_and_b64 vcc, exec, s[14:15]
	s_cbranch_vccnz .LBB9_1430
; %bb.1425:                             ;   in Loop: Header=BB9_1376 Depth=1
	v_mov_b64_e32 v[6:7], s[38:39]
	v_mad_u64_u32 v[4:5], s[40:41], v36, s36, v[6:7]
	v_mul_lo_u32 v10, v36, s37
	v_mul_lo_u32 v11, v12, s36
	v_add3_u32 v5, v11, v5, v10
	v_mad_u64_u32 v[6:7], s[40:41], v37, s36, v[6:7]
	v_mul_lo_u32 v10, v37, s37
	v_mul_lo_u32 v11, v13, s36
	v_add3_u32 v7, v11, v7, v10
	s_mov_b64 s[40:41], 0
	s_mov_b64 s[46:47], s[36:37]
                                        ; implicit-def: $sgpr42_sgpr43
                                        ; implicit-def: $sgpr44_sgpr45
                                        ; implicit-def: $sgpr48_sgpr49
                                        ; implicit-def: $sgpr50_sgpr51
	s_branch .LBB9_1427
.LBB9_1426:                             ;   in Loop: Header=BB9_1427 Depth=2
	s_or_b64 exec, exec, s[54:55]
	s_and_b64 s[54:55], exec, s[44:45]
	s_or_b64 s[40:41], s[54:55], s[40:41]
	s_andn2_b64 s[50:51], s[50:51], exec
	s_and_b64 s[52:53], s[52:53], exec
	s_or_b64 s[50:51], s[50:51], s[52:53]
	s_andn2_b64 s[42:43], s[42:43], exec
	s_and_b64 s[52:53], s[48:49], exec
	s_or_b64 s[42:43], s[42:43], s[52:53]
	s_andn2_b64 exec, exec, s[40:41]
	s_cbranch_execz .LBB9_1429
.LBB9_1427:                             ;   Parent Loop BB9_1376 Depth=1
                                        ; =>  This Inner Loop Header: Depth=2
	global_load_ubyte v10, v[4:5], off
	global_load_ubyte v11, v[6:7], off
	s_andn2_b64 s[48:49], s[48:49], exec
	s_or_b64 s[44:45], s[44:45], exec
	s_waitcnt vmcnt(0)
	v_cmp_le_u16_sdwa s[54:55], v10, v11 src0_sel:BYTE_0 src1_sel:BYTE_0
	v_cmp_lt_u16_sdwa s[52:53], v10, v11 src0_sel:BYTE_0 src1_sel:BYTE_0
	s_and_b64 s[54:55], s[54:55], s[50:51]
	s_or_b64 s[52:53], s[52:53], s[54:55]
	s_and_b64 s[54:55], s[52:53], exec
	v_cmp_eq_u16_sdwa s[56:57], v10, v11 src0_sel:BYTE_0 src1_sel:BYTE_0
	s_or_b64 s[48:49], s[48:49], s[54:55]
	s_and_saveexec_b64 s[54:55], s[56:57]
	s_cbranch_execz .LBB9_1426
; %bb.1428:                             ;   in Loop: Header=BB9_1427 Depth=2
	s_add_u32 s46, s46, -1
	s_addc_u32 s47, s47, -1
	s_cmp_eq_u64 s[46:47], 0
	s_cselect_b64 s[50:51], -1, 0
	s_andn2_b64 s[44:45], s[44:45], exec
	s_and_b64 s[50:51], s[50:51], exec
	v_lshl_add_u64 v[4:5], v[4:5], 0, 1
	v_lshl_add_u64 v[6:7], v[6:7], 0, 1
	s_andn2_b64 s[48:49], s[48:49], exec
	s_or_b64 s[44:45], s[44:45], s[50:51]
                                        ; implicit-def: $sgpr50_sgpr51
	s_branch .LBB9_1426
.LBB9_1429:                             ;   in Loop: Header=BB9_1376 Depth=1
	s_or_b64 exec, exec, s[40:41]
	s_xor_b64 s[40:41], s[42:43], -1
	s_branch .LBB9_1431
.LBB9_1430:                             ;   in Loop: Header=BB9_1376 Depth=1
	s_mov_b64 s[40:41], -1
.LBB9_1431:                             ;   in Loop: Header=BB9_1376 Depth=1
	s_and_b64 s[40:41], s[40:41], exec
.LBB9_1432:                             ;   in Loop: Header=BB9_1376 Depth=1
	s_or_b64 exec, exec, s[22:23]
	s_orn2_b64 s[22:23], s[40:41], exec
.LBB9_1433:                             ;   in Loop: Header=BB9_1376 Depth=1
	s_or_b64 exec, exec, s[26:27]
	v_cndmask_b32_e64 v4, v8, v9, s[22:23]
	v_cndmask_b32_e64 v5, v33, v25, s[22:23]
	v_add_u32_e32 v6, 1, v4
	v_add_u32_e32 v4, -1, v5
	v_min_u32_e32 v4, v6, v4
	v_lshlrev_b32_e32 v4, 3, v4
	ds_read_b64 v[4:5], v4
	v_cndmask_b32_e64 v8, v6, v8, s[22:23]
	v_cndmask_b32_e64 v9, v9, v6, s[22:23]
	v_cmp_lt_u32_e32 vcc, v8, v33
	s_waitcnt lgkmcnt(0)
	v_cndmask_b32_e64 v38, v5, v12, s[22:23]
	v_cndmask_b32_e64 v39, v4, v36, s[22:23]
	;; [unrolled: 1-line block ×4, first 2 shown]
	s_and_saveexec_b64 s[26:27], vcc
	s_cbranch_execz .LBB9_1444
; %bb.1434:                             ;   in Loop: Header=BB9_1376 Depth=1
	v_cmp_lt_u32_e32 vcc, v9, v25
	s_mov_b64 s[40:41], 0
	s_and_saveexec_b64 s[24:25], vcc
	s_cbranch_execz .LBB9_1443
; %bb.1435:                             ;   in Loop: Header=BB9_1376 Depth=1
	s_and_b64 vcc, exec, s[14:15]
	s_cbranch_vccnz .LBB9_1441
; %bb.1436:                             ;   in Loop: Header=BB9_1376 Depth=1
	v_mov_b64_e32 v[6:7], s[38:39]
	v_mad_u64_u32 v[4:5], s[40:41], v39, s36, v[6:7]
	v_mul_lo_u32 v10, v39, s37
	v_mul_lo_u32 v11, v38, s36
	v_add3_u32 v5, v11, v5, v10
	v_mad_u64_u32 v[6:7], s[40:41], v41, s36, v[6:7]
	v_mul_lo_u32 v10, v41, s37
	v_mul_lo_u32 v11, v40, s36
	v_add3_u32 v7, v11, v7, v10
	s_mov_b64 s[40:41], 0
	s_mov_b64 s[46:47], s[36:37]
                                        ; implicit-def: $sgpr42_sgpr43
                                        ; implicit-def: $sgpr44_sgpr45
                                        ; implicit-def: $sgpr48_sgpr49
                                        ; implicit-def: $sgpr50_sgpr51
	s_branch .LBB9_1438
.LBB9_1437:                             ;   in Loop: Header=BB9_1438 Depth=2
	s_or_b64 exec, exec, s[54:55]
	s_and_b64 s[54:55], exec, s[44:45]
	s_or_b64 s[40:41], s[54:55], s[40:41]
	s_andn2_b64 s[50:51], s[50:51], exec
	s_and_b64 s[52:53], s[52:53], exec
	s_or_b64 s[50:51], s[50:51], s[52:53]
	s_andn2_b64 s[42:43], s[42:43], exec
	s_and_b64 s[52:53], s[48:49], exec
	s_or_b64 s[42:43], s[42:43], s[52:53]
	s_andn2_b64 exec, exec, s[40:41]
	s_cbranch_execz .LBB9_1440
.LBB9_1438:                             ;   Parent Loop BB9_1376 Depth=1
                                        ; =>  This Inner Loop Header: Depth=2
	global_load_ubyte v10, v[4:5], off
	global_load_ubyte v11, v[6:7], off
	s_andn2_b64 s[48:49], s[48:49], exec
	s_or_b64 s[44:45], s[44:45], exec
	s_waitcnt vmcnt(0)
	v_cmp_le_u16_sdwa s[54:55], v10, v11 src0_sel:BYTE_0 src1_sel:BYTE_0
	v_cmp_lt_u16_sdwa s[52:53], v10, v11 src0_sel:BYTE_0 src1_sel:BYTE_0
	s_and_b64 s[54:55], s[54:55], s[50:51]
	s_or_b64 s[52:53], s[52:53], s[54:55]
	s_and_b64 s[54:55], s[52:53], exec
	v_cmp_eq_u16_sdwa s[56:57], v10, v11 src0_sel:BYTE_0 src1_sel:BYTE_0
	s_or_b64 s[48:49], s[48:49], s[54:55]
	s_and_saveexec_b64 s[54:55], s[56:57]
	s_cbranch_execz .LBB9_1437
; %bb.1439:                             ;   in Loop: Header=BB9_1438 Depth=2
	s_add_u32 s46, s46, -1
	s_addc_u32 s47, s47, -1
	s_cmp_eq_u64 s[46:47], 0
	s_cselect_b64 s[50:51], -1, 0
	s_andn2_b64 s[44:45], s[44:45], exec
	s_and_b64 s[50:51], s[50:51], exec
	v_lshl_add_u64 v[4:5], v[4:5], 0, 1
	v_lshl_add_u64 v[6:7], v[6:7], 0, 1
	s_andn2_b64 s[48:49], s[48:49], exec
	s_or_b64 s[44:45], s[44:45], s[50:51]
                                        ; implicit-def: $sgpr50_sgpr51
	s_branch .LBB9_1437
.LBB9_1440:                             ;   in Loop: Header=BB9_1376 Depth=1
	s_or_b64 exec, exec, s[40:41]
	s_xor_b64 s[40:41], s[42:43], -1
	s_branch .LBB9_1442
.LBB9_1441:                             ;   in Loop: Header=BB9_1376 Depth=1
	s_mov_b64 s[40:41], -1
.LBB9_1442:                             ;   in Loop: Header=BB9_1376 Depth=1
	s_and_b64 s[40:41], s[40:41], exec
.LBB9_1443:                             ;   in Loop: Header=BB9_1376 Depth=1
	s_or_b64 exec, exec, s[24:25]
	s_orn2_b64 s[24:25], s[40:41], exec
.LBB9_1444:                             ;   in Loop: Header=BB9_1376 Depth=1
	s_or_b64 exec, exec, s[26:27]
	v_cndmask_b32_e64 v4, v8, v9, s[24:25]
	v_cndmask_b32_e64 v5, v33, v25, s[24:25]
	v_add_u32_e32 v6, 1, v4
	v_add_u32_e32 v4, -1, v5
	v_min_u32_e32 v4, v6, v4
	v_lshlrev_b32_e32 v4, 3, v4
	ds_read_b64 v[4:5], v4
	v_cndmask_b32_e64 v8, v6, v8, s[24:25]
	v_cndmask_b32_e64 v9, v9, v6, s[24:25]
	v_cmp_lt_u32_e32 vcc, v8, v33
	s_mov_b64 s[26:27], -1
	s_waitcnt lgkmcnt(0)
	v_cndmask_b32_e64 v42, v5, v38, s[24:25]
	v_cndmask_b32_e64 v43, v4, v39, s[24:25]
	;; [unrolled: 1-line block ×4, first 2 shown]
	s_mov_b64 s[40:41], -1
	s_and_saveexec_b64 s[42:43], vcc
	s_cbranch_execz .LBB9_1455
; %bb.1445:                             ;   in Loop: Header=BB9_1376 Depth=1
	v_cmp_lt_u32_e32 vcc, v9, v25
	s_mov_b64 s[44:45], 0
	s_and_saveexec_b64 s[40:41], vcc
	s_cbranch_execz .LBB9_1454
; %bb.1446:                             ;   in Loop: Header=BB9_1376 Depth=1
	s_and_b64 vcc, exec, s[14:15]
	s_cbranch_vccnz .LBB9_1452
; %bb.1447:                             ;   in Loop: Header=BB9_1376 Depth=1
	v_mov_b64_e32 v[6:7], s[38:39]
	v_mad_u64_u32 v[4:5], s[44:45], v43, s36, v[6:7]
	v_mul_lo_u32 v10, v43, s37
	v_mul_lo_u32 v11, v42, s36
	v_add3_u32 v5, v11, v5, v10
	v_mad_u64_u32 v[6:7], s[44:45], v45, s36, v[6:7]
	v_mul_lo_u32 v10, v45, s37
	v_mul_lo_u32 v11, v44, s36
	v_add3_u32 v7, v11, v7, v10
	s_mov_b64 s[44:45], 0
	s_mov_b64 s[50:51], s[36:37]
                                        ; implicit-def: $sgpr46_sgpr47
                                        ; implicit-def: $sgpr48_sgpr49
                                        ; implicit-def: $sgpr52_sgpr53
                                        ; implicit-def: $sgpr54_sgpr55
	s_branch .LBB9_1449
.LBB9_1448:                             ;   in Loop: Header=BB9_1449 Depth=2
	s_or_b64 exec, exec, s[58:59]
	s_and_b64 s[58:59], exec, s[48:49]
	s_or_b64 s[44:45], s[58:59], s[44:45]
	s_andn2_b64 s[54:55], s[54:55], exec
	s_and_b64 s[56:57], s[56:57], exec
	s_or_b64 s[54:55], s[54:55], s[56:57]
	s_andn2_b64 s[46:47], s[46:47], exec
	s_and_b64 s[56:57], s[52:53], exec
	s_or_b64 s[46:47], s[46:47], s[56:57]
	s_andn2_b64 exec, exec, s[44:45]
	s_cbranch_execz .LBB9_1451
.LBB9_1449:                             ;   Parent Loop BB9_1376 Depth=1
                                        ; =>  This Inner Loop Header: Depth=2
	global_load_ubyte v10, v[4:5], off
	global_load_ubyte v11, v[6:7], off
	s_andn2_b64 s[52:53], s[52:53], exec
	s_or_b64 s[48:49], s[48:49], exec
	s_waitcnt vmcnt(0)
	v_cmp_le_u16_sdwa s[58:59], v10, v11 src0_sel:BYTE_0 src1_sel:BYTE_0
	v_cmp_lt_u16_sdwa s[56:57], v10, v11 src0_sel:BYTE_0 src1_sel:BYTE_0
	s_and_b64 s[58:59], s[58:59], s[54:55]
	s_or_b64 s[56:57], s[56:57], s[58:59]
	s_and_b64 s[58:59], s[56:57], exec
	v_cmp_eq_u16_sdwa s[60:61], v10, v11 src0_sel:BYTE_0 src1_sel:BYTE_0
	s_or_b64 s[52:53], s[52:53], s[58:59]
	s_and_saveexec_b64 s[58:59], s[60:61]
	s_cbranch_execz .LBB9_1448
; %bb.1450:                             ;   in Loop: Header=BB9_1449 Depth=2
	s_add_u32 s50, s50, -1
	s_addc_u32 s51, s51, -1
	s_cmp_eq_u64 s[50:51], 0
	s_cselect_b64 s[54:55], -1, 0
	s_andn2_b64 s[48:49], s[48:49], exec
	s_and_b64 s[54:55], s[54:55], exec
	v_lshl_add_u64 v[4:5], v[4:5], 0, 1
	v_lshl_add_u64 v[6:7], v[6:7], 0, 1
	s_andn2_b64 s[52:53], s[52:53], exec
	s_or_b64 s[48:49], s[48:49], s[54:55]
                                        ; implicit-def: $sgpr54_sgpr55
	s_branch .LBB9_1448
.LBB9_1451:                             ;   in Loop: Header=BB9_1376 Depth=1
	s_or_b64 exec, exec, s[44:45]
	s_xor_b64 s[44:45], s[46:47], -1
	s_branch .LBB9_1453
.LBB9_1452:                             ;   in Loop: Header=BB9_1376 Depth=1
	s_mov_b64 s[44:45], -1
.LBB9_1453:                             ;   in Loop: Header=BB9_1376 Depth=1
	s_and_b64 s[44:45], s[44:45], exec
.LBB9_1454:                             ;   in Loop: Header=BB9_1376 Depth=1
	s_or_b64 exec, exec, s[40:41]
	s_orn2_b64 s[40:41], s[44:45], exec
.LBB9_1455:                             ;   in Loop: Header=BB9_1376 Depth=1
	s_or_b64 exec, exec, s[42:43]
	v_cndmask_b32_e64 v4, v8, v9, s[40:41]
	v_cndmask_b32_e64 v5, v33, v25, s[40:41]
	v_add_u32_e32 v6, 1, v4
	v_add_u32_e32 v4, -1, v5
	v_min_u32_e32 v4, v6, v4
	v_lshlrev_b32_e32 v4, 3, v4
	ds_read_b64 v[4:5], v4
	v_cndmask_b32_e64 v10, v6, v8, s[40:41]
	v_cndmask_b32_e64 v8, v9, v6, s[40:41]
	v_cmp_lt_u32_e32 vcc, v10, v33
	s_waitcnt lgkmcnt(0)
	v_cndmask_b32_e64 v46, v5, v42, s[40:41]
	v_cndmask_b32_e64 v47, v4, v43, s[40:41]
	;; [unrolled: 1-line block ×4, first 2 shown]
	s_and_saveexec_b64 s[42:43], vcc
	s_cbranch_execz .LBB9_1466
; %bb.1456:                             ;   in Loop: Header=BB9_1376 Depth=1
	v_cmp_lt_u32_e32 vcc, v8, v25
	s_mov_b64 s[44:45], 0
	s_and_saveexec_b64 s[26:27], vcc
	s_cbranch_execz .LBB9_1465
; %bb.1457:                             ;   in Loop: Header=BB9_1376 Depth=1
	s_and_b64 vcc, exec, s[14:15]
	s_cbranch_vccnz .LBB9_1463
; %bb.1458:                             ;   in Loop: Header=BB9_1376 Depth=1
	v_mov_b64_e32 v[6:7], s[38:39]
	v_mad_u64_u32 v[4:5], s[44:45], v47, s36, v[6:7]
	v_mul_lo_u32 v9, v47, s37
	v_mul_lo_u32 v11, v46, s36
	v_add3_u32 v5, v11, v5, v9
	v_mad_u64_u32 v[6:7], s[44:45], v49, s36, v[6:7]
	v_mul_lo_u32 v9, v49, s37
	v_mul_lo_u32 v11, v48, s36
	v_add3_u32 v7, v11, v7, v9
	s_mov_b64 s[44:45], 0
	s_mov_b64 s[50:51], s[36:37]
                                        ; implicit-def: $sgpr46_sgpr47
                                        ; implicit-def: $sgpr48_sgpr49
                                        ; implicit-def: $sgpr52_sgpr53
                                        ; implicit-def: $sgpr54_sgpr55
	s_branch .LBB9_1460
.LBB9_1459:                             ;   in Loop: Header=BB9_1460 Depth=2
	s_or_b64 exec, exec, s[58:59]
	s_and_b64 s[58:59], exec, s[48:49]
	s_or_b64 s[44:45], s[58:59], s[44:45]
	s_andn2_b64 s[54:55], s[54:55], exec
	s_and_b64 s[56:57], s[56:57], exec
	s_or_b64 s[54:55], s[54:55], s[56:57]
	s_andn2_b64 s[46:47], s[46:47], exec
	s_and_b64 s[56:57], s[52:53], exec
	s_or_b64 s[46:47], s[46:47], s[56:57]
	s_andn2_b64 exec, exec, s[44:45]
	s_cbranch_execz .LBB9_1462
.LBB9_1460:                             ;   Parent Loop BB9_1376 Depth=1
                                        ; =>  This Inner Loop Header: Depth=2
	global_load_ubyte v9, v[4:5], off
	global_load_ubyte v11, v[6:7], off
	s_andn2_b64 s[52:53], s[52:53], exec
	s_or_b64 s[48:49], s[48:49], exec
	s_waitcnt vmcnt(0)
	v_cmp_le_u16_sdwa s[58:59], v9, v11 src0_sel:BYTE_0 src1_sel:BYTE_0
	v_cmp_lt_u16_sdwa s[56:57], v9, v11 src0_sel:BYTE_0 src1_sel:BYTE_0
	s_and_b64 s[58:59], s[58:59], s[54:55]
	s_or_b64 s[56:57], s[56:57], s[58:59]
	s_and_b64 s[58:59], s[56:57], exec
	v_cmp_eq_u16_sdwa s[60:61], v9, v11 src0_sel:BYTE_0 src1_sel:BYTE_0
	s_or_b64 s[52:53], s[52:53], s[58:59]
	s_and_saveexec_b64 s[58:59], s[60:61]
	s_cbranch_execz .LBB9_1459
; %bb.1461:                             ;   in Loop: Header=BB9_1460 Depth=2
	s_add_u32 s50, s50, -1
	s_addc_u32 s51, s51, -1
	s_cmp_eq_u64 s[50:51], 0
	s_cselect_b64 s[54:55], -1, 0
	s_andn2_b64 s[48:49], s[48:49], exec
	s_and_b64 s[54:55], s[54:55], exec
	v_lshl_add_u64 v[4:5], v[4:5], 0, 1
	v_lshl_add_u64 v[6:7], v[6:7], 0, 1
	s_andn2_b64 s[52:53], s[52:53], exec
	s_or_b64 s[48:49], s[48:49], s[54:55]
                                        ; implicit-def: $sgpr54_sgpr55
	s_branch .LBB9_1459
.LBB9_1462:                             ;   in Loop: Header=BB9_1376 Depth=1
	s_or_b64 exec, exec, s[44:45]
	s_xor_b64 s[44:45], s[46:47], -1
	s_branch .LBB9_1464
.LBB9_1463:                             ;   in Loop: Header=BB9_1376 Depth=1
	s_mov_b64 s[44:45], -1
.LBB9_1464:                             ;   in Loop: Header=BB9_1376 Depth=1
	s_and_b64 s[44:45], s[44:45], exec
.LBB9_1465:                             ;   in Loop: Header=BB9_1376 Depth=1
	s_or_b64 exec, exec, s[26:27]
	s_orn2_b64 s[26:27], s[44:45], exec
.LBB9_1466:                             ;   in Loop: Header=BB9_1376 Depth=1
	s_or_b64 exec, exec, s[42:43]
	v_cndmask_b32_e64 v4, v10, v8, s[26:27]
	v_cndmask_b32_e64 v5, v33, v25, s[26:27]
	v_add_u32_e32 v9, 1, v4
	v_add_u32_e32 v4, -1, v5
	v_min_u32_e32 v4, v9, v4
	v_lshlrev_b32_e32 v4, 3, v4
	ds_read_b64 v[6:7], v4
	v_cndmask_b32_e64 v10, v9, v10, s[26:27]
	v_cmp_lt_u32_e32 vcc, v10, v33
	s_waitcnt lgkmcnt(0)
	v_cndmask_b32_e64 v5, v48, v7, s[26:27]
	v_cndmask_b32_e64 v4, v49, v6, s[26:27]
	s_and_saveexec_b64 s[42:43], vcc
	s_cbranch_execz .LBB9_1374
; %bb.1467:                             ;   in Loop: Header=BB9_1376 Depth=1
	v_cndmask_b32_e64 v8, v8, v9, s[26:27]
	v_cndmask_b32_e64 v7, v7, v46, s[26:27]
	;; [unrolled: 1-line block ×3, first 2 shown]
	v_cmp_lt_u32_e32 vcc, v8, v25
	s_and_saveexec_b64 s[44:45], vcc
	s_cbranch_execz .LBB9_1373
; %bb.1468:                             ;   in Loop: Header=BB9_1376 Depth=1
	s_and_b64 vcc, exec, s[14:15]
	s_cbranch_vccnz .LBB9_1372
; %bb.1469:                             ;   in Loop: Header=BB9_1376 Depth=1
	v_mov_b64_e32 v[10:11], s[38:39]
	v_mad_u64_u32 v[8:9], s[46:47], v6, s36, v[10:11]
	v_mul_lo_u32 v25, v6, s37
	v_mul_lo_u32 v33, v7, s36
	v_add3_u32 v9, v33, v9, v25
	v_mad_u64_u32 v[10:11], s[46:47], v4, s36, v[10:11]
	v_mul_lo_u32 v25, v4, s37
	v_mul_lo_u32 v33, v5, s36
	v_add3_u32 v11, v33, v11, v25
	s_mov_b64 s[46:47], 0
	s_mov_b64 s[52:53], s[36:37]
                                        ; implicit-def: $sgpr48_sgpr49
                                        ; implicit-def: $sgpr50_sgpr51
                                        ; implicit-def: $sgpr54_sgpr55
                                        ; implicit-def: $sgpr56_sgpr57
	s_branch .LBB9_1471
.LBB9_1470:                             ;   in Loop: Header=BB9_1471 Depth=2
	s_or_b64 exec, exec, s[60:61]
	s_and_b64 s[60:61], exec, s[50:51]
	s_or_b64 s[46:47], s[60:61], s[46:47]
	s_andn2_b64 s[56:57], s[56:57], exec
	s_and_b64 s[58:59], s[58:59], exec
	s_or_b64 s[56:57], s[56:57], s[58:59]
	s_andn2_b64 s[48:49], s[48:49], exec
	s_and_b64 s[58:59], s[54:55], exec
	s_or_b64 s[48:49], s[48:49], s[58:59]
	s_andn2_b64 exec, exec, s[46:47]
	s_cbranch_execz .LBB9_1371
.LBB9_1471:                             ;   Parent Loop BB9_1376 Depth=1
                                        ; =>  This Inner Loop Header: Depth=2
	global_load_ubyte v25, v[8:9], off
	global_load_ubyte v33, v[10:11], off
	s_andn2_b64 s[54:55], s[54:55], exec
	s_or_b64 s[50:51], s[50:51], exec
	s_waitcnt vmcnt(0)
	v_cmp_le_u16_sdwa s[60:61], v25, v33 src0_sel:BYTE_0 src1_sel:BYTE_0
	v_cmp_lt_u16_sdwa s[58:59], v25, v33 src0_sel:BYTE_0 src1_sel:BYTE_0
	s_and_b64 s[60:61], s[60:61], s[56:57]
	s_or_b64 s[58:59], s[58:59], s[60:61]
	s_and_b64 s[60:61], s[58:59], exec
	v_cmp_eq_u16_sdwa s[64:65], v25, v33 src0_sel:BYTE_0 src1_sel:BYTE_0
	s_or_b64 s[54:55], s[54:55], s[60:61]
	s_and_saveexec_b64 s[60:61], s[64:65]
	s_cbranch_execz .LBB9_1470
; %bb.1472:                             ;   in Loop: Header=BB9_1471 Depth=2
	s_add_u32 s52, s52, -1
	s_addc_u32 s53, s53, -1
	s_cmp_eq_u64 s[52:53], 0
	s_cselect_b64 s[56:57], -1, 0
	s_andn2_b64 s[50:51], s[50:51], exec
	s_and_b64 s[56:57], s[56:57], exec
	v_lshl_add_u64 v[8:9], v[8:9], 0, 1
	v_lshl_add_u64 v[10:11], v[10:11], 0, 1
	s_andn2_b64 s[54:55], s[54:55], exec
	s_or_b64 s[50:51], s[50:51], s[56:57]
                                        ; implicit-def: $sgpr56_sgpr57
	s_branch .LBB9_1470
.LBB9_1473:
	s_barrier
	ds_write2_b64 v32, v[14:15], v[16:17] offset1:1
	ds_write2_b64 v32, v[10:11], v[12:13] offset0:2 offset1:3
	ds_write2_b64 v32, v[6:7], v[8:9] offset0:4 offset1:5
	;; [unrolled: 1-line block ×3, first 2 shown]
	s_waitcnt lgkmcnt(0)
	s_barrier
	ds_read_b64 v[12:13], v21 offset:2048
	ds_read_b64 v[10:11], v26 offset:4096
	;; [unrolled: 1-line block ×7, first 2 shown]
	v_mov_b32_e32 v21, 0
	v_lshl_add_u64 v[2:3], s[30:31], 0, v[20:21]
	s_and_saveexec_b64 s[2:3], s[0:1]
	s_cbranch_execnz .LBB9_1485
; %bb.1474:
	s_or_b64 exec, exec, s[2:3]
	s_and_saveexec_b64 s[0:1], s[28:29]
	s_cbranch_execnz .LBB9_1486
.LBB9_1475:
	s_or_b64 exec, exec, s[0:1]
	s_and_saveexec_b64 s[0:1], s[4:5]
	s_cbranch_execnz .LBB9_1487
.LBB9_1476:
	s_or_b64 exec, exec, s[0:1]
	s_and_saveexec_b64 s[0:1], s[6:7]
	s_cbranch_execnz .LBB9_1488
.LBB9_1477:
	s_or_b64 exec, exec, s[0:1]
	s_and_saveexec_b64 s[0:1], s[8:9]
	s_cbranch_execnz .LBB9_1489
.LBB9_1478:
	s_or_b64 exec, exec, s[0:1]
	s_and_saveexec_b64 s[0:1], s[10:11]
	s_cbranch_execnz .LBB9_1490
.LBB9_1479:
	s_or_b64 exec, exec, s[0:1]
	s_and_saveexec_b64 s[0:1], s[12:13]
	s_cbranch_execz .LBB9_1481
.LBB9_1480:
	v_add_co_u32_e32 v2, vcc, 0x3000, v2
	s_nop 1
	v_addc_co_u32_e32 v3, vcc, 0, v3, vcc
	s_waitcnt lgkmcnt(1)
	global_store_dwordx2 v[2:3], v[0:1], off
.LBB9_1481:
	s_or_b64 exec, exec, s[0:1]
	v_mov_b32_e32 v19, v21
.LBB9_1482:
	s_and_saveexec_b64 s[0:1], s[34:35]
	s_cbranch_execz .LBB9_1484
; %bb.1483:
	s_waitcnt lgkmcnt(1)
	v_lshl_add_u64 v[0:1], v[18:19], 3, s[30:31]
	v_add_co_u32_e32 v0, vcc, 0x3000, v0
	s_nop 1
	v_addc_co_u32_e32 v1, vcc, 0, v1, vcc
	s_waitcnt lgkmcnt(0)
	global_store_dwordx2 v[0:1], v[14:15], off offset:2048
.LBB9_1484:
	s_endpgm
.LBB9_1485:
	ds_read_b64 v[16:17], v19
	s_waitcnt lgkmcnt(0)
	global_store_dwordx2 v[2:3], v[16:17], off
	s_or_b64 exec, exec, s[2:3]
	s_and_saveexec_b64 s[0:1], s[28:29]
	s_cbranch_execz .LBB9_1475
.LBB9_1486:
	s_waitcnt lgkmcnt(6)
	global_store_dwordx2 v[2:3], v[12:13], off offset:2048
	s_or_b64 exec, exec, s[0:1]
	s_and_saveexec_b64 s[0:1], s[4:5]
	s_cbranch_execz .LBB9_1476
.LBB9_1487:
	s_waitcnt lgkmcnt(6)
	v_add_co_u32_e32 v12, vcc, 0x1000, v2
	s_nop 1
	v_addc_co_u32_e32 v13, vcc, 0, v3, vcc
	s_waitcnt lgkmcnt(5)
	global_store_dwordx2 v[12:13], v[10:11], off
	s_or_b64 exec, exec, s[0:1]
	s_and_saveexec_b64 s[0:1], s[6:7]
	s_cbranch_execz .LBB9_1477
.LBB9_1488:
	s_waitcnt lgkmcnt(5)
	v_add_co_u32_e32 v10, vcc, 0x1000, v2
	s_nop 1
	v_addc_co_u32_e32 v11, vcc, 0, v3, vcc
	s_waitcnt lgkmcnt(4)
	global_store_dwordx2 v[10:11], v[8:9], off offset:2048
	s_or_b64 exec, exec, s[0:1]
	s_and_saveexec_b64 s[0:1], s[8:9]
	s_cbranch_execz .LBB9_1478
.LBB9_1489:
	s_waitcnt lgkmcnt(4)
	v_add_co_u32_e32 v8, vcc, 0x2000, v2
	s_nop 1
	v_addc_co_u32_e32 v9, vcc, 0, v3, vcc
	s_waitcnt lgkmcnt(3)
	global_store_dwordx2 v[8:9], v[6:7], off
	s_or_b64 exec, exec, s[0:1]
	s_and_saveexec_b64 s[0:1], s[10:11]
	s_cbranch_execz .LBB9_1479
.LBB9_1490:
	s_waitcnt lgkmcnt(3)
	v_add_co_u32_e32 v6, vcc, 0x2000, v2
	s_nop 1
	v_addc_co_u32_e32 v7, vcc, 0, v3, vcc
	s_waitcnt lgkmcnt(2)
	global_store_dwordx2 v[6:7], v[4:5], off offset:2048
	s_or_b64 exec, exec, s[0:1]
	s_and_saveexec_b64 s[0:1], s[12:13]
	s_cbranch_execnz .LBB9_1480
	s_branch .LBB9_1481
	.section	.rodata,"a",@progbits
	.p2align	6, 0x0
	.amdhsa_kernel _ZN7rocprim17ROCPRIM_400000_NS6detail17trampoline_kernelINS0_14default_configENS1_37merge_sort_block_sort_config_selectorIlNS0_10empty_typeEEEZNS1_21merge_sort_block_sortIS3_PlS8_PS5_S9_ZN2at6native12_GLOBAL__N_124unique_dim_cuda_templateIhEESt5tupleIJNSA_6TensorESF_SF_EERKSF_lbbbEUlllE_EE10hipError_tT0_T1_T2_T3_mRjT4_P12ihipStream_tbNS1_7vsmem_tEEUlT_E_NS1_11comp_targetILNS1_3genE0ELNS1_11target_archE4294967295ELNS1_3gpuE0ELNS1_3repE0EEENS1_30default_config_static_selectorELNS0_4arch9wavefront6targetE1EEEvSM_
		.amdhsa_group_segment_fixed_size 16896
		.amdhsa_private_segment_fixed_size 0
		.amdhsa_kernarg_size 328
		.amdhsa_user_sgpr_count 2
		.amdhsa_user_sgpr_dispatch_ptr 0
		.amdhsa_user_sgpr_queue_ptr 0
		.amdhsa_user_sgpr_kernarg_segment_ptr 1
		.amdhsa_user_sgpr_dispatch_id 0
		.amdhsa_user_sgpr_kernarg_preload_length 0
		.amdhsa_user_sgpr_kernarg_preload_offset 0
		.amdhsa_user_sgpr_private_segment_size 0
		.amdhsa_uses_dynamic_stack 0
		.amdhsa_enable_private_segment 0
		.amdhsa_system_sgpr_workgroup_id_x 1
		.amdhsa_system_sgpr_workgroup_id_y 1
		.amdhsa_system_sgpr_workgroup_id_z 1
		.amdhsa_system_sgpr_workgroup_info 0
		.amdhsa_system_vgpr_workitem_id 2
		.amdhsa_next_free_vgpr 55
		.amdhsa_next_free_sgpr 66
		.amdhsa_accum_offset 56
		.amdhsa_reserve_vcc 1
		.amdhsa_float_round_mode_32 0
		.amdhsa_float_round_mode_16_64 0
		.amdhsa_float_denorm_mode_32 3
		.amdhsa_float_denorm_mode_16_64 3
		.amdhsa_dx10_clamp 1
		.amdhsa_ieee_mode 1
		.amdhsa_fp16_overflow 0
		.amdhsa_tg_split 0
		.amdhsa_exception_fp_ieee_invalid_op 0
		.amdhsa_exception_fp_denorm_src 0
		.amdhsa_exception_fp_ieee_div_zero 0
		.amdhsa_exception_fp_ieee_overflow 0
		.amdhsa_exception_fp_ieee_underflow 0
		.amdhsa_exception_fp_ieee_inexact 0
		.amdhsa_exception_int_div_zero 0
	.end_amdhsa_kernel
	.section	.text._ZN7rocprim17ROCPRIM_400000_NS6detail17trampoline_kernelINS0_14default_configENS1_37merge_sort_block_sort_config_selectorIlNS0_10empty_typeEEEZNS1_21merge_sort_block_sortIS3_PlS8_PS5_S9_ZN2at6native12_GLOBAL__N_124unique_dim_cuda_templateIhEESt5tupleIJNSA_6TensorESF_SF_EERKSF_lbbbEUlllE_EE10hipError_tT0_T1_T2_T3_mRjT4_P12ihipStream_tbNS1_7vsmem_tEEUlT_E_NS1_11comp_targetILNS1_3genE0ELNS1_11target_archE4294967295ELNS1_3gpuE0ELNS1_3repE0EEENS1_30default_config_static_selectorELNS0_4arch9wavefront6targetE1EEEvSM_,"axG",@progbits,_ZN7rocprim17ROCPRIM_400000_NS6detail17trampoline_kernelINS0_14default_configENS1_37merge_sort_block_sort_config_selectorIlNS0_10empty_typeEEEZNS1_21merge_sort_block_sortIS3_PlS8_PS5_S9_ZN2at6native12_GLOBAL__N_124unique_dim_cuda_templateIhEESt5tupleIJNSA_6TensorESF_SF_EERKSF_lbbbEUlllE_EE10hipError_tT0_T1_T2_T3_mRjT4_P12ihipStream_tbNS1_7vsmem_tEEUlT_E_NS1_11comp_targetILNS1_3genE0ELNS1_11target_archE4294967295ELNS1_3gpuE0ELNS1_3repE0EEENS1_30default_config_static_selectorELNS0_4arch9wavefront6targetE1EEEvSM_,comdat
.Lfunc_end9:
	.size	_ZN7rocprim17ROCPRIM_400000_NS6detail17trampoline_kernelINS0_14default_configENS1_37merge_sort_block_sort_config_selectorIlNS0_10empty_typeEEEZNS1_21merge_sort_block_sortIS3_PlS8_PS5_S9_ZN2at6native12_GLOBAL__N_124unique_dim_cuda_templateIhEESt5tupleIJNSA_6TensorESF_SF_EERKSF_lbbbEUlllE_EE10hipError_tT0_T1_T2_T3_mRjT4_P12ihipStream_tbNS1_7vsmem_tEEUlT_E_NS1_11comp_targetILNS1_3genE0ELNS1_11target_archE4294967295ELNS1_3gpuE0ELNS1_3repE0EEENS1_30default_config_static_selectorELNS0_4arch9wavefront6targetE1EEEvSM_, .Lfunc_end9-_ZN7rocprim17ROCPRIM_400000_NS6detail17trampoline_kernelINS0_14default_configENS1_37merge_sort_block_sort_config_selectorIlNS0_10empty_typeEEEZNS1_21merge_sort_block_sortIS3_PlS8_PS5_S9_ZN2at6native12_GLOBAL__N_124unique_dim_cuda_templateIhEESt5tupleIJNSA_6TensorESF_SF_EERKSF_lbbbEUlllE_EE10hipError_tT0_T1_T2_T3_mRjT4_P12ihipStream_tbNS1_7vsmem_tEEUlT_E_NS1_11comp_targetILNS1_3genE0ELNS1_11target_archE4294967295ELNS1_3gpuE0ELNS1_3repE0EEENS1_30default_config_static_selectorELNS0_4arch9wavefront6targetE1EEEvSM_
                                        ; -- End function
	.set _ZN7rocprim17ROCPRIM_400000_NS6detail17trampoline_kernelINS0_14default_configENS1_37merge_sort_block_sort_config_selectorIlNS0_10empty_typeEEEZNS1_21merge_sort_block_sortIS3_PlS8_PS5_S9_ZN2at6native12_GLOBAL__N_124unique_dim_cuda_templateIhEESt5tupleIJNSA_6TensorESF_SF_EERKSF_lbbbEUlllE_EE10hipError_tT0_T1_T2_T3_mRjT4_P12ihipStream_tbNS1_7vsmem_tEEUlT_E_NS1_11comp_targetILNS1_3genE0ELNS1_11target_archE4294967295ELNS1_3gpuE0ELNS1_3repE0EEENS1_30default_config_static_selectorELNS0_4arch9wavefront6targetE1EEEvSM_.num_vgpr, 55
	.set _ZN7rocprim17ROCPRIM_400000_NS6detail17trampoline_kernelINS0_14default_configENS1_37merge_sort_block_sort_config_selectorIlNS0_10empty_typeEEEZNS1_21merge_sort_block_sortIS3_PlS8_PS5_S9_ZN2at6native12_GLOBAL__N_124unique_dim_cuda_templateIhEESt5tupleIJNSA_6TensorESF_SF_EERKSF_lbbbEUlllE_EE10hipError_tT0_T1_T2_T3_mRjT4_P12ihipStream_tbNS1_7vsmem_tEEUlT_E_NS1_11comp_targetILNS1_3genE0ELNS1_11target_archE4294967295ELNS1_3gpuE0ELNS1_3repE0EEENS1_30default_config_static_selectorELNS0_4arch9wavefront6targetE1EEEvSM_.num_agpr, 0
	.set _ZN7rocprim17ROCPRIM_400000_NS6detail17trampoline_kernelINS0_14default_configENS1_37merge_sort_block_sort_config_selectorIlNS0_10empty_typeEEEZNS1_21merge_sort_block_sortIS3_PlS8_PS5_S9_ZN2at6native12_GLOBAL__N_124unique_dim_cuda_templateIhEESt5tupleIJNSA_6TensorESF_SF_EERKSF_lbbbEUlllE_EE10hipError_tT0_T1_T2_T3_mRjT4_P12ihipStream_tbNS1_7vsmem_tEEUlT_E_NS1_11comp_targetILNS1_3genE0ELNS1_11target_archE4294967295ELNS1_3gpuE0ELNS1_3repE0EEENS1_30default_config_static_selectorELNS0_4arch9wavefront6targetE1EEEvSM_.numbered_sgpr, 66
	.set _ZN7rocprim17ROCPRIM_400000_NS6detail17trampoline_kernelINS0_14default_configENS1_37merge_sort_block_sort_config_selectorIlNS0_10empty_typeEEEZNS1_21merge_sort_block_sortIS3_PlS8_PS5_S9_ZN2at6native12_GLOBAL__N_124unique_dim_cuda_templateIhEESt5tupleIJNSA_6TensorESF_SF_EERKSF_lbbbEUlllE_EE10hipError_tT0_T1_T2_T3_mRjT4_P12ihipStream_tbNS1_7vsmem_tEEUlT_E_NS1_11comp_targetILNS1_3genE0ELNS1_11target_archE4294967295ELNS1_3gpuE0ELNS1_3repE0EEENS1_30default_config_static_selectorELNS0_4arch9wavefront6targetE1EEEvSM_.num_named_barrier, 0
	.set _ZN7rocprim17ROCPRIM_400000_NS6detail17trampoline_kernelINS0_14default_configENS1_37merge_sort_block_sort_config_selectorIlNS0_10empty_typeEEEZNS1_21merge_sort_block_sortIS3_PlS8_PS5_S9_ZN2at6native12_GLOBAL__N_124unique_dim_cuda_templateIhEESt5tupleIJNSA_6TensorESF_SF_EERKSF_lbbbEUlllE_EE10hipError_tT0_T1_T2_T3_mRjT4_P12ihipStream_tbNS1_7vsmem_tEEUlT_E_NS1_11comp_targetILNS1_3genE0ELNS1_11target_archE4294967295ELNS1_3gpuE0ELNS1_3repE0EEENS1_30default_config_static_selectorELNS0_4arch9wavefront6targetE1EEEvSM_.private_seg_size, 0
	.set _ZN7rocprim17ROCPRIM_400000_NS6detail17trampoline_kernelINS0_14default_configENS1_37merge_sort_block_sort_config_selectorIlNS0_10empty_typeEEEZNS1_21merge_sort_block_sortIS3_PlS8_PS5_S9_ZN2at6native12_GLOBAL__N_124unique_dim_cuda_templateIhEESt5tupleIJNSA_6TensorESF_SF_EERKSF_lbbbEUlllE_EE10hipError_tT0_T1_T2_T3_mRjT4_P12ihipStream_tbNS1_7vsmem_tEEUlT_E_NS1_11comp_targetILNS1_3genE0ELNS1_11target_archE4294967295ELNS1_3gpuE0ELNS1_3repE0EEENS1_30default_config_static_selectorELNS0_4arch9wavefront6targetE1EEEvSM_.uses_vcc, 1
	.set _ZN7rocprim17ROCPRIM_400000_NS6detail17trampoline_kernelINS0_14default_configENS1_37merge_sort_block_sort_config_selectorIlNS0_10empty_typeEEEZNS1_21merge_sort_block_sortIS3_PlS8_PS5_S9_ZN2at6native12_GLOBAL__N_124unique_dim_cuda_templateIhEESt5tupleIJNSA_6TensorESF_SF_EERKSF_lbbbEUlllE_EE10hipError_tT0_T1_T2_T3_mRjT4_P12ihipStream_tbNS1_7vsmem_tEEUlT_E_NS1_11comp_targetILNS1_3genE0ELNS1_11target_archE4294967295ELNS1_3gpuE0ELNS1_3repE0EEENS1_30default_config_static_selectorELNS0_4arch9wavefront6targetE1EEEvSM_.uses_flat_scratch, 0
	.set _ZN7rocprim17ROCPRIM_400000_NS6detail17trampoline_kernelINS0_14default_configENS1_37merge_sort_block_sort_config_selectorIlNS0_10empty_typeEEEZNS1_21merge_sort_block_sortIS3_PlS8_PS5_S9_ZN2at6native12_GLOBAL__N_124unique_dim_cuda_templateIhEESt5tupleIJNSA_6TensorESF_SF_EERKSF_lbbbEUlllE_EE10hipError_tT0_T1_T2_T3_mRjT4_P12ihipStream_tbNS1_7vsmem_tEEUlT_E_NS1_11comp_targetILNS1_3genE0ELNS1_11target_archE4294967295ELNS1_3gpuE0ELNS1_3repE0EEENS1_30default_config_static_selectorELNS0_4arch9wavefront6targetE1EEEvSM_.has_dyn_sized_stack, 0
	.set _ZN7rocprim17ROCPRIM_400000_NS6detail17trampoline_kernelINS0_14default_configENS1_37merge_sort_block_sort_config_selectorIlNS0_10empty_typeEEEZNS1_21merge_sort_block_sortIS3_PlS8_PS5_S9_ZN2at6native12_GLOBAL__N_124unique_dim_cuda_templateIhEESt5tupleIJNSA_6TensorESF_SF_EERKSF_lbbbEUlllE_EE10hipError_tT0_T1_T2_T3_mRjT4_P12ihipStream_tbNS1_7vsmem_tEEUlT_E_NS1_11comp_targetILNS1_3genE0ELNS1_11target_archE4294967295ELNS1_3gpuE0ELNS1_3repE0EEENS1_30default_config_static_selectorELNS0_4arch9wavefront6targetE1EEEvSM_.has_recursion, 0
	.set _ZN7rocprim17ROCPRIM_400000_NS6detail17trampoline_kernelINS0_14default_configENS1_37merge_sort_block_sort_config_selectorIlNS0_10empty_typeEEEZNS1_21merge_sort_block_sortIS3_PlS8_PS5_S9_ZN2at6native12_GLOBAL__N_124unique_dim_cuda_templateIhEESt5tupleIJNSA_6TensorESF_SF_EERKSF_lbbbEUlllE_EE10hipError_tT0_T1_T2_T3_mRjT4_P12ihipStream_tbNS1_7vsmem_tEEUlT_E_NS1_11comp_targetILNS1_3genE0ELNS1_11target_archE4294967295ELNS1_3gpuE0ELNS1_3repE0EEENS1_30default_config_static_selectorELNS0_4arch9wavefront6targetE1EEEvSM_.has_indirect_call, 0
	.section	.AMDGPU.csdata,"",@progbits
; Kernel info:
; codeLenInByte = 59788
; TotalNumSgprs: 72
; NumVgprs: 55
; NumAgprs: 0
; TotalNumVgprs: 55
; ScratchSize: 0
; MemoryBound: 0
; FloatMode: 240
; IeeeMode: 1
; LDSByteSize: 16896 bytes/workgroup (compile time only)
; SGPRBlocks: 8
; VGPRBlocks: 6
; NumSGPRsForWavesPerEU: 72
; NumVGPRsForWavesPerEU: 55
; AccumOffset: 56
; Occupancy: 8
; WaveLimiterHint : 1
; COMPUTE_PGM_RSRC2:SCRATCH_EN: 0
; COMPUTE_PGM_RSRC2:USER_SGPR: 2
; COMPUTE_PGM_RSRC2:TRAP_HANDLER: 0
; COMPUTE_PGM_RSRC2:TGID_X_EN: 1
; COMPUTE_PGM_RSRC2:TGID_Y_EN: 1
; COMPUTE_PGM_RSRC2:TGID_Z_EN: 1
; COMPUTE_PGM_RSRC2:TIDIG_COMP_CNT: 2
; COMPUTE_PGM_RSRC3_GFX90A:ACCUM_OFFSET: 13
; COMPUTE_PGM_RSRC3_GFX90A:TG_SPLIT: 0
	.section	.text._ZN7rocprim17ROCPRIM_400000_NS6detail17trampoline_kernelINS0_14default_configENS1_37merge_sort_block_sort_config_selectorIlNS0_10empty_typeEEEZNS1_21merge_sort_block_sortIS3_PlS8_PS5_S9_ZN2at6native12_GLOBAL__N_124unique_dim_cuda_templateIhEESt5tupleIJNSA_6TensorESF_SF_EERKSF_lbbbEUlllE_EE10hipError_tT0_T1_T2_T3_mRjT4_P12ihipStream_tbNS1_7vsmem_tEEUlT_E_NS1_11comp_targetILNS1_3genE5ELNS1_11target_archE942ELNS1_3gpuE9ELNS1_3repE0EEENS1_30default_config_static_selectorELNS0_4arch9wavefront6targetE1EEEvSM_,"axG",@progbits,_ZN7rocprim17ROCPRIM_400000_NS6detail17trampoline_kernelINS0_14default_configENS1_37merge_sort_block_sort_config_selectorIlNS0_10empty_typeEEEZNS1_21merge_sort_block_sortIS3_PlS8_PS5_S9_ZN2at6native12_GLOBAL__N_124unique_dim_cuda_templateIhEESt5tupleIJNSA_6TensorESF_SF_EERKSF_lbbbEUlllE_EE10hipError_tT0_T1_T2_T3_mRjT4_P12ihipStream_tbNS1_7vsmem_tEEUlT_E_NS1_11comp_targetILNS1_3genE5ELNS1_11target_archE942ELNS1_3gpuE9ELNS1_3repE0EEENS1_30default_config_static_selectorELNS0_4arch9wavefront6targetE1EEEvSM_,comdat
	.globl	_ZN7rocprim17ROCPRIM_400000_NS6detail17trampoline_kernelINS0_14default_configENS1_37merge_sort_block_sort_config_selectorIlNS0_10empty_typeEEEZNS1_21merge_sort_block_sortIS3_PlS8_PS5_S9_ZN2at6native12_GLOBAL__N_124unique_dim_cuda_templateIhEESt5tupleIJNSA_6TensorESF_SF_EERKSF_lbbbEUlllE_EE10hipError_tT0_T1_T2_T3_mRjT4_P12ihipStream_tbNS1_7vsmem_tEEUlT_E_NS1_11comp_targetILNS1_3genE5ELNS1_11target_archE942ELNS1_3gpuE9ELNS1_3repE0EEENS1_30default_config_static_selectorELNS0_4arch9wavefront6targetE1EEEvSM_ ; -- Begin function _ZN7rocprim17ROCPRIM_400000_NS6detail17trampoline_kernelINS0_14default_configENS1_37merge_sort_block_sort_config_selectorIlNS0_10empty_typeEEEZNS1_21merge_sort_block_sortIS3_PlS8_PS5_S9_ZN2at6native12_GLOBAL__N_124unique_dim_cuda_templateIhEESt5tupleIJNSA_6TensorESF_SF_EERKSF_lbbbEUlllE_EE10hipError_tT0_T1_T2_T3_mRjT4_P12ihipStream_tbNS1_7vsmem_tEEUlT_E_NS1_11comp_targetILNS1_3genE5ELNS1_11target_archE942ELNS1_3gpuE9ELNS1_3repE0EEENS1_30default_config_static_selectorELNS0_4arch9wavefront6targetE1EEEvSM_
	.p2align	8
	.type	_ZN7rocprim17ROCPRIM_400000_NS6detail17trampoline_kernelINS0_14default_configENS1_37merge_sort_block_sort_config_selectorIlNS0_10empty_typeEEEZNS1_21merge_sort_block_sortIS3_PlS8_PS5_S9_ZN2at6native12_GLOBAL__N_124unique_dim_cuda_templateIhEESt5tupleIJNSA_6TensorESF_SF_EERKSF_lbbbEUlllE_EE10hipError_tT0_T1_T2_T3_mRjT4_P12ihipStream_tbNS1_7vsmem_tEEUlT_E_NS1_11comp_targetILNS1_3genE5ELNS1_11target_archE942ELNS1_3gpuE9ELNS1_3repE0EEENS1_30default_config_static_selectorELNS0_4arch9wavefront6targetE1EEEvSM_,@function
_ZN7rocprim17ROCPRIM_400000_NS6detail17trampoline_kernelINS0_14default_configENS1_37merge_sort_block_sort_config_selectorIlNS0_10empty_typeEEEZNS1_21merge_sort_block_sortIS3_PlS8_PS5_S9_ZN2at6native12_GLOBAL__N_124unique_dim_cuda_templateIhEESt5tupleIJNSA_6TensorESF_SF_EERKSF_lbbbEUlllE_EE10hipError_tT0_T1_T2_T3_mRjT4_P12ihipStream_tbNS1_7vsmem_tEEUlT_E_NS1_11comp_targetILNS1_3genE5ELNS1_11target_archE942ELNS1_3gpuE9ELNS1_3repE0EEENS1_30default_config_static_selectorELNS0_4arch9wavefront6targetE1EEEvSM_: ; @_ZN7rocprim17ROCPRIM_400000_NS6detail17trampoline_kernelINS0_14default_configENS1_37merge_sort_block_sort_config_selectorIlNS0_10empty_typeEEEZNS1_21merge_sort_block_sortIS3_PlS8_PS5_S9_ZN2at6native12_GLOBAL__N_124unique_dim_cuda_templateIhEESt5tupleIJNSA_6TensorESF_SF_EERKSF_lbbbEUlllE_EE10hipError_tT0_T1_T2_T3_mRjT4_P12ihipStream_tbNS1_7vsmem_tEEUlT_E_NS1_11comp_targetILNS1_3genE5ELNS1_11target_archE942ELNS1_3gpuE9ELNS1_3repE0EEENS1_30default_config_static_selectorELNS0_4arch9wavefront6targetE1EEEvSM_
; %bb.0:
	.section	.rodata,"a",@progbits
	.p2align	6, 0x0
	.amdhsa_kernel _ZN7rocprim17ROCPRIM_400000_NS6detail17trampoline_kernelINS0_14default_configENS1_37merge_sort_block_sort_config_selectorIlNS0_10empty_typeEEEZNS1_21merge_sort_block_sortIS3_PlS8_PS5_S9_ZN2at6native12_GLOBAL__N_124unique_dim_cuda_templateIhEESt5tupleIJNSA_6TensorESF_SF_EERKSF_lbbbEUlllE_EE10hipError_tT0_T1_T2_T3_mRjT4_P12ihipStream_tbNS1_7vsmem_tEEUlT_E_NS1_11comp_targetILNS1_3genE5ELNS1_11target_archE942ELNS1_3gpuE9ELNS1_3repE0EEENS1_30default_config_static_selectorELNS0_4arch9wavefront6targetE1EEEvSM_
		.amdhsa_group_segment_fixed_size 0
		.amdhsa_private_segment_fixed_size 0
		.amdhsa_kernarg_size 72
		.amdhsa_user_sgpr_count 2
		.amdhsa_user_sgpr_dispatch_ptr 0
		.amdhsa_user_sgpr_queue_ptr 0
		.amdhsa_user_sgpr_kernarg_segment_ptr 1
		.amdhsa_user_sgpr_dispatch_id 0
		.amdhsa_user_sgpr_kernarg_preload_length 0
		.amdhsa_user_sgpr_kernarg_preload_offset 0
		.amdhsa_user_sgpr_private_segment_size 0
		.amdhsa_uses_dynamic_stack 0
		.amdhsa_enable_private_segment 0
		.amdhsa_system_sgpr_workgroup_id_x 1
		.amdhsa_system_sgpr_workgroup_id_y 0
		.amdhsa_system_sgpr_workgroup_id_z 0
		.amdhsa_system_sgpr_workgroup_info 0
		.amdhsa_system_vgpr_workitem_id 0
		.amdhsa_next_free_vgpr 1
		.amdhsa_next_free_sgpr 0
		.amdhsa_accum_offset 4
		.amdhsa_reserve_vcc 0
		.amdhsa_float_round_mode_32 0
		.amdhsa_float_round_mode_16_64 0
		.amdhsa_float_denorm_mode_32 3
		.amdhsa_float_denorm_mode_16_64 3
		.amdhsa_dx10_clamp 1
		.amdhsa_ieee_mode 1
		.amdhsa_fp16_overflow 0
		.amdhsa_tg_split 0
		.amdhsa_exception_fp_ieee_invalid_op 0
		.amdhsa_exception_fp_denorm_src 0
		.amdhsa_exception_fp_ieee_div_zero 0
		.amdhsa_exception_fp_ieee_overflow 0
		.amdhsa_exception_fp_ieee_underflow 0
		.amdhsa_exception_fp_ieee_inexact 0
		.amdhsa_exception_int_div_zero 0
	.end_amdhsa_kernel
	.section	.text._ZN7rocprim17ROCPRIM_400000_NS6detail17trampoline_kernelINS0_14default_configENS1_37merge_sort_block_sort_config_selectorIlNS0_10empty_typeEEEZNS1_21merge_sort_block_sortIS3_PlS8_PS5_S9_ZN2at6native12_GLOBAL__N_124unique_dim_cuda_templateIhEESt5tupleIJNSA_6TensorESF_SF_EERKSF_lbbbEUlllE_EE10hipError_tT0_T1_T2_T3_mRjT4_P12ihipStream_tbNS1_7vsmem_tEEUlT_E_NS1_11comp_targetILNS1_3genE5ELNS1_11target_archE942ELNS1_3gpuE9ELNS1_3repE0EEENS1_30default_config_static_selectorELNS0_4arch9wavefront6targetE1EEEvSM_,"axG",@progbits,_ZN7rocprim17ROCPRIM_400000_NS6detail17trampoline_kernelINS0_14default_configENS1_37merge_sort_block_sort_config_selectorIlNS0_10empty_typeEEEZNS1_21merge_sort_block_sortIS3_PlS8_PS5_S9_ZN2at6native12_GLOBAL__N_124unique_dim_cuda_templateIhEESt5tupleIJNSA_6TensorESF_SF_EERKSF_lbbbEUlllE_EE10hipError_tT0_T1_T2_T3_mRjT4_P12ihipStream_tbNS1_7vsmem_tEEUlT_E_NS1_11comp_targetILNS1_3genE5ELNS1_11target_archE942ELNS1_3gpuE9ELNS1_3repE0EEENS1_30default_config_static_selectorELNS0_4arch9wavefront6targetE1EEEvSM_,comdat
.Lfunc_end10:
	.size	_ZN7rocprim17ROCPRIM_400000_NS6detail17trampoline_kernelINS0_14default_configENS1_37merge_sort_block_sort_config_selectorIlNS0_10empty_typeEEEZNS1_21merge_sort_block_sortIS3_PlS8_PS5_S9_ZN2at6native12_GLOBAL__N_124unique_dim_cuda_templateIhEESt5tupleIJNSA_6TensorESF_SF_EERKSF_lbbbEUlllE_EE10hipError_tT0_T1_T2_T3_mRjT4_P12ihipStream_tbNS1_7vsmem_tEEUlT_E_NS1_11comp_targetILNS1_3genE5ELNS1_11target_archE942ELNS1_3gpuE9ELNS1_3repE0EEENS1_30default_config_static_selectorELNS0_4arch9wavefront6targetE1EEEvSM_, .Lfunc_end10-_ZN7rocprim17ROCPRIM_400000_NS6detail17trampoline_kernelINS0_14default_configENS1_37merge_sort_block_sort_config_selectorIlNS0_10empty_typeEEEZNS1_21merge_sort_block_sortIS3_PlS8_PS5_S9_ZN2at6native12_GLOBAL__N_124unique_dim_cuda_templateIhEESt5tupleIJNSA_6TensorESF_SF_EERKSF_lbbbEUlllE_EE10hipError_tT0_T1_T2_T3_mRjT4_P12ihipStream_tbNS1_7vsmem_tEEUlT_E_NS1_11comp_targetILNS1_3genE5ELNS1_11target_archE942ELNS1_3gpuE9ELNS1_3repE0EEENS1_30default_config_static_selectorELNS0_4arch9wavefront6targetE1EEEvSM_
                                        ; -- End function
	.set _ZN7rocprim17ROCPRIM_400000_NS6detail17trampoline_kernelINS0_14default_configENS1_37merge_sort_block_sort_config_selectorIlNS0_10empty_typeEEEZNS1_21merge_sort_block_sortIS3_PlS8_PS5_S9_ZN2at6native12_GLOBAL__N_124unique_dim_cuda_templateIhEESt5tupleIJNSA_6TensorESF_SF_EERKSF_lbbbEUlllE_EE10hipError_tT0_T1_T2_T3_mRjT4_P12ihipStream_tbNS1_7vsmem_tEEUlT_E_NS1_11comp_targetILNS1_3genE5ELNS1_11target_archE942ELNS1_3gpuE9ELNS1_3repE0EEENS1_30default_config_static_selectorELNS0_4arch9wavefront6targetE1EEEvSM_.num_vgpr, 0
	.set _ZN7rocprim17ROCPRIM_400000_NS6detail17trampoline_kernelINS0_14default_configENS1_37merge_sort_block_sort_config_selectorIlNS0_10empty_typeEEEZNS1_21merge_sort_block_sortIS3_PlS8_PS5_S9_ZN2at6native12_GLOBAL__N_124unique_dim_cuda_templateIhEESt5tupleIJNSA_6TensorESF_SF_EERKSF_lbbbEUlllE_EE10hipError_tT0_T1_T2_T3_mRjT4_P12ihipStream_tbNS1_7vsmem_tEEUlT_E_NS1_11comp_targetILNS1_3genE5ELNS1_11target_archE942ELNS1_3gpuE9ELNS1_3repE0EEENS1_30default_config_static_selectorELNS0_4arch9wavefront6targetE1EEEvSM_.num_agpr, 0
	.set _ZN7rocprim17ROCPRIM_400000_NS6detail17trampoline_kernelINS0_14default_configENS1_37merge_sort_block_sort_config_selectorIlNS0_10empty_typeEEEZNS1_21merge_sort_block_sortIS3_PlS8_PS5_S9_ZN2at6native12_GLOBAL__N_124unique_dim_cuda_templateIhEESt5tupleIJNSA_6TensorESF_SF_EERKSF_lbbbEUlllE_EE10hipError_tT0_T1_T2_T3_mRjT4_P12ihipStream_tbNS1_7vsmem_tEEUlT_E_NS1_11comp_targetILNS1_3genE5ELNS1_11target_archE942ELNS1_3gpuE9ELNS1_3repE0EEENS1_30default_config_static_selectorELNS0_4arch9wavefront6targetE1EEEvSM_.numbered_sgpr, 0
	.set _ZN7rocprim17ROCPRIM_400000_NS6detail17trampoline_kernelINS0_14default_configENS1_37merge_sort_block_sort_config_selectorIlNS0_10empty_typeEEEZNS1_21merge_sort_block_sortIS3_PlS8_PS5_S9_ZN2at6native12_GLOBAL__N_124unique_dim_cuda_templateIhEESt5tupleIJNSA_6TensorESF_SF_EERKSF_lbbbEUlllE_EE10hipError_tT0_T1_T2_T3_mRjT4_P12ihipStream_tbNS1_7vsmem_tEEUlT_E_NS1_11comp_targetILNS1_3genE5ELNS1_11target_archE942ELNS1_3gpuE9ELNS1_3repE0EEENS1_30default_config_static_selectorELNS0_4arch9wavefront6targetE1EEEvSM_.num_named_barrier, 0
	.set _ZN7rocprim17ROCPRIM_400000_NS6detail17trampoline_kernelINS0_14default_configENS1_37merge_sort_block_sort_config_selectorIlNS0_10empty_typeEEEZNS1_21merge_sort_block_sortIS3_PlS8_PS5_S9_ZN2at6native12_GLOBAL__N_124unique_dim_cuda_templateIhEESt5tupleIJNSA_6TensorESF_SF_EERKSF_lbbbEUlllE_EE10hipError_tT0_T1_T2_T3_mRjT4_P12ihipStream_tbNS1_7vsmem_tEEUlT_E_NS1_11comp_targetILNS1_3genE5ELNS1_11target_archE942ELNS1_3gpuE9ELNS1_3repE0EEENS1_30default_config_static_selectorELNS0_4arch9wavefront6targetE1EEEvSM_.private_seg_size, 0
	.set _ZN7rocprim17ROCPRIM_400000_NS6detail17trampoline_kernelINS0_14default_configENS1_37merge_sort_block_sort_config_selectorIlNS0_10empty_typeEEEZNS1_21merge_sort_block_sortIS3_PlS8_PS5_S9_ZN2at6native12_GLOBAL__N_124unique_dim_cuda_templateIhEESt5tupleIJNSA_6TensorESF_SF_EERKSF_lbbbEUlllE_EE10hipError_tT0_T1_T2_T3_mRjT4_P12ihipStream_tbNS1_7vsmem_tEEUlT_E_NS1_11comp_targetILNS1_3genE5ELNS1_11target_archE942ELNS1_3gpuE9ELNS1_3repE0EEENS1_30default_config_static_selectorELNS0_4arch9wavefront6targetE1EEEvSM_.uses_vcc, 0
	.set _ZN7rocprim17ROCPRIM_400000_NS6detail17trampoline_kernelINS0_14default_configENS1_37merge_sort_block_sort_config_selectorIlNS0_10empty_typeEEEZNS1_21merge_sort_block_sortIS3_PlS8_PS5_S9_ZN2at6native12_GLOBAL__N_124unique_dim_cuda_templateIhEESt5tupleIJNSA_6TensorESF_SF_EERKSF_lbbbEUlllE_EE10hipError_tT0_T1_T2_T3_mRjT4_P12ihipStream_tbNS1_7vsmem_tEEUlT_E_NS1_11comp_targetILNS1_3genE5ELNS1_11target_archE942ELNS1_3gpuE9ELNS1_3repE0EEENS1_30default_config_static_selectorELNS0_4arch9wavefront6targetE1EEEvSM_.uses_flat_scratch, 0
	.set _ZN7rocprim17ROCPRIM_400000_NS6detail17trampoline_kernelINS0_14default_configENS1_37merge_sort_block_sort_config_selectorIlNS0_10empty_typeEEEZNS1_21merge_sort_block_sortIS3_PlS8_PS5_S9_ZN2at6native12_GLOBAL__N_124unique_dim_cuda_templateIhEESt5tupleIJNSA_6TensorESF_SF_EERKSF_lbbbEUlllE_EE10hipError_tT0_T1_T2_T3_mRjT4_P12ihipStream_tbNS1_7vsmem_tEEUlT_E_NS1_11comp_targetILNS1_3genE5ELNS1_11target_archE942ELNS1_3gpuE9ELNS1_3repE0EEENS1_30default_config_static_selectorELNS0_4arch9wavefront6targetE1EEEvSM_.has_dyn_sized_stack, 0
	.set _ZN7rocprim17ROCPRIM_400000_NS6detail17trampoline_kernelINS0_14default_configENS1_37merge_sort_block_sort_config_selectorIlNS0_10empty_typeEEEZNS1_21merge_sort_block_sortIS3_PlS8_PS5_S9_ZN2at6native12_GLOBAL__N_124unique_dim_cuda_templateIhEESt5tupleIJNSA_6TensorESF_SF_EERKSF_lbbbEUlllE_EE10hipError_tT0_T1_T2_T3_mRjT4_P12ihipStream_tbNS1_7vsmem_tEEUlT_E_NS1_11comp_targetILNS1_3genE5ELNS1_11target_archE942ELNS1_3gpuE9ELNS1_3repE0EEENS1_30default_config_static_selectorELNS0_4arch9wavefront6targetE1EEEvSM_.has_recursion, 0
	.set _ZN7rocprim17ROCPRIM_400000_NS6detail17trampoline_kernelINS0_14default_configENS1_37merge_sort_block_sort_config_selectorIlNS0_10empty_typeEEEZNS1_21merge_sort_block_sortIS3_PlS8_PS5_S9_ZN2at6native12_GLOBAL__N_124unique_dim_cuda_templateIhEESt5tupleIJNSA_6TensorESF_SF_EERKSF_lbbbEUlllE_EE10hipError_tT0_T1_T2_T3_mRjT4_P12ihipStream_tbNS1_7vsmem_tEEUlT_E_NS1_11comp_targetILNS1_3genE5ELNS1_11target_archE942ELNS1_3gpuE9ELNS1_3repE0EEENS1_30default_config_static_selectorELNS0_4arch9wavefront6targetE1EEEvSM_.has_indirect_call, 0
	.section	.AMDGPU.csdata,"",@progbits
; Kernel info:
; codeLenInByte = 0
; TotalNumSgprs: 6
; NumVgprs: 0
; NumAgprs: 0
; TotalNumVgprs: 0
; ScratchSize: 0
; MemoryBound: 0
; FloatMode: 240
; IeeeMode: 1
; LDSByteSize: 0 bytes/workgroup (compile time only)
; SGPRBlocks: 0
; VGPRBlocks: 0
; NumSGPRsForWavesPerEU: 6
; NumVGPRsForWavesPerEU: 1
; AccumOffset: 4
; Occupancy: 8
; WaveLimiterHint : 0
; COMPUTE_PGM_RSRC2:SCRATCH_EN: 0
; COMPUTE_PGM_RSRC2:USER_SGPR: 2
; COMPUTE_PGM_RSRC2:TRAP_HANDLER: 0
; COMPUTE_PGM_RSRC2:TGID_X_EN: 1
; COMPUTE_PGM_RSRC2:TGID_Y_EN: 0
; COMPUTE_PGM_RSRC2:TGID_Z_EN: 0
; COMPUTE_PGM_RSRC2:TIDIG_COMP_CNT: 0
; COMPUTE_PGM_RSRC3_GFX90A:ACCUM_OFFSET: 0
; COMPUTE_PGM_RSRC3_GFX90A:TG_SPLIT: 0
	.section	.text._ZN7rocprim17ROCPRIM_400000_NS6detail17trampoline_kernelINS0_14default_configENS1_37merge_sort_block_sort_config_selectorIlNS0_10empty_typeEEEZNS1_21merge_sort_block_sortIS3_PlS8_PS5_S9_ZN2at6native12_GLOBAL__N_124unique_dim_cuda_templateIhEESt5tupleIJNSA_6TensorESF_SF_EERKSF_lbbbEUlllE_EE10hipError_tT0_T1_T2_T3_mRjT4_P12ihipStream_tbNS1_7vsmem_tEEUlT_E_NS1_11comp_targetILNS1_3genE4ELNS1_11target_archE910ELNS1_3gpuE8ELNS1_3repE0EEENS1_30default_config_static_selectorELNS0_4arch9wavefront6targetE1EEEvSM_,"axG",@progbits,_ZN7rocprim17ROCPRIM_400000_NS6detail17trampoline_kernelINS0_14default_configENS1_37merge_sort_block_sort_config_selectorIlNS0_10empty_typeEEEZNS1_21merge_sort_block_sortIS3_PlS8_PS5_S9_ZN2at6native12_GLOBAL__N_124unique_dim_cuda_templateIhEESt5tupleIJNSA_6TensorESF_SF_EERKSF_lbbbEUlllE_EE10hipError_tT0_T1_T2_T3_mRjT4_P12ihipStream_tbNS1_7vsmem_tEEUlT_E_NS1_11comp_targetILNS1_3genE4ELNS1_11target_archE910ELNS1_3gpuE8ELNS1_3repE0EEENS1_30default_config_static_selectorELNS0_4arch9wavefront6targetE1EEEvSM_,comdat
	.globl	_ZN7rocprim17ROCPRIM_400000_NS6detail17trampoline_kernelINS0_14default_configENS1_37merge_sort_block_sort_config_selectorIlNS0_10empty_typeEEEZNS1_21merge_sort_block_sortIS3_PlS8_PS5_S9_ZN2at6native12_GLOBAL__N_124unique_dim_cuda_templateIhEESt5tupleIJNSA_6TensorESF_SF_EERKSF_lbbbEUlllE_EE10hipError_tT0_T1_T2_T3_mRjT4_P12ihipStream_tbNS1_7vsmem_tEEUlT_E_NS1_11comp_targetILNS1_3genE4ELNS1_11target_archE910ELNS1_3gpuE8ELNS1_3repE0EEENS1_30default_config_static_selectorELNS0_4arch9wavefront6targetE1EEEvSM_ ; -- Begin function _ZN7rocprim17ROCPRIM_400000_NS6detail17trampoline_kernelINS0_14default_configENS1_37merge_sort_block_sort_config_selectorIlNS0_10empty_typeEEEZNS1_21merge_sort_block_sortIS3_PlS8_PS5_S9_ZN2at6native12_GLOBAL__N_124unique_dim_cuda_templateIhEESt5tupleIJNSA_6TensorESF_SF_EERKSF_lbbbEUlllE_EE10hipError_tT0_T1_T2_T3_mRjT4_P12ihipStream_tbNS1_7vsmem_tEEUlT_E_NS1_11comp_targetILNS1_3genE4ELNS1_11target_archE910ELNS1_3gpuE8ELNS1_3repE0EEENS1_30default_config_static_selectorELNS0_4arch9wavefront6targetE1EEEvSM_
	.p2align	8
	.type	_ZN7rocprim17ROCPRIM_400000_NS6detail17trampoline_kernelINS0_14default_configENS1_37merge_sort_block_sort_config_selectorIlNS0_10empty_typeEEEZNS1_21merge_sort_block_sortIS3_PlS8_PS5_S9_ZN2at6native12_GLOBAL__N_124unique_dim_cuda_templateIhEESt5tupleIJNSA_6TensorESF_SF_EERKSF_lbbbEUlllE_EE10hipError_tT0_T1_T2_T3_mRjT4_P12ihipStream_tbNS1_7vsmem_tEEUlT_E_NS1_11comp_targetILNS1_3genE4ELNS1_11target_archE910ELNS1_3gpuE8ELNS1_3repE0EEENS1_30default_config_static_selectorELNS0_4arch9wavefront6targetE1EEEvSM_,@function
_ZN7rocprim17ROCPRIM_400000_NS6detail17trampoline_kernelINS0_14default_configENS1_37merge_sort_block_sort_config_selectorIlNS0_10empty_typeEEEZNS1_21merge_sort_block_sortIS3_PlS8_PS5_S9_ZN2at6native12_GLOBAL__N_124unique_dim_cuda_templateIhEESt5tupleIJNSA_6TensorESF_SF_EERKSF_lbbbEUlllE_EE10hipError_tT0_T1_T2_T3_mRjT4_P12ihipStream_tbNS1_7vsmem_tEEUlT_E_NS1_11comp_targetILNS1_3genE4ELNS1_11target_archE910ELNS1_3gpuE8ELNS1_3repE0EEENS1_30default_config_static_selectorELNS0_4arch9wavefront6targetE1EEEvSM_: ; @_ZN7rocprim17ROCPRIM_400000_NS6detail17trampoline_kernelINS0_14default_configENS1_37merge_sort_block_sort_config_selectorIlNS0_10empty_typeEEEZNS1_21merge_sort_block_sortIS3_PlS8_PS5_S9_ZN2at6native12_GLOBAL__N_124unique_dim_cuda_templateIhEESt5tupleIJNSA_6TensorESF_SF_EERKSF_lbbbEUlllE_EE10hipError_tT0_T1_T2_T3_mRjT4_P12ihipStream_tbNS1_7vsmem_tEEUlT_E_NS1_11comp_targetILNS1_3genE4ELNS1_11target_archE910ELNS1_3gpuE8ELNS1_3repE0EEENS1_30default_config_static_selectorELNS0_4arch9wavefront6targetE1EEEvSM_
; %bb.0:
	.section	.rodata,"a",@progbits
	.p2align	6, 0x0
	.amdhsa_kernel _ZN7rocprim17ROCPRIM_400000_NS6detail17trampoline_kernelINS0_14default_configENS1_37merge_sort_block_sort_config_selectorIlNS0_10empty_typeEEEZNS1_21merge_sort_block_sortIS3_PlS8_PS5_S9_ZN2at6native12_GLOBAL__N_124unique_dim_cuda_templateIhEESt5tupleIJNSA_6TensorESF_SF_EERKSF_lbbbEUlllE_EE10hipError_tT0_T1_T2_T3_mRjT4_P12ihipStream_tbNS1_7vsmem_tEEUlT_E_NS1_11comp_targetILNS1_3genE4ELNS1_11target_archE910ELNS1_3gpuE8ELNS1_3repE0EEENS1_30default_config_static_selectorELNS0_4arch9wavefront6targetE1EEEvSM_
		.amdhsa_group_segment_fixed_size 0
		.amdhsa_private_segment_fixed_size 0
		.amdhsa_kernarg_size 72
		.amdhsa_user_sgpr_count 2
		.amdhsa_user_sgpr_dispatch_ptr 0
		.amdhsa_user_sgpr_queue_ptr 0
		.amdhsa_user_sgpr_kernarg_segment_ptr 1
		.amdhsa_user_sgpr_dispatch_id 0
		.amdhsa_user_sgpr_kernarg_preload_length 0
		.amdhsa_user_sgpr_kernarg_preload_offset 0
		.amdhsa_user_sgpr_private_segment_size 0
		.amdhsa_uses_dynamic_stack 0
		.amdhsa_enable_private_segment 0
		.amdhsa_system_sgpr_workgroup_id_x 1
		.amdhsa_system_sgpr_workgroup_id_y 0
		.amdhsa_system_sgpr_workgroup_id_z 0
		.amdhsa_system_sgpr_workgroup_info 0
		.amdhsa_system_vgpr_workitem_id 0
		.amdhsa_next_free_vgpr 1
		.amdhsa_next_free_sgpr 0
		.amdhsa_accum_offset 4
		.amdhsa_reserve_vcc 0
		.amdhsa_float_round_mode_32 0
		.amdhsa_float_round_mode_16_64 0
		.amdhsa_float_denorm_mode_32 3
		.amdhsa_float_denorm_mode_16_64 3
		.amdhsa_dx10_clamp 1
		.amdhsa_ieee_mode 1
		.amdhsa_fp16_overflow 0
		.amdhsa_tg_split 0
		.amdhsa_exception_fp_ieee_invalid_op 0
		.amdhsa_exception_fp_denorm_src 0
		.amdhsa_exception_fp_ieee_div_zero 0
		.amdhsa_exception_fp_ieee_overflow 0
		.amdhsa_exception_fp_ieee_underflow 0
		.amdhsa_exception_fp_ieee_inexact 0
		.amdhsa_exception_int_div_zero 0
	.end_amdhsa_kernel
	.section	.text._ZN7rocprim17ROCPRIM_400000_NS6detail17trampoline_kernelINS0_14default_configENS1_37merge_sort_block_sort_config_selectorIlNS0_10empty_typeEEEZNS1_21merge_sort_block_sortIS3_PlS8_PS5_S9_ZN2at6native12_GLOBAL__N_124unique_dim_cuda_templateIhEESt5tupleIJNSA_6TensorESF_SF_EERKSF_lbbbEUlllE_EE10hipError_tT0_T1_T2_T3_mRjT4_P12ihipStream_tbNS1_7vsmem_tEEUlT_E_NS1_11comp_targetILNS1_3genE4ELNS1_11target_archE910ELNS1_3gpuE8ELNS1_3repE0EEENS1_30default_config_static_selectorELNS0_4arch9wavefront6targetE1EEEvSM_,"axG",@progbits,_ZN7rocprim17ROCPRIM_400000_NS6detail17trampoline_kernelINS0_14default_configENS1_37merge_sort_block_sort_config_selectorIlNS0_10empty_typeEEEZNS1_21merge_sort_block_sortIS3_PlS8_PS5_S9_ZN2at6native12_GLOBAL__N_124unique_dim_cuda_templateIhEESt5tupleIJNSA_6TensorESF_SF_EERKSF_lbbbEUlllE_EE10hipError_tT0_T1_T2_T3_mRjT4_P12ihipStream_tbNS1_7vsmem_tEEUlT_E_NS1_11comp_targetILNS1_3genE4ELNS1_11target_archE910ELNS1_3gpuE8ELNS1_3repE0EEENS1_30default_config_static_selectorELNS0_4arch9wavefront6targetE1EEEvSM_,comdat
.Lfunc_end11:
	.size	_ZN7rocprim17ROCPRIM_400000_NS6detail17trampoline_kernelINS0_14default_configENS1_37merge_sort_block_sort_config_selectorIlNS0_10empty_typeEEEZNS1_21merge_sort_block_sortIS3_PlS8_PS5_S9_ZN2at6native12_GLOBAL__N_124unique_dim_cuda_templateIhEESt5tupleIJNSA_6TensorESF_SF_EERKSF_lbbbEUlllE_EE10hipError_tT0_T1_T2_T3_mRjT4_P12ihipStream_tbNS1_7vsmem_tEEUlT_E_NS1_11comp_targetILNS1_3genE4ELNS1_11target_archE910ELNS1_3gpuE8ELNS1_3repE0EEENS1_30default_config_static_selectorELNS0_4arch9wavefront6targetE1EEEvSM_, .Lfunc_end11-_ZN7rocprim17ROCPRIM_400000_NS6detail17trampoline_kernelINS0_14default_configENS1_37merge_sort_block_sort_config_selectorIlNS0_10empty_typeEEEZNS1_21merge_sort_block_sortIS3_PlS8_PS5_S9_ZN2at6native12_GLOBAL__N_124unique_dim_cuda_templateIhEESt5tupleIJNSA_6TensorESF_SF_EERKSF_lbbbEUlllE_EE10hipError_tT0_T1_T2_T3_mRjT4_P12ihipStream_tbNS1_7vsmem_tEEUlT_E_NS1_11comp_targetILNS1_3genE4ELNS1_11target_archE910ELNS1_3gpuE8ELNS1_3repE0EEENS1_30default_config_static_selectorELNS0_4arch9wavefront6targetE1EEEvSM_
                                        ; -- End function
	.set _ZN7rocprim17ROCPRIM_400000_NS6detail17trampoline_kernelINS0_14default_configENS1_37merge_sort_block_sort_config_selectorIlNS0_10empty_typeEEEZNS1_21merge_sort_block_sortIS3_PlS8_PS5_S9_ZN2at6native12_GLOBAL__N_124unique_dim_cuda_templateIhEESt5tupleIJNSA_6TensorESF_SF_EERKSF_lbbbEUlllE_EE10hipError_tT0_T1_T2_T3_mRjT4_P12ihipStream_tbNS1_7vsmem_tEEUlT_E_NS1_11comp_targetILNS1_3genE4ELNS1_11target_archE910ELNS1_3gpuE8ELNS1_3repE0EEENS1_30default_config_static_selectorELNS0_4arch9wavefront6targetE1EEEvSM_.num_vgpr, 0
	.set _ZN7rocprim17ROCPRIM_400000_NS6detail17trampoline_kernelINS0_14default_configENS1_37merge_sort_block_sort_config_selectorIlNS0_10empty_typeEEEZNS1_21merge_sort_block_sortIS3_PlS8_PS5_S9_ZN2at6native12_GLOBAL__N_124unique_dim_cuda_templateIhEESt5tupleIJNSA_6TensorESF_SF_EERKSF_lbbbEUlllE_EE10hipError_tT0_T1_T2_T3_mRjT4_P12ihipStream_tbNS1_7vsmem_tEEUlT_E_NS1_11comp_targetILNS1_3genE4ELNS1_11target_archE910ELNS1_3gpuE8ELNS1_3repE0EEENS1_30default_config_static_selectorELNS0_4arch9wavefront6targetE1EEEvSM_.num_agpr, 0
	.set _ZN7rocprim17ROCPRIM_400000_NS6detail17trampoline_kernelINS0_14default_configENS1_37merge_sort_block_sort_config_selectorIlNS0_10empty_typeEEEZNS1_21merge_sort_block_sortIS3_PlS8_PS5_S9_ZN2at6native12_GLOBAL__N_124unique_dim_cuda_templateIhEESt5tupleIJNSA_6TensorESF_SF_EERKSF_lbbbEUlllE_EE10hipError_tT0_T1_T2_T3_mRjT4_P12ihipStream_tbNS1_7vsmem_tEEUlT_E_NS1_11comp_targetILNS1_3genE4ELNS1_11target_archE910ELNS1_3gpuE8ELNS1_3repE0EEENS1_30default_config_static_selectorELNS0_4arch9wavefront6targetE1EEEvSM_.numbered_sgpr, 0
	.set _ZN7rocprim17ROCPRIM_400000_NS6detail17trampoline_kernelINS0_14default_configENS1_37merge_sort_block_sort_config_selectorIlNS0_10empty_typeEEEZNS1_21merge_sort_block_sortIS3_PlS8_PS5_S9_ZN2at6native12_GLOBAL__N_124unique_dim_cuda_templateIhEESt5tupleIJNSA_6TensorESF_SF_EERKSF_lbbbEUlllE_EE10hipError_tT0_T1_T2_T3_mRjT4_P12ihipStream_tbNS1_7vsmem_tEEUlT_E_NS1_11comp_targetILNS1_3genE4ELNS1_11target_archE910ELNS1_3gpuE8ELNS1_3repE0EEENS1_30default_config_static_selectorELNS0_4arch9wavefront6targetE1EEEvSM_.num_named_barrier, 0
	.set _ZN7rocprim17ROCPRIM_400000_NS6detail17trampoline_kernelINS0_14default_configENS1_37merge_sort_block_sort_config_selectorIlNS0_10empty_typeEEEZNS1_21merge_sort_block_sortIS3_PlS8_PS5_S9_ZN2at6native12_GLOBAL__N_124unique_dim_cuda_templateIhEESt5tupleIJNSA_6TensorESF_SF_EERKSF_lbbbEUlllE_EE10hipError_tT0_T1_T2_T3_mRjT4_P12ihipStream_tbNS1_7vsmem_tEEUlT_E_NS1_11comp_targetILNS1_3genE4ELNS1_11target_archE910ELNS1_3gpuE8ELNS1_3repE0EEENS1_30default_config_static_selectorELNS0_4arch9wavefront6targetE1EEEvSM_.private_seg_size, 0
	.set _ZN7rocprim17ROCPRIM_400000_NS6detail17trampoline_kernelINS0_14default_configENS1_37merge_sort_block_sort_config_selectorIlNS0_10empty_typeEEEZNS1_21merge_sort_block_sortIS3_PlS8_PS5_S9_ZN2at6native12_GLOBAL__N_124unique_dim_cuda_templateIhEESt5tupleIJNSA_6TensorESF_SF_EERKSF_lbbbEUlllE_EE10hipError_tT0_T1_T2_T3_mRjT4_P12ihipStream_tbNS1_7vsmem_tEEUlT_E_NS1_11comp_targetILNS1_3genE4ELNS1_11target_archE910ELNS1_3gpuE8ELNS1_3repE0EEENS1_30default_config_static_selectorELNS0_4arch9wavefront6targetE1EEEvSM_.uses_vcc, 0
	.set _ZN7rocprim17ROCPRIM_400000_NS6detail17trampoline_kernelINS0_14default_configENS1_37merge_sort_block_sort_config_selectorIlNS0_10empty_typeEEEZNS1_21merge_sort_block_sortIS3_PlS8_PS5_S9_ZN2at6native12_GLOBAL__N_124unique_dim_cuda_templateIhEESt5tupleIJNSA_6TensorESF_SF_EERKSF_lbbbEUlllE_EE10hipError_tT0_T1_T2_T3_mRjT4_P12ihipStream_tbNS1_7vsmem_tEEUlT_E_NS1_11comp_targetILNS1_3genE4ELNS1_11target_archE910ELNS1_3gpuE8ELNS1_3repE0EEENS1_30default_config_static_selectorELNS0_4arch9wavefront6targetE1EEEvSM_.uses_flat_scratch, 0
	.set _ZN7rocprim17ROCPRIM_400000_NS6detail17trampoline_kernelINS0_14default_configENS1_37merge_sort_block_sort_config_selectorIlNS0_10empty_typeEEEZNS1_21merge_sort_block_sortIS3_PlS8_PS5_S9_ZN2at6native12_GLOBAL__N_124unique_dim_cuda_templateIhEESt5tupleIJNSA_6TensorESF_SF_EERKSF_lbbbEUlllE_EE10hipError_tT0_T1_T2_T3_mRjT4_P12ihipStream_tbNS1_7vsmem_tEEUlT_E_NS1_11comp_targetILNS1_3genE4ELNS1_11target_archE910ELNS1_3gpuE8ELNS1_3repE0EEENS1_30default_config_static_selectorELNS0_4arch9wavefront6targetE1EEEvSM_.has_dyn_sized_stack, 0
	.set _ZN7rocprim17ROCPRIM_400000_NS6detail17trampoline_kernelINS0_14default_configENS1_37merge_sort_block_sort_config_selectorIlNS0_10empty_typeEEEZNS1_21merge_sort_block_sortIS3_PlS8_PS5_S9_ZN2at6native12_GLOBAL__N_124unique_dim_cuda_templateIhEESt5tupleIJNSA_6TensorESF_SF_EERKSF_lbbbEUlllE_EE10hipError_tT0_T1_T2_T3_mRjT4_P12ihipStream_tbNS1_7vsmem_tEEUlT_E_NS1_11comp_targetILNS1_3genE4ELNS1_11target_archE910ELNS1_3gpuE8ELNS1_3repE0EEENS1_30default_config_static_selectorELNS0_4arch9wavefront6targetE1EEEvSM_.has_recursion, 0
	.set _ZN7rocprim17ROCPRIM_400000_NS6detail17trampoline_kernelINS0_14default_configENS1_37merge_sort_block_sort_config_selectorIlNS0_10empty_typeEEEZNS1_21merge_sort_block_sortIS3_PlS8_PS5_S9_ZN2at6native12_GLOBAL__N_124unique_dim_cuda_templateIhEESt5tupleIJNSA_6TensorESF_SF_EERKSF_lbbbEUlllE_EE10hipError_tT0_T1_T2_T3_mRjT4_P12ihipStream_tbNS1_7vsmem_tEEUlT_E_NS1_11comp_targetILNS1_3genE4ELNS1_11target_archE910ELNS1_3gpuE8ELNS1_3repE0EEENS1_30default_config_static_selectorELNS0_4arch9wavefront6targetE1EEEvSM_.has_indirect_call, 0
	.section	.AMDGPU.csdata,"",@progbits
; Kernel info:
; codeLenInByte = 0
; TotalNumSgprs: 6
; NumVgprs: 0
; NumAgprs: 0
; TotalNumVgprs: 0
; ScratchSize: 0
; MemoryBound: 0
; FloatMode: 240
; IeeeMode: 1
; LDSByteSize: 0 bytes/workgroup (compile time only)
; SGPRBlocks: 0
; VGPRBlocks: 0
; NumSGPRsForWavesPerEU: 6
; NumVGPRsForWavesPerEU: 1
; AccumOffset: 4
; Occupancy: 8
; WaveLimiterHint : 0
; COMPUTE_PGM_RSRC2:SCRATCH_EN: 0
; COMPUTE_PGM_RSRC2:USER_SGPR: 2
; COMPUTE_PGM_RSRC2:TRAP_HANDLER: 0
; COMPUTE_PGM_RSRC2:TGID_X_EN: 1
; COMPUTE_PGM_RSRC2:TGID_Y_EN: 0
; COMPUTE_PGM_RSRC2:TGID_Z_EN: 0
; COMPUTE_PGM_RSRC2:TIDIG_COMP_CNT: 0
; COMPUTE_PGM_RSRC3_GFX90A:ACCUM_OFFSET: 0
; COMPUTE_PGM_RSRC3_GFX90A:TG_SPLIT: 0
	.section	.text._ZN7rocprim17ROCPRIM_400000_NS6detail17trampoline_kernelINS0_14default_configENS1_37merge_sort_block_sort_config_selectorIlNS0_10empty_typeEEEZNS1_21merge_sort_block_sortIS3_PlS8_PS5_S9_ZN2at6native12_GLOBAL__N_124unique_dim_cuda_templateIhEESt5tupleIJNSA_6TensorESF_SF_EERKSF_lbbbEUlllE_EE10hipError_tT0_T1_T2_T3_mRjT4_P12ihipStream_tbNS1_7vsmem_tEEUlT_E_NS1_11comp_targetILNS1_3genE3ELNS1_11target_archE908ELNS1_3gpuE7ELNS1_3repE0EEENS1_30default_config_static_selectorELNS0_4arch9wavefront6targetE1EEEvSM_,"axG",@progbits,_ZN7rocprim17ROCPRIM_400000_NS6detail17trampoline_kernelINS0_14default_configENS1_37merge_sort_block_sort_config_selectorIlNS0_10empty_typeEEEZNS1_21merge_sort_block_sortIS3_PlS8_PS5_S9_ZN2at6native12_GLOBAL__N_124unique_dim_cuda_templateIhEESt5tupleIJNSA_6TensorESF_SF_EERKSF_lbbbEUlllE_EE10hipError_tT0_T1_T2_T3_mRjT4_P12ihipStream_tbNS1_7vsmem_tEEUlT_E_NS1_11comp_targetILNS1_3genE3ELNS1_11target_archE908ELNS1_3gpuE7ELNS1_3repE0EEENS1_30default_config_static_selectorELNS0_4arch9wavefront6targetE1EEEvSM_,comdat
	.globl	_ZN7rocprim17ROCPRIM_400000_NS6detail17trampoline_kernelINS0_14default_configENS1_37merge_sort_block_sort_config_selectorIlNS0_10empty_typeEEEZNS1_21merge_sort_block_sortIS3_PlS8_PS5_S9_ZN2at6native12_GLOBAL__N_124unique_dim_cuda_templateIhEESt5tupleIJNSA_6TensorESF_SF_EERKSF_lbbbEUlllE_EE10hipError_tT0_T1_T2_T3_mRjT4_P12ihipStream_tbNS1_7vsmem_tEEUlT_E_NS1_11comp_targetILNS1_3genE3ELNS1_11target_archE908ELNS1_3gpuE7ELNS1_3repE0EEENS1_30default_config_static_selectorELNS0_4arch9wavefront6targetE1EEEvSM_ ; -- Begin function _ZN7rocprim17ROCPRIM_400000_NS6detail17trampoline_kernelINS0_14default_configENS1_37merge_sort_block_sort_config_selectorIlNS0_10empty_typeEEEZNS1_21merge_sort_block_sortIS3_PlS8_PS5_S9_ZN2at6native12_GLOBAL__N_124unique_dim_cuda_templateIhEESt5tupleIJNSA_6TensorESF_SF_EERKSF_lbbbEUlllE_EE10hipError_tT0_T1_T2_T3_mRjT4_P12ihipStream_tbNS1_7vsmem_tEEUlT_E_NS1_11comp_targetILNS1_3genE3ELNS1_11target_archE908ELNS1_3gpuE7ELNS1_3repE0EEENS1_30default_config_static_selectorELNS0_4arch9wavefront6targetE1EEEvSM_
	.p2align	8
	.type	_ZN7rocprim17ROCPRIM_400000_NS6detail17trampoline_kernelINS0_14default_configENS1_37merge_sort_block_sort_config_selectorIlNS0_10empty_typeEEEZNS1_21merge_sort_block_sortIS3_PlS8_PS5_S9_ZN2at6native12_GLOBAL__N_124unique_dim_cuda_templateIhEESt5tupleIJNSA_6TensorESF_SF_EERKSF_lbbbEUlllE_EE10hipError_tT0_T1_T2_T3_mRjT4_P12ihipStream_tbNS1_7vsmem_tEEUlT_E_NS1_11comp_targetILNS1_3genE3ELNS1_11target_archE908ELNS1_3gpuE7ELNS1_3repE0EEENS1_30default_config_static_selectorELNS0_4arch9wavefront6targetE1EEEvSM_,@function
_ZN7rocprim17ROCPRIM_400000_NS6detail17trampoline_kernelINS0_14default_configENS1_37merge_sort_block_sort_config_selectorIlNS0_10empty_typeEEEZNS1_21merge_sort_block_sortIS3_PlS8_PS5_S9_ZN2at6native12_GLOBAL__N_124unique_dim_cuda_templateIhEESt5tupleIJNSA_6TensorESF_SF_EERKSF_lbbbEUlllE_EE10hipError_tT0_T1_T2_T3_mRjT4_P12ihipStream_tbNS1_7vsmem_tEEUlT_E_NS1_11comp_targetILNS1_3genE3ELNS1_11target_archE908ELNS1_3gpuE7ELNS1_3repE0EEENS1_30default_config_static_selectorELNS0_4arch9wavefront6targetE1EEEvSM_: ; @_ZN7rocprim17ROCPRIM_400000_NS6detail17trampoline_kernelINS0_14default_configENS1_37merge_sort_block_sort_config_selectorIlNS0_10empty_typeEEEZNS1_21merge_sort_block_sortIS3_PlS8_PS5_S9_ZN2at6native12_GLOBAL__N_124unique_dim_cuda_templateIhEESt5tupleIJNSA_6TensorESF_SF_EERKSF_lbbbEUlllE_EE10hipError_tT0_T1_T2_T3_mRjT4_P12ihipStream_tbNS1_7vsmem_tEEUlT_E_NS1_11comp_targetILNS1_3genE3ELNS1_11target_archE908ELNS1_3gpuE7ELNS1_3repE0EEENS1_30default_config_static_selectorELNS0_4arch9wavefront6targetE1EEEvSM_
; %bb.0:
	.section	.rodata,"a",@progbits
	.p2align	6, 0x0
	.amdhsa_kernel _ZN7rocprim17ROCPRIM_400000_NS6detail17trampoline_kernelINS0_14default_configENS1_37merge_sort_block_sort_config_selectorIlNS0_10empty_typeEEEZNS1_21merge_sort_block_sortIS3_PlS8_PS5_S9_ZN2at6native12_GLOBAL__N_124unique_dim_cuda_templateIhEESt5tupleIJNSA_6TensorESF_SF_EERKSF_lbbbEUlllE_EE10hipError_tT0_T1_T2_T3_mRjT4_P12ihipStream_tbNS1_7vsmem_tEEUlT_E_NS1_11comp_targetILNS1_3genE3ELNS1_11target_archE908ELNS1_3gpuE7ELNS1_3repE0EEENS1_30default_config_static_selectorELNS0_4arch9wavefront6targetE1EEEvSM_
		.amdhsa_group_segment_fixed_size 0
		.amdhsa_private_segment_fixed_size 0
		.amdhsa_kernarg_size 72
		.amdhsa_user_sgpr_count 2
		.amdhsa_user_sgpr_dispatch_ptr 0
		.amdhsa_user_sgpr_queue_ptr 0
		.amdhsa_user_sgpr_kernarg_segment_ptr 1
		.amdhsa_user_sgpr_dispatch_id 0
		.amdhsa_user_sgpr_kernarg_preload_length 0
		.amdhsa_user_sgpr_kernarg_preload_offset 0
		.amdhsa_user_sgpr_private_segment_size 0
		.amdhsa_uses_dynamic_stack 0
		.amdhsa_enable_private_segment 0
		.amdhsa_system_sgpr_workgroup_id_x 1
		.amdhsa_system_sgpr_workgroup_id_y 0
		.amdhsa_system_sgpr_workgroup_id_z 0
		.amdhsa_system_sgpr_workgroup_info 0
		.amdhsa_system_vgpr_workitem_id 0
		.amdhsa_next_free_vgpr 1
		.amdhsa_next_free_sgpr 0
		.amdhsa_accum_offset 4
		.amdhsa_reserve_vcc 0
		.amdhsa_float_round_mode_32 0
		.amdhsa_float_round_mode_16_64 0
		.amdhsa_float_denorm_mode_32 3
		.amdhsa_float_denorm_mode_16_64 3
		.amdhsa_dx10_clamp 1
		.amdhsa_ieee_mode 1
		.amdhsa_fp16_overflow 0
		.amdhsa_tg_split 0
		.amdhsa_exception_fp_ieee_invalid_op 0
		.amdhsa_exception_fp_denorm_src 0
		.amdhsa_exception_fp_ieee_div_zero 0
		.amdhsa_exception_fp_ieee_overflow 0
		.amdhsa_exception_fp_ieee_underflow 0
		.amdhsa_exception_fp_ieee_inexact 0
		.amdhsa_exception_int_div_zero 0
	.end_amdhsa_kernel
	.section	.text._ZN7rocprim17ROCPRIM_400000_NS6detail17trampoline_kernelINS0_14default_configENS1_37merge_sort_block_sort_config_selectorIlNS0_10empty_typeEEEZNS1_21merge_sort_block_sortIS3_PlS8_PS5_S9_ZN2at6native12_GLOBAL__N_124unique_dim_cuda_templateIhEESt5tupleIJNSA_6TensorESF_SF_EERKSF_lbbbEUlllE_EE10hipError_tT0_T1_T2_T3_mRjT4_P12ihipStream_tbNS1_7vsmem_tEEUlT_E_NS1_11comp_targetILNS1_3genE3ELNS1_11target_archE908ELNS1_3gpuE7ELNS1_3repE0EEENS1_30default_config_static_selectorELNS0_4arch9wavefront6targetE1EEEvSM_,"axG",@progbits,_ZN7rocprim17ROCPRIM_400000_NS6detail17trampoline_kernelINS0_14default_configENS1_37merge_sort_block_sort_config_selectorIlNS0_10empty_typeEEEZNS1_21merge_sort_block_sortIS3_PlS8_PS5_S9_ZN2at6native12_GLOBAL__N_124unique_dim_cuda_templateIhEESt5tupleIJNSA_6TensorESF_SF_EERKSF_lbbbEUlllE_EE10hipError_tT0_T1_T2_T3_mRjT4_P12ihipStream_tbNS1_7vsmem_tEEUlT_E_NS1_11comp_targetILNS1_3genE3ELNS1_11target_archE908ELNS1_3gpuE7ELNS1_3repE0EEENS1_30default_config_static_selectorELNS0_4arch9wavefront6targetE1EEEvSM_,comdat
.Lfunc_end12:
	.size	_ZN7rocprim17ROCPRIM_400000_NS6detail17trampoline_kernelINS0_14default_configENS1_37merge_sort_block_sort_config_selectorIlNS0_10empty_typeEEEZNS1_21merge_sort_block_sortIS3_PlS8_PS5_S9_ZN2at6native12_GLOBAL__N_124unique_dim_cuda_templateIhEESt5tupleIJNSA_6TensorESF_SF_EERKSF_lbbbEUlllE_EE10hipError_tT0_T1_T2_T3_mRjT4_P12ihipStream_tbNS1_7vsmem_tEEUlT_E_NS1_11comp_targetILNS1_3genE3ELNS1_11target_archE908ELNS1_3gpuE7ELNS1_3repE0EEENS1_30default_config_static_selectorELNS0_4arch9wavefront6targetE1EEEvSM_, .Lfunc_end12-_ZN7rocprim17ROCPRIM_400000_NS6detail17trampoline_kernelINS0_14default_configENS1_37merge_sort_block_sort_config_selectorIlNS0_10empty_typeEEEZNS1_21merge_sort_block_sortIS3_PlS8_PS5_S9_ZN2at6native12_GLOBAL__N_124unique_dim_cuda_templateIhEESt5tupleIJNSA_6TensorESF_SF_EERKSF_lbbbEUlllE_EE10hipError_tT0_T1_T2_T3_mRjT4_P12ihipStream_tbNS1_7vsmem_tEEUlT_E_NS1_11comp_targetILNS1_3genE3ELNS1_11target_archE908ELNS1_3gpuE7ELNS1_3repE0EEENS1_30default_config_static_selectorELNS0_4arch9wavefront6targetE1EEEvSM_
                                        ; -- End function
	.set _ZN7rocprim17ROCPRIM_400000_NS6detail17trampoline_kernelINS0_14default_configENS1_37merge_sort_block_sort_config_selectorIlNS0_10empty_typeEEEZNS1_21merge_sort_block_sortIS3_PlS8_PS5_S9_ZN2at6native12_GLOBAL__N_124unique_dim_cuda_templateIhEESt5tupleIJNSA_6TensorESF_SF_EERKSF_lbbbEUlllE_EE10hipError_tT0_T1_T2_T3_mRjT4_P12ihipStream_tbNS1_7vsmem_tEEUlT_E_NS1_11comp_targetILNS1_3genE3ELNS1_11target_archE908ELNS1_3gpuE7ELNS1_3repE0EEENS1_30default_config_static_selectorELNS0_4arch9wavefront6targetE1EEEvSM_.num_vgpr, 0
	.set _ZN7rocprim17ROCPRIM_400000_NS6detail17trampoline_kernelINS0_14default_configENS1_37merge_sort_block_sort_config_selectorIlNS0_10empty_typeEEEZNS1_21merge_sort_block_sortIS3_PlS8_PS5_S9_ZN2at6native12_GLOBAL__N_124unique_dim_cuda_templateIhEESt5tupleIJNSA_6TensorESF_SF_EERKSF_lbbbEUlllE_EE10hipError_tT0_T1_T2_T3_mRjT4_P12ihipStream_tbNS1_7vsmem_tEEUlT_E_NS1_11comp_targetILNS1_3genE3ELNS1_11target_archE908ELNS1_3gpuE7ELNS1_3repE0EEENS1_30default_config_static_selectorELNS0_4arch9wavefront6targetE1EEEvSM_.num_agpr, 0
	.set _ZN7rocprim17ROCPRIM_400000_NS6detail17trampoline_kernelINS0_14default_configENS1_37merge_sort_block_sort_config_selectorIlNS0_10empty_typeEEEZNS1_21merge_sort_block_sortIS3_PlS8_PS5_S9_ZN2at6native12_GLOBAL__N_124unique_dim_cuda_templateIhEESt5tupleIJNSA_6TensorESF_SF_EERKSF_lbbbEUlllE_EE10hipError_tT0_T1_T2_T3_mRjT4_P12ihipStream_tbNS1_7vsmem_tEEUlT_E_NS1_11comp_targetILNS1_3genE3ELNS1_11target_archE908ELNS1_3gpuE7ELNS1_3repE0EEENS1_30default_config_static_selectorELNS0_4arch9wavefront6targetE1EEEvSM_.numbered_sgpr, 0
	.set _ZN7rocprim17ROCPRIM_400000_NS6detail17trampoline_kernelINS0_14default_configENS1_37merge_sort_block_sort_config_selectorIlNS0_10empty_typeEEEZNS1_21merge_sort_block_sortIS3_PlS8_PS5_S9_ZN2at6native12_GLOBAL__N_124unique_dim_cuda_templateIhEESt5tupleIJNSA_6TensorESF_SF_EERKSF_lbbbEUlllE_EE10hipError_tT0_T1_T2_T3_mRjT4_P12ihipStream_tbNS1_7vsmem_tEEUlT_E_NS1_11comp_targetILNS1_3genE3ELNS1_11target_archE908ELNS1_3gpuE7ELNS1_3repE0EEENS1_30default_config_static_selectorELNS0_4arch9wavefront6targetE1EEEvSM_.num_named_barrier, 0
	.set _ZN7rocprim17ROCPRIM_400000_NS6detail17trampoline_kernelINS0_14default_configENS1_37merge_sort_block_sort_config_selectorIlNS0_10empty_typeEEEZNS1_21merge_sort_block_sortIS3_PlS8_PS5_S9_ZN2at6native12_GLOBAL__N_124unique_dim_cuda_templateIhEESt5tupleIJNSA_6TensorESF_SF_EERKSF_lbbbEUlllE_EE10hipError_tT0_T1_T2_T3_mRjT4_P12ihipStream_tbNS1_7vsmem_tEEUlT_E_NS1_11comp_targetILNS1_3genE3ELNS1_11target_archE908ELNS1_3gpuE7ELNS1_3repE0EEENS1_30default_config_static_selectorELNS0_4arch9wavefront6targetE1EEEvSM_.private_seg_size, 0
	.set _ZN7rocprim17ROCPRIM_400000_NS6detail17trampoline_kernelINS0_14default_configENS1_37merge_sort_block_sort_config_selectorIlNS0_10empty_typeEEEZNS1_21merge_sort_block_sortIS3_PlS8_PS5_S9_ZN2at6native12_GLOBAL__N_124unique_dim_cuda_templateIhEESt5tupleIJNSA_6TensorESF_SF_EERKSF_lbbbEUlllE_EE10hipError_tT0_T1_T2_T3_mRjT4_P12ihipStream_tbNS1_7vsmem_tEEUlT_E_NS1_11comp_targetILNS1_3genE3ELNS1_11target_archE908ELNS1_3gpuE7ELNS1_3repE0EEENS1_30default_config_static_selectorELNS0_4arch9wavefront6targetE1EEEvSM_.uses_vcc, 0
	.set _ZN7rocprim17ROCPRIM_400000_NS6detail17trampoline_kernelINS0_14default_configENS1_37merge_sort_block_sort_config_selectorIlNS0_10empty_typeEEEZNS1_21merge_sort_block_sortIS3_PlS8_PS5_S9_ZN2at6native12_GLOBAL__N_124unique_dim_cuda_templateIhEESt5tupleIJNSA_6TensorESF_SF_EERKSF_lbbbEUlllE_EE10hipError_tT0_T1_T2_T3_mRjT4_P12ihipStream_tbNS1_7vsmem_tEEUlT_E_NS1_11comp_targetILNS1_3genE3ELNS1_11target_archE908ELNS1_3gpuE7ELNS1_3repE0EEENS1_30default_config_static_selectorELNS0_4arch9wavefront6targetE1EEEvSM_.uses_flat_scratch, 0
	.set _ZN7rocprim17ROCPRIM_400000_NS6detail17trampoline_kernelINS0_14default_configENS1_37merge_sort_block_sort_config_selectorIlNS0_10empty_typeEEEZNS1_21merge_sort_block_sortIS3_PlS8_PS5_S9_ZN2at6native12_GLOBAL__N_124unique_dim_cuda_templateIhEESt5tupleIJNSA_6TensorESF_SF_EERKSF_lbbbEUlllE_EE10hipError_tT0_T1_T2_T3_mRjT4_P12ihipStream_tbNS1_7vsmem_tEEUlT_E_NS1_11comp_targetILNS1_3genE3ELNS1_11target_archE908ELNS1_3gpuE7ELNS1_3repE0EEENS1_30default_config_static_selectorELNS0_4arch9wavefront6targetE1EEEvSM_.has_dyn_sized_stack, 0
	.set _ZN7rocprim17ROCPRIM_400000_NS6detail17trampoline_kernelINS0_14default_configENS1_37merge_sort_block_sort_config_selectorIlNS0_10empty_typeEEEZNS1_21merge_sort_block_sortIS3_PlS8_PS5_S9_ZN2at6native12_GLOBAL__N_124unique_dim_cuda_templateIhEESt5tupleIJNSA_6TensorESF_SF_EERKSF_lbbbEUlllE_EE10hipError_tT0_T1_T2_T3_mRjT4_P12ihipStream_tbNS1_7vsmem_tEEUlT_E_NS1_11comp_targetILNS1_3genE3ELNS1_11target_archE908ELNS1_3gpuE7ELNS1_3repE0EEENS1_30default_config_static_selectorELNS0_4arch9wavefront6targetE1EEEvSM_.has_recursion, 0
	.set _ZN7rocprim17ROCPRIM_400000_NS6detail17trampoline_kernelINS0_14default_configENS1_37merge_sort_block_sort_config_selectorIlNS0_10empty_typeEEEZNS1_21merge_sort_block_sortIS3_PlS8_PS5_S9_ZN2at6native12_GLOBAL__N_124unique_dim_cuda_templateIhEESt5tupleIJNSA_6TensorESF_SF_EERKSF_lbbbEUlllE_EE10hipError_tT0_T1_T2_T3_mRjT4_P12ihipStream_tbNS1_7vsmem_tEEUlT_E_NS1_11comp_targetILNS1_3genE3ELNS1_11target_archE908ELNS1_3gpuE7ELNS1_3repE0EEENS1_30default_config_static_selectorELNS0_4arch9wavefront6targetE1EEEvSM_.has_indirect_call, 0
	.section	.AMDGPU.csdata,"",@progbits
; Kernel info:
; codeLenInByte = 0
; TotalNumSgprs: 6
; NumVgprs: 0
; NumAgprs: 0
; TotalNumVgprs: 0
; ScratchSize: 0
; MemoryBound: 0
; FloatMode: 240
; IeeeMode: 1
; LDSByteSize: 0 bytes/workgroup (compile time only)
; SGPRBlocks: 0
; VGPRBlocks: 0
; NumSGPRsForWavesPerEU: 6
; NumVGPRsForWavesPerEU: 1
; AccumOffset: 4
; Occupancy: 8
; WaveLimiterHint : 0
; COMPUTE_PGM_RSRC2:SCRATCH_EN: 0
; COMPUTE_PGM_RSRC2:USER_SGPR: 2
; COMPUTE_PGM_RSRC2:TRAP_HANDLER: 0
; COMPUTE_PGM_RSRC2:TGID_X_EN: 1
; COMPUTE_PGM_RSRC2:TGID_Y_EN: 0
; COMPUTE_PGM_RSRC2:TGID_Z_EN: 0
; COMPUTE_PGM_RSRC2:TIDIG_COMP_CNT: 0
; COMPUTE_PGM_RSRC3_GFX90A:ACCUM_OFFSET: 0
; COMPUTE_PGM_RSRC3_GFX90A:TG_SPLIT: 0
	.section	.text._ZN7rocprim17ROCPRIM_400000_NS6detail17trampoline_kernelINS0_14default_configENS1_37merge_sort_block_sort_config_selectorIlNS0_10empty_typeEEEZNS1_21merge_sort_block_sortIS3_PlS8_PS5_S9_ZN2at6native12_GLOBAL__N_124unique_dim_cuda_templateIhEESt5tupleIJNSA_6TensorESF_SF_EERKSF_lbbbEUlllE_EE10hipError_tT0_T1_T2_T3_mRjT4_P12ihipStream_tbNS1_7vsmem_tEEUlT_E_NS1_11comp_targetILNS1_3genE2ELNS1_11target_archE906ELNS1_3gpuE6ELNS1_3repE0EEENS1_30default_config_static_selectorELNS0_4arch9wavefront6targetE1EEEvSM_,"axG",@progbits,_ZN7rocprim17ROCPRIM_400000_NS6detail17trampoline_kernelINS0_14default_configENS1_37merge_sort_block_sort_config_selectorIlNS0_10empty_typeEEEZNS1_21merge_sort_block_sortIS3_PlS8_PS5_S9_ZN2at6native12_GLOBAL__N_124unique_dim_cuda_templateIhEESt5tupleIJNSA_6TensorESF_SF_EERKSF_lbbbEUlllE_EE10hipError_tT0_T1_T2_T3_mRjT4_P12ihipStream_tbNS1_7vsmem_tEEUlT_E_NS1_11comp_targetILNS1_3genE2ELNS1_11target_archE906ELNS1_3gpuE6ELNS1_3repE0EEENS1_30default_config_static_selectorELNS0_4arch9wavefront6targetE1EEEvSM_,comdat
	.globl	_ZN7rocprim17ROCPRIM_400000_NS6detail17trampoline_kernelINS0_14default_configENS1_37merge_sort_block_sort_config_selectorIlNS0_10empty_typeEEEZNS1_21merge_sort_block_sortIS3_PlS8_PS5_S9_ZN2at6native12_GLOBAL__N_124unique_dim_cuda_templateIhEESt5tupleIJNSA_6TensorESF_SF_EERKSF_lbbbEUlllE_EE10hipError_tT0_T1_T2_T3_mRjT4_P12ihipStream_tbNS1_7vsmem_tEEUlT_E_NS1_11comp_targetILNS1_3genE2ELNS1_11target_archE906ELNS1_3gpuE6ELNS1_3repE0EEENS1_30default_config_static_selectorELNS0_4arch9wavefront6targetE1EEEvSM_ ; -- Begin function _ZN7rocprim17ROCPRIM_400000_NS6detail17trampoline_kernelINS0_14default_configENS1_37merge_sort_block_sort_config_selectorIlNS0_10empty_typeEEEZNS1_21merge_sort_block_sortIS3_PlS8_PS5_S9_ZN2at6native12_GLOBAL__N_124unique_dim_cuda_templateIhEESt5tupleIJNSA_6TensorESF_SF_EERKSF_lbbbEUlllE_EE10hipError_tT0_T1_T2_T3_mRjT4_P12ihipStream_tbNS1_7vsmem_tEEUlT_E_NS1_11comp_targetILNS1_3genE2ELNS1_11target_archE906ELNS1_3gpuE6ELNS1_3repE0EEENS1_30default_config_static_selectorELNS0_4arch9wavefront6targetE1EEEvSM_
	.p2align	8
	.type	_ZN7rocprim17ROCPRIM_400000_NS6detail17trampoline_kernelINS0_14default_configENS1_37merge_sort_block_sort_config_selectorIlNS0_10empty_typeEEEZNS1_21merge_sort_block_sortIS3_PlS8_PS5_S9_ZN2at6native12_GLOBAL__N_124unique_dim_cuda_templateIhEESt5tupleIJNSA_6TensorESF_SF_EERKSF_lbbbEUlllE_EE10hipError_tT0_T1_T2_T3_mRjT4_P12ihipStream_tbNS1_7vsmem_tEEUlT_E_NS1_11comp_targetILNS1_3genE2ELNS1_11target_archE906ELNS1_3gpuE6ELNS1_3repE0EEENS1_30default_config_static_selectorELNS0_4arch9wavefront6targetE1EEEvSM_,@function
_ZN7rocprim17ROCPRIM_400000_NS6detail17trampoline_kernelINS0_14default_configENS1_37merge_sort_block_sort_config_selectorIlNS0_10empty_typeEEEZNS1_21merge_sort_block_sortIS3_PlS8_PS5_S9_ZN2at6native12_GLOBAL__N_124unique_dim_cuda_templateIhEESt5tupleIJNSA_6TensorESF_SF_EERKSF_lbbbEUlllE_EE10hipError_tT0_T1_T2_T3_mRjT4_P12ihipStream_tbNS1_7vsmem_tEEUlT_E_NS1_11comp_targetILNS1_3genE2ELNS1_11target_archE906ELNS1_3gpuE6ELNS1_3repE0EEENS1_30default_config_static_selectorELNS0_4arch9wavefront6targetE1EEEvSM_: ; @_ZN7rocprim17ROCPRIM_400000_NS6detail17trampoline_kernelINS0_14default_configENS1_37merge_sort_block_sort_config_selectorIlNS0_10empty_typeEEEZNS1_21merge_sort_block_sortIS3_PlS8_PS5_S9_ZN2at6native12_GLOBAL__N_124unique_dim_cuda_templateIhEESt5tupleIJNSA_6TensorESF_SF_EERKSF_lbbbEUlllE_EE10hipError_tT0_T1_T2_T3_mRjT4_P12ihipStream_tbNS1_7vsmem_tEEUlT_E_NS1_11comp_targetILNS1_3genE2ELNS1_11target_archE906ELNS1_3gpuE6ELNS1_3repE0EEENS1_30default_config_static_selectorELNS0_4arch9wavefront6targetE1EEEvSM_
; %bb.0:
	.section	.rodata,"a",@progbits
	.p2align	6, 0x0
	.amdhsa_kernel _ZN7rocprim17ROCPRIM_400000_NS6detail17trampoline_kernelINS0_14default_configENS1_37merge_sort_block_sort_config_selectorIlNS0_10empty_typeEEEZNS1_21merge_sort_block_sortIS3_PlS8_PS5_S9_ZN2at6native12_GLOBAL__N_124unique_dim_cuda_templateIhEESt5tupleIJNSA_6TensorESF_SF_EERKSF_lbbbEUlllE_EE10hipError_tT0_T1_T2_T3_mRjT4_P12ihipStream_tbNS1_7vsmem_tEEUlT_E_NS1_11comp_targetILNS1_3genE2ELNS1_11target_archE906ELNS1_3gpuE6ELNS1_3repE0EEENS1_30default_config_static_selectorELNS0_4arch9wavefront6targetE1EEEvSM_
		.amdhsa_group_segment_fixed_size 0
		.amdhsa_private_segment_fixed_size 0
		.amdhsa_kernarg_size 72
		.amdhsa_user_sgpr_count 2
		.amdhsa_user_sgpr_dispatch_ptr 0
		.amdhsa_user_sgpr_queue_ptr 0
		.amdhsa_user_sgpr_kernarg_segment_ptr 1
		.amdhsa_user_sgpr_dispatch_id 0
		.amdhsa_user_sgpr_kernarg_preload_length 0
		.amdhsa_user_sgpr_kernarg_preload_offset 0
		.amdhsa_user_sgpr_private_segment_size 0
		.amdhsa_uses_dynamic_stack 0
		.amdhsa_enable_private_segment 0
		.amdhsa_system_sgpr_workgroup_id_x 1
		.amdhsa_system_sgpr_workgroup_id_y 0
		.amdhsa_system_sgpr_workgroup_id_z 0
		.amdhsa_system_sgpr_workgroup_info 0
		.amdhsa_system_vgpr_workitem_id 0
		.amdhsa_next_free_vgpr 1
		.amdhsa_next_free_sgpr 0
		.amdhsa_accum_offset 4
		.amdhsa_reserve_vcc 0
		.amdhsa_float_round_mode_32 0
		.amdhsa_float_round_mode_16_64 0
		.amdhsa_float_denorm_mode_32 3
		.amdhsa_float_denorm_mode_16_64 3
		.amdhsa_dx10_clamp 1
		.amdhsa_ieee_mode 1
		.amdhsa_fp16_overflow 0
		.amdhsa_tg_split 0
		.amdhsa_exception_fp_ieee_invalid_op 0
		.amdhsa_exception_fp_denorm_src 0
		.amdhsa_exception_fp_ieee_div_zero 0
		.amdhsa_exception_fp_ieee_overflow 0
		.amdhsa_exception_fp_ieee_underflow 0
		.amdhsa_exception_fp_ieee_inexact 0
		.amdhsa_exception_int_div_zero 0
	.end_amdhsa_kernel
	.section	.text._ZN7rocprim17ROCPRIM_400000_NS6detail17trampoline_kernelINS0_14default_configENS1_37merge_sort_block_sort_config_selectorIlNS0_10empty_typeEEEZNS1_21merge_sort_block_sortIS3_PlS8_PS5_S9_ZN2at6native12_GLOBAL__N_124unique_dim_cuda_templateIhEESt5tupleIJNSA_6TensorESF_SF_EERKSF_lbbbEUlllE_EE10hipError_tT0_T1_T2_T3_mRjT4_P12ihipStream_tbNS1_7vsmem_tEEUlT_E_NS1_11comp_targetILNS1_3genE2ELNS1_11target_archE906ELNS1_3gpuE6ELNS1_3repE0EEENS1_30default_config_static_selectorELNS0_4arch9wavefront6targetE1EEEvSM_,"axG",@progbits,_ZN7rocprim17ROCPRIM_400000_NS6detail17trampoline_kernelINS0_14default_configENS1_37merge_sort_block_sort_config_selectorIlNS0_10empty_typeEEEZNS1_21merge_sort_block_sortIS3_PlS8_PS5_S9_ZN2at6native12_GLOBAL__N_124unique_dim_cuda_templateIhEESt5tupleIJNSA_6TensorESF_SF_EERKSF_lbbbEUlllE_EE10hipError_tT0_T1_T2_T3_mRjT4_P12ihipStream_tbNS1_7vsmem_tEEUlT_E_NS1_11comp_targetILNS1_3genE2ELNS1_11target_archE906ELNS1_3gpuE6ELNS1_3repE0EEENS1_30default_config_static_selectorELNS0_4arch9wavefront6targetE1EEEvSM_,comdat
.Lfunc_end13:
	.size	_ZN7rocprim17ROCPRIM_400000_NS6detail17trampoline_kernelINS0_14default_configENS1_37merge_sort_block_sort_config_selectorIlNS0_10empty_typeEEEZNS1_21merge_sort_block_sortIS3_PlS8_PS5_S9_ZN2at6native12_GLOBAL__N_124unique_dim_cuda_templateIhEESt5tupleIJNSA_6TensorESF_SF_EERKSF_lbbbEUlllE_EE10hipError_tT0_T1_T2_T3_mRjT4_P12ihipStream_tbNS1_7vsmem_tEEUlT_E_NS1_11comp_targetILNS1_3genE2ELNS1_11target_archE906ELNS1_3gpuE6ELNS1_3repE0EEENS1_30default_config_static_selectorELNS0_4arch9wavefront6targetE1EEEvSM_, .Lfunc_end13-_ZN7rocprim17ROCPRIM_400000_NS6detail17trampoline_kernelINS0_14default_configENS1_37merge_sort_block_sort_config_selectorIlNS0_10empty_typeEEEZNS1_21merge_sort_block_sortIS3_PlS8_PS5_S9_ZN2at6native12_GLOBAL__N_124unique_dim_cuda_templateIhEESt5tupleIJNSA_6TensorESF_SF_EERKSF_lbbbEUlllE_EE10hipError_tT0_T1_T2_T3_mRjT4_P12ihipStream_tbNS1_7vsmem_tEEUlT_E_NS1_11comp_targetILNS1_3genE2ELNS1_11target_archE906ELNS1_3gpuE6ELNS1_3repE0EEENS1_30default_config_static_selectorELNS0_4arch9wavefront6targetE1EEEvSM_
                                        ; -- End function
	.set _ZN7rocprim17ROCPRIM_400000_NS6detail17trampoline_kernelINS0_14default_configENS1_37merge_sort_block_sort_config_selectorIlNS0_10empty_typeEEEZNS1_21merge_sort_block_sortIS3_PlS8_PS5_S9_ZN2at6native12_GLOBAL__N_124unique_dim_cuda_templateIhEESt5tupleIJNSA_6TensorESF_SF_EERKSF_lbbbEUlllE_EE10hipError_tT0_T1_T2_T3_mRjT4_P12ihipStream_tbNS1_7vsmem_tEEUlT_E_NS1_11comp_targetILNS1_3genE2ELNS1_11target_archE906ELNS1_3gpuE6ELNS1_3repE0EEENS1_30default_config_static_selectorELNS0_4arch9wavefront6targetE1EEEvSM_.num_vgpr, 0
	.set _ZN7rocprim17ROCPRIM_400000_NS6detail17trampoline_kernelINS0_14default_configENS1_37merge_sort_block_sort_config_selectorIlNS0_10empty_typeEEEZNS1_21merge_sort_block_sortIS3_PlS8_PS5_S9_ZN2at6native12_GLOBAL__N_124unique_dim_cuda_templateIhEESt5tupleIJNSA_6TensorESF_SF_EERKSF_lbbbEUlllE_EE10hipError_tT0_T1_T2_T3_mRjT4_P12ihipStream_tbNS1_7vsmem_tEEUlT_E_NS1_11comp_targetILNS1_3genE2ELNS1_11target_archE906ELNS1_3gpuE6ELNS1_3repE0EEENS1_30default_config_static_selectorELNS0_4arch9wavefront6targetE1EEEvSM_.num_agpr, 0
	.set _ZN7rocprim17ROCPRIM_400000_NS6detail17trampoline_kernelINS0_14default_configENS1_37merge_sort_block_sort_config_selectorIlNS0_10empty_typeEEEZNS1_21merge_sort_block_sortIS3_PlS8_PS5_S9_ZN2at6native12_GLOBAL__N_124unique_dim_cuda_templateIhEESt5tupleIJNSA_6TensorESF_SF_EERKSF_lbbbEUlllE_EE10hipError_tT0_T1_T2_T3_mRjT4_P12ihipStream_tbNS1_7vsmem_tEEUlT_E_NS1_11comp_targetILNS1_3genE2ELNS1_11target_archE906ELNS1_3gpuE6ELNS1_3repE0EEENS1_30default_config_static_selectorELNS0_4arch9wavefront6targetE1EEEvSM_.numbered_sgpr, 0
	.set _ZN7rocprim17ROCPRIM_400000_NS6detail17trampoline_kernelINS0_14default_configENS1_37merge_sort_block_sort_config_selectorIlNS0_10empty_typeEEEZNS1_21merge_sort_block_sortIS3_PlS8_PS5_S9_ZN2at6native12_GLOBAL__N_124unique_dim_cuda_templateIhEESt5tupleIJNSA_6TensorESF_SF_EERKSF_lbbbEUlllE_EE10hipError_tT0_T1_T2_T3_mRjT4_P12ihipStream_tbNS1_7vsmem_tEEUlT_E_NS1_11comp_targetILNS1_3genE2ELNS1_11target_archE906ELNS1_3gpuE6ELNS1_3repE0EEENS1_30default_config_static_selectorELNS0_4arch9wavefront6targetE1EEEvSM_.num_named_barrier, 0
	.set _ZN7rocprim17ROCPRIM_400000_NS6detail17trampoline_kernelINS0_14default_configENS1_37merge_sort_block_sort_config_selectorIlNS0_10empty_typeEEEZNS1_21merge_sort_block_sortIS3_PlS8_PS5_S9_ZN2at6native12_GLOBAL__N_124unique_dim_cuda_templateIhEESt5tupleIJNSA_6TensorESF_SF_EERKSF_lbbbEUlllE_EE10hipError_tT0_T1_T2_T3_mRjT4_P12ihipStream_tbNS1_7vsmem_tEEUlT_E_NS1_11comp_targetILNS1_3genE2ELNS1_11target_archE906ELNS1_3gpuE6ELNS1_3repE0EEENS1_30default_config_static_selectorELNS0_4arch9wavefront6targetE1EEEvSM_.private_seg_size, 0
	.set _ZN7rocprim17ROCPRIM_400000_NS6detail17trampoline_kernelINS0_14default_configENS1_37merge_sort_block_sort_config_selectorIlNS0_10empty_typeEEEZNS1_21merge_sort_block_sortIS3_PlS8_PS5_S9_ZN2at6native12_GLOBAL__N_124unique_dim_cuda_templateIhEESt5tupleIJNSA_6TensorESF_SF_EERKSF_lbbbEUlllE_EE10hipError_tT0_T1_T2_T3_mRjT4_P12ihipStream_tbNS1_7vsmem_tEEUlT_E_NS1_11comp_targetILNS1_3genE2ELNS1_11target_archE906ELNS1_3gpuE6ELNS1_3repE0EEENS1_30default_config_static_selectorELNS0_4arch9wavefront6targetE1EEEvSM_.uses_vcc, 0
	.set _ZN7rocprim17ROCPRIM_400000_NS6detail17trampoline_kernelINS0_14default_configENS1_37merge_sort_block_sort_config_selectorIlNS0_10empty_typeEEEZNS1_21merge_sort_block_sortIS3_PlS8_PS5_S9_ZN2at6native12_GLOBAL__N_124unique_dim_cuda_templateIhEESt5tupleIJNSA_6TensorESF_SF_EERKSF_lbbbEUlllE_EE10hipError_tT0_T1_T2_T3_mRjT4_P12ihipStream_tbNS1_7vsmem_tEEUlT_E_NS1_11comp_targetILNS1_3genE2ELNS1_11target_archE906ELNS1_3gpuE6ELNS1_3repE0EEENS1_30default_config_static_selectorELNS0_4arch9wavefront6targetE1EEEvSM_.uses_flat_scratch, 0
	.set _ZN7rocprim17ROCPRIM_400000_NS6detail17trampoline_kernelINS0_14default_configENS1_37merge_sort_block_sort_config_selectorIlNS0_10empty_typeEEEZNS1_21merge_sort_block_sortIS3_PlS8_PS5_S9_ZN2at6native12_GLOBAL__N_124unique_dim_cuda_templateIhEESt5tupleIJNSA_6TensorESF_SF_EERKSF_lbbbEUlllE_EE10hipError_tT0_T1_T2_T3_mRjT4_P12ihipStream_tbNS1_7vsmem_tEEUlT_E_NS1_11comp_targetILNS1_3genE2ELNS1_11target_archE906ELNS1_3gpuE6ELNS1_3repE0EEENS1_30default_config_static_selectorELNS0_4arch9wavefront6targetE1EEEvSM_.has_dyn_sized_stack, 0
	.set _ZN7rocprim17ROCPRIM_400000_NS6detail17trampoline_kernelINS0_14default_configENS1_37merge_sort_block_sort_config_selectorIlNS0_10empty_typeEEEZNS1_21merge_sort_block_sortIS3_PlS8_PS5_S9_ZN2at6native12_GLOBAL__N_124unique_dim_cuda_templateIhEESt5tupleIJNSA_6TensorESF_SF_EERKSF_lbbbEUlllE_EE10hipError_tT0_T1_T2_T3_mRjT4_P12ihipStream_tbNS1_7vsmem_tEEUlT_E_NS1_11comp_targetILNS1_3genE2ELNS1_11target_archE906ELNS1_3gpuE6ELNS1_3repE0EEENS1_30default_config_static_selectorELNS0_4arch9wavefront6targetE1EEEvSM_.has_recursion, 0
	.set _ZN7rocprim17ROCPRIM_400000_NS6detail17trampoline_kernelINS0_14default_configENS1_37merge_sort_block_sort_config_selectorIlNS0_10empty_typeEEEZNS1_21merge_sort_block_sortIS3_PlS8_PS5_S9_ZN2at6native12_GLOBAL__N_124unique_dim_cuda_templateIhEESt5tupleIJNSA_6TensorESF_SF_EERKSF_lbbbEUlllE_EE10hipError_tT0_T1_T2_T3_mRjT4_P12ihipStream_tbNS1_7vsmem_tEEUlT_E_NS1_11comp_targetILNS1_3genE2ELNS1_11target_archE906ELNS1_3gpuE6ELNS1_3repE0EEENS1_30default_config_static_selectorELNS0_4arch9wavefront6targetE1EEEvSM_.has_indirect_call, 0
	.section	.AMDGPU.csdata,"",@progbits
; Kernel info:
; codeLenInByte = 0
; TotalNumSgprs: 6
; NumVgprs: 0
; NumAgprs: 0
; TotalNumVgprs: 0
; ScratchSize: 0
; MemoryBound: 0
; FloatMode: 240
; IeeeMode: 1
; LDSByteSize: 0 bytes/workgroup (compile time only)
; SGPRBlocks: 0
; VGPRBlocks: 0
; NumSGPRsForWavesPerEU: 6
; NumVGPRsForWavesPerEU: 1
; AccumOffset: 4
; Occupancy: 8
; WaveLimiterHint : 0
; COMPUTE_PGM_RSRC2:SCRATCH_EN: 0
; COMPUTE_PGM_RSRC2:USER_SGPR: 2
; COMPUTE_PGM_RSRC2:TRAP_HANDLER: 0
; COMPUTE_PGM_RSRC2:TGID_X_EN: 1
; COMPUTE_PGM_RSRC2:TGID_Y_EN: 0
; COMPUTE_PGM_RSRC2:TGID_Z_EN: 0
; COMPUTE_PGM_RSRC2:TIDIG_COMP_CNT: 0
; COMPUTE_PGM_RSRC3_GFX90A:ACCUM_OFFSET: 0
; COMPUTE_PGM_RSRC3_GFX90A:TG_SPLIT: 0
	.section	.text._ZN7rocprim17ROCPRIM_400000_NS6detail17trampoline_kernelINS0_14default_configENS1_37merge_sort_block_sort_config_selectorIlNS0_10empty_typeEEEZNS1_21merge_sort_block_sortIS3_PlS8_PS5_S9_ZN2at6native12_GLOBAL__N_124unique_dim_cuda_templateIhEESt5tupleIJNSA_6TensorESF_SF_EERKSF_lbbbEUlllE_EE10hipError_tT0_T1_T2_T3_mRjT4_P12ihipStream_tbNS1_7vsmem_tEEUlT_E_NS1_11comp_targetILNS1_3genE10ELNS1_11target_archE1201ELNS1_3gpuE5ELNS1_3repE0EEENS1_30default_config_static_selectorELNS0_4arch9wavefront6targetE1EEEvSM_,"axG",@progbits,_ZN7rocprim17ROCPRIM_400000_NS6detail17trampoline_kernelINS0_14default_configENS1_37merge_sort_block_sort_config_selectorIlNS0_10empty_typeEEEZNS1_21merge_sort_block_sortIS3_PlS8_PS5_S9_ZN2at6native12_GLOBAL__N_124unique_dim_cuda_templateIhEESt5tupleIJNSA_6TensorESF_SF_EERKSF_lbbbEUlllE_EE10hipError_tT0_T1_T2_T3_mRjT4_P12ihipStream_tbNS1_7vsmem_tEEUlT_E_NS1_11comp_targetILNS1_3genE10ELNS1_11target_archE1201ELNS1_3gpuE5ELNS1_3repE0EEENS1_30default_config_static_selectorELNS0_4arch9wavefront6targetE1EEEvSM_,comdat
	.globl	_ZN7rocprim17ROCPRIM_400000_NS6detail17trampoline_kernelINS0_14default_configENS1_37merge_sort_block_sort_config_selectorIlNS0_10empty_typeEEEZNS1_21merge_sort_block_sortIS3_PlS8_PS5_S9_ZN2at6native12_GLOBAL__N_124unique_dim_cuda_templateIhEESt5tupleIJNSA_6TensorESF_SF_EERKSF_lbbbEUlllE_EE10hipError_tT0_T1_T2_T3_mRjT4_P12ihipStream_tbNS1_7vsmem_tEEUlT_E_NS1_11comp_targetILNS1_3genE10ELNS1_11target_archE1201ELNS1_3gpuE5ELNS1_3repE0EEENS1_30default_config_static_selectorELNS0_4arch9wavefront6targetE1EEEvSM_ ; -- Begin function _ZN7rocprim17ROCPRIM_400000_NS6detail17trampoline_kernelINS0_14default_configENS1_37merge_sort_block_sort_config_selectorIlNS0_10empty_typeEEEZNS1_21merge_sort_block_sortIS3_PlS8_PS5_S9_ZN2at6native12_GLOBAL__N_124unique_dim_cuda_templateIhEESt5tupleIJNSA_6TensorESF_SF_EERKSF_lbbbEUlllE_EE10hipError_tT0_T1_T2_T3_mRjT4_P12ihipStream_tbNS1_7vsmem_tEEUlT_E_NS1_11comp_targetILNS1_3genE10ELNS1_11target_archE1201ELNS1_3gpuE5ELNS1_3repE0EEENS1_30default_config_static_selectorELNS0_4arch9wavefront6targetE1EEEvSM_
	.p2align	8
	.type	_ZN7rocprim17ROCPRIM_400000_NS6detail17trampoline_kernelINS0_14default_configENS1_37merge_sort_block_sort_config_selectorIlNS0_10empty_typeEEEZNS1_21merge_sort_block_sortIS3_PlS8_PS5_S9_ZN2at6native12_GLOBAL__N_124unique_dim_cuda_templateIhEESt5tupleIJNSA_6TensorESF_SF_EERKSF_lbbbEUlllE_EE10hipError_tT0_T1_T2_T3_mRjT4_P12ihipStream_tbNS1_7vsmem_tEEUlT_E_NS1_11comp_targetILNS1_3genE10ELNS1_11target_archE1201ELNS1_3gpuE5ELNS1_3repE0EEENS1_30default_config_static_selectorELNS0_4arch9wavefront6targetE1EEEvSM_,@function
_ZN7rocprim17ROCPRIM_400000_NS6detail17trampoline_kernelINS0_14default_configENS1_37merge_sort_block_sort_config_selectorIlNS0_10empty_typeEEEZNS1_21merge_sort_block_sortIS3_PlS8_PS5_S9_ZN2at6native12_GLOBAL__N_124unique_dim_cuda_templateIhEESt5tupleIJNSA_6TensorESF_SF_EERKSF_lbbbEUlllE_EE10hipError_tT0_T1_T2_T3_mRjT4_P12ihipStream_tbNS1_7vsmem_tEEUlT_E_NS1_11comp_targetILNS1_3genE10ELNS1_11target_archE1201ELNS1_3gpuE5ELNS1_3repE0EEENS1_30default_config_static_selectorELNS0_4arch9wavefront6targetE1EEEvSM_: ; @_ZN7rocprim17ROCPRIM_400000_NS6detail17trampoline_kernelINS0_14default_configENS1_37merge_sort_block_sort_config_selectorIlNS0_10empty_typeEEEZNS1_21merge_sort_block_sortIS3_PlS8_PS5_S9_ZN2at6native12_GLOBAL__N_124unique_dim_cuda_templateIhEESt5tupleIJNSA_6TensorESF_SF_EERKSF_lbbbEUlllE_EE10hipError_tT0_T1_T2_T3_mRjT4_P12ihipStream_tbNS1_7vsmem_tEEUlT_E_NS1_11comp_targetILNS1_3genE10ELNS1_11target_archE1201ELNS1_3gpuE5ELNS1_3repE0EEENS1_30default_config_static_selectorELNS0_4arch9wavefront6targetE1EEEvSM_
; %bb.0:
	.section	.rodata,"a",@progbits
	.p2align	6, 0x0
	.amdhsa_kernel _ZN7rocprim17ROCPRIM_400000_NS6detail17trampoline_kernelINS0_14default_configENS1_37merge_sort_block_sort_config_selectorIlNS0_10empty_typeEEEZNS1_21merge_sort_block_sortIS3_PlS8_PS5_S9_ZN2at6native12_GLOBAL__N_124unique_dim_cuda_templateIhEESt5tupleIJNSA_6TensorESF_SF_EERKSF_lbbbEUlllE_EE10hipError_tT0_T1_T2_T3_mRjT4_P12ihipStream_tbNS1_7vsmem_tEEUlT_E_NS1_11comp_targetILNS1_3genE10ELNS1_11target_archE1201ELNS1_3gpuE5ELNS1_3repE0EEENS1_30default_config_static_selectorELNS0_4arch9wavefront6targetE1EEEvSM_
		.amdhsa_group_segment_fixed_size 0
		.amdhsa_private_segment_fixed_size 0
		.amdhsa_kernarg_size 72
		.amdhsa_user_sgpr_count 2
		.amdhsa_user_sgpr_dispatch_ptr 0
		.amdhsa_user_sgpr_queue_ptr 0
		.amdhsa_user_sgpr_kernarg_segment_ptr 1
		.amdhsa_user_sgpr_dispatch_id 0
		.amdhsa_user_sgpr_kernarg_preload_length 0
		.amdhsa_user_sgpr_kernarg_preload_offset 0
		.amdhsa_user_sgpr_private_segment_size 0
		.amdhsa_uses_dynamic_stack 0
		.amdhsa_enable_private_segment 0
		.amdhsa_system_sgpr_workgroup_id_x 1
		.amdhsa_system_sgpr_workgroup_id_y 0
		.amdhsa_system_sgpr_workgroup_id_z 0
		.amdhsa_system_sgpr_workgroup_info 0
		.amdhsa_system_vgpr_workitem_id 0
		.amdhsa_next_free_vgpr 1
		.amdhsa_next_free_sgpr 0
		.amdhsa_accum_offset 4
		.amdhsa_reserve_vcc 0
		.amdhsa_float_round_mode_32 0
		.amdhsa_float_round_mode_16_64 0
		.amdhsa_float_denorm_mode_32 3
		.amdhsa_float_denorm_mode_16_64 3
		.amdhsa_dx10_clamp 1
		.amdhsa_ieee_mode 1
		.amdhsa_fp16_overflow 0
		.amdhsa_tg_split 0
		.amdhsa_exception_fp_ieee_invalid_op 0
		.amdhsa_exception_fp_denorm_src 0
		.amdhsa_exception_fp_ieee_div_zero 0
		.amdhsa_exception_fp_ieee_overflow 0
		.amdhsa_exception_fp_ieee_underflow 0
		.amdhsa_exception_fp_ieee_inexact 0
		.amdhsa_exception_int_div_zero 0
	.end_amdhsa_kernel
	.section	.text._ZN7rocprim17ROCPRIM_400000_NS6detail17trampoline_kernelINS0_14default_configENS1_37merge_sort_block_sort_config_selectorIlNS0_10empty_typeEEEZNS1_21merge_sort_block_sortIS3_PlS8_PS5_S9_ZN2at6native12_GLOBAL__N_124unique_dim_cuda_templateIhEESt5tupleIJNSA_6TensorESF_SF_EERKSF_lbbbEUlllE_EE10hipError_tT0_T1_T2_T3_mRjT4_P12ihipStream_tbNS1_7vsmem_tEEUlT_E_NS1_11comp_targetILNS1_3genE10ELNS1_11target_archE1201ELNS1_3gpuE5ELNS1_3repE0EEENS1_30default_config_static_selectorELNS0_4arch9wavefront6targetE1EEEvSM_,"axG",@progbits,_ZN7rocprim17ROCPRIM_400000_NS6detail17trampoline_kernelINS0_14default_configENS1_37merge_sort_block_sort_config_selectorIlNS0_10empty_typeEEEZNS1_21merge_sort_block_sortIS3_PlS8_PS5_S9_ZN2at6native12_GLOBAL__N_124unique_dim_cuda_templateIhEESt5tupleIJNSA_6TensorESF_SF_EERKSF_lbbbEUlllE_EE10hipError_tT0_T1_T2_T3_mRjT4_P12ihipStream_tbNS1_7vsmem_tEEUlT_E_NS1_11comp_targetILNS1_3genE10ELNS1_11target_archE1201ELNS1_3gpuE5ELNS1_3repE0EEENS1_30default_config_static_selectorELNS0_4arch9wavefront6targetE1EEEvSM_,comdat
.Lfunc_end14:
	.size	_ZN7rocprim17ROCPRIM_400000_NS6detail17trampoline_kernelINS0_14default_configENS1_37merge_sort_block_sort_config_selectorIlNS0_10empty_typeEEEZNS1_21merge_sort_block_sortIS3_PlS8_PS5_S9_ZN2at6native12_GLOBAL__N_124unique_dim_cuda_templateIhEESt5tupleIJNSA_6TensorESF_SF_EERKSF_lbbbEUlllE_EE10hipError_tT0_T1_T2_T3_mRjT4_P12ihipStream_tbNS1_7vsmem_tEEUlT_E_NS1_11comp_targetILNS1_3genE10ELNS1_11target_archE1201ELNS1_3gpuE5ELNS1_3repE0EEENS1_30default_config_static_selectorELNS0_4arch9wavefront6targetE1EEEvSM_, .Lfunc_end14-_ZN7rocprim17ROCPRIM_400000_NS6detail17trampoline_kernelINS0_14default_configENS1_37merge_sort_block_sort_config_selectorIlNS0_10empty_typeEEEZNS1_21merge_sort_block_sortIS3_PlS8_PS5_S9_ZN2at6native12_GLOBAL__N_124unique_dim_cuda_templateIhEESt5tupleIJNSA_6TensorESF_SF_EERKSF_lbbbEUlllE_EE10hipError_tT0_T1_T2_T3_mRjT4_P12ihipStream_tbNS1_7vsmem_tEEUlT_E_NS1_11comp_targetILNS1_3genE10ELNS1_11target_archE1201ELNS1_3gpuE5ELNS1_3repE0EEENS1_30default_config_static_selectorELNS0_4arch9wavefront6targetE1EEEvSM_
                                        ; -- End function
	.set _ZN7rocprim17ROCPRIM_400000_NS6detail17trampoline_kernelINS0_14default_configENS1_37merge_sort_block_sort_config_selectorIlNS0_10empty_typeEEEZNS1_21merge_sort_block_sortIS3_PlS8_PS5_S9_ZN2at6native12_GLOBAL__N_124unique_dim_cuda_templateIhEESt5tupleIJNSA_6TensorESF_SF_EERKSF_lbbbEUlllE_EE10hipError_tT0_T1_T2_T3_mRjT4_P12ihipStream_tbNS1_7vsmem_tEEUlT_E_NS1_11comp_targetILNS1_3genE10ELNS1_11target_archE1201ELNS1_3gpuE5ELNS1_3repE0EEENS1_30default_config_static_selectorELNS0_4arch9wavefront6targetE1EEEvSM_.num_vgpr, 0
	.set _ZN7rocprim17ROCPRIM_400000_NS6detail17trampoline_kernelINS0_14default_configENS1_37merge_sort_block_sort_config_selectorIlNS0_10empty_typeEEEZNS1_21merge_sort_block_sortIS3_PlS8_PS5_S9_ZN2at6native12_GLOBAL__N_124unique_dim_cuda_templateIhEESt5tupleIJNSA_6TensorESF_SF_EERKSF_lbbbEUlllE_EE10hipError_tT0_T1_T2_T3_mRjT4_P12ihipStream_tbNS1_7vsmem_tEEUlT_E_NS1_11comp_targetILNS1_3genE10ELNS1_11target_archE1201ELNS1_3gpuE5ELNS1_3repE0EEENS1_30default_config_static_selectorELNS0_4arch9wavefront6targetE1EEEvSM_.num_agpr, 0
	.set _ZN7rocprim17ROCPRIM_400000_NS6detail17trampoline_kernelINS0_14default_configENS1_37merge_sort_block_sort_config_selectorIlNS0_10empty_typeEEEZNS1_21merge_sort_block_sortIS3_PlS8_PS5_S9_ZN2at6native12_GLOBAL__N_124unique_dim_cuda_templateIhEESt5tupleIJNSA_6TensorESF_SF_EERKSF_lbbbEUlllE_EE10hipError_tT0_T1_T2_T3_mRjT4_P12ihipStream_tbNS1_7vsmem_tEEUlT_E_NS1_11comp_targetILNS1_3genE10ELNS1_11target_archE1201ELNS1_3gpuE5ELNS1_3repE0EEENS1_30default_config_static_selectorELNS0_4arch9wavefront6targetE1EEEvSM_.numbered_sgpr, 0
	.set _ZN7rocprim17ROCPRIM_400000_NS6detail17trampoline_kernelINS0_14default_configENS1_37merge_sort_block_sort_config_selectorIlNS0_10empty_typeEEEZNS1_21merge_sort_block_sortIS3_PlS8_PS5_S9_ZN2at6native12_GLOBAL__N_124unique_dim_cuda_templateIhEESt5tupleIJNSA_6TensorESF_SF_EERKSF_lbbbEUlllE_EE10hipError_tT0_T1_T2_T3_mRjT4_P12ihipStream_tbNS1_7vsmem_tEEUlT_E_NS1_11comp_targetILNS1_3genE10ELNS1_11target_archE1201ELNS1_3gpuE5ELNS1_3repE0EEENS1_30default_config_static_selectorELNS0_4arch9wavefront6targetE1EEEvSM_.num_named_barrier, 0
	.set _ZN7rocprim17ROCPRIM_400000_NS6detail17trampoline_kernelINS0_14default_configENS1_37merge_sort_block_sort_config_selectorIlNS0_10empty_typeEEEZNS1_21merge_sort_block_sortIS3_PlS8_PS5_S9_ZN2at6native12_GLOBAL__N_124unique_dim_cuda_templateIhEESt5tupleIJNSA_6TensorESF_SF_EERKSF_lbbbEUlllE_EE10hipError_tT0_T1_T2_T3_mRjT4_P12ihipStream_tbNS1_7vsmem_tEEUlT_E_NS1_11comp_targetILNS1_3genE10ELNS1_11target_archE1201ELNS1_3gpuE5ELNS1_3repE0EEENS1_30default_config_static_selectorELNS0_4arch9wavefront6targetE1EEEvSM_.private_seg_size, 0
	.set _ZN7rocprim17ROCPRIM_400000_NS6detail17trampoline_kernelINS0_14default_configENS1_37merge_sort_block_sort_config_selectorIlNS0_10empty_typeEEEZNS1_21merge_sort_block_sortIS3_PlS8_PS5_S9_ZN2at6native12_GLOBAL__N_124unique_dim_cuda_templateIhEESt5tupleIJNSA_6TensorESF_SF_EERKSF_lbbbEUlllE_EE10hipError_tT0_T1_T2_T3_mRjT4_P12ihipStream_tbNS1_7vsmem_tEEUlT_E_NS1_11comp_targetILNS1_3genE10ELNS1_11target_archE1201ELNS1_3gpuE5ELNS1_3repE0EEENS1_30default_config_static_selectorELNS0_4arch9wavefront6targetE1EEEvSM_.uses_vcc, 0
	.set _ZN7rocprim17ROCPRIM_400000_NS6detail17trampoline_kernelINS0_14default_configENS1_37merge_sort_block_sort_config_selectorIlNS0_10empty_typeEEEZNS1_21merge_sort_block_sortIS3_PlS8_PS5_S9_ZN2at6native12_GLOBAL__N_124unique_dim_cuda_templateIhEESt5tupleIJNSA_6TensorESF_SF_EERKSF_lbbbEUlllE_EE10hipError_tT0_T1_T2_T3_mRjT4_P12ihipStream_tbNS1_7vsmem_tEEUlT_E_NS1_11comp_targetILNS1_3genE10ELNS1_11target_archE1201ELNS1_3gpuE5ELNS1_3repE0EEENS1_30default_config_static_selectorELNS0_4arch9wavefront6targetE1EEEvSM_.uses_flat_scratch, 0
	.set _ZN7rocprim17ROCPRIM_400000_NS6detail17trampoline_kernelINS0_14default_configENS1_37merge_sort_block_sort_config_selectorIlNS0_10empty_typeEEEZNS1_21merge_sort_block_sortIS3_PlS8_PS5_S9_ZN2at6native12_GLOBAL__N_124unique_dim_cuda_templateIhEESt5tupleIJNSA_6TensorESF_SF_EERKSF_lbbbEUlllE_EE10hipError_tT0_T1_T2_T3_mRjT4_P12ihipStream_tbNS1_7vsmem_tEEUlT_E_NS1_11comp_targetILNS1_3genE10ELNS1_11target_archE1201ELNS1_3gpuE5ELNS1_3repE0EEENS1_30default_config_static_selectorELNS0_4arch9wavefront6targetE1EEEvSM_.has_dyn_sized_stack, 0
	.set _ZN7rocprim17ROCPRIM_400000_NS6detail17trampoline_kernelINS0_14default_configENS1_37merge_sort_block_sort_config_selectorIlNS0_10empty_typeEEEZNS1_21merge_sort_block_sortIS3_PlS8_PS5_S9_ZN2at6native12_GLOBAL__N_124unique_dim_cuda_templateIhEESt5tupleIJNSA_6TensorESF_SF_EERKSF_lbbbEUlllE_EE10hipError_tT0_T1_T2_T3_mRjT4_P12ihipStream_tbNS1_7vsmem_tEEUlT_E_NS1_11comp_targetILNS1_3genE10ELNS1_11target_archE1201ELNS1_3gpuE5ELNS1_3repE0EEENS1_30default_config_static_selectorELNS0_4arch9wavefront6targetE1EEEvSM_.has_recursion, 0
	.set _ZN7rocprim17ROCPRIM_400000_NS6detail17trampoline_kernelINS0_14default_configENS1_37merge_sort_block_sort_config_selectorIlNS0_10empty_typeEEEZNS1_21merge_sort_block_sortIS3_PlS8_PS5_S9_ZN2at6native12_GLOBAL__N_124unique_dim_cuda_templateIhEESt5tupleIJNSA_6TensorESF_SF_EERKSF_lbbbEUlllE_EE10hipError_tT0_T1_T2_T3_mRjT4_P12ihipStream_tbNS1_7vsmem_tEEUlT_E_NS1_11comp_targetILNS1_3genE10ELNS1_11target_archE1201ELNS1_3gpuE5ELNS1_3repE0EEENS1_30default_config_static_selectorELNS0_4arch9wavefront6targetE1EEEvSM_.has_indirect_call, 0
	.section	.AMDGPU.csdata,"",@progbits
; Kernel info:
; codeLenInByte = 0
; TotalNumSgprs: 6
; NumVgprs: 0
; NumAgprs: 0
; TotalNumVgprs: 0
; ScratchSize: 0
; MemoryBound: 0
; FloatMode: 240
; IeeeMode: 1
; LDSByteSize: 0 bytes/workgroup (compile time only)
; SGPRBlocks: 0
; VGPRBlocks: 0
; NumSGPRsForWavesPerEU: 6
; NumVGPRsForWavesPerEU: 1
; AccumOffset: 4
; Occupancy: 8
; WaveLimiterHint : 0
; COMPUTE_PGM_RSRC2:SCRATCH_EN: 0
; COMPUTE_PGM_RSRC2:USER_SGPR: 2
; COMPUTE_PGM_RSRC2:TRAP_HANDLER: 0
; COMPUTE_PGM_RSRC2:TGID_X_EN: 1
; COMPUTE_PGM_RSRC2:TGID_Y_EN: 0
; COMPUTE_PGM_RSRC2:TGID_Z_EN: 0
; COMPUTE_PGM_RSRC2:TIDIG_COMP_CNT: 0
; COMPUTE_PGM_RSRC3_GFX90A:ACCUM_OFFSET: 0
; COMPUTE_PGM_RSRC3_GFX90A:TG_SPLIT: 0
	.section	.text._ZN7rocprim17ROCPRIM_400000_NS6detail17trampoline_kernelINS0_14default_configENS1_37merge_sort_block_sort_config_selectorIlNS0_10empty_typeEEEZNS1_21merge_sort_block_sortIS3_PlS8_PS5_S9_ZN2at6native12_GLOBAL__N_124unique_dim_cuda_templateIhEESt5tupleIJNSA_6TensorESF_SF_EERKSF_lbbbEUlllE_EE10hipError_tT0_T1_T2_T3_mRjT4_P12ihipStream_tbNS1_7vsmem_tEEUlT_E_NS1_11comp_targetILNS1_3genE10ELNS1_11target_archE1200ELNS1_3gpuE4ELNS1_3repE0EEENS1_30default_config_static_selectorELNS0_4arch9wavefront6targetE1EEEvSM_,"axG",@progbits,_ZN7rocprim17ROCPRIM_400000_NS6detail17trampoline_kernelINS0_14default_configENS1_37merge_sort_block_sort_config_selectorIlNS0_10empty_typeEEEZNS1_21merge_sort_block_sortIS3_PlS8_PS5_S9_ZN2at6native12_GLOBAL__N_124unique_dim_cuda_templateIhEESt5tupleIJNSA_6TensorESF_SF_EERKSF_lbbbEUlllE_EE10hipError_tT0_T1_T2_T3_mRjT4_P12ihipStream_tbNS1_7vsmem_tEEUlT_E_NS1_11comp_targetILNS1_3genE10ELNS1_11target_archE1200ELNS1_3gpuE4ELNS1_3repE0EEENS1_30default_config_static_selectorELNS0_4arch9wavefront6targetE1EEEvSM_,comdat
	.globl	_ZN7rocprim17ROCPRIM_400000_NS6detail17trampoline_kernelINS0_14default_configENS1_37merge_sort_block_sort_config_selectorIlNS0_10empty_typeEEEZNS1_21merge_sort_block_sortIS3_PlS8_PS5_S9_ZN2at6native12_GLOBAL__N_124unique_dim_cuda_templateIhEESt5tupleIJNSA_6TensorESF_SF_EERKSF_lbbbEUlllE_EE10hipError_tT0_T1_T2_T3_mRjT4_P12ihipStream_tbNS1_7vsmem_tEEUlT_E_NS1_11comp_targetILNS1_3genE10ELNS1_11target_archE1200ELNS1_3gpuE4ELNS1_3repE0EEENS1_30default_config_static_selectorELNS0_4arch9wavefront6targetE1EEEvSM_ ; -- Begin function _ZN7rocprim17ROCPRIM_400000_NS6detail17trampoline_kernelINS0_14default_configENS1_37merge_sort_block_sort_config_selectorIlNS0_10empty_typeEEEZNS1_21merge_sort_block_sortIS3_PlS8_PS5_S9_ZN2at6native12_GLOBAL__N_124unique_dim_cuda_templateIhEESt5tupleIJNSA_6TensorESF_SF_EERKSF_lbbbEUlllE_EE10hipError_tT0_T1_T2_T3_mRjT4_P12ihipStream_tbNS1_7vsmem_tEEUlT_E_NS1_11comp_targetILNS1_3genE10ELNS1_11target_archE1200ELNS1_3gpuE4ELNS1_3repE0EEENS1_30default_config_static_selectorELNS0_4arch9wavefront6targetE1EEEvSM_
	.p2align	8
	.type	_ZN7rocprim17ROCPRIM_400000_NS6detail17trampoline_kernelINS0_14default_configENS1_37merge_sort_block_sort_config_selectorIlNS0_10empty_typeEEEZNS1_21merge_sort_block_sortIS3_PlS8_PS5_S9_ZN2at6native12_GLOBAL__N_124unique_dim_cuda_templateIhEESt5tupleIJNSA_6TensorESF_SF_EERKSF_lbbbEUlllE_EE10hipError_tT0_T1_T2_T3_mRjT4_P12ihipStream_tbNS1_7vsmem_tEEUlT_E_NS1_11comp_targetILNS1_3genE10ELNS1_11target_archE1200ELNS1_3gpuE4ELNS1_3repE0EEENS1_30default_config_static_selectorELNS0_4arch9wavefront6targetE1EEEvSM_,@function
_ZN7rocprim17ROCPRIM_400000_NS6detail17trampoline_kernelINS0_14default_configENS1_37merge_sort_block_sort_config_selectorIlNS0_10empty_typeEEEZNS1_21merge_sort_block_sortIS3_PlS8_PS5_S9_ZN2at6native12_GLOBAL__N_124unique_dim_cuda_templateIhEESt5tupleIJNSA_6TensorESF_SF_EERKSF_lbbbEUlllE_EE10hipError_tT0_T1_T2_T3_mRjT4_P12ihipStream_tbNS1_7vsmem_tEEUlT_E_NS1_11comp_targetILNS1_3genE10ELNS1_11target_archE1200ELNS1_3gpuE4ELNS1_3repE0EEENS1_30default_config_static_selectorELNS0_4arch9wavefront6targetE1EEEvSM_: ; @_ZN7rocprim17ROCPRIM_400000_NS6detail17trampoline_kernelINS0_14default_configENS1_37merge_sort_block_sort_config_selectorIlNS0_10empty_typeEEEZNS1_21merge_sort_block_sortIS3_PlS8_PS5_S9_ZN2at6native12_GLOBAL__N_124unique_dim_cuda_templateIhEESt5tupleIJNSA_6TensorESF_SF_EERKSF_lbbbEUlllE_EE10hipError_tT0_T1_T2_T3_mRjT4_P12ihipStream_tbNS1_7vsmem_tEEUlT_E_NS1_11comp_targetILNS1_3genE10ELNS1_11target_archE1200ELNS1_3gpuE4ELNS1_3repE0EEENS1_30default_config_static_selectorELNS0_4arch9wavefront6targetE1EEEvSM_
; %bb.0:
	.section	.rodata,"a",@progbits
	.p2align	6, 0x0
	.amdhsa_kernel _ZN7rocprim17ROCPRIM_400000_NS6detail17trampoline_kernelINS0_14default_configENS1_37merge_sort_block_sort_config_selectorIlNS0_10empty_typeEEEZNS1_21merge_sort_block_sortIS3_PlS8_PS5_S9_ZN2at6native12_GLOBAL__N_124unique_dim_cuda_templateIhEESt5tupleIJNSA_6TensorESF_SF_EERKSF_lbbbEUlllE_EE10hipError_tT0_T1_T2_T3_mRjT4_P12ihipStream_tbNS1_7vsmem_tEEUlT_E_NS1_11comp_targetILNS1_3genE10ELNS1_11target_archE1200ELNS1_3gpuE4ELNS1_3repE0EEENS1_30default_config_static_selectorELNS0_4arch9wavefront6targetE1EEEvSM_
		.amdhsa_group_segment_fixed_size 0
		.amdhsa_private_segment_fixed_size 0
		.amdhsa_kernarg_size 72
		.amdhsa_user_sgpr_count 2
		.amdhsa_user_sgpr_dispatch_ptr 0
		.amdhsa_user_sgpr_queue_ptr 0
		.amdhsa_user_sgpr_kernarg_segment_ptr 1
		.amdhsa_user_sgpr_dispatch_id 0
		.amdhsa_user_sgpr_kernarg_preload_length 0
		.amdhsa_user_sgpr_kernarg_preload_offset 0
		.amdhsa_user_sgpr_private_segment_size 0
		.amdhsa_uses_dynamic_stack 0
		.amdhsa_enable_private_segment 0
		.amdhsa_system_sgpr_workgroup_id_x 1
		.amdhsa_system_sgpr_workgroup_id_y 0
		.amdhsa_system_sgpr_workgroup_id_z 0
		.amdhsa_system_sgpr_workgroup_info 0
		.amdhsa_system_vgpr_workitem_id 0
		.amdhsa_next_free_vgpr 1
		.amdhsa_next_free_sgpr 0
		.amdhsa_accum_offset 4
		.amdhsa_reserve_vcc 0
		.amdhsa_float_round_mode_32 0
		.amdhsa_float_round_mode_16_64 0
		.amdhsa_float_denorm_mode_32 3
		.amdhsa_float_denorm_mode_16_64 3
		.amdhsa_dx10_clamp 1
		.amdhsa_ieee_mode 1
		.amdhsa_fp16_overflow 0
		.amdhsa_tg_split 0
		.amdhsa_exception_fp_ieee_invalid_op 0
		.amdhsa_exception_fp_denorm_src 0
		.amdhsa_exception_fp_ieee_div_zero 0
		.amdhsa_exception_fp_ieee_overflow 0
		.amdhsa_exception_fp_ieee_underflow 0
		.amdhsa_exception_fp_ieee_inexact 0
		.amdhsa_exception_int_div_zero 0
	.end_amdhsa_kernel
	.section	.text._ZN7rocprim17ROCPRIM_400000_NS6detail17trampoline_kernelINS0_14default_configENS1_37merge_sort_block_sort_config_selectorIlNS0_10empty_typeEEEZNS1_21merge_sort_block_sortIS3_PlS8_PS5_S9_ZN2at6native12_GLOBAL__N_124unique_dim_cuda_templateIhEESt5tupleIJNSA_6TensorESF_SF_EERKSF_lbbbEUlllE_EE10hipError_tT0_T1_T2_T3_mRjT4_P12ihipStream_tbNS1_7vsmem_tEEUlT_E_NS1_11comp_targetILNS1_3genE10ELNS1_11target_archE1200ELNS1_3gpuE4ELNS1_3repE0EEENS1_30default_config_static_selectorELNS0_4arch9wavefront6targetE1EEEvSM_,"axG",@progbits,_ZN7rocprim17ROCPRIM_400000_NS6detail17trampoline_kernelINS0_14default_configENS1_37merge_sort_block_sort_config_selectorIlNS0_10empty_typeEEEZNS1_21merge_sort_block_sortIS3_PlS8_PS5_S9_ZN2at6native12_GLOBAL__N_124unique_dim_cuda_templateIhEESt5tupleIJNSA_6TensorESF_SF_EERKSF_lbbbEUlllE_EE10hipError_tT0_T1_T2_T3_mRjT4_P12ihipStream_tbNS1_7vsmem_tEEUlT_E_NS1_11comp_targetILNS1_3genE10ELNS1_11target_archE1200ELNS1_3gpuE4ELNS1_3repE0EEENS1_30default_config_static_selectorELNS0_4arch9wavefront6targetE1EEEvSM_,comdat
.Lfunc_end15:
	.size	_ZN7rocprim17ROCPRIM_400000_NS6detail17trampoline_kernelINS0_14default_configENS1_37merge_sort_block_sort_config_selectorIlNS0_10empty_typeEEEZNS1_21merge_sort_block_sortIS3_PlS8_PS5_S9_ZN2at6native12_GLOBAL__N_124unique_dim_cuda_templateIhEESt5tupleIJNSA_6TensorESF_SF_EERKSF_lbbbEUlllE_EE10hipError_tT0_T1_T2_T3_mRjT4_P12ihipStream_tbNS1_7vsmem_tEEUlT_E_NS1_11comp_targetILNS1_3genE10ELNS1_11target_archE1200ELNS1_3gpuE4ELNS1_3repE0EEENS1_30default_config_static_selectorELNS0_4arch9wavefront6targetE1EEEvSM_, .Lfunc_end15-_ZN7rocprim17ROCPRIM_400000_NS6detail17trampoline_kernelINS0_14default_configENS1_37merge_sort_block_sort_config_selectorIlNS0_10empty_typeEEEZNS1_21merge_sort_block_sortIS3_PlS8_PS5_S9_ZN2at6native12_GLOBAL__N_124unique_dim_cuda_templateIhEESt5tupleIJNSA_6TensorESF_SF_EERKSF_lbbbEUlllE_EE10hipError_tT0_T1_T2_T3_mRjT4_P12ihipStream_tbNS1_7vsmem_tEEUlT_E_NS1_11comp_targetILNS1_3genE10ELNS1_11target_archE1200ELNS1_3gpuE4ELNS1_3repE0EEENS1_30default_config_static_selectorELNS0_4arch9wavefront6targetE1EEEvSM_
                                        ; -- End function
	.set _ZN7rocprim17ROCPRIM_400000_NS6detail17trampoline_kernelINS0_14default_configENS1_37merge_sort_block_sort_config_selectorIlNS0_10empty_typeEEEZNS1_21merge_sort_block_sortIS3_PlS8_PS5_S9_ZN2at6native12_GLOBAL__N_124unique_dim_cuda_templateIhEESt5tupleIJNSA_6TensorESF_SF_EERKSF_lbbbEUlllE_EE10hipError_tT0_T1_T2_T3_mRjT4_P12ihipStream_tbNS1_7vsmem_tEEUlT_E_NS1_11comp_targetILNS1_3genE10ELNS1_11target_archE1200ELNS1_3gpuE4ELNS1_3repE0EEENS1_30default_config_static_selectorELNS0_4arch9wavefront6targetE1EEEvSM_.num_vgpr, 0
	.set _ZN7rocprim17ROCPRIM_400000_NS6detail17trampoline_kernelINS0_14default_configENS1_37merge_sort_block_sort_config_selectorIlNS0_10empty_typeEEEZNS1_21merge_sort_block_sortIS3_PlS8_PS5_S9_ZN2at6native12_GLOBAL__N_124unique_dim_cuda_templateIhEESt5tupleIJNSA_6TensorESF_SF_EERKSF_lbbbEUlllE_EE10hipError_tT0_T1_T2_T3_mRjT4_P12ihipStream_tbNS1_7vsmem_tEEUlT_E_NS1_11comp_targetILNS1_3genE10ELNS1_11target_archE1200ELNS1_3gpuE4ELNS1_3repE0EEENS1_30default_config_static_selectorELNS0_4arch9wavefront6targetE1EEEvSM_.num_agpr, 0
	.set _ZN7rocprim17ROCPRIM_400000_NS6detail17trampoline_kernelINS0_14default_configENS1_37merge_sort_block_sort_config_selectorIlNS0_10empty_typeEEEZNS1_21merge_sort_block_sortIS3_PlS8_PS5_S9_ZN2at6native12_GLOBAL__N_124unique_dim_cuda_templateIhEESt5tupleIJNSA_6TensorESF_SF_EERKSF_lbbbEUlllE_EE10hipError_tT0_T1_T2_T3_mRjT4_P12ihipStream_tbNS1_7vsmem_tEEUlT_E_NS1_11comp_targetILNS1_3genE10ELNS1_11target_archE1200ELNS1_3gpuE4ELNS1_3repE0EEENS1_30default_config_static_selectorELNS0_4arch9wavefront6targetE1EEEvSM_.numbered_sgpr, 0
	.set _ZN7rocprim17ROCPRIM_400000_NS6detail17trampoline_kernelINS0_14default_configENS1_37merge_sort_block_sort_config_selectorIlNS0_10empty_typeEEEZNS1_21merge_sort_block_sortIS3_PlS8_PS5_S9_ZN2at6native12_GLOBAL__N_124unique_dim_cuda_templateIhEESt5tupleIJNSA_6TensorESF_SF_EERKSF_lbbbEUlllE_EE10hipError_tT0_T1_T2_T3_mRjT4_P12ihipStream_tbNS1_7vsmem_tEEUlT_E_NS1_11comp_targetILNS1_3genE10ELNS1_11target_archE1200ELNS1_3gpuE4ELNS1_3repE0EEENS1_30default_config_static_selectorELNS0_4arch9wavefront6targetE1EEEvSM_.num_named_barrier, 0
	.set _ZN7rocprim17ROCPRIM_400000_NS6detail17trampoline_kernelINS0_14default_configENS1_37merge_sort_block_sort_config_selectorIlNS0_10empty_typeEEEZNS1_21merge_sort_block_sortIS3_PlS8_PS5_S9_ZN2at6native12_GLOBAL__N_124unique_dim_cuda_templateIhEESt5tupleIJNSA_6TensorESF_SF_EERKSF_lbbbEUlllE_EE10hipError_tT0_T1_T2_T3_mRjT4_P12ihipStream_tbNS1_7vsmem_tEEUlT_E_NS1_11comp_targetILNS1_3genE10ELNS1_11target_archE1200ELNS1_3gpuE4ELNS1_3repE0EEENS1_30default_config_static_selectorELNS0_4arch9wavefront6targetE1EEEvSM_.private_seg_size, 0
	.set _ZN7rocprim17ROCPRIM_400000_NS6detail17trampoline_kernelINS0_14default_configENS1_37merge_sort_block_sort_config_selectorIlNS0_10empty_typeEEEZNS1_21merge_sort_block_sortIS3_PlS8_PS5_S9_ZN2at6native12_GLOBAL__N_124unique_dim_cuda_templateIhEESt5tupleIJNSA_6TensorESF_SF_EERKSF_lbbbEUlllE_EE10hipError_tT0_T1_T2_T3_mRjT4_P12ihipStream_tbNS1_7vsmem_tEEUlT_E_NS1_11comp_targetILNS1_3genE10ELNS1_11target_archE1200ELNS1_3gpuE4ELNS1_3repE0EEENS1_30default_config_static_selectorELNS0_4arch9wavefront6targetE1EEEvSM_.uses_vcc, 0
	.set _ZN7rocprim17ROCPRIM_400000_NS6detail17trampoline_kernelINS0_14default_configENS1_37merge_sort_block_sort_config_selectorIlNS0_10empty_typeEEEZNS1_21merge_sort_block_sortIS3_PlS8_PS5_S9_ZN2at6native12_GLOBAL__N_124unique_dim_cuda_templateIhEESt5tupleIJNSA_6TensorESF_SF_EERKSF_lbbbEUlllE_EE10hipError_tT0_T1_T2_T3_mRjT4_P12ihipStream_tbNS1_7vsmem_tEEUlT_E_NS1_11comp_targetILNS1_3genE10ELNS1_11target_archE1200ELNS1_3gpuE4ELNS1_3repE0EEENS1_30default_config_static_selectorELNS0_4arch9wavefront6targetE1EEEvSM_.uses_flat_scratch, 0
	.set _ZN7rocprim17ROCPRIM_400000_NS6detail17trampoline_kernelINS0_14default_configENS1_37merge_sort_block_sort_config_selectorIlNS0_10empty_typeEEEZNS1_21merge_sort_block_sortIS3_PlS8_PS5_S9_ZN2at6native12_GLOBAL__N_124unique_dim_cuda_templateIhEESt5tupleIJNSA_6TensorESF_SF_EERKSF_lbbbEUlllE_EE10hipError_tT0_T1_T2_T3_mRjT4_P12ihipStream_tbNS1_7vsmem_tEEUlT_E_NS1_11comp_targetILNS1_3genE10ELNS1_11target_archE1200ELNS1_3gpuE4ELNS1_3repE0EEENS1_30default_config_static_selectorELNS0_4arch9wavefront6targetE1EEEvSM_.has_dyn_sized_stack, 0
	.set _ZN7rocprim17ROCPRIM_400000_NS6detail17trampoline_kernelINS0_14default_configENS1_37merge_sort_block_sort_config_selectorIlNS0_10empty_typeEEEZNS1_21merge_sort_block_sortIS3_PlS8_PS5_S9_ZN2at6native12_GLOBAL__N_124unique_dim_cuda_templateIhEESt5tupleIJNSA_6TensorESF_SF_EERKSF_lbbbEUlllE_EE10hipError_tT0_T1_T2_T3_mRjT4_P12ihipStream_tbNS1_7vsmem_tEEUlT_E_NS1_11comp_targetILNS1_3genE10ELNS1_11target_archE1200ELNS1_3gpuE4ELNS1_3repE0EEENS1_30default_config_static_selectorELNS0_4arch9wavefront6targetE1EEEvSM_.has_recursion, 0
	.set _ZN7rocprim17ROCPRIM_400000_NS6detail17trampoline_kernelINS0_14default_configENS1_37merge_sort_block_sort_config_selectorIlNS0_10empty_typeEEEZNS1_21merge_sort_block_sortIS3_PlS8_PS5_S9_ZN2at6native12_GLOBAL__N_124unique_dim_cuda_templateIhEESt5tupleIJNSA_6TensorESF_SF_EERKSF_lbbbEUlllE_EE10hipError_tT0_T1_T2_T3_mRjT4_P12ihipStream_tbNS1_7vsmem_tEEUlT_E_NS1_11comp_targetILNS1_3genE10ELNS1_11target_archE1200ELNS1_3gpuE4ELNS1_3repE0EEENS1_30default_config_static_selectorELNS0_4arch9wavefront6targetE1EEEvSM_.has_indirect_call, 0
	.section	.AMDGPU.csdata,"",@progbits
; Kernel info:
; codeLenInByte = 0
; TotalNumSgprs: 6
; NumVgprs: 0
; NumAgprs: 0
; TotalNumVgprs: 0
; ScratchSize: 0
; MemoryBound: 0
; FloatMode: 240
; IeeeMode: 1
; LDSByteSize: 0 bytes/workgroup (compile time only)
; SGPRBlocks: 0
; VGPRBlocks: 0
; NumSGPRsForWavesPerEU: 6
; NumVGPRsForWavesPerEU: 1
; AccumOffset: 4
; Occupancy: 8
; WaveLimiterHint : 0
; COMPUTE_PGM_RSRC2:SCRATCH_EN: 0
; COMPUTE_PGM_RSRC2:USER_SGPR: 2
; COMPUTE_PGM_RSRC2:TRAP_HANDLER: 0
; COMPUTE_PGM_RSRC2:TGID_X_EN: 1
; COMPUTE_PGM_RSRC2:TGID_Y_EN: 0
; COMPUTE_PGM_RSRC2:TGID_Z_EN: 0
; COMPUTE_PGM_RSRC2:TIDIG_COMP_CNT: 0
; COMPUTE_PGM_RSRC3_GFX90A:ACCUM_OFFSET: 0
; COMPUTE_PGM_RSRC3_GFX90A:TG_SPLIT: 0
	.section	.text._ZN7rocprim17ROCPRIM_400000_NS6detail17trampoline_kernelINS0_14default_configENS1_37merge_sort_block_sort_config_selectorIlNS0_10empty_typeEEEZNS1_21merge_sort_block_sortIS3_PlS8_PS5_S9_ZN2at6native12_GLOBAL__N_124unique_dim_cuda_templateIhEESt5tupleIJNSA_6TensorESF_SF_EERKSF_lbbbEUlllE_EE10hipError_tT0_T1_T2_T3_mRjT4_P12ihipStream_tbNS1_7vsmem_tEEUlT_E_NS1_11comp_targetILNS1_3genE9ELNS1_11target_archE1100ELNS1_3gpuE3ELNS1_3repE0EEENS1_30default_config_static_selectorELNS0_4arch9wavefront6targetE1EEEvSM_,"axG",@progbits,_ZN7rocprim17ROCPRIM_400000_NS6detail17trampoline_kernelINS0_14default_configENS1_37merge_sort_block_sort_config_selectorIlNS0_10empty_typeEEEZNS1_21merge_sort_block_sortIS3_PlS8_PS5_S9_ZN2at6native12_GLOBAL__N_124unique_dim_cuda_templateIhEESt5tupleIJNSA_6TensorESF_SF_EERKSF_lbbbEUlllE_EE10hipError_tT0_T1_T2_T3_mRjT4_P12ihipStream_tbNS1_7vsmem_tEEUlT_E_NS1_11comp_targetILNS1_3genE9ELNS1_11target_archE1100ELNS1_3gpuE3ELNS1_3repE0EEENS1_30default_config_static_selectorELNS0_4arch9wavefront6targetE1EEEvSM_,comdat
	.globl	_ZN7rocprim17ROCPRIM_400000_NS6detail17trampoline_kernelINS0_14default_configENS1_37merge_sort_block_sort_config_selectorIlNS0_10empty_typeEEEZNS1_21merge_sort_block_sortIS3_PlS8_PS5_S9_ZN2at6native12_GLOBAL__N_124unique_dim_cuda_templateIhEESt5tupleIJNSA_6TensorESF_SF_EERKSF_lbbbEUlllE_EE10hipError_tT0_T1_T2_T3_mRjT4_P12ihipStream_tbNS1_7vsmem_tEEUlT_E_NS1_11comp_targetILNS1_3genE9ELNS1_11target_archE1100ELNS1_3gpuE3ELNS1_3repE0EEENS1_30default_config_static_selectorELNS0_4arch9wavefront6targetE1EEEvSM_ ; -- Begin function _ZN7rocprim17ROCPRIM_400000_NS6detail17trampoline_kernelINS0_14default_configENS1_37merge_sort_block_sort_config_selectorIlNS0_10empty_typeEEEZNS1_21merge_sort_block_sortIS3_PlS8_PS5_S9_ZN2at6native12_GLOBAL__N_124unique_dim_cuda_templateIhEESt5tupleIJNSA_6TensorESF_SF_EERKSF_lbbbEUlllE_EE10hipError_tT0_T1_T2_T3_mRjT4_P12ihipStream_tbNS1_7vsmem_tEEUlT_E_NS1_11comp_targetILNS1_3genE9ELNS1_11target_archE1100ELNS1_3gpuE3ELNS1_3repE0EEENS1_30default_config_static_selectorELNS0_4arch9wavefront6targetE1EEEvSM_
	.p2align	8
	.type	_ZN7rocprim17ROCPRIM_400000_NS6detail17trampoline_kernelINS0_14default_configENS1_37merge_sort_block_sort_config_selectorIlNS0_10empty_typeEEEZNS1_21merge_sort_block_sortIS3_PlS8_PS5_S9_ZN2at6native12_GLOBAL__N_124unique_dim_cuda_templateIhEESt5tupleIJNSA_6TensorESF_SF_EERKSF_lbbbEUlllE_EE10hipError_tT0_T1_T2_T3_mRjT4_P12ihipStream_tbNS1_7vsmem_tEEUlT_E_NS1_11comp_targetILNS1_3genE9ELNS1_11target_archE1100ELNS1_3gpuE3ELNS1_3repE0EEENS1_30default_config_static_selectorELNS0_4arch9wavefront6targetE1EEEvSM_,@function
_ZN7rocprim17ROCPRIM_400000_NS6detail17trampoline_kernelINS0_14default_configENS1_37merge_sort_block_sort_config_selectorIlNS0_10empty_typeEEEZNS1_21merge_sort_block_sortIS3_PlS8_PS5_S9_ZN2at6native12_GLOBAL__N_124unique_dim_cuda_templateIhEESt5tupleIJNSA_6TensorESF_SF_EERKSF_lbbbEUlllE_EE10hipError_tT0_T1_T2_T3_mRjT4_P12ihipStream_tbNS1_7vsmem_tEEUlT_E_NS1_11comp_targetILNS1_3genE9ELNS1_11target_archE1100ELNS1_3gpuE3ELNS1_3repE0EEENS1_30default_config_static_selectorELNS0_4arch9wavefront6targetE1EEEvSM_: ; @_ZN7rocprim17ROCPRIM_400000_NS6detail17trampoline_kernelINS0_14default_configENS1_37merge_sort_block_sort_config_selectorIlNS0_10empty_typeEEEZNS1_21merge_sort_block_sortIS3_PlS8_PS5_S9_ZN2at6native12_GLOBAL__N_124unique_dim_cuda_templateIhEESt5tupleIJNSA_6TensorESF_SF_EERKSF_lbbbEUlllE_EE10hipError_tT0_T1_T2_T3_mRjT4_P12ihipStream_tbNS1_7vsmem_tEEUlT_E_NS1_11comp_targetILNS1_3genE9ELNS1_11target_archE1100ELNS1_3gpuE3ELNS1_3repE0EEENS1_30default_config_static_selectorELNS0_4arch9wavefront6targetE1EEEvSM_
; %bb.0:
	.section	.rodata,"a",@progbits
	.p2align	6, 0x0
	.amdhsa_kernel _ZN7rocprim17ROCPRIM_400000_NS6detail17trampoline_kernelINS0_14default_configENS1_37merge_sort_block_sort_config_selectorIlNS0_10empty_typeEEEZNS1_21merge_sort_block_sortIS3_PlS8_PS5_S9_ZN2at6native12_GLOBAL__N_124unique_dim_cuda_templateIhEESt5tupleIJNSA_6TensorESF_SF_EERKSF_lbbbEUlllE_EE10hipError_tT0_T1_T2_T3_mRjT4_P12ihipStream_tbNS1_7vsmem_tEEUlT_E_NS1_11comp_targetILNS1_3genE9ELNS1_11target_archE1100ELNS1_3gpuE3ELNS1_3repE0EEENS1_30default_config_static_selectorELNS0_4arch9wavefront6targetE1EEEvSM_
		.amdhsa_group_segment_fixed_size 0
		.amdhsa_private_segment_fixed_size 0
		.amdhsa_kernarg_size 72
		.amdhsa_user_sgpr_count 2
		.amdhsa_user_sgpr_dispatch_ptr 0
		.amdhsa_user_sgpr_queue_ptr 0
		.amdhsa_user_sgpr_kernarg_segment_ptr 1
		.amdhsa_user_sgpr_dispatch_id 0
		.amdhsa_user_sgpr_kernarg_preload_length 0
		.amdhsa_user_sgpr_kernarg_preload_offset 0
		.amdhsa_user_sgpr_private_segment_size 0
		.amdhsa_uses_dynamic_stack 0
		.amdhsa_enable_private_segment 0
		.amdhsa_system_sgpr_workgroup_id_x 1
		.amdhsa_system_sgpr_workgroup_id_y 0
		.amdhsa_system_sgpr_workgroup_id_z 0
		.amdhsa_system_sgpr_workgroup_info 0
		.amdhsa_system_vgpr_workitem_id 0
		.amdhsa_next_free_vgpr 1
		.amdhsa_next_free_sgpr 0
		.amdhsa_accum_offset 4
		.amdhsa_reserve_vcc 0
		.amdhsa_float_round_mode_32 0
		.amdhsa_float_round_mode_16_64 0
		.amdhsa_float_denorm_mode_32 3
		.amdhsa_float_denorm_mode_16_64 3
		.amdhsa_dx10_clamp 1
		.amdhsa_ieee_mode 1
		.amdhsa_fp16_overflow 0
		.amdhsa_tg_split 0
		.amdhsa_exception_fp_ieee_invalid_op 0
		.amdhsa_exception_fp_denorm_src 0
		.amdhsa_exception_fp_ieee_div_zero 0
		.amdhsa_exception_fp_ieee_overflow 0
		.amdhsa_exception_fp_ieee_underflow 0
		.amdhsa_exception_fp_ieee_inexact 0
		.amdhsa_exception_int_div_zero 0
	.end_amdhsa_kernel
	.section	.text._ZN7rocprim17ROCPRIM_400000_NS6detail17trampoline_kernelINS0_14default_configENS1_37merge_sort_block_sort_config_selectorIlNS0_10empty_typeEEEZNS1_21merge_sort_block_sortIS3_PlS8_PS5_S9_ZN2at6native12_GLOBAL__N_124unique_dim_cuda_templateIhEESt5tupleIJNSA_6TensorESF_SF_EERKSF_lbbbEUlllE_EE10hipError_tT0_T1_T2_T3_mRjT4_P12ihipStream_tbNS1_7vsmem_tEEUlT_E_NS1_11comp_targetILNS1_3genE9ELNS1_11target_archE1100ELNS1_3gpuE3ELNS1_3repE0EEENS1_30default_config_static_selectorELNS0_4arch9wavefront6targetE1EEEvSM_,"axG",@progbits,_ZN7rocprim17ROCPRIM_400000_NS6detail17trampoline_kernelINS0_14default_configENS1_37merge_sort_block_sort_config_selectorIlNS0_10empty_typeEEEZNS1_21merge_sort_block_sortIS3_PlS8_PS5_S9_ZN2at6native12_GLOBAL__N_124unique_dim_cuda_templateIhEESt5tupleIJNSA_6TensorESF_SF_EERKSF_lbbbEUlllE_EE10hipError_tT0_T1_T2_T3_mRjT4_P12ihipStream_tbNS1_7vsmem_tEEUlT_E_NS1_11comp_targetILNS1_3genE9ELNS1_11target_archE1100ELNS1_3gpuE3ELNS1_3repE0EEENS1_30default_config_static_selectorELNS0_4arch9wavefront6targetE1EEEvSM_,comdat
.Lfunc_end16:
	.size	_ZN7rocprim17ROCPRIM_400000_NS6detail17trampoline_kernelINS0_14default_configENS1_37merge_sort_block_sort_config_selectorIlNS0_10empty_typeEEEZNS1_21merge_sort_block_sortIS3_PlS8_PS5_S9_ZN2at6native12_GLOBAL__N_124unique_dim_cuda_templateIhEESt5tupleIJNSA_6TensorESF_SF_EERKSF_lbbbEUlllE_EE10hipError_tT0_T1_T2_T3_mRjT4_P12ihipStream_tbNS1_7vsmem_tEEUlT_E_NS1_11comp_targetILNS1_3genE9ELNS1_11target_archE1100ELNS1_3gpuE3ELNS1_3repE0EEENS1_30default_config_static_selectorELNS0_4arch9wavefront6targetE1EEEvSM_, .Lfunc_end16-_ZN7rocprim17ROCPRIM_400000_NS6detail17trampoline_kernelINS0_14default_configENS1_37merge_sort_block_sort_config_selectorIlNS0_10empty_typeEEEZNS1_21merge_sort_block_sortIS3_PlS8_PS5_S9_ZN2at6native12_GLOBAL__N_124unique_dim_cuda_templateIhEESt5tupleIJNSA_6TensorESF_SF_EERKSF_lbbbEUlllE_EE10hipError_tT0_T1_T2_T3_mRjT4_P12ihipStream_tbNS1_7vsmem_tEEUlT_E_NS1_11comp_targetILNS1_3genE9ELNS1_11target_archE1100ELNS1_3gpuE3ELNS1_3repE0EEENS1_30default_config_static_selectorELNS0_4arch9wavefront6targetE1EEEvSM_
                                        ; -- End function
	.set _ZN7rocprim17ROCPRIM_400000_NS6detail17trampoline_kernelINS0_14default_configENS1_37merge_sort_block_sort_config_selectorIlNS0_10empty_typeEEEZNS1_21merge_sort_block_sortIS3_PlS8_PS5_S9_ZN2at6native12_GLOBAL__N_124unique_dim_cuda_templateIhEESt5tupleIJNSA_6TensorESF_SF_EERKSF_lbbbEUlllE_EE10hipError_tT0_T1_T2_T3_mRjT4_P12ihipStream_tbNS1_7vsmem_tEEUlT_E_NS1_11comp_targetILNS1_3genE9ELNS1_11target_archE1100ELNS1_3gpuE3ELNS1_3repE0EEENS1_30default_config_static_selectorELNS0_4arch9wavefront6targetE1EEEvSM_.num_vgpr, 0
	.set _ZN7rocprim17ROCPRIM_400000_NS6detail17trampoline_kernelINS0_14default_configENS1_37merge_sort_block_sort_config_selectorIlNS0_10empty_typeEEEZNS1_21merge_sort_block_sortIS3_PlS8_PS5_S9_ZN2at6native12_GLOBAL__N_124unique_dim_cuda_templateIhEESt5tupleIJNSA_6TensorESF_SF_EERKSF_lbbbEUlllE_EE10hipError_tT0_T1_T2_T3_mRjT4_P12ihipStream_tbNS1_7vsmem_tEEUlT_E_NS1_11comp_targetILNS1_3genE9ELNS1_11target_archE1100ELNS1_3gpuE3ELNS1_3repE0EEENS1_30default_config_static_selectorELNS0_4arch9wavefront6targetE1EEEvSM_.num_agpr, 0
	.set _ZN7rocprim17ROCPRIM_400000_NS6detail17trampoline_kernelINS0_14default_configENS1_37merge_sort_block_sort_config_selectorIlNS0_10empty_typeEEEZNS1_21merge_sort_block_sortIS3_PlS8_PS5_S9_ZN2at6native12_GLOBAL__N_124unique_dim_cuda_templateIhEESt5tupleIJNSA_6TensorESF_SF_EERKSF_lbbbEUlllE_EE10hipError_tT0_T1_T2_T3_mRjT4_P12ihipStream_tbNS1_7vsmem_tEEUlT_E_NS1_11comp_targetILNS1_3genE9ELNS1_11target_archE1100ELNS1_3gpuE3ELNS1_3repE0EEENS1_30default_config_static_selectorELNS0_4arch9wavefront6targetE1EEEvSM_.numbered_sgpr, 0
	.set _ZN7rocprim17ROCPRIM_400000_NS6detail17trampoline_kernelINS0_14default_configENS1_37merge_sort_block_sort_config_selectorIlNS0_10empty_typeEEEZNS1_21merge_sort_block_sortIS3_PlS8_PS5_S9_ZN2at6native12_GLOBAL__N_124unique_dim_cuda_templateIhEESt5tupleIJNSA_6TensorESF_SF_EERKSF_lbbbEUlllE_EE10hipError_tT0_T1_T2_T3_mRjT4_P12ihipStream_tbNS1_7vsmem_tEEUlT_E_NS1_11comp_targetILNS1_3genE9ELNS1_11target_archE1100ELNS1_3gpuE3ELNS1_3repE0EEENS1_30default_config_static_selectorELNS0_4arch9wavefront6targetE1EEEvSM_.num_named_barrier, 0
	.set _ZN7rocprim17ROCPRIM_400000_NS6detail17trampoline_kernelINS0_14default_configENS1_37merge_sort_block_sort_config_selectorIlNS0_10empty_typeEEEZNS1_21merge_sort_block_sortIS3_PlS8_PS5_S9_ZN2at6native12_GLOBAL__N_124unique_dim_cuda_templateIhEESt5tupleIJNSA_6TensorESF_SF_EERKSF_lbbbEUlllE_EE10hipError_tT0_T1_T2_T3_mRjT4_P12ihipStream_tbNS1_7vsmem_tEEUlT_E_NS1_11comp_targetILNS1_3genE9ELNS1_11target_archE1100ELNS1_3gpuE3ELNS1_3repE0EEENS1_30default_config_static_selectorELNS0_4arch9wavefront6targetE1EEEvSM_.private_seg_size, 0
	.set _ZN7rocprim17ROCPRIM_400000_NS6detail17trampoline_kernelINS0_14default_configENS1_37merge_sort_block_sort_config_selectorIlNS0_10empty_typeEEEZNS1_21merge_sort_block_sortIS3_PlS8_PS5_S9_ZN2at6native12_GLOBAL__N_124unique_dim_cuda_templateIhEESt5tupleIJNSA_6TensorESF_SF_EERKSF_lbbbEUlllE_EE10hipError_tT0_T1_T2_T3_mRjT4_P12ihipStream_tbNS1_7vsmem_tEEUlT_E_NS1_11comp_targetILNS1_3genE9ELNS1_11target_archE1100ELNS1_3gpuE3ELNS1_3repE0EEENS1_30default_config_static_selectorELNS0_4arch9wavefront6targetE1EEEvSM_.uses_vcc, 0
	.set _ZN7rocprim17ROCPRIM_400000_NS6detail17trampoline_kernelINS0_14default_configENS1_37merge_sort_block_sort_config_selectorIlNS0_10empty_typeEEEZNS1_21merge_sort_block_sortIS3_PlS8_PS5_S9_ZN2at6native12_GLOBAL__N_124unique_dim_cuda_templateIhEESt5tupleIJNSA_6TensorESF_SF_EERKSF_lbbbEUlllE_EE10hipError_tT0_T1_T2_T3_mRjT4_P12ihipStream_tbNS1_7vsmem_tEEUlT_E_NS1_11comp_targetILNS1_3genE9ELNS1_11target_archE1100ELNS1_3gpuE3ELNS1_3repE0EEENS1_30default_config_static_selectorELNS0_4arch9wavefront6targetE1EEEvSM_.uses_flat_scratch, 0
	.set _ZN7rocprim17ROCPRIM_400000_NS6detail17trampoline_kernelINS0_14default_configENS1_37merge_sort_block_sort_config_selectorIlNS0_10empty_typeEEEZNS1_21merge_sort_block_sortIS3_PlS8_PS5_S9_ZN2at6native12_GLOBAL__N_124unique_dim_cuda_templateIhEESt5tupleIJNSA_6TensorESF_SF_EERKSF_lbbbEUlllE_EE10hipError_tT0_T1_T2_T3_mRjT4_P12ihipStream_tbNS1_7vsmem_tEEUlT_E_NS1_11comp_targetILNS1_3genE9ELNS1_11target_archE1100ELNS1_3gpuE3ELNS1_3repE0EEENS1_30default_config_static_selectorELNS0_4arch9wavefront6targetE1EEEvSM_.has_dyn_sized_stack, 0
	.set _ZN7rocprim17ROCPRIM_400000_NS6detail17trampoline_kernelINS0_14default_configENS1_37merge_sort_block_sort_config_selectorIlNS0_10empty_typeEEEZNS1_21merge_sort_block_sortIS3_PlS8_PS5_S9_ZN2at6native12_GLOBAL__N_124unique_dim_cuda_templateIhEESt5tupleIJNSA_6TensorESF_SF_EERKSF_lbbbEUlllE_EE10hipError_tT0_T1_T2_T3_mRjT4_P12ihipStream_tbNS1_7vsmem_tEEUlT_E_NS1_11comp_targetILNS1_3genE9ELNS1_11target_archE1100ELNS1_3gpuE3ELNS1_3repE0EEENS1_30default_config_static_selectorELNS0_4arch9wavefront6targetE1EEEvSM_.has_recursion, 0
	.set _ZN7rocprim17ROCPRIM_400000_NS6detail17trampoline_kernelINS0_14default_configENS1_37merge_sort_block_sort_config_selectorIlNS0_10empty_typeEEEZNS1_21merge_sort_block_sortIS3_PlS8_PS5_S9_ZN2at6native12_GLOBAL__N_124unique_dim_cuda_templateIhEESt5tupleIJNSA_6TensorESF_SF_EERKSF_lbbbEUlllE_EE10hipError_tT0_T1_T2_T3_mRjT4_P12ihipStream_tbNS1_7vsmem_tEEUlT_E_NS1_11comp_targetILNS1_3genE9ELNS1_11target_archE1100ELNS1_3gpuE3ELNS1_3repE0EEENS1_30default_config_static_selectorELNS0_4arch9wavefront6targetE1EEEvSM_.has_indirect_call, 0
	.section	.AMDGPU.csdata,"",@progbits
; Kernel info:
; codeLenInByte = 0
; TotalNumSgprs: 6
; NumVgprs: 0
; NumAgprs: 0
; TotalNumVgprs: 0
; ScratchSize: 0
; MemoryBound: 0
; FloatMode: 240
; IeeeMode: 1
; LDSByteSize: 0 bytes/workgroup (compile time only)
; SGPRBlocks: 0
; VGPRBlocks: 0
; NumSGPRsForWavesPerEU: 6
; NumVGPRsForWavesPerEU: 1
; AccumOffset: 4
; Occupancy: 8
; WaveLimiterHint : 0
; COMPUTE_PGM_RSRC2:SCRATCH_EN: 0
; COMPUTE_PGM_RSRC2:USER_SGPR: 2
; COMPUTE_PGM_RSRC2:TRAP_HANDLER: 0
; COMPUTE_PGM_RSRC2:TGID_X_EN: 1
; COMPUTE_PGM_RSRC2:TGID_Y_EN: 0
; COMPUTE_PGM_RSRC2:TGID_Z_EN: 0
; COMPUTE_PGM_RSRC2:TIDIG_COMP_CNT: 0
; COMPUTE_PGM_RSRC3_GFX90A:ACCUM_OFFSET: 0
; COMPUTE_PGM_RSRC3_GFX90A:TG_SPLIT: 0
	.section	.text._ZN7rocprim17ROCPRIM_400000_NS6detail17trampoline_kernelINS0_14default_configENS1_37merge_sort_block_sort_config_selectorIlNS0_10empty_typeEEEZNS1_21merge_sort_block_sortIS3_PlS8_PS5_S9_ZN2at6native12_GLOBAL__N_124unique_dim_cuda_templateIhEESt5tupleIJNSA_6TensorESF_SF_EERKSF_lbbbEUlllE_EE10hipError_tT0_T1_T2_T3_mRjT4_P12ihipStream_tbNS1_7vsmem_tEEUlT_E_NS1_11comp_targetILNS1_3genE8ELNS1_11target_archE1030ELNS1_3gpuE2ELNS1_3repE0EEENS1_30default_config_static_selectorELNS0_4arch9wavefront6targetE1EEEvSM_,"axG",@progbits,_ZN7rocprim17ROCPRIM_400000_NS6detail17trampoline_kernelINS0_14default_configENS1_37merge_sort_block_sort_config_selectorIlNS0_10empty_typeEEEZNS1_21merge_sort_block_sortIS3_PlS8_PS5_S9_ZN2at6native12_GLOBAL__N_124unique_dim_cuda_templateIhEESt5tupleIJNSA_6TensorESF_SF_EERKSF_lbbbEUlllE_EE10hipError_tT0_T1_T2_T3_mRjT4_P12ihipStream_tbNS1_7vsmem_tEEUlT_E_NS1_11comp_targetILNS1_3genE8ELNS1_11target_archE1030ELNS1_3gpuE2ELNS1_3repE0EEENS1_30default_config_static_selectorELNS0_4arch9wavefront6targetE1EEEvSM_,comdat
	.globl	_ZN7rocprim17ROCPRIM_400000_NS6detail17trampoline_kernelINS0_14default_configENS1_37merge_sort_block_sort_config_selectorIlNS0_10empty_typeEEEZNS1_21merge_sort_block_sortIS3_PlS8_PS5_S9_ZN2at6native12_GLOBAL__N_124unique_dim_cuda_templateIhEESt5tupleIJNSA_6TensorESF_SF_EERKSF_lbbbEUlllE_EE10hipError_tT0_T1_T2_T3_mRjT4_P12ihipStream_tbNS1_7vsmem_tEEUlT_E_NS1_11comp_targetILNS1_3genE8ELNS1_11target_archE1030ELNS1_3gpuE2ELNS1_3repE0EEENS1_30default_config_static_selectorELNS0_4arch9wavefront6targetE1EEEvSM_ ; -- Begin function _ZN7rocprim17ROCPRIM_400000_NS6detail17trampoline_kernelINS0_14default_configENS1_37merge_sort_block_sort_config_selectorIlNS0_10empty_typeEEEZNS1_21merge_sort_block_sortIS3_PlS8_PS5_S9_ZN2at6native12_GLOBAL__N_124unique_dim_cuda_templateIhEESt5tupleIJNSA_6TensorESF_SF_EERKSF_lbbbEUlllE_EE10hipError_tT0_T1_T2_T3_mRjT4_P12ihipStream_tbNS1_7vsmem_tEEUlT_E_NS1_11comp_targetILNS1_3genE8ELNS1_11target_archE1030ELNS1_3gpuE2ELNS1_3repE0EEENS1_30default_config_static_selectorELNS0_4arch9wavefront6targetE1EEEvSM_
	.p2align	8
	.type	_ZN7rocprim17ROCPRIM_400000_NS6detail17trampoline_kernelINS0_14default_configENS1_37merge_sort_block_sort_config_selectorIlNS0_10empty_typeEEEZNS1_21merge_sort_block_sortIS3_PlS8_PS5_S9_ZN2at6native12_GLOBAL__N_124unique_dim_cuda_templateIhEESt5tupleIJNSA_6TensorESF_SF_EERKSF_lbbbEUlllE_EE10hipError_tT0_T1_T2_T3_mRjT4_P12ihipStream_tbNS1_7vsmem_tEEUlT_E_NS1_11comp_targetILNS1_3genE8ELNS1_11target_archE1030ELNS1_3gpuE2ELNS1_3repE0EEENS1_30default_config_static_selectorELNS0_4arch9wavefront6targetE1EEEvSM_,@function
_ZN7rocprim17ROCPRIM_400000_NS6detail17trampoline_kernelINS0_14default_configENS1_37merge_sort_block_sort_config_selectorIlNS0_10empty_typeEEEZNS1_21merge_sort_block_sortIS3_PlS8_PS5_S9_ZN2at6native12_GLOBAL__N_124unique_dim_cuda_templateIhEESt5tupleIJNSA_6TensorESF_SF_EERKSF_lbbbEUlllE_EE10hipError_tT0_T1_T2_T3_mRjT4_P12ihipStream_tbNS1_7vsmem_tEEUlT_E_NS1_11comp_targetILNS1_3genE8ELNS1_11target_archE1030ELNS1_3gpuE2ELNS1_3repE0EEENS1_30default_config_static_selectorELNS0_4arch9wavefront6targetE1EEEvSM_: ; @_ZN7rocprim17ROCPRIM_400000_NS6detail17trampoline_kernelINS0_14default_configENS1_37merge_sort_block_sort_config_selectorIlNS0_10empty_typeEEEZNS1_21merge_sort_block_sortIS3_PlS8_PS5_S9_ZN2at6native12_GLOBAL__N_124unique_dim_cuda_templateIhEESt5tupleIJNSA_6TensorESF_SF_EERKSF_lbbbEUlllE_EE10hipError_tT0_T1_T2_T3_mRjT4_P12ihipStream_tbNS1_7vsmem_tEEUlT_E_NS1_11comp_targetILNS1_3genE8ELNS1_11target_archE1030ELNS1_3gpuE2ELNS1_3repE0EEENS1_30default_config_static_selectorELNS0_4arch9wavefront6targetE1EEEvSM_
; %bb.0:
	.section	.rodata,"a",@progbits
	.p2align	6, 0x0
	.amdhsa_kernel _ZN7rocprim17ROCPRIM_400000_NS6detail17trampoline_kernelINS0_14default_configENS1_37merge_sort_block_sort_config_selectorIlNS0_10empty_typeEEEZNS1_21merge_sort_block_sortIS3_PlS8_PS5_S9_ZN2at6native12_GLOBAL__N_124unique_dim_cuda_templateIhEESt5tupleIJNSA_6TensorESF_SF_EERKSF_lbbbEUlllE_EE10hipError_tT0_T1_T2_T3_mRjT4_P12ihipStream_tbNS1_7vsmem_tEEUlT_E_NS1_11comp_targetILNS1_3genE8ELNS1_11target_archE1030ELNS1_3gpuE2ELNS1_3repE0EEENS1_30default_config_static_selectorELNS0_4arch9wavefront6targetE1EEEvSM_
		.amdhsa_group_segment_fixed_size 0
		.amdhsa_private_segment_fixed_size 0
		.amdhsa_kernarg_size 72
		.amdhsa_user_sgpr_count 2
		.amdhsa_user_sgpr_dispatch_ptr 0
		.amdhsa_user_sgpr_queue_ptr 0
		.amdhsa_user_sgpr_kernarg_segment_ptr 1
		.amdhsa_user_sgpr_dispatch_id 0
		.amdhsa_user_sgpr_kernarg_preload_length 0
		.amdhsa_user_sgpr_kernarg_preload_offset 0
		.amdhsa_user_sgpr_private_segment_size 0
		.amdhsa_uses_dynamic_stack 0
		.amdhsa_enable_private_segment 0
		.amdhsa_system_sgpr_workgroup_id_x 1
		.amdhsa_system_sgpr_workgroup_id_y 0
		.amdhsa_system_sgpr_workgroup_id_z 0
		.amdhsa_system_sgpr_workgroup_info 0
		.amdhsa_system_vgpr_workitem_id 0
		.amdhsa_next_free_vgpr 1
		.amdhsa_next_free_sgpr 0
		.amdhsa_accum_offset 4
		.amdhsa_reserve_vcc 0
		.amdhsa_float_round_mode_32 0
		.amdhsa_float_round_mode_16_64 0
		.amdhsa_float_denorm_mode_32 3
		.amdhsa_float_denorm_mode_16_64 3
		.amdhsa_dx10_clamp 1
		.amdhsa_ieee_mode 1
		.amdhsa_fp16_overflow 0
		.amdhsa_tg_split 0
		.amdhsa_exception_fp_ieee_invalid_op 0
		.amdhsa_exception_fp_denorm_src 0
		.amdhsa_exception_fp_ieee_div_zero 0
		.amdhsa_exception_fp_ieee_overflow 0
		.amdhsa_exception_fp_ieee_underflow 0
		.amdhsa_exception_fp_ieee_inexact 0
		.amdhsa_exception_int_div_zero 0
	.end_amdhsa_kernel
	.section	.text._ZN7rocprim17ROCPRIM_400000_NS6detail17trampoline_kernelINS0_14default_configENS1_37merge_sort_block_sort_config_selectorIlNS0_10empty_typeEEEZNS1_21merge_sort_block_sortIS3_PlS8_PS5_S9_ZN2at6native12_GLOBAL__N_124unique_dim_cuda_templateIhEESt5tupleIJNSA_6TensorESF_SF_EERKSF_lbbbEUlllE_EE10hipError_tT0_T1_T2_T3_mRjT4_P12ihipStream_tbNS1_7vsmem_tEEUlT_E_NS1_11comp_targetILNS1_3genE8ELNS1_11target_archE1030ELNS1_3gpuE2ELNS1_3repE0EEENS1_30default_config_static_selectorELNS0_4arch9wavefront6targetE1EEEvSM_,"axG",@progbits,_ZN7rocprim17ROCPRIM_400000_NS6detail17trampoline_kernelINS0_14default_configENS1_37merge_sort_block_sort_config_selectorIlNS0_10empty_typeEEEZNS1_21merge_sort_block_sortIS3_PlS8_PS5_S9_ZN2at6native12_GLOBAL__N_124unique_dim_cuda_templateIhEESt5tupleIJNSA_6TensorESF_SF_EERKSF_lbbbEUlllE_EE10hipError_tT0_T1_T2_T3_mRjT4_P12ihipStream_tbNS1_7vsmem_tEEUlT_E_NS1_11comp_targetILNS1_3genE8ELNS1_11target_archE1030ELNS1_3gpuE2ELNS1_3repE0EEENS1_30default_config_static_selectorELNS0_4arch9wavefront6targetE1EEEvSM_,comdat
.Lfunc_end17:
	.size	_ZN7rocprim17ROCPRIM_400000_NS6detail17trampoline_kernelINS0_14default_configENS1_37merge_sort_block_sort_config_selectorIlNS0_10empty_typeEEEZNS1_21merge_sort_block_sortIS3_PlS8_PS5_S9_ZN2at6native12_GLOBAL__N_124unique_dim_cuda_templateIhEESt5tupleIJNSA_6TensorESF_SF_EERKSF_lbbbEUlllE_EE10hipError_tT0_T1_T2_T3_mRjT4_P12ihipStream_tbNS1_7vsmem_tEEUlT_E_NS1_11comp_targetILNS1_3genE8ELNS1_11target_archE1030ELNS1_3gpuE2ELNS1_3repE0EEENS1_30default_config_static_selectorELNS0_4arch9wavefront6targetE1EEEvSM_, .Lfunc_end17-_ZN7rocprim17ROCPRIM_400000_NS6detail17trampoline_kernelINS0_14default_configENS1_37merge_sort_block_sort_config_selectorIlNS0_10empty_typeEEEZNS1_21merge_sort_block_sortIS3_PlS8_PS5_S9_ZN2at6native12_GLOBAL__N_124unique_dim_cuda_templateIhEESt5tupleIJNSA_6TensorESF_SF_EERKSF_lbbbEUlllE_EE10hipError_tT0_T1_T2_T3_mRjT4_P12ihipStream_tbNS1_7vsmem_tEEUlT_E_NS1_11comp_targetILNS1_3genE8ELNS1_11target_archE1030ELNS1_3gpuE2ELNS1_3repE0EEENS1_30default_config_static_selectorELNS0_4arch9wavefront6targetE1EEEvSM_
                                        ; -- End function
	.set _ZN7rocprim17ROCPRIM_400000_NS6detail17trampoline_kernelINS0_14default_configENS1_37merge_sort_block_sort_config_selectorIlNS0_10empty_typeEEEZNS1_21merge_sort_block_sortIS3_PlS8_PS5_S9_ZN2at6native12_GLOBAL__N_124unique_dim_cuda_templateIhEESt5tupleIJNSA_6TensorESF_SF_EERKSF_lbbbEUlllE_EE10hipError_tT0_T1_T2_T3_mRjT4_P12ihipStream_tbNS1_7vsmem_tEEUlT_E_NS1_11comp_targetILNS1_3genE8ELNS1_11target_archE1030ELNS1_3gpuE2ELNS1_3repE0EEENS1_30default_config_static_selectorELNS0_4arch9wavefront6targetE1EEEvSM_.num_vgpr, 0
	.set _ZN7rocprim17ROCPRIM_400000_NS6detail17trampoline_kernelINS0_14default_configENS1_37merge_sort_block_sort_config_selectorIlNS0_10empty_typeEEEZNS1_21merge_sort_block_sortIS3_PlS8_PS5_S9_ZN2at6native12_GLOBAL__N_124unique_dim_cuda_templateIhEESt5tupleIJNSA_6TensorESF_SF_EERKSF_lbbbEUlllE_EE10hipError_tT0_T1_T2_T3_mRjT4_P12ihipStream_tbNS1_7vsmem_tEEUlT_E_NS1_11comp_targetILNS1_3genE8ELNS1_11target_archE1030ELNS1_3gpuE2ELNS1_3repE0EEENS1_30default_config_static_selectorELNS0_4arch9wavefront6targetE1EEEvSM_.num_agpr, 0
	.set _ZN7rocprim17ROCPRIM_400000_NS6detail17trampoline_kernelINS0_14default_configENS1_37merge_sort_block_sort_config_selectorIlNS0_10empty_typeEEEZNS1_21merge_sort_block_sortIS3_PlS8_PS5_S9_ZN2at6native12_GLOBAL__N_124unique_dim_cuda_templateIhEESt5tupleIJNSA_6TensorESF_SF_EERKSF_lbbbEUlllE_EE10hipError_tT0_T1_T2_T3_mRjT4_P12ihipStream_tbNS1_7vsmem_tEEUlT_E_NS1_11comp_targetILNS1_3genE8ELNS1_11target_archE1030ELNS1_3gpuE2ELNS1_3repE0EEENS1_30default_config_static_selectorELNS0_4arch9wavefront6targetE1EEEvSM_.numbered_sgpr, 0
	.set _ZN7rocprim17ROCPRIM_400000_NS6detail17trampoline_kernelINS0_14default_configENS1_37merge_sort_block_sort_config_selectorIlNS0_10empty_typeEEEZNS1_21merge_sort_block_sortIS3_PlS8_PS5_S9_ZN2at6native12_GLOBAL__N_124unique_dim_cuda_templateIhEESt5tupleIJNSA_6TensorESF_SF_EERKSF_lbbbEUlllE_EE10hipError_tT0_T1_T2_T3_mRjT4_P12ihipStream_tbNS1_7vsmem_tEEUlT_E_NS1_11comp_targetILNS1_3genE8ELNS1_11target_archE1030ELNS1_3gpuE2ELNS1_3repE0EEENS1_30default_config_static_selectorELNS0_4arch9wavefront6targetE1EEEvSM_.num_named_barrier, 0
	.set _ZN7rocprim17ROCPRIM_400000_NS6detail17trampoline_kernelINS0_14default_configENS1_37merge_sort_block_sort_config_selectorIlNS0_10empty_typeEEEZNS1_21merge_sort_block_sortIS3_PlS8_PS5_S9_ZN2at6native12_GLOBAL__N_124unique_dim_cuda_templateIhEESt5tupleIJNSA_6TensorESF_SF_EERKSF_lbbbEUlllE_EE10hipError_tT0_T1_T2_T3_mRjT4_P12ihipStream_tbNS1_7vsmem_tEEUlT_E_NS1_11comp_targetILNS1_3genE8ELNS1_11target_archE1030ELNS1_3gpuE2ELNS1_3repE0EEENS1_30default_config_static_selectorELNS0_4arch9wavefront6targetE1EEEvSM_.private_seg_size, 0
	.set _ZN7rocprim17ROCPRIM_400000_NS6detail17trampoline_kernelINS0_14default_configENS1_37merge_sort_block_sort_config_selectorIlNS0_10empty_typeEEEZNS1_21merge_sort_block_sortIS3_PlS8_PS5_S9_ZN2at6native12_GLOBAL__N_124unique_dim_cuda_templateIhEESt5tupleIJNSA_6TensorESF_SF_EERKSF_lbbbEUlllE_EE10hipError_tT0_T1_T2_T3_mRjT4_P12ihipStream_tbNS1_7vsmem_tEEUlT_E_NS1_11comp_targetILNS1_3genE8ELNS1_11target_archE1030ELNS1_3gpuE2ELNS1_3repE0EEENS1_30default_config_static_selectorELNS0_4arch9wavefront6targetE1EEEvSM_.uses_vcc, 0
	.set _ZN7rocprim17ROCPRIM_400000_NS6detail17trampoline_kernelINS0_14default_configENS1_37merge_sort_block_sort_config_selectorIlNS0_10empty_typeEEEZNS1_21merge_sort_block_sortIS3_PlS8_PS5_S9_ZN2at6native12_GLOBAL__N_124unique_dim_cuda_templateIhEESt5tupleIJNSA_6TensorESF_SF_EERKSF_lbbbEUlllE_EE10hipError_tT0_T1_T2_T3_mRjT4_P12ihipStream_tbNS1_7vsmem_tEEUlT_E_NS1_11comp_targetILNS1_3genE8ELNS1_11target_archE1030ELNS1_3gpuE2ELNS1_3repE0EEENS1_30default_config_static_selectorELNS0_4arch9wavefront6targetE1EEEvSM_.uses_flat_scratch, 0
	.set _ZN7rocprim17ROCPRIM_400000_NS6detail17trampoline_kernelINS0_14default_configENS1_37merge_sort_block_sort_config_selectorIlNS0_10empty_typeEEEZNS1_21merge_sort_block_sortIS3_PlS8_PS5_S9_ZN2at6native12_GLOBAL__N_124unique_dim_cuda_templateIhEESt5tupleIJNSA_6TensorESF_SF_EERKSF_lbbbEUlllE_EE10hipError_tT0_T1_T2_T3_mRjT4_P12ihipStream_tbNS1_7vsmem_tEEUlT_E_NS1_11comp_targetILNS1_3genE8ELNS1_11target_archE1030ELNS1_3gpuE2ELNS1_3repE0EEENS1_30default_config_static_selectorELNS0_4arch9wavefront6targetE1EEEvSM_.has_dyn_sized_stack, 0
	.set _ZN7rocprim17ROCPRIM_400000_NS6detail17trampoline_kernelINS0_14default_configENS1_37merge_sort_block_sort_config_selectorIlNS0_10empty_typeEEEZNS1_21merge_sort_block_sortIS3_PlS8_PS5_S9_ZN2at6native12_GLOBAL__N_124unique_dim_cuda_templateIhEESt5tupleIJNSA_6TensorESF_SF_EERKSF_lbbbEUlllE_EE10hipError_tT0_T1_T2_T3_mRjT4_P12ihipStream_tbNS1_7vsmem_tEEUlT_E_NS1_11comp_targetILNS1_3genE8ELNS1_11target_archE1030ELNS1_3gpuE2ELNS1_3repE0EEENS1_30default_config_static_selectorELNS0_4arch9wavefront6targetE1EEEvSM_.has_recursion, 0
	.set _ZN7rocprim17ROCPRIM_400000_NS6detail17trampoline_kernelINS0_14default_configENS1_37merge_sort_block_sort_config_selectorIlNS0_10empty_typeEEEZNS1_21merge_sort_block_sortIS3_PlS8_PS5_S9_ZN2at6native12_GLOBAL__N_124unique_dim_cuda_templateIhEESt5tupleIJNSA_6TensorESF_SF_EERKSF_lbbbEUlllE_EE10hipError_tT0_T1_T2_T3_mRjT4_P12ihipStream_tbNS1_7vsmem_tEEUlT_E_NS1_11comp_targetILNS1_3genE8ELNS1_11target_archE1030ELNS1_3gpuE2ELNS1_3repE0EEENS1_30default_config_static_selectorELNS0_4arch9wavefront6targetE1EEEvSM_.has_indirect_call, 0
	.section	.AMDGPU.csdata,"",@progbits
; Kernel info:
; codeLenInByte = 0
; TotalNumSgprs: 6
; NumVgprs: 0
; NumAgprs: 0
; TotalNumVgprs: 0
; ScratchSize: 0
; MemoryBound: 0
; FloatMode: 240
; IeeeMode: 1
; LDSByteSize: 0 bytes/workgroup (compile time only)
; SGPRBlocks: 0
; VGPRBlocks: 0
; NumSGPRsForWavesPerEU: 6
; NumVGPRsForWavesPerEU: 1
; AccumOffset: 4
; Occupancy: 8
; WaveLimiterHint : 0
; COMPUTE_PGM_RSRC2:SCRATCH_EN: 0
; COMPUTE_PGM_RSRC2:USER_SGPR: 2
; COMPUTE_PGM_RSRC2:TRAP_HANDLER: 0
; COMPUTE_PGM_RSRC2:TGID_X_EN: 1
; COMPUTE_PGM_RSRC2:TGID_Y_EN: 0
; COMPUTE_PGM_RSRC2:TGID_Z_EN: 0
; COMPUTE_PGM_RSRC2:TIDIG_COMP_CNT: 0
; COMPUTE_PGM_RSRC3_GFX90A:ACCUM_OFFSET: 0
; COMPUTE_PGM_RSRC3_GFX90A:TG_SPLIT: 0
	.section	.text._ZN7rocprim17ROCPRIM_400000_NS6detail17trampoline_kernelINS0_14default_configENS1_38merge_sort_block_merge_config_selectorIlNS0_10empty_typeEEEZZNS1_27merge_sort_block_merge_implIS3_PlPS5_mZN2at6native12_GLOBAL__N_124unique_dim_cuda_templateIhEESt5tupleIJNSA_6TensorESF_SF_EERKSF_lbbbEUlllE_EE10hipError_tT0_T1_T2_jT3_P12ihipStream_tbPNSt15iterator_traitsISL_E10value_typeEPNSR_ISM_E10value_typeEPSN_NS1_7vsmem_tEENKUlT_SL_SM_SN_E_clIS8_S8_S9_S9_EESK_S10_SL_SM_SN_EUlS10_E_NS1_11comp_targetILNS1_3genE0ELNS1_11target_archE4294967295ELNS1_3gpuE0ELNS1_3repE0EEENS1_48merge_mergepath_partition_config_static_selectorELNS0_4arch9wavefront6targetE1EEEvSM_,"axG",@progbits,_ZN7rocprim17ROCPRIM_400000_NS6detail17trampoline_kernelINS0_14default_configENS1_38merge_sort_block_merge_config_selectorIlNS0_10empty_typeEEEZZNS1_27merge_sort_block_merge_implIS3_PlPS5_mZN2at6native12_GLOBAL__N_124unique_dim_cuda_templateIhEESt5tupleIJNSA_6TensorESF_SF_EERKSF_lbbbEUlllE_EE10hipError_tT0_T1_T2_jT3_P12ihipStream_tbPNSt15iterator_traitsISL_E10value_typeEPNSR_ISM_E10value_typeEPSN_NS1_7vsmem_tEENKUlT_SL_SM_SN_E_clIS8_S8_S9_S9_EESK_S10_SL_SM_SN_EUlS10_E_NS1_11comp_targetILNS1_3genE0ELNS1_11target_archE4294967295ELNS1_3gpuE0ELNS1_3repE0EEENS1_48merge_mergepath_partition_config_static_selectorELNS0_4arch9wavefront6targetE1EEEvSM_,comdat
	.globl	_ZN7rocprim17ROCPRIM_400000_NS6detail17trampoline_kernelINS0_14default_configENS1_38merge_sort_block_merge_config_selectorIlNS0_10empty_typeEEEZZNS1_27merge_sort_block_merge_implIS3_PlPS5_mZN2at6native12_GLOBAL__N_124unique_dim_cuda_templateIhEESt5tupleIJNSA_6TensorESF_SF_EERKSF_lbbbEUlllE_EE10hipError_tT0_T1_T2_jT3_P12ihipStream_tbPNSt15iterator_traitsISL_E10value_typeEPNSR_ISM_E10value_typeEPSN_NS1_7vsmem_tEENKUlT_SL_SM_SN_E_clIS8_S8_S9_S9_EESK_S10_SL_SM_SN_EUlS10_E_NS1_11comp_targetILNS1_3genE0ELNS1_11target_archE4294967295ELNS1_3gpuE0ELNS1_3repE0EEENS1_48merge_mergepath_partition_config_static_selectorELNS0_4arch9wavefront6targetE1EEEvSM_ ; -- Begin function _ZN7rocprim17ROCPRIM_400000_NS6detail17trampoline_kernelINS0_14default_configENS1_38merge_sort_block_merge_config_selectorIlNS0_10empty_typeEEEZZNS1_27merge_sort_block_merge_implIS3_PlPS5_mZN2at6native12_GLOBAL__N_124unique_dim_cuda_templateIhEESt5tupleIJNSA_6TensorESF_SF_EERKSF_lbbbEUlllE_EE10hipError_tT0_T1_T2_jT3_P12ihipStream_tbPNSt15iterator_traitsISL_E10value_typeEPNSR_ISM_E10value_typeEPSN_NS1_7vsmem_tEENKUlT_SL_SM_SN_E_clIS8_S8_S9_S9_EESK_S10_SL_SM_SN_EUlS10_E_NS1_11comp_targetILNS1_3genE0ELNS1_11target_archE4294967295ELNS1_3gpuE0ELNS1_3repE0EEENS1_48merge_mergepath_partition_config_static_selectorELNS0_4arch9wavefront6targetE1EEEvSM_
	.p2align	8
	.type	_ZN7rocprim17ROCPRIM_400000_NS6detail17trampoline_kernelINS0_14default_configENS1_38merge_sort_block_merge_config_selectorIlNS0_10empty_typeEEEZZNS1_27merge_sort_block_merge_implIS3_PlPS5_mZN2at6native12_GLOBAL__N_124unique_dim_cuda_templateIhEESt5tupleIJNSA_6TensorESF_SF_EERKSF_lbbbEUlllE_EE10hipError_tT0_T1_T2_jT3_P12ihipStream_tbPNSt15iterator_traitsISL_E10value_typeEPNSR_ISM_E10value_typeEPSN_NS1_7vsmem_tEENKUlT_SL_SM_SN_E_clIS8_S8_S9_S9_EESK_S10_SL_SM_SN_EUlS10_E_NS1_11comp_targetILNS1_3genE0ELNS1_11target_archE4294967295ELNS1_3gpuE0ELNS1_3repE0EEENS1_48merge_mergepath_partition_config_static_selectorELNS0_4arch9wavefront6targetE1EEEvSM_,@function
_ZN7rocprim17ROCPRIM_400000_NS6detail17trampoline_kernelINS0_14default_configENS1_38merge_sort_block_merge_config_selectorIlNS0_10empty_typeEEEZZNS1_27merge_sort_block_merge_implIS3_PlPS5_mZN2at6native12_GLOBAL__N_124unique_dim_cuda_templateIhEESt5tupleIJNSA_6TensorESF_SF_EERKSF_lbbbEUlllE_EE10hipError_tT0_T1_T2_jT3_P12ihipStream_tbPNSt15iterator_traitsISL_E10value_typeEPNSR_ISM_E10value_typeEPSN_NS1_7vsmem_tEENKUlT_SL_SM_SN_E_clIS8_S8_S9_S9_EESK_S10_SL_SM_SN_EUlS10_E_NS1_11comp_targetILNS1_3genE0ELNS1_11target_archE4294967295ELNS1_3gpuE0ELNS1_3repE0EEENS1_48merge_mergepath_partition_config_static_selectorELNS0_4arch9wavefront6targetE1EEEvSM_: ; @_ZN7rocprim17ROCPRIM_400000_NS6detail17trampoline_kernelINS0_14default_configENS1_38merge_sort_block_merge_config_selectorIlNS0_10empty_typeEEEZZNS1_27merge_sort_block_merge_implIS3_PlPS5_mZN2at6native12_GLOBAL__N_124unique_dim_cuda_templateIhEESt5tupleIJNSA_6TensorESF_SF_EERKSF_lbbbEUlllE_EE10hipError_tT0_T1_T2_jT3_P12ihipStream_tbPNSt15iterator_traitsISL_E10value_typeEPNSR_ISM_E10value_typeEPSN_NS1_7vsmem_tEENKUlT_SL_SM_SN_E_clIS8_S8_S9_S9_EESK_S10_SL_SM_SN_EUlS10_E_NS1_11comp_targetILNS1_3genE0ELNS1_11target_archE4294967295ELNS1_3gpuE0ELNS1_3repE0EEENS1_48merge_mergepath_partition_config_static_selectorELNS0_4arch9wavefront6targetE1EEEvSM_
; %bb.0:
	s_load_dword s3, s[0:1], 0x0
	v_lshl_or_b32 v0, s2, 7, v0
	s_waitcnt lgkmcnt(0)
	v_cmp_gt_u32_e32 vcc, s3, v0
	s_and_saveexec_b64 s[2:3], vcc
	s_cbranch_execz .LBB18_12
; %bb.1:
	s_load_dwordx4 s[12:15], s[0:1], 0x8
	s_load_dwordx8 s[4:11], s[0:1], 0x18
	v_mov_b32_e32 v5, 0
	v_mov_b32_e32 v7, v5
	s_waitcnt lgkmcnt(0)
	s_lshr_b64 s[0:1], s[12:13], 9
	s_and_b32 s0, s0, -2
	s_add_i32 s1, s0, -1
	s_sub_i32 s0, 0, s0
	v_and_b32_e32 v4, s0, v0
	v_lshlrev_b64 v[8:9], 10, v[4:5]
	v_mov_b32_e32 v1, s15
	v_cmp_lt_u64_e32 vcc, s[14:15], v[8:9]
	v_mov_b32_e32 v4, s14
	v_and_b32_e32 v6, s1, v0
	v_cndmask_b32_e32 v3, v9, v1, vcc
	v_cndmask_b32_e32 v2, v8, v4, vcc
	v_lshl_add_u64 v[8:9], v[8:9], 0, s[12:13]
	v_cmp_lt_u64_e32 vcc, s[14:15], v[8:9]
	s_nop 1
	v_cndmask_b32_e32 v11, v9, v1, vcc
	v_cndmask_b32_e32 v10, v8, v4, vcc
	v_lshl_add_u64 v[8:9], v[10:11], 0, s[12:13]
	v_cmp_lt_u64_e32 vcc, s[14:15], v[8:9]
	s_nop 1
	v_cndmask_b32_e32 v14, v8, v4, vcc
	v_cndmask_b32_e32 v1, v9, v1, vcc
	v_sub_co_u32_e32 v8, vcc, v14, v2
	v_lshlrev_b64 v[4:5], 10, v[6:7]
	s_nop 0
	v_subb_co_u32_e32 v9, vcc, v1, v3, vcc
	v_cmp_lt_u64_e32 vcc, v[8:9], v[4:5]
	s_nop 1
	v_cndmask_b32_e32 v13, v5, v9, vcc
	v_cndmask_b32_e32 v12, v4, v8, vcc
	v_sub_co_u32_e32 v6, vcc, v10, v2
	s_nop 1
	v_subb_co_u32_e32 v7, vcc, v11, v3, vcc
	v_sub_co_u32_e32 v4, vcc, v10, v14
	s_nop 1
	v_subb_co_u32_e32 v5, vcc, v11, v1, vcc
	v_lshl_add_u64 v[4:5], v[12:13], 0, v[4:5]
	v_cmp_gt_u64_e32 vcc, v[4:5], v[12:13]
	s_nop 1
	v_cndmask_b32_e64 v5, v5, 0, vcc
	v_cndmask_b32_e64 v4, v4, 0, vcc
	v_cmp_lt_u64_e32 vcc, v[12:13], v[6:7]
	s_nop 1
	v_cndmask_b32_e32 v7, v7, v13, vcc
	v_cndmask_b32_e32 v6, v6, v12, vcc
	v_cmp_lt_u64_e32 vcc, v[4:5], v[6:7]
	s_and_saveexec_b64 s[2:3], vcc
	s_cbranch_execz .LBB18_11
; %bb.2:
	v_cmp_gt_i64_e64 s[0:1], s[6:7], 0
	v_lshl_add_u64 v[10:11], v[10:11], 3, s[4:5]
	v_lshl_add_u64 v[8:9], v[2:3], 3, s[4:5]
	v_cndmask_b32_e64 v1, 0, 1, s[0:1]
	v_lshl_add_u64 v[10:11], v[12:13], 3, v[10:11]
	s_mov_b64 s[4:5], 0
	v_cmp_ne_u32_e64 s[0:1], 1, v1
	s_branch .LBB18_5
.LBB18_3:                               ;   in Loop: Header=BB18_5 Depth=1
	s_or_b64 exec, exec, s[14:15]
.LBB18_4:                               ;   in Loop: Header=BB18_5 Depth=1
	v_lshl_add_u64 v[14:15], v[12:13], 0, 1
	v_cndmask_b32_e64 v7, v7, v13, s[12:13]
	v_cndmask_b32_e64 v6, v6, v12, s[12:13]
	;; [unrolled: 1-line block ×4, first 2 shown]
	v_cmp_ge_u64_e32 vcc, v[4:5], v[6:7]
	s_or_b64 s[4:5], vcc, s[4:5]
	s_andn2_b64 exec, exec, s[4:5]
	s_cbranch_execz .LBB18_10
.LBB18_5:                               ; =>This Loop Header: Depth=1
                                        ;     Child Loop BB18_8 Depth 2
	v_lshl_add_u64 v[12:13], v[6:7], 0, v[4:5]
	v_lshrrev_b64 v[12:13], 1, v[12:13]
	s_and_b64 vcc, exec, s[0:1]
	s_mov_b64 s[12:13], 0
	s_cbranch_vccnz .LBB18_4
; %bb.6:                                ;   in Loop: Header=BB18_5 Depth=1
	v_not_b32_e32 v15, v13
	v_not_b32_e32 v14, v12
	v_lshl_add_u64 v[14:15], v[14:15], 3, v[10:11]
	v_lshl_add_u64 v[16:17], v[12:13], 3, v[8:9]
	global_load_dwordx2 v[14:15], v[14:15], off
	v_mov_b64_e32 v[18:19], s[8:9]
	global_load_dwordx2 v[16:17], v[16:17], off
	s_mov_b64 s[14:15], 0
                                        ; implicit-def: $sgpr12_sgpr13
                                        ; implicit-def: $sgpr16_sgpr17
                                        ; implicit-def: $sgpr18_sgpr19
                                        ; implicit-def: $sgpr22_sgpr23
	s_waitcnt vmcnt(1)
	v_mul_lo_u32 v1, v14, s7
	v_mul_lo_u32 v20, v15, s6
	v_mad_u64_u32 v[14:15], s[20:21], v14, s6, v[18:19]
	s_waitcnt vmcnt(0)
	v_mul_lo_u32 v21, v16, s7
	v_mul_lo_u32 v22, v17, s6
	v_mad_u64_u32 v[16:17], s[20:21], v16, s6, v[18:19]
	v_add3_u32 v15, v20, v15, v1
	v_add3_u32 v17, v22, v17, v21
	s_mov_b64 s[20:21], s[6:7]
	s_branch .LBB18_8
.LBB18_7:                               ;   in Loop: Header=BB18_8 Depth=2
	s_or_b64 exec, exec, s[26:27]
	s_and_b64 s[26:27], exec, s[16:17]
	s_or_b64 s[14:15], s[26:27], s[14:15]
	s_andn2_b64 s[22:23], s[22:23], exec
	s_and_b64 s[24:25], s[24:25], exec
	s_or_b64 s[22:23], s[22:23], s[24:25]
	s_andn2_b64 s[12:13], s[12:13], exec
	s_and_b64 s[24:25], s[18:19], exec
	s_or_b64 s[12:13], s[12:13], s[24:25]
	s_andn2_b64 exec, exec, s[14:15]
	s_cbranch_execz .LBB18_3
.LBB18_8:                               ;   Parent Loop BB18_5 Depth=1
                                        ; =>  This Inner Loop Header: Depth=2
	global_load_ubyte v1, v[14:15], off
	global_load_ubyte v18, v[16:17], off
	s_andn2_b64 s[18:19], s[18:19], exec
	s_or_b64 s[16:17], s[16:17], exec
	s_waitcnt vmcnt(0)
	v_cmp_le_u16_sdwa s[26:27], v1, v18 src0_sel:BYTE_0 src1_sel:BYTE_0
	v_cmp_lt_u16_sdwa s[24:25], v1, v18 src0_sel:BYTE_0 src1_sel:BYTE_0
	s_and_b64 s[26:27], s[26:27], s[22:23]
	s_or_b64 s[24:25], s[24:25], s[26:27]
	s_and_b64 s[26:27], s[24:25], exec
	v_cmp_eq_u16_sdwa s[28:29], v1, v18 src0_sel:BYTE_0 src1_sel:BYTE_0
	s_or_b64 s[18:19], s[18:19], s[26:27]
	s_and_saveexec_b64 s[26:27], s[28:29]
	s_cbranch_execz .LBB18_7
; %bb.9:                                ;   in Loop: Header=BB18_8 Depth=2
	s_add_u32 s20, s20, -1
	s_addc_u32 s21, s21, -1
	s_cmp_eq_u64 s[20:21], 0
	s_cselect_b64 s[22:23], -1, 0
	s_andn2_b64 s[16:17], s[16:17], exec
	s_and_b64 s[22:23], s[22:23], exec
	v_lshl_add_u64 v[14:15], v[14:15], 0, 1
	v_lshl_add_u64 v[16:17], v[16:17], 0, 1
	s_andn2_b64 s[18:19], s[18:19], exec
	s_or_b64 s[16:17], s[16:17], s[22:23]
                                        ; implicit-def: $sgpr22_sgpr23
	s_branch .LBB18_7
.LBB18_10:
	s_or_b64 exec, exec, s[4:5]
.LBB18_11:
	s_or_b64 exec, exec, s[2:3]
	v_mov_b32_e32 v6, s10
	v_mov_b32_e32 v7, s11
	;; [unrolled: 1-line block ×3, first 2 shown]
	v_lshl_add_u64 v[2:3], v[4:5], 0, v[2:3]
	v_lshl_add_u64 v[0:1], v[0:1], 3, v[6:7]
	global_store_dwordx2 v[0:1], v[2:3], off
.LBB18_12:
	s_endpgm
	.section	.rodata,"a",@progbits
	.p2align	6, 0x0
	.amdhsa_kernel _ZN7rocprim17ROCPRIM_400000_NS6detail17trampoline_kernelINS0_14default_configENS1_38merge_sort_block_merge_config_selectorIlNS0_10empty_typeEEEZZNS1_27merge_sort_block_merge_implIS3_PlPS5_mZN2at6native12_GLOBAL__N_124unique_dim_cuda_templateIhEESt5tupleIJNSA_6TensorESF_SF_EERKSF_lbbbEUlllE_EE10hipError_tT0_T1_T2_jT3_P12ihipStream_tbPNSt15iterator_traitsISL_E10value_typeEPNSR_ISM_E10value_typeEPSN_NS1_7vsmem_tEENKUlT_SL_SM_SN_E_clIS8_S8_S9_S9_EESK_S10_SL_SM_SN_EUlS10_E_NS1_11comp_targetILNS1_3genE0ELNS1_11target_archE4294967295ELNS1_3gpuE0ELNS1_3repE0EEENS1_48merge_mergepath_partition_config_static_selectorELNS0_4arch9wavefront6targetE1EEEvSM_
		.amdhsa_group_segment_fixed_size 0
		.amdhsa_private_segment_fixed_size 0
		.amdhsa_kernarg_size 56
		.amdhsa_user_sgpr_count 2
		.amdhsa_user_sgpr_dispatch_ptr 0
		.amdhsa_user_sgpr_queue_ptr 0
		.amdhsa_user_sgpr_kernarg_segment_ptr 1
		.amdhsa_user_sgpr_dispatch_id 0
		.amdhsa_user_sgpr_kernarg_preload_length 0
		.amdhsa_user_sgpr_kernarg_preload_offset 0
		.amdhsa_user_sgpr_private_segment_size 0
		.amdhsa_uses_dynamic_stack 0
		.amdhsa_enable_private_segment 0
		.amdhsa_system_sgpr_workgroup_id_x 1
		.amdhsa_system_sgpr_workgroup_id_y 0
		.amdhsa_system_sgpr_workgroup_id_z 0
		.amdhsa_system_sgpr_workgroup_info 0
		.amdhsa_system_vgpr_workitem_id 0
		.amdhsa_next_free_vgpr 23
		.amdhsa_next_free_sgpr 30
		.amdhsa_accum_offset 24
		.amdhsa_reserve_vcc 1
		.amdhsa_float_round_mode_32 0
		.amdhsa_float_round_mode_16_64 0
		.amdhsa_float_denorm_mode_32 3
		.amdhsa_float_denorm_mode_16_64 3
		.amdhsa_dx10_clamp 1
		.amdhsa_ieee_mode 1
		.amdhsa_fp16_overflow 0
		.amdhsa_tg_split 0
		.amdhsa_exception_fp_ieee_invalid_op 0
		.amdhsa_exception_fp_denorm_src 0
		.amdhsa_exception_fp_ieee_div_zero 0
		.amdhsa_exception_fp_ieee_overflow 0
		.amdhsa_exception_fp_ieee_underflow 0
		.amdhsa_exception_fp_ieee_inexact 0
		.amdhsa_exception_int_div_zero 0
	.end_amdhsa_kernel
	.section	.text._ZN7rocprim17ROCPRIM_400000_NS6detail17trampoline_kernelINS0_14default_configENS1_38merge_sort_block_merge_config_selectorIlNS0_10empty_typeEEEZZNS1_27merge_sort_block_merge_implIS3_PlPS5_mZN2at6native12_GLOBAL__N_124unique_dim_cuda_templateIhEESt5tupleIJNSA_6TensorESF_SF_EERKSF_lbbbEUlllE_EE10hipError_tT0_T1_T2_jT3_P12ihipStream_tbPNSt15iterator_traitsISL_E10value_typeEPNSR_ISM_E10value_typeEPSN_NS1_7vsmem_tEENKUlT_SL_SM_SN_E_clIS8_S8_S9_S9_EESK_S10_SL_SM_SN_EUlS10_E_NS1_11comp_targetILNS1_3genE0ELNS1_11target_archE4294967295ELNS1_3gpuE0ELNS1_3repE0EEENS1_48merge_mergepath_partition_config_static_selectorELNS0_4arch9wavefront6targetE1EEEvSM_,"axG",@progbits,_ZN7rocprim17ROCPRIM_400000_NS6detail17trampoline_kernelINS0_14default_configENS1_38merge_sort_block_merge_config_selectorIlNS0_10empty_typeEEEZZNS1_27merge_sort_block_merge_implIS3_PlPS5_mZN2at6native12_GLOBAL__N_124unique_dim_cuda_templateIhEESt5tupleIJNSA_6TensorESF_SF_EERKSF_lbbbEUlllE_EE10hipError_tT0_T1_T2_jT3_P12ihipStream_tbPNSt15iterator_traitsISL_E10value_typeEPNSR_ISM_E10value_typeEPSN_NS1_7vsmem_tEENKUlT_SL_SM_SN_E_clIS8_S8_S9_S9_EESK_S10_SL_SM_SN_EUlS10_E_NS1_11comp_targetILNS1_3genE0ELNS1_11target_archE4294967295ELNS1_3gpuE0ELNS1_3repE0EEENS1_48merge_mergepath_partition_config_static_selectorELNS0_4arch9wavefront6targetE1EEEvSM_,comdat
.Lfunc_end18:
	.size	_ZN7rocprim17ROCPRIM_400000_NS6detail17trampoline_kernelINS0_14default_configENS1_38merge_sort_block_merge_config_selectorIlNS0_10empty_typeEEEZZNS1_27merge_sort_block_merge_implIS3_PlPS5_mZN2at6native12_GLOBAL__N_124unique_dim_cuda_templateIhEESt5tupleIJNSA_6TensorESF_SF_EERKSF_lbbbEUlllE_EE10hipError_tT0_T1_T2_jT3_P12ihipStream_tbPNSt15iterator_traitsISL_E10value_typeEPNSR_ISM_E10value_typeEPSN_NS1_7vsmem_tEENKUlT_SL_SM_SN_E_clIS8_S8_S9_S9_EESK_S10_SL_SM_SN_EUlS10_E_NS1_11comp_targetILNS1_3genE0ELNS1_11target_archE4294967295ELNS1_3gpuE0ELNS1_3repE0EEENS1_48merge_mergepath_partition_config_static_selectorELNS0_4arch9wavefront6targetE1EEEvSM_, .Lfunc_end18-_ZN7rocprim17ROCPRIM_400000_NS6detail17trampoline_kernelINS0_14default_configENS1_38merge_sort_block_merge_config_selectorIlNS0_10empty_typeEEEZZNS1_27merge_sort_block_merge_implIS3_PlPS5_mZN2at6native12_GLOBAL__N_124unique_dim_cuda_templateIhEESt5tupleIJNSA_6TensorESF_SF_EERKSF_lbbbEUlllE_EE10hipError_tT0_T1_T2_jT3_P12ihipStream_tbPNSt15iterator_traitsISL_E10value_typeEPNSR_ISM_E10value_typeEPSN_NS1_7vsmem_tEENKUlT_SL_SM_SN_E_clIS8_S8_S9_S9_EESK_S10_SL_SM_SN_EUlS10_E_NS1_11comp_targetILNS1_3genE0ELNS1_11target_archE4294967295ELNS1_3gpuE0ELNS1_3repE0EEENS1_48merge_mergepath_partition_config_static_selectorELNS0_4arch9wavefront6targetE1EEEvSM_
                                        ; -- End function
	.set _ZN7rocprim17ROCPRIM_400000_NS6detail17trampoline_kernelINS0_14default_configENS1_38merge_sort_block_merge_config_selectorIlNS0_10empty_typeEEEZZNS1_27merge_sort_block_merge_implIS3_PlPS5_mZN2at6native12_GLOBAL__N_124unique_dim_cuda_templateIhEESt5tupleIJNSA_6TensorESF_SF_EERKSF_lbbbEUlllE_EE10hipError_tT0_T1_T2_jT3_P12ihipStream_tbPNSt15iterator_traitsISL_E10value_typeEPNSR_ISM_E10value_typeEPSN_NS1_7vsmem_tEENKUlT_SL_SM_SN_E_clIS8_S8_S9_S9_EESK_S10_SL_SM_SN_EUlS10_E_NS1_11comp_targetILNS1_3genE0ELNS1_11target_archE4294967295ELNS1_3gpuE0ELNS1_3repE0EEENS1_48merge_mergepath_partition_config_static_selectorELNS0_4arch9wavefront6targetE1EEEvSM_.num_vgpr, 23
	.set _ZN7rocprim17ROCPRIM_400000_NS6detail17trampoline_kernelINS0_14default_configENS1_38merge_sort_block_merge_config_selectorIlNS0_10empty_typeEEEZZNS1_27merge_sort_block_merge_implIS3_PlPS5_mZN2at6native12_GLOBAL__N_124unique_dim_cuda_templateIhEESt5tupleIJNSA_6TensorESF_SF_EERKSF_lbbbEUlllE_EE10hipError_tT0_T1_T2_jT3_P12ihipStream_tbPNSt15iterator_traitsISL_E10value_typeEPNSR_ISM_E10value_typeEPSN_NS1_7vsmem_tEENKUlT_SL_SM_SN_E_clIS8_S8_S9_S9_EESK_S10_SL_SM_SN_EUlS10_E_NS1_11comp_targetILNS1_3genE0ELNS1_11target_archE4294967295ELNS1_3gpuE0ELNS1_3repE0EEENS1_48merge_mergepath_partition_config_static_selectorELNS0_4arch9wavefront6targetE1EEEvSM_.num_agpr, 0
	.set _ZN7rocprim17ROCPRIM_400000_NS6detail17trampoline_kernelINS0_14default_configENS1_38merge_sort_block_merge_config_selectorIlNS0_10empty_typeEEEZZNS1_27merge_sort_block_merge_implIS3_PlPS5_mZN2at6native12_GLOBAL__N_124unique_dim_cuda_templateIhEESt5tupleIJNSA_6TensorESF_SF_EERKSF_lbbbEUlllE_EE10hipError_tT0_T1_T2_jT3_P12ihipStream_tbPNSt15iterator_traitsISL_E10value_typeEPNSR_ISM_E10value_typeEPSN_NS1_7vsmem_tEENKUlT_SL_SM_SN_E_clIS8_S8_S9_S9_EESK_S10_SL_SM_SN_EUlS10_E_NS1_11comp_targetILNS1_3genE0ELNS1_11target_archE4294967295ELNS1_3gpuE0ELNS1_3repE0EEENS1_48merge_mergepath_partition_config_static_selectorELNS0_4arch9wavefront6targetE1EEEvSM_.numbered_sgpr, 30
	.set _ZN7rocprim17ROCPRIM_400000_NS6detail17trampoline_kernelINS0_14default_configENS1_38merge_sort_block_merge_config_selectorIlNS0_10empty_typeEEEZZNS1_27merge_sort_block_merge_implIS3_PlPS5_mZN2at6native12_GLOBAL__N_124unique_dim_cuda_templateIhEESt5tupleIJNSA_6TensorESF_SF_EERKSF_lbbbEUlllE_EE10hipError_tT0_T1_T2_jT3_P12ihipStream_tbPNSt15iterator_traitsISL_E10value_typeEPNSR_ISM_E10value_typeEPSN_NS1_7vsmem_tEENKUlT_SL_SM_SN_E_clIS8_S8_S9_S9_EESK_S10_SL_SM_SN_EUlS10_E_NS1_11comp_targetILNS1_3genE0ELNS1_11target_archE4294967295ELNS1_3gpuE0ELNS1_3repE0EEENS1_48merge_mergepath_partition_config_static_selectorELNS0_4arch9wavefront6targetE1EEEvSM_.num_named_barrier, 0
	.set _ZN7rocprim17ROCPRIM_400000_NS6detail17trampoline_kernelINS0_14default_configENS1_38merge_sort_block_merge_config_selectorIlNS0_10empty_typeEEEZZNS1_27merge_sort_block_merge_implIS3_PlPS5_mZN2at6native12_GLOBAL__N_124unique_dim_cuda_templateIhEESt5tupleIJNSA_6TensorESF_SF_EERKSF_lbbbEUlllE_EE10hipError_tT0_T1_T2_jT3_P12ihipStream_tbPNSt15iterator_traitsISL_E10value_typeEPNSR_ISM_E10value_typeEPSN_NS1_7vsmem_tEENKUlT_SL_SM_SN_E_clIS8_S8_S9_S9_EESK_S10_SL_SM_SN_EUlS10_E_NS1_11comp_targetILNS1_3genE0ELNS1_11target_archE4294967295ELNS1_3gpuE0ELNS1_3repE0EEENS1_48merge_mergepath_partition_config_static_selectorELNS0_4arch9wavefront6targetE1EEEvSM_.private_seg_size, 0
	.set _ZN7rocprim17ROCPRIM_400000_NS6detail17trampoline_kernelINS0_14default_configENS1_38merge_sort_block_merge_config_selectorIlNS0_10empty_typeEEEZZNS1_27merge_sort_block_merge_implIS3_PlPS5_mZN2at6native12_GLOBAL__N_124unique_dim_cuda_templateIhEESt5tupleIJNSA_6TensorESF_SF_EERKSF_lbbbEUlllE_EE10hipError_tT0_T1_T2_jT3_P12ihipStream_tbPNSt15iterator_traitsISL_E10value_typeEPNSR_ISM_E10value_typeEPSN_NS1_7vsmem_tEENKUlT_SL_SM_SN_E_clIS8_S8_S9_S9_EESK_S10_SL_SM_SN_EUlS10_E_NS1_11comp_targetILNS1_3genE0ELNS1_11target_archE4294967295ELNS1_3gpuE0ELNS1_3repE0EEENS1_48merge_mergepath_partition_config_static_selectorELNS0_4arch9wavefront6targetE1EEEvSM_.uses_vcc, 1
	.set _ZN7rocprim17ROCPRIM_400000_NS6detail17trampoline_kernelINS0_14default_configENS1_38merge_sort_block_merge_config_selectorIlNS0_10empty_typeEEEZZNS1_27merge_sort_block_merge_implIS3_PlPS5_mZN2at6native12_GLOBAL__N_124unique_dim_cuda_templateIhEESt5tupleIJNSA_6TensorESF_SF_EERKSF_lbbbEUlllE_EE10hipError_tT0_T1_T2_jT3_P12ihipStream_tbPNSt15iterator_traitsISL_E10value_typeEPNSR_ISM_E10value_typeEPSN_NS1_7vsmem_tEENKUlT_SL_SM_SN_E_clIS8_S8_S9_S9_EESK_S10_SL_SM_SN_EUlS10_E_NS1_11comp_targetILNS1_3genE0ELNS1_11target_archE4294967295ELNS1_3gpuE0ELNS1_3repE0EEENS1_48merge_mergepath_partition_config_static_selectorELNS0_4arch9wavefront6targetE1EEEvSM_.uses_flat_scratch, 0
	.set _ZN7rocprim17ROCPRIM_400000_NS6detail17trampoline_kernelINS0_14default_configENS1_38merge_sort_block_merge_config_selectorIlNS0_10empty_typeEEEZZNS1_27merge_sort_block_merge_implIS3_PlPS5_mZN2at6native12_GLOBAL__N_124unique_dim_cuda_templateIhEESt5tupleIJNSA_6TensorESF_SF_EERKSF_lbbbEUlllE_EE10hipError_tT0_T1_T2_jT3_P12ihipStream_tbPNSt15iterator_traitsISL_E10value_typeEPNSR_ISM_E10value_typeEPSN_NS1_7vsmem_tEENKUlT_SL_SM_SN_E_clIS8_S8_S9_S9_EESK_S10_SL_SM_SN_EUlS10_E_NS1_11comp_targetILNS1_3genE0ELNS1_11target_archE4294967295ELNS1_3gpuE0ELNS1_3repE0EEENS1_48merge_mergepath_partition_config_static_selectorELNS0_4arch9wavefront6targetE1EEEvSM_.has_dyn_sized_stack, 0
	.set _ZN7rocprim17ROCPRIM_400000_NS6detail17trampoline_kernelINS0_14default_configENS1_38merge_sort_block_merge_config_selectorIlNS0_10empty_typeEEEZZNS1_27merge_sort_block_merge_implIS3_PlPS5_mZN2at6native12_GLOBAL__N_124unique_dim_cuda_templateIhEESt5tupleIJNSA_6TensorESF_SF_EERKSF_lbbbEUlllE_EE10hipError_tT0_T1_T2_jT3_P12ihipStream_tbPNSt15iterator_traitsISL_E10value_typeEPNSR_ISM_E10value_typeEPSN_NS1_7vsmem_tEENKUlT_SL_SM_SN_E_clIS8_S8_S9_S9_EESK_S10_SL_SM_SN_EUlS10_E_NS1_11comp_targetILNS1_3genE0ELNS1_11target_archE4294967295ELNS1_3gpuE0ELNS1_3repE0EEENS1_48merge_mergepath_partition_config_static_selectorELNS0_4arch9wavefront6targetE1EEEvSM_.has_recursion, 0
	.set _ZN7rocprim17ROCPRIM_400000_NS6detail17trampoline_kernelINS0_14default_configENS1_38merge_sort_block_merge_config_selectorIlNS0_10empty_typeEEEZZNS1_27merge_sort_block_merge_implIS3_PlPS5_mZN2at6native12_GLOBAL__N_124unique_dim_cuda_templateIhEESt5tupleIJNSA_6TensorESF_SF_EERKSF_lbbbEUlllE_EE10hipError_tT0_T1_T2_jT3_P12ihipStream_tbPNSt15iterator_traitsISL_E10value_typeEPNSR_ISM_E10value_typeEPSN_NS1_7vsmem_tEENKUlT_SL_SM_SN_E_clIS8_S8_S9_S9_EESK_S10_SL_SM_SN_EUlS10_E_NS1_11comp_targetILNS1_3genE0ELNS1_11target_archE4294967295ELNS1_3gpuE0ELNS1_3repE0EEENS1_48merge_mergepath_partition_config_static_selectorELNS0_4arch9wavefront6targetE1EEEvSM_.has_indirect_call, 0
	.section	.AMDGPU.csdata,"",@progbits
; Kernel info:
; codeLenInByte = 772
; TotalNumSgprs: 36
; NumVgprs: 23
; NumAgprs: 0
; TotalNumVgprs: 23
; ScratchSize: 0
; MemoryBound: 0
; FloatMode: 240
; IeeeMode: 1
; LDSByteSize: 0 bytes/workgroup (compile time only)
; SGPRBlocks: 4
; VGPRBlocks: 2
; NumSGPRsForWavesPerEU: 36
; NumVGPRsForWavesPerEU: 23
; AccumOffset: 24
; Occupancy: 8
; WaveLimiterHint : 0
; COMPUTE_PGM_RSRC2:SCRATCH_EN: 0
; COMPUTE_PGM_RSRC2:USER_SGPR: 2
; COMPUTE_PGM_RSRC2:TRAP_HANDLER: 0
; COMPUTE_PGM_RSRC2:TGID_X_EN: 1
; COMPUTE_PGM_RSRC2:TGID_Y_EN: 0
; COMPUTE_PGM_RSRC2:TGID_Z_EN: 0
; COMPUTE_PGM_RSRC2:TIDIG_COMP_CNT: 0
; COMPUTE_PGM_RSRC3_GFX90A:ACCUM_OFFSET: 5
; COMPUTE_PGM_RSRC3_GFX90A:TG_SPLIT: 0
	.section	.text._ZN7rocprim17ROCPRIM_400000_NS6detail17trampoline_kernelINS0_14default_configENS1_38merge_sort_block_merge_config_selectorIlNS0_10empty_typeEEEZZNS1_27merge_sort_block_merge_implIS3_PlPS5_mZN2at6native12_GLOBAL__N_124unique_dim_cuda_templateIhEESt5tupleIJNSA_6TensorESF_SF_EERKSF_lbbbEUlllE_EE10hipError_tT0_T1_T2_jT3_P12ihipStream_tbPNSt15iterator_traitsISL_E10value_typeEPNSR_ISM_E10value_typeEPSN_NS1_7vsmem_tEENKUlT_SL_SM_SN_E_clIS8_S8_S9_S9_EESK_S10_SL_SM_SN_EUlS10_E_NS1_11comp_targetILNS1_3genE10ELNS1_11target_archE1201ELNS1_3gpuE5ELNS1_3repE0EEENS1_48merge_mergepath_partition_config_static_selectorELNS0_4arch9wavefront6targetE1EEEvSM_,"axG",@progbits,_ZN7rocprim17ROCPRIM_400000_NS6detail17trampoline_kernelINS0_14default_configENS1_38merge_sort_block_merge_config_selectorIlNS0_10empty_typeEEEZZNS1_27merge_sort_block_merge_implIS3_PlPS5_mZN2at6native12_GLOBAL__N_124unique_dim_cuda_templateIhEESt5tupleIJNSA_6TensorESF_SF_EERKSF_lbbbEUlllE_EE10hipError_tT0_T1_T2_jT3_P12ihipStream_tbPNSt15iterator_traitsISL_E10value_typeEPNSR_ISM_E10value_typeEPSN_NS1_7vsmem_tEENKUlT_SL_SM_SN_E_clIS8_S8_S9_S9_EESK_S10_SL_SM_SN_EUlS10_E_NS1_11comp_targetILNS1_3genE10ELNS1_11target_archE1201ELNS1_3gpuE5ELNS1_3repE0EEENS1_48merge_mergepath_partition_config_static_selectorELNS0_4arch9wavefront6targetE1EEEvSM_,comdat
	.globl	_ZN7rocprim17ROCPRIM_400000_NS6detail17trampoline_kernelINS0_14default_configENS1_38merge_sort_block_merge_config_selectorIlNS0_10empty_typeEEEZZNS1_27merge_sort_block_merge_implIS3_PlPS5_mZN2at6native12_GLOBAL__N_124unique_dim_cuda_templateIhEESt5tupleIJNSA_6TensorESF_SF_EERKSF_lbbbEUlllE_EE10hipError_tT0_T1_T2_jT3_P12ihipStream_tbPNSt15iterator_traitsISL_E10value_typeEPNSR_ISM_E10value_typeEPSN_NS1_7vsmem_tEENKUlT_SL_SM_SN_E_clIS8_S8_S9_S9_EESK_S10_SL_SM_SN_EUlS10_E_NS1_11comp_targetILNS1_3genE10ELNS1_11target_archE1201ELNS1_3gpuE5ELNS1_3repE0EEENS1_48merge_mergepath_partition_config_static_selectorELNS0_4arch9wavefront6targetE1EEEvSM_ ; -- Begin function _ZN7rocprim17ROCPRIM_400000_NS6detail17trampoline_kernelINS0_14default_configENS1_38merge_sort_block_merge_config_selectorIlNS0_10empty_typeEEEZZNS1_27merge_sort_block_merge_implIS3_PlPS5_mZN2at6native12_GLOBAL__N_124unique_dim_cuda_templateIhEESt5tupleIJNSA_6TensorESF_SF_EERKSF_lbbbEUlllE_EE10hipError_tT0_T1_T2_jT3_P12ihipStream_tbPNSt15iterator_traitsISL_E10value_typeEPNSR_ISM_E10value_typeEPSN_NS1_7vsmem_tEENKUlT_SL_SM_SN_E_clIS8_S8_S9_S9_EESK_S10_SL_SM_SN_EUlS10_E_NS1_11comp_targetILNS1_3genE10ELNS1_11target_archE1201ELNS1_3gpuE5ELNS1_3repE0EEENS1_48merge_mergepath_partition_config_static_selectorELNS0_4arch9wavefront6targetE1EEEvSM_
	.p2align	8
	.type	_ZN7rocprim17ROCPRIM_400000_NS6detail17trampoline_kernelINS0_14default_configENS1_38merge_sort_block_merge_config_selectorIlNS0_10empty_typeEEEZZNS1_27merge_sort_block_merge_implIS3_PlPS5_mZN2at6native12_GLOBAL__N_124unique_dim_cuda_templateIhEESt5tupleIJNSA_6TensorESF_SF_EERKSF_lbbbEUlllE_EE10hipError_tT0_T1_T2_jT3_P12ihipStream_tbPNSt15iterator_traitsISL_E10value_typeEPNSR_ISM_E10value_typeEPSN_NS1_7vsmem_tEENKUlT_SL_SM_SN_E_clIS8_S8_S9_S9_EESK_S10_SL_SM_SN_EUlS10_E_NS1_11comp_targetILNS1_3genE10ELNS1_11target_archE1201ELNS1_3gpuE5ELNS1_3repE0EEENS1_48merge_mergepath_partition_config_static_selectorELNS0_4arch9wavefront6targetE1EEEvSM_,@function
_ZN7rocprim17ROCPRIM_400000_NS6detail17trampoline_kernelINS0_14default_configENS1_38merge_sort_block_merge_config_selectorIlNS0_10empty_typeEEEZZNS1_27merge_sort_block_merge_implIS3_PlPS5_mZN2at6native12_GLOBAL__N_124unique_dim_cuda_templateIhEESt5tupleIJNSA_6TensorESF_SF_EERKSF_lbbbEUlllE_EE10hipError_tT0_T1_T2_jT3_P12ihipStream_tbPNSt15iterator_traitsISL_E10value_typeEPNSR_ISM_E10value_typeEPSN_NS1_7vsmem_tEENKUlT_SL_SM_SN_E_clIS8_S8_S9_S9_EESK_S10_SL_SM_SN_EUlS10_E_NS1_11comp_targetILNS1_3genE10ELNS1_11target_archE1201ELNS1_3gpuE5ELNS1_3repE0EEENS1_48merge_mergepath_partition_config_static_selectorELNS0_4arch9wavefront6targetE1EEEvSM_: ; @_ZN7rocprim17ROCPRIM_400000_NS6detail17trampoline_kernelINS0_14default_configENS1_38merge_sort_block_merge_config_selectorIlNS0_10empty_typeEEEZZNS1_27merge_sort_block_merge_implIS3_PlPS5_mZN2at6native12_GLOBAL__N_124unique_dim_cuda_templateIhEESt5tupleIJNSA_6TensorESF_SF_EERKSF_lbbbEUlllE_EE10hipError_tT0_T1_T2_jT3_P12ihipStream_tbPNSt15iterator_traitsISL_E10value_typeEPNSR_ISM_E10value_typeEPSN_NS1_7vsmem_tEENKUlT_SL_SM_SN_E_clIS8_S8_S9_S9_EESK_S10_SL_SM_SN_EUlS10_E_NS1_11comp_targetILNS1_3genE10ELNS1_11target_archE1201ELNS1_3gpuE5ELNS1_3repE0EEENS1_48merge_mergepath_partition_config_static_selectorELNS0_4arch9wavefront6targetE1EEEvSM_
; %bb.0:
	.section	.rodata,"a",@progbits
	.p2align	6, 0x0
	.amdhsa_kernel _ZN7rocprim17ROCPRIM_400000_NS6detail17trampoline_kernelINS0_14default_configENS1_38merge_sort_block_merge_config_selectorIlNS0_10empty_typeEEEZZNS1_27merge_sort_block_merge_implIS3_PlPS5_mZN2at6native12_GLOBAL__N_124unique_dim_cuda_templateIhEESt5tupleIJNSA_6TensorESF_SF_EERKSF_lbbbEUlllE_EE10hipError_tT0_T1_T2_jT3_P12ihipStream_tbPNSt15iterator_traitsISL_E10value_typeEPNSR_ISM_E10value_typeEPSN_NS1_7vsmem_tEENKUlT_SL_SM_SN_E_clIS8_S8_S9_S9_EESK_S10_SL_SM_SN_EUlS10_E_NS1_11comp_targetILNS1_3genE10ELNS1_11target_archE1201ELNS1_3gpuE5ELNS1_3repE0EEENS1_48merge_mergepath_partition_config_static_selectorELNS0_4arch9wavefront6targetE1EEEvSM_
		.amdhsa_group_segment_fixed_size 0
		.amdhsa_private_segment_fixed_size 0
		.amdhsa_kernarg_size 56
		.amdhsa_user_sgpr_count 2
		.amdhsa_user_sgpr_dispatch_ptr 0
		.amdhsa_user_sgpr_queue_ptr 0
		.amdhsa_user_sgpr_kernarg_segment_ptr 1
		.amdhsa_user_sgpr_dispatch_id 0
		.amdhsa_user_sgpr_kernarg_preload_length 0
		.amdhsa_user_sgpr_kernarg_preload_offset 0
		.amdhsa_user_sgpr_private_segment_size 0
		.amdhsa_uses_dynamic_stack 0
		.amdhsa_enable_private_segment 0
		.amdhsa_system_sgpr_workgroup_id_x 1
		.amdhsa_system_sgpr_workgroup_id_y 0
		.amdhsa_system_sgpr_workgroup_id_z 0
		.amdhsa_system_sgpr_workgroup_info 0
		.amdhsa_system_vgpr_workitem_id 0
		.amdhsa_next_free_vgpr 1
		.amdhsa_next_free_sgpr 0
		.amdhsa_accum_offset 4
		.amdhsa_reserve_vcc 0
		.amdhsa_float_round_mode_32 0
		.amdhsa_float_round_mode_16_64 0
		.amdhsa_float_denorm_mode_32 3
		.amdhsa_float_denorm_mode_16_64 3
		.amdhsa_dx10_clamp 1
		.amdhsa_ieee_mode 1
		.amdhsa_fp16_overflow 0
		.amdhsa_tg_split 0
		.amdhsa_exception_fp_ieee_invalid_op 0
		.amdhsa_exception_fp_denorm_src 0
		.amdhsa_exception_fp_ieee_div_zero 0
		.amdhsa_exception_fp_ieee_overflow 0
		.amdhsa_exception_fp_ieee_underflow 0
		.amdhsa_exception_fp_ieee_inexact 0
		.amdhsa_exception_int_div_zero 0
	.end_amdhsa_kernel
	.section	.text._ZN7rocprim17ROCPRIM_400000_NS6detail17trampoline_kernelINS0_14default_configENS1_38merge_sort_block_merge_config_selectorIlNS0_10empty_typeEEEZZNS1_27merge_sort_block_merge_implIS3_PlPS5_mZN2at6native12_GLOBAL__N_124unique_dim_cuda_templateIhEESt5tupleIJNSA_6TensorESF_SF_EERKSF_lbbbEUlllE_EE10hipError_tT0_T1_T2_jT3_P12ihipStream_tbPNSt15iterator_traitsISL_E10value_typeEPNSR_ISM_E10value_typeEPSN_NS1_7vsmem_tEENKUlT_SL_SM_SN_E_clIS8_S8_S9_S9_EESK_S10_SL_SM_SN_EUlS10_E_NS1_11comp_targetILNS1_3genE10ELNS1_11target_archE1201ELNS1_3gpuE5ELNS1_3repE0EEENS1_48merge_mergepath_partition_config_static_selectorELNS0_4arch9wavefront6targetE1EEEvSM_,"axG",@progbits,_ZN7rocprim17ROCPRIM_400000_NS6detail17trampoline_kernelINS0_14default_configENS1_38merge_sort_block_merge_config_selectorIlNS0_10empty_typeEEEZZNS1_27merge_sort_block_merge_implIS3_PlPS5_mZN2at6native12_GLOBAL__N_124unique_dim_cuda_templateIhEESt5tupleIJNSA_6TensorESF_SF_EERKSF_lbbbEUlllE_EE10hipError_tT0_T1_T2_jT3_P12ihipStream_tbPNSt15iterator_traitsISL_E10value_typeEPNSR_ISM_E10value_typeEPSN_NS1_7vsmem_tEENKUlT_SL_SM_SN_E_clIS8_S8_S9_S9_EESK_S10_SL_SM_SN_EUlS10_E_NS1_11comp_targetILNS1_3genE10ELNS1_11target_archE1201ELNS1_3gpuE5ELNS1_3repE0EEENS1_48merge_mergepath_partition_config_static_selectorELNS0_4arch9wavefront6targetE1EEEvSM_,comdat
.Lfunc_end19:
	.size	_ZN7rocprim17ROCPRIM_400000_NS6detail17trampoline_kernelINS0_14default_configENS1_38merge_sort_block_merge_config_selectorIlNS0_10empty_typeEEEZZNS1_27merge_sort_block_merge_implIS3_PlPS5_mZN2at6native12_GLOBAL__N_124unique_dim_cuda_templateIhEESt5tupleIJNSA_6TensorESF_SF_EERKSF_lbbbEUlllE_EE10hipError_tT0_T1_T2_jT3_P12ihipStream_tbPNSt15iterator_traitsISL_E10value_typeEPNSR_ISM_E10value_typeEPSN_NS1_7vsmem_tEENKUlT_SL_SM_SN_E_clIS8_S8_S9_S9_EESK_S10_SL_SM_SN_EUlS10_E_NS1_11comp_targetILNS1_3genE10ELNS1_11target_archE1201ELNS1_3gpuE5ELNS1_3repE0EEENS1_48merge_mergepath_partition_config_static_selectorELNS0_4arch9wavefront6targetE1EEEvSM_, .Lfunc_end19-_ZN7rocprim17ROCPRIM_400000_NS6detail17trampoline_kernelINS0_14default_configENS1_38merge_sort_block_merge_config_selectorIlNS0_10empty_typeEEEZZNS1_27merge_sort_block_merge_implIS3_PlPS5_mZN2at6native12_GLOBAL__N_124unique_dim_cuda_templateIhEESt5tupleIJNSA_6TensorESF_SF_EERKSF_lbbbEUlllE_EE10hipError_tT0_T1_T2_jT3_P12ihipStream_tbPNSt15iterator_traitsISL_E10value_typeEPNSR_ISM_E10value_typeEPSN_NS1_7vsmem_tEENKUlT_SL_SM_SN_E_clIS8_S8_S9_S9_EESK_S10_SL_SM_SN_EUlS10_E_NS1_11comp_targetILNS1_3genE10ELNS1_11target_archE1201ELNS1_3gpuE5ELNS1_3repE0EEENS1_48merge_mergepath_partition_config_static_selectorELNS0_4arch9wavefront6targetE1EEEvSM_
                                        ; -- End function
	.set _ZN7rocprim17ROCPRIM_400000_NS6detail17trampoline_kernelINS0_14default_configENS1_38merge_sort_block_merge_config_selectorIlNS0_10empty_typeEEEZZNS1_27merge_sort_block_merge_implIS3_PlPS5_mZN2at6native12_GLOBAL__N_124unique_dim_cuda_templateIhEESt5tupleIJNSA_6TensorESF_SF_EERKSF_lbbbEUlllE_EE10hipError_tT0_T1_T2_jT3_P12ihipStream_tbPNSt15iterator_traitsISL_E10value_typeEPNSR_ISM_E10value_typeEPSN_NS1_7vsmem_tEENKUlT_SL_SM_SN_E_clIS8_S8_S9_S9_EESK_S10_SL_SM_SN_EUlS10_E_NS1_11comp_targetILNS1_3genE10ELNS1_11target_archE1201ELNS1_3gpuE5ELNS1_3repE0EEENS1_48merge_mergepath_partition_config_static_selectorELNS0_4arch9wavefront6targetE1EEEvSM_.num_vgpr, 0
	.set _ZN7rocprim17ROCPRIM_400000_NS6detail17trampoline_kernelINS0_14default_configENS1_38merge_sort_block_merge_config_selectorIlNS0_10empty_typeEEEZZNS1_27merge_sort_block_merge_implIS3_PlPS5_mZN2at6native12_GLOBAL__N_124unique_dim_cuda_templateIhEESt5tupleIJNSA_6TensorESF_SF_EERKSF_lbbbEUlllE_EE10hipError_tT0_T1_T2_jT3_P12ihipStream_tbPNSt15iterator_traitsISL_E10value_typeEPNSR_ISM_E10value_typeEPSN_NS1_7vsmem_tEENKUlT_SL_SM_SN_E_clIS8_S8_S9_S9_EESK_S10_SL_SM_SN_EUlS10_E_NS1_11comp_targetILNS1_3genE10ELNS1_11target_archE1201ELNS1_3gpuE5ELNS1_3repE0EEENS1_48merge_mergepath_partition_config_static_selectorELNS0_4arch9wavefront6targetE1EEEvSM_.num_agpr, 0
	.set _ZN7rocprim17ROCPRIM_400000_NS6detail17trampoline_kernelINS0_14default_configENS1_38merge_sort_block_merge_config_selectorIlNS0_10empty_typeEEEZZNS1_27merge_sort_block_merge_implIS3_PlPS5_mZN2at6native12_GLOBAL__N_124unique_dim_cuda_templateIhEESt5tupleIJNSA_6TensorESF_SF_EERKSF_lbbbEUlllE_EE10hipError_tT0_T1_T2_jT3_P12ihipStream_tbPNSt15iterator_traitsISL_E10value_typeEPNSR_ISM_E10value_typeEPSN_NS1_7vsmem_tEENKUlT_SL_SM_SN_E_clIS8_S8_S9_S9_EESK_S10_SL_SM_SN_EUlS10_E_NS1_11comp_targetILNS1_3genE10ELNS1_11target_archE1201ELNS1_3gpuE5ELNS1_3repE0EEENS1_48merge_mergepath_partition_config_static_selectorELNS0_4arch9wavefront6targetE1EEEvSM_.numbered_sgpr, 0
	.set _ZN7rocprim17ROCPRIM_400000_NS6detail17trampoline_kernelINS0_14default_configENS1_38merge_sort_block_merge_config_selectorIlNS0_10empty_typeEEEZZNS1_27merge_sort_block_merge_implIS3_PlPS5_mZN2at6native12_GLOBAL__N_124unique_dim_cuda_templateIhEESt5tupleIJNSA_6TensorESF_SF_EERKSF_lbbbEUlllE_EE10hipError_tT0_T1_T2_jT3_P12ihipStream_tbPNSt15iterator_traitsISL_E10value_typeEPNSR_ISM_E10value_typeEPSN_NS1_7vsmem_tEENKUlT_SL_SM_SN_E_clIS8_S8_S9_S9_EESK_S10_SL_SM_SN_EUlS10_E_NS1_11comp_targetILNS1_3genE10ELNS1_11target_archE1201ELNS1_3gpuE5ELNS1_3repE0EEENS1_48merge_mergepath_partition_config_static_selectorELNS0_4arch9wavefront6targetE1EEEvSM_.num_named_barrier, 0
	.set _ZN7rocprim17ROCPRIM_400000_NS6detail17trampoline_kernelINS0_14default_configENS1_38merge_sort_block_merge_config_selectorIlNS0_10empty_typeEEEZZNS1_27merge_sort_block_merge_implIS3_PlPS5_mZN2at6native12_GLOBAL__N_124unique_dim_cuda_templateIhEESt5tupleIJNSA_6TensorESF_SF_EERKSF_lbbbEUlllE_EE10hipError_tT0_T1_T2_jT3_P12ihipStream_tbPNSt15iterator_traitsISL_E10value_typeEPNSR_ISM_E10value_typeEPSN_NS1_7vsmem_tEENKUlT_SL_SM_SN_E_clIS8_S8_S9_S9_EESK_S10_SL_SM_SN_EUlS10_E_NS1_11comp_targetILNS1_3genE10ELNS1_11target_archE1201ELNS1_3gpuE5ELNS1_3repE0EEENS1_48merge_mergepath_partition_config_static_selectorELNS0_4arch9wavefront6targetE1EEEvSM_.private_seg_size, 0
	.set _ZN7rocprim17ROCPRIM_400000_NS6detail17trampoline_kernelINS0_14default_configENS1_38merge_sort_block_merge_config_selectorIlNS0_10empty_typeEEEZZNS1_27merge_sort_block_merge_implIS3_PlPS5_mZN2at6native12_GLOBAL__N_124unique_dim_cuda_templateIhEESt5tupleIJNSA_6TensorESF_SF_EERKSF_lbbbEUlllE_EE10hipError_tT0_T1_T2_jT3_P12ihipStream_tbPNSt15iterator_traitsISL_E10value_typeEPNSR_ISM_E10value_typeEPSN_NS1_7vsmem_tEENKUlT_SL_SM_SN_E_clIS8_S8_S9_S9_EESK_S10_SL_SM_SN_EUlS10_E_NS1_11comp_targetILNS1_3genE10ELNS1_11target_archE1201ELNS1_3gpuE5ELNS1_3repE0EEENS1_48merge_mergepath_partition_config_static_selectorELNS0_4arch9wavefront6targetE1EEEvSM_.uses_vcc, 0
	.set _ZN7rocprim17ROCPRIM_400000_NS6detail17trampoline_kernelINS0_14default_configENS1_38merge_sort_block_merge_config_selectorIlNS0_10empty_typeEEEZZNS1_27merge_sort_block_merge_implIS3_PlPS5_mZN2at6native12_GLOBAL__N_124unique_dim_cuda_templateIhEESt5tupleIJNSA_6TensorESF_SF_EERKSF_lbbbEUlllE_EE10hipError_tT0_T1_T2_jT3_P12ihipStream_tbPNSt15iterator_traitsISL_E10value_typeEPNSR_ISM_E10value_typeEPSN_NS1_7vsmem_tEENKUlT_SL_SM_SN_E_clIS8_S8_S9_S9_EESK_S10_SL_SM_SN_EUlS10_E_NS1_11comp_targetILNS1_3genE10ELNS1_11target_archE1201ELNS1_3gpuE5ELNS1_3repE0EEENS1_48merge_mergepath_partition_config_static_selectorELNS0_4arch9wavefront6targetE1EEEvSM_.uses_flat_scratch, 0
	.set _ZN7rocprim17ROCPRIM_400000_NS6detail17trampoline_kernelINS0_14default_configENS1_38merge_sort_block_merge_config_selectorIlNS0_10empty_typeEEEZZNS1_27merge_sort_block_merge_implIS3_PlPS5_mZN2at6native12_GLOBAL__N_124unique_dim_cuda_templateIhEESt5tupleIJNSA_6TensorESF_SF_EERKSF_lbbbEUlllE_EE10hipError_tT0_T1_T2_jT3_P12ihipStream_tbPNSt15iterator_traitsISL_E10value_typeEPNSR_ISM_E10value_typeEPSN_NS1_7vsmem_tEENKUlT_SL_SM_SN_E_clIS8_S8_S9_S9_EESK_S10_SL_SM_SN_EUlS10_E_NS1_11comp_targetILNS1_3genE10ELNS1_11target_archE1201ELNS1_3gpuE5ELNS1_3repE0EEENS1_48merge_mergepath_partition_config_static_selectorELNS0_4arch9wavefront6targetE1EEEvSM_.has_dyn_sized_stack, 0
	.set _ZN7rocprim17ROCPRIM_400000_NS6detail17trampoline_kernelINS0_14default_configENS1_38merge_sort_block_merge_config_selectorIlNS0_10empty_typeEEEZZNS1_27merge_sort_block_merge_implIS3_PlPS5_mZN2at6native12_GLOBAL__N_124unique_dim_cuda_templateIhEESt5tupleIJNSA_6TensorESF_SF_EERKSF_lbbbEUlllE_EE10hipError_tT0_T1_T2_jT3_P12ihipStream_tbPNSt15iterator_traitsISL_E10value_typeEPNSR_ISM_E10value_typeEPSN_NS1_7vsmem_tEENKUlT_SL_SM_SN_E_clIS8_S8_S9_S9_EESK_S10_SL_SM_SN_EUlS10_E_NS1_11comp_targetILNS1_3genE10ELNS1_11target_archE1201ELNS1_3gpuE5ELNS1_3repE0EEENS1_48merge_mergepath_partition_config_static_selectorELNS0_4arch9wavefront6targetE1EEEvSM_.has_recursion, 0
	.set _ZN7rocprim17ROCPRIM_400000_NS6detail17trampoline_kernelINS0_14default_configENS1_38merge_sort_block_merge_config_selectorIlNS0_10empty_typeEEEZZNS1_27merge_sort_block_merge_implIS3_PlPS5_mZN2at6native12_GLOBAL__N_124unique_dim_cuda_templateIhEESt5tupleIJNSA_6TensorESF_SF_EERKSF_lbbbEUlllE_EE10hipError_tT0_T1_T2_jT3_P12ihipStream_tbPNSt15iterator_traitsISL_E10value_typeEPNSR_ISM_E10value_typeEPSN_NS1_7vsmem_tEENKUlT_SL_SM_SN_E_clIS8_S8_S9_S9_EESK_S10_SL_SM_SN_EUlS10_E_NS1_11comp_targetILNS1_3genE10ELNS1_11target_archE1201ELNS1_3gpuE5ELNS1_3repE0EEENS1_48merge_mergepath_partition_config_static_selectorELNS0_4arch9wavefront6targetE1EEEvSM_.has_indirect_call, 0
	.section	.AMDGPU.csdata,"",@progbits
; Kernel info:
; codeLenInByte = 0
; TotalNumSgprs: 6
; NumVgprs: 0
; NumAgprs: 0
; TotalNumVgprs: 0
; ScratchSize: 0
; MemoryBound: 0
; FloatMode: 240
; IeeeMode: 1
; LDSByteSize: 0 bytes/workgroup (compile time only)
; SGPRBlocks: 0
; VGPRBlocks: 0
; NumSGPRsForWavesPerEU: 6
; NumVGPRsForWavesPerEU: 1
; AccumOffset: 4
; Occupancy: 8
; WaveLimiterHint : 0
; COMPUTE_PGM_RSRC2:SCRATCH_EN: 0
; COMPUTE_PGM_RSRC2:USER_SGPR: 2
; COMPUTE_PGM_RSRC2:TRAP_HANDLER: 0
; COMPUTE_PGM_RSRC2:TGID_X_EN: 1
; COMPUTE_PGM_RSRC2:TGID_Y_EN: 0
; COMPUTE_PGM_RSRC2:TGID_Z_EN: 0
; COMPUTE_PGM_RSRC2:TIDIG_COMP_CNT: 0
; COMPUTE_PGM_RSRC3_GFX90A:ACCUM_OFFSET: 0
; COMPUTE_PGM_RSRC3_GFX90A:TG_SPLIT: 0
	.section	.text._ZN7rocprim17ROCPRIM_400000_NS6detail17trampoline_kernelINS0_14default_configENS1_38merge_sort_block_merge_config_selectorIlNS0_10empty_typeEEEZZNS1_27merge_sort_block_merge_implIS3_PlPS5_mZN2at6native12_GLOBAL__N_124unique_dim_cuda_templateIhEESt5tupleIJNSA_6TensorESF_SF_EERKSF_lbbbEUlllE_EE10hipError_tT0_T1_T2_jT3_P12ihipStream_tbPNSt15iterator_traitsISL_E10value_typeEPNSR_ISM_E10value_typeEPSN_NS1_7vsmem_tEENKUlT_SL_SM_SN_E_clIS8_S8_S9_S9_EESK_S10_SL_SM_SN_EUlS10_E_NS1_11comp_targetILNS1_3genE5ELNS1_11target_archE942ELNS1_3gpuE9ELNS1_3repE0EEENS1_48merge_mergepath_partition_config_static_selectorELNS0_4arch9wavefront6targetE1EEEvSM_,"axG",@progbits,_ZN7rocprim17ROCPRIM_400000_NS6detail17trampoline_kernelINS0_14default_configENS1_38merge_sort_block_merge_config_selectorIlNS0_10empty_typeEEEZZNS1_27merge_sort_block_merge_implIS3_PlPS5_mZN2at6native12_GLOBAL__N_124unique_dim_cuda_templateIhEESt5tupleIJNSA_6TensorESF_SF_EERKSF_lbbbEUlllE_EE10hipError_tT0_T1_T2_jT3_P12ihipStream_tbPNSt15iterator_traitsISL_E10value_typeEPNSR_ISM_E10value_typeEPSN_NS1_7vsmem_tEENKUlT_SL_SM_SN_E_clIS8_S8_S9_S9_EESK_S10_SL_SM_SN_EUlS10_E_NS1_11comp_targetILNS1_3genE5ELNS1_11target_archE942ELNS1_3gpuE9ELNS1_3repE0EEENS1_48merge_mergepath_partition_config_static_selectorELNS0_4arch9wavefront6targetE1EEEvSM_,comdat
	.globl	_ZN7rocprim17ROCPRIM_400000_NS6detail17trampoline_kernelINS0_14default_configENS1_38merge_sort_block_merge_config_selectorIlNS0_10empty_typeEEEZZNS1_27merge_sort_block_merge_implIS3_PlPS5_mZN2at6native12_GLOBAL__N_124unique_dim_cuda_templateIhEESt5tupleIJNSA_6TensorESF_SF_EERKSF_lbbbEUlllE_EE10hipError_tT0_T1_T2_jT3_P12ihipStream_tbPNSt15iterator_traitsISL_E10value_typeEPNSR_ISM_E10value_typeEPSN_NS1_7vsmem_tEENKUlT_SL_SM_SN_E_clIS8_S8_S9_S9_EESK_S10_SL_SM_SN_EUlS10_E_NS1_11comp_targetILNS1_3genE5ELNS1_11target_archE942ELNS1_3gpuE9ELNS1_3repE0EEENS1_48merge_mergepath_partition_config_static_selectorELNS0_4arch9wavefront6targetE1EEEvSM_ ; -- Begin function _ZN7rocprim17ROCPRIM_400000_NS6detail17trampoline_kernelINS0_14default_configENS1_38merge_sort_block_merge_config_selectorIlNS0_10empty_typeEEEZZNS1_27merge_sort_block_merge_implIS3_PlPS5_mZN2at6native12_GLOBAL__N_124unique_dim_cuda_templateIhEESt5tupleIJNSA_6TensorESF_SF_EERKSF_lbbbEUlllE_EE10hipError_tT0_T1_T2_jT3_P12ihipStream_tbPNSt15iterator_traitsISL_E10value_typeEPNSR_ISM_E10value_typeEPSN_NS1_7vsmem_tEENKUlT_SL_SM_SN_E_clIS8_S8_S9_S9_EESK_S10_SL_SM_SN_EUlS10_E_NS1_11comp_targetILNS1_3genE5ELNS1_11target_archE942ELNS1_3gpuE9ELNS1_3repE0EEENS1_48merge_mergepath_partition_config_static_selectorELNS0_4arch9wavefront6targetE1EEEvSM_
	.p2align	8
	.type	_ZN7rocprim17ROCPRIM_400000_NS6detail17trampoline_kernelINS0_14default_configENS1_38merge_sort_block_merge_config_selectorIlNS0_10empty_typeEEEZZNS1_27merge_sort_block_merge_implIS3_PlPS5_mZN2at6native12_GLOBAL__N_124unique_dim_cuda_templateIhEESt5tupleIJNSA_6TensorESF_SF_EERKSF_lbbbEUlllE_EE10hipError_tT0_T1_T2_jT3_P12ihipStream_tbPNSt15iterator_traitsISL_E10value_typeEPNSR_ISM_E10value_typeEPSN_NS1_7vsmem_tEENKUlT_SL_SM_SN_E_clIS8_S8_S9_S9_EESK_S10_SL_SM_SN_EUlS10_E_NS1_11comp_targetILNS1_3genE5ELNS1_11target_archE942ELNS1_3gpuE9ELNS1_3repE0EEENS1_48merge_mergepath_partition_config_static_selectorELNS0_4arch9wavefront6targetE1EEEvSM_,@function
_ZN7rocprim17ROCPRIM_400000_NS6detail17trampoline_kernelINS0_14default_configENS1_38merge_sort_block_merge_config_selectorIlNS0_10empty_typeEEEZZNS1_27merge_sort_block_merge_implIS3_PlPS5_mZN2at6native12_GLOBAL__N_124unique_dim_cuda_templateIhEESt5tupleIJNSA_6TensorESF_SF_EERKSF_lbbbEUlllE_EE10hipError_tT0_T1_T2_jT3_P12ihipStream_tbPNSt15iterator_traitsISL_E10value_typeEPNSR_ISM_E10value_typeEPSN_NS1_7vsmem_tEENKUlT_SL_SM_SN_E_clIS8_S8_S9_S9_EESK_S10_SL_SM_SN_EUlS10_E_NS1_11comp_targetILNS1_3genE5ELNS1_11target_archE942ELNS1_3gpuE9ELNS1_3repE0EEENS1_48merge_mergepath_partition_config_static_selectorELNS0_4arch9wavefront6targetE1EEEvSM_: ; @_ZN7rocprim17ROCPRIM_400000_NS6detail17trampoline_kernelINS0_14default_configENS1_38merge_sort_block_merge_config_selectorIlNS0_10empty_typeEEEZZNS1_27merge_sort_block_merge_implIS3_PlPS5_mZN2at6native12_GLOBAL__N_124unique_dim_cuda_templateIhEESt5tupleIJNSA_6TensorESF_SF_EERKSF_lbbbEUlllE_EE10hipError_tT0_T1_T2_jT3_P12ihipStream_tbPNSt15iterator_traitsISL_E10value_typeEPNSR_ISM_E10value_typeEPSN_NS1_7vsmem_tEENKUlT_SL_SM_SN_E_clIS8_S8_S9_S9_EESK_S10_SL_SM_SN_EUlS10_E_NS1_11comp_targetILNS1_3genE5ELNS1_11target_archE942ELNS1_3gpuE9ELNS1_3repE0EEENS1_48merge_mergepath_partition_config_static_selectorELNS0_4arch9wavefront6targetE1EEEvSM_
; %bb.0:
	.section	.rodata,"a",@progbits
	.p2align	6, 0x0
	.amdhsa_kernel _ZN7rocprim17ROCPRIM_400000_NS6detail17trampoline_kernelINS0_14default_configENS1_38merge_sort_block_merge_config_selectorIlNS0_10empty_typeEEEZZNS1_27merge_sort_block_merge_implIS3_PlPS5_mZN2at6native12_GLOBAL__N_124unique_dim_cuda_templateIhEESt5tupleIJNSA_6TensorESF_SF_EERKSF_lbbbEUlllE_EE10hipError_tT0_T1_T2_jT3_P12ihipStream_tbPNSt15iterator_traitsISL_E10value_typeEPNSR_ISM_E10value_typeEPSN_NS1_7vsmem_tEENKUlT_SL_SM_SN_E_clIS8_S8_S9_S9_EESK_S10_SL_SM_SN_EUlS10_E_NS1_11comp_targetILNS1_3genE5ELNS1_11target_archE942ELNS1_3gpuE9ELNS1_3repE0EEENS1_48merge_mergepath_partition_config_static_selectorELNS0_4arch9wavefront6targetE1EEEvSM_
		.amdhsa_group_segment_fixed_size 0
		.amdhsa_private_segment_fixed_size 0
		.amdhsa_kernarg_size 56
		.amdhsa_user_sgpr_count 2
		.amdhsa_user_sgpr_dispatch_ptr 0
		.amdhsa_user_sgpr_queue_ptr 0
		.amdhsa_user_sgpr_kernarg_segment_ptr 1
		.amdhsa_user_sgpr_dispatch_id 0
		.amdhsa_user_sgpr_kernarg_preload_length 0
		.amdhsa_user_sgpr_kernarg_preload_offset 0
		.amdhsa_user_sgpr_private_segment_size 0
		.amdhsa_uses_dynamic_stack 0
		.amdhsa_enable_private_segment 0
		.amdhsa_system_sgpr_workgroup_id_x 1
		.amdhsa_system_sgpr_workgroup_id_y 0
		.amdhsa_system_sgpr_workgroup_id_z 0
		.amdhsa_system_sgpr_workgroup_info 0
		.amdhsa_system_vgpr_workitem_id 0
		.amdhsa_next_free_vgpr 1
		.amdhsa_next_free_sgpr 0
		.amdhsa_accum_offset 4
		.amdhsa_reserve_vcc 0
		.amdhsa_float_round_mode_32 0
		.amdhsa_float_round_mode_16_64 0
		.amdhsa_float_denorm_mode_32 3
		.amdhsa_float_denorm_mode_16_64 3
		.amdhsa_dx10_clamp 1
		.amdhsa_ieee_mode 1
		.amdhsa_fp16_overflow 0
		.amdhsa_tg_split 0
		.amdhsa_exception_fp_ieee_invalid_op 0
		.amdhsa_exception_fp_denorm_src 0
		.amdhsa_exception_fp_ieee_div_zero 0
		.amdhsa_exception_fp_ieee_overflow 0
		.amdhsa_exception_fp_ieee_underflow 0
		.amdhsa_exception_fp_ieee_inexact 0
		.amdhsa_exception_int_div_zero 0
	.end_amdhsa_kernel
	.section	.text._ZN7rocprim17ROCPRIM_400000_NS6detail17trampoline_kernelINS0_14default_configENS1_38merge_sort_block_merge_config_selectorIlNS0_10empty_typeEEEZZNS1_27merge_sort_block_merge_implIS3_PlPS5_mZN2at6native12_GLOBAL__N_124unique_dim_cuda_templateIhEESt5tupleIJNSA_6TensorESF_SF_EERKSF_lbbbEUlllE_EE10hipError_tT0_T1_T2_jT3_P12ihipStream_tbPNSt15iterator_traitsISL_E10value_typeEPNSR_ISM_E10value_typeEPSN_NS1_7vsmem_tEENKUlT_SL_SM_SN_E_clIS8_S8_S9_S9_EESK_S10_SL_SM_SN_EUlS10_E_NS1_11comp_targetILNS1_3genE5ELNS1_11target_archE942ELNS1_3gpuE9ELNS1_3repE0EEENS1_48merge_mergepath_partition_config_static_selectorELNS0_4arch9wavefront6targetE1EEEvSM_,"axG",@progbits,_ZN7rocprim17ROCPRIM_400000_NS6detail17trampoline_kernelINS0_14default_configENS1_38merge_sort_block_merge_config_selectorIlNS0_10empty_typeEEEZZNS1_27merge_sort_block_merge_implIS3_PlPS5_mZN2at6native12_GLOBAL__N_124unique_dim_cuda_templateIhEESt5tupleIJNSA_6TensorESF_SF_EERKSF_lbbbEUlllE_EE10hipError_tT0_T1_T2_jT3_P12ihipStream_tbPNSt15iterator_traitsISL_E10value_typeEPNSR_ISM_E10value_typeEPSN_NS1_7vsmem_tEENKUlT_SL_SM_SN_E_clIS8_S8_S9_S9_EESK_S10_SL_SM_SN_EUlS10_E_NS1_11comp_targetILNS1_3genE5ELNS1_11target_archE942ELNS1_3gpuE9ELNS1_3repE0EEENS1_48merge_mergepath_partition_config_static_selectorELNS0_4arch9wavefront6targetE1EEEvSM_,comdat
.Lfunc_end20:
	.size	_ZN7rocprim17ROCPRIM_400000_NS6detail17trampoline_kernelINS0_14default_configENS1_38merge_sort_block_merge_config_selectorIlNS0_10empty_typeEEEZZNS1_27merge_sort_block_merge_implIS3_PlPS5_mZN2at6native12_GLOBAL__N_124unique_dim_cuda_templateIhEESt5tupleIJNSA_6TensorESF_SF_EERKSF_lbbbEUlllE_EE10hipError_tT0_T1_T2_jT3_P12ihipStream_tbPNSt15iterator_traitsISL_E10value_typeEPNSR_ISM_E10value_typeEPSN_NS1_7vsmem_tEENKUlT_SL_SM_SN_E_clIS8_S8_S9_S9_EESK_S10_SL_SM_SN_EUlS10_E_NS1_11comp_targetILNS1_3genE5ELNS1_11target_archE942ELNS1_3gpuE9ELNS1_3repE0EEENS1_48merge_mergepath_partition_config_static_selectorELNS0_4arch9wavefront6targetE1EEEvSM_, .Lfunc_end20-_ZN7rocprim17ROCPRIM_400000_NS6detail17trampoline_kernelINS0_14default_configENS1_38merge_sort_block_merge_config_selectorIlNS0_10empty_typeEEEZZNS1_27merge_sort_block_merge_implIS3_PlPS5_mZN2at6native12_GLOBAL__N_124unique_dim_cuda_templateIhEESt5tupleIJNSA_6TensorESF_SF_EERKSF_lbbbEUlllE_EE10hipError_tT0_T1_T2_jT3_P12ihipStream_tbPNSt15iterator_traitsISL_E10value_typeEPNSR_ISM_E10value_typeEPSN_NS1_7vsmem_tEENKUlT_SL_SM_SN_E_clIS8_S8_S9_S9_EESK_S10_SL_SM_SN_EUlS10_E_NS1_11comp_targetILNS1_3genE5ELNS1_11target_archE942ELNS1_3gpuE9ELNS1_3repE0EEENS1_48merge_mergepath_partition_config_static_selectorELNS0_4arch9wavefront6targetE1EEEvSM_
                                        ; -- End function
	.set _ZN7rocprim17ROCPRIM_400000_NS6detail17trampoline_kernelINS0_14default_configENS1_38merge_sort_block_merge_config_selectorIlNS0_10empty_typeEEEZZNS1_27merge_sort_block_merge_implIS3_PlPS5_mZN2at6native12_GLOBAL__N_124unique_dim_cuda_templateIhEESt5tupleIJNSA_6TensorESF_SF_EERKSF_lbbbEUlllE_EE10hipError_tT0_T1_T2_jT3_P12ihipStream_tbPNSt15iterator_traitsISL_E10value_typeEPNSR_ISM_E10value_typeEPSN_NS1_7vsmem_tEENKUlT_SL_SM_SN_E_clIS8_S8_S9_S9_EESK_S10_SL_SM_SN_EUlS10_E_NS1_11comp_targetILNS1_3genE5ELNS1_11target_archE942ELNS1_3gpuE9ELNS1_3repE0EEENS1_48merge_mergepath_partition_config_static_selectorELNS0_4arch9wavefront6targetE1EEEvSM_.num_vgpr, 0
	.set _ZN7rocprim17ROCPRIM_400000_NS6detail17trampoline_kernelINS0_14default_configENS1_38merge_sort_block_merge_config_selectorIlNS0_10empty_typeEEEZZNS1_27merge_sort_block_merge_implIS3_PlPS5_mZN2at6native12_GLOBAL__N_124unique_dim_cuda_templateIhEESt5tupleIJNSA_6TensorESF_SF_EERKSF_lbbbEUlllE_EE10hipError_tT0_T1_T2_jT3_P12ihipStream_tbPNSt15iterator_traitsISL_E10value_typeEPNSR_ISM_E10value_typeEPSN_NS1_7vsmem_tEENKUlT_SL_SM_SN_E_clIS8_S8_S9_S9_EESK_S10_SL_SM_SN_EUlS10_E_NS1_11comp_targetILNS1_3genE5ELNS1_11target_archE942ELNS1_3gpuE9ELNS1_3repE0EEENS1_48merge_mergepath_partition_config_static_selectorELNS0_4arch9wavefront6targetE1EEEvSM_.num_agpr, 0
	.set _ZN7rocprim17ROCPRIM_400000_NS6detail17trampoline_kernelINS0_14default_configENS1_38merge_sort_block_merge_config_selectorIlNS0_10empty_typeEEEZZNS1_27merge_sort_block_merge_implIS3_PlPS5_mZN2at6native12_GLOBAL__N_124unique_dim_cuda_templateIhEESt5tupleIJNSA_6TensorESF_SF_EERKSF_lbbbEUlllE_EE10hipError_tT0_T1_T2_jT3_P12ihipStream_tbPNSt15iterator_traitsISL_E10value_typeEPNSR_ISM_E10value_typeEPSN_NS1_7vsmem_tEENKUlT_SL_SM_SN_E_clIS8_S8_S9_S9_EESK_S10_SL_SM_SN_EUlS10_E_NS1_11comp_targetILNS1_3genE5ELNS1_11target_archE942ELNS1_3gpuE9ELNS1_3repE0EEENS1_48merge_mergepath_partition_config_static_selectorELNS0_4arch9wavefront6targetE1EEEvSM_.numbered_sgpr, 0
	.set _ZN7rocprim17ROCPRIM_400000_NS6detail17trampoline_kernelINS0_14default_configENS1_38merge_sort_block_merge_config_selectorIlNS0_10empty_typeEEEZZNS1_27merge_sort_block_merge_implIS3_PlPS5_mZN2at6native12_GLOBAL__N_124unique_dim_cuda_templateIhEESt5tupleIJNSA_6TensorESF_SF_EERKSF_lbbbEUlllE_EE10hipError_tT0_T1_T2_jT3_P12ihipStream_tbPNSt15iterator_traitsISL_E10value_typeEPNSR_ISM_E10value_typeEPSN_NS1_7vsmem_tEENKUlT_SL_SM_SN_E_clIS8_S8_S9_S9_EESK_S10_SL_SM_SN_EUlS10_E_NS1_11comp_targetILNS1_3genE5ELNS1_11target_archE942ELNS1_3gpuE9ELNS1_3repE0EEENS1_48merge_mergepath_partition_config_static_selectorELNS0_4arch9wavefront6targetE1EEEvSM_.num_named_barrier, 0
	.set _ZN7rocprim17ROCPRIM_400000_NS6detail17trampoline_kernelINS0_14default_configENS1_38merge_sort_block_merge_config_selectorIlNS0_10empty_typeEEEZZNS1_27merge_sort_block_merge_implIS3_PlPS5_mZN2at6native12_GLOBAL__N_124unique_dim_cuda_templateIhEESt5tupleIJNSA_6TensorESF_SF_EERKSF_lbbbEUlllE_EE10hipError_tT0_T1_T2_jT3_P12ihipStream_tbPNSt15iterator_traitsISL_E10value_typeEPNSR_ISM_E10value_typeEPSN_NS1_7vsmem_tEENKUlT_SL_SM_SN_E_clIS8_S8_S9_S9_EESK_S10_SL_SM_SN_EUlS10_E_NS1_11comp_targetILNS1_3genE5ELNS1_11target_archE942ELNS1_3gpuE9ELNS1_3repE0EEENS1_48merge_mergepath_partition_config_static_selectorELNS0_4arch9wavefront6targetE1EEEvSM_.private_seg_size, 0
	.set _ZN7rocprim17ROCPRIM_400000_NS6detail17trampoline_kernelINS0_14default_configENS1_38merge_sort_block_merge_config_selectorIlNS0_10empty_typeEEEZZNS1_27merge_sort_block_merge_implIS3_PlPS5_mZN2at6native12_GLOBAL__N_124unique_dim_cuda_templateIhEESt5tupleIJNSA_6TensorESF_SF_EERKSF_lbbbEUlllE_EE10hipError_tT0_T1_T2_jT3_P12ihipStream_tbPNSt15iterator_traitsISL_E10value_typeEPNSR_ISM_E10value_typeEPSN_NS1_7vsmem_tEENKUlT_SL_SM_SN_E_clIS8_S8_S9_S9_EESK_S10_SL_SM_SN_EUlS10_E_NS1_11comp_targetILNS1_3genE5ELNS1_11target_archE942ELNS1_3gpuE9ELNS1_3repE0EEENS1_48merge_mergepath_partition_config_static_selectorELNS0_4arch9wavefront6targetE1EEEvSM_.uses_vcc, 0
	.set _ZN7rocprim17ROCPRIM_400000_NS6detail17trampoline_kernelINS0_14default_configENS1_38merge_sort_block_merge_config_selectorIlNS0_10empty_typeEEEZZNS1_27merge_sort_block_merge_implIS3_PlPS5_mZN2at6native12_GLOBAL__N_124unique_dim_cuda_templateIhEESt5tupleIJNSA_6TensorESF_SF_EERKSF_lbbbEUlllE_EE10hipError_tT0_T1_T2_jT3_P12ihipStream_tbPNSt15iterator_traitsISL_E10value_typeEPNSR_ISM_E10value_typeEPSN_NS1_7vsmem_tEENKUlT_SL_SM_SN_E_clIS8_S8_S9_S9_EESK_S10_SL_SM_SN_EUlS10_E_NS1_11comp_targetILNS1_3genE5ELNS1_11target_archE942ELNS1_3gpuE9ELNS1_3repE0EEENS1_48merge_mergepath_partition_config_static_selectorELNS0_4arch9wavefront6targetE1EEEvSM_.uses_flat_scratch, 0
	.set _ZN7rocprim17ROCPRIM_400000_NS6detail17trampoline_kernelINS0_14default_configENS1_38merge_sort_block_merge_config_selectorIlNS0_10empty_typeEEEZZNS1_27merge_sort_block_merge_implIS3_PlPS5_mZN2at6native12_GLOBAL__N_124unique_dim_cuda_templateIhEESt5tupleIJNSA_6TensorESF_SF_EERKSF_lbbbEUlllE_EE10hipError_tT0_T1_T2_jT3_P12ihipStream_tbPNSt15iterator_traitsISL_E10value_typeEPNSR_ISM_E10value_typeEPSN_NS1_7vsmem_tEENKUlT_SL_SM_SN_E_clIS8_S8_S9_S9_EESK_S10_SL_SM_SN_EUlS10_E_NS1_11comp_targetILNS1_3genE5ELNS1_11target_archE942ELNS1_3gpuE9ELNS1_3repE0EEENS1_48merge_mergepath_partition_config_static_selectorELNS0_4arch9wavefront6targetE1EEEvSM_.has_dyn_sized_stack, 0
	.set _ZN7rocprim17ROCPRIM_400000_NS6detail17trampoline_kernelINS0_14default_configENS1_38merge_sort_block_merge_config_selectorIlNS0_10empty_typeEEEZZNS1_27merge_sort_block_merge_implIS3_PlPS5_mZN2at6native12_GLOBAL__N_124unique_dim_cuda_templateIhEESt5tupleIJNSA_6TensorESF_SF_EERKSF_lbbbEUlllE_EE10hipError_tT0_T1_T2_jT3_P12ihipStream_tbPNSt15iterator_traitsISL_E10value_typeEPNSR_ISM_E10value_typeEPSN_NS1_7vsmem_tEENKUlT_SL_SM_SN_E_clIS8_S8_S9_S9_EESK_S10_SL_SM_SN_EUlS10_E_NS1_11comp_targetILNS1_3genE5ELNS1_11target_archE942ELNS1_3gpuE9ELNS1_3repE0EEENS1_48merge_mergepath_partition_config_static_selectorELNS0_4arch9wavefront6targetE1EEEvSM_.has_recursion, 0
	.set _ZN7rocprim17ROCPRIM_400000_NS6detail17trampoline_kernelINS0_14default_configENS1_38merge_sort_block_merge_config_selectorIlNS0_10empty_typeEEEZZNS1_27merge_sort_block_merge_implIS3_PlPS5_mZN2at6native12_GLOBAL__N_124unique_dim_cuda_templateIhEESt5tupleIJNSA_6TensorESF_SF_EERKSF_lbbbEUlllE_EE10hipError_tT0_T1_T2_jT3_P12ihipStream_tbPNSt15iterator_traitsISL_E10value_typeEPNSR_ISM_E10value_typeEPSN_NS1_7vsmem_tEENKUlT_SL_SM_SN_E_clIS8_S8_S9_S9_EESK_S10_SL_SM_SN_EUlS10_E_NS1_11comp_targetILNS1_3genE5ELNS1_11target_archE942ELNS1_3gpuE9ELNS1_3repE0EEENS1_48merge_mergepath_partition_config_static_selectorELNS0_4arch9wavefront6targetE1EEEvSM_.has_indirect_call, 0
	.section	.AMDGPU.csdata,"",@progbits
; Kernel info:
; codeLenInByte = 0
; TotalNumSgprs: 6
; NumVgprs: 0
; NumAgprs: 0
; TotalNumVgprs: 0
; ScratchSize: 0
; MemoryBound: 0
; FloatMode: 240
; IeeeMode: 1
; LDSByteSize: 0 bytes/workgroup (compile time only)
; SGPRBlocks: 0
; VGPRBlocks: 0
; NumSGPRsForWavesPerEU: 6
; NumVGPRsForWavesPerEU: 1
; AccumOffset: 4
; Occupancy: 8
; WaveLimiterHint : 0
; COMPUTE_PGM_RSRC2:SCRATCH_EN: 0
; COMPUTE_PGM_RSRC2:USER_SGPR: 2
; COMPUTE_PGM_RSRC2:TRAP_HANDLER: 0
; COMPUTE_PGM_RSRC2:TGID_X_EN: 1
; COMPUTE_PGM_RSRC2:TGID_Y_EN: 0
; COMPUTE_PGM_RSRC2:TGID_Z_EN: 0
; COMPUTE_PGM_RSRC2:TIDIG_COMP_CNT: 0
; COMPUTE_PGM_RSRC3_GFX90A:ACCUM_OFFSET: 0
; COMPUTE_PGM_RSRC3_GFX90A:TG_SPLIT: 0
	.section	.text._ZN7rocprim17ROCPRIM_400000_NS6detail17trampoline_kernelINS0_14default_configENS1_38merge_sort_block_merge_config_selectorIlNS0_10empty_typeEEEZZNS1_27merge_sort_block_merge_implIS3_PlPS5_mZN2at6native12_GLOBAL__N_124unique_dim_cuda_templateIhEESt5tupleIJNSA_6TensorESF_SF_EERKSF_lbbbEUlllE_EE10hipError_tT0_T1_T2_jT3_P12ihipStream_tbPNSt15iterator_traitsISL_E10value_typeEPNSR_ISM_E10value_typeEPSN_NS1_7vsmem_tEENKUlT_SL_SM_SN_E_clIS8_S8_S9_S9_EESK_S10_SL_SM_SN_EUlS10_E_NS1_11comp_targetILNS1_3genE4ELNS1_11target_archE910ELNS1_3gpuE8ELNS1_3repE0EEENS1_48merge_mergepath_partition_config_static_selectorELNS0_4arch9wavefront6targetE1EEEvSM_,"axG",@progbits,_ZN7rocprim17ROCPRIM_400000_NS6detail17trampoline_kernelINS0_14default_configENS1_38merge_sort_block_merge_config_selectorIlNS0_10empty_typeEEEZZNS1_27merge_sort_block_merge_implIS3_PlPS5_mZN2at6native12_GLOBAL__N_124unique_dim_cuda_templateIhEESt5tupleIJNSA_6TensorESF_SF_EERKSF_lbbbEUlllE_EE10hipError_tT0_T1_T2_jT3_P12ihipStream_tbPNSt15iterator_traitsISL_E10value_typeEPNSR_ISM_E10value_typeEPSN_NS1_7vsmem_tEENKUlT_SL_SM_SN_E_clIS8_S8_S9_S9_EESK_S10_SL_SM_SN_EUlS10_E_NS1_11comp_targetILNS1_3genE4ELNS1_11target_archE910ELNS1_3gpuE8ELNS1_3repE0EEENS1_48merge_mergepath_partition_config_static_selectorELNS0_4arch9wavefront6targetE1EEEvSM_,comdat
	.globl	_ZN7rocprim17ROCPRIM_400000_NS6detail17trampoline_kernelINS0_14default_configENS1_38merge_sort_block_merge_config_selectorIlNS0_10empty_typeEEEZZNS1_27merge_sort_block_merge_implIS3_PlPS5_mZN2at6native12_GLOBAL__N_124unique_dim_cuda_templateIhEESt5tupleIJNSA_6TensorESF_SF_EERKSF_lbbbEUlllE_EE10hipError_tT0_T1_T2_jT3_P12ihipStream_tbPNSt15iterator_traitsISL_E10value_typeEPNSR_ISM_E10value_typeEPSN_NS1_7vsmem_tEENKUlT_SL_SM_SN_E_clIS8_S8_S9_S9_EESK_S10_SL_SM_SN_EUlS10_E_NS1_11comp_targetILNS1_3genE4ELNS1_11target_archE910ELNS1_3gpuE8ELNS1_3repE0EEENS1_48merge_mergepath_partition_config_static_selectorELNS0_4arch9wavefront6targetE1EEEvSM_ ; -- Begin function _ZN7rocprim17ROCPRIM_400000_NS6detail17trampoline_kernelINS0_14default_configENS1_38merge_sort_block_merge_config_selectorIlNS0_10empty_typeEEEZZNS1_27merge_sort_block_merge_implIS3_PlPS5_mZN2at6native12_GLOBAL__N_124unique_dim_cuda_templateIhEESt5tupleIJNSA_6TensorESF_SF_EERKSF_lbbbEUlllE_EE10hipError_tT0_T1_T2_jT3_P12ihipStream_tbPNSt15iterator_traitsISL_E10value_typeEPNSR_ISM_E10value_typeEPSN_NS1_7vsmem_tEENKUlT_SL_SM_SN_E_clIS8_S8_S9_S9_EESK_S10_SL_SM_SN_EUlS10_E_NS1_11comp_targetILNS1_3genE4ELNS1_11target_archE910ELNS1_3gpuE8ELNS1_3repE0EEENS1_48merge_mergepath_partition_config_static_selectorELNS0_4arch9wavefront6targetE1EEEvSM_
	.p2align	8
	.type	_ZN7rocprim17ROCPRIM_400000_NS6detail17trampoline_kernelINS0_14default_configENS1_38merge_sort_block_merge_config_selectorIlNS0_10empty_typeEEEZZNS1_27merge_sort_block_merge_implIS3_PlPS5_mZN2at6native12_GLOBAL__N_124unique_dim_cuda_templateIhEESt5tupleIJNSA_6TensorESF_SF_EERKSF_lbbbEUlllE_EE10hipError_tT0_T1_T2_jT3_P12ihipStream_tbPNSt15iterator_traitsISL_E10value_typeEPNSR_ISM_E10value_typeEPSN_NS1_7vsmem_tEENKUlT_SL_SM_SN_E_clIS8_S8_S9_S9_EESK_S10_SL_SM_SN_EUlS10_E_NS1_11comp_targetILNS1_3genE4ELNS1_11target_archE910ELNS1_3gpuE8ELNS1_3repE0EEENS1_48merge_mergepath_partition_config_static_selectorELNS0_4arch9wavefront6targetE1EEEvSM_,@function
_ZN7rocprim17ROCPRIM_400000_NS6detail17trampoline_kernelINS0_14default_configENS1_38merge_sort_block_merge_config_selectorIlNS0_10empty_typeEEEZZNS1_27merge_sort_block_merge_implIS3_PlPS5_mZN2at6native12_GLOBAL__N_124unique_dim_cuda_templateIhEESt5tupleIJNSA_6TensorESF_SF_EERKSF_lbbbEUlllE_EE10hipError_tT0_T1_T2_jT3_P12ihipStream_tbPNSt15iterator_traitsISL_E10value_typeEPNSR_ISM_E10value_typeEPSN_NS1_7vsmem_tEENKUlT_SL_SM_SN_E_clIS8_S8_S9_S9_EESK_S10_SL_SM_SN_EUlS10_E_NS1_11comp_targetILNS1_3genE4ELNS1_11target_archE910ELNS1_3gpuE8ELNS1_3repE0EEENS1_48merge_mergepath_partition_config_static_selectorELNS0_4arch9wavefront6targetE1EEEvSM_: ; @_ZN7rocprim17ROCPRIM_400000_NS6detail17trampoline_kernelINS0_14default_configENS1_38merge_sort_block_merge_config_selectorIlNS0_10empty_typeEEEZZNS1_27merge_sort_block_merge_implIS3_PlPS5_mZN2at6native12_GLOBAL__N_124unique_dim_cuda_templateIhEESt5tupleIJNSA_6TensorESF_SF_EERKSF_lbbbEUlllE_EE10hipError_tT0_T1_T2_jT3_P12ihipStream_tbPNSt15iterator_traitsISL_E10value_typeEPNSR_ISM_E10value_typeEPSN_NS1_7vsmem_tEENKUlT_SL_SM_SN_E_clIS8_S8_S9_S9_EESK_S10_SL_SM_SN_EUlS10_E_NS1_11comp_targetILNS1_3genE4ELNS1_11target_archE910ELNS1_3gpuE8ELNS1_3repE0EEENS1_48merge_mergepath_partition_config_static_selectorELNS0_4arch9wavefront6targetE1EEEvSM_
; %bb.0:
	.section	.rodata,"a",@progbits
	.p2align	6, 0x0
	.amdhsa_kernel _ZN7rocprim17ROCPRIM_400000_NS6detail17trampoline_kernelINS0_14default_configENS1_38merge_sort_block_merge_config_selectorIlNS0_10empty_typeEEEZZNS1_27merge_sort_block_merge_implIS3_PlPS5_mZN2at6native12_GLOBAL__N_124unique_dim_cuda_templateIhEESt5tupleIJNSA_6TensorESF_SF_EERKSF_lbbbEUlllE_EE10hipError_tT0_T1_T2_jT3_P12ihipStream_tbPNSt15iterator_traitsISL_E10value_typeEPNSR_ISM_E10value_typeEPSN_NS1_7vsmem_tEENKUlT_SL_SM_SN_E_clIS8_S8_S9_S9_EESK_S10_SL_SM_SN_EUlS10_E_NS1_11comp_targetILNS1_3genE4ELNS1_11target_archE910ELNS1_3gpuE8ELNS1_3repE0EEENS1_48merge_mergepath_partition_config_static_selectorELNS0_4arch9wavefront6targetE1EEEvSM_
		.amdhsa_group_segment_fixed_size 0
		.amdhsa_private_segment_fixed_size 0
		.amdhsa_kernarg_size 56
		.amdhsa_user_sgpr_count 2
		.amdhsa_user_sgpr_dispatch_ptr 0
		.amdhsa_user_sgpr_queue_ptr 0
		.amdhsa_user_sgpr_kernarg_segment_ptr 1
		.amdhsa_user_sgpr_dispatch_id 0
		.amdhsa_user_sgpr_kernarg_preload_length 0
		.amdhsa_user_sgpr_kernarg_preload_offset 0
		.amdhsa_user_sgpr_private_segment_size 0
		.amdhsa_uses_dynamic_stack 0
		.amdhsa_enable_private_segment 0
		.amdhsa_system_sgpr_workgroup_id_x 1
		.amdhsa_system_sgpr_workgroup_id_y 0
		.amdhsa_system_sgpr_workgroup_id_z 0
		.amdhsa_system_sgpr_workgroup_info 0
		.amdhsa_system_vgpr_workitem_id 0
		.amdhsa_next_free_vgpr 1
		.amdhsa_next_free_sgpr 0
		.amdhsa_accum_offset 4
		.amdhsa_reserve_vcc 0
		.amdhsa_float_round_mode_32 0
		.amdhsa_float_round_mode_16_64 0
		.amdhsa_float_denorm_mode_32 3
		.amdhsa_float_denorm_mode_16_64 3
		.amdhsa_dx10_clamp 1
		.amdhsa_ieee_mode 1
		.amdhsa_fp16_overflow 0
		.amdhsa_tg_split 0
		.amdhsa_exception_fp_ieee_invalid_op 0
		.amdhsa_exception_fp_denorm_src 0
		.amdhsa_exception_fp_ieee_div_zero 0
		.amdhsa_exception_fp_ieee_overflow 0
		.amdhsa_exception_fp_ieee_underflow 0
		.amdhsa_exception_fp_ieee_inexact 0
		.amdhsa_exception_int_div_zero 0
	.end_amdhsa_kernel
	.section	.text._ZN7rocprim17ROCPRIM_400000_NS6detail17trampoline_kernelINS0_14default_configENS1_38merge_sort_block_merge_config_selectorIlNS0_10empty_typeEEEZZNS1_27merge_sort_block_merge_implIS3_PlPS5_mZN2at6native12_GLOBAL__N_124unique_dim_cuda_templateIhEESt5tupleIJNSA_6TensorESF_SF_EERKSF_lbbbEUlllE_EE10hipError_tT0_T1_T2_jT3_P12ihipStream_tbPNSt15iterator_traitsISL_E10value_typeEPNSR_ISM_E10value_typeEPSN_NS1_7vsmem_tEENKUlT_SL_SM_SN_E_clIS8_S8_S9_S9_EESK_S10_SL_SM_SN_EUlS10_E_NS1_11comp_targetILNS1_3genE4ELNS1_11target_archE910ELNS1_3gpuE8ELNS1_3repE0EEENS1_48merge_mergepath_partition_config_static_selectorELNS0_4arch9wavefront6targetE1EEEvSM_,"axG",@progbits,_ZN7rocprim17ROCPRIM_400000_NS6detail17trampoline_kernelINS0_14default_configENS1_38merge_sort_block_merge_config_selectorIlNS0_10empty_typeEEEZZNS1_27merge_sort_block_merge_implIS3_PlPS5_mZN2at6native12_GLOBAL__N_124unique_dim_cuda_templateIhEESt5tupleIJNSA_6TensorESF_SF_EERKSF_lbbbEUlllE_EE10hipError_tT0_T1_T2_jT3_P12ihipStream_tbPNSt15iterator_traitsISL_E10value_typeEPNSR_ISM_E10value_typeEPSN_NS1_7vsmem_tEENKUlT_SL_SM_SN_E_clIS8_S8_S9_S9_EESK_S10_SL_SM_SN_EUlS10_E_NS1_11comp_targetILNS1_3genE4ELNS1_11target_archE910ELNS1_3gpuE8ELNS1_3repE0EEENS1_48merge_mergepath_partition_config_static_selectorELNS0_4arch9wavefront6targetE1EEEvSM_,comdat
.Lfunc_end21:
	.size	_ZN7rocprim17ROCPRIM_400000_NS6detail17trampoline_kernelINS0_14default_configENS1_38merge_sort_block_merge_config_selectorIlNS0_10empty_typeEEEZZNS1_27merge_sort_block_merge_implIS3_PlPS5_mZN2at6native12_GLOBAL__N_124unique_dim_cuda_templateIhEESt5tupleIJNSA_6TensorESF_SF_EERKSF_lbbbEUlllE_EE10hipError_tT0_T1_T2_jT3_P12ihipStream_tbPNSt15iterator_traitsISL_E10value_typeEPNSR_ISM_E10value_typeEPSN_NS1_7vsmem_tEENKUlT_SL_SM_SN_E_clIS8_S8_S9_S9_EESK_S10_SL_SM_SN_EUlS10_E_NS1_11comp_targetILNS1_3genE4ELNS1_11target_archE910ELNS1_3gpuE8ELNS1_3repE0EEENS1_48merge_mergepath_partition_config_static_selectorELNS0_4arch9wavefront6targetE1EEEvSM_, .Lfunc_end21-_ZN7rocprim17ROCPRIM_400000_NS6detail17trampoline_kernelINS0_14default_configENS1_38merge_sort_block_merge_config_selectorIlNS0_10empty_typeEEEZZNS1_27merge_sort_block_merge_implIS3_PlPS5_mZN2at6native12_GLOBAL__N_124unique_dim_cuda_templateIhEESt5tupleIJNSA_6TensorESF_SF_EERKSF_lbbbEUlllE_EE10hipError_tT0_T1_T2_jT3_P12ihipStream_tbPNSt15iterator_traitsISL_E10value_typeEPNSR_ISM_E10value_typeEPSN_NS1_7vsmem_tEENKUlT_SL_SM_SN_E_clIS8_S8_S9_S9_EESK_S10_SL_SM_SN_EUlS10_E_NS1_11comp_targetILNS1_3genE4ELNS1_11target_archE910ELNS1_3gpuE8ELNS1_3repE0EEENS1_48merge_mergepath_partition_config_static_selectorELNS0_4arch9wavefront6targetE1EEEvSM_
                                        ; -- End function
	.set _ZN7rocprim17ROCPRIM_400000_NS6detail17trampoline_kernelINS0_14default_configENS1_38merge_sort_block_merge_config_selectorIlNS0_10empty_typeEEEZZNS1_27merge_sort_block_merge_implIS3_PlPS5_mZN2at6native12_GLOBAL__N_124unique_dim_cuda_templateIhEESt5tupleIJNSA_6TensorESF_SF_EERKSF_lbbbEUlllE_EE10hipError_tT0_T1_T2_jT3_P12ihipStream_tbPNSt15iterator_traitsISL_E10value_typeEPNSR_ISM_E10value_typeEPSN_NS1_7vsmem_tEENKUlT_SL_SM_SN_E_clIS8_S8_S9_S9_EESK_S10_SL_SM_SN_EUlS10_E_NS1_11comp_targetILNS1_3genE4ELNS1_11target_archE910ELNS1_3gpuE8ELNS1_3repE0EEENS1_48merge_mergepath_partition_config_static_selectorELNS0_4arch9wavefront6targetE1EEEvSM_.num_vgpr, 0
	.set _ZN7rocprim17ROCPRIM_400000_NS6detail17trampoline_kernelINS0_14default_configENS1_38merge_sort_block_merge_config_selectorIlNS0_10empty_typeEEEZZNS1_27merge_sort_block_merge_implIS3_PlPS5_mZN2at6native12_GLOBAL__N_124unique_dim_cuda_templateIhEESt5tupleIJNSA_6TensorESF_SF_EERKSF_lbbbEUlllE_EE10hipError_tT0_T1_T2_jT3_P12ihipStream_tbPNSt15iterator_traitsISL_E10value_typeEPNSR_ISM_E10value_typeEPSN_NS1_7vsmem_tEENKUlT_SL_SM_SN_E_clIS8_S8_S9_S9_EESK_S10_SL_SM_SN_EUlS10_E_NS1_11comp_targetILNS1_3genE4ELNS1_11target_archE910ELNS1_3gpuE8ELNS1_3repE0EEENS1_48merge_mergepath_partition_config_static_selectorELNS0_4arch9wavefront6targetE1EEEvSM_.num_agpr, 0
	.set _ZN7rocprim17ROCPRIM_400000_NS6detail17trampoline_kernelINS0_14default_configENS1_38merge_sort_block_merge_config_selectorIlNS0_10empty_typeEEEZZNS1_27merge_sort_block_merge_implIS3_PlPS5_mZN2at6native12_GLOBAL__N_124unique_dim_cuda_templateIhEESt5tupleIJNSA_6TensorESF_SF_EERKSF_lbbbEUlllE_EE10hipError_tT0_T1_T2_jT3_P12ihipStream_tbPNSt15iterator_traitsISL_E10value_typeEPNSR_ISM_E10value_typeEPSN_NS1_7vsmem_tEENKUlT_SL_SM_SN_E_clIS8_S8_S9_S9_EESK_S10_SL_SM_SN_EUlS10_E_NS1_11comp_targetILNS1_3genE4ELNS1_11target_archE910ELNS1_3gpuE8ELNS1_3repE0EEENS1_48merge_mergepath_partition_config_static_selectorELNS0_4arch9wavefront6targetE1EEEvSM_.numbered_sgpr, 0
	.set _ZN7rocprim17ROCPRIM_400000_NS6detail17trampoline_kernelINS0_14default_configENS1_38merge_sort_block_merge_config_selectorIlNS0_10empty_typeEEEZZNS1_27merge_sort_block_merge_implIS3_PlPS5_mZN2at6native12_GLOBAL__N_124unique_dim_cuda_templateIhEESt5tupleIJNSA_6TensorESF_SF_EERKSF_lbbbEUlllE_EE10hipError_tT0_T1_T2_jT3_P12ihipStream_tbPNSt15iterator_traitsISL_E10value_typeEPNSR_ISM_E10value_typeEPSN_NS1_7vsmem_tEENKUlT_SL_SM_SN_E_clIS8_S8_S9_S9_EESK_S10_SL_SM_SN_EUlS10_E_NS1_11comp_targetILNS1_3genE4ELNS1_11target_archE910ELNS1_3gpuE8ELNS1_3repE0EEENS1_48merge_mergepath_partition_config_static_selectorELNS0_4arch9wavefront6targetE1EEEvSM_.num_named_barrier, 0
	.set _ZN7rocprim17ROCPRIM_400000_NS6detail17trampoline_kernelINS0_14default_configENS1_38merge_sort_block_merge_config_selectorIlNS0_10empty_typeEEEZZNS1_27merge_sort_block_merge_implIS3_PlPS5_mZN2at6native12_GLOBAL__N_124unique_dim_cuda_templateIhEESt5tupleIJNSA_6TensorESF_SF_EERKSF_lbbbEUlllE_EE10hipError_tT0_T1_T2_jT3_P12ihipStream_tbPNSt15iterator_traitsISL_E10value_typeEPNSR_ISM_E10value_typeEPSN_NS1_7vsmem_tEENKUlT_SL_SM_SN_E_clIS8_S8_S9_S9_EESK_S10_SL_SM_SN_EUlS10_E_NS1_11comp_targetILNS1_3genE4ELNS1_11target_archE910ELNS1_3gpuE8ELNS1_3repE0EEENS1_48merge_mergepath_partition_config_static_selectorELNS0_4arch9wavefront6targetE1EEEvSM_.private_seg_size, 0
	.set _ZN7rocprim17ROCPRIM_400000_NS6detail17trampoline_kernelINS0_14default_configENS1_38merge_sort_block_merge_config_selectorIlNS0_10empty_typeEEEZZNS1_27merge_sort_block_merge_implIS3_PlPS5_mZN2at6native12_GLOBAL__N_124unique_dim_cuda_templateIhEESt5tupleIJNSA_6TensorESF_SF_EERKSF_lbbbEUlllE_EE10hipError_tT0_T1_T2_jT3_P12ihipStream_tbPNSt15iterator_traitsISL_E10value_typeEPNSR_ISM_E10value_typeEPSN_NS1_7vsmem_tEENKUlT_SL_SM_SN_E_clIS8_S8_S9_S9_EESK_S10_SL_SM_SN_EUlS10_E_NS1_11comp_targetILNS1_3genE4ELNS1_11target_archE910ELNS1_3gpuE8ELNS1_3repE0EEENS1_48merge_mergepath_partition_config_static_selectorELNS0_4arch9wavefront6targetE1EEEvSM_.uses_vcc, 0
	.set _ZN7rocprim17ROCPRIM_400000_NS6detail17trampoline_kernelINS0_14default_configENS1_38merge_sort_block_merge_config_selectorIlNS0_10empty_typeEEEZZNS1_27merge_sort_block_merge_implIS3_PlPS5_mZN2at6native12_GLOBAL__N_124unique_dim_cuda_templateIhEESt5tupleIJNSA_6TensorESF_SF_EERKSF_lbbbEUlllE_EE10hipError_tT0_T1_T2_jT3_P12ihipStream_tbPNSt15iterator_traitsISL_E10value_typeEPNSR_ISM_E10value_typeEPSN_NS1_7vsmem_tEENKUlT_SL_SM_SN_E_clIS8_S8_S9_S9_EESK_S10_SL_SM_SN_EUlS10_E_NS1_11comp_targetILNS1_3genE4ELNS1_11target_archE910ELNS1_3gpuE8ELNS1_3repE0EEENS1_48merge_mergepath_partition_config_static_selectorELNS0_4arch9wavefront6targetE1EEEvSM_.uses_flat_scratch, 0
	.set _ZN7rocprim17ROCPRIM_400000_NS6detail17trampoline_kernelINS0_14default_configENS1_38merge_sort_block_merge_config_selectorIlNS0_10empty_typeEEEZZNS1_27merge_sort_block_merge_implIS3_PlPS5_mZN2at6native12_GLOBAL__N_124unique_dim_cuda_templateIhEESt5tupleIJNSA_6TensorESF_SF_EERKSF_lbbbEUlllE_EE10hipError_tT0_T1_T2_jT3_P12ihipStream_tbPNSt15iterator_traitsISL_E10value_typeEPNSR_ISM_E10value_typeEPSN_NS1_7vsmem_tEENKUlT_SL_SM_SN_E_clIS8_S8_S9_S9_EESK_S10_SL_SM_SN_EUlS10_E_NS1_11comp_targetILNS1_3genE4ELNS1_11target_archE910ELNS1_3gpuE8ELNS1_3repE0EEENS1_48merge_mergepath_partition_config_static_selectorELNS0_4arch9wavefront6targetE1EEEvSM_.has_dyn_sized_stack, 0
	.set _ZN7rocprim17ROCPRIM_400000_NS6detail17trampoline_kernelINS0_14default_configENS1_38merge_sort_block_merge_config_selectorIlNS0_10empty_typeEEEZZNS1_27merge_sort_block_merge_implIS3_PlPS5_mZN2at6native12_GLOBAL__N_124unique_dim_cuda_templateIhEESt5tupleIJNSA_6TensorESF_SF_EERKSF_lbbbEUlllE_EE10hipError_tT0_T1_T2_jT3_P12ihipStream_tbPNSt15iterator_traitsISL_E10value_typeEPNSR_ISM_E10value_typeEPSN_NS1_7vsmem_tEENKUlT_SL_SM_SN_E_clIS8_S8_S9_S9_EESK_S10_SL_SM_SN_EUlS10_E_NS1_11comp_targetILNS1_3genE4ELNS1_11target_archE910ELNS1_3gpuE8ELNS1_3repE0EEENS1_48merge_mergepath_partition_config_static_selectorELNS0_4arch9wavefront6targetE1EEEvSM_.has_recursion, 0
	.set _ZN7rocprim17ROCPRIM_400000_NS6detail17trampoline_kernelINS0_14default_configENS1_38merge_sort_block_merge_config_selectorIlNS0_10empty_typeEEEZZNS1_27merge_sort_block_merge_implIS3_PlPS5_mZN2at6native12_GLOBAL__N_124unique_dim_cuda_templateIhEESt5tupleIJNSA_6TensorESF_SF_EERKSF_lbbbEUlllE_EE10hipError_tT0_T1_T2_jT3_P12ihipStream_tbPNSt15iterator_traitsISL_E10value_typeEPNSR_ISM_E10value_typeEPSN_NS1_7vsmem_tEENKUlT_SL_SM_SN_E_clIS8_S8_S9_S9_EESK_S10_SL_SM_SN_EUlS10_E_NS1_11comp_targetILNS1_3genE4ELNS1_11target_archE910ELNS1_3gpuE8ELNS1_3repE0EEENS1_48merge_mergepath_partition_config_static_selectorELNS0_4arch9wavefront6targetE1EEEvSM_.has_indirect_call, 0
	.section	.AMDGPU.csdata,"",@progbits
; Kernel info:
; codeLenInByte = 0
; TotalNumSgprs: 6
; NumVgprs: 0
; NumAgprs: 0
; TotalNumVgprs: 0
; ScratchSize: 0
; MemoryBound: 0
; FloatMode: 240
; IeeeMode: 1
; LDSByteSize: 0 bytes/workgroup (compile time only)
; SGPRBlocks: 0
; VGPRBlocks: 0
; NumSGPRsForWavesPerEU: 6
; NumVGPRsForWavesPerEU: 1
; AccumOffset: 4
; Occupancy: 8
; WaveLimiterHint : 0
; COMPUTE_PGM_RSRC2:SCRATCH_EN: 0
; COMPUTE_PGM_RSRC2:USER_SGPR: 2
; COMPUTE_PGM_RSRC2:TRAP_HANDLER: 0
; COMPUTE_PGM_RSRC2:TGID_X_EN: 1
; COMPUTE_PGM_RSRC2:TGID_Y_EN: 0
; COMPUTE_PGM_RSRC2:TGID_Z_EN: 0
; COMPUTE_PGM_RSRC2:TIDIG_COMP_CNT: 0
; COMPUTE_PGM_RSRC3_GFX90A:ACCUM_OFFSET: 0
; COMPUTE_PGM_RSRC3_GFX90A:TG_SPLIT: 0
	.section	.text._ZN7rocprim17ROCPRIM_400000_NS6detail17trampoline_kernelINS0_14default_configENS1_38merge_sort_block_merge_config_selectorIlNS0_10empty_typeEEEZZNS1_27merge_sort_block_merge_implIS3_PlPS5_mZN2at6native12_GLOBAL__N_124unique_dim_cuda_templateIhEESt5tupleIJNSA_6TensorESF_SF_EERKSF_lbbbEUlllE_EE10hipError_tT0_T1_T2_jT3_P12ihipStream_tbPNSt15iterator_traitsISL_E10value_typeEPNSR_ISM_E10value_typeEPSN_NS1_7vsmem_tEENKUlT_SL_SM_SN_E_clIS8_S8_S9_S9_EESK_S10_SL_SM_SN_EUlS10_E_NS1_11comp_targetILNS1_3genE3ELNS1_11target_archE908ELNS1_3gpuE7ELNS1_3repE0EEENS1_48merge_mergepath_partition_config_static_selectorELNS0_4arch9wavefront6targetE1EEEvSM_,"axG",@progbits,_ZN7rocprim17ROCPRIM_400000_NS6detail17trampoline_kernelINS0_14default_configENS1_38merge_sort_block_merge_config_selectorIlNS0_10empty_typeEEEZZNS1_27merge_sort_block_merge_implIS3_PlPS5_mZN2at6native12_GLOBAL__N_124unique_dim_cuda_templateIhEESt5tupleIJNSA_6TensorESF_SF_EERKSF_lbbbEUlllE_EE10hipError_tT0_T1_T2_jT3_P12ihipStream_tbPNSt15iterator_traitsISL_E10value_typeEPNSR_ISM_E10value_typeEPSN_NS1_7vsmem_tEENKUlT_SL_SM_SN_E_clIS8_S8_S9_S9_EESK_S10_SL_SM_SN_EUlS10_E_NS1_11comp_targetILNS1_3genE3ELNS1_11target_archE908ELNS1_3gpuE7ELNS1_3repE0EEENS1_48merge_mergepath_partition_config_static_selectorELNS0_4arch9wavefront6targetE1EEEvSM_,comdat
	.globl	_ZN7rocprim17ROCPRIM_400000_NS6detail17trampoline_kernelINS0_14default_configENS1_38merge_sort_block_merge_config_selectorIlNS0_10empty_typeEEEZZNS1_27merge_sort_block_merge_implIS3_PlPS5_mZN2at6native12_GLOBAL__N_124unique_dim_cuda_templateIhEESt5tupleIJNSA_6TensorESF_SF_EERKSF_lbbbEUlllE_EE10hipError_tT0_T1_T2_jT3_P12ihipStream_tbPNSt15iterator_traitsISL_E10value_typeEPNSR_ISM_E10value_typeEPSN_NS1_7vsmem_tEENKUlT_SL_SM_SN_E_clIS8_S8_S9_S9_EESK_S10_SL_SM_SN_EUlS10_E_NS1_11comp_targetILNS1_3genE3ELNS1_11target_archE908ELNS1_3gpuE7ELNS1_3repE0EEENS1_48merge_mergepath_partition_config_static_selectorELNS0_4arch9wavefront6targetE1EEEvSM_ ; -- Begin function _ZN7rocprim17ROCPRIM_400000_NS6detail17trampoline_kernelINS0_14default_configENS1_38merge_sort_block_merge_config_selectorIlNS0_10empty_typeEEEZZNS1_27merge_sort_block_merge_implIS3_PlPS5_mZN2at6native12_GLOBAL__N_124unique_dim_cuda_templateIhEESt5tupleIJNSA_6TensorESF_SF_EERKSF_lbbbEUlllE_EE10hipError_tT0_T1_T2_jT3_P12ihipStream_tbPNSt15iterator_traitsISL_E10value_typeEPNSR_ISM_E10value_typeEPSN_NS1_7vsmem_tEENKUlT_SL_SM_SN_E_clIS8_S8_S9_S9_EESK_S10_SL_SM_SN_EUlS10_E_NS1_11comp_targetILNS1_3genE3ELNS1_11target_archE908ELNS1_3gpuE7ELNS1_3repE0EEENS1_48merge_mergepath_partition_config_static_selectorELNS0_4arch9wavefront6targetE1EEEvSM_
	.p2align	8
	.type	_ZN7rocprim17ROCPRIM_400000_NS6detail17trampoline_kernelINS0_14default_configENS1_38merge_sort_block_merge_config_selectorIlNS0_10empty_typeEEEZZNS1_27merge_sort_block_merge_implIS3_PlPS5_mZN2at6native12_GLOBAL__N_124unique_dim_cuda_templateIhEESt5tupleIJNSA_6TensorESF_SF_EERKSF_lbbbEUlllE_EE10hipError_tT0_T1_T2_jT3_P12ihipStream_tbPNSt15iterator_traitsISL_E10value_typeEPNSR_ISM_E10value_typeEPSN_NS1_7vsmem_tEENKUlT_SL_SM_SN_E_clIS8_S8_S9_S9_EESK_S10_SL_SM_SN_EUlS10_E_NS1_11comp_targetILNS1_3genE3ELNS1_11target_archE908ELNS1_3gpuE7ELNS1_3repE0EEENS1_48merge_mergepath_partition_config_static_selectorELNS0_4arch9wavefront6targetE1EEEvSM_,@function
_ZN7rocprim17ROCPRIM_400000_NS6detail17trampoline_kernelINS0_14default_configENS1_38merge_sort_block_merge_config_selectorIlNS0_10empty_typeEEEZZNS1_27merge_sort_block_merge_implIS3_PlPS5_mZN2at6native12_GLOBAL__N_124unique_dim_cuda_templateIhEESt5tupleIJNSA_6TensorESF_SF_EERKSF_lbbbEUlllE_EE10hipError_tT0_T1_T2_jT3_P12ihipStream_tbPNSt15iterator_traitsISL_E10value_typeEPNSR_ISM_E10value_typeEPSN_NS1_7vsmem_tEENKUlT_SL_SM_SN_E_clIS8_S8_S9_S9_EESK_S10_SL_SM_SN_EUlS10_E_NS1_11comp_targetILNS1_3genE3ELNS1_11target_archE908ELNS1_3gpuE7ELNS1_3repE0EEENS1_48merge_mergepath_partition_config_static_selectorELNS0_4arch9wavefront6targetE1EEEvSM_: ; @_ZN7rocprim17ROCPRIM_400000_NS6detail17trampoline_kernelINS0_14default_configENS1_38merge_sort_block_merge_config_selectorIlNS0_10empty_typeEEEZZNS1_27merge_sort_block_merge_implIS3_PlPS5_mZN2at6native12_GLOBAL__N_124unique_dim_cuda_templateIhEESt5tupleIJNSA_6TensorESF_SF_EERKSF_lbbbEUlllE_EE10hipError_tT0_T1_T2_jT3_P12ihipStream_tbPNSt15iterator_traitsISL_E10value_typeEPNSR_ISM_E10value_typeEPSN_NS1_7vsmem_tEENKUlT_SL_SM_SN_E_clIS8_S8_S9_S9_EESK_S10_SL_SM_SN_EUlS10_E_NS1_11comp_targetILNS1_3genE3ELNS1_11target_archE908ELNS1_3gpuE7ELNS1_3repE0EEENS1_48merge_mergepath_partition_config_static_selectorELNS0_4arch9wavefront6targetE1EEEvSM_
; %bb.0:
	.section	.rodata,"a",@progbits
	.p2align	6, 0x0
	.amdhsa_kernel _ZN7rocprim17ROCPRIM_400000_NS6detail17trampoline_kernelINS0_14default_configENS1_38merge_sort_block_merge_config_selectorIlNS0_10empty_typeEEEZZNS1_27merge_sort_block_merge_implIS3_PlPS5_mZN2at6native12_GLOBAL__N_124unique_dim_cuda_templateIhEESt5tupleIJNSA_6TensorESF_SF_EERKSF_lbbbEUlllE_EE10hipError_tT0_T1_T2_jT3_P12ihipStream_tbPNSt15iterator_traitsISL_E10value_typeEPNSR_ISM_E10value_typeEPSN_NS1_7vsmem_tEENKUlT_SL_SM_SN_E_clIS8_S8_S9_S9_EESK_S10_SL_SM_SN_EUlS10_E_NS1_11comp_targetILNS1_3genE3ELNS1_11target_archE908ELNS1_3gpuE7ELNS1_3repE0EEENS1_48merge_mergepath_partition_config_static_selectorELNS0_4arch9wavefront6targetE1EEEvSM_
		.amdhsa_group_segment_fixed_size 0
		.amdhsa_private_segment_fixed_size 0
		.amdhsa_kernarg_size 56
		.amdhsa_user_sgpr_count 2
		.amdhsa_user_sgpr_dispatch_ptr 0
		.amdhsa_user_sgpr_queue_ptr 0
		.amdhsa_user_sgpr_kernarg_segment_ptr 1
		.amdhsa_user_sgpr_dispatch_id 0
		.amdhsa_user_sgpr_kernarg_preload_length 0
		.amdhsa_user_sgpr_kernarg_preload_offset 0
		.amdhsa_user_sgpr_private_segment_size 0
		.amdhsa_uses_dynamic_stack 0
		.amdhsa_enable_private_segment 0
		.amdhsa_system_sgpr_workgroup_id_x 1
		.amdhsa_system_sgpr_workgroup_id_y 0
		.amdhsa_system_sgpr_workgroup_id_z 0
		.amdhsa_system_sgpr_workgroup_info 0
		.amdhsa_system_vgpr_workitem_id 0
		.amdhsa_next_free_vgpr 1
		.amdhsa_next_free_sgpr 0
		.amdhsa_accum_offset 4
		.amdhsa_reserve_vcc 0
		.amdhsa_float_round_mode_32 0
		.amdhsa_float_round_mode_16_64 0
		.amdhsa_float_denorm_mode_32 3
		.amdhsa_float_denorm_mode_16_64 3
		.amdhsa_dx10_clamp 1
		.amdhsa_ieee_mode 1
		.amdhsa_fp16_overflow 0
		.amdhsa_tg_split 0
		.amdhsa_exception_fp_ieee_invalid_op 0
		.amdhsa_exception_fp_denorm_src 0
		.amdhsa_exception_fp_ieee_div_zero 0
		.amdhsa_exception_fp_ieee_overflow 0
		.amdhsa_exception_fp_ieee_underflow 0
		.amdhsa_exception_fp_ieee_inexact 0
		.amdhsa_exception_int_div_zero 0
	.end_amdhsa_kernel
	.section	.text._ZN7rocprim17ROCPRIM_400000_NS6detail17trampoline_kernelINS0_14default_configENS1_38merge_sort_block_merge_config_selectorIlNS0_10empty_typeEEEZZNS1_27merge_sort_block_merge_implIS3_PlPS5_mZN2at6native12_GLOBAL__N_124unique_dim_cuda_templateIhEESt5tupleIJNSA_6TensorESF_SF_EERKSF_lbbbEUlllE_EE10hipError_tT0_T1_T2_jT3_P12ihipStream_tbPNSt15iterator_traitsISL_E10value_typeEPNSR_ISM_E10value_typeEPSN_NS1_7vsmem_tEENKUlT_SL_SM_SN_E_clIS8_S8_S9_S9_EESK_S10_SL_SM_SN_EUlS10_E_NS1_11comp_targetILNS1_3genE3ELNS1_11target_archE908ELNS1_3gpuE7ELNS1_3repE0EEENS1_48merge_mergepath_partition_config_static_selectorELNS0_4arch9wavefront6targetE1EEEvSM_,"axG",@progbits,_ZN7rocprim17ROCPRIM_400000_NS6detail17trampoline_kernelINS0_14default_configENS1_38merge_sort_block_merge_config_selectorIlNS0_10empty_typeEEEZZNS1_27merge_sort_block_merge_implIS3_PlPS5_mZN2at6native12_GLOBAL__N_124unique_dim_cuda_templateIhEESt5tupleIJNSA_6TensorESF_SF_EERKSF_lbbbEUlllE_EE10hipError_tT0_T1_T2_jT3_P12ihipStream_tbPNSt15iterator_traitsISL_E10value_typeEPNSR_ISM_E10value_typeEPSN_NS1_7vsmem_tEENKUlT_SL_SM_SN_E_clIS8_S8_S9_S9_EESK_S10_SL_SM_SN_EUlS10_E_NS1_11comp_targetILNS1_3genE3ELNS1_11target_archE908ELNS1_3gpuE7ELNS1_3repE0EEENS1_48merge_mergepath_partition_config_static_selectorELNS0_4arch9wavefront6targetE1EEEvSM_,comdat
.Lfunc_end22:
	.size	_ZN7rocprim17ROCPRIM_400000_NS6detail17trampoline_kernelINS0_14default_configENS1_38merge_sort_block_merge_config_selectorIlNS0_10empty_typeEEEZZNS1_27merge_sort_block_merge_implIS3_PlPS5_mZN2at6native12_GLOBAL__N_124unique_dim_cuda_templateIhEESt5tupleIJNSA_6TensorESF_SF_EERKSF_lbbbEUlllE_EE10hipError_tT0_T1_T2_jT3_P12ihipStream_tbPNSt15iterator_traitsISL_E10value_typeEPNSR_ISM_E10value_typeEPSN_NS1_7vsmem_tEENKUlT_SL_SM_SN_E_clIS8_S8_S9_S9_EESK_S10_SL_SM_SN_EUlS10_E_NS1_11comp_targetILNS1_3genE3ELNS1_11target_archE908ELNS1_3gpuE7ELNS1_3repE0EEENS1_48merge_mergepath_partition_config_static_selectorELNS0_4arch9wavefront6targetE1EEEvSM_, .Lfunc_end22-_ZN7rocprim17ROCPRIM_400000_NS6detail17trampoline_kernelINS0_14default_configENS1_38merge_sort_block_merge_config_selectorIlNS0_10empty_typeEEEZZNS1_27merge_sort_block_merge_implIS3_PlPS5_mZN2at6native12_GLOBAL__N_124unique_dim_cuda_templateIhEESt5tupleIJNSA_6TensorESF_SF_EERKSF_lbbbEUlllE_EE10hipError_tT0_T1_T2_jT3_P12ihipStream_tbPNSt15iterator_traitsISL_E10value_typeEPNSR_ISM_E10value_typeEPSN_NS1_7vsmem_tEENKUlT_SL_SM_SN_E_clIS8_S8_S9_S9_EESK_S10_SL_SM_SN_EUlS10_E_NS1_11comp_targetILNS1_3genE3ELNS1_11target_archE908ELNS1_3gpuE7ELNS1_3repE0EEENS1_48merge_mergepath_partition_config_static_selectorELNS0_4arch9wavefront6targetE1EEEvSM_
                                        ; -- End function
	.set _ZN7rocprim17ROCPRIM_400000_NS6detail17trampoline_kernelINS0_14default_configENS1_38merge_sort_block_merge_config_selectorIlNS0_10empty_typeEEEZZNS1_27merge_sort_block_merge_implIS3_PlPS5_mZN2at6native12_GLOBAL__N_124unique_dim_cuda_templateIhEESt5tupleIJNSA_6TensorESF_SF_EERKSF_lbbbEUlllE_EE10hipError_tT0_T1_T2_jT3_P12ihipStream_tbPNSt15iterator_traitsISL_E10value_typeEPNSR_ISM_E10value_typeEPSN_NS1_7vsmem_tEENKUlT_SL_SM_SN_E_clIS8_S8_S9_S9_EESK_S10_SL_SM_SN_EUlS10_E_NS1_11comp_targetILNS1_3genE3ELNS1_11target_archE908ELNS1_3gpuE7ELNS1_3repE0EEENS1_48merge_mergepath_partition_config_static_selectorELNS0_4arch9wavefront6targetE1EEEvSM_.num_vgpr, 0
	.set _ZN7rocprim17ROCPRIM_400000_NS6detail17trampoline_kernelINS0_14default_configENS1_38merge_sort_block_merge_config_selectorIlNS0_10empty_typeEEEZZNS1_27merge_sort_block_merge_implIS3_PlPS5_mZN2at6native12_GLOBAL__N_124unique_dim_cuda_templateIhEESt5tupleIJNSA_6TensorESF_SF_EERKSF_lbbbEUlllE_EE10hipError_tT0_T1_T2_jT3_P12ihipStream_tbPNSt15iterator_traitsISL_E10value_typeEPNSR_ISM_E10value_typeEPSN_NS1_7vsmem_tEENKUlT_SL_SM_SN_E_clIS8_S8_S9_S9_EESK_S10_SL_SM_SN_EUlS10_E_NS1_11comp_targetILNS1_3genE3ELNS1_11target_archE908ELNS1_3gpuE7ELNS1_3repE0EEENS1_48merge_mergepath_partition_config_static_selectorELNS0_4arch9wavefront6targetE1EEEvSM_.num_agpr, 0
	.set _ZN7rocprim17ROCPRIM_400000_NS6detail17trampoline_kernelINS0_14default_configENS1_38merge_sort_block_merge_config_selectorIlNS0_10empty_typeEEEZZNS1_27merge_sort_block_merge_implIS3_PlPS5_mZN2at6native12_GLOBAL__N_124unique_dim_cuda_templateIhEESt5tupleIJNSA_6TensorESF_SF_EERKSF_lbbbEUlllE_EE10hipError_tT0_T1_T2_jT3_P12ihipStream_tbPNSt15iterator_traitsISL_E10value_typeEPNSR_ISM_E10value_typeEPSN_NS1_7vsmem_tEENKUlT_SL_SM_SN_E_clIS8_S8_S9_S9_EESK_S10_SL_SM_SN_EUlS10_E_NS1_11comp_targetILNS1_3genE3ELNS1_11target_archE908ELNS1_3gpuE7ELNS1_3repE0EEENS1_48merge_mergepath_partition_config_static_selectorELNS0_4arch9wavefront6targetE1EEEvSM_.numbered_sgpr, 0
	.set _ZN7rocprim17ROCPRIM_400000_NS6detail17trampoline_kernelINS0_14default_configENS1_38merge_sort_block_merge_config_selectorIlNS0_10empty_typeEEEZZNS1_27merge_sort_block_merge_implIS3_PlPS5_mZN2at6native12_GLOBAL__N_124unique_dim_cuda_templateIhEESt5tupleIJNSA_6TensorESF_SF_EERKSF_lbbbEUlllE_EE10hipError_tT0_T1_T2_jT3_P12ihipStream_tbPNSt15iterator_traitsISL_E10value_typeEPNSR_ISM_E10value_typeEPSN_NS1_7vsmem_tEENKUlT_SL_SM_SN_E_clIS8_S8_S9_S9_EESK_S10_SL_SM_SN_EUlS10_E_NS1_11comp_targetILNS1_3genE3ELNS1_11target_archE908ELNS1_3gpuE7ELNS1_3repE0EEENS1_48merge_mergepath_partition_config_static_selectorELNS0_4arch9wavefront6targetE1EEEvSM_.num_named_barrier, 0
	.set _ZN7rocprim17ROCPRIM_400000_NS6detail17trampoline_kernelINS0_14default_configENS1_38merge_sort_block_merge_config_selectorIlNS0_10empty_typeEEEZZNS1_27merge_sort_block_merge_implIS3_PlPS5_mZN2at6native12_GLOBAL__N_124unique_dim_cuda_templateIhEESt5tupleIJNSA_6TensorESF_SF_EERKSF_lbbbEUlllE_EE10hipError_tT0_T1_T2_jT3_P12ihipStream_tbPNSt15iterator_traitsISL_E10value_typeEPNSR_ISM_E10value_typeEPSN_NS1_7vsmem_tEENKUlT_SL_SM_SN_E_clIS8_S8_S9_S9_EESK_S10_SL_SM_SN_EUlS10_E_NS1_11comp_targetILNS1_3genE3ELNS1_11target_archE908ELNS1_3gpuE7ELNS1_3repE0EEENS1_48merge_mergepath_partition_config_static_selectorELNS0_4arch9wavefront6targetE1EEEvSM_.private_seg_size, 0
	.set _ZN7rocprim17ROCPRIM_400000_NS6detail17trampoline_kernelINS0_14default_configENS1_38merge_sort_block_merge_config_selectorIlNS0_10empty_typeEEEZZNS1_27merge_sort_block_merge_implIS3_PlPS5_mZN2at6native12_GLOBAL__N_124unique_dim_cuda_templateIhEESt5tupleIJNSA_6TensorESF_SF_EERKSF_lbbbEUlllE_EE10hipError_tT0_T1_T2_jT3_P12ihipStream_tbPNSt15iterator_traitsISL_E10value_typeEPNSR_ISM_E10value_typeEPSN_NS1_7vsmem_tEENKUlT_SL_SM_SN_E_clIS8_S8_S9_S9_EESK_S10_SL_SM_SN_EUlS10_E_NS1_11comp_targetILNS1_3genE3ELNS1_11target_archE908ELNS1_3gpuE7ELNS1_3repE0EEENS1_48merge_mergepath_partition_config_static_selectorELNS0_4arch9wavefront6targetE1EEEvSM_.uses_vcc, 0
	.set _ZN7rocprim17ROCPRIM_400000_NS6detail17trampoline_kernelINS0_14default_configENS1_38merge_sort_block_merge_config_selectorIlNS0_10empty_typeEEEZZNS1_27merge_sort_block_merge_implIS3_PlPS5_mZN2at6native12_GLOBAL__N_124unique_dim_cuda_templateIhEESt5tupleIJNSA_6TensorESF_SF_EERKSF_lbbbEUlllE_EE10hipError_tT0_T1_T2_jT3_P12ihipStream_tbPNSt15iterator_traitsISL_E10value_typeEPNSR_ISM_E10value_typeEPSN_NS1_7vsmem_tEENKUlT_SL_SM_SN_E_clIS8_S8_S9_S9_EESK_S10_SL_SM_SN_EUlS10_E_NS1_11comp_targetILNS1_3genE3ELNS1_11target_archE908ELNS1_3gpuE7ELNS1_3repE0EEENS1_48merge_mergepath_partition_config_static_selectorELNS0_4arch9wavefront6targetE1EEEvSM_.uses_flat_scratch, 0
	.set _ZN7rocprim17ROCPRIM_400000_NS6detail17trampoline_kernelINS0_14default_configENS1_38merge_sort_block_merge_config_selectorIlNS0_10empty_typeEEEZZNS1_27merge_sort_block_merge_implIS3_PlPS5_mZN2at6native12_GLOBAL__N_124unique_dim_cuda_templateIhEESt5tupleIJNSA_6TensorESF_SF_EERKSF_lbbbEUlllE_EE10hipError_tT0_T1_T2_jT3_P12ihipStream_tbPNSt15iterator_traitsISL_E10value_typeEPNSR_ISM_E10value_typeEPSN_NS1_7vsmem_tEENKUlT_SL_SM_SN_E_clIS8_S8_S9_S9_EESK_S10_SL_SM_SN_EUlS10_E_NS1_11comp_targetILNS1_3genE3ELNS1_11target_archE908ELNS1_3gpuE7ELNS1_3repE0EEENS1_48merge_mergepath_partition_config_static_selectorELNS0_4arch9wavefront6targetE1EEEvSM_.has_dyn_sized_stack, 0
	.set _ZN7rocprim17ROCPRIM_400000_NS6detail17trampoline_kernelINS0_14default_configENS1_38merge_sort_block_merge_config_selectorIlNS0_10empty_typeEEEZZNS1_27merge_sort_block_merge_implIS3_PlPS5_mZN2at6native12_GLOBAL__N_124unique_dim_cuda_templateIhEESt5tupleIJNSA_6TensorESF_SF_EERKSF_lbbbEUlllE_EE10hipError_tT0_T1_T2_jT3_P12ihipStream_tbPNSt15iterator_traitsISL_E10value_typeEPNSR_ISM_E10value_typeEPSN_NS1_7vsmem_tEENKUlT_SL_SM_SN_E_clIS8_S8_S9_S9_EESK_S10_SL_SM_SN_EUlS10_E_NS1_11comp_targetILNS1_3genE3ELNS1_11target_archE908ELNS1_3gpuE7ELNS1_3repE0EEENS1_48merge_mergepath_partition_config_static_selectorELNS0_4arch9wavefront6targetE1EEEvSM_.has_recursion, 0
	.set _ZN7rocprim17ROCPRIM_400000_NS6detail17trampoline_kernelINS0_14default_configENS1_38merge_sort_block_merge_config_selectorIlNS0_10empty_typeEEEZZNS1_27merge_sort_block_merge_implIS3_PlPS5_mZN2at6native12_GLOBAL__N_124unique_dim_cuda_templateIhEESt5tupleIJNSA_6TensorESF_SF_EERKSF_lbbbEUlllE_EE10hipError_tT0_T1_T2_jT3_P12ihipStream_tbPNSt15iterator_traitsISL_E10value_typeEPNSR_ISM_E10value_typeEPSN_NS1_7vsmem_tEENKUlT_SL_SM_SN_E_clIS8_S8_S9_S9_EESK_S10_SL_SM_SN_EUlS10_E_NS1_11comp_targetILNS1_3genE3ELNS1_11target_archE908ELNS1_3gpuE7ELNS1_3repE0EEENS1_48merge_mergepath_partition_config_static_selectorELNS0_4arch9wavefront6targetE1EEEvSM_.has_indirect_call, 0
	.section	.AMDGPU.csdata,"",@progbits
; Kernel info:
; codeLenInByte = 0
; TotalNumSgprs: 6
; NumVgprs: 0
; NumAgprs: 0
; TotalNumVgprs: 0
; ScratchSize: 0
; MemoryBound: 0
; FloatMode: 240
; IeeeMode: 1
; LDSByteSize: 0 bytes/workgroup (compile time only)
; SGPRBlocks: 0
; VGPRBlocks: 0
; NumSGPRsForWavesPerEU: 6
; NumVGPRsForWavesPerEU: 1
; AccumOffset: 4
; Occupancy: 8
; WaveLimiterHint : 0
; COMPUTE_PGM_RSRC2:SCRATCH_EN: 0
; COMPUTE_PGM_RSRC2:USER_SGPR: 2
; COMPUTE_PGM_RSRC2:TRAP_HANDLER: 0
; COMPUTE_PGM_RSRC2:TGID_X_EN: 1
; COMPUTE_PGM_RSRC2:TGID_Y_EN: 0
; COMPUTE_PGM_RSRC2:TGID_Z_EN: 0
; COMPUTE_PGM_RSRC2:TIDIG_COMP_CNT: 0
; COMPUTE_PGM_RSRC3_GFX90A:ACCUM_OFFSET: 0
; COMPUTE_PGM_RSRC3_GFX90A:TG_SPLIT: 0
	.section	.text._ZN7rocprim17ROCPRIM_400000_NS6detail17trampoline_kernelINS0_14default_configENS1_38merge_sort_block_merge_config_selectorIlNS0_10empty_typeEEEZZNS1_27merge_sort_block_merge_implIS3_PlPS5_mZN2at6native12_GLOBAL__N_124unique_dim_cuda_templateIhEESt5tupleIJNSA_6TensorESF_SF_EERKSF_lbbbEUlllE_EE10hipError_tT0_T1_T2_jT3_P12ihipStream_tbPNSt15iterator_traitsISL_E10value_typeEPNSR_ISM_E10value_typeEPSN_NS1_7vsmem_tEENKUlT_SL_SM_SN_E_clIS8_S8_S9_S9_EESK_S10_SL_SM_SN_EUlS10_E_NS1_11comp_targetILNS1_3genE2ELNS1_11target_archE906ELNS1_3gpuE6ELNS1_3repE0EEENS1_48merge_mergepath_partition_config_static_selectorELNS0_4arch9wavefront6targetE1EEEvSM_,"axG",@progbits,_ZN7rocprim17ROCPRIM_400000_NS6detail17trampoline_kernelINS0_14default_configENS1_38merge_sort_block_merge_config_selectorIlNS0_10empty_typeEEEZZNS1_27merge_sort_block_merge_implIS3_PlPS5_mZN2at6native12_GLOBAL__N_124unique_dim_cuda_templateIhEESt5tupleIJNSA_6TensorESF_SF_EERKSF_lbbbEUlllE_EE10hipError_tT0_T1_T2_jT3_P12ihipStream_tbPNSt15iterator_traitsISL_E10value_typeEPNSR_ISM_E10value_typeEPSN_NS1_7vsmem_tEENKUlT_SL_SM_SN_E_clIS8_S8_S9_S9_EESK_S10_SL_SM_SN_EUlS10_E_NS1_11comp_targetILNS1_3genE2ELNS1_11target_archE906ELNS1_3gpuE6ELNS1_3repE0EEENS1_48merge_mergepath_partition_config_static_selectorELNS0_4arch9wavefront6targetE1EEEvSM_,comdat
	.globl	_ZN7rocprim17ROCPRIM_400000_NS6detail17trampoline_kernelINS0_14default_configENS1_38merge_sort_block_merge_config_selectorIlNS0_10empty_typeEEEZZNS1_27merge_sort_block_merge_implIS3_PlPS5_mZN2at6native12_GLOBAL__N_124unique_dim_cuda_templateIhEESt5tupleIJNSA_6TensorESF_SF_EERKSF_lbbbEUlllE_EE10hipError_tT0_T1_T2_jT3_P12ihipStream_tbPNSt15iterator_traitsISL_E10value_typeEPNSR_ISM_E10value_typeEPSN_NS1_7vsmem_tEENKUlT_SL_SM_SN_E_clIS8_S8_S9_S9_EESK_S10_SL_SM_SN_EUlS10_E_NS1_11comp_targetILNS1_3genE2ELNS1_11target_archE906ELNS1_3gpuE6ELNS1_3repE0EEENS1_48merge_mergepath_partition_config_static_selectorELNS0_4arch9wavefront6targetE1EEEvSM_ ; -- Begin function _ZN7rocprim17ROCPRIM_400000_NS6detail17trampoline_kernelINS0_14default_configENS1_38merge_sort_block_merge_config_selectorIlNS0_10empty_typeEEEZZNS1_27merge_sort_block_merge_implIS3_PlPS5_mZN2at6native12_GLOBAL__N_124unique_dim_cuda_templateIhEESt5tupleIJNSA_6TensorESF_SF_EERKSF_lbbbEUlllE_EE10hipError_tT0_T1_T2_jT3_P12ihipStream_tbPNSt15iterator_traitsISL_E10value_typeEPNSR_ISM_E10value_typeEPSN_NS1_7vsmem_tEENKUlT_SL_SM_SN_E_clIS8_S8_S9_S9_EESK_S10_SL_SM_SN_EUlS10_E_NS1_11comp_targetILNS1_3genE2ELNS1_11target_archE906ELNS1_3gpuE6ELNS1_3repE0EEENS1_48merge_mergepath_partition_config_static_selectorELNS0_4arch9wavefront6targetE1EEEvSM_
	.p2align	8
	.type	_ZN7rocprim17ROCPRIM_400000_NS6detail17trampoline_kernelINS0_14default_configENS1_38merge_sort_block_merge_config_selectorIlNS0_10empty_typeEEEZZNS1_27merge_sort_block_merge_implIS3_PlPS5_mZN2at6native12_GLOBAL__N_124unique_dim_cuda_templateIhEESt5tupleIJNSA_6TensorESF_SF_EERKSF_lbbbEUlllE_EE10hipError_tT0_T1_T2_jT3_P12ihipStream_tbPNSt15iterator_traitsISL_E10value_typeEPNSR_ISM_E10value_typeEPSN_NS1_7vsmem_tEENKUlT_SL_SM_SN_E_clIS8_S8_S9_S9_EESK_S10_SL_SM_SN_EUlS10_E_NS1_11comp_targetILNS1_3genE2ELNS1_11target_archE906ELNS1_3gpuE6ELNS1_3repE0EEENS1_48merge_mergepath_partition_config_static_selectorELNS0_4arch9wavefront6targetE1EEEvSM_,@function
_ZN7rocprim17ROCPRIM_400000_NS6detail17trampoline_kernelINS0_14default_configENS1_38merge_sort_block_merge_config_selectorIlNS0_10empty_typeEEEZZNS1_27merge_sort_block_merge_implIS3_PlPS5_mZN2at6native12_GLOBAL__N_124unique_dim_cuda_templateIhEESt5tupleIJNSA_6TensorESF_SF_EERKSF_lbbbEUlllE_EE10hipError_tT0_T1_T2_jT3_P12ihipStream_tbPNSt15iterator_traitsISL_E10value_typeEPNSR_ISM_E10value_typeEPSN_NS1_7vsmem_tEENKUlT_SL_SM_SN_E_clIS8_S8_S9_S9_EESK_S10_SL_SM_SN_EUlS10_E_NS1_11comp_targetILNS1_3genE2ELNS1_11target_archE906ELNS1_3gpuE6ELNS1_3repE0EEENS1_48merge_mergepath_partition_config_static_selectorELNS0_4arch9wavefront6targetE1EEEvSM_: ; @_ZN7rocprim17ROCPRIM_400000_NS6detail17trampoline_kernelINS0_14default_configENS1_38merge_sort_block_merge_config_selectorIlNS0_10empty_typeEEEZZNS1_27merge_sort_block_merge_implIS3_PlPS5_mZN2at6native12_GLOBAL__N_124unique_dim_cuda_templateIhEESt5tupleIJNSA_6TensorESF_SF_EERKSF_lbbbEUlllE_EE10hipError_tT0_T1_T2_jT3_P12ihipStream_tbPNSt15iterator_traitsISL_E10value_typeEPNSR_ISM_E10value_typeEPSN_NS1_7vsmem_tEENKUlT_SL_SM_SN_E_clIS8_S8_S9_S9_EESK_S10_SL_SM_SN_EUlS10_E_NS1_11comp_targetILNS1_3genE2ELNS1_11target_archE906ELNS1_3gpuE6ELNS1_3repE0EEENS1_48merge_mergepath_partition_config_static_selectorELNS0_4arch9wavefront6targetE1EEEvSM_
; %bb.0:
	.section	.rodata,"a",@progbits
	.p2align	6, 0x0
	.amdhsa_kernel _ZN7rocprim17ROCPRIM_400000_NS6detail17trampoline_kernelINS0_14default_configENS1_38merge_sort_block_merge_config_selectorIlNS0_10empty_typeEEEZZNS1_27merge_sort_block_merge_implIS3_PlPS5_mZN2at6native12_GLOBAL__N_124unique_dim_cuda_templateIhEESt5tupleIJNSA_6TensorESF_SF_EERKSF_lbbbEUlllE_EE10hipError_tT0_T1_T2_jT3_P12ihipStream_tbPNSt15iterator_traitsISL_E10value_typeEPNSR_ISM_E10value_typeEPSN_NS1_7vsmem_tEENKUlT_SL_SM_SN_E_clIS8_S8_S9_S9_EESK_S10_SL_SM_SN_EUlS10_E_NS1_11comp_targetILNS1_3genE2ELNS1_11target_archE906ELNS1_3gpuE6ELNS1_3repE0EEENS1_48merge_mergepath_partition_config_static_selectorELNS0_4arch9wavefront6targetE1EEEvSM_
		.amdhsa_group_segment_fixed_size 0
		.amdhsa_private_segment_fixed_size 0
		.amdhsa_kernarg_size 56
		.amdhsa_user_sgpr_count 2
		.amdhsa_user_sgpr_dispatch_ptr 0
		.amdhsa_user_sgpr_queue_ptr 0
		.amdhsa_user_sgpr_kernarg_segment_ptr 1
		.amdhsa_user_sgpr_dispatch_id 0
		.amdhsa_user_sgpr_kernarg_preload_length 0
		.amdhsa_user_sgpr_kernarg_preload_offset 0
		.amdhsa_user_sgpr_private_segment_size 0
		.amdhsa_uses_dynamic_stack 0
		.amdhsa_enable_private_segment 0
		.amdhsa_system_sgpr_workgroup_id_x 1
		.amdhsa_system_sgpr_workgroup_id_y 0
		.amdhsa_system_sgpr_workgroup_id_z 0
		.amdhsa_system_sgpr_workgroup_info 0
		.amdhsa_system_vgpr_workitem_id 0
		.amdhsa_next_free_vgpr 1
		.amdhsa_next_free_sgpr 0
		.amdhsa_accum_offset 4
		.amdhsa_reserve_vcc 0
		.amdhsa_float_round_mode_32 0
		.amdhsa_float_round_mode_16_64 0
		.amdhsa_float_denorm_mode_32 3
		.amdhsa_float_denorm_mode_16_64 3
		.amdhsa_dx10_clamp 1
		.amdhsa_ieee_mode 1
		.amdhsa_fp16_overflow 0
		.amdhsa_tg_split 0
		.amdhsa_exception_fp_ieee_invalid_op 0
		.amdhsa_exception_fp_denorm_src 0
		.amdhsa_exception_fp_ieee_div_zero 0
		.amdhsa_exception_fp_ieee_overflow 0
		.amdhsa_exception_fp_ieee_underflow 0
		.amdhsa_exception_fp_ieee_inexact 0
		.amdhsa_exception_int_div_zero 0
	.end_amdhsa_kernel
	.section	.text._ZN7rocprim17ROCPRIM_400000_NS6detail17trampoline_kernelINS0_14default_configENS1_38merge_sort_block_merge_config_selectorIlNS0_10empty_typeEEEZZNS1_27merge_sort_block_merge_implIS3_PlPS5_mZN2at6native12_GLOBAL__N_124unique_dim_cuda_templateIhEESt5tupleIJNSA_6TensorESF_SF_EERKSF_lbbbEUlllE_EE10hipError_tT0_T1_T2_jT3_P12ihipStream_tbPNSt15iterator_traitsISL_E10value_typeEPNSR_ISM_E10value_typeEPSN_NS1_7vsmem_tEENKUlT_SL_SM_SN_E_clIS8_S8_S9_S9_EESK_S10_SL_SM_SN_EUlS10_E_NS1_11comp_targetILNS1_3genE2ELNS1_11target_archE906ELNS1_3gpuE6ELNS1_3repE0EEENS1_48merge_mergepath_partition_config_static_selectorELNS0_4arch9wavefront6targetE1EEEvSM_,"axG",@progbits,_ZN7rocprim17ROCPRIM_400000_NS6detail17trampoline_kernelINS0_14default_configENS1_38merge_sort_block_merge_config_selectorIlNS0_10empty_typeEEEZZNS1_27merge_sort_block_merge_implIS3_PlPS5_mZN2at6native12_GLOBAL__N_124unique_dim_cuda_templateIhEESt5tupleIJNSA_6TensorESF_SF_EERKSF_lbbbEUlllE_EE10hipError_tT0_T1_T2_jT3_P12ihipStream_tbPNSt15iterator_traitsISL_E10value_typeEPNSR_ISM_E10value_typeEPSN_NS1_7vsmem_tEENKUlT_SL_SM_SN_E_clIS8_S8_S9_S9_EESK_S10_SL_SM_SN_EUlS10_E_NS1_11comp_targetILNS1_3genE2ELNS1_11target_archE906ELNS1_3gpuE6ELNS1_3repE0EEENS1_48merge_mergepath_partition_config_static_selectorELNS0_4arch9wavefront6targetE1EEEvSM_,comdat
.Lfunc_end23:
	.size	_ZN7rocprim17ROCPRIM_400000_NS6detail17trampoline_kernelINS0_14default_configENS1_38merge_sort_block_merge_config_selectorIlNS0_10empty_typeEEEZZNS1_27merge_sort_block_merge_implIS3_PlPS5_mZN2at6native12_GLOBAL__N_124unique_dim_cuda_templateIhEESt5tupleIJNSA_6TensorESF_SF_EERKSF_lbbbEUlllE_EE10hipError_tT0_T1_T2_jT3_P12ihipStream_tbPNSt15iterator_traitsISL_E10value_typeEPNSR_ISM_E10value_typeEPSN_NS1_7vsmem_tEENKUlT_SL_SM_SN_E_clIS8_S8_S9_S9_EESK_S10_SL_SM_SN_EUlS10_E_NS1_11comp_targetILNS1_3genE2ELNS1_11target_archE906ELNS1_3gpuE6ELNS1_3repE0EEENS1_48merge_mergepath_partition_config_static_selectorELNS0_4arch9wavefront6targetE1EEEvSM_, .Lfunc_end23-_ZN7rocprim17ROCPRIM_400000_NS6detail17trampoline_kernelINS0_14default_configENS1_38merge_sort_block_merge_config_selectorIlNS0_10empty_typeEEEZZNS1_27merge_sort_block_merge_implIS3_PlPS5_mZN2at6native12_GLOBAL__N_124unique_dim_cuda_templateIhEESt5tupleIJNSA_6TensorESF_SF_EERKSF_lbbbEUlllE_EE10hipError_tT0_T1_T2_jT3_P12ihipStream_tbPNSt15iterator_traitsISL_E10value_typeEPNSR_ISM_E10value_typeEPSN_NS1_7vsmem_tEENKUlT_SL_SM_SN_E_clIS8_S8_S9_S9_EESK_S10_SL_SM_SN_EUlS10_E_NS1_11comp_targetILNS1_3genE2ELNS1_11target_archE906ELNS1_3gpuE6ELNS1_3repE0EEENS1_48merge_mergepath_partition_config_static_selectorELNS0_4arch9wavefront6targetE1EEEvSM_
                                        ; -- End function
	.set _ZN7rocprim17ROCPRIM_400000_NS6detail17trampoline_kernelINS0_14default_configENS1_38merge_sort_block_merge_config_selectorIlNS0_10empty_typeEEEZZNS1_27merge_sort_block_merge_implIS3_PlPS5_mZN2at6native12_GLOBAL__N_124unique_dim_cuda_templateIhEESt5tupleIJNSA_6TensorESF_SF_EERKSF_lbbbEUlllE_EE10hipError_tT0_T1_T2_jT3_P12ihipStream_tbPNSt15iterator_traitsISL_E10value_typeEPNSR_ISM_E10value_typeEPSN_NS1_7vsmem_tEENKUlT_SL_SM_SN_E_clIS8_S8_S9_S9_EESK_S10_SL_SM_SN_EUlS10_E_NS1_11comp_targetILNS1_3genE2ELNS1_11target_archE906ELNS1_3gpuE6ELNS1_3repE0EEENS1_48merge_mergepath_partition_config_static_selectorELNS0_4arch9wavefront6targetE1EEEvSM_.num_vgpr, 0
	.set _ZN7rocprim17ROCPRIM_400000_NS6detail17trampoline_kernelINS0_14default_configENS1_38merge_sort_block_merge_config_selectorIlNS0_10empty_typeEEEZZNS1_27merge_sort_block_merge_implIS3_PlPS5_mZN2at6native12_GLOBAL__N_124unique_dim_cuda_templateIhEESt5tupleIJNSA_6TensorESF_SF_EERKSF_lbbbEUlllE_EE10hipError_tT0_T1_T2_jT3_P12ihipStream_tbPNSt15iterator_traitsISL_E10value_typeEPNSR_ISM_E10value_typeEPSN_NS1_7vsmem_tEENKUlT_SL_SM_SN_E_clIS8_S8_S9_S9_EESK_S10_SL_SM_SN_EUlS10_E_NS1_11comp_targetILNS1_3genE2ELNS1_11target_archE906ELNS1_3gpuE6ELNS1_3repE0EEENS1_48merge_mergepath_partition_config_static_selectorELNS0_4arch9wavefront6targetE1EEEvSM_.num_agpr, 0
	.set _ZN7rocprim17ROCPRIM_400000_NS6detail17trampoline_kernelINS0_14default_configENS1_38merge_sort_block_merge_config_selectorIlNS0_10empty_typeEEEZZNS1_27merge_sort_block_merge_implIS3_PlPS5_mZN2at6native12_GLOBAL__N_124unique_dim_cuda_templateIhEESt5tupleIJNSA_6TensorESF_SF_EERKSF_lbbbEUlllE_EE10hipError_tT0_T1_T2_jT3_P12ihipStream_tbPNSt15iterator_traitsISL_E10value_typeEPNSR_ISM_E10value_typeEPSN_NS1_7vsmem_tEENKUlT_SL_SM_SN_E_clIS8_S8_S9_S9_EESK_S10_SL_SM_SN_EUlS10_E_NS1_11comp_targetILNS1_3genE2ELNS1_11target_archE906ELNS1_3gpuE6ELNS1_3repE0EEENS1_48merge_mergepath_partition_config_static_selectorELNS0_4arch9wavefront6targetE1EEEvSM_.numbered_sgpr, 0
	.set _ZN7rocprim17ROCPRIM_400000_NS6detail17trampoline_kernelINS0_14default_configENS1_38merge_sort_block_merge_config_selectorIlNS0_10empty_typeEEEZZNS1_27merge_sort_block_merge_implIS3_PlPS5_mZN2at6native12_GLOBAL__N_124unique_dim_cuda_templateIhEESt5tupleIJNSA_6TensorESF_SF_EERKSF_lbbbEUlllE_EE10hipError_tT0_T1_T2_jT3_P12ihipStream_tbPNSt15iterator_traitsISL_E10value_typeEPNSR_ISM_E10value_typeEPSN_NS1_7vsmem_tEENKUlT_SL_SM_SN_E_clIS8_S8_S9_S9_EESK_S10_SL_SM_SN_EUlS10_E_NS1_11comp_targetILNS1_3genE2ELNS1_11target_archE906ELNS1_3gpuE6ELNS1_3repE0EEENS1_48merge_mergepath_partition_config_static_selectorELNS0_4arch9wavefront6targetE1EEEvSM_.num_named_barrier, 0
	.set _ZN7rocprim17ROCPRIM_400000_NS6detail17trampoline_kernelINS0_14default_configENS1_38merge_sort_block_merge_config_selectorIlNS0_10empty_typeEEEZZNS1_27merge_sort_block_merge_implIS3_PlPS5_mZN2at6native12_GLOBAL__N_124unique_dim_cuda_templateIhEESt5tupleIJNSA_6TensorESF_SF_EERKSF_lbbbEUlllE_EE10hipError_tT0_T1_T2_jT3_P12ihipStream_tbPNSt15iterator_traitsISL_E10value_typeEPNSR_ISM_E10value_typeEPSN_NS1_7vsmem_tEENKUlT_SL_SM_SN_E_clIS8_S8_S9_S9_EESK_S10_SL_SM_SN_EUlS10_E_NS1_11comp_targetILNS1_3genE2ELNS1_11target_archE906ELNS1_3gpuE6ELNS1_3repE0EEENS1_48merge_mergepath_partition_config_static_selectorELNS0_4arch9wavefront6targetE1EEEvSM_.private_seg_size, 0
	.set _ZN7rocprim17ROCPRIM_400000_NS6detail17trampoline_kernelINS0_14default_configENS1_38merge_sort_block_merge_config_selectorIlNS0_10empty_typeEEEZZNS1_27merge_sort_block_merge_implIS3_PlPS5_mZN2at6native12_GLOBAL__N_124unique_dim_cuda_templateIhEESt5tupleIJNSA_6TensorESF_SF_EERKSF_lbbbEUlllE_EE10hipError_tT0_T1_T2_jT3_P12ihipStream_tbPNSt15iterator_traitsISL_E10value_typeEPNSR_ISM_E10value_typeEPSN_NS1_7vsmem_tEENKUlT_SL_SM_SN_E_clIS8_S8_S9_S9_EESK_S10_SL_SM_SN_EUlS10_E_NS1_11comp_targetILNS1_3genE2ELNS1_11target_archE906ELNS1_3gpuE6ELNS1_3repE0EEENS1_48merge_mergepath_partition_config_static_selectorELNS0_4arch9wavefront6targetE1EEEvSM_.uses_vcc, 0
	.set _ZN7rocprim17ROCPRIM_400000_NS6detail17trampoline_kernelINS0_14default_configENS1_38merge_sort_block_merge_config_selectorIlNS0_10empty_typeEEEZZNS1_27merge_sort_block_merge_implIS3_PlPS5_mZN2at6native12_GLOBAL__N_124unique_dim_cuda_templateIhEESt5tupleIJNSA_6TensorESF_SF_EERKSF_lbbbEUlllE_EE10hipError_tT0_T1_T2_jT3_P12ihipStream_tbPNSt15iterator_traitsISL_E10value_typeEPNSR_ISM_E10value_typeEPSN_NS1_7vsmem_tEENKUlT_SL_SM_SN_E_clIS8_S8_S9_S9_EESK_S10_SL_SM_SN_EUlS10_E_NS1_11comp_targetILNS1_3genE2ELNS1_11target_archE906ELNS1_3gpuE6ELNS1_3repE0EEENS1_48merge_mergepath_partition_config_static_selectorELNS0_4arch9wavefront6targetE1EEEvSM_.uses_flat_scratch, 0
	.set _ZN7rocprim17ROCPRIM_400000_NS6detail17trampoline_kernelINS0_14default_configENS1_38merge_sort_block_merge_config_selectorIlNS0_10empty_typeEEEZZNS1_27merge_sort_block_merge_implIS3_PlPS5_mZN2at6native12_GLOBAL__N_124unique_dim_cuda_templateIhEESt5tupleIJNSA_6TensorESF_SF_EERKSF_lbbbEUlllE_EE10hipError_tT0_T1_T2_jT3_P12ihipStream_tbPNSt15iterator_traitsISL_E10value_typeEPNSR_ISM_E10value_typeEPSN_NS1_7vsmem_tEENKUlT_SL_SM_SN_E_clIS8_S8_S9_S9_EESK_S10_SL_SM_SN_EUlS10_E_NS1_11comp_targetILNS1_3genE2ELNS1_11target_archE906ELNS1_3gpuE6ELNS1_3repE0EEENS1_48merge_mergepath_partition_config_static_selectorELNS0_4arch9wavefront6targetE1EEEvSM_.has_dyn_sized_stack, 0
	.set _ZN7rocprim17ROCPRIM_400000_NS6detail17trampoline_kernelINS0_14default_configENS1_38merge_sort_block_merge_config_selectorIlNS0_10empty_typeEEEZZNS1_27merge_sort_block_merge_implIS3_PlPS5_mZN2at6native12_GLOBAL__N_124unique_dim_cuda_templateIhEESt5tupleIJNSA_6TensorESF_SF_EERKSF_lbbbEUlllE_EE10hipError_tT0_T1_T2_jT3_P12ihipStream_tbPNSt15iterator_traitsISL_E10value_typeEPNSR_ISM_E10value_typeEPSN_NS1_7vsmem_tEENKUlT_SL_SM_SN_E_clIS8_S8_S9_S9_EESK_S10_SL_SM_SN_EUlS10_E_NS1_11comp_targetILNS1_3genE2ELNS1_11target_archE906ELNS1_3gpuE6ELNS1_3repE0EEENS1_48merge_mergepath_partition_config_static_selectorELNS0_4arch9wavefront6targetE1EEEvSM_.has_recursion, 0
	.set _ZN7rocprim17ROCPRIM_400000_NS6detail17trampoline_kernelINS0_14default_configENS1_38merge_sort_block_merge_config_selectorIlNS0_10empty_typeEEEZZNS1_27merge_sort_block_merge_implIS3_PlPS5_mZN2at6native12_GLOBAL__N_124unique_dim_cuda_templateIhEESt5tupleIJNSA_6TensorESF_SF_EERKSF_lbbbEUlllE_EE10hipError_tT0_T1_T2_jT3_P12ihipStream_tbPNSt15iterator_traitsISL_E10value_typeEPNSR_ISM_E10value_typeEPSN_NS1_7vsmem_tEENKUlT_SL_SM_SN_E_clIS8_S8_S9_S9_EESK_S10_SL_SM_SN_EUlS10_E_NS1_11comp_targetILNS1_3genE2ELNS1_11target_archE906ELNS1_3gpuE6ELNS1_3repE0EEENS1_48merge_mergepath_partition_config_static_selectorELNS0_4arch9wavefront6targetE1EEEvSM_.has_indirect_call, 0
	.section	.AMDGPU.csdata,"",@progbits
; Kernel info:
; codeLenInByte = 0
; TotalNumSgprs: 6
; NumVgprs: 0
; NumAgprs: 0
; TotalNumVgprs: 0
; ScratchSize: 0
; MemoryBound: 0
; FloatMode: 240
; IeeeMode: 1
; LDSByteSize: 0 bytes/workgroup (compile time only)
; SGPRBlocks: 0
; VGPRBlocks: 0
; NumSGPRsForWavesPerEU: 6
; NumVGPRsForWavesPerEU: 1
; AccumOffset: 4
; Occupancy: 8
; WaveLimiterHint : 0
; COMPUTE_PGM_RSRC2:SCRATCH_EN: 0
; COMPUTE_PGM_RSRC2:USER_SGPR: 2
; COMPUTE_PGM_RSRC2:TRAP_HANDLER: 0
; COMPUTE_PGM_RSRC2:TGID_X_EN: 1
; COMPUTE_PGM_RSRC2:TGID_Y_EN: 0
; COMPUTE_PGM_RSRC2:TGID_Z_EN: 0
; COMPUTE_PGM_RSRC2:TIDIG_COMP_CNT: 0
; COMPUTE_PGM_RSRC3_GFX90A:ACCUM_OFFSET: 0
; COMPUTE_PGM_RSRC3_GFX90A:TG_SPLIT: 0
	.section	.text._ZN7rocprim17ROCPRIM_400000_NS6detail17trampoline_kernelINS0_14default_configENS1_38merge_sort_block_merge_config_selectorIlNS0_10empty_typeEEEZZNS1_27merge_sort_block_merge_implIS3_PlPS5_mZN2at6native12_GLOBAL__N_124unique_dim_cuda_templateIhEESt5tupleIJNSA_6TensorESF_SF_EERKSF_lbbbEUlllE_EE10hipError_tT0_T1_T2_jT3_P12ihipStream_tbPNSt15iterator_traitsISL_E10value_typeEPNSR_ISM_E10value_typeEPSN_NS1_7vsmem_tEENKUlT_SL_SM_SN_E_clIS8_S8_S9_S9_EESK_S10_SL_SM_SN_EUlS10_E_NS1_11comp_targetILNS1_3genE9ELNS1_11target_archE1100ELNS1_3gpuE3ELNS1_3repE0EEENS1_48merge_mergepath_partition_config_static_selectorELNS0_4arch9wavefront6targetE1EEEvSM_,"axG",@progbits,_ZN7rocprim17ROCPRIM_400000_NS6detail17trampoline_kernelINS0_14default_configENS1_38merge_sort_block_merge_config_selectorIlNS0_10empty_typeEEEZZNS1_27merge_sort_block_merge_implIS3_PlPS5_mZN2at6native12_GLOBAL__N_124unique_dim_cuda_templateIhEESt5tupleIJNSA_6TensorESF_SF_EERKSF_lbbbEUlllE_EE10hipError_tT0_T1_T2_jT3_P12ihipStream_tbPNSt15iterator_traitsISL_E10value_typeEPNSR_ISM_E10value_typeEPSN_NS1_7vsmem_tEENKUlT_SL_SM_SN_E_clIS8_S8_S9_S9_EESK_S10_SL_SM_SN_EUlS10_E_NS1_11comp_targetILNS1_3genE9ELNS1_11target_archE1100ELNS1_3gpuE3ELNS1_3repE0EEENS1_48merge_mergepath_partition_config_static_selectorELNS0_4arch9wavefront6targetE1EEEvSM_,comdat
	.globl	_ZN7rocprim17ROCPRIM_400000_NS6detail17trampoline_kernelINS0_14default_configENS1_38merge_sort_block_merge_config_selectorIlNS0_10empty_typeEEEZZNS1_27merge_sort_block_merge_implIS3_PlPS5_mZN2at6native12_GLOBAL__N_124unique_dim_cuda_templateIhEESt5tupleIJNSA_6TensorESF_SF_EERKSF_lbbbEUlllE_EE10hipError_tT0_T1_T2_jT3_P12ihipStream_tbPNSt15iterator_traitsISL_E10value_typeEPNSR_ISM_E10value_typeEPSN_NS1_7vsmem_tEENKUlT_SL_SM_SN_E_clIS8_S8_S9_S9_EESK_S10_SL_SM_SN_EUlS10_E_NS1_11comp_targetILNS1_3genE9ELNS1_11target_archE1100ELNS1_3gpuE3ELNS1_3repE0EEENS1_48merge_mergepath_partition_config_static_selectorELNS0_4arch9wavefront6targetE1EEEvSM_ ; -- Begin function _ZN7rocprim17ROCPRIM_400000_NS6detail17trampoline_kernelINS0_14default_configENS1_38merge_sort_block_merge_config_selectorIlNS0_10empty_typeEEEZZNS1_27merge_sort_block_merge_implIS3_PlPS5_mZN2at6native12_GLOBAL__N_124unique_dim_cuda_templateIhEESt5tupleIJNSA_6TensorESF_SF_EERKSF_lbbbEUlllE_EE10hipError_tT0_T1_T2_jT3_P12ihipStream_tbPNSt15iterator_traitsISL_E10value_typeEPNSR_ISM_E10value_typeEPSN_NS1_7vsmem_tEENKUlT_SL_SM_SN_E_clIS8_S8_S9_S9_EESK_S10_SL_SM_SN_EUlS10_E_NS1_11comp_targetILNS1_3genE9ELNS1_11target_archE1100ELNS1_3gpuE3ELNS1_3repE0EEENS1_48merge_mergepath_partition_config_static_selectorELNS0_4arch9wavefront6targetE1EEEvSM_
	.p2align	8
	.type	_ZN7rocprim17ROCPRIM_400000_NS6detail17trampoline_kernelINS0_14default_configENS1_38merge_sort_block_merge_config_selectorIlNS0_10empty_typeEEEZZNS1_27merge_sort_block_merge_implIS3_PlPS5_mZN2at6native12_GLOBAL__N_124unique_dim_cuda_templateIhEESt5tupleIJNSA_6TensorESF_SF_EERKSF_lbbbEUlllE_EE10hipError_tT0_T1_T2_jT3_P12ihipStream_tbPNSt15iterator_traitsISL_E10value_typeEPNSR_ISM_E10value_typeEPSN_NS1_7vsmem_tEENKUlT_SL_SM_SN_E_clIS8_S8_S9_S9_EESK_S10_SL_SM_SN_EUlS10_E_NS1_11comp_targetILNS1_3genE9ELNS1_11target_archE1100ELNS1_3gpuE3ELNS1_3repE0EEENS1_48merge_mergepath_partition_config_static_selectorELNS0_4arch9wavefront6targetE1EEEvSM_,@function
_ZN7rocprim17ROCPRIM_400000_NS6detail17trampoline_kernelINS0_14default_configENS1_38merge_sort_block_merge_config_selectorIlNS0_10empty_typeEEEZZNS1_27merge_sort_block_merge_implIS3_PlPS5_mZN2at6native12_GLOBAL__N_124unique_dim_cuda_templateIhEESt5tupleIJNSA_6TensorESF_SF_EERKSF_lbbbEUlllE_EE10hipError_tT0_T1_T2_jT3_P12ihipStream_tbPNSt15iterator_traitsISL_E10value_typeEPNSR_ISM_E10value_typeEPSN_NS1_7vsmem_tEENKUlT_SL_SM_SN_E_clIS8_S8_S9_S9_EESK_S10_SL_SM_SN_EUlS10_E_NS1_11comp_targetILNS1_3genE9ELNS1_11target_archE1100ELNS1_3gpuE3ELNS1_3repE0EEENS1_48merge_mergepath_partition_config_static_selectorELNS0_4arch9wavefront6targetE1EEEvSM_: ; @_ZN7rocprim17ROCPRIM_400000_NS6detail17trampoline_kernelINS0_14default_configENS1_38merge_sort_block_merge_config_selectorIlNS0_10empty_typeEEEZZNS1_27merge_sort_block_merge_implIS3_PlPS5_mZN2at6native12_GLOBAL__N_124unique_dim_cuda_templateIhEESt5tupleIJNSA_6TensorESF_SF_EERKSF_lbbbEUlllE_EE10hipError_tT0_T1_T2_jT3_P12ihipStream_tbPNSt15iterator_traitsISL_E10value_typeEPNSR_ISM_E10value_typeEPSN_NS1_7vsmem_tEENKUlT_SL_SM_SN_E_clIS8_S8_S9_S9_EESK_S10_SL_SM_SN_EUlS10_E_NS1_11comp_targetILNS1_3genE9ELNS1_11target_archE1100ELNS1_3gpuE3ELNS1_3repE0EEENS1_48merge_mergepath_partition_config_static_selectorELNS0_4arch9wavefront6targetE1EEEvSM_
; %bb.0:
	.section	.rodata,"a",@progbits
	.p2align	6, 0x0
	.amdhsa_kernel _ZN7rocprim17ROCPRIM_400000_NS6detail17trampoline_kernelINS0_14default_configENS1_38merge_sort_block_merge_config_selectorIlNS0_10empty_typeEEEZZNS1_27merge_sort_block_merge_implIS3_PlPS5_mZN2at6native12_GLOBAL__N_124unique_dim_cuda_templateIhEESt5tupleIJNSA_6TensorESF_SF_EERKSF_lbbbEUlllE_EE10hipError_tT0_T1_T2_jT3_P12ihipStream_tbPNSt15iterator_traitsISL_E10value_typeEPNSR_ISM_E10value_typeEPSN_NS1_7vsmem_tEENKUlT_SL_SM_SN_E_clIS8_S8_S9_S9_EESK_S10_SL_SM_SN_EUlS10_E_NS1_11comp_targetILNS1_3genE9ELNS1_11target_archE1100ELNS1_3gpuE3ELNS1_3repE0EEENS1_48merge_mergepath_partition_config_static_selectorELNS0_4arch9wavefront6targetE1EEEvSM_
		.amdhsa_group_segment_fixed_size 0
		.amdhsa_private_segment_fixed_size 0
		.amdhsa_kernarg_size 56
		.amdhsa_user_sgpr_count 2
		.amdhsa_user_sgpr_dispatch_ptr 0
		.amdhsa_user_sgpr_queue_ptr 0
		.amdhsa_user_sgpr_kernarg_segment_ptr 1
		.amdhsa_user_sgpr_dispatch_id 0
		.amdhsa_user_sgpr_kernarg_preload_length 0
		.amdhsa_user_sgpr_kernarg_preload_offset 0
		.amdhsa_user_sgpr_private_segment_size 0
		.amdhsa_uses_dynamic_stack 0
		.amdhsa_enable_private_segment 0
		.amdhsa_system_sgpr_workgroup_id_x 1
		.amdhsa_system_sgpr_workgroup_id_y 0
		.amdhsa_system_sgpr_workgroup_id_z 0
		.amdhsa_system_sgpr_workgroup_info 0
		.amdhsa_system_vgpr_workitem_id 0
		.amdhsa_next_free_vgpr 1
		.amdhsa_next_free_sgpr 0
		.amdhsa_accum_offset 4
		.amdhsa_reserve_vcc 0
		.amdhsa_float_round_mode_32 0
		.amdhsa_float_round_mode_16_64 0
		.amdhsa_float_denorm_mode_32 3
		.amdhsa_float_denorm_mode_16_64 3
		.amdhsa_dx10_clamp 1
		.amdhsa_ieee_mode 1
		.amdhsa_fp16_overflow 0
		.amdhsa_tg_split 0
		.amdhsa_exception_fp_ieee_invalid_op 0
		.amdhsa_exception_fp_denorm_src 0
		.amdhsa_exception_fp_ieee_div_zero 0
		.amdhsa_exception_fp_ieee_overflow 0
		.amdhsa_exception_fp_ieee_underflow 0
		.amdhsa_exception_fp_ieee_inexact 0
		.amdhsa_exception_int_div_zero 0
	.end_amdhsa_kernel
	.section	.text._ZN7rocprim17ROCPRIM_400000_NS6detail17trampoline_kernelINS0_14default_configENS1_38merge_sort_block_merge_config_selectorIlNS0_10empty_typeEEEZZNS1_27merge_sort_block_merge_implIS3_PlPS5_mZN2at6native12_GLOBAL__N_124unique_dim_cuda_templateIhEESt5tupleIJNSA_6TensorESF_SF_EERKSF_lbbbEUlllE_EE10hipError_tT0_T1_T2_jT3_P12ihipStream_tbPNSt15iterator_traitsISL_E10value_typeEPNSR_ISM_E10value_typeEPSN_NS1_7vsmem_tEENKUlT_SL_SM_SN_E_clIS8_S8_S9_S9_EESK_S10_SL_SM_SN_EUlS10_E_NS1_11comp_targetILNS1_3genE9ELNS1_11target_archE1100ELNS1_3gpuE3ELNS1_3repE0EEENS1_48merge_mergepath_partition_config_static_selectorELNS0_4arch9wavefront6targetE1EEEvSM_,"axG",@progbits,_ZN7rocprim17ROCPRIM_400000_NS6detail17trampoline_kernelINS0_14default_configENS1_38merge_sort_block_merge_config_selectorIlNS0_10empty_typeEEEZZNS1_27merge_sort_block_merge_implIS3_PlPS5_mZN2at6native12_GLOBAL__N_124unique_dim_cuda_templateIhEESt5tupleIJNSA_6TensorESF_SF_EERKSF_lbbbEUlllE_EE10hipError_tT0_T1_T2_jT3_P12ihipStream_tbPNSt15iterator_traitsISL_E10value_typeEPNSR_ISM_E10value_typeEPSN_NS1_7vsmem_tEENKUlT_SL_SM_SN_E_clIS8_S8_S9_S9_EESK_S10_SL_SM_SN_EUlS10_E_NS1_11comp_targetILNS1_3genE9ELNS1_11target_archE1100ELNS1_3gpuE3ELNS1_3repE0EEENS1_48merge_mergepath_partition_config_static_selectorELNS0_4arch9wavefront6targetE1EEEvSM_,comdat
.Lfunc_end24:
	.size	_ZN7rocprim17ROCPRIM_400000_NS6detail17trampoline_kernelINS0_14default_configENS1_38merge_sort_block_merge_config_selectorIlNS0_10empty_typeEEEZZNS1_27merge_sort_block_merge_implIS3_PlPS5_mZN2at6native12_GLOBAL__N_124unique_dim_cuda_templateIhEESt5tupleIJNSA_6TensorESF_SF_EERKSF_lbbbEUlllE_EE10hipError_tT0_T1_T2_jT3_P12ihipStream_tbPNSt15iterator_traitsISL_E10value_typeEPNSR_ISM_E10value_typeEPSN_NS1_7vsmem_tEENKUlT_SL_SM_SN_E_clIS8_S8_S9_S9_EESK_S10_SL_SM_SN_EUlS10_E_NS1_11comp_targetILNS1_3genE9ELNS1_11target_archE1100ELNS1_3gpuE3ELNS1_3repE0EEENS1_48merge_mergepath_partition_config_static_selectorELNS0_4arch9wavefront6targetE1EEEvSM_, .Lfunc_end24-_ZN7rocprim17ROCPRIM_400000_NS6detail17trampoline_kernelINS0_14default_configENS1_38merge_sort_block_merge_config_selectorIlNS0_10empty_typeEEEZZNS1_27merge_sort_block_merge_implIS3_PlPS5_mZN2at6native12_GLOBAL__N_124unique_dim_cuda_templateIhEESt5tupleIJNSA_6TensorESF_SF_EERKSF_lbbbEUlllE_EE10hipError_tT0_T1_T2_jT3_P12ihipStream_tbPNSt15iterator_traitsISL_E10value_typeEPNSR_ISM_E10value_typeEPSN_NS1_7vsmem_tEENKUlT_SL_SM_SN_E_clIS8_S8_S9_S9_EESK_S10_SL_SM_SN_EUlS10_E_NS1_11comp_targetILNS1_3genE9ELNS1_11target_archE1100ELNS1_3gpuE3ELNS1_3repE0EEENS1_48merge_mergepath_partition_config_static_selectorELNS0_4arch9wavefront6targetE1EEEvSM_
                                        ; -- End function
	.set _ZN7rocprim17ROCPRIM_400000_NS6detail17trampoline_kernelINS0_14default_configENS1_38merge_sort_block_merge_config_selectorIlNS0_10empty_typeEEEZZNS1_27merge_sort_block_merge_implIS3_PlPS5_mZN2at6native12_GLOBAL__N_124unique_dim_cuda_templateIhEESt5tupleIJNSA_6TensorESF_SF_EERKSF_lbbbEUlllE_EE10hipError_tT0_T1_T2_jT3_P12ihipStream_tbPNSt15iterator_traitsISL_E10value_typeEPNSR_ISM_E10value_typeEPSN_NS1_7vsmem_tEENKUlT_SL_SM_SN_E_clIS8_S8_S9_S9_EESK_S10_SL_SM_SN_EUlS10_E_NS1_11comp_targetILNS1_3genE9ELNS1_11target_archE1100ELNS1_3gpuE3ELNS1_3repE0EEENS1_48merge_mergepath_partition_config_static_selectorELNS0_4arch9wavefront6targetE1EEEvSM_.num_vgpr, 0
	.set _ZN7rocprim17ROCPRIM_400000_NS6detail17trampoline_kernelINS0_14default_configENS1_38merge_sort_block_merge_config_selectorIlNS0_10empty_typeEEEZZNS1_27merge_sort_block_merge_implIS3_PlPS5_mZN2at6native12_GLOBAL__N_124unique_dim_cuda_templateIhEESt5tupleIJNSA_6TensorESF_SF_EERKSF_lbbbEUlllE_EE10hipError_tT0_T1_T2_jT3_P12ihipStream_tbPNSt15iterator_traitsISL_E10value_typeEPNSR_ISM_E10value_typeEPSN_NS1_7vsmem_tEENKUlT_SL_SM_SN_E_clIS8_S8_S9_S9_EESK_S10_SL_SM_SN_EUlS10_E_NS1_11comp_targetILNS1_3genE9ELNS1_11target_archE1100ELNS1_3gpuE3ELNS1_3repE0EEENS1_48merge_mergepath_partition_config_static_selectorELNS0_4arch9wavefront6targetE1EEEvSM_.num_agpr, 0
	.set _ZN7rocprim17ROCPRIM_400000_NS6detail17trampoline_kernelINS0_14default_configENS1_38merge_sort_block_merge_config_selectorIlNS0_10empty_typeEEEZZNS1_27merge_sort_block_merge_implIS3_PlPS5_mZN2at6native12_GLOBAL__N_124unique_dim_cuda_templateIhEESt5tupleIJNSA_6TensorESF_SF_EERKSF_lbbbEUlllE_EE10hipError_tT0_T1_T2_jT3_P12ihipStream_tbPNSt15iterator_traitsISL_E10value_typeEPNSR_ISM_E10value_typeEPSN_NS1_7vsmem_tEENKUlT_SL_SM_SN_E_clIS8_S8_S9_S9_EESK_S10_SL_SM_SN_EUlS10_E_NS1_11comp_targetILNS1_3genE9ELNS1_11target_archE1100ELNS1_3gpuE3ELNS1_3repE0EEENS1_48merge_mergepath_partition_config_static_selectorELNS0_4arch9wavefront6targetE1EEEvSM_.numbered_sgpr, 0
	.set _ZN7rocprim17ROCPRIM_400000_NS6detail17trampoline_kernelINS0_14default_configENS1_38merge_sort_block_merge_config_selectorIlNS0_10empty_typeEEEZZNS1_27merge_sort_block_merge_implIS3_PlPS5_mZN2at6native12_GLOBAL__N_124unique_dim_cuda_templateIhEESt5tupleIJNSA_6TensorESF_SF_EERKSF_lbbbEUlllE_EE10hipError_tT0_T1_T2_jT3_P12ihipStream_tbPNSt15iterator_traitsISL_E10value_typeEPNSR_ISM_E10value_typeEPSN_NS1_7vsmem_tEENKUlT_SL_SM_SN_E_clIS8_S8_S9_S9_EESK_S10_SL_SM_SN_EUlS10_E_NS1_11comp_targetILNS1_3genE9ELNS1_11target_archE1100ELNS1_3gpuE3ELNS1_3repE0EEENS1_48merge_mergepath_partition_config_static_selectorELNS0_4arch9wavefront6targetE1EEEvSM_.num_named_barrier, 0
	.set _ZN7rocprim17ROCPRIM_400000_NS6detail17trampoline_kernelINS0_14default_configENS1_38merge_sort_block_merge_config_selectorIlNS0_10empty_typeEEEZZNS1_27merge_sort_block_merge_implIS3_PlPS5_mZN2at6native12_GLOBAL__N_124unique_dim_cuda_templateIhEESt5tupleIJNSA_6TensorESF_SF_EERKSF_lbbbEUlllE_EE10hipError_tT0_T1_T2_jT3_P12ihipStream_tbPNSt15iterator_traitsISL_E10value_typeEPNSR_ISM_E10value_typeEPSN_NS1_7vsmem_tEENKUlT_SL_SM_SN_E_clIS8_S8_S9_S9_EESK_S10_SL_SM_SN_EUlS10_E_NS1_11comp_targetILNS1_3genE9ELNS1_11target_archE1100ELNS1_3gpuE3ELNS1_3repE0EEENS1_48merge_mergepath_partition_config_static_selectorELNS0_4arch9wavefront6targetE1EEEvSM_.private_seg_size, 0
	.set _ZN7rocprim17ROCPRIM_400000_NS6detail17trampoline_kernelINS0_14default_configENS1_38merge_sort_block_merge_config_selectorIlNS0_10empty_typeEEEZZNS1_27merge_sort_block_merge_implIS3_PlPS5_mZN2at6native12_GLOBAL__N_124unique_dim_cuda_templateIhEESt5tupleIJNSA_6TensorESF_SF_EERKSF_lbbbEUlllE_EE10hipError_tT0_T1_T2_jT3_P12ihipStream_tbPNSt15iterator_traitsISL_E10value_typeEPNSR_ISM_E10value_typeEPSN_NS1_7vsmem_tEENKUlT_SL_SM_SN_E_clIS8_S8_S9_S9_EESK_S10_SL_SM_SN_EUlS10_E_NS1_11comp_targetILNS1_3genE9ELNS1_11target_archE1100ELNS1_3gpuE3ELNS1_3repE0EEENS1_48merge_mergepath_partition_config_static_selectorELNS0_4arch9wavefront6targetE1EEEvSM_.uses_vcc, 0
	.set _ZN7rocprim17ROCPRIM_400000_NS6detail17trampoline_kernelINS0_14default_configENS1_38merge_sort_block_merge_config_selectorIlNS0_10empty_typeEEEZZNS1_27merge_sort_block_merge_implIS3_PlPS5_mZN2at6native12_GLOBAL__N_124unique_dim_cuda_templateIhEESt5tupleIJNSA_6TensorESF_SF_EERKSF_lbbbEUlllE_EE10hipError_tT0_T1_T2_jT3_P12ihipStream_tbPNSt15iterator_traitsISL_E10value_typeEPNSR_ISM_E10value_typeEPSN_NS1_7vsmem_tEENKUlT_SL_SM_SN_E_clIS8_S8_S9_S9_EESK_S10_SL_SM_SN_EUlS10_E_NS1_11comp_targetILNS1_3genE9ELNS1_11target_archE1100ELNS1_3gpuE3ELNS1_3repE0EEENS1_48merge_mergepath_partition_config_static_selectorELNS0_4arch9wavefront6targetE1EEEvSM_.uses_flat_scratch, 0
	.set _ZN7rocprim17ROCPRIM_400000_NS6detail17trampoline_kernelINS0_14default_configENS1_38merge_sort_block_merge_config_selectorIlNS0_10empty_typeEEEZZNS1_27merge_sort_block_merge_implIS3_PlPS5_mZN2at6native12_GLOBAL__N_124unique_dim_cuda_templateIhEESt5tupleIJNSA_6TensorESF_SF_EERKSF_lbbbEUlllE_EE10hipError_tT0_T1_T2_jT3_P12ihipStream_tbPNSt15iterator_traitsISL_E10value_typeEPNSR_ISM_E10value_typeEPSN_NS1_7vsmem_tEENKUlT_SL_SM_SN_E_clIS8_S8_S9_S9_EESK_S10_SL_SM_SN_EUlS10_E_NS1_11comp_targetILNS1_3genE9ELNS1_11target_archE1100ELNS1_3gpuE3ELNS1_3repE0EEENS1_48merge_mergepath_partition_config_static_selectorELNS0_4arch9wavefront6targetE1EEEvSM_.has_dyn_sized_stack, 0
	.set _ZN7rocprim17ROCPRIM_400000_NS6detail17trampoline_kernelINS0_14default_configENS1_38merge_sort_block_merge_config_selectorIlNS0_10empty_typeEEEZZNS1_27merge_sort_block_merge_implIS3_PlPS5_mZN2at6native12_GLOBAL__N_124unique_dim_cuda_templateIhEESt5tupleIJNSA_6TensorESF_SF_EERKSF_lbbbEUlllE_EE10hipError_tT0_T1_T2_jT3_P12ihipStream_tbPNSt15iterator_traitsISL_E10value_typeEPNSR_ISM_E10value_typeEPSN_NS1_7vsmem_tEENKUlT_SL_SM_SN_E_clIS8_S8_S9_S9_EESK_S10_SL_SM_SN_EUlS10_E_NS1_11comp_targetILNS1_3genE9ELNS1_11target_archE1100ELNS1_3gpuE3ELNS1_3repE0EEENS1_48merge_mergepath_partition_config_static_selectorELNS0_4arch9wavefront6targetE1EEEvSM_.has_recursion, 0
	.set _ZN7rocprim17ROCPRIM_400000_NS6detail17trampoline_kernelINS0_14default_configENS1_38merge_sort_block_merge_config_selectorIlNS0_10empty_typeEEEZZNS1_27merge_sort_block_merge_implIS3_PlPS5_mZN2at6native12_GLOBAL__N_124unique_dim_cuda_templateIhEESt5tupleIJNSA_6TensorESF_SF_EERKSF_lbbbEUlllE_EE10hipError_tT0_T1_T2_jT3_P12ihipStream_tbPNSt15iterator_traitsISL_E10value_typeEPNSR_ISM_E10value_typeEPSN_NS1_7vsmem_tEENKUlT_SL_SM_SN_E_clIS8_S8_S9_S9_EESK_S10_SL_SM_SN_EUlS10_E_NS1_11comp_targetILNS1_3genE9ELNS1_11target_archE1100ELNS1_3gpuE3ELNS1_3repE0EEENS1_48merge_mergepath_partition_config_static_selectorELNS0_4arch9wavefront6targetE1EEEvSM_.has_indirect_call, 0
	.section	.AMDGPU.csdata,"",@progbits
; Kernel info:
; codeLenInByte = 0
; TotalNumSgprs: 6
; NumVgprs: 0
; NumAgprs: 0
; TotalNumVgprs: 0
; ScratchSize: 0
; MemoryBound: 0
; FloatMode: 240
; IeeeMode: 1
; LDSByteSize: 0 bytes/workgroup (compile time only)
; SGPRBlocks: 0
; VGPRBlocks: 0
; NumSGPRsForWavesPerEU: 6
; NumVGPRsForWavesPerEU: 1
; AccumOffset: 4
; Occupancy: 8
; WaveLimiterHint : 0
; COMPUTE_PGM_RSRC2:SCRATCH_EN: 0
; COMPUTE_PGM_RSRC2:USER_SGPR: 2
; COMPUTE_PGM_RSRC2:TRAP_HANDLER: 0
; COMPUTE_PGM_RSRC2:TGID_X_EN: 1
; COMPUTE_PGM_RSRC2:TGID_Y_EN: 0
; COMPUTE_PGM_RSRC2:TGID_Z_EN: 0
; COMPUTE_PGM_RSRC2:TIDIG_COMP_CNT: 0
; COMPUTE_PGM_RSRC3_GFX90A:ACCUM_OFFSET: 0
; COMPUTE_PGM_RSRC3_GFX90A:TG_SPLIT: 0
	.section	.text._ZN7rocprim17ROCPRIM_400000_NS6detail17trampoline_kernelINS0_14default_configENS1_38merge_sort_block_merge_config_selectorIlNS0_10empty_typeEEEZZNS1_27merge_sort_block_merge_implIS3_PlPS5_mZN2at6native12_GLOBAL__N_124unique_dim_cuda_templateIhEESt5tupleIJNSA_6TensorESF_SF_EERKSF_lbbbEUlllE_EE10hipError_tT0_T1_T2_jT3_P12ihipStream_tbPNSt15iterator_traitsISL_E10value_typeEPNSR_ISM_E10value_typeEPSN_NS1_7vsmem_tEENKUlT_SL_SM_SN_E_clIS8_S8_S9_S9_EESK_S10_SL_SM_SN_EUlS10_E_NS1_11comp_targetILNS1_3genE8ELNS1_11target_archE1030ELNS1_3gpuE2ELNS1_3repE0EEENS1_48merge_mergepath_partition_config_static_selectorELNS0_4arch9wavefront6targetE1EEEvSM_,"axG",@progbits,_ZN7rocprim17ROCPRIM_400000_NS6detail17trampoline_kernelINS0_14default_configENS1_38merge_sort_block_merge_config_selectorIlNS0_10empty_typeEEEZZNS1_27merge_sort_block_merge_implIS3_PlPS5_mZN2at6native12_GLOBAL__N_124unique_dim_cuda_templateIhEESt5tupleIJNSA_6TensorESF_SF_EERKSF_lbbbEUlllE_EE10hipError_tT0_T1_T2_jT3_P12ihipStream_tbPNSt15iterator_traitsISL_E10value_typeEPNSR_ISM_E10value_typeEPSN_NS1_7vsmem_tEENKUlT_SL_SM_SN_E_clIS8_S8_S9_S9_EESK_S10_SL_SM_SN_EUlS10_E_NS1_11comp_targetILNS1_3genE8ELNS1_11target_archE1030ELNS1_3gpuE2ELNS1_3repE0EEENS1_48merge_mergepath_partition_config_static_selectorELNS0_4arch9wavefront6targetE1EEEvSM_,comdat
	.globl	_ZN7rocprim17ROCPRIM_400000_NS6detail17trampoline_kernelINS0_14default_configENS1_38merge_sort_block_merge_config_selectorIlNS0_10empty_typeEEEZZNS1_27merge_sort_block_merge_implIS3_PlPS5_mZN2at6native12_GLOBAL__N_124unique_dim_cuda_templateIhEESt5tupleIJNSA_6TensorESF_SF_EERKSF_lbbbEUlllE_EE10hipError_tT0_T1_T2_jT3_P12ihipStream_tbPNSt15iterator_traitsISL_E10value_typeEPNSR_ISM_E10value_typeEPSN_NS1_7vsmem_tEENKUlT_SL_SM_SN_E_clIS8_S8_S9_S9_EESK_S10_SL_SM_SN_EUlS10_E_NS1_11comp_targetILNS1_3genE8ELNS1_11target_archE1030ELNS1_3gpuE2ELNS1_3repE0EEENS1_48merge_mergepath_partition_config_static_selectorELNS0_4arch9wavefront6targetE1EEEvSM_ ; -- Begin function _ZN7rocprim17ROCPRIM_400000_NS6detail17trampoline_kernelINS0_14default_configENS1_38merge_sort_block_merge_config_selectorIlNS0_10empty_typeEEEZZNS1_27merge_sort_block_merge_implIS3_PlPS5_mZN2at6native12_GLOBAL__N_124unique_dim_cuda_templateIhEESt5tupleIJNSA_6TensorESF_SF_EERKSF_lbbbEUlllE_EE10hipError_tT0_T1_T2_jT3_P12ihipStream_tbPNSt15iterator_traitsISL_E10value_typeEPNSR_ISM_E10value_typeEPSN_NS1_7vsmem_tEENKUlT_SL_SM_SN_E_clIS8_S8_S9_S9_EESK_S10_SL_SM_SN_EUlS10_E_NS1_11comp_targetILNS1_3genE8ELNS1_11target_archE1030ELNS1_3gpuE2ELNS1_3repE0EEENS1_48merge_mergepath_partition_config_static_selectorELNS0_4arch9wavefront6targetE1EEEvSM_
	.p2align	8
	.type	_ZN7rocprim17ROCPRIM_400000_NS6detail17trampoline_kernelINS0_14default_configENS1_38merge_sort_block_merge_config_selectorIlNS0_10empty_typeEEEZZNS1_27merge_sort_block_merge_implIS3_PlPS5_mZN2at6native12_GLOBAL__N_124unique_dim_cuda_templateIhEESt5tupleIJNSA_6TensorESF_SF_EERKSF_lbbbEUlllE_EE10hipError_tT0_T1_T2_jT3_P12ihipStream_tbPNSt15iterator_traitsISL_E10value_typeEPNSR_ISM_E10value_typeEPSN_NS1_7vsmem_tEENKUlT_SL_SM_SN_E_clIS8_S8_S9_S9_EESK_S10_SL_SM_SN_EUlS10_E_NS1_11comp_targetILNS1_3genE8ELNS1_11target_archE1030ELNS1_3gpuE2ELNS1_3repE0EEENS1_48merge_mergepath_partition_config_static_selectorELNS0_4arch9wavefront6targetE1EEEvSM_,@function
_ZN7rocprim17ROCPRIM_400000_NS6detail17trampoline_kernelINS0_14default_configENS1_38merge_sort_block_merge_config_selectorIlNS0_10empty_typeEEEZZNS1_27merge_sort_block_merge_implIS3_PlPS5_mZN2at6native12_GLOBAL__N_124unique_dim_cuda_templateIhEESt5tupleIJNSA_6TensorESF_SF_EERKSF_lbbbEUlllE_EE10hipError_tT0_T1_T2_jT3_P12ihipStream_tbPNSt15iterator_traitsISL_E10value_typeEPNSR_ISM_E10value_typeEPSN_NS1_7vsmem_tEENKUlT_SL_SM_SN_E_clIS8_S8_S9_S9_EESK_S10_SL_SM_SN_EUlS10_E_NS1_11comp_targetILNS1_3genE8ELNS1_11target_archE1030ELNS1_3gpuE2ELNS1_3repE0EEENS1_48merge_mergepath_partition_config_static_selectorELNS0_4arch9wavefront6targetE1EEEvSM_: ; @_ZN7rocprim17ROCPRIM_400000_NS6detail17trampoline_kernelINS0_14default_configENS1_38merge_sort_block_merge_config_selectorIlNS0_10empty_typeEEEZZNS1_27merge_sort_block_merge_implIS3_PlPS5_mZN2at6native12_GLOBAL__N_124unique_dim_cuda_templateIhEESt5tupleIJNSA_6TensorESF_SF_EERKSF_lbbbEUlllE_EE10hipError_tT0_T1_T2_jT3_P12ihipStream_tbPNSt15iterator_traitsISL_E10value_typeEPNSR_ISM_E10value_typeEPSN_NS1_7vsmem_tEENKUlT_SL_SM_SN_E_clIS8_S8_S9_S9_EESK_S10_SL_SM_SN_EUlS10_E_NS1_11comp_targetILNS1_3genE8ELNS1_11target_archE1030ELNS1_3gpuE2ELNS1_3repE0EEENS1_48merge_mergepath_partition_config_static_selectorELNS0_4arch9wavefront6targetE1EEEvSM_
; %bb.0:
	.section	.rodata,"a",@progbits
	.p2align	6, 0x0
	.amdhsa_kernel _ZN7rocprim17ROCPRIM_400000_NS6detail17trampoline_kernelINS0_14default_configENS1_38merge_sort_block_merge_config_selectorIlNS0_10empty_typeEEEZZNS1_27merge_sort_block_merge_implIS3_PlPS5_mZN2at6native12_GLOBAL__N_124unique_dim_cuda_templateIhEESt5tupleIJNSA_6TensorESF_SF_EERKSF_lbbbEUlllE_EE10hipError_tT0_T1_T2_jT3_P12ihipStream_tbPNSt15iterator_traitsISL_E10value_typeEPNSR_ISM_E10value_typeEPSN_NS1_7vsmem_tEENKUlT_SL_SM_SN_E_clIS8_S8_S9_S9_EESK_S10_SL_SM_SN_EUlS10_E_NS1_11comp_targetILNS1_3genE8ELNS1_11target_archE1030ELNS1_3gpuE2ELNS1_3repE0EEENS1_48merge_mergepath_partition_config_static_selectorELNS0_4arch9wavefront6targetE1EEEvSM_
		.amdhsa_group_segment_fixed_size 0
		.amdhsa_private_segment_fixed_size 0
		.amdhsa_kernarg_size 56
		.amdhsa_user_sgpr_count 2
		.amdhsa_user_sgpr_dispatch_ptr 0
		.amdhsa_user_sgpr_queue_ptr 0
		.amdhsa_user_sgpr_kernarg_segment_ptr 1
		.amdhsa_user_sgpr_dispatch_id 0
		.amdhsa_user_sgpr_kernarg_preload_length 0
		.amdhsa_user_sgpr_kernarg_preload_offset 0
		.amdhsa_user_sgpr_private_segment_size 0
		.amdhsa_uses_dynamic_stack 0
		.amdhsa_enable_private_segment 0
		.amdhsa_system_sgpr_workgroup_id_x 1
		.amdhsa_system_sgpr_workgroup_id_y 0
		.amdhsa_system_sgpr_workgroup_id_z 0
		.amdhsa_system_sgpr_workgroup_info 0
		.amdhsa_system_vgpr_workitem_id 0
		.amdhsa_next_free_vgpr 1
		.amdhsa_next_free_sgpr 0
		.amdhsa_accum_offset 4
		.amdhsa_reserve_vcc 0
		.amdhsa_float_round_mode_32 0
		.amdhsa_float_round_mode_16_64 0
		.amdhsa_float_denorm_mode_32 3
		.amdhsa_float_denorm_mode_16_64 3
		.amdhsa_dx10_clamp 1
		.amdhsa_ieee_mode 1
		.amdhsa_fp16_overflow 0
		.amdhsa_tg_split 0
		.amdhsa_exception_fp_ieee_invalid_op 0
		.amdhsa_exception_fp_denorm_src 0
		.amdhsa_exception_fp_ieee_div_zero 0
		.amdhsa_exception_fp_ieee_overflow 0
		.amdhsa_exception_fp_ieee_underflow 0
		.amdhsa_exception_fp_ieee_inexact 0
		.amdhsa_exception_int_div_zero 0
	.end_amdhsa_kernel
	.section	.text._ZN7rocprim17ROCPRIM_400000_NS6detail17trampoline_kernelINS0_14default_configENS1_38merge_sort_block_merge_config_selectorIlNS0_10empty_typeEEEZZNS1_27merge_sort_block_merge_implIS3_PlPS5_mZN2at6native12_GLOBAL__N_124unique_dim_cuda_templateIhEESt5tupleIJNSA_6TensorESF_SF_EERKSF_lbbbEUlllE_EE10hipError_tT0_T1_T2_jT3_P12ihipStream_tbPNSt15iterator_traitsISL_E10value_typeEPNSR_ISM_E10value_typeEPSN_NS1_7vsmem_tEENKUlT_SL_SM_SN_E_clIS8_S8_S9_S9_EESK_S10_SL_SM_SN_EUlS10_E_NS1_11comp_targetILNS1_3genE8ELNS1_11target_archE1030ELNS1_3gpuE2ELNS1_3repE0EEENS1_48merge_mergepath_partition_config_static_selectorELNS0_4arch9wavefront6targetE1EEEvSM_,"axG",@progbits,_ZN7rocprim17ROCPRIM_400000_NS6detail17trampoline_kernelINS0_14default_configENS1_38merge_sort_block_merge_config_selectorIlNS0_10empty_typeEEEZZNS1_27merge_sort_block_merge_implIS3_PlPS5_mZN2at6native12_GLOBAL__N_124unique_dim_cuda_templateIhEESt5tupleIJNSA_6TensorESF_SF_EERKSF_lbbbEUlllE_EE10hipError_tT0_T1_T2_jT3_P12ihipStream_tbPNSt15iterator_traitsISL_E10value_typeEPNSR_ISM_E10value_typeEPSN_NS1_7vsmem_tEENKUlT_SL_SM_SN_E_clIS8_S8_S9_S9_EESK_S10_SL_SM_SN_EUlS10_E_NS1_11comp_targetILNS1_3genE8ELNS1_11target_archE1030ELNS1_3gpuE2ELNS1_3repE0EEENS1_48merge_mergepath_partition_config_static_selectorELNS0_4arch9wavefront6targetE1EEEvSM_,comdat
.Lfunc_end25:
	.size	_ZN7rocprim17ROCPRIM_400000_NS6detail17trampoline_kernelINS0_14default_configENS1_38merge_sort_block_merge_config_selectorIlNS0_10empty_typeEEEZZNS1_27merge_sort_block_merge_implIS3_PlPS5_mZN2at6native12_GLOBAL__N_124unique_dim_cuda_templateIhEESt5tupleIJNSA_6TensorESF_SF_EERKSF_lbbbEUlllE_EE10hipError_tT0_T1_T2_jT3_P12ihipStream_tbPNSt15iterator_traitsISL_E10value_typeEPNSR_ISM_E10value_typeEPSN_NS1_7vsmem_tEENKUlT_SL_SM_SN_E_clIS8_S8_S9_S9_EESK_S10_SL_SM_SN_EUlS10_E_NS1_11comp_targetILNS1_3genE8ELNS1_11target_archE1030ELNS1_3gpuE2ELNS1_3repE0EEENS1_48merge_mergepath_partition_config_static_selectorELNS0_4arch9wavefront6targetE1EEEvSM_, .Lfunc_end25-_ZN7rocprim17ROCPRIM_400000_NS6detail17trampoline_kernelINS0_14default_configENS1_38merge_sort_block_merge_config_selectorIlNS0_10empty_typeEEEZZNS1_27merge_sort_block_merge_implIS3_PlPS5_mZN2at6native12_GLOBAL__N_124unique_dim_cuda_templateIhEESt5tupleIJNSA_6TensorESF_SF_EERKSF_lbbbEUlllE_EE10hipError_tT0_T1_T2_jT3_P12ihipStream_tbPNSt15iterator_traitsISL_E10value_typeEPNSR_ISM_E10value_typeEPSN_NS1_7vsmem_tEENKUlT_SL_SM_SN_E_clIS8_S8_S9_S9_EESK_S10_SL_SM_SN_EUlS10_E_NS1_11comp_targetILNS1_3genE8ELNS1_11target_archE1030ELNS1_3gpuE2ELNS1_3repE0EEENS1_48merge_mergepath_partition_config_static_selectorELNS0_4arch9wavefront6targetE1EEEvSM_
                                        ; -- End function
	.set _ZN7rocprim17ROCPRIM_400000_NS6detail17trampoline_kernelINS0_14default_configENS1_38merge_sort_block_merge_config_selectorIlNS0_10empty_typeEEEZZNS1_27merge_sort_block_merge_implIS3_PlPS5_mZN2at6native12_GLOBAL__N_124unique_dim_cuda_templateIhEESt5tupleIJNSA_6TensorESF_SF_EERKSF_lbbbEUlllE_EE10hipError_tT0_T1_T2_jT3_P12ihipStream_tbPNSt15iterator_traitsISL_E10value_typeEPNSR_ISM_E10value_typeEPSN_NS1_7vsmem_tEENKUlT_SL_SM_SN_E_clIS8_S8_S9_S9_EESK_S10_SL_SM_SN_EUlS10_E_NS1_11comp_targetILNS1_3genE8ELNS1_11target_archE1030ELNS1_3gpuE2ELNS1_3repE0EEENS1_48merge_mergepath_partition_config_static_selectorELNS0_4arch9wavefront6targetE1EEEvSM_.num_vgpr, 0
	.set _ZN7rocprim17ROCPRIM_400000_NS6detail17trampoline_kernelINS0_14default_configENS1_38merge_sort_block_merge_config_selectorIlNS0_10empty_typeEEEZZNS1_27merge_sort_block_merge_implIS3_PlPS5_mZN2at6native12_GLOBAL__N_124unique_dim_cuda_templateIhEESt5tupleIJNSA_6TensorESF_SF_EERKSF_lbbbEUlllE_EE10hipError_tT0_T1_T2_jT3_P12ihipStream_tbPNSt15iterator_traitsISL_E10value_typeEPNSR_ISM_E10value_typeEPSN_NS1_7vsmem_tEENKUlT_SL_SM_SN_E_clIS8_S8_S9_S9_EESK_S10_SL_SM_SN_EUlS10_E_NS1_11comp_targetILNS1_3genE8ELNS1_11target_archE1030ELNS1_3gpuE2ELNS1_3repE0EEENS1_48merge_mergepath_partition_config_static_selectorELNS0_4arch9wavefront6targetE1EEEvSM_.num_agpr, 0
	.set _ZN7rocprim17ROCPRIM_400000_NS6detail17trampoline_kernelINS0_14default_configENS1_38merge_sort_block_merge_config_selectorIlNS0_10empty_typeEEEZZNS1_27merge_sort_block_merge_implIS3_PlPS5_mZN2at6native12_GLOBAL__N_124unique_dim_cuda_templateIhEESt5tupleIJNSA_6TensorESF_SF_EERKSF_lbbbEUlllE_EE10hipError_tT0_T1_T2_jT3_P12ihipStream_tbPNSt15iterator_traitsISL_E10value_typeEPNSR_ISM_E10value_typeEPSN_NS1_7vsmem_tEENKUlT_SL_SM_SN_E_clIS8_S8_S9_S9_EESK_S10_SL_SM_SN_EUlS10_E_NS1_11comp_targetILNS1_3genE8ELNS1_11target_archE1030ELNS1_3gpuE2ELNS1_3repE0EEENS1_48merge_mergepath_partition_config_static_selectorELNS0_4arch9wavefront6targetE1EEEvSM_.numbered_sgpr, 0
	.set _ZN7rocprim17ROCPRIM_400000_NS6detail17trampoline_kernelINS0_14default_configENS1_38merge_sort_block_merge_config_selectorIlNS0_10empty_typeEEEZZNS1_27merge_sort_block_merge_implIS3_PlPS5_mZN2at6native12_GLOBAL__N_124unique_dim_cuda_templateIhEESt5tupleIJNSA_6TensorESF_SF_EERKSF_lbbbEUlllE_EE10hipError_tT0_T1_T2_jT3_P12ihipStream_tbPNSt15iterator_traitsISL_E10value_typeEPNSR_ISM_E10value_typeEPSN_NS1_7vsmem_tEENKUlT_SL_SM_SN_E_clIS8_S8_S9_S9_EESK_S10_SL_SM_SN_EUlS10_E_NS1_11comp_targetILNS1_3genE8ELNS1_11target_archE1030ELNS1_3gpuE2ELNS1_3repE0EEENS1_48merge_mergepath_partition_config_static_selectorELNS0_4arch9wavefront6targetE1EEEvSM_.num_named_barrier, 0
	.set _ZN7rocprim17ROCPRIM_400000_NS6detail17trampoline_kernelINS0_14default_configENS1_38merge_sort_block_merge_config_selectorIlNS0_10empty_typeEEEZZNS1_27merge_sort_block_merge_implIS3_PlPS5_mZN2at6native12_GLOBAL__N_124unique_dim_cuda_templateIhEESt5tupleIJNSA_6TensorESF_SF_EERKSF_lbbbEUlllE_EE10hipError_tT0_T1_T2_jT3_P12ihipStream_tbPNSt15iterator_traitsISL_E10value_typeEPNSR_ISM_E10value_typeEPSN_NS1_7vsmem_tEENKUlT_SL_SM_SN_E_clIS8_S8_S9_S9_EESK_S10_SL_SM_SN_EUlS10_E_NS1_11comp_targetILNS1_3genE8ELNS1_11target_archE1030ELNS1_3gpuE2ELNS1_3repE0EEENS1_48merge_mergepath_partition_config_static_selectorELNS0_4arch9wavefront6targetE1EEEvSM_.private_seg_size, 0
	.set _ZN7rocprim17ROCPRIM_400000_NS6detail17trampoline_kernelINS0_14default_configENS1_38merge_sort_block_merge_config_selectorIlNS0_10empty_typeEEEZZNS1_27merge_sort_block_merge_implIS3_PlPS5_mZN2at6native12_GLOBAL__N_124unique_dim_cuda_templateIhEESt5tupleIJNSA_6TensorESF_SF_EERKSF_lbbbEUlllE_EE10hipError_tT0_T1_T2_jT3_P12ihipStream_tbPNSt15iterator_traitsISL_E10value_typeEPNSR_ISM_E10value_typeEPSN_NS1_7vsmem_tEENKUlT_SL_SM_SN_E_clIS8_S8_S9_S9_EESK_S10_SL_SM_SN_EUlS10_E_NS1_11comp_targetILNS1_3genE8ELNS1_11target_archE1030ELNS1_3gpuE2ELNS1_3repE0EEENS1_48merge_mergepath_partition_config_static_selectorELNS0_4arch9wavefront6targetE1EEEvSM_.uses_vcc, 0
	.set _ZN7rocprim17ROCPRIM_400000_NS6detail17trampoline_kernelINS0_14default_configENS1_38merge_sort_block_merge_config_selectorIlNS0_10empty_typeEEEZZNS1_27merge_sort_block_merge_implIS3_PlPS5_mZN2at6native12_GLOBAL__N_124unique_dim_cuda_templateIhEESt5tupleIJNSA_6TensorESF_SF_EERKSF_lbbbEUlllE_EE10hipError_tT0_T1_T2_jT3_P12ihipStream_tbPNSt15iterator_traitsISL_E10value_typeEPNSR_ISM_E10value_typeEPSN_NS1_7vsmem_tEENKUlT_SL_SM_SN_E_clIS8_S8_S9_S9_EESK_S10_SL_SM_SN_EUlS10_E_NS1_11comp_targetILNS1_3genE8ELNS1_11target_archE1030ELNS1_3gpuE2ELNS1_3repE0EEENS1_48merge_mergepath_partition_config_static_selectorELNS0_4arch9wavefront6targetE1EEEvSM_.uses_flat_scratch, 0
	.set _ZN7rocprim17ROCPRIM_400000_NS6detail17trampoline_kernelINS0_14default_configENS1_38merge_sort_block_merge_config_selectorIlNS0_10empty_typeEEEZZNS1_27merge_sort_block_merge_implIS3_PlPS5_mZN2at6native12_GLOBAL__N_124unique_dim_cuda_templateIhEESt5tupleIJNSA_6TensorESF_SF_EERKSF_lbbbEUlllE_EE10hipError_tT0_T1_T2_jT3_P12ihipStream_tbPNSt15iterator_traitsISL_E10value_typeEPNSR_ISM_E10value_typeEPSN_NS1_7vsmem_tEENKUlT_SL_SM_SN_E_clIS8_S8_S9_S9_EESK_S10_SL_SM_SN_EUlS10_E_NS1_11comp_targetILNS1_3genE8ELNS1_11target_archE1030ELNS1_3gpuE2ELNS1_3repE0EEENS1_48merge_mergepath_partition_config_static_selectorELNS0_4arch9wavefront6targetE1EEEvSM_.has_dyn_sized_stack, 0
	.set _ZN7rocprim17ROCPRIM_400000_NS6detail17trampoline_kernelINS0_14default_configENS1_38merge_sort_block_merge_config_selectorIlNS0_10empty_typeEEEZZNS1_27merge_sort_block_merge_implIS3_PlPS5_mZN2at6native12_GLOBAL__N_124unique_dim_cuda_templateIhEESt5tupleIJNSA_6TensorESF_SF_EERKSF_lbbbEUlllE_EE10hipError_tT0_T1_T2_jT3_P12ihipStream_tbPNSt15iterator_traitsISL_E10value_typeEPNSR_ISM_E10value_typeEPSN_NS1_7vsmem_tEENKUlT_SL_SM_SN_E_clIS8_S8_S9_S9_EESK_S10_SL_SM_SN_EUlS10_E_NS1_11comp_targetILNS1_3genE8ELNS1_11target_archE1030ELNS1_3gpuE2ELNS1_3repE0EEENS1_48merge_mergepath_partition_config_static_selectorELNS0_4arch9wavefront6targetE1EEEvSM_.has_recursion, 0
	.set _ZN7rocprim17ROCPRIM_400000_NS6detail17trampoline_kernelINS0_14default_configENS1_38merge_sort_block_merge_config_selectorIlNS0_10empty_typeEEEZZNS1_27merge_sort_block_merge_implIS3_PlPS5_mZN2at6native12_GLOBAL__N_124unique_dim_cuda_templateIhEESt5tupleIJNSA_6TensorESF_SF_EERKSF_lbbbEUlllE_EE10hipError_tT0_T1_T2_jT3_P12ihipStream_tbPNSt15iterator_traitsISL_E10value_typeEPNSR_ISM_E10value_typeEPSN_NS1_7vsmem_tEENKUlT_SL_SM_SN_E_clIS8_S8_S9_S9_EESK_S10_SL_SM_SN_EUlS10_E_NS1_11comp_targetILNS1_3genE8ELNS1_11target_archE1030ELNS1_3gpuE2ELNS1_3repE0EEENS1_48merge_mergepath_partition_config_static_selectorELNS0_4arch9wavefront6targetE1EEEvSM_.has_indirect_call, 0
	.section	.AMDGPU.csdata,"",@progbits
; Kernel info:
; codeLenInByte = 0
; TotalNumSgprs: 6
; NumVgprs: 0
; NumAgprs: 0
; TotalNumVgprs: 0
; ScratchSize: 0
; MemoryBound: 0
; FloatMode: 240
; IeeeMode: 1
; LDSByteSize: 0 bytes/workgroup (compile time only)
; SGPRBlocks: 0
; VGPRBlocks: 0
; NumSGPRsForWavesPerEU: 6
; NumVGPRsForWavesPerEU: 1
; AccumOffset: 4
; Occupancy: 8
; WaveLimiterHint : 0
; COMPUTE_PGM_RSRC2:SCRATCH_EN: 0
; COMPUTE_PGM_RSRC2:USER_SGPR: 2
; COMPUTE_PGM_RSRC2:TRAP_HANDLER: 0
; COMPUTE_PGM_RSRC2:TGID_X_EN: 1
; COMPUTE_PGM_RSRC2:TGID_Y_EN: 0
; COMPUTE_PGM_RSRC2:TGID_Z_EN: 0
; COMPUTE_PGM_RSRC2:TIDIG_COMP_CNT: 0
; COMPUTE_PGM_RSRC3_GFX90A:ACCUM_OFFSET: 0
; COMPUTE_PGM_RSRC3_GFX90A:TG_SPLIT: 0
	.section	.text._ZN7rocprim17ROCPRIM_400000_NS6detail17trampoline_kernelINS0_14default_configENS1_38merge_sort_block_merge_config_selectorIlNS0_10empty_typeEEEZZNS1_27merge_sort_block_merge_implIS3_PlPS5_mZN2at6native12_GLOBAL__N_124unique_dim_cuda_templateIhEESt5tupleIJNSA_6TensorESF_SF_EERKSF_lbbbEUlllE_EE10hipError_tT0_T1_T2_jT3_P12ihipStream_tbPNSt15iterator_traitsISL_E10value_typeEPNSR_ISM_E10value_typeEPSN_NS1_7vsmem_tEENKUlT_SL_SM_SN_E_clIS8_S8_S9_S9_EESK_S10_SL_SM_SN_EUlS10_E0_NS1_11comp_targetILNS1_3genE0ELNS1_11target_archE4294967295ELNS1_3gpuE0ELNS1_3repE0EEENS1_38merge_mergepath_config_static_selectorELNS0_4arch9wavefront6targetE1EEEvSM_,"axG",@progbits,_ZN7rocprim17ROCPRIM_400000_NS6detail17trampoline_kernelINS0_14default_configENS1_38merge_sort_block_merge_config_selectorIlNS0_10empty_typeEEEZZNS1_27merge_sort_block_merge_implIS3_PlPS5_mZN2at6native12_GLOBAL__N_124unique_dim_cuda_templateIhEESt5tupleIJNSA_6TensorESF_SF_EERKSF_lbbbEUlllE_EE10hipError_tT0_T1_T2_jT3_P12ihipStream_tbPNSt15iterator_traitsISL_E10value_typeEPNSR_ISM_E10value_typeEPSN_NS1_7vsmem_tEENKUlT_SL_SM_SN_E_clIS8_S8_S9_S9_EESK_S10_SL_SM_SN_EUlS10_E0_NS1_11comp_targetILNS1_3genE0ELNS1_11target_archE4294967295ELNS1_3gpuE0ELNS1_3repE0EEENS1_38merge_mergepath_config_static_selectorELNS0_4arch9wavefront6targetE1EEEvSM_,comdat
	.globl	_ZN7rocprim17ROCPRIM_400000_NS6detail17trampoline_kernelINS0_14default_configENS1_38merge_sort_block_merge_config_selectorIlNS0_10empty_typeEEEZZNS1_27merge_sort_block_merge_implIS3_PlPS5_mZN2at6native12_GLOBAL__N_124unique_dim_cuda_templateIhEESt5tupleIJNSA_6TensorESF_SF_EERKSF_lbbbEUlllE_EE10hipError_tT0_T1_T2_jT3_P12ihipStream_tbPNSt15iterator_traitsISL_E10value_typeEPNSR_ISM_E10value_typeEPSN_NS1_7vsmem_tEENKUlT_SL_SM_SN_E_clIS8_S8_S9_S9_EESK_S10_SL_SM_SN_EUlS10_E0_NS1_11comp_targetILNS1_3genE0ELNS1_11target_archE4294967295ELNS1_3gpuE0ELNS1_3repE0EEENS1_38merge_mergepath_config_static_selectorELNS0_4arch9wavefront6targetE1EEEvSM_ ; -- Begin function _ZN7rocprim17ROCPRIM_400000_NS6detail17trampoline_kernelINS0_14default_configENS1_38merge_sort_block_merge_config_selectorIlNS0_10empty_typeEEEZZNS1_27merge_sort_block_merge_implIS3_PlPS5_mZN2at6native12_GLOBAL__N_124unique_dim_cuda_templateIhEESt5tupleIJNSA_6TensorESF_SF_EERKSF_lbbbEUlllE_EE10hipError_tT0_T1_T2_jT3_P12ihipStream_tbPNSt15iterator_traitsISL_E10value_typeEPNSR_ISM_E10value_typeEPSN_NS1_7vsmem_tEENKUlT_SL_SM_SN_E_clIS8_S8_S9_S9_EESK_S10_SL_SM_SN_EUlS10_E0_NS1_11comp_targetILNS1_3genE0ELNS1_11target_archE4294967295ELNS1_3gpuE0ELNS1_3repE0EEENS1_38merge_mergepath_config_static_selectorELNS0_4arch9wavefront6targetE1EEEvSM_
	.p2align	8
	.type	_ZN7rocprim17ROCPRIM_400000_NS6detail17trampoline_kernelINS0_14default_configENS1_38merge_sort_block_merge_config_selectorIlNS0_10empty_typeEEEZZNS1_27merge_sort_block_merge_implIS3_PlPS5_mZN2at6native12_GLOBAL__N_124unique_dim_cuda_templateIhEESt5tupleIJNSA_6TensorESF_SF_EERKSF_lbbbEUlllE_EE10hipError_tT0_T1_T2_jT3_P12ihipStream_tbPNSt15iterator_traitsISL_E10value_typeEPNSR_ISM_E10value_typeEPSN_NS1_7vsmem_tEENKUlT_SL_SM_SN_E_clIS8_S8_S9_S9_EESK_S10_SL_SM_SN_EUlS10_E0_NS1_11comp_targetILNS1_3genE0ELNS1_11target_archE4294967295ELNS1_3gpuE0ELNS1_3repE0EEENS1_38merge_mergepath_config_static_selectorELNS0_4arch9wavefront6targetE1EEEvSM_,@function
_ZN7rocprim17ROCPRIM_400000_NS6detail17trampoline_kernelINS0_14default_configENS1_38merge_sort_block_merge_config_selectorIlNS0_10empty_typeEEEZZNS1_27merge_sort_block_merge_implIS3_PlPS5_mZN2at6native12_GLOBAL__N_124unique_dim_cuda_templateIhEESt5tupleIJNSA_6TensorESF_SF_EERKSF_lbbbEUlllE_EE10hipError_tT0_T1_T2_jT3_P12ihipStream_tbPNSt15iterator_traitsISL_E10value_typeEPNSR_ISM_E10value_typeEPSN_NS1_7vsmem_tEENKUlT_SL_SM_SN_E_clIS8_S8_S9_S9_EESK_S10_SL_SM_SN_EUlS10_E0_NS1_11comp_targetILNS1_3genE0ELNS1_11target_archE4294967295ELNS1_3gpuE0ELNS1_3repE0EEENS1_38merge_mergepath_config_static_selectorELNS0_4arch9wavefront6targetE1EEEvSM_: ; @_ZN7rocprim17ROCPRIM_400000_NS6detail17trampoline_kernelINS0_14default_configENS1_38merge_sort_block_merge_config_selectorIlNS0_10empty_typeEEEZZNS1_27merge_sort_block_merge_implIS3_PlPS5_mZN2at6native12_GLOBAL__N_124unique_dim_cuda_templateIhEESt5tupleIJNSA_6TensorESF_SF_EERKSF_lbbbEUlllE_EE10hipError_tT0_T1_T2_jT3_P12ihipStream_tbPNSt15iterator_traitsISL_E10value_typeEPNSR_ISM_E10value_typeEPSN_NS1_7vsmem_tEENKUlT_SL_SM_SN_E_clIS8_S8_S9_S9_EESK_S10_SL_SM_SN_EUlS10_E0_NS1_11comp_targetILNS1_3genE0ELNS1_11target_archE4294967295ELNS1_3gpuE0ELNS1_3repE0EEENS1_38merge_mergepath_config_static_selectorELNS0_4arch9wavefront6targetE1EEEvSM_
; %bb.0:
	s_load_dwordx2 s[22:23], s[0:1], 0x58
	s_load_dword s5, s[0:1], 0x38
	s_add_u32 s18, s0, 0x58
	s_addc_u32 s19, s1, 0
	s_waitcnt lgkmcnt(0)
	s_mul_i32 s4, s23, s4
	s_add_i32 s3, s4, s3
	s_mul_i32 s3, s3, s22
	s_add_i32 s20, s3, s2
	s_cmp_ge_u32 s20, s5
	s_cbranch_scc1 .LBB26_138
; %bb.1:
	s_load_dwordx2 s[12:13], s[0:1], 0x50
	s_load_dwordx4 s[8:11], s[0:1], 0x8
	s_load_dwordx4 s[4:7], s[0:1], 0x28
	s_mov_b32 s21, 0
	s_lshl_b64 s[14:15], s[20:21], 3
	s_waitcnt lgkmcnt(0)
	s_add_u32 s16, s12, s14
	s_addc_u32 s17, s13, s15
	s_load_dwordx4 s[12:15], s[16:17], 0x0
	s_lshr_b64 s[16:17], s[6:7], 9
	s_and_b32 s3, s16, -2
	s_sub_i32 s33, 0, s3
	s_and_b32 s26, s20, s33
	s_mov_b32 s27, s21
	s_lshl_b64 s[24:25], s[26:27], 10
	s_lshl_b64 s[16:17], s[20:21], 10
	s_sub_u32 s3, s16, s24
	s_subb_u32 s23, s17, s25
	s_lshl_b64 s[26:27], s[26:27], 11
	s_add_u32 s26, s26, s6
	s_addc_u32 s27, s27, s7
	s_add_u32 s3, s26, s3
	s_addc_u32 s23, s27, s23
	s_waitcnt lgkmcnt(0)
	s_sub_u32 s28, s3, s14
	s_subb_u32 s15, s23, s15
	s_add_u32 s28, s28, 0x400
	s_addc_u32 s29, s15, 0
	v_mov_b64_e32 v[2:3], s[28:29]
	v_cmp_lt_u64_e32 vcc, s[4:5], v[2:3]
	s_and_b64 s[30:31], vcc, exec
	s_cselect_b32 s15, s4, s28
	s_or_b32 s28, s20, s33
	s_cmp_lg_u32 s28, -1
	s_cbranch_scc1 .LBB26_3
; %bb.2:
	s_sub_u32 s24, s26, s24
	s_subb_u32 s25, s27, s25
	v_mov_b64_e32 v[2:3], s[24:25]
	v_cmp_lt_u64_e32 vcc, s[4:5], v[2:3]
	s_and_b64 s[14:15], vcc, exec
	s_cselect_b32 s14, s4, s24
	s_add_u32 s6, s24, s6
	s_addc_u32 s7, s25, s7
	v_mov_b64_e32 v[2:3], s[6:7]
	v_cmp_lt_u64_e32 vcc, s[4:5], v[2:3]
	s_and_b64 s[24:25], vcc, exec
	s_cselect_b32 s15, s4, s6
.LBB26_3:
	s_lshr_b64 s[24:25], s[4:5], 10
	s_cmp_lg_u64 s[24:25], s[20:21]
	s_cselect_b64 s[6:7], -1, 0
	s_sub_u32 s26, s3, s12
	s_subb_u32 s27, s23, s13
	v_mov_b64_e32 v[2:3], s[26:27]
	v_cmp_lt_u64_e32 vcc, s[4:5], v[2:3]
	s_and_b64 s[28:29], vcc, exec
	s_cselect_b32 s26, s4, s26
	s_cselect_b32 s27, s5, s27
	s_sub_i32 s5, s14, s12
	s_sub_i32 s23, s15, s26
	s_lshl_b64 s[12:13], s[12:13], 3
	s_add_u32 s12, s8, s12
	s_addc_u32 s13, s9, s13
	s_lshl_b64 s[14:15], s[26:27], 3
	s_add_u32 s8, s8, s14
	s_addc_u32 s9, s9, s15
	s_cmp_lt_u32 s2, s22
	v_mov_b32_e32 v19, 0
	s_cselect_b32 s2, 12, 18
	global_load_dword v1, v19, s[18:19] offset:14
	s_add_u32 s2, s18, s2
	s_addc_u32 s3, s19, 0
	global_load_ushort v2, v19, s[2:3]
	s_cmp_eq_u64 s[24:25], s[20:21]
	v_lshlrev_b32_e32 v18, 3, v0
	s_waitcnt vmcnt(1)
	v_lshrrev_b32_e32 v3, 16, v1
	v_and_b32_e32 v1, 0xffff, v1
	v_mul_lo_u32 v1, v1, v3
	s_waitcnt vmcnt(0)
	v_mul_lo_u32 v1, v1, v2
	s_cbranch_scc1 .LBB26_5
; %bb.4:
	v_subrev_co_u32_e32 v4, vcc, s5, v0
	v_mov_b32_e32 v5, v19
	v_lshl_add_u64 v[2:3], s[12:13], 0, v[18:19]
	v_lshl_add_u64 v[4:5], v[4:5], 3, s[8:9]
	v_add_u32_e32 v6, v1, v0
	v_cndmask_b32_e32 v3, v5, v3, vcc
	v_cndmask_b32_e32 v2, v4, v2, vcc
	v_mov_b32_e32 v7, v19
	v_subrev_co_u32_e32 v8, vcc, s5, v6
	v_mov_b32_e32 v9, v19
	v_lshl_add_u64 v[4:5], v[6:7], 3, s[12:13]
	v_lshl_add_u64 v[8:9], v[8:9], 3, s[8:9]
	v_cndmask_b32_e32 v4, v8, v4, vcc
	v_add_u32_e32 v8, v6, v1
	v_cndmask_b32_e32 v5, v9, v5, vcc
	v_mov_b32_e32 v9, v19
	v_subrev_co_u32_e32 v10, vcc, s5, v8
	v_mov_b32_e32 v11, v19
	v_lshl_add_u64 v[6:7], v[8:9], 3, s[12:13]
	v_lshl_add_u64 v[10:11], v[10:11], 3, s[8:9]
	v_cndmask_b32_e32 v6, v10, v6, vcc
	v_add_u32_e32 v10, v8, v1
	;; [unrolled: 8-line block ×5, first 2 shown]
	v_cndmask_b32_e32 v13, v17, v13, vcc
	v_mov_b32_e32 v17, v19
	v_subrev_co_u32_e32 v20, vcc, s5, v16
	v_mov_b32_e32 v21, v19
	v_lshl_add_u64 v[14:15], v[16:17], 3, s[12:13]
	v_lshl_add_u64 v[20:21], v[20:21], 3, s[8:9]
	v_add_u32_e32 v16, v16, v1
	v_cndmask_b32_e32 v15, v21, v15, vcc
	v_cndmask_b32_e32 v14, v20, v14, vcc
	v_lshl_add_u64 v[20:21], v[16:17], 3, s[12:13]
	v_subrev_co_u32_e32 v16, vcc, s5, v16
	v_lshl_add_u64 v[16:17], v[16:17], 3, s[8:9]
	s_nop 0
	v_cndmask_b32_e32 v17, v17, v21, vcc
	v_cndmask_b32_e32 v16, v16, v20, vcc
	global_load_dwordx2 v[2:3], v[2:3], off
	s_add_i32 s33, s5, s23
	global_load_dwordx2 v[4:5], v[4:5], off
	s_nop 0
	global_load_dwordx2 v[6:7], v[6:7], off
	s_nop 0
	;; [unrolled: 2-line block ×6, first 2 shown]
	global_load_dwordx2 v[16:17], v[16:17], off
	s_cbranch_execz .LBB26_6
	s_branch .LBB26_23
.LBB26_5:
                                        ; implicit-def: $vgpr2_vgpr3_vgpr4_vgpr5_vgpr6_vgpr7_vgpr8_vgpr9_vgpr10_vgpr11_vgpr12_vgpr13_vgpr14_vgpr15_vgpr16_vgpr17
                                        ; implicit-def: $sgpr33
.LBB26_6:
	s_add_i32 s33, s5, s23
	s_waitcnt vmcnt(7)
	v_mov_b32_e32 v2, 0
	v_cmp_gt_u32_e32 vcc, s33, v0
	v_mov_b32_e32 v3, v2
	s_waitcnt vmcnt(6)
	v_mov_b32_e32 v4, v2
	v_mov_b32_e32 v5, v2
	s_waitcnt vmcnt(5)
	v_mov_b32_e32 v6, v2
	;; [unrolled: 3-line block ×7, first 2 shown]
	v_mov_b32_e32 v17, v2
	s_and_saveexec_b64 s[2:3], vcc
	s_cbranch_execz .LBB26_8
; %bb.7:
	v_mov_b32_e32 v19, v2
	v_subrev_co_u32_e32 v6, vcc, s5, v0
	v_mov_b32_e32 v7, v2
	v_lshl_add_u64 v[4:5], s[12:13], 0, v[18:19]
	v_lshl_add_u64 v[6:7], v[6:7], 3, s[8:9]
	v_cndmask_b32_e32 v5, v7, v5, vcc
	v_cndmask_b32_e32 v4, v6, v4, vcc
	global_load_dwordx2 v[20:21], v[4:5], off
	v_mov_b32_e32 v22, v2
	v_mov_b32_e32 v23, v2
	;; [unrolled: 1-line block ×14, first 2 shown]
	s_waitcnt vmcnt(0)
	v_mov_b64_e32 v[2:3], v[20:21]
	v_mov_b64_e32 v[4:5], v[22:23]
	;; [unrolled: 1-line block ×8, first 2 shown]
.LBB26_8:
	s_or_b64 exec, exec, s[2:3]
	v_add_u32_e32 v20, v1, v0
	v_cmp_gt_u32_e32 vcc, s33, v20
	s_and_saveexec_b64 s[2:3], vcc
	s_cbranch_execz .LBB26_10
; %bb.9:
	v_mov_b32_e32 v21, 0
	v_subrev_co_u32_e32 v22, vcc, s5, v20
	v_mov_b32_e32 v23, v21
	v_lshl_add_u64 v[4:5], v[20:21], 3, s[12:13]
	v_lshl_add_u64 v[22:23], v[22:23], 3, s[8:9]
	v_cndmask_b32_e32 v5, v23, v5, vcc
	v_cndmask_b32_e32 v4, v22, v4, vcc
	global_load_dwordx2 v[4:5], v[4:5], off
.LBB26_10:
	s_or_b64 exec, exec, s[2:3]
	v_add_u32_e32 v20, v20, v1
	v_cmp_gt_u32_e32 vcc, s33, v20
	s_and_saveexec_b64 s[2:3], vcc
	s_cbranch_execz .LBB26_12
; %bb.11:
	v_mov_b32_e32 v21, 0
	v_subrev_co_u32_e32 v22, vcc, s5, v20
	v_mov_b32_e32 v23, v21
	v_lshl_add_u64 v[6:7], v[20:21], 3, s[12:13]
	v_lshl_add_u64 v[22:23], v[22:23], 3, s[8:9]
	v_cndmask_b32_e32 v7, v23, v7, vcc
	v_cndmask_b32_e32 v6, v22, v6, vcc
	global_load_dwordx2 v[6:7], v[6:7], off
.LBB26_12:
	;; [unrolled: 15-line block ×6, first 2 shown]
	s_or_b64 exec, exec, s[2:3]
	v_add_u32_e32 v20, v20, v1
	v_cmp_gt_u32_e32 vcc, s33, v20
	s_and_saveexec_b64 s[2:3], vcc
	s_cbranch_execz .LBB26_22
; %bb.21:
	v_mov_b32_e32 v21, 0
	v_lshl_add_u64 v[16:17], v[20:21], 3, s[12:13]
	v_subrev_co_u32_e32 v20, vcc, s5, v20
	v_lshl_add_u64 v[20:21], v[20:21], 3, s[8:9]
	s_nop 0
	v_cndmask_b32_e32 v17, v21, v17, vcc
	v_cndmask_b32_e32 v16, v20, v16, vcc
	global_load_dwordx2 v[16:17], v[16:17], off
.LBB26_22:
	s_or_b64 exec, exec, s[2:3]
.LBB26_23:
	s_load_dwordx4 s[12:15], s[0:1], 0x40
	v_min_u32_e32 v1, s33, v18
	v_sub_u32_e64 v24, v1, s23 clamp
	v_min_u32_e32 v19, s5, v1
	v_cmp_lt_u32_e32 vcc, v24, v19
	s_waitcnt vmcnt(0)
	ds_write2st64_b64 v18, v[2:3], v[4:5] offset1:2
	ds_write2st64_b64 v18, v[6:7], v[8:9] offset0:4 offset1:6
	ds_write2st64_b64 v18, v[10:11], v[12:13] offset0:8 offset1:10
	;; [unrolled: 1-line block ×3, first 2 shown]
	s_waitcnt lgkmcnt(0)
	s_barrier
	s_and_saveexec_b64 s[2:3], vcc
	s_cbranch_execz .LBB26_33
; %bb.24:
	v_lshlrev_b32_e32 v20, 3, v1
	v_cmp_gt_i64_e64 s[0:1], s[12:13], 0
	v_lshl_add_u32 v25, s5, 3, v20
	s_mov_b64 s[8:9], 0
	v_cndmask_b32_e64 v20, 0, 1, s[0:1]
	v_cmp_ne_u32_e64 s[0:1], 1, v20
	s_branch .LBB26_27
.LBB26_25:                              ;   in Loop: Header=BB26_27 Depth=1
	s_or_b64 exec, exec, s[20:21]
.LBB26_26:                              ;   in Loop: Header=BB26_27 Depth=1
	v_add_u32_e32 v20, 1, v26
	v_cndmask_b32_e64 v19, v19, v26, s[18:19]
	v_cndmask_b32_e64 v24, v20, v24, s[18:19]
	v_cmp_ge_u32_e32 vcc, v24, v19
	s_or_b64 s[8:9], vcc, s[8:9]
	s_andn2_b64 exec, exec, s[8:9]
	s_cbranch_execz .LBB26_32
.LBB26_27:                              ; =>This Loop Header: Depth=1
                                        ;     Child Loop BB26_30 Depth 2
	v_add_u32_e32 v20, v19, v24
	v_lshrrev_b32_e32 v26, 1, v20
	s_and_b64 vcc, exec, s[0:1]
	s_mov_b64 s[18:19], 0
	s_cbranch_vccnz .LBB26_26
; %bb.28:                               ;   in Loop: Header=BB26_27 Depth=1
	v_not_b32_e32 v20, v26
	v_lshl_add_u32 v20, v20, 3, v25
	ds_read_b64 v[20:21], v20
	v_lshlrev_b32_e32 v27, 3, v26
	ds_read_b64 v[28:29], v27
	v_mov_b64_e32 v[22:23], s[14:15]
	s_mov_b64 s[20:21], 0
	s_waitcnt lgkmcnt(1)
	v_mul_lo_u32 v27, v20, s13
	v_mul_lo_u32 v30, v21, s12
	v_mad_u64_u32 v[20:21], s[18:19], v20, s12, v[22:23]
	v_add3_u32 v21, v30, v21, v27
	s_waitcnt lgkmcnt(0)
	v_mul_lo_u32 v27, v28, s13
	v_mul_lo_u32 v29, v29, s12
	v_mad_u64_u32 v[22:23], s[18:19], v28, s12, v[22:23]
	v_add3_u32 v23, v29, v23, v27
	s_mov_b64 s[24:25], s[12:13]
                                        ; implicit-def: $sgpr18_sgpr19
                                        ; implicit-def: $sgpr22_sgpr23
                                        ; implicit-def: $sgpr26_sgpr27
                                        ; implicit-def: $sgpr28_sgpr29
	s_branch .LBB26_30
.LBB26_29:                              ;   in Loop: Header=BB26_30 Depth=2
	s_or_b64 exec, exec, s[34:35]
	s_and_b64 s[34:35], exec, s[22:23]
	s_or_b64 s[20:21], s[34:35], s[20:21]
	s_andn2_b64 s[28:29], s[28:29], exec
	s_and_b64 s[30:31], s[30:31], exec
	s_or_b64 s[28:29], s[28:29], s[30:31]
	s_andn2_b64 s[18:19], s[18:19], exec
	s_and_b64 s[30:31], s[26:27], exec
	s_or_b64 s[18:19], s[18:19], s[30:31]
	s_andn2_b64 exec, exec, s[20:21]
	s_cbranch_execz .LBB26_25
.LBB26_30:                              ;   Parent Loop BB26_27 Depth=1
                                        ; =>  This Inner Loop Header: Depth=2
	global_load_ubyte v27, v[20:21], off
	global_load_ubyte v28, v[22:23], off
	s_andn2_b64 s[26:27], s[26:27], exec
	s_or_b64 s[22:23], s[22:23], exec
	s_waitcnt vmcnt(0)
	v_cmp_le_u16_sdwa s[34:35], v27, v28 src0_sel:BYTE_0 src1_sel:BYTE_0
	v_cmp_lt_u16_sdwa s[30:31], v27, v28 src0_sel:BYTE_0 src1_sel:BYTE_0
	s_and_b64 s[34:35], s[34:35], s[28:29]
	s_or_b64 s[30:31], s[30:31], s[34:35]
	s_and_b64 s[34:35], s[30:31], exec
	v_cmp_eq_u16_sdwa s[36:37], v27, v28 src0_sel:BYTE_0 src1_sel:BYTE_0
	s_or_b64 s[26:27], s[26:27], s[34:35]
	s_and_saveexec_b64 s[34:35], s[36:37]
	s_cbranch_execz .LBB26_29
; %bb.31:                               ;   in Loop: Header=BB26_30 Depth=2
	s_add_u32 s24, s24, -1
	s_addc_u32 s25, s25, -1
	s_cmp_eq_u64 s[24:25], 0
	s_cselect_b64 s[28:29], -1, 0
	s_andn2_b64 s[22:23], s[22:23], exec
	s_and_b64 s[28:29], s[28:29], exec
	v_lshl_add_u64 v[20:21], v[20:21], 0, 1
	v_lshl_add_u64 v[22:23], v[22:23], 0, 1
	s_andn2_b64 s[26:27], s[26:27], exec
	s_or_b64 s[22:23], s[22:23], s[28:29]
                                        ; implicit-def: $sgpr28_sgpr29
	s_branch .LBB26_29
.LBB26_32:
	s_or_b64 exec, exec, s[8:9]
.LBB26_33:
	s_or_b64 exec, exec, s[2:3]
	v_sub_u32_e32 v1, v1, v24
	v_add_u32_e32 v20, s5, v1
	v_cmp_ge_u32_e32 vcc, s5, v24
	v_cmp_ge_u32_e64 s[0:1], s33, v20
	s_or_b64 s[0:1], vcc, s[0:1]
	s_and_saveexec_b64 s[2:3], s[0:1]
	s_cbranch_execz .LBB26_124
; %bb.34:
	v_cmp_le_u32_e32 vcc, s5, v24
	v_cmp_gt_u32_e64 s[0:1], s5, v24
                                        ; implicit-def: $vgpr2_vgpr3
	s_and_saveexec_b64 s[8:9], s[0:1]
; %bb.35:
	v_lshlrev_b32_e32 v1, 3, v24
	ds_read_b64 v[2:3], v1
; %bb.36:
	s_or_b64 exec, exec, s[8:9]
	v_cmp_le_u32_e64 s[8:9], s33, v20
	v_cmp_gt_u32_e64 s[0:1], s33, v20
                                        ; implicit-def: $vgpr14_vgpr15
	s_and_saveexec_b64 s[18:19], s[0:1]
; %bb.37:
	v_lshlrev_b32_e32 v1, 3, v20
	ds_read_b64 v[14:15], v1
; %bb.38:
	s_or_b64 exec, exec, s[18:19]
	v_cmp_gt_i64_e64 s[0:1], s[12:13], 0
	s_nor_b64 s[20:21], vcc, s[8:9]
	s_and_saveexec_b64 s[18:19], s[20:21]
	s_cbranch_execz .LBB26_47
; %bb.39:
	s_andn2_b64 vcc, exec, s[0:1]
	s_cbranch_vccnz .LBB26_45
; %bb.40:
	v_mov_b64_e32 v[6:7], s[14:15]
	s_waitcnt lgkmcnt(0)
	v_mad_u64_u32 v[4:5], s[20:21], v14, s12, v[6:7]
	v_mul_lo_u32 v1, v14, s13
	v_mul_lo_u32 v8, v15, s12
	v_add3_u32 v5, v8, v5, v1
	v_mad_u64_u32 v[6:7], s[20:21], v2, s12, v[6:7]
	v_mul_lo_u32 v1, v2, s13
	v_mul_lo_u32 v8, v3, s12
	v_add3_u32 v7, v8, v7, v1
	s_mov_b64 s[20:21], 0
	s_mov_b64 s[26:27], s[12:13]
                                        ; implicit-def: $sgpr22_sgpr23
                                        ; implicit-def: $sgpr24_sgpr25
                                        ; implicit-def: $sgpr28_sgpr29
                                        ; implicit-def: $sgpr30_sgpr31
	s_branch .LBB26_42
.LBB26_41:                              ;   in Loop: Header=BB26_42 Depth=1
	s_or_b64 exec, exec, s[36:37]
	s_and_b64 s[36:37], exec, s[24:25]
	s_or_b64 s[20:21], s[36:37], s[20:21]
	s_andn2_b64 s[30:31], s[30:31], exec
	s_and_b64 s[34:35], s[34:35], exec
	s_or_b64 s[30:31], s[30:31], s[34:35]
	s_andn2_b64 s[22:23], s[22:23], exec
	s_and_b64 s[34:35], s[28:29], exec
	s_or_b64 s[22:23], s[22:23], s[34:35]
	s_andn2_b64 exec, exec, s[20:21]
	s_cbranch_execz .LBB26_44
.LBB26_42:                              ; =>This Inner Loop Header: Depth=1
	global_load_ubyte v1, v[4:5], off
	global_load_ubyte v8, v[6:7], off
	s_andn2_b64 s[28:29], s[28:29], exec
	s_or_b64 s[24:25], s[24:25], exec
	s_waitcnt vmcnt(0)
	v_cmp_le_u16_sdwa s[36:37], v1, v8 src0_sel:BYTE_0 src1_sel:BYTE_0
	v_cmp_lt_u16_sdwa s[34:35], v1, v8 src0_sel:BYTE_0 src1_sel:BYTE_0
	s_and_b64 s[36:37], s[36:37], s[30:31]
	s_or_b64 s[34:35], s[34:35], s[36:37]
	s_and_b64 s[36:37], s[34:35], exec
	v_cmp_eq_u16_sdwa s[38:39], v1, v8 src0_sel:BYTE_0 src1_sel:BYTE_0
	s_or_b64 s[28:29], s[28:29], s[36:37]
	s_and_saveexec_b64 s[36:37], s[38:39]
	s_cbranch_execz .LBB26_41
; %bb.43:                               ;   in Loop: Header=BB26_42 Depth=1
	s_add_u32 s26, s26, -1
	s_addc_u32 s27, s27, -1
	s_cmp_eq_u64 s[26:27], 0
	s_cselect_b64 s[30:31], -1, 0
	s_andn2_b64 s[24:25], s[24:25], exec
	s_and_b64 s[30:31], s[30:31], exec
	v_lshl_add_u64 v[4:5], v[4:5], 0, 1
	v_lshl_add_u64 v[6:7], v[6:7], 0, 1
	s_andn2_b64 s[28:29], s[28:29], exec
	s_or_b64 s[24:25], s[24:25], s[30:31]
                                        ; implicit-def: $sgpr30_sgpr31
	s_branch .LBB26_41
.LBB26_44:
	s_or_b64 exec, exec, s[20:21]
	s_xor_b64 s[20:21], s[22:23], -1
	s_branch .LBB26_46
.LBB26_45:
	s_mov_b64 s[20:21], -1
.LBB26_46:
	s_andn2_b64 s[8:9], s[8:9], exec
	s_and_b64 s[20:21], s[20:21], exec
	s_or_b64 s[8:9], s[8:9], s[20:21]
.LBB26_47:
	s_or_b64 exec, exec, s[18:19]
	v_mov_b32_e32 v4, s33
	v_mov_b32_e32 v5, s5
	v_cndmask_b32_e64 v1, v20, v24, s[8:9]
	v_cndmask_b32_e64 v4, v4, v5, s[8:9]
	v_add_u32_e32 v6, 1, v1
	v_add_u32_e32 v1, -1, v4
	v_min_u32_e32 v1, v6, v1
	v_lshlrev_b32_e32 v1, 3, v1
	ds_read_b64 v[4:5], v1
	v_cndmask_b32_e64 v8, v6, v20, s[8:9]
	v_cndmask_b32_e64 v9, v24, v6, s[8:9]
	v_cmp_gt_u32_e32 vcc, s33, v8
	s_mov_b64 s[20:21], -1
	s_waitcnt lgkmcnt(0)
	v_cndmask_b32_e64 v1, v5, v15, s[8:9]
	v_cndmask_b32_e64 v16, v4, v14, s[8:9]
	v_cndmask_b32_e64 v17, v3, v5, s[8:9]
	v_cndmask_b32_e64 v19, v2, v4, s[8:9]
	s_mov_b64 s[18:19], -1
	s_and_saveexec_b64 s[22:23], vcc
	s_cbranch_execz .LBB26_58
; %bb.48:
	v_cmp_gt_u32_e32 vcc, s5, v9
	s_mov_b64 s[24:25], 0
	s_and_saveexec_b64 s[18:19], vcc
	s_cbranch_execz .LBB26_57
; %bb.49:
	s_andn2_b64 vcc, exec, s[0:1]
	s_cbranch_vccnz .LBB26_55
; %bb.50:
	v_mov_b64_e32 v[6:7], s[14:15]
	v_mad_u64_u32 v[4:5], s[24:25], v16, s12, v[6:7]
	v_mul_lo_u32 v10, v16, s13
	v_mul_lo_u32 v11, v1, s12
	v_add3_u32 v5, v11, v5, v10
	v_mad_u64_u32 v[6:7], s[24:25], v19, s12, v[6:7]
	v_mul_lo_u32 v10, v19, s13
	v_mul_lo_u32 v11, v17, s12
	v_add3_u32 v7, v11, v7, v10
	s_mov_b64 s[24:25], 0
	s_mov_b64 s[30:31], s[12:13]
                                        ; implicit-def: $sgpr26_sgpr27
                                        ; implicit-def: $sgpr28_sgpr29
                                        ; implicit-def: $sgpr34_sgpr35
                                        ; implicit-def: $sgpr36_sgpr37
	s_branch .LBB26_52
.LBB26_51:                              ;   in Loop: Header=BB26_52 Depth=1
	s_or_b64 exec, exec, s[40:41]
	s_and_b64 s[40:41], exec, s[28:29]
	s_or_b64 s[24:25], s[40:41], s[24:25]
	s_andn2_b64 s[36:37], s[36:37], exec
	s_and_b64 s[38:39], s[38:39], exec
	s_or_b64 s[36:37], s[36:37], s[38:39]
	s_andn2_b64 s[26:27], s[26:27], exec
	s_and_b64 s[38:39], s[34:35], exec
	s_or_b64 s[26:27], s[26:27], s[38:39]
	s_andn2_b64 exec, exec, s[24:25]
	s_cbranch_execz .LBB26_54
.LBB26_52:                              ; =>This Inner Loop Header: Depth=1
	global_load_ubyte v10, v[4:5], off
	global_load_ubyte v11, v[6:7], off
	s_andn2_b64 s[34:35], s[34:35], exec
	s_or_b64 s[28:29], s[28:29], exec
	s_waitcnt vmcnt(0)
	v_cmp_le_u16_sdwa s[40:41], v10, v11 src0_sel:BYTE_0 src1_sel:BYTE_0
	v_cmp_lt_u16_sdwa s[38:39], v10, v11 src0_sel:BYTE_0 src1_sel:BYTE_0
	s_and_b64 s[40:41], s[40:41], s[36:37]
	s_or_b64 s[38:39], s[38:39], s[40:41]
	s_and_b64 s[40:41], s[38:39], exec
	v_cmp_eq_u16_sdwa s[42:43], v10, v11 src0_sel:BYTE_0 src1_sel:BYTE_0
	s_or_b64 s[34:35], s[34:35], s[40:41]
	s_and_saveexec_b64 s[40:41], s[42:43]
	s_cbranch_execz .LBB26_51
; %bb.53:                               ;   in Loop: Header=BB26_52 Depth=1
	s_add_u32 s30, s30, -1
	s_addc_u32 s31, s31, -1
	s_cmp_eq_u64 s[30:31], 0
	s_cselect_b64 s[36:37], -1, 0
	s_andn2_b64 s[28:29], s[28:29], exec
	s_and_b64 s[36:37], s[36:37], exec
	v_lshl_add_u64 v[4:5], v[4:5], 0, 1
	v_lshl_add_u64 v[6:7], v[6:7], 0, 1
	s_andn2_b64 s[34:35], s[34:35], exec
	s_or_b64 s[28:29], s[28:29], s[36:37]
                                        ; implicit-def: $sgpr36_sgpr37
	s_branch .LBB26_51
.LBB26_54:
	s_or_b64 exec, exec, s[24:25]
	s_xor_b64 s[24:25], s[26:27], -1
	s_branch .LBB26_56
.LBB26_55:
	s_mov_b64 s[24:25], -1
.LBB26_56:
	s_and_b64 s[24:25], s[24:25], exec
.LBB26_57:
	s_or_b64 exec, exec, s[18:19]
	s_orn2_b64 s[18:19], s[24:25], exec
.LBB26_58:
	s_or_b64 exec, exec, s[22:23]
	v_mov_b32_e32 v5, s33
	v_mov_b32_e32 v6, s5
	v_cndmask_b32_e64 v4, v8, v9, s[18:19]
	v_cndmask_b32_e64 v5, v5, v6, s[18:19]
	v_add_u32_e32 v6, 1, v4
	v_add_u32_e32 v4, -1, v5
	v_min_u32_e32 v4, v6, v4
	v_lshlrev_b32_e32 v4, 3, v4
	ds_read_b64 v[4:5], v4
	v_cndmask_b32_e64 v10, v6, v8, s[18:19]
	v_cndmask_b32_e64 v11, v9, v6, s[18:19]
	v_cmp_gt_u32_e32 vcc, s33, v10
	s_waitcnt lgkmcnt(0)
	v_cndmask_b32_e64 v20, v5, v1, s[18:19]
	v_cndmask_b32_e64 v21, v4, v16, s[18:19]
	;; [unrolled: 1-line block ×4, first 2 shown]
	s_and_saveexec_b64 s[22:23], vcc
	s_cbranch_execz .LBB26_69
; %bb.59:
	v_cmp_gt_u32_e32 vcc, s5, v11
	s_mov_b64 s[24:25], 0
	s_and_saveexec_b64 s[20:21], vcc
	s_cbranch_execz .LBB26_68
; %bb.60:
	s_andn2_b64 vcc, exec, s[0:1]
	s_cbranch_vccnz .LBB26_66
; %bb.61:
	v_mov_b64_e32 v[6:7], s[14:15]
	v_mad_u64_u32 v[4:5], s[24:25], v21, s12, v[6:7]
	v_mul_lo_u32 v8, v21, s13
	v_mul_lo_u32 v9, v20, s12
	v_add3_u32 v5, v9, v5, v8
	v_mad_u64_u32 v[6:7], s[24:25], v23, s12, v[6:7]
	v_mul_lo_u32 v8, v23, s13
	v_mul_lo_u32 v9, v22, s12
	v_add3_u32 v7, v9, v7, v8
	s_mov_b64 s[24:25], 0
	s_mov_b64 s[30:31], s[12:13]
                                        ; implicit-def: $sgpr26_sgpr27
                                        ; implicit-def: $sgpr28_sgpr29
                                        ; implicit-def: $sgpr34_sgpr35
                                        ; implicit-def: $sgpr36_sgpr37
	s_branch .LBB26_63
.LBB26_62:                              ;   in Loop: Header=BB26_63 Depth=1
	s_or_b64 exec, exec, s[40:41]
	s_and_b64 s[40:41], exec, s[28:29]
	s_or_b64 s[24:25], s[40:41], s[24:25]
	s_andn2_b64 s[36:37], s[36:37], exec
	s_and_b64 s[38:39], s[38:39], exec
	s_or_b64 s[36:37], s[36:37], s[38:39]
	s_andn2_b64 s[26:27], s[26:27], exec
	s_and_b64 s[38:39], s[34:35], exec
	s_or_b64 s[26:27], s[26:27], s[38:39]
	s_andn2_b64 exec, exec, s[24:25]
	s_cbranch_execz .LBB26_65
.LBB26_63:                              ; =>This Inner Loop Header: Depth=1
	global_load_ubyte v8, v[4:5], off
	global_load_ubyte v9, v[6:7], off
	s_andn2_b64 s[34:35], s[34:35], exec
	s_or_b64 s[28:29], s[28:29], exec
	s_waitcnt vmcnt(0)
	v_cmp_le_u16_sdwa s[40:41], v8, v9 src0_sel:BYTE_0 src1_sel:BYTE_0
	v_cmp_lt_u16_sdwa s[38:39], v8, v9 src0_sel:BYTE_0 src1_sel:BYTE_0
	s_and_b64 s[40:41], s[40:41], s[36:37]
	s_or_b64 s[38:39], s[38:39], s[40:41]
	s_and_b64 s[40:41], s[38:39], exec
	v_cmp_eq_u16_sdwa s[42:43], v8, v9 src0_sel:BYTE_0 src1_sel:BYTE_0
	s_or_b64 s[34:35], s[34:35], s[40:41]
	s_and_saveexec_b64 s[40:41], s[42:43]
	s_cbranch_execz .LBB26_62
; %bb.64:                               ;   in Loop: Header=BB26_63 Depth=1
	s_add_u32 s30, s30, -1
	s_addc_u32 s31, s31, -1
	s_cmp_eq_u64 s[30:31], 0
	s_cselect_b64 s[36:37], -1, 0
	s_andn2_b64 s[28:29], s[28:29], exec
	s_and_b64 s[36:37], s[36:37], exec
	v_lshl_add_u64 v[4:5], v[4:5], 0, 1
	v_lshl_add_u64 v[6:7], v[6:7], 0, 1
	s_andn2_b64 s[34:35], s[34:35], exec
	s_or_b64 s[28:29], s[28:29], s[36:37]
                                        ; implicit-def: $sgpr36_sgpr37
	s_branch .LBB26_62
.LBB26_65:
	s_or_b64 exec, exec, s[24:25]
	s_xor_b64 s[24:25], s[26:27], -1
	s_branch .LBB26_67
.LBB26_66:
	s_mov_b64 s[24:25], -1
.LBB26_67:
	s_and_b64 s[24:25], s[24:25], exec
.LBB26_68:
	s_or_b64 exec, exec, s[20:21]
	s_orn2_b64 s[20:21], s[24:25], exec
.LBB26_69:
	s_or_b64 exec, exec, s[22:23]
	v_mov_b32_e32 v5, s33
	v_mov_b32_e32 v6, s5
	v_cndmask_b32_e64 v4, v10, v11, s[20:21]
	v_cndmask_b32_e64 v5, v5, v6, s[20:21]
	v_add_u32_e32 v6, 1, v4
	v_add_u32_e32 v4, -1, v5
	v_min_u32_e32 v4, v6, v4
	v_lshlrev_b32_e32 v4, 3, v4
	ds_read_b64 v[4:5], v4
	v_cndmask_b32_e64 v12, v6, v10, s[20:21]
	v_cndmask_b32_e64 v13, v11, v6, s[20:21]
	v_cmp_gt_u32_e32 vcc, s33, v12
	s_mov_b64 s[24:25], -1
	s_waitcnt lgkmcnt(0)
	v_cndmask_b32_e64 v8, v5, v20, s[20:21]
	v_cndmask_b32_e64 v24, v4, v21, s[20:21]
	;; [unrolled: 1-line block ×4, first 2 shown]
	s_mov_b64 s[22:23], -1
	s_and_saveexec_b64 s[26:27], vcc
	s_cbranch_execz .LBB26_80
; %bb.70:
	v_cmp_gt_u32_e32 vcc, s5, v13
	s_mov_b64 s[28:29], 0
	s_and_saveexec_b64 s[22:23], vcc
	s_cbranch_execz .LBB26_79
; %bb.71:
	s_andn2_b64 vcc, exec, s[0:1]
	s_cbranch_vccnz .LBB26_77
; %bb.72:
	v_mov_b64_e32 v[6:7], s[14:15]
	v_mad_u64_u32 v[4:5], s[28:29], v24, s12, v[6:7]
	v_mul_lo_u32 v10, v24, s13
	v_mul_lo_u32 v11, v8, s12
	v_add3_u32 v5, v11, v5, v10
	v_mad_u64_u32 v[6:7], s[28:29], v25, s12, v[6:7]
	v_mul_lo_u32 v10, v25, s13
	v_mul_lo_u32 v11, v9, s12
	v_add3_u32 v7, v11, v7, v10
	s_mov_b64 s[28:29], 0
	s_mov_b64 s[36:37], s[12:13]
                                        ; implicit-def: $sgpr30_sgpr31
                                        ; implicit-def: $sgpr34_sgpr35
                                        ; implicit-def: $sgpr38_sgpr39
                                        ; implicit-def: $sgpr40_sgpr41
	s_branch .LBB26_74
.LBB26_73:                              ;   in Loop: Header=BB26_74 Depth=1
	s_or_b64 exec, exec, s[44:45]
	s_and_b64 s[44:45], exec, s[34:35]
	s_or_b64 s[28:29], s[44:45], s[28:29]
	s_andn2_b64 s[40:41], s[40:41], exec
	s_and_b64 s[42:43], s[42:43], exec
	s_or_b64 s[40:41], s[40:41], s[42:43]
	s_andn2_b64 s[30:31], s[30:31], exec
	s_and_b64 s[42:43], s[38:39], exec
	s_or_b64 s[30:31], s[30:31], s[42:43]
	s_andn2_b64 exec, exec, s[28:29]
	s_cbranch_execz .LBB26_76
.LBB26_74:                              ; =>This Inner Loop Header: Depth=1
	global_load_ubyte v10, v[4:5], off
	global_load_ubyte v11, v[6:7], off
	s_andn2_b64 s[38:39], s[38:39], exec
	s_or_b64 s[34:35], s[34:35], exec
	s_waitcnt vmcnt(0)
	v_cmp_le_u16_sdwa s[44:45], v10, v11 src0_sel:BYTE_0 src1_sel:BYTE_0
	v_cmp_lt_u16_sdwa s[42:43], v10, v11 src0_sel:BYTE_0 src1_sel:BYTE_0
	s_and_b64 s[44:45], s[44:45], s[40:41]
	s_or_b64 s[42:43], s[42:43], s[44:45]
	s_and_b64 s[44:45], s[42:43], exec
	v_cmp_eq_u16_sdwa s[46:47], v10, v11 src0_sel:BYTE_0 src1_sel:BYTE_0
	s_or_b64 s[38:39], s[38:39], s[44:45]
	s_and_saveexec_b64 s[44:45], s[46:47]
	s_cbranch_execz .LBB26_73
; %bb.75:                               ;   in Loop: Header=BB26_74 Depth=1
	s_add_u32 s36, s36, -1
	s_addc_u32 s37, s37, -1
	s_cmp_eq_u64 s[36:37], 0
	s_cselect_b64 s[40:41], -1, 0
	s_andn2_b64 s[34:35], s[34:35], exec
	s_and_b64 s[40:41], s[40:41], exec
	v_lshl_add_u64 v[4:5], v[4:5], 0, 1
	v_lshl_add_u64 v[6:7], v[6:7], 0, 1
	s_andn2_b64 s[38:39], s[38:39], exec
	s_or_b64 s[34:35], s[34:35], s[40:41]
                                        ; implicit-def: $sgpr40_sgpr41
	s_branch .LBB26_73
.LBB26_76:
	s_or_b64 exec, exec, s[28:29]
	s_xor_b64 s[28:29], s[30:31], -1
	s_branch .LBB26_78
.LBB26_77:
	s_mov_b64 s[28:29], -1
.LBB26_78:
	s_and_b64 s[28:29], s[28:29], exec
.LBB26_79:
	s_or_b64 exec, exec, s[22:23]
	s_orn2_b64 s[22:23], s[28:29], exec
.LBB26_80:
	s_or_b64 exec, exec, s[26:27]
	v_mov_b32_e32 v5, s33
	v_mov_b32_e32 v6, s5
	v_cndmask_b32_e64 v4, v12, v13, s[22:23]
	v_cndmask_b32_e64 v5, v5, v6, s[22:23]
	v_add_u32_e32 v6, 1, v4
	v_add_u32_e32 v4, -1, v5
	v_min_u32_e32 v4, v6, v4
	v_lshlrev_b32_e32 v4, 3, v4
	ds_read_b64 v[4:5], v4
	v_cndmask_b32_e64 v30, v6, v12, s[22:23]
	v_cndmask_b32_e64 v31, v13, v6, s[22:23]
	v_cmp_gt_u32_e32 vcc, s33, v30
	s_waitcnt lgkmcnt(0)
	v_cndmask_b32_e64 v10, v5, v8, s[22:23]
	v_cndmask_b32_e64 v26, v4, v24, s[22:23]
	;; [unrolled: 1-line block ×4, first 2 shown]
	s_and_saveexec_b64 s[26:27], vcc
	s_cbranch_execz .LBB26_91
; %bb.81:
	v_cmp_gt_u32_e32 vcc, s5, v31
	s_mov_b64 s[28:29], 0
	s_and_saveexec_b64 s[24:25], vcc
	s_cbranch_execz .LBB26_90
; %bb.82:
	s_andn2_b64 vcc, exec, s[0:1]
	s_cbranch_vccnz .LBB26_88
; %bb.83:
	v_mov_b64_e32 v[6:7], s[14:15]
	v_mad_u64_u32 v[4:5], s[28:29], v26, s12, v[6:7]
	v_mul_lo_u32 v12, v26, s13
	v_mul_lo_u32 v13, v10, s12
	v_add3_u32 v5, v13, v5, v12
	v_mad_u64_u32 v[6:7], s[28:29], v27, s12, v[6:7]
	v_mul_lo_u32 v12, v27, s13
	v_mul_lo_u32 v13, v11, s12
	v_add3_u32 v7, v13, v7, v12
	s_mov_b64 s[28:29], 0
	s_mov_b64 s[36:37], s[12:13]
                                        ; implicit-def: $sgpr30_sgpr31
                                        ; implicit-def: $sgpr34_sgpr35
                                        ; implicit-def: $sgpr38_sgpr39
                                        ; implicit-def: $sgpr40_sgpr41
	s_branch .LBB26_85
.LBB26_84:                              ;   in Loop: Header=BB26_85 Depth=1
	s_or_b64 exec, exec, s[44:45]
	s_and_b64 s[44:45], exec, s[34:35]
	s_or_b64 s[28:29], s[44:45], s[28:29]
	s_andn2_b64 s[40:41], s[40:41], exec
	s_and_b64 s[42:43], s[42:43], exec
	s_or_b64 s[40:41], s[40:41], s[42:43]
	s_andn2_b64 s[30:31], s[30:31], exec
	s_and_b64 s[42:43], s[38:39], exec
	s_or_b64 s[30:31], s[30:31], s[42:43]
	s_andn2_b64 exec, exec, s[28:29]
	s_cbranch_execz .LBB26_87
.LBB26_85:                              ; =>This Inner Loop Header: Depth=1
	global_load_ubyte v12, v[4:5], off
	global_load_ubyte v13, v[6:7], off
	s_andn2_b64 s[38:39], s[38:39], exec
	s_or_b64 s[34:35], s[34:35], exec
	s_waitcnt vmcnt(0)
	v_cmp_le_u16_sdwa s[44:45], v12, v13 src0_sel:BYTE_0 src1_sel:BYTE_0
	v_cmp_lt_u16_sdwa s[42:43], v12, v13 src0_sel:BYTE_0 src1_sel:BYTE_0
	s_and_b64 s[44:45], s[44:45], s[40:41]
	s_or_b64 s[42:43], s[42:43], s[44:45]
	s_and_b64 s[44:45], s[42:43], exec
	v_cmp_eq_u16_sdwa s[46:47], v12, v13 src0_sel:BYTE_0 src1_sel:BYTE_0
	s_or_b64 s[38:39], s[38:39], s[44:45]
	s_and_saveexec_b64 s[44:45], s[46:47]
	s_cbranch_execz .LBB26_84
; %bb.86:                               ;   in Loop: Header=BB26_85 Depth=1
	s_add_u32 s36, s36, -1
	s_addc_u32 s37, s37, -1
	s_cmp_eq_u64 s[36:37], 0
	s_cselect_b64 s[40:41], -1, 0
	s_andn2_b64 s[34:35], s[34:35], exec
	s_and_b64 s[40:41], s[40:41], exec
	v_lshl_add_u64 v[4:5], v[4:5], 0, 1
	v_lshl_add_u64 v[6:7], v[6:7], 0, 1
	s_andn2_b64 s[38:39], s[38:39], exec
	s_or_b64 s[34:35], s[34:35], s[40:41]
                                        ; implicit-def: $sgpr40_sgpr41
	s_branch .LBB26_84
.LBB26_87:
	s_or_b64 exec, exec, s[28:29]
	s_xor_b64 s[28:29], s[30:31], -1
	s_branch .LBB26_89
.LBB26_88:
	s_mov_b64 s[28:29], -1
.LBB26_89:
	s_and_b64 s[28:29], s[28:29], exec
.LBB26_90:
	s_or_b64 exec, exec, s[24:25]
	s_orn2_b64 s[24:25], s[28:29], exec
.LBB26_91:
	s_or_b64 exec, exec, s[26:27]
	v_mov_b32_e32 v5, s33
	v_mov_b32_e32 v6, s5
	v_cndmask_b32_e64 v4, v30, v31, s[24:25]
	v_cndmask_b32_e64 v5, v5, v6, s[24:25]
	v_add_u32_e32 v6, 1, v4
	v_add_u32_e32 v4, -1, v5
	v_min_u32_e32 v4, v6, v4
	v_lshlrev_b32_e32 v4, 3, v4
	ds_read_b64 v[4:5], v4
	v_cndmask_b32_e64 v32, v6, v30, s[24:25]
	v_cndmask_b32_e64 v36, v31, v6, s[24:25]
	v_cmp_gt_u32_e32 vcc, s33, v32
	s_mov_b64 s[26:27], -1
	s_waitcnt lgkmcnt(0)
	v_cndmask_b32_e64 v12, v5, v10, s[24:25]
	v_cndmask_b32_e64 v28, v4, v26, s[24:25]
	;; [unrolled: 1-line block ×4, first 2 shown]
	s_mov_b64 s[28:29], -1
	s_and_saveexec_b64 s[30:31], vcc
	s_cbranch_execz .LBB26_102
; %bb.92:
	v_cmp_gt_u32_e32 vcc, s5, v36
	s_mov_b64 s[34:35], 0
	s_and_saveexec_b64 s[28:29], vcc
	s_cbranch_execz .LBB26_101
; %bb.93:
	s_andn2_b64 vcc, exec, s[0:1]
	s_cbranch_vccnz .LBB26_99
; %bb.94:
	v_mov_b64_e32 v[6:7], s[14:15]
	v_mad_u64_u32 v[4:5], s[34:35], v28, s12, v[6:7]
	v_mul_lo_u32 v30, v28, s13
	v_mul_lo_u32 v31, v12, s12
	v_add3_u32 v5, v31, v5, v30
	v_mad_u64_u32 v[6:7], s[34:35], v29, s12, v[6:7]
	v_mul_lo_u32 v30, v29, s13
	v_mul_lo_u32 v31, v13, s12
	v_add3_u32 v7, v31, v7, v30
	s_mov_b64 s[34:35], 0
	s_mov_b64 s[40:41], s[12:13]
                                        ; implicit-def: $sgpr36_sgpr37
                                        ; implicit-def: $sgpr38_sgpr39
                                        ; implicit-def: $sgpr42_sgpr43
                                        ; implicit-def: $sgpr44_sgpr45
	s_branch .LBB26_96
.LBB26_95:                              ;   in Loop: Header=BB26_96 Depth=1
	s_or_b64 exec, exec, s[48:49]
	s_and_b64 s[48:49], exec, s[38:39]
	s_or_b64 s[34:35], s[48:49], s[34:35]
	s_andn2_b64 s[44:45], s[44:45], exec
	s_and_b64 s[46:47], s[46:47], exec
	s_or_b64 s[44:45], s[44:45], s[46:47]
	s_andn2_b64 s[36:37], s[36:37], exec
	s_and_b64 s[46:47], s[42:43], exec
	s_or_b64 s[36:37], s[36:37], s[46:47]
	s_andn2_b64 exec, exec, s[34:35]
	s_cbranch_execz .LBB26_98
.LBB26_96:                              ; =>This Inner Loop Header: Depth=1
	global_load_ubyte v30, v[4:5], off
	global_load_ubyte v31, v[6:7], off
	s_andn2_b64 s[42:43], s[42:43], exec
	s_or_b64 s[38:39], s[38:39], exec
	s_waitcnt vmcnt(0)
	v_cmp_le_u16_sdwa s[48:49], v30, v31 src0_sel:BYTE_0 src1_sel:BYTE_0
	v_cmp_lt_u16_sdwa s[46:47], v30, v31 src0_sel:BYTE_0 src1_sel:BYTE_0
	s_and_b64 s[48:49], s[48:49], s[44:45]
	s_or_b64 s[46:47], s[46:47], s[48:49]
	s_and_b64 s[48:49], s[46:47], exec
	v_cmp_eq_u16_sdwa s[50:51], v30, v31 src0_sel:BYTE_0 src1_sel:BYTE_0
	s_or_b64 s[42:43], s[42:43], s[48:49]
	s_and_saveexec_b64 s[48:49], s[50:51]
	s_cbranch_execz .LBB26_95
; %bb.97:                               ;   in Loop: Header=BB26_96 Depth=1
	s_add_u32 s40, s40, -1
	s_addc_u32 s41, s41, -1
	s_cmp_eq_u64 s[40:41], 0
	s_cselect_b64 s[44:45], -1, 0
	s_andn2_b64 s[38:39], s[38:39], exec
	s_and_b64 s[44:45], s[44:45], exec
	v_lshl_add_u64 v[4:5], v[4:5], 0, 1
	v_lshl_add_u64 v[6:7], v[6:7], 0, 1
	s_andn2_b64 s[42:43], s[42:43], exec
	s_or_b64 s[38:39], s[38:39], s[44:45]
                                        ; implicit-def: $sgpr44_sgpr45
	s_branch .LBB26_95
.LBB26_98:
	s_or_b64 exec, exec, s[34:35]
	s_xor_b64 s[34:35], s[36:37], -1
	s_branch .LBB26_100
.LBB26_99:
	s_mov_b64 s[34:35], -1
.LBB26_100:
	s_and_b64 s[34:35], s[34:35], exec
.LBB26_101:
	s_or_b64 exec, exec, s[28:29]
	s_orn2_b64 s[28:29], s[34:35], exec
.LBB26_102:
	s_or_b64 exec, exec, s[30:31]
	v_mov_b32_e32 v5, s33
	v_mov_b32_e32 v6, s5
	v_cndmask_b32_e64 v4, v32, v36, s[28:29]
	v_cndmask_b32_e64 v5, v5, v6, s[28:29]
	v_add_u32_e32 v6, 1, v4
	v_add_u32_e32 v4, -1, v5
	v_min_u32_e32 v4, v6, v4
	v_lshlrev_b32_e32 v4, 3, v4
	ds_read_b64 v[4:5], v4
	v_cndmask_b32_e64 v33, v6, v32, s[28:29]
	v_cndmask_b32_e64 v32, v36, v6, s[28:29]
	v_cmp_gt_u32_e32 vcc, s33, v33
	s_waitcnt lgkmcnt(0)
	v_cndmask_b32_e64 v30, v5, v12, s[28:29]
	v_cndmask_b32_e64 v31, v4, v28, s[28:29]
	v_cndmask_b32_e64 v34, v13, v5, s[28:29]
	v_cndmask_b32_e64 v35, v29, v4, s[28:29]
	s_and_saveexec_b64 s[30:31], vcc
	s_cbranch_execz .LBB26_113
; %bb.103:
	v_cmp_gt_u32_e32 vcc, s5, v32
	s_mov_b64 s[34:35], 0
	s_and_saveexec_b64 s[26:27], vcc
	s_cbranch_execz .LBB26_112
; %bb.104:
	s_andn2_b64 vcc, exec, s[0:1]
	s_cbranch_vccnz .LBB26_110
; %bb.105:
	v_mov_b64_e32 v[6:7], s[14:15]
	v_mad_u64_u32 v[4:5], s[34:35], v31, s12, v[6:7]
	v_mul_lo_u32 v36, v31, s13
	v_mul_lo_u32 v37, v30, s12
	v_add3_u32 v5, v37, v5, v36
	v_mad_u64_u32 v[6:7], s[34:35], v35, s12, v[6:7]
	v_mul_lo_u32 v36, v35, s13
	v_mul_lo_u32 v37, v34, s12
	v_add3_u32 v7, v37, v7, v36
	s_mov_b64 s[34:35], 0
	s_mov_b64 s[40:41], s[12:13]
                                        ; implicit-def: $sgpr36_sgpr37
                                        ; implicit-def: $sgpr38_sgpr39
                                        ; implicit-def: $sgpr42_sgpr43
                                        ; implicit-def: $sgpr44_sgpr45
	s_branch .LBB26_107
.LBB26_106:                             ;   in Loop: Header=BB26_107 Depth=1
	s_or_b64 exec, exec, s[48:49]
	s_and_b64 s[48:49], exec, s[38:39]
	s_or_b64 s[34:35], s[48:49], s[34:35]
	s_andn2_b64 s[44:45], s[44:45], exec
	s_and_b64 s[46:47], s[46:47], exec
	s_or_b64 s[44:45], s[44:45], s[46:47]
	s_andn2_b64 s[36:37], s[36:37], exec
	s_and_b64 s[46:47], s[42:43], exec
	s_or_b64 s[36:37], s[36:37], s[46:47]
	s_andn2_b64 exec, exec, s[34:35]
	s_cbranch_execz .LBB26_109
.LBB26_107:                             ; =>This Inner Loop Header: Depth=1
	global_load_ubyte v36, v[4:5], off
	global_load_ubyte v37, v[6:7], off
	s_andn2_b64 s[42:43], s[42:43], exec
	s_or_b64 s[38:39], s[38:39], exec
	s_waitcnt vmcnt(0)
	v_cmp_le_u16_sdwa s[48:49], v36, v37 src0_sel:BYTE_0 src1_sel:BYTE_0
	v_cmp_lt_u16_sdwa s[46:47], v36, v37 src0_sel:BYTE_0 src1_sel:BYTE_0
	s_and_b64 s[48:49], s[48:49], s[44:45]
	s_or_b64 s[46:47], s[46:47], s[48:49]
	s_and_b64 s[48:49], s[46:47], exec
	v_cmp_eq_u16_sdwa s[50:51], v36, v37 src0_sel:BYTE_0 src1_sel:BYTE_0
	s_or_b64 s[42:43], s[42:43], s[48:49]
	s_and_saveexec_b64 s[48:49], s[50:51]
	s_cbranch_execz .LBB26_106
; %bb.108:                              ;   in Loop: Header=BB26_107 Depth=1
	s_add_u32 s40, s40, -1
	s_addc_u32 s41, s41, -1
	s_cmp_eq_u64 s[40:41], 0
	s_cselect_b64 s[44:45], -1, 0
	s_andn2_b64 s[38:39], s[38:39], exec
	s_and_b64 s[44:45], s[44:45], exec
	v_lshl_add_u64 v[4:5], v[4:5], 0, 1
	v_lshl_add_u64 v[6:7], v[6:7], 0, 1
	s_andn2_b64 s[42:43], s[42:43], exec
	s_or_b64 s[38:39], s[38:39], s[44:45]
                                        ; implicit-def: $sgpr44_sgpr45
	s_branch .LBB26_106
.LBB26_109:
	s_or_b64 exec, exec, s[34:35]
	s_xor_b64 s[34:35], s[36:37], -1
	s_branch .LBB26_111
.LBB26_110:
	s_mov_b64 s[34:35], -1
.LBB26_111:
	s_and_b64 s[34:35], s[34:35], exec
.LBB26_112:
	s_or_b64 exec, exec, s[26:27]
	s_orn2_b64 s[26:27], s[34:35], exec
.LBB26_113:
	s_or_b64 exec, exec, s[30:31]
	v_cndmask_b32_e64 v5, v1, v17, s[18:19]
	v_cndmask_b32_e64 v4, v16, v19, s[18:19]
	v_mov_b32_e32 v16, s33
	v_mov_b32_e32 v17, s5
	v_cndmask_b32_e64 v1, v33, v32, s[26:27]
	v_cndmask_b32_e64 v16, v16, v17, s[26:27]
	v_add_u32_e32 v1, 1, v1
	v_add_u32_e32 v16, -1, v16
	v_min_u32_e32 v16, v1, v16
	v_lshlrev_b32_e32 v16, 3, v16
	v_cndmask_b32_e64 v7, v20, v22, s[20:21]
	v_cndmask_b32_e64 v6, v21, v23, s[20:21]
	ds_read_b64 v[20:21], v16
	v_cndmask_b32_e64 v19, v1, v33, s[26:27]
	v_cndmask_b32_e64 v13, v12, v13, s[28:29]
	;; [unrolled: 1-line block ×11, first 2 shown]
	s_waitcnt lgkmcnt(0)
	v_cndmask_b32_e64 v17, v34, v21, s[26:27]
	v_cndmask_b32_e64 v16, v35, v20, s[26:27]
	v_cmp_gt_u32_e32 vcc, s33, v19
	s_and_saveexec_b64 s[8:9], vcc
	s_cbranch_execz .LBB26_123
; %bb.114:
	v_cndmask_b32_e64 v1, v32, v1, s[26:27]
	v_cndmask_b32_e64 v21, v21, v30, s[26:27]
	;; [unrolled: 1-line block ×3, first 2 shown]
	v_cmp_gt_u32_e32 vcc, s5, v1
	s_and_saveexec_b64 s[18:19], vcc
	s_cbranch_execz .LBB26_122
; %bb.115:
	s_andn2_b64 vcc, exec, s[0:1]
	s_cbranch_vccnz .LBB26_121
; %bb.116:
	v_mov_b64_e32 v[24:25], s[14:15]
	v_mad_u64_u32 v[22:23], s[0:1], v20, s12, v[24:25]
	v_mul_lo_u32 v1, v20, s13
	v_mul_lo_u32 v19, v21, s12
	v_add3_u32 v23, v19, v23, v1
	v_mad_u64_u32 v[24:25], s[0:1], v16, s12, v[24:25]
	v_mul_lo_u32 v1, v16, s13
	v_mul_lo_u32 v19, v17, s12
	v_add3_u32 v25, v19, v25, v1
	s_mov_b64 s[0:1], 0
                                        ; implicit-def: $sgpr14_sgpr15
                                        ; implicit-def: $sgpr20_sgpr21
                                        ; implicit-def: $sgpr22_sgpr23
                                        ; implicit-def: $sgpr24_sgpr25
	s_branch .LBB26_118
.LBB26_117:                             ;   in Loop: Header=BB26_118 Depth=1
	s_or_b64 exec, exec, s[28:29]
	s_and_b64 s[28:29], exec, s[20:21]
	s_or_b64 s[0:1], s[28:29], s[0:1]
	s_andn2_b64 s[24:25], s[24:25], exec
	s_and_b64 s[26:27], s[26:27], exec
	s_or_b64 s[24:25], s[24:25], s[26:27]
	s_andn2_b64 s[14:15], s[14:15], exec
	s_and_b64 s[26:27], s[22:23], exec
	s_or_b64 s[14:15], s[14:15], s[26:27]
	s_andn2_b64 exec, exec, s[0:1]
	s_cbranch_execz .LBB26_120
.LBB26_118:                             ; =>This Inner Loop Header: Depth=1
	global_load_ubyte v1, v[22:23], off
	global_load_ubyte v19, v[24:25], off
	s_andn2_b64 s[22:23], s[22:23], exec
	s_or_b64 s[20:21], s[20:21], exec
	s_waitcnt vmcnt(0)
	v_cmp_le_u16_sdwa s[28:29], v1, v19 src0_sel:BYTE_0 src1_sel:BYTE_0
	v_cmp_lt_u16_sdwa s[26:27], v1, v19 src0_sel:BYTE_0 src1_sel:BYTE_0
	s_and_b64 s[28:29], s[28:29], s[24:25]
	s_or_b64 s[26:27], s[26:27], s[28:29]
	s_and_b64 s[28:29], s[26:27], exec
	v_cmp_eq_u16_sdwa s[30:31], v1, v19 src0_sel:BYTE_0 src1_sel:BYTE_0
	s_or_b64 s[22:23], s[22:23], s[28:29]
	s_and_saveexec_b64 s[28:29], s[30:31]
	s_cbranch_execz .LBB26_117
; %bb.119:                              ;   in Loop: Header=BB26_118 Depth=1
	s_add_u32 s12, s12, -1
	s_addc_u32 s13, s13, -1
	s_cmp_eq_u64 s[12:13], 0
	s_cselect_b64 s[24:25], -1, 0
	s_andn2_b64 s[20:21], s[20:21], exec
	s_and_b64 s[24:25], s[24:25], exec
	v_lshl_add_u64 v[22:23], v[22:23], 0, 1
	v_lshl_add_u64 v[24:25], v[24:25], 0, 1
	s_andn2_b64 s[22:23], s[22:23], exec
	s_or_b64 s[20:21], s[20:21], s[24:25]
                                        ; implicit-def: $sgpr24_sgpr25
	s_branch .LBB26_117
.LBB26_120:
	s_or_b64 exec, exec, s[0:1]
	v_cndmask_b32_e64 v17, v17, v21, s[14:15]
	v_cndmask_b32_e64 v16, v16, v20, s[14:15]
.LBB26_121:
	v_mov_b64_e32 v[20:21], v[16:17]
.LBB26_122:
	s_or_b64 exec, exec, s[18:19]
	v_mov_b64_e32 v[16:17], v[20:21]
.LBB26_123:
	s_or_b64 exec, exec, s[8:9]
.LBB26_124:
	s_or_b64 exec, exec, s[2:3]
	v_lshrrev_b32_e32 v1, 2, v0
	v_lshlrev_b32_e32 v19, 3, v18
	v_lshl_add_u32 v19, v1, 3, v19
	v_and_b32_e32 v1, 24, v1
	v_or_b32_e32 v23, 0x80, v0
	v_add_u32_e32 v24, v1, v18
	v_lshrrev_b32_e32 v1, 2, v23
	v_and_b32_e32 v1, 56, v1
	v_or_b32_e32 v22, 0x100, v0
	s_barrier
	s_barrier
	ds_write2_b64 v19, v[2:3], v[4:5] offset1:1
	ds_write2_b64 v19, v[6:7], v[8:9] offset0:2 offset1:3
	ds_write2_b64 v19, v[10:11], v[12:13] offset0:4 offset1:5
	;; [unrolled: 1-line block ×3, first 2 shown]
	v_add_u32_e32 v4, v1, v18
	v_lshrrev_b32_e32 v1, 2, v22
	v_and_b32_e32 v1, 0x58, v1
	v_or_b32_e32 v21, 0x180, v0
	v_add_u32_e32 v5, v1, v18
	v_lshrrev_b32_e32 v1, 2, v21
	v_and_b32_e32 v1, 0x78, v1
	v_or_b32_e32 v20, 0x200, v0
	;; [unrolled: 4-line block ×4, first 2 shown]
	v_add_u32_e32 v25, v1, v18
	v_lshrrev_b32_e32 v1, 2, v16
	v_and_b32_e32 v1, 0xd8, v1
	s_lshl_b64 s[0:1], s[16:17], 3
	v_add_u32_e32 v26, v1, v18
	v_or_b32_e32 v1, 0x380, v0
	s_add_u32 s0, s10, s0
	v_lshrrev_b32_e32 v2, 2, v1
	s_addc_u32 s1, s11, s1
	v_and_b32_e32 v2, 0xf8, v2
	v_mov_b32_e32 v19, 0
	v_add_u32_e32 v27, v2, v18
	v_lshl_add_u64 v[2:3], s[0:1], 0, v[18:19]
	s_and_b64 vcc, exec, s[6:7]
	s_waitcnt lgkmcnt(0)
	s_cbranch_vccz .LBB26_126
; %bb.125:
	s_barrier
	ds_read_b64 v[8:9], v24
	ds_read_b64 v[10:11], v4 offset:1024
	ds_read_b64 v[12:13], v5 offset:2048
	;; [unrolled: 1-line block ×7, first 2 shown]
	s_waitcnt lgkmcnt(7)
	global_store_dwordx2 v[2:3], v[8:9], off
	s_waitcnt lgkmcnt(6)
	global_store_dwordx2 v[2:3], v[10:11], off offset:1024
	s_waitcnt lgkmcnt(5)
	global_store_dwordx2 v[2:3], v[12:13], off offset:2048
	;; [unrolled: 2-line block ×3, first 2 shown]
	v_add_co_u32_e32 v8, vcc, 0x1000, v2
	s_nop 1
	v_addc_co_u32_e32 v9, vcc, 0, v3, vcc
	s_waitcnt lgkmcnt(3)
	global_store_dwordx2 v[8:9], v[28:29], off
	s_waitcnt lgkmcnt(2)
	global_store_dwordx2 v[8:9], v[30:31], off offset:1024
	s_waitcnt lgkmcnt(1)
	global_store_dwordx2 v[8:9], v[32:33], off offset:2048
	s_mov_b64 s[0:1], -1
	s_cbranch_execz .LBB26_127
	s_branch .LBB26_136
.LBB26_126:
	s_mov_b64 s[0:1], 0
                                        ; implicit-def: $vgpr18_vgpr19
.LBB26_127:
	s_barrier
	s_waitcnt lgkmcnt(0)
	ds_read_b64 v[14:15], v4 offset:1024
	ds_read_b64 v[12:13], v5 offset:2048
	;; [unrolled: 1-line block ×7, first 2 shown]
	s_sub_i32 s2, s4, s16
	v_cmp_gt_u32_e32 vcc, s2, v0
	s_and_saveexec_b64 s[0:1], vcc
	s_cbranch_execnz .LBB26_139
; %bb.128:
	s_or_b64 exec, exec, s[0:1]
	v_cmp_gt_u32_e32 vcc, s2, v23
	s_and_saveexec_b64 s[0:1], vcc
	s_cbranch_execnz .LBB26_140
.LBB26_129:
	s_or_b64 exec, exec, s[0:1]
	v_cmp_gt_u32_e32 vcc, s2, v22
	s_and_saveexec_b64 s[0:1], vcc
	s_cbranch_execnz .LBB26_141
.LBB26_130:
	s_or_b64 exec, exec, s[0:1]
	v_cmp_gt_u32_e32 vcc, s2, v21
	s_and_saveexec_b64 s[0:1], vcc
	s_cbranch_execnz .LBB26_142
.LBB26_131:
	s_or_b64 exec, exec, s[0:1]
	v_cmp_gt_u32_e32 vcc, s2, v20
	s_and_saveexec_b64 s[0:1], vcc
	s_cbranch_execnz .LBB26_143
.LBB26_132:
	s_or_b64 exec, exec, s[0:1]
	v_cmp_gt_u32_e32 vcc, s2, v17
	s_and_saveexec_b64 s[0:1], vcc
	s_cbranch_execnz .LBB26_144
.LBB26_133:
	s_or_b64 exec, exec, s[0:1]
	v_cmp_gt_u32_e32 vcc, s2, v16
	s_and_saveexec_b64 s[0:1], vcc
	s_cbranch_execz .LBB26_135
.LBB26_134:
	s_waitcnt lgkmcnt(2)
	v_add_co_u32_e32 v6, vcc, 0x1000, v2
	s_nop 1
	v_addc_co_u32_e32 v7, vcc, 0, v3, vcc
	s_waitcnt lgkmcnt(1)
	global_store_dwordx2 v[6:7], v[4:5], off offset:2048
.LBB26_135:
	s_or_b64 exec, exec, s[0:1]
	v_cmp_gt_u32_e64 s[0:1], s2, v1
.LBB26_136:
	s_and_saveexec_b64 s[2:3], s[0:1]
	s_cbranch_execz .LBB26_138
; %bb.137:
	v_add_co_u32_e32 v0, vcc, 0x1000, v2
	s_nop 1
	v_addc_co_u32_e32 v1, vcc, 0, v3, vcc
	s_waitcnt lgkmcnt(0)
	global_store_dwordx2 v[0:1], v[18:19], off offset:3072
.LBB26_138:
	s_endpgm
.LBB26_139:
	ds_read_b64 v[24:25], v24
	s_waitcnt lgkmcnt(0)
	global_store_dwordx2 v[2:3], v[24:25], off
	s_or_b64 exec, exec, s[0:1]
	v_cmp_gt_u32_e32 vcc, s2, v23
	s_and_saveexec_b64 s[0:1], vcc
	s_cbranch_execz .LBB26_129
.LBB26_140:
	s_waitcnt lgkmcnt(6)
	global_store_dwordx2 v[2:3], v[14:15], off offset:1024
	s_or_b64 exec, exec, s[0:1]
	v_cmp_gt_u32_e32 vcc, s2, v22
	s_and_saveexec_b64 s[0:1], vcc
	s_cbranch_execz .LBB26_130
.LBB26_141:
	s_waitcnt lgkmcnt(5)
	global_store_dwordx2 v[2:3], v[12:13], off offset:2048
	s_or_b64 exec, exec, s[0:1]
	v_cmp_gt_u32_e32 vcc, s2, v21
	s_and_saveexec_b64 s[0:1], vcc
	s_cbranch_execz .LBB26_131
.LBB26_142:
	s_waitcnt lgkmcnt(4)
	global_store_dwordx2 v[2:3], v[10:11], off offset:3072
	s_or_b64 exec, exec, s[0:1]
	v_cmp_gt_u32_e32 vcc, s2, v20
	s_and_saveexec_b64 s[0:1], vcc
	s_cbranch_execz .LBB26_132
.LBB26_143:
	s_waitcnt lgkmcnt(4)
	v_add_co_u32_e32 v10, vcc, 0x1000, v2
	s_nop 1
	v_addc_co_u32_e32 v11, vcc, 0, v3, vcc
	s_waitcnt lgkmcnt(3)
	global_store_dwordx2 v[10:11], v[8:9], off
	s_or_b64 exec, exec, s[0:1]
	v_cmp_gt_u32_e32 vcc, s2, v17
	s_and_saveexec_b64 s[0:1], vcc
	s_cbranch_execz .LBB26_133
.LBB26_144:
	s_waitcnt lgkmcnt(3)
	v_add_co_u32_e32 v8, vcc, 0x1000, v2
	s_nop 1
	v_addc_co_u32_e32 v9, vcc, 0, v3, vcc
	s_waitcnt lgkmcnt(2)
	global_store_dwordx2 v[8:9], v[6:7], off offset:1024
	s_or_b64 exec, exec, s[0:1]
	v_cmp_gt_u32_e32 vcc, s2, v16
	s_and_saveexec_b64 s[0:1], vcc
	s_cbranch_execnz .LBB26_134
	s_branch .LBB26_135
	.section	.rodata,"a",@progbits
	.p2align	6, 0x0
	.amdhsa_kernel _ZN7rocprim17ROCPRIM_400000_NS6detail17trampoline_kernelINS0_14default_configENS1_38merge_sort_block_merge_config_selectorIlNS0_10empty_typeEEEZZNS1_27merge_sort_block_merge_implIS3_PlPS5_mZN2at6native12_GLOBAL__N_124unique_dim_cuda_templateIhEESt5tupleIJNSA_6TensorESF_SF_EERKSF_lbbbEUlllE_EE10hipError_tT0_T1_T2_jT3_P12ihipStream_tbPNSt15iterator_traitsISL_E10value_typeEPNSR_ISM_E10value_typeEPSN_NS1_7vsmem_tEENKUlT_SL_SM_SN_E_clIS8_S8_S9_S9_EESK_S10_SL_SM_SN_EUlS10_E0_NS1_11comp_targetILNS1_3genE0ELNS1_11target_archE4294967295ELNS1_3gpuE0ELNS1_3repE0EEENS1_38merge_mergepath_config_static_selectorELNS0_4arch9wavefront6targetE1EEEvSM_
		.amdhsa_group_segment_fixed_size 8448
		.amdhsa_private_segment_fixed_size 0
		.amdhsa_kernarg_size 344
		.amdhsa_user_sgpr_count 2
		.amdhsa_user_sgpr_dispatch_ptr 0
		.amdhsa_user_sgpr_queue_ptr 0
		.amdhsa_user_sgpr_kernarg_segment_ptr 1
		.amdhsa_user_sgpr_dispatch_id 0
		.amdhsa_user_sgpr_kernarg_preload_length 0
		.amdhsa_user_sgpr_kernarg_preload_offset 0
		.amdhsa_user_sgpr_private_segment_size 0
		.amdhsa_uses_dynamic_stack 0
		.amdhsa_enable_private_segment 0
		.amdhsa_system_sgpr_workgroup_id_x 1
		.amdhsa_system_sgpr_workgroup_id_y 1
		.amdhsa_system_sgpr_workgroup_id_z 1
		.amdhsa_system_sgpr_workgroup_info 0
		.amdhsa_system_vgpr_workitem_id 0
		.amdhsa_next_free_vgpr 38
		.amdhsa_next_free_sgpr 52
		.amdhsa_accum_offset 40
		.amdhsa_reserve_vcc 1
		.amdhsa_float_round_mode_32 0
		.amdhsa_float_round_mode_16_64 0
		.amdhsa_float_denorm_mode_32 3
		.amdhsa_float_denorm_mode_16_64 3
		.amdhsa_dx10_clamp 1
		.amdhsa_ieee_mode 1
		.amdhsa_fp16_overflow 0
		.amdhsa_tg_split 0
		.amdhsa_exception_fp_ieee_invalid_op 0
		.amdhsa_exception_fp_denorm_src 0
		.amdhsa_exception_fp_ieee_div_zero 0
		.amdhsa_exception_fp_ieee_overflow 0
		.amdhsa_exception_fp_ieee_underflow 0
		.amdhsa_exception_fp_ieee_inexact 0
		.amdhsa_exception_int_div_zero 0
	.end_amdhsa_kernel
	.section	.text._ZN7rocprim17ROCPRIM_400000_NS6detail17trampoline_kernelINS0_14default_configENS1_38merge_sort_block_merge_config_selectorIlNS0_10empty_typeEEEZZNS1_27merge_sort_block_merge_implIS3_PlPS5_mZN2at6native12_GLOBAL__N_124unique_dim_cuda_templateIhEESt5tupleIJNSA_6TensorESF_SF_EERKSF_lbbbEUlllE_EE10hipError_tT0_T1_T2_jT3_P12ihipStream_tbPNSt15iterator_traitsISL_E10value_typeEPNSR_ISM_E10value_typeEPSN_NS1_7vsmem_tEENKUlT_SL_SM_SN_E_clIS8_S8_S9_S9_EESK_S10_SL_SM_SN_EUlS10_E0_NS1_11comp_targetILNS1_3genE0ELNS1_11target_archE4294967295ELNS1_3gpuE0ELNS1_3repE0EEENS1_38merge_mergepath_config_static_selectorELNS0_4arch9wavefront6targetE1EEEvSM_,"axG",@progbits,_ZN7rocprim17ROCPRIM_400000_NS6detail17trampoline_kernelINS0_14default_configENS1_38merge_sort_block_merge_config_selectorIlNS0_10empty_typeEEEZZNS1_27merge_sort_block_merge_implIS3_PlPS5_mZN2at6native12_GLOBAL__N_124unique_dim_cuda_templateIhEESt5tupleIJNSA_6TensorESF_SF_EERKSF_lbbbEUlllE_EE10hipError_tT0_T1_T2_jT3_P12ihipStream_tbPNSt15iterator_traitsISL_E10value_typeEPNSR_ISM_E10value_typeEPSN_NS1_7vsmem_tEENKUlT_SL_SM_SN_E_clIS8_S8_S9_S9_EESK_S10_SL_SM_SN_EUlS10_E0_NS1_11comp_targetILNS1_3genE0ELNS1_11target_archE4294967295ELNS1_3gpuE0ELNS1_3repE0EEENS1_38merge_mergepath_config_static_selectorELNS0_4arch9wavefront6targetE1EEEvSM_,comdat
.Lfunc_end26:
	.size	_ZN7rocprim17ROCPRIM_400000_NS6detail17trampoline_kernelINS0_14default_configENS1_38merge_sort_block_merge_config_selectorIlNS0_10empty_typeEEEZZNS1_27merge_sort_block_merge_implIS3_PlPS5_mZN2at6native12_GLOBAL__N_124unique_dim_cuda_templateIhEESt5tupleIJNSA_6TensorESF_SF_EERKSF_lbbbEUlllE_EE10hipError_tT0_T1_T2_jT3_P12ihipStream_tbPNSt15iterator_traitsISL_E10value_typeEPNSR_ISM_E10value_typeEPSN_NS1_7vsmem_tEENKUlT_SL_SM_SN_E_clIS8_S8_S9_S9_EESK_S10_SL_SM_SN_EUlS10_E0_NS1_11comp_targetILNS1_3genE0ELNS1_11target_archE4294967295ELNS1_3gpuE0ELNS1_3repE0EEENS1_38merge_mergepath_config_static_selectorELNS0_4arch9wavefront6targetE1EEEvSM_, .Lfunc_end26-_ZN7rocprim17ROCPRIM_400000_NS6detail17trampoline_kernelINS0_14default_configENS1_38merge_sort_block_merge_config_selectorIlNS0_10empty_typeEEEZZNS1_27merge_sort_block_merge_implIS3_PlPS5_mZN2at6native12_GLOBAL__N_124unique_dim_cuda_templateIhEESt5tupleIJNSA_6TensorESF_SF_EERKSF_lbbbEUlllE_EE10hipError_tT0_T1_T2_jT3_P12ihipStream_tbPNSt15iterator_traitsISL_E10value_typeEPNSR_ISM_E10value_typeEPSN_NS1_7vsmem_tEENKUlT_SL_SM_SN_E_clIS8_S8_S9_S9_EESK_S10_SL_SM_SN_EUlS10_E0_NS1_11comp_targetILNS1_3genE0ELNS1_11target_archE4294967295ELNS1_3gpuE0ELNS1_3repE0EEENS1_38merge_mergepath_config_static_selectorELNS0_4arch9wavefront6targetE1EEEvSM_
                                        ; -- End function
	.set _ZN7rocprim17ROCPRIM_400000_NS6detail17trampoline_kernelINS0_14default_configENS1_38merge_sort_block_merge_config_selectorIlNS0_10empty_typeEEEZZNS1_27merge_sort_block_merge_implIS3_PlPS5_mZN2at6native12_GLOBAL__N_124unique_dim_cuda_templateIhEESt5tupleIJNSA_6TensorESF_SF_EERKSF_lbbbEUlllE_EE10hipError_tT0_T1_T2_jT3_P12ihipStream_tbPNSt15iterator_traitsISL_E10value_typeEPNSR_ISM_E10value_typeEPSN_NS1_7vsmem_tEENKUlT_SL_SM_SN_E_clIS8_S8_S9_S9_EESK_S10_SL_SM_SN_EUlS10_E0_NS1_11comp_targetILNS1_3genE0ELNS1_11target_archE4294967295ELNS1_3gpuE0ELNS1_3repE0EEENS1_38merge_mergepath_config_static_selectorELNS0_4arch9wavefront6targetE1EEEvSM_.num_vgpr, 38
	.set _ZN7rocprim17ROCPRIM_400000_NS6detail17trampoline_kernelINS0_14default_configENS1_38merge_sort_block_merge_config_selectorIlNS0_10empty_typeEEEZZNS1_27merge_sort_block_merge_implIS3_PlPS5_mZN2at6native12_GLOBAL__N_124unique_dim_cuda_templateIhEESt5tupleIJNSA_6TensorESF_SF_EERKSF_lbbbEUlllE_EE10hipError_tT0_T1_T2_jT3_P12ihipStream_tbPNSt15iterator_traitsISL_E10value_typeEPNSR_ISM_E10value_typeEPSN_NS1_7vsmem_tEENKUlT_SL_SM_SN_E_clIS8_S8_S9_S9_EESK_S10_SL_SM_SN_EUlS10_E0_NS1_11comp_targetILNS1_3genE0ELNS1_11target_archE4294967295ELNS1_3gpuE0ELNS1_3repE0EEENS1_38merge_mergepath_config_static_selectorELNS0_4arch9wavefront6targetE1EEEvSM_.num_agpr, 0
	.set _ZN7rocprim17ROCPRIM_400000_NS6detail17trampoline_kernelINS0_14default_configENS1_38merge_sort_block_merge_config_selectorIlNS0_10empty_typeEEEZZNS1_27merge_sort_block_merge_implIS3_PlPS5_mZN2at6native12_GLOBAL__N_124unique_dim_cuda_templateIhEESt5tupleIJNSA_6TensorESF_SF_EERKSF_lbbbEUlllE_EE10hipError_tT0_T1_T2_jT3_P12ihipStream_tbPNSt15iterator_traitsISL_E10value_typeEPNSR_ISM_E10value_typeEPSN_NS1_7vsmem_tEENKUlT_SL_SM_SN_E_clIS8_S8_S9_S9_EESK_S10_SL_SM_SN_EUlS10_E0_NS1_11comp_targetILNS1_3genE0ELNS1_11target_archE4294967295ELNS1_3gpuE0ELNS1_3repE0EEENS1_38merge_mergepath_config_static_selectorELNS0_4arch9wavefront6targetE1EEEvSM_.numbered_sgpr, 52
	.set _ZN7rocprim17ROCPRIM_400000_NS6detail17trampoline_kernelINS0_14default_configENS1_38merge_sort_block_merge_config_selectorIlNS0_10empty_typeEEEZZNS1_27merge_sort_block_merge_implIS3_PlPS5_mZN2at6native12_GLOBAL__N_124unique_dim_cuda_templateIhEESt5tupleIJNSA_6TensorESF_SF_EERKSF_lbbbEUlllE_EE10hipError_tT0_T1_T2_jT3_P12ihipStream_tbPNSt15iterator_traitsISL_E10value_typeEPNSR_ISM_E10value_typeEPSN_NS1_7vsmem_tEENKUlT_SL_SM_SN_E_clIS8_S8_S9_S9_EESK_S10_SL_SM_SN_EUlS10_E0_NS1_11comp_targetILNS1_3genE0ELNS1_11target_archE4294967295ELNS1_3gpuE0ELNS1_3repE0EEENS1_38merge_mergepath_config_static_selectorELNS0_4arch9wavefront6targetE1EEEvSM_.num_named_barrier, 0
	.set _ZN7rocprim17ROCPRIM_400000_NS6detail17trampoline_kernelINS0_14default_configENS1_38merge_sort_block_merge_config_selectorIlNS0_10empty_typeEEEZZNS1_27merge_sort_block_merge_implIS3_PlPS5_mZN2at6native12_GLOBAL__N_124unique_dim_cuda_templateIhEESt5tupleIJNSA_6TensorESF_SF_EERKSF_lbbbEUlllE_EE10hipError_tT0_T1_T2_jT3_P12ihipStream_tbPNSt15iterator_traitsISL_E10value_typeEPNSR_ISM_E10value_typeEPSN_NS1_7vsmem_tEENKUlT_SL_SM_SN_E_clIS8_S8_S9_S9_EESK_S10_SL_SM_SN_EUlS10_E0_NS1_11comp_targetILNS1_3genE0ELNS1_11target_archE4294967295ELNS1_3gpuE0ELNS1_3repE0EEENS1_38merge_mergepath_config_static_selectorELNS0_4arch9wavefront6targetE1EEEvSM_.private_seg_size, 0
	.set _ZN7rocprim17ROCPRIM_400000_NS6detail17trampoline_kernelINS0_14default_configENS1_38merge_sort_block_merge_config_selectorIlNS0_10empty_typeEEEZZNS1_27merge_sort_block_merge_implIS3_PlPS5_mZN2at6native12_GLOBAL__N_124unique_dim_cuda_templateIhEESt5tupleIJNSA_6TensorESF_SF_EERKSF_lbbbEUlllE_EE10hipError_tT0_T1_T2_jT3_P12ihipStream_tbPNSt15iterator_traitsISL_E10value_typeEPNSR_ISM_E10value_typeEPSN_NS1_7vsmem_tEENKUlT_SL_SM_SN_E_clIS8_S8_S9_S9_EESK_S10_SL_SM_SN_EUlS10_E0_NS1_11comp_targetILNS1_3genE0ELNS1_11target_archE4294967295ELNS1_3gpuE0ELNS1_3repE0EEENS1_38merge_mergepath_config_static_selectorELNS0_4arch9wavefront6targetE1EEEvSM_.uses_vcc, 1
	.set _ZN7rocprim17ROCPRIM_400000_NS6detail17trampoline_kernelINS0_14default_configENS1_38merge_sort_block_merge_config_selectorIlNS0_10empty_typeEEEZZNS1_27merge_sort_block_merge_implIS3_PlPS5_mZN2at6native12_GLOBAL__N_124unique_dim_cuda_templateIhEESt5tupleIJNSA_6TensorESF_SF_EERKSF_lbbbEUlllE_EE10hipError_tT0_T1_T2_jT3_P12ihipStream_tbPNSt15iterator_traitsISL_E10value_typeEPNSR_ISM_E10value_typeEPSN_NS1_7vsmem_tEENKUlT_SL_SM_SN_E_clIS8_S8_S9_S9_EESK_S10_SL_SM_SN_EUlS10_E0_NS1_11comp_targetILNS1_3genE0ELNS1_11target_archE4294967295ELNS1_3gpuE0ELNS1_3repE0EEENS1_38merge_mergepath_config_static_selectorELNS0_4arch9wavefront6targetE1EEEvSM_.uses_flat_scratch, 0
	.set _ZN7rocprim17ROCPRIM_400000_NS6detail17trampoline_kernelINS0_14default_configENS1_38merge_sort_block_merge_config_selectorIlNS0_10empty_typeEEEZZNS1_27merge_sort_block_merge_implIS3_PlPS5_mZN2at6native12_GLOBAL__N_124unique_dim_cuda_templateIhEESt5tupleIJNSA_6TensorESF_SF_EERKSF_lbbbEUlllE_EE10hipError_tT0_T1_T2_jT3_P12ihipStream_tbPNSt15iterator_traitsISL_E10value_typeEPNSR_ISM_E10value_typeEPSN_NS1_7vsmem_tEENKUlT_SL_SM_SN_E_clIS8_S8_S9_S9_EESK_S10_SL_SM_SN_EUlS10_E0_NS1_11comp_targetILNS1_3genE0ELNS1_11target_archE4294967295ELNS1_3gpuE0ELNS1_3repE0EEENS1_38merge_mergepath_config_static_selectorELNS0_4arch9wavefront6targetE1EEEvSM_.has_dyn_sized_stack, 0
	.set _ZN7rocprim17ROCPRIM_400000_NS6detail17trampoline_kernelINS0_14default_configENS1_38merge_sort_block_merge_config_selectorIlNS0_10empty_typeEEEZZNS1_27merge_sort_block_merge_implIS3_PlPS5_mZN2at6native12_GLOBAL__N_124unique_dim_cuda_templateIhEESt5tupleIJNSA_6TensorESF_SF_EERKSF_lbbbEUlllE_EE10hipError_tT0_T1_T2_jT3_P12ihipStream_tbPNSt15iterator_traitsISL_E10value_typeEPNSR_ISM_E10value_typeEPSN_NS1_7vsmem_tEENKUlT_SL_SM_SN_E_clIS8_S8_S9_S9_EESK_S10_SL_SM_SN_EUlS10_E0_NS1_11comp_targetILNS1_3genE0ELNS1_11target_archE4294967295ELNS1_3gpuE0ELNS1_3repE0EEENS1_38merge_mergepath_config_static_selectorELNS0_4arch9wavefront6targetE1EEEvSM_.has_recursion, 0
	.set _ZN7rocprim17ROCPRIM_400000_NS6detail17trampoline_kernelINS0_14default_configENS1_38merge_sort_block_merge_config_selectorIlNS0_10empty_typeEEEZZNS1_27merge_sort_block_merge_implIS3_PlPS5_mZN2at6native12_GLOBAL__N_124unique_dim_cuda_templateIhEESt5tupleIJNSA_6TensorESF_SF_EERKSF_lbbbEUlllE_EE10hipError_tT0_T1_T2_jT3_P12ihipStream_tbPNSt15iterator_traitsISL_E10value_typeEPNSR_ISM_E10value_typeEPSN_NS1_7vsmem_tEENKUlT_SL_SM_SN_E_clIS8_S8_S9_S9_EESK_S10_SL_SM_SN_EUlS10_E0_NS1_11comp_targetILNS1_3genE0ELNS1_11target_archE4294967295ELNS1_3gpuE0ELNS1_3repE0EEENS1_38merge_mergepath_config_static_selectorELNS0_4arch9wavefront6targetE1EEEvSM_.has_indirect_call, 0
	.section	.AMDGPU.csdata,"",@progbits
; Kernel info:
; codeLenInByte = 6432
; TotalNumSgprs: 58
; NumVgprs: 38
; NumAgprs: 0
; TotalNumVgprs: 38
; ScratchSize: 0
; MemoryBound: 0
; FloatMode: 240
; IeeeMode: 1
; LDSByteSize: 8448 bytes/workgroup (compile time only)
; SGPRBlocks: 7
; VGPRBlocks: 4
; NumSGPRsForWavesPerEU: 58
; NumVGPRsForWavesPerEU: 38
; AccumOffset: 40
; Occupancy: 8
; WaveLimiterHint : 1
; COMPUTE_PGM_RSRC2:SCRATCH_EN: 0
; COMPUTE_PGM_RSRC2:USER_SGPR: 2
; COMPUTE_PGM_RSRC2:TRAP_HANDLER: 0
; COMPUTE_PGM_RSRC2:TGID_X_EN: 1
; COMPUTE_PGM_RSRC2:TGID_Y_EN: 1
; COMPUTE_PGM_RSRC2:TGID_Z_EN: 1
; COMPUTE_PGM_RSRC2:TIDIG_COMP_CNT: 0
; COMPUTE_PGM_RSRC3_GFX90A:ACCUM_OFFSET: 9
; COMPUTE_PGM_RSRC3_GFX90A:TG_SPLIT: 0
	.section	.text._ZN7rocprim17ROCPRIM_400000_NS6detail17trampoline_kernelINS0_14default_configENS1_38merge_sort_block_merge_config_selectorIlNS0_10empty_typeEEEZZNS1_27merge_sort_block_merge_implIS3_PlPS5_mZN2at6native12_GLOBAL__N_124unique_dim_cuda_templateIhEESt5tupleIJNSA_6TensorESF_SF_EERKSF_lbbbEUlllE_EE10hipError_tT0_T1_T2_jT3_P12ihipStream_tbPNSt15iterator_traitsISL_E10value_typeEPNSR_ISM_E10value_typeEPSN_NS1_7vsmem_tEENKUlT_SL_SM_SN_E_clIS8_S8_S9_S9_EESK_S10_SL_SM_SN_EUlS10_E0_NS1_11comp_targetILNS1_3genE10ELNS1_11target_archE1201ELNS1_3gpuE5ELNS1_3repE0EEENS1_38merge_mergepath_config_static_selectorELNS0_4arch9wavefront6targetE1EEEvSM_,"axG",@progbits,_ZN7rocprim17ROCPRIM_400000_NS6detail17trampoline_kernelINS0_14default_configENS1_38merge_sort_block_merge_config_selectorIlNS0_10empty_typeEEEZZNS1_27merge_sort_block_merge_implIS3_PlPS5_mZN2at6native12_GLOBAL__N_124unique_dim_cuda_templateIhEESt5tupleIJNSA_6TensorESF_SF_EERKSF_lbbbEUlllE_EE10hipError_tT0_T1_T2_jT3_P12ihipStream_tbPNSt15iterator_traitsISL_E10value_typeEPNSR_ISM_E10value_typeEPSN_NS1_7vsmem_tEENKUlT_SL_SM_SN_E_clIS8_S8_S9_S9_EESK_S10_SL_SM_SN_EUlS10_E0_NS1_11comp_targetILNS1_3genE10ELNS1_11target_archE1201ELNS1_3gpuE5ELNS1_3repE0EEENS1_38merge_mergepath_config_static_selectorELNS0_4arch9wavefront6targetE1EEEvSM_,comdat
	.globl	_ZN7rocprim17ROCPRIM_400000_NS6detail17trampoline_kernelINS0_14default_configENS1_38merge_sort_block_merge_config_selectorIlNS0_10empty_typeEEEZZNS1_27merge_sort_block_merge_implIS3_PlPS5_mZN2at6native12_GLOBAL__N_124unique_dim_cuda_templateIhEESt5tupleIJNSA_6TensorESF_SF_EERKSF_lbbbEUlllE_EE10hipError_tT0_T1_T2_jT3_P12ihipStream_tbPNSt15iterator_traitsISL_E10value_typeEPNSR_ISM_E10value_typeEPSN_NS1_7vsmem_tEENKUlT_SL_SM_SN_E_clIS8_S8_S9_S9_EESK_S10_SL_SM_SN_EUlS10_E0_NS1_11comp_targetILNS1_3genE10ELNS1_11target_archE1201ELNS1_3gpuE5ELNS1_3repE0EEENS1_38merge_mergepath_config_static_selectorELNS0_4arch9wavefront6targetE1EEEvSM_ ; -- Begin function _ZN7rocprim17ROCPRIM_400000_NS6detail17trampoline_kernelINS0_14default_configENS1_38merge_sort_block_merge_config_selectorIlNS0_10empty_typeEEEZZNS1_27merge_sort_block_merge_implIS3_PlPS5_mZN2at6native12_GLOBAL__N_124unique_dim_cuda_templateIhEESt5tupleIJNSA_6TensorESF_SF_EERKSF_lbbbEUlllE_EE10hipError_tT0_T1_T2_jT3_P12ihipStream_tbPNSt15iterator_traitsISL_E10value_typeEPNSR_ISM_E10value_typeEPSN_NS1_7vsmem_tEENKUlT_SL_SM_SN_E_clIS8_S8_S9_S9_EESK_S10_SL_SM_SN_EUlS10_E0_NS1_11comp_targetILNS1_3genE10ELNS1_11target_archE1201ELNS1_3gpuE5ELNS1_3repE0EEENS1_38merge_mergepath_config_static_selectorELNS0_4arch9wavefront6targetE1EEEvSM_
	.p2align	8
	.type	_ZN7rocprim17ROCPRIM_400000_NS6detail17trampoline_kernelINS0_14default_configENS1_38merge_sort_block_merge_config_selectorIlNS0_10empty_typeEEEZZNS1_27merge_sort_block_merge_implIS3_PlPS5_mZN2at6native12_GLOBAL__N_124unique_dim_cuda_templateIhEESt5tupleIJNSA_6TensorESF_SF_EERKSF_lbbbEUlllE_EE10hipError_tT0_T1_T2_jT3_P12ihipStream_tbPNSt15iterator_traitsISL_E10value_typeEPNSR_ISM_E10value_typeEPSN_NS1_7vsmem_tEENKUlT_SL_SM_SN_E_clIS8_S8_S9_S9_EESK_S10_SL_SM_SN_EUlS10_E0_NS1_11comp_targetILNS1_3genE10ELNS1_11target_archE1201ELNS1_3gpuE5ELNS1_3repE0EEENS1_38merge_mergepath_config_static_selectorELNS0_4arch9wavefront6targetE1EEEvSM_,@function
_ZN7rocprim17ROCPRIM_400000_NS6detail17trampoline_kernelINS0_14default_configENS1_38merge_sort_block_merge_config_selectorIlNS0_10empty_typeEEEZZNS1_27merge_sort_block_merge_implIS3_PlPS5_mZN2at6native12_GLOBAL__N_124unique_dim_cuda_templateIhEESt5tupleIJNSA_6TensorESF_SF_EERKSF_lbbbEUlllE_EE10hipError_tT0_T1_T2_jT3_P12ihipStream_tbPNSt15iterator_traitsISL_E10value_typeEPNSR_ISM_E10value_typeEPSN_NS1_7vsmem_tEENKUlT_SL_SM_SN_E_clIS8_S8_S9_S9_EESK_S10_SL_SM_SN_EUlS10_E0_NS1_11comp_targetILNS1_3genE10ELNS1_11target_archE1201ELNS1_3gpuE5ELNS1_3repE0EEENS1_38merge_mergepath_config_static_selectorELNS0_4arch9wavefront6targetE1EEEvSM_: ; @_ZN7rocprim17ROCPRIM_400000_NS6detail17trampoline_kernelINS0_14default_configENS1_38merge_sort_block_merge_config_selectorIlNS0_10empty_typeEEEZZNS1_27merge_sort_block_merge_implIS3_PlPS5_mZN2at6native12_GLOBAL__N_124unique_dim_cuda_templateIhEESt5tupleIJNSA_6TensorESF_SF_EERKSF_lbbbEUlllE_EE10hipError_tT0_T1_T2_jT3_P12ihipStream_tbPNSt15iterator_traitsISL_E10value_typeEPNSR_ISM_E10value_typeEPSN_NS1_7vsmem_tEENKUlT_SL_SM_SN_E_clIS8_S8_S9_S9_EESK_S10_SL_SM_SN_EUlS10_E0_NS1_11comp_targetILNS1_3genE10ELNS1_11target_archE1201ELNS1_3gpuE5ELNS1_3repE0EEENS1_38merge_mergepath_config_static_selectorELNS0_4arch9wavefront6targetE1EEEvSM_
; %bb.0:
	.section	.rodata,"a",@progbits
	.p2align	6, 0x0
	.amdhsa_kernel _ZN7rocprim17ROCPRIM_400000_NS6detail17trampoline_kernelINS0_14default_configENS1_38merge_sort_block_merge_config_selectorIlNS0_10empty_typeEEEZZNS1_27merge_sort_block_merge_implIS3_PlPS5_mZN2at6native12_GLOBAL__N_124unique_dim_cuda_templateIhEESt5tupleIJNSA_6TensorESF_SF_EERKSF_lbbbEUlllE_EE10hipError_tT0_T1_T2_jT3_P12ihipStream_tbPNSt15iterator_traitsISL_E10value_typeEPNSR_ISM_E10value_typeEPSN_NS1_7vsmem_tEENKUlT_SL_SM_SN_E_clIS8_S8_S9_S9_EESK_S10_SL_SM_SN_EUlS10_E0_NS1_11comp_targetILNS1_3genE10ELNS1_11target_archE1201ELNS1_3gpuE5ELNS1_3repE0EEENS1_38merge_mergepath_config_static_selectorELNS0_4arch9wavefront6targetE1EEEvSM_
		.amdhsa_group_segment_fixed_size 0
		.amdhsa_private_segment_fixed_size 0
		.amdhsa_kernarg_size 88
		.amdhsa_user_sgpr_count 2
		.amdhsa_user_sgpr_dispatch_ptr 0
		.amdhsa_user_sgpr_queue_ptr 0
		.amdhsa_user_sgpr_kernarg_segment_ptr 1
		.amdhsa_user_sgpr_dispatch_id 0
		.amdhsa_user_sgpr_kernarg_preload_length 0
		.amdhsa_user_sgpr_kernarg_preload_offset 0
		.amdhsa_user_sgpr_private_segment_size 0
		.amdhsa_uses_dynamic_stack 0
		.amdhsa_enable_private_segment 0
		.amdhsa_system_sgpr_workgroup_id_x 1
		.amdhsa_system_sgpr_workgroup_id_y 0
		.amdhsa_system_sgpr_workgroup_id_z 0
		.amdhsa_system_sgpr_workgroup_info 0
		.amdhsa_system_vgpr_workitem_id 0
		.amdhsa_next_free_vgpr 1
		.amdhsa_next_free_sgpr 0
		.amdhsa_accum_offset 4
		.amdhsa_reserve_vcc 0
		.amdhsa_float_round_mode_32 0
		.amdhsa_float_round_mode_16_64 0
		.amdhsa_float_denorm_mode_32 3
		.amdhsa_float_denorm_mode_16_64 3
		.amdhsa_dx10_clamp 1
		.amdhsa_ieee_mode 1
		.amdhsa_fp16_overflow 0
		.amdhsa_tg_split 0
		.amdhsa_exception_fp_ieee_invalid_op 0
		.amdhsa_exception_fp_denorm_src 0
		.amdhsa_exception_fp_ieee_div_zero 0
		.amdhsa_exception_fp_ieee_overflow 0
		.amdhsa_exception_fp_ieee_underflow 0
		.amdhsa_exception_fp_ieee_inexact 0
		.amdhsa_exception_int_div_zero 0
	.end_amdhsa_kernel
	.section	.text._ZN7rocprim17ROCPRIM_400000_NS6detail17trampoline_kernelINS0_14default_configENS1_38merge_sort_block_merge_config_selectorIlNS0_10empty_typeEEEZZNS1_27merge_sort_block_merge_implIS3_PlPS5_mZN2at6native12_GLOBAL__N_124unique_dim_cuda_templateIhEESt5tupleIJNSA_6TensorESF_SF_EERKSF_lbbbEUlllE_EE10hipError_tT0_T1_T2_jT3_P12ihipStream_tbPNSt15iterator_traitsISL_E10value_typeEPNSR_ISM_E10value_typeEPSN_NS1_7vsmem_tEENKUlT_SL_SM_SN_E_clIS8_S8_S9_S9_EESK_S10_SL_SM_SN_EUlS10_E0_NS1_11comp_targetILNS1_3genE10ELNS1_11target_archE1201ELNS1_3gpuE5ELNS1_3repE0EEENS1_38merge_mergepath_config_static_selectorELNS0_4arch9wavefront6targetE1EEEvSM_,"axG",@progbits,_ZN7rocprim17ROCPRIM_400000_NS6detail17trampoline_kernelINS0_14default_configENS1_38merge_sort_block_merge_config_selectorIlNS0_10empty_typeEEEZZNS1_27merge_sort_block_merge_implIS3_PlPS5_mZN2at6native12_GLOBAL__N_124unique_dim_cuda_templateIhEESt5tupleIJNSA_6TensorESF_SF_EERKSF_lbbbEUlllE_EE10hipError_tT0_T1_T2_jT3_P12ihipStream_tbPNSt15iterator_traitsISL_E10value_typeEPNSR_ISM_E10value_typeEPSN_NS1_7vsmem_tEENKUlT_SL_SM_SN_E_clIS8_S8_S9_S9_EESK_S10_SL_SM_SN_EUlS10_E0_NS1_11comp_targetILNS1_3genE10ELNS1_11target_archE1201ELNS1_3gpuE5ELNS1_3repE0EEENS1_38merge_mergepath_config_static_selectorELNS0_4arch9wavefront6targetE1EEEvSM_,comdat
.Lfunc_end27:
	.size	_ZN7rocprim17ROCPRIM_400000_NS6detail17trampoline_kernelINS0_14default_configENS1_38merge_sort_block_merge_config_selectorIlNS0_10empty_typeEEEZZNS1_27merge_sort_block_merge_implIS3_PlPS5_mZN2at6native12_GLOBAL__N_124unique_dim_cuda_templateIhEESt5tupleIJNSA_6TensorESF_SF_EERKSF_lbbbEUlllE_EE10hipError_tT0_T1_T2_jT3_P12ihipStream_tbPNSt15iterator_traitsISL_E10value_typeEPNSR_ISM_E10value_typeEPSN_NS1_7vsmem_tEENKUlT_SL_SM_SN_E_clIS8_S8_S9_S9_EESK_S10_SL_SM_SN_EUlS10_E0_NS1_11comp_targetILNS1_3genE10ELNS1_11target_archE1201ELNS1_3gpuE5ELNS1_3repE0EEENS1_38merge_mergepath_config_static_selectorELNS0_4arch9wavefront6targetE1EEEvSM_, .Lfunc_end27-_ZN7rocprim17ROCPRIM_400000_NS6detail17trampoline_kernelINS0_14default_configENS1_38merge_sort_block_merge_config_selectorIlNS0_10empty_typeEEEZZNS1_27merge_sort_block_merge_implIS3_PlPS5_mZN2at6native12_GLOBAL__N_124unique_dim_cuda_templateIhEESt5tupleIJNSA_6TensorESF_SF_EERKSF_lbbbEUlllE_EE10hipError_tT0_T1_T2_jT3_P12ihipStream_tbPNSt15iterator_traitsISL_E10value_typeEPNSR_ISM_E10value_typeEPSN_NS1_7vsmem_tEENKUlT_SL_SM_SN_E_clIS8_S8_S9_S9_EESK_S10_SL_SM_SN_EUlS10_E0_NS1_11comp_targetILNS1_3genE10ELNS1_11target_archE1201ELNS1_3gpuE5ELNS1_3repE0EEENS1_38merge_mergepath_config_static_selectorELNS0_4arch9wavefront6targetE1EEEvSM_
                                        ; -- End function
	.set _ZN7rocprim17ROCPRIM_400000_NS6detail17trampoline_kernelINS0_14default_configENS1_38merge_sort_block_merge_config_selectorIlNS0_10empty_typeEEEZZNS1_27merge_sort_block_merge_implIS3_PlPS5_mZN2at6native12_GLOBAL__N_124unique_dim_cuda_templateIhEESt5tupleIJNSA_6TensorESF_SF_EERKSF_lbbbEUlllE_EE10hipError_tT0_T1_T2_jT3_P12ihipStream_tbPNSt15iterator_traitsISL_E10value_typeEPNSR_ISM_E10value_typeEPSN_NS1_7vsmem_tEENKUlT_SL_SM_SN_E_clIS8_S8_S9_S9_EESK_S10_SL_SM_SN_EUlS10_E0_NS1_11comp_targetILNS1_3genE10ELNS1_11target_archE1201ELNS1_3gpuE5ELNS1_3repE0EEENS1_38merge_mergepath_config_static_selectorELNS0_4arch9wavefront6targetE1EEEvSM_.num_vgpr, 0
	.set _ZN7rocprim17ROCPRIM_400000_NS6detail17trampoline_kernelINS0_14default_configENS1_38merge_sort_block_merge_config_selectorIlNS0_10empty_typeEEEZZNS1_27merge_sort_block_merge_implIS3_PlPS5_mZN2at6native12_GLOBAL__N_124unique_dim_cuda_templateIhEESt5tupleIJNSA_6TensorESF_SF_EERKSF_lbbbEUlllE_EE10hipError_tT0_T1_T2_jT3_P12ihipStream_tbPNSt15iterator_traitsISL_E10value_typeEPNSR_ISM_E10value_typeEPSN_NS1_7vsmem_tEENKUlT_SL_SM_SN_E_clIS8_S8_S9_S9_EESK_S10_SL_SM_SN_EUlS10_E0_NS1_11comp_targetILNS1_3genE10ELNS1_11target_archE1201ELNS1_3gpuE5ELNS1_3repE0EEENS1_38merge_mergepath_config_static_selectorELNS0_4arch9wavefront6targetE1EEEvSM_.num_agpr, 0
	.set _ZN7rocprim17ROCPRIM_400000_NS6detail17trampoline_kernelINS0_14default_configENS1_38merge_sort_block_merge_config_selectorIlNS0_10empty_typeEEEZZNS1_27merge_sort_block_merge_implIS3_PlPS5_mZN2at6native12_GLOBAL__N_124unique_dim_cuda_templateIhEESt5tupleIJNSA_6TensorESF_SF_EERKSF_lbbbEUlllE_EE10hipError_tT0_T1_T2_jT3_P12ihipStream_tbPNSt15iterator_traitsISL_E10value_typeEPNSR_ISM_E10value_typeEPSN_NS1_7vsmem_tEENKUlT_SL_SM_SN_E_clIS8_S8_S9_S9_EESK_S10_SL_SM_SN_EUlS10_E0_NS1_11comp_targetILNS1_3genE10ELNS1_11target_archE1201ELNS1_3gpuE5ELNS1_3repE0EEENS1_38merge_mergepath_config_static_selectorELNS0_4arch9wavefront6targetE1EEEvSM_.numbered_sgpr, 0
	.set _ZN7rocprim17ROCPRIM_400000_NS6detail17trampoline_kernelINS0_14default_configENS1_38merge_sort_block_merge_config_selectorIlNS0_10empty_typeEEEZZNS1_27merge_sort_block_merge_implIS3_PlPS5_mZN2at6native12_GLOBAL__N_124unique_dim_cuda_templateIhEESt5tupleIJNSA_6TensorESF_SF_EERKSF_lbbbEUlllE_EE10hipError_tT0_T1_T2_jT3_P12ihipStream_tbPNSt15iterator_traitsISL_E10value_typeEPNSR_ISM_E10value_typeEPSN_NS1_7vsmem_tEENKUlT_SL_SM_SN_E_clIS8_S8_S9_S9_EESK_S10_SL_SM_SN_EUlS10_E0_NS1_11comp_targetILNS1_3genE10ELNS1_11target_archE1201ELNS1_3gpuE5ELNS1_3repE0EEENS1_38merge_mergepath_config_static_selectorELNS0_4arch9wavefront6targetE1EEEvSM_.num_named_barrier, 0
	.set _ZN7rocprim17ROCPRIM_400000_NS6detail17trampoline_kernelINS0_14default_configENS1_38merge_sort_block_merge_config_selectorIlNS0_10empty_typeEEEZZNS1_27merge_sort_block_merge_implIS3_PlPS5_mZN2at6native12_GLOBAL__N_124unique_dim_cuda_templateIhEESt5tupleIJNSA_6TensorESF_SF_EERKSF_lbbbEUlllE_EE10hipError_tT0_T1_T2_jT3_P12ihipStream_tbPNSt15iterator_traitsISL_E10value_typeEPNSR_ISM_E10value_typeEPSN_NS1_7vsmem_tEENKUlT_SL_SM_SN_E_clIS8_S8_S9_S9_EESK_S10_SL_SM_SN_EUlS10_E0_NS1_11comp_targetILNS1_3genE10ELNS1_11target_archE1201ELNS1_3gpuE5ELNS1_3repE0EEENS1_38merge_mergepath_config_static_selectorELNS0_4arch9wavefront6targetE1EEEvSM_.private_seg_size, 0
	.set _ZN7rocprim17ROCPRIM_400000_NS6detail17trampoline_kernelINS0_14default_configENS1_38merge_sort_block_merge_config_selectorIlNS0_10empty_typeEEEZZNS1_27merge_sort_block_merge_implIS3_PlPS5_mZN2at6native12_GLOBAL__N_124unique_dim_cuda_templateIhEESt5tupleIJNSA_6TensorESF_SF_EERKSF_lbbbEUlllE_EE10hipError_tT0_T1_T2_jT3_P12ihipStream_tbPNSt15iterator_traitsISL_E10value_typeEPNSR_ISM_E10value_typeEPSN_NS1_7vsmem_tEENKUlT_SL_SM_SN_E_clIS8_S8_S9_S9_EESK_S10_SL_SM_SN_EUlS10_E0_NS1_11comp_targetILNS1_3genE10ELNS1_11target_archE1201ELNS1_3gpuE5ELNS1_3repE0EEENS1_38merge_mergepath_config_static_selectorELNS0_4arch9wavefront6targetE1EEEvSM_.uses_vcc, 0
	.set _ZN7rocprim17ROCPRIM_400000_NS6detail17trampoline_kernelINS0_14default_configENS1_38merge_sort_block_merge_config_selectorIlNS0_10empty_typeEEEZZNS1_27merge_sort_block_merge_implIS3_PlPS5_mZN2at6native12_GLOBAL__N_124unique_dim_cuda_templateIhEESt5tupleIJNSA_6TensorESF_SF_EERKSF_lbbbEUlllE_EE10hipError_tT0_T1_T2_jT3_P12ihipStream_tbPNSt15iterator_traitsISL_E10value_typeEPNSR_ISM_E10value_typeEPSN_NS1_7vsmem_tEENKUlT_SL_SM_SN_E_clIS8_S8_S9_S9_EESK_S10_SL_SM_SN_EUlS10_E0_NS1_11comp_targetILNS1_3genE10ELNS1_11target_archE1201ELNS1_3gpuE5ELNS1_3repE0EEENS1_38merge_mergepath_config_static_selectorELNS0_4arch9wavefront6targetE1EEEvSM_.uses_flat_scratch, 0
	.set _ZN7rocprim17ROCPRIM_400000_NS6detail17trampoline_kernelINS0_14default_configENS1_38merge_sort_block_merge_config_selectorIlNS0_10empty_typeEEEZZNS1_27merge_sort_block_merge_implIS3_PlPS5_mZN2at6native12_GLOBAL__N_124unique_dim_cuda_templateIhEESt5tupleIJNSA_6TensorESF_SF_EERKSF_lbbbEUlllE_EE10hipError_tT0_T1_T2_jT3_P12ihipStream_tbPNSt15iterator_traitsISL_E10value_typeEPNSR_ISM_E10value_typeEPSN_NS1_7vsmem_tEENKUlT_SL_SM_SN_E_clIS8_S8_S9_S9_EESK_S10_SL_SM_SN_EUlS10_E0_NS1_11comp_targetILNS1_3genE10ELNS1_11target_archE1201ELNS1_3gpuE5ELNS1_3repE0EEENS1_38merge_mergepath_config_static_selectorELNS0_4arch9wavefront6targetE1EEEvSM_.has_dyn_sized_stack, 0
	.set _ZN7rocprim17ROCPRIM_400000_NS6detail17trampoline_kernelINS0_14default_configENS1_38merge_sort_block_merge_config_selectorIlNS0_10empty_typeEEEZZNS1_27merge_sort_block_merge_implIS3_PlPS5_mZN2at6native12_GLOBAL__N_124unique_dim_cuda_templateIhEESt5tupleIJNSA_6TensorESF_SF_EERKSF_lbbbEUlllE_EE10hipError_tT0_T1_T2_jT3_P12ihipStream_tbPNSt15iterator_traitsISL_E10value_typeEPNSR_ISM_E10value_typeEPSN_NS1_7vsmem_tEENKUlT_SL_SM_SN_E_clIS8_S8_S9_S9_EESK_S10_SL_SM_SN_EUlS10_E0_NS1_11comp_targetILNS1_3genE10ELNS1_11target_archE1201ELNS1_3gpuE5ELNS1_3repE0EEENS1_38merge_mergepath_config_static_selectorELNS0_4arch9wavefront6targetE1EEEvSM_.has_recursion, 0
	.set _ZN7rocprim17ROCPRIM_400000_NS6detail17trampoline_kernelINS0_14default_configENS1_38merge_sort_block_merge_config_selectorIlNS0_10empty_typeEEEZZNS1_27merge_sort_block_merge_implIS3_PlPS5_mZN2at6native12_GLOBAL__N_124unique_dim_cuda_templateIhEESt5tupleIJNSA_6TensorESF_SF_EERKSF_lbbbEUlllE_EE10hipError_tT0_T1_T2_jT3_P12ihipStream_tbPNSt15iterator_traitsISL_E10value_typeEPNSR_ISM_E10value_typeEPSN_NS1_7vsmem_tEENKUlT_SL_SM_SN_E_clIS8_S8_S9_S9_EESK_S10_SL_SM_SN_EUlS10_E0_NS1_11comp_targetILNS1_3genE10ELNS1_11target_archE1201ELNS1_3gpuE5ELNS1_3repE0EEENS1_38merge_mergepath_config_static_selectorELNS0_4arch9wavefront6targetE1EEEvSM_.has_indirect_call, 0
	.section	.AMDGPU.csdata,"",@progbits
; Kernel info:
; codeLenInByte = 0
; TotalNumSgprs: 6
; NumVgprs: 0
; NumAgprs: 0
; TotalNumVgprs: 0
; ScratchSize: 0
; MemoryBound: 0
; FloatMode: 240
; IeeeMode: 1
; LDSByteSize: 0 bytes/workgroup (compile time only)
; SGPRBlocks: 0
; VGPRBlocks: 0
; NumSGPRsForWavesPerEU: 6
; NumVGPRsForWavesPerEU: 1
; AccumOffset: 4
; Occupancy: 8
; WaveLimiterHint : 0
; COMPUTE_PGM_RSRC2:SCRATCH_EN: 0
; COMPUTE_PGM_RSRC2:USER_SGPR: 2
; COMPUTE_PGM_RSRC2:TRAP_HANDLER: 0
; COMPUTE_PGM_RSRC2:TGID_X_EN: 1
; COMPUTE_PGM_RSRC2:TGID_Y_EN: 0
; COMPUTE_PGM_RSRC2:TGID_Z_EN: 0
; COMPUTE_PGM_RSRC2:TIDIG_COMP_CNT: 0
; COMPUTE_PGM_RSRC3_GFX90A:ACCUM_OFFSET: 0
; COMPUTE_PGM_RSRC3_GFX90A:TG_SPLIT: 0
	.section	.text._ZN7rocprim17ROCPRIM_400000_NS6detail17trampoline_kernelINS0_14default_configENS1_38merge_sort_block_merge_config_selectorIlNS0_10empty_typeEEEZZNS1_27merge_sort_block_merge_implIS3_PlPS5_mZN2at6native12_GLOBAL__N_124unique_dim_cuda_templateIhEESt5tupleIJNSA_6TensorESF_SF_EERKSF_lbbbEUlllE_EE10hipError_tT0_T1_T2_jT3_P12ihipStream_tbPNSt15iterator_traitsISL_E10value_typeEPNSR_ISM_E10value_typeEPSN_NS1_7vsmem_tEENKUlT_SL_SM_SN_E_clIS8_S8_S9_S9_EESK_S10_SL_SM_SN_EUlS10_E0_NS1_11comp_targetILNS1_3genE5ELNS1_11target_archE942ELNS1_3gpuE9ELNS1_3repE0EEENS1_38merge_mergepath_config_static_selectorELNS0_4arch9wavefront6targetE1EEEvSM_,"axG",@progbits,_ZN7rocprim17ROCPRIM_400000_NS6detail17trampoline_kernelINS0_14default_configENS1_38merge_sort_block_merge_config_selectorIlNS0_10empty_typeEEEZZNS1_27merge_sort_block_merge_implIS3_PlPS5_mZN2at6native12_GLOBAL__N_124unique_dim_cuda_templateIhEESt5tupleIJNSA_6TensorESF_SF_EERKSF_lbbbEUlllE_EE10hipError_tT0_T1_T2_jT3_P12ihipStream_tbPNSt15iterator_traitsISL_E10value_typeEPNSR_ISM_E10value_typeEPSN_NS1_7vsmem_tEENKUlT_SL_SM_SN_E_clIS8_S8_S9_S9_EESK_S10_SL_SM_SN_EUlS10_E0_NS1_11comp_targetILNS1_3genE5ELNS1_11target_archE942ELNS1_3gpuE9ELNS1_3repE0EEENS1_38merge_mergepath_config_static_selectorELNS0_4arch9wavefront6targetE1EEEvSM_,comdat
	.globl	_ZN7rocprim17ROCPRIM_400000_NS6detail17trampoline_kernelINS0_14default_configENS1_38merge_sort_block_merge_config_selectorIlNS0_10empty_typeEEEZZNS1_27merge_sort_block_merge_implIS3_PlPS5_mZN2at6native12_GLOBAL__N_124unique_dim_cuda_templateIhEESt5tupleIJNSA_6TensorESF_SF_EERKSF_lbbbEUlllE_EE10hipError_tT0_T1_T2_jT3_P12ihipStream_tbPNSt15iterator_traitsISL_E10value_typeEPNSR_ISM_E10value_typeEPSN_NS1_7vsmem_tEENKUlT_SL_SM_SN_E_clIS8_S8_S9_S9_EESK_S10_SL_SM_SN_EUlS10_E0_NS1_11comp_targetILNS1_3genE5ELNS1_11target_archE942ELNS1_3gpuE9ELNS1_3repE0EEENS1_38merge_mergepath_config_static_selectorELNS0_4arch9wavefront6targetE1EEEvSM_ ; -- Begin function _ZN7rocprim17ROCPRIM_400000_NS6detail17trampoline_kernelINS0_14default_configENS1_38merge_sort_block_merge_config_selectorIlNS0_10empty_typeEEEZZNS1_27merge_sort_block_merge_implIS3_PlPS5_mZN2at6native12_GLOBAL__N_124unique_dim_cuda_templateIhEESt5tupleIJNSA_6TensorESF_SF_EERKSF_lbbbEUlllE_EE10hipError_tT0_T1_T2_jT3_P12ihipStream_tbPNSt15iterator_traitsISL_E10value_typeEPNSR_ISM_E10value_typeEPSN_NS1_7vsmem_tEENKUlT_SL_SM_SN_E_clIS8_S8_S9_S9_EESK_S10_SL_SM_SN_EUlS10_E0_NS1_11comp_targetILNS1_3genE5ELNS1_11target_archE942ELNS1_3gpuE9ELNS1_3repE0EEENS1_38merge_mergepath_config_static_selectorELNS0_4arch9wavefront6targetE1EEEvSM_
	.p2align	8
	.type	_ZN7rocprim17ROCPRIM_400000_NS6detail17trampoline_kernelINS0_14default_configENS1_38merge_sort_block_merge_config_selectorIlNS0_10empty_typeEEEZZNS1_27merge_sort_block_merge_implIS3_PlPS5_mZN2at6native12_GLOBAL__N_124unique_dim_cuda_templateIhEESt5tupleIJNSA_6TensorESF_SF_EERKSF_lbbbEUlllE_EE10hipError_tT0_T1_T2_jT3_P12ihipStream_tbPNSt15iterator_traitsISL_E10value_typeEPNSR_ISM_E10value_typeEPSN_NS1_7vsmem_tEENKUlT_SL_SM_SN_E_clIS8_S8_S9_S9_EESK_S10_SL_SM_SN_EUlS10_E0_NS1_11comp_targetILNS1_3genE5ELNS1_11target_archE942ELNS1_3gpuE9ELNS1_3repE0EEENS1_38merge_mergepath_config_static_selectorELNS0_4arch9wavefront6targetE1EEEvSM_,@function
_ZN7rocprim17ROCPRIM_400000_NS6detail17trampoline_kernelINS0_14default_configENS1_38merge_sort_block_merge_config_selectorIlNS0_10empty_typeEEEZZNS1_27merge_sort_block_merge_implIS3_PlPS5_mZN2at6native12_GLOBAL__N_124unique_dim_cuda_templateIhEESt5tupleIJNSA_6TensorESF_SF_EERKSF_lbbbEUlllE_EE10hipError_tT0_T1_T2_jT3_P12ihipStream_tbPNSt15iterator_traitsISL_E10value_typeEPNSR_ISM_E10value_typeEPSN_NS1_7vsmem_tEENKUlT_SL_SM_SN_E_clIS8_S8_S9_S9_EESK_S10_SL_SM_SN_EUlS10_E0_NS1_11comp_targetILNS1_3genE5ELNS1_11target_archE942ELNS1_3gpuE9ELNS1_3repE0EEENS1_38merge_mergepath_config_static_selectorELNS0_4arch9wavefront6targetE1EEEvSM_: ; @_ZN7rocprim17ROCPRIM_400000_NS6detail17trampoline_kernelINS0_14default_configENS1_38merge_sort_block_merge_config_selectorIlNS0_10empty_typeEEEZZNS1_27merge_sort_block_merge_implIS3_PlPS5_mZN2at6native12_GLOBAL__N_124unique_dim_cuda_templateIhEESt5tupleIJNSA_6TensorESF_SF_EERKSF_lbbbEUlllE_EE10hipError_tT0_T1_T2_jT3_P12ihipStream_tbPNSt15iterator_traitsISL_E10value_typeEPNSR_ISM_E10value_typeEPSN_NS1_7vsmem_tEENKUlT_SL_SM_SN_E_clIS8_S8_S9_S9_EESK_S10_SL_SM_SN_EUlS10_E0_NS1_11comp_targetILNS1_3genE5ELNS1_11target_archE942ELNS1_3gpuE9ELNS1_3repE0EEENS1_38merge_mergepath_config_static_selectorELNS0_4arch9wavefront6targetE1EEEvSM_
; %bb.0:
	.section	.rodata,"a",@progbits
	.p2align	6, 0x0
	.amdhsa_kernel _ZN7rocprim17ROCPRIM_400000_NS6detail17trampoline_kernelINS0_14default_configENS1_38merge_sort_block_merge_config_selectorIlNS0_10empty_typeEEEZZNS1_27merge_sort_block_merge_implIS3_PlPS5_mZN2at6native12_GLOBAL__N_124unique_dim_cuda_templateIhEESt5tupleIJNSA_6TensorESF_SF_EERKSF_lbbbEUlllE_EE10hipError_tT0_T1_T2_jT3_P12ihipStream_tbPNSt15iterator_traitsISL_E10value_typeEPNSR_ISM_E10value_typeEPSN_NS1_7vsmem_tEENKUlT_SL_SM_SN_E_clIS8_S8_S9_S9_EESK_S10_SL_SM_SN_EUlS10_E0_NS1_11comp_targetILNS1_3genE5ELNS1_11target_archE942ELNS1_3gpuE9ELNS1_3repE0EEENS1_38merge_mergepath_config_static_selectorELNS0_4arch9wavefront6targetE1EEEvSM_
		.amdhsa_group_segment_fixed_size 0
		.amdhsa_private_segment_fixed_size 0
		.amdhsa_kernarg_size 88
		.amdhsa_user_sgpr_count 2
		.amdhsa_user_sgpr_dispatch_ptr 0
		.amdhsa_user_sgpr_queue_ptr 0
		.amdhsa_user_sgpr_kernarg_segment_ptr 1
		.amdhsa_user_sgpr_dispatch_id 0
		.amdhsa_user_sgpr_kernarg_preload_length 0
		.amdhsa_user_sgpr_kernarg_preload_offset 0
		.amdhsa_user_sgpr_private_segment_size 0
		.amdhsa_uses_dynamic_stack 0
		.amdhsa_enable_private_segment 0
		.amdhsa_system_sgpr_workgroup_id_x 1
		.amdhsa_system_sgpr_workgroup_id_y 0
		.amdhsa_system_sgpr_workgroup_id_z 0
		.amdhsa_system_sgpr_workgroup_info 0
		.amdhsa_system_vgpr_workitem_id 0
		.amdhsa_next_free_vgpr 1
		.amdhsa_next_free_sgpr 0
		.amdhsa_accum_offset 4
		.amdhsa_reserve_vcc 0
		.amdhsa_float_round_mode_32 0
		.amdhsa_float_round_mode_16_64 0
		.amdhsa_float_denorm_mode_32 3
		.amdhsa_float_denorm_mode_16_64 3
		.amdhsa_dx10_clamp 1
		.amdhsa_ieee_mode 1
		.amdhsa_fp16_overflow 0
		.amdhsa_tg_split 0
		.amdhsa_exception_fp_ieee_invalid_op 0
		.amdhsa_exception_fp_denorm_src 0
		.amdhsa_exception_fp_ieee_div_zero 0
		.amdhsa_exception_fp_ieee_overflow 0
		.amdhsa_exception_fp_ieee_underflow 0
		.amdhsa_exception_fp_ieee_inexact 0
		.amdhsa_exception_int_div_zero 0
	.end_amdhsa_kernel
	.section	.text._ZN7rocprim17ROCPRIM_400000_NS6detail17trampoline_kernelINS0_14default_configENS1_38merge_sort_block_merge_config_selectorIlNS0_10empty_typeEEEZZNS1_27merge_sort_block_merge_implIS3_PlPS5_mZN2at6native12_GLOBAL__N_124unique_dim_cuda_templateIhEESt5tupleIJNSA_6TensorESF_SF_EERKSF_lbbbEUlllE_EE10hipError_tT0_T1_T2_jT3_P12ihipStream_tbPNSt15iterator_traitsISL_E10value_typeEPNSR_ISM_E10value_typeEPSN_NS1_7vsmem_tEENKUlT_SL_SM_SN_E_clIS8_S8_S9_S9_EESK_S10_SL_SM_SN_EUlS10_E0_NS1_11comp_targetILNS1_3genE5ELNS1_11target_archE942ELNS1_3gpuE9ELNS1_3repE0EEENS1_38merge_mergepath_config_static_selectorELNS0_4arch9wavefront6targetE1EEEvSM_,"axG",@progbits,_ZN7rocprim17ROCPRIM_400000_NS6detail17trampoline_kernelINS0_14default_configENS1_38merge_sort_block_merge_config_selectorIlNS0_10empty_typeEEEZZNS1_27merge_sort_block_merge_implIS3_PlPS5_mZN2at6native12_GLOBAL__N_124unique_dim_cuda_templateIhEESt5tupleIJNSA_6TensorESF_SF_EERKSF_lbbbEUlllE_EE10hipError_tT0_T1_T2_jT3_P12ihipStream_tbPNSt15iterator_traitsISL_E10value_typeEPNSR_ISM_E10value_typeEPSN_NS1_7vsmem_tEENKUlT_SL_SM_SN_E_clIS8_S8_S9_S9_EESK_S10_SL_SM_SN_EUlS10_E0_NS1_11comp_targetILNS1_3genE5ELNS1_11target_archE942ELNS1_3gpuE9ELNS1_3repE0EEENS1_38merge_mergepath_config_static_selectorELNS0_4arch9wavefront6targetE1EEEvSM_,comdat
.Lfunc_end28:
	.size	_ZN7rocprim17ROCPRIM_400000_NS6detail17trampoline_kernelINS0_14default_configENS1_38merge_sort_block_merge_config_selectorIlNS0_10empty_typeEEEZZNS1_27merge_sort_block_merge_implIS3_PlPS5_mZN2at6native12_GLOBAL__N_124unique_dim_cuda_templateIhEESt5tupleIJNSA_6TensorESF_SF_EERKSF_lbbbEUlllE_EE10hipError_tT0_T1_T2_jT3_P12ihipStream_tbPNSt15iterator_traitsISL_E10value_typeEPNSR_ISM_E10value_typeEPSN_NS1_7vsmem_tEENKUlT_SL_SM_SN_E_clIS8_S8_S9_S9_EESK_S10_SL_SM_SN_EUlS10_E0_NS1_11comp_targetILNS1_3genE5ELNS1_11target_archE942ELNS1_3gpuE9ELNS1_3repE0EEENS1_38merge_mergepath_config_static_selectorELNS0_4arch9wavefront6targetE1EEEvSM_, .Lfunc_end28-_ZN7rocprim17ROCPRIM_400000_NS6detail17trampoline_kernelINS0_14default_configENS1_38merge_sort_block_merge_config_selectorIlNS0_10empty_typeEEEZZNS1_27merge_sort_block_merge_implIS3_PlPS5_mZN2at6native12_GLOBAL__N_124unique_dim_cuda_templateIhEESt5tupleIJNSA_6TensorESF_SF_EERKSF_lbbbEUlllE_EE10hipError_tT0_T1_T2_jT3_P12ihipStream_tbPNSt15iterator_traitsISL_E10value_typeEPNSR_ISM_E10value_typeEPSN_NS1_7vsmem_tEENKUlT_SL_SM_SN_E_clIS8_S8_S9_S9_EESK_S10_SL_SM_SN_EUlS10_E0_NS1_11comp_targetILNS1_3genE5ELNS1_11target_archE942ELNS1_3gpuE9ELNS1_3repE0EEENS1_38merge_mergepath_config_static_selectorELNS0_4arch9wavefront6targetE1EEEvSM_
                                        ; -- End function
	.set _ZN7rocprim17ROCPRIM_400000_NS6detail17trampoline_kernelINS0_14default_configENS1_38merge_sort_block_merge_config_selectorIlNS0_10empty_typeEEEZZNS1_27merge_sort_block_merge_implIS3_PlPS5_mZN2at6native12_GLOBAL__N_124unique_dim_cuda_templateIhEESt5tupleIJNSA_6TensorESF_SF_EERKSF_lbbbEUlllE_EE10hipError_tT0_T1_T2_jT3_P12ihipStream_tbPNSt15iterator_traitsISL_E10value_typeEPNSR_ISM_E10value_typeEPSN_NS1_7vsmem_tEENKUlT_SL_SM_SN_E_clIS8_S8_S9_S9_EESK_S10_SL_SM_SN_EUlS10_E0_NS1_11comp_targetILNS1_3genE5ELNS1_11target_archE942ELNS1_3gpuE9ELNS1_3repE0EEENS1_38merge_mergepath_config_static_selectorELNS0_4arch9wavefront6targetE1EEEvSM_.num_vgpr, 0
	.set _ZN7rocprim17ROCPRIM_400000_NS6detail17trampoline_kernelINS0_14default_configENS1_38merge_sort_block_merge_config_selectorIlNS0_10empty_typeEEEZZNS1_27merge_sort_block_merge_implIS3_PlPS5_mZN2at6native12_GLOBAL__N_124unique_dim_cuda_templateIhEESt5tupleIJNSA_6TensorESF_SF_EERKSF_lbbbEUlllE_EE10hipError_tT0_T1_T2_jT3_P12ihipStream_tbPNSt15iterator_traitsISL_E10value_typeEPNSR_ISM_E10value_typeEPSN_NS1_7vsmem_tEENKUlT_SL_SM_SN_E_clIS8_S8_S9_S9_EESK_S10_SL_SM_SN_EUlS10_E0_NS1_11comp_targetILNS1_3genE5ELNS1_11target_archE942ELNS1_3gpuE9ELNS1_3repE0EEENS1_38merge_mergepath_config_static_selectorELNS0_4arch9wavefront6targetE1EEEvSM_.num_agpr, 0
	.set _ZN7rocprim17ROCPRIM_400000_NS6detail17trampoline_kernelINS0_14default_configENS1_38merge_sort_block_merge_config_selectorIlNS0_10empty_typeEEEZZNS1_27merge_sort_block_merge_implIS3_PlPS5_mZN2at6native12_GLOBAL__N_124unique_dim_cuda_templateIhEESt5tupleIJNSA_6TensorESF_SF_EERKSF_lbbbEUlllE_EE10hipError_tT0_T1_T2_jT3_P12ihipStream_tbPNSt15iterator_traitsISL_E10value_typeEPNSR_ISM_E10value_typeEPSN_NS1_7vsmem_tEENKUlT_SL_SM_SN_E_clIS8_S8_S9_S9_EESK_S10_SL_SM_SN_EUlS10_E0_NS1_11comp_targetILNS1_3genE5ELNS1_11target_archE942ELNS1_3gpuE9ELNS1_3repE0EEENS1_38merge_mergepath_config_static_selectorELNS0_4arch9wavefront6targetE1EEEvSM_.numbered_sgpr, 0
	.set _ZN7rocprim17ROCPRIM_400000_NS6detail17trampoline_kernelINS0_14default_configENS1_38merge_sort_block_merge_config_selectorIlNS0_10empty_typeEEEZZNS1_27merge_sort_block_merge_implIS3_PlPS5_mZN2at6native12_GLOBAL__N_124unique_dim_cuda_templateIhEESt5tupleIJNSA_6TensorESF_SF_EERKSF_lbbbEUlllE_EE10hipError_tT0_T1_T2_jT3_P12ihipStream_tbPNSt15iterator_traitsISL_E10value_typeEPNSR_ISM_E10value_typeEPSN_NS1_7vsmem_tEENKUlT_SL_SM_SN_E_clIS8_S8_S9_S9_EESK_S10_SL_SM_SN_EUlS10_E0_NS1_11comp_targetILNS1_3genE5ELNS1_11target_archE942ELNS1_3gpuE9ELNS1_3repE0EEENS1_38merge_mergepath_config_static_selectorELNS0_4arch9wavefront6targetE1EEEvSM_.num_named_barrier, 0
	.set _ZN7rocprim17ROCPRIM_400000_NS6detail17trampoline_kernelINS0_14default_configENS1_38merge_sort_block_merge_config_selectorIlNS0_10empty_typeEEEZZNS1_27merge_sort_block_merge_implIS3_PlPS5_mZN2at6native12_GLOBAL__N_124unique_dim_cuda_templateIhEESt5tupleIJNSA_6TensorESF_SF_EERKSF_lbbbEUlllE_EE10hipError_tT0_T1_T2_jT3_P12ihipStream_tbPNSt15iterator_traitsISL_E10value_typeEPNSR_ISM_E10value_typeEPSN_NS1_7vsmem_tEENKUlT_SL_SM_SN_E_clIS8_S8_S9_S9_EESK_S10_SL_SM_SN_EUlS10_E0_NS1_11comp_targetILNS1_3genE5ELNS1_11target_archE942ELNS1_3gpuE9ELNS1_3repE0EEENS1_38merge_mergepath_config_static_selectorELNS0_4arch9wavefront6targetE1EEEvSM_.private_seg_size, 0
	.set _ZN7rocprim17ROCPRIM_400000_NS6detail17trampoline_kernelINS0_14default_configENS1_38merge_sort_block_merge_config_selectorIlNS0_10empty_typeEEEZZNS1_27merge_sort_block_merge_implIS3_PlPS5_mZN2at6native12_GLOBAL__N_124unique_dim_cuda_templateIhEESt5tupleIJNSA_6TensorESF_SF_EERKSF_lbbbEUlllE_EE10hipError_tT0_T1_T2_jT3_P12ihipStream_tbPNSt15iterator_traitsISL_E10value_typeEPNSR_ISM_E10value_typeEPSN_NS1_7vsmem_tEENKUlT_SL_SM_SN_E_clIS8_S8_S9_S9_EESK_S10_SL_SM_SN_EUlS10_E0_NS1_11comp_targetILNS1_3genE5ELNS1_11target_archE942ELNS1_3gpuE9ELNS1_3repE0EEENS1_38merge_mergepath_config_static_selectorELNS0_4arch9wavefront6targetE1EEEvSM_.uses_vcc, 0
	.set _ZN7rocprim17ROCPRIM_400000_NS6detail17trampoline_kernelINS0_14default_configENS1_38merge_sort_block_merge_config_selectorIlNS0_10empty_typeEEEZZNS1_27merge_sort_block_merge_implIS3_PlPS5_mZN2at6native12_GLOBAL__N_124unique_dim_cuda_templateIhEESt5tupleIJNSA_6TensorESF_SF_EERKSF_lbbbEUlllE_EE10hipError_tT0_T1_T2_jT3_P12ihipStream_tbPNSt15iterator_traitsISL_E10value_typeEPNSR_ISM_E10value_typeEPSN_NS1_7vsmem_tEENKUlT_SL_SM_SN_E_clIS8_S8_S9_S9_EESK_S10_SL_SM_SN_EUlS10_E0_NS1_11comp_targetILNS1_3genE5ELNS1_11target_archE942ELNS1_3gpuE9ELNS1_3repE0EEENS1_38merge_mergepath_config_static_selectorELNS0_4arch9wavefront6targetE1EEEvSM_.uses_flat_scratch, 0
	.set _ZN7rocprim17ROCPRIM_400000_NS6detail17trampoline_kernelINS0_14default_configENS1_38merge_sort_block_merge_config_selectorIlNS0_10empty_typeEEEZZNS1_27merge_sort_block_merge_implIS3_PlPS5_mZN2at6native12_GLOBAL__N_124unique_dim_cuda_templateIhEESt5tupleIJNSA_6TensorESF_SF_EERKSF_lbbbEUlllE_EE10hipError_tT0_T1_T2_jT3_P12ihipStream_tbPNSt15iterator_traitsISL_E10value_typeEPNSR_ISM_E10value_typeEPSN_NS1_7vsmem_tEENKUlT_SL_SM_SN_E_clIS8_S8_S9_S9_EESK_S10_SL_SM_SN_EUlS10_E0_NS1_11comp_targetILNS1_3genE5ELNS1_11target_archE942ELNS1_3gpuE9ELNS1_3repE0EEENS1_38merge_mergepath_config_static_selectorELNS0_4arch9wavefront6targetE1EEEvSM_.has_dyn_sized_stack, 0
	.set _ZN7rocprim17ROCPRIM_400000_NS6detail17trampoline_kernelINS0_14default_configENS1_38merge_sort_block_merge_config_selectorIlNS0_10empty_typeEEEZZNS1_27merge_sort_block_merge_implIS3_PlPS5_mZN2at6native12_GLOBAL__N_124unique_dim_cuda_templateIhEESt5tupleIJNSA_6TensorESF_SF_EERKSF_lbbbEUlllE_EE10hipError_tT0_T1_T2_jT3_P12ihipStream_tbPNSt15iterator_traitsISL_E10value_typeEPNSR_ISM_E10value_typeEPSN_NS1_7vsmem_tEENKUlT_SL_SM_SN_E_clIS8_S8_S9_S9_EESK_S10_SL_SM_SN_EUlS10_E0_NS1_11comp_targetILNS1_3genE5ELNS1_11target_archE942ELNS1_3gpuE9ELNS1_3repE0EEENS1_38merge_mergepath_config_static_selectorELNS0_4arch9wavefront6targetE1EEEvSM_.has_recursion, 0
	.set _ZN7rocprim17ROCPRIM_400000_NS6detail17trampoline_kernelINS0_14default_configENS1_38merge_sort_block_merge_config_selectorIlNS0_10empty_typeEEEZZNS1_27merge_sort_block_merge_implIS3_PlPS5_mZN2at6native12_GLOBAL__N_124unique_dim_cuda_templateIhEESt5tupleIJNSA_6TensorESF_SF_EERKSF_lbbbEUlllE_EE10hipError_tT0_T1_T2_jT3_P12ihipStream_tbPNSt15iterator_traitsISL_E10value_typeEPNSR_ISM_E10value_typeEPSN_NS1_7vsmem_tEENKUlT_SL_SM_SN_E_clIS8_S8_S9_S9_EESK_S10_SL_SM_SN_EUlS10_E0_NS1_11comp_targetILNS1_3genE5ELNS1_11target_archE942ELNS1_3gpuE9ELNS1_3repE0EEENS1_38merge_mergepath_config_static_selectorELNS0_4arch9wavefront6targetE1EEEvSM_.has_indirect_call, 0
	.section	.AMDGPU.csdata,"",@progbits
; Kernel info:
; codeLenInByte = 0
; TotalNumSgprs: 6
; NumVgprs: 0
; NumAgprs: 0
; TotalNumVgprs: 0
; ScratchSize: 0
; MemoryBound: 0
; FloatMode: 240
; IeeeMode: 1
; LDSByteSize: 0 bytes/workgroup (compile time only)
; SGPRBlocks: 0
; VGPRBlocks: 0
; NumSGPRsForWavesPerEU: 6
; NumVGPRsForWavesPerEU: 1
; AccumOffset: 4
; Occupancy: 8
; WaveLimiterHint : 0
; COMPUTE_PGM_RSRC2:SCRATCH_EN: 0
; COMPUTE_PGM_RSRC2:USER_SGPR: 2
; COMPUTE_PGM_RSRC2:TRAP_HANDLER: 0
; COMPUTE_PGM_RSRC2:TGID_X_EN: 1
; COMPUTE_PGM_RSRC2:TGID_Y_EN: 0
; COMPUTE_PGM_RSRC2:TGID_Z_EN: 0
; COMPUTE_PGM_RSRC2:TIDIG_COMP_CNT: 0
; COMPUTE_PGM_RSRC3_GFX90A:ACCUM_OFFSET: 0
; COMPUTE_PGM_RSRC3_GFX90A:TG_SPLIT: 0
	.section	.text._ZN7rocprim17ROCPRIM_400000_NS6detail17trampoline_kernelINS0_14default_configENS1_38merge_sort_block_merge_config_selectorIlNS0_10empty_typeEEEZZNS1_27merge_sort_block_merge_implIS3_PlPS5_mZN2at6native12_GLOBAL__N_124unique_dim_cuda_templateIhEESt5tupleIJNSA_6TensorESF_SF_EERKSF_lbbbEUlllE_EE10hipError_tT0_T1_T2_jT3_P12ihipStream_tbPNSt15iterator_traitsISL_E10value_typeEPNSR_ISM_E10value_typeEPSN_NS1_7vsmem_tEENKUlT_SL_SM_SN_E_clIS8_S8_S9_S9_EESK_S10_SL_SM_SN_EUlS10_E0_NS1_11comp_targetILNS1_3genE4ELNS1_11target_archE910ELNS1_3gpuE8ELNS1_3repE0EEENS1_38merge_mergepath_config_static_selectorELNS0_4arch9wavefront6targetE1EEEvSM_,"axG",@progbits,_ZN7rocprim17ROCPRIM_400000_NS6detail17trampoline_kernelINS0_14default_configENS1_38merge_sort_block_merge_config_selectorIlNS0_10empty_typeEEEZZNS1_27merge_sort_block_merge_implIS3_PlPS5_mZN2at6native12_GLOBAL__N_124unique_dim_cuda_templateIhEESt5tupleIJNSA_6TensorESF_SF_EERKSF_lbbbEUlllE_EE10hipError_tT0_T1_T2_jT3_P12ihipStream_tbPNSt15iterator_traitsISL_E10value_typeEPNSR_ISM_E10value_typeEPSN_NS1_7vsmem_tEENKUlT_SL_SM_SN_E_clIS8_S8_S9_S9_EESK_S10_SL_SM_SN_EUlS10_E0_NS1_11comp_targetILNS1_3genE4ELNS1_11target_archE910ELNS1_3gpuE8ELNS1_3repE0EEENS1_38merge_mergepath_config_static_selectorELNS0_4arch9wavefront6targetE1EEEvSM_,comdat
	.globl	_ZN7rocprim17ROCPRIM_400000_NS6detail17trampoline_kernelINS0_14default_configENS1_38merge_sort_block_merge_config_selectorIlNS0_10empty_typeEEEZZNS1_27merge_sort_block_merge_implIS3_PlPS5_mZN2at6native12_GLOBAL__N_124unique_dim_cuda_templateIhEESt5tupleIJNSA_6TensorESF_SF_EERKSF_lbbbEUlllE_EE10hipError_tT0_T1_T2_jT3_P12ihipStream_tbPNSt15iterator_traitsISL_E10value_typeEPNSR_ISM_E10value_typeEPSN_NS1_7vsmem_tEENKUlT_SL_SM_SN_E_clIS8_S8_S9_S9_EESK_S10_SL_SM_SN_EUlS10_E0_NS1_11comp_targetILNS1_3genE4ELNS1_11target_archE910ELNS1_3gpuE8ELNS1_3repE0EEENS1_38merge_mergepath_config_static_selectorELNS0_4arch9wavefront6targetE1EEEvSM_ ; -- Begin function _ZN7rocprim17ROCPRIM_400000_NS6detail17trampoline_kernelINS0_14default_configENS1_38merge_sort_block_merge_config_selectorIlNS0_10empty_typeEEEZZNS1_27merge_sort_block_merge_implIS3_PlPS5_mZN2at6native12_GLOBAL__N_124unique_dim_cuda_templateIhEESt5tupleIJNSA_6TensorESF_SF_EERKSF_lbbbEUlllE_EE10hipError_tT0_T1_T2_jT3_P12ihipStream_tbPNSt15iterator_traitsISL_E10value_typeEPNSR_ISM_E10value_typeEPSN_NS1_7vsmem_tEENKUlT_SL_SM_SN_E_clIS8_S8_S9_S9_EESK_S10_SL_SM_SN_EUlS10_E0_NS1_11comp_targetILNS1_3genE4ELNS1_11target_archE910ELNS1_3gpuE8ELNS1_3repE0EEENS1_38merge_mergepath_config_static_selectorELNS0_4arch9wavefront6targetE1EEEvSM_
	.p2align	8
	.type	_ZN7rocprim17ROCPRIM_400000_NS6detail17trampoline_kernelINS0_14default_configENS1_38merge_sort_block_merge_config_selectorIlNS0_10empty_typeEEEZZNS1_27merge_sort_block_merge_implIS3_PlPS5_mZN2at6native12_GLOBAL__N_124unique_dim_cuda_templateIhEESt5tupleIJNSA_6TensorESF_SF_EERKSF_lbbbEUlllE_EE10hipError_tT0_T1_T2_jT3_P12ihipStream_tbPNSt15iterator_traitsISL_E10value_typeEPNSR_ISM_E10value_typeEPSN_NS1_7vsmem_tEENKUlT_SL_SM_SN_E_clIS8_S8_S9_S9_EESK_S10_SL_SM_SN_EUlS10_E0_NS1_11comp_targetILNS1_3genE4ELNS1_11target_archE910ELNS1_3gpuE8ELNS1_3repE0EEENS1_38merge_mergepath_config_static_selectorELNS0_4arch9wavefront6targetE1EEEvSM_,@function
_ZN7rocprim17ROCPRIM_400000_NS6detail17trampoline_kernelINS0_14default_configENS1_38merge_sort_block_merge_config_selectorIlNS0_10empty_typeEEEZZNS1_27merge_sort_block_merge_implIS3_PlPS5_mZN2at6native12_GLOBAL__N_124unique_dim_cuda_templateIhEESt5tupleIJNSA_6TensorESF_SF_EERKSF_lbbbEUlllE_EE10hipError_tT0_T1_T2_jT3_P12ihipStream_tbPNSt15iterator_traitsISL_E10value_typeEPNSR_ISM_E10value_typeEPSN_NS1_7vsmem_tEENKUlT_SL_SM_SN_E_clIS8_S8_S9_S9_EESK_S10_SL_SM_SN_EUlS10_E0_NS1_11comp_targetILNS1_3genE4ELNS1_11target_archE910ELNS1_3gpuE8ELNS1_3repE0EEENS1_38merge_mergepath_config_static_selectorELNS0_4arch9wavefront6targetE1EEEvSM_: ; @_ZN7rocprim17ROCPRIM_400000_NS6detail17trampoline_kernelINS0_14default_configENS1_38merge_sort_block_merge_config_selectorIlNS0_10empty_typeEEEZZNS1_27merge_sort_block_merge_implIS3_PlPS5_mZN2at6native12_GLOBAL__N_124unique_dim_cuda_templateIhEESt5tupleIJNSA_6TensorESF_SF_EERKSF_lbbbEUlllE_EE10hipError_tT0_T1_T2_jT3_P12ihipStream_tbPNSt15iterator_traitsISL_E10value_typeEPNSR_ISM_E10value_typeEPSN_NS1_7vsmem_tEENKUlT_SL_SM_SN_E_clIS8_S8_S9_S9_EESK_S10_SL_SM_SN_EUlS10_E0_NS1_11comp_targetILNS1_3genE4ELNS1_11target_archE910ELNS1_3gpuE8ELNS1_3repE0EEENS1_38merge_mergepath_config_static_selectorELNS0_4arch9wavefront6targetE1EEEvSM_
; %bb.0:
	.section	.rodata,"a",@progbits
	.p2align	6, 0x0
	.amdhsa_kernel _ZN7rocprim17ROCPRIM_400000_NS6detail17trampoline_kernelINS0_14default_configENS1_38merge_sort_block_merge_config_selectorIlNS0_10empty_typeEEEZZNS1_27merge_sort_block_merge_implIS3_PlPS5_mZN2at6native12_GLOBAL__N_124unique_dim_cuda_templateIhEESt5tupleIJNSA_6TensorESF_SF_EERKSF_lbbbEUlllE_EE10hipError_tT0_T1_T2_jT3_P12ihipStream_tbPNSt15iterator_traitsISL_E10value_typeEPNSR_ISM_E10value_typeEPSN_NS1_7vsmem_tEENKUlT_SL_SM_SN_E_clIS8_S8_S9_S9_EESK_S10_SL_SM_SN_EUlS10_E0_NS1_11comp_targetILNS1_3genE4ELNS1_11target_archE910ELNS1_3gpuE8ELNS1_3repE0EEENS1_38merge_mergepath_config_static_selectorELNS0_4arch9wavefront6targetE1EEEvSM_
		.amdhsa_group_segment_fixed_size 0
		.amdhsa_private_segment_fixed_size 0
		.amdhsa_kernarg_size 88
		.amdhsa_user_sgpr_count 2
		.amdhsa_user_sgpr_dispatch_ptr 0
		.amdhsa_user_sgpr_queue_ptr 0
		.amdhsa_user_sgpr_kernarg_segment_ptr 1
		.amdhsa_user_sgpr_dispatch_id 0
		.amdhsa_user_sgpr_kernarg_preload_length 0
		.amdhsa_user_sgpr_kernarg_preload_offset 0
		.amdhsa_user_sgpr_private_segment_size 0
		.amdhsa_uses_dynamic_stack 0
		.amdhsa_enable_private_segment 0
		.amdhsa_system_sgpr_workgroup_id_x 1
		.amdhsa_system_sgpr_workgroup_id_y 0
		.amdhsa_system_sgpr_workgroup_id_z 0
		.amdhsa_system_sgpr_workgroup_info 0
		.amdhsa_system_vgpr_workitem_id 0
		.amdhsa_next_free_vgpr 1
		.amdhsa_next_free_sgpr 0
		.amdhsa_accum_offset 4
		.amdhsa_reserve_vcc 0
		.amdhsa_float_round_mode_32 0
		.amdhsa_float_round_mode_16_64 0
		.amdhsa_float_denorm_mode_32 3
		.amdhsa_float_denorm_mode_16_64 3
		.amdhsa_dx10_clamp 1
		.amdhsa_ieee_mode 1
		.amdhsa_fp16_overflow 0
		.amdhsa_tg_split 0
		.amdhsa_exception_fp_ieee_invalid_op 0
		.amdhsa_exception_fp_denorm_src 0
		.amdhsa_exception_fp_ieee_div_zero 0
		.amdhsa_exception_fp_ieee_overflow 0
		.amdhsa_exception_fp_ieee_underflow 0
		.amdhsa_exception_fp_ieee_inexact 0
		.amdhsa_exception_int_div_zero 0
	.end_amdhsa_kernel
	.section	.text._ZN7rocprim17ROCPRIM_400000_NS6detail17trampoline_kernelINS0_14default_configENS1_38merge_sort_block_merge_config_selectorIlNS0_10empty_typeEEEZZNS1_27merge_sort_block_merge_implIS3_PlPS5_mZN2at6native12_GLOBAL__N_124unique_dim_cuda_templateIhEESt5tupleIJNSA_6TensorESF_SF_EERKSF_lbbbEUlllE_EE10hipError_tT0_T1_T2_jT3_P12ihipStream_tbPNSt15iterator_traitsISL_E10value_typeEPNSR_ISM_E10value_typeEPSN_NS1_7vsmem_tEENKUlT_SL_SM_SN_E_clIS8_S8_S9_S9_EESK_S10_SL_SM_SN_EUlS10_E0_NS1_11comp_targetILNS1_3genE4ELNS1_11target_archE910ELNS1_3gpuE8ELNS1_3repE0EEENS1_38merge_mergepath_config_static_selectorELNS0_4arch9wavefront6targetE1EEEvSM_,"axG",@progbits,_ZN7rocprim17ROCPRIM_400000_NS6detail17trampoline_kernelINS0_14default_configENS1_38merge_sort_block_merge_config_selectorIlNS0_10empty_typeEEEZZNS1_27merge_sort_block_merge_implIS3_PlPS5_mZN2at6native12_GLOBAL__N_124unique_dim_cuda_templateIhEESt5tupleIJNSA_6TensorESF_SF_EERKSF_lbbbEUlllE_EE10hipError_tT0_T1_T2_jT3_P12ihipStream_tbPNSt15iterator_traitsISL_E10value_typeEPNSR_ISM_E10value_typeEPSN_NS1_7vsmem_tEENKUlT_SL_SM_SN_E_clIS8_S8_S9_S9_EESK_S10_SL_SM_SN_EUlS10_E0_NS1_11comp_targetILNS1_3genE4ELNS1_11target_archE910ELNS1_3gpuE8ELNS1_3repE0EEENS1_38merge_mergepath_config_static_selectorELNS0_4arch9wavefront6targetE1EEEvSM_,comdat
.Lfunc_end29:
	.size	_ZN7rocprim17ROCPRIM_400000_NS6detail17trampoline_kernelINS0_14default_configENS1_38merge_sort_block_merge_config_selectorIlNS0_10empty_typeEEEZZNS1_27merge_sort_block_merge_implIS3_PlPS5_mZN2at6native12_GLOBAL__N_124unique_dim_cuda_templateIhEESt5tupleIJNSA_6TensorESF_SF_EERKSF_lbbbEUlllE_EE10hipError_tT0_T1_T2_jT3_P12ihipStream_tbPNSt15iterator_traitsISL_E10value_typeEPNSR_ISM_E10value_typeEPSN_NS1_7vsmem_tEENKUlT_SL_SM_SN_E_clIS8_S8_S9_S9_EESK_S10_SL_SM_SN_EUlS10_E0_NS1_11comp_targetILNS1_3genE4ELNS1_11target_archE910ELNS1_3gpuE8ELNS1_3repE0EEENS1_38merge_mergepath_config_static_selectorELNS0_4arch9wavefront6targetE1EEEvSM_, .Lfunc_end29-_ZN7rocprim17ROCPRIM_400000_NS6detail17trampoline_kernelINS0_14default_configENS1_38merge_sort_block_merge_config_selectorIlNS0_10empty_typeEEEZZNS1_27merge_sort_block_merge_implIS3_PlPS5_mZN2at6native12_GLOBAL__N_124unique_dim_cuda_templateIhEESt5tupleIJNSA_6TensorESF_SF_EERKSF_lbbbEUlllE_EE10hipError_tT0_T1_T2_jT3_P12ihipStream_tbPNSt15iterator_traitsISL_E10value_typeEPNSR_ISM_E10value_typeEPSN_NS1_7vsmem_tEENKUlT_SL_SM_SN_E_clIS8_S8_S9_S9_EESK_S10_SL_SM_SN_EUlS10_E0_NS1_11comp_targetILNS1_3genE4ELNS1_11target_archE910ELNS1_3gpuE8ELNS1_3repE0EEENS1_38merge_mergepath_config_static_selectorELNS0_4arch9wavefront6targetE1EEEvSM_
                                        ; -- End function
	.set _ZN7rocprim17ROCPRIM_400000_NS6detail17trampoline_kernelINS0_14default_configENS1_38merge_sort_block_merge_config_selectorIlNS0_10empty_typeEEEZZNS1_27merge_sort_block_merge_implIS3_PlPS5_mZN2at6native12_GLOBAL__N_124unique_dim_cuda_templateIhEESt5tupleIJNSA_6TensorESF_SF_EERKSF_lbbbEUlllE_EE10hipError_tT0_T1_T2_jT3_P12ihipStream_tbPNSt15iterator_traitsISL_E10value_typeEPNSR_ISM_E10value_typeEPSN_NS1_7vsmem_tEENKUlT_SL_SM_SN_E_clIS8_S8_S9_S9_EESK_S10_SL_SM_SN_EUlS10_E0_NS1_11comp_targetILNS1_3genE4ELNS1_11target_archE910ELNS1_3gpuE8ELNS1_3repE0EEENS1_38merge_mergepath_config_static_selectorELNS0_4arch9wavefront6targetE1EEEvSM_.num_vgpr, 0
	.set _ZN7rocprim17ROCPRIM_400000_NS6detail17trampoline_kernelINS0_14default_configENS1_38merge_sort_block_merge_config_selectorIlNS0_10empty_typeEEEZZNS1_27merge_sort_block_merge_implIS3_PlPS5_mZN2at6native12_GLOBAL__N_124unique_dim_cuda_templateIhEESt5tupleIJNSA_6TensorESF_SF_EERKSF_lbbbEUlllE_EE10hipError_tT0_T1_T2_jT3_P12ihipStream_tbPNSt15iterator_traitsISL_E10value_typeEPNSR_ISM_E10value_typeEPSN_NS1_7vsmem_tEENKUlT_SL_SM_SN_E_clIS8_S8_S9_S9_EESK_S10_SL_SM_SN_EUlS10_E0_NS1_11comp_targetILNS1_3genE4ELNS1_11target_archE910ELNS1_3gpuE8ELNS1_3repE0EEENS1_38merge_mergepath_config_static_selectorELNS0_4arch9wavefront6targetE1EEEvSM_.num_agpr, 0
	.set _ZN7rocprim17ROCPRIM_400000_NS6detail17trampoline_kernelINS0_14default_configENS1_38merge_sort_block_merge_config_selectorIlNS0_10empty_typeEEEZZNS1_27merge_sort_block_merge_implIS3_PlPS5_mZN2at6native12_GLOBAL__N_124unique_dim_cuda_templateIhEESt5tupleIJNSA_6TensorESF_SF_EERKSF_lbbbEUlllE_EE10hipError_tT0_T1_T2_jT3_P12ihipStream_tbPNSt15iterator_traitsISL_E10value_typeEPNSR_ISM_E10value_typeEPSN_NS1_7vsmem_tEENKUlT_SL_SM_SN_E_clIS8_S8_S9_S9_EESK_S10_SL_SM_SN_EUlS10_E0_NS1_11comp_targetILNS1_3genE4ELNS1_11target_archE910ELNS1_3gpuE8ELNS1_3repE0EEENS1_38merge_mergepath_config_static_selectorELNS0_4arch9wavefront6targetE1EEEvSM_.numbered_sgpr, 0
	.set _ZN7rocprim17ROCPRIM_400000_NS6detail17trampoline_kernelINS0_14default_configENS1_38merge_sort_block_merge_config_selectorIlNS0_10empty_typeEEEZZNS1_27merge_sort_block_merge_implIS3_PlPS5_mZN2at6native12_GLOBAL__N_124unique_dim_cuda_templateIhEESt5tupleIJNSA_6TensorESF_SF_EERKSF_lbbbEUlllE_EE10hipError_tT0_T1_T2_jT3_P12ihipStream_tbPNSt15iterator_traitsISL_E10value_typeEPNSR_ISM_E10value_typeEPSN_NS1_7vsmem_tEENKUlT_SL_SM_SN_E_clIS8_S8_S9_S9_EESK_S10_SL_SM_SN_EUlS10_E0_NS1_11comp_targetILNS1_3genE4ELNS1_11target_archE910ELNS1_3gpuE8ELNS1_3repE0EEENS1_38merge_mergepath_config_static_selectorELNS0_4arch9wavefront6targetE1EEEvSM_.num_named_barrier, 0
	.set _ZN7rocprim17ROCPRIM_400000_NS6detail17trampoline_kernelINS0_14default_configENS1_38merge_sort_block_merge_config_selectorIlNS0_10empty_typeEEEZZNS1_27merge_sort_block_merge_implIS3_PlPS5_mZN2at6native12_GLOBAL__N_124unique_dim_cuda_templateIhEESt5tupleIJNSA_6TensorESF_SF_EERKSF_lbbbEUlllE_EE10hipError_tT0_T1_T2_jT3_P12ihipStream_tbPNSt15iterator_traitsISL_E10value_typeEPNSR_ISM_E10value_typeEPSN_NS1_7vsmem_tEENKUlT_SL_SM_SN_E_clIS8_S8_S9_S9_EESK_S10_SL_SM_SN_EUlS10_E0_NS1_11comp_targetILNS1_3genE4ELNS1_11target_archE910ELNS1_3gpuE8ELNS1_3repE0EEENS1_38merge_mergepath_config_static_selectorELNS0_4arch9wavefront6targetE1EEEvSM_.private_seg_size, 0
	.set _ZN7rocprim17ROCPRIM_400000_NS6detail17trampoline_kernelINS0_14default_configENS1_38merge_sort_block_merge_config_selectorIlNS0_10empty_typeEEEZZNS1_27merge_sort_block_merge_implIS3_PlPS5_mZN2at6native12_GLOBAL__N_124unique_dim_cuda_templateIhEESt5tupleIJNSA_6TensorESF_SF_EERKSF_lbbbEUlllE_EE10hipError_tT0_T1_T2_jT3_P12ihipStream_tbPNSt15iterator_traitsISL_E10value_typeEPNSR_ISM_E10value_typeEPSN_NS1_7vsmem_tEENKUlT_SL_SM_SN_E_clIS8_S8_S9_S9_EESK_S10_SL_SM_SN_EUlS10_E0_NS1_11comp_targetILNS1_3genE4ELNS1_11target_archE910ELNS1_3gpuE8ELNS1_3repE0EEENS1_38merge_mergepath_config_static_selectorELNS0_4arch9wavefront6targetE1EEEvSM_.uses_vcc, 0
	.set _ZN7rocprim17ROCPRIM_400000_NS6detail17trampoline_kernelINS0_14default_configENS1_38merge_sort_block_merge_config_selectorIlNS0_10empty_typeEEEZZNS1_27merge_sort_block_merge_implIS3_PlPS5_mZN2at6native12_GLOBAL__N_124unique_dim_cuda_templateIhEESt5tupleIJNSA_6TensorESF_SF_EERKSF_lbbbEUlllE_EE10hipError_tT0_T1_T2_jT3_P12ihipStream_tbPNSt15iterator_traitsISL_E10value_typeEPNSR_ISM_E10value_typeEPSN_NS1_7vsmem_tEENKUlT_SL_SM_SN_E_clIS8_S8_S9_S9_EESK_S10_SL_SM_SN_EUlS10_E0_NS1_11comp_targetILNS1_3genE4ELNS1_11target_archE910ELNS1_3gpuE8ELNS1_3repE0EEENS1_38merge_mergepath_config_static_selectorELNS0_4arch9wavefront6targetE1EEEvSM_.uses_flat_scratch, 0
	.set _ZN7rocprim17ROCPRIM_400000_NS6detail17trampoline_kernelINS0_14default_configENS1_38merge_sort_block_merge_config_selectorIlNS0_10empty_typeEEEZZNS1_27merge_sort_block_merge_implIS3_PlPS5_mZN2at6native12_GLOBAL__N_124unique_dim_cuda_templateIhEESt5tupleIJNSA_6TensorESF_SF_EERKSF_lbbbEUlllE_EE10hipError_tT0_T1_T2_jT3_P12ihipStream_tbPNSt15iterator_traitsISL_E10value_typeEPNSR_ISM_E10value_typeEPSN_NS1_7vsmem_tEENKUlT_SL_SM_SN_E_clIS8_S8_S9_S9_EESK_S10_SL_SM_SN_EUlS10_E0_NS1_11comp_targetILNS1_3genE4ELNS1_11target_archE910ELNS1_3gpuE8ELNS1_3repE0EEENS1_38merge_mergepath_config_static_selectorELNS0_4arch9wavefront6targetE1EEEvSM_.has_dyn_sized_stack, 0
	.set _ZN7rocprim17ROCPRIM_400000_NS6detail17trampoline_kernelINS0_14default_configENS1_38merge_sort_block_merge_config_selectorIlNS0_10empty_typeEEEZZNS1_27merge_sort_block_merge_implIS3_PlPS5_mZN2at6native12_GLOBAL__N_124unique_dim_cuda_templateIhEESt5tupleIJNSA_6TensorESF_SF_EERKSF_lbbbEUlllE_EE10hipError_tT0_T1_T2_jT3_P12ihipStream_tbPNSt15iterator_traitsISL_E10value_typeEPNSR_ISM_E10value_typeEPSN_NS1_7vsmem_tEENKUlT_SL_SM_SN_E_clIS8_S8_S9_S9_EESK_S10_SL_SM_SN_EUlS10_E0_NS1_11comp_targetILNS1_3genE4ELNS1_11target_archE910ELNS1_3gpuE8ELNS1_3repE0EEENS1_38merge_mergepath_config_static_selectorELNS0_4arch9wavefront6targetE1EEEvSM_.has_recursion, 0
	.set _ZN7rocprim17ROCPRIM_400000_NS6detail17trampoline_kernelINS0_14default_configENS1_38merge_sort_block_merge_config_selectorIlNS0_10empty_typeEEEZZNS1_27merge_sort_block_merge_implIS3_PlPS5_mZN2at6native12_GLOBAL__N_124unique_dim_cuda_templateIhEESt5tupleIJNSA_6TensorESF_SF_EERKSF_lbbbEUlllE_EE10hipError_tT0_T1_T2_jT3_P12ihipStream_tbPNSt15iterator_traitsISL_E10value_typeEPNSR_ISM_E10value_typeEPSN_NS1_7vsmem_tEENKUlT_SL_SM_SN_E_clIS8_S8_S9_S9_EESK_S10_SL_SM_SN_EUlS10_E0_NS1_11comp_targetILNS1_3genE4ELNS1_11target_archE910ELNS1_3gpuE8ELNS1_3repE0EEENS1_38merge_mergepath_config_static_selectorELNS0_4arch9wavefront6targetE1EEEvSM_.has_indirect_call, 0
	.section	.AMDGPU.csdata,"",@progbits
; Kernel info:
; codeLenInByte = 0
; TotalNumSgprs: 6
; NumVgprs: 0
; NumAgprs: 0
; TotalNumVgprs: 0
; ScratchSize: 0
; MemoryBound: 0
; FloatMode: 240
; IeeeMode: 1
; LDSByteSize: 0 bytes/workgroup (compile time only)
; SGPRBlocks: 0
; VGPRBlocks: 0
; NumSGPRsForWavesPerEU: 6
; NumVGPRsForWavesPerEU: 1
; AccumOffset: 4
; Occupancy: 8
; WaveLimiterHint : 0
; COMPUTE_PGM_RSRC2:SCRATCH_EN: 0
; COMPUTE_PGM_RSRC2:USER_SGPR: 2
; COMPUTE_PGM_RSRC2:TRAP_HANDLER: 0
; COMPUTE_PGM_RSRC2:TGID_X_EN: 1
; COMPUTE_PGM_RSRC2:TGID_Y_EN: 0
; COMPUTE_PGM_RSRC2:TGID_Z_EN: 0
; COMPUTE_PGM_RSRC2:TIDIG_COMP_CNT: 0
; COMPUTE_PGM_RSRC3_GFX90A:ACCUM_OFFSET: 0
; COMPUTE_PGM_RSRC3_GFX90A:TG_SPLIT: 0
	.section	.text._ZN7rocprim17ROCPRIM_400000_NS6detail17trampoline_kernelINS0_14default_configENS1_38merge_sort_block_merge_config_selectorIlNS0_10empty_typeEEEZZNS1_27merge_sort_block_merge_implIS3_PlPS5_mZN2at6native12_GLOBAL__N_124unique_dim_cuda_templateIhEESt5tupleIJNSA_6TensorESF_SF_EERKSF_lbbbEUlllE_EE10hipError_tT0_T1_T2_jT3_P12ihipStream_tbPNSt15iterator_traitsISL_E10value_typeEPNSR_ISM_E10value_typeEPSN_NS1_7vsmem_tEENKUlT_SL_SM_SN_E_clIS8_S8_S9_S9_EESK_S10_SL_SM_SN_EUlS10_E0_NS1_11comp_targetILNS1_3genE3ELNS1_11target_archE908ELNS1_3gpuE7ELNS1_3repE0EEENS1_38merge_mergepath_config_static_selectorELNS0_4arch9wavefront6targetE1EEEvSM_,"axG",@progbits,_ZN7rocprim17ROCPRIM_400000_NS6detail17trampoline_kernelINS0_14default_configENS1_38merge_sort_block_merge_config_selectorIlNS0_10empty_typeEEEZZNS1_27merge_sort_block_merge_implIS3_PlPS5_mZN2at6native12_GLOBAL__N_124unique_dim_cuda_templateIhEESt5tupleIJNSA_6TensorESF_SF_EERKSF_lbbbEUlllE_EE10hipError_tT0_T1_T2_jT3_P12ihipStream_tbPNSt15iterator_traitsISL_E10value_typeEPNSR_ISM_E10value_typeEPSN_NS1_7vsmem_tEENKUlT_SL_SM_SN_E_clIS8_S8_S9_S9_EESK_S10_SL_SM_SN_EUlS10_E0_NS1_11comp_targetILNS1_3genE3ELNS1_11target_archE908ELNS1_3gpuE7ELNS1_3repE0EEENS1_38merge_mergepath_config_static_selectorELNS0_4arch9wavefront6targetE1EEEvSM_,comdat
	.globl	_ZN7rocprim17ROCPRIM_400000_NS6detail17trampoline_kernelINS0_14default_configENS1_38merge_sort_block_merge_config_selectorIlNS0_10empty_typeEEEZZNS1_27merge_sort_block_merge_implIS3_PlPS5_mZN2at6native12_GLOBAL__N_124unique_dim_cuda_templateIhEESt5tupleIJNSA_6TensorESF_SF_EERKSF_lbbbEUlllE_EE10hipError_tT0_T1_T2_jT3_P12ihipStream_tbPNSt15iterator_traitsISL_E10value_typeEPNSR_ISM_E10value_typeEPSN_NS1_7vsmem_tEENKUlT_SL_SM_SN_E_clIS8_S8_S9_S9_EESK_S10_SL_SM_SN_EUlS10_E0_NS1_11comp_targetILNS1_3genE3ELNS1_11target_archE908ELNS1_3gpuE7ELNS1_3repE0EEENS1_38merge_mergepath_config_static_selectorELNS0_4arch9wavefront6targetE1EEEvSM_ ; -- Begin function _ZN7rocprim17ROCPRIM_400000_NS6detail17trampoline_kernelINS0_14default_configENS1_38merge_sort_block_merge_config_selectorIlNS0_10empty_typeEEEZZNS1_27merge_sort_block_merge_implIS3_PlPS5_mZN2at6native12_GLOBAL__N_124unique_dim_cuda_templateIhEESt5tupleIJNSA_6TensorESF_SF_EERKSF_lbbbEUlllE_EE10hipError_tT0_T1_T2_jT3_P12ihipStream_tbPNSt15iterator_traitsISL_E10value_typeEPNSR_ISM_E10value_typeEPSN_NS1_7vsmem_tEENKUlT_SL_SM_SN_E_clIS8_S8_S9_S9_EESK_S10_SL_SM_SN_EUlS10_E0_NS1_11comp_targetILNS1_3genE3ELNS1_11target_archE908ELNS1_3gpuE7ELNS1_3repE0EEENS1_38merge_mergepath_config_static_selectorELNS0_4arch9wavefront6targetE1EEEvSM_
	.p2align	8
	.type	_ZN7rocprim17ROCPRIM_400000_NS6detail17trampoline_kernelINS0_14default_configENS1_38merge_sort_block_merge_config_selectorIlNS0_10empty_typeEEEZZNS1_27merge_sort_block_merge_implIS3_PlPS5_mZN2at6native12_GLOBAL__N_124unique_dim_cuda_templateIhEESt5tupleIJNSA_6TensorESF_SF_EERKSF_lbbbEUlllE_EE10hipError_tT0_T1_T2_jT3_P12ihipStream_tbPNSt15iterator_traitsISL_E10value_typeEPNSR_ISM_E10value_typeEPSN_NS1_7vsmem_tEENKUlT_SL_SM_SN_E_clIS8_S8_S9_S9_EESK_S10_SL_SM_SN_EUlS10_E0_NS1_11comp_targetILNS1_3genE3ELNS1_11target_archE908ELNS1_3gpuE7ELNS1_3repE0EEENS1_38merge_mergepath_config_static_selectorELNS0_4arch9wavefront6targetE1EEEvSM_,@function
_ZN7rocprim17ROCPRIM_400000_NS6detail17trampoline_kernelINS0_14default_configENS1_38merge_sort_block_merge_config_selectorIlNS0_10empty_typeEEEZZNS1_27merge_sort_block_merge_implIS3_PlPS5_mZN2at6native12_GLOBAL__N_124unique_dim_cuda_templateIhEESt5tupleIJNSA_6TensorESF_SF_EERKSF_lbbbEUlllE_EE10hipError_tT0_T1_T2_jT3_P12ihipStream_tbPNSt15iterator_traitsISL_E10value_typeEPNSR_ISM_E10value_typeEPSN_NS1_7vsmem_tEENKUlT_SL_SM_SN_E_clIS8_S8_S9_S9_EESK_S10_SL_SM_SN_EUlS10_E0_NS1_11comp_targetILNS1_3genE3ELNS1_11target_archE908ELNS1_3gpuE7ELNS1_3repE0EEENS1_38merge_mergepath_config_static_selectorELNS0_4arch9wavefront6targetE1EEEvSM_: ; @_ZN7rocprim17ROCPRIM_400000_NS6detail17trampoline_kernelINS0_14default_configENS1_38merge_sort_block_merge_config_selectorIlNS0_10empty_typeEEEZZNS1_27merge_sort_block_merge_implIS3_PlPS5_mZN2at6native12_GLOBAL__N_124unique_dim_cuda_templateIhEESt5tupleIJNSA_6TensorESF_SF_EERKSF_lbbbEUlllE_EE10hipError_tT0_T1_T2_jT3_P12ihipStream_tbPNSt15iterator_traitsISL_E10value_typeEPNSR_ISM_E10value_typeEPSN_NS1_7vsmem_tEENKUlT_SL_SM_SN_E_clIS8_S8_S9_S9_EESK_S10_SL_SM_SN_EUlS10_E0_NS1_11comp_targetILNS1_3genE3ELNS1_11target_archE908ELNS1_3gpuE7ELNS1_3repE0EEENS1_38merge_mergepath_config_static_selectorELNS0_4arch9wavefront6targetE1EEEvSM_
; %bb.0:
	.section	.rodata,"a",@progbits
	.p2align	6, 0x0
	.amdhsa_kernel _ZN7rocprim17ROCPRIM_400000_NS6detail17trampoline_kernelINS0_14default_configENS1_38merge_sort_block_merge_config_selectorIlNS0_10empty_typeEEEZZNS1_27merge_sort_block_merge_implIS3_PlPS5_mZN2at6native12_GLOBAL__N_124unique_dim_cuda_templateIhEESt5tupleIJNSA_6TensorESF_SF_EERKSF_lbbbEUlllE_EE10hipError_tT0_T1_T2_jT3_P12ihipStream_tbPNSt15iterator_traitsISL_E10value_typeEPNSR_ISM_E10value_typeEPSN_NS1_7vsmem_tEENKUlT_SL_SM_SN_E_clIS8_S8_S9_S9_EESK_S10_SL_SM_SN_EUlS10_E0_NS1_11comp_targetILNS1_3genE3ELNS1_11target_archE908ELNS1_3gpuE7ELNS1_3repE0EEENS1_38merge_mergepath_config_static_selectorELNS0_4arch9wavefront6targetE1EEEvSM_
		.amdhsa_group_segment_fixed_size 0
		.amdhsa_private_segment_fixed_size 0
		.amdhsa_kernarg_size 88
		.amdhsa_user_sgpr_count 2
		.amdhsa_user_sgpr_dispatch_ptr 0
		.amdhsa_user_sgpr_queue_ptr 0
		.amdhsa_user_sgpr_kernarg_segment_ptr 1
		.amdhsa_user_sgpr_dispatch_id 0
		.amdhsa_user_sgpr_kernarg_preload_length 0
		.amdhsa_user_sgpr_kernarg_preload_offset 0
		.amdhsa_user_sgpr_private_segment_size 0
		.amdhsa_uses_dynamic_stack 0
		.amdhsa_enable_private_segment 0
		.amdhsa_system_sgpr_workgroup_id_x 1
		.amdhsa_system_sgpr_workgroup_id_y 0
		.amdhsa_system_sgpr_workgroup_id_z 0
		.amdhsa_system_sgpr_workgroup_info 0
		.amdhsa_system_vgpr_workitem_id 0
		.amdhsa_next_free_vgpr 1
		.amdhsa_next_free_sgpr 0
		.amdhsa_accum_offset 4
		.amdhsa_reserve_vcc 0
		.amdhsa_float_round_mode_32 0
		.amdhsa_float_round_mode_16_64 0
		.amdhsa_float_denorm_mode_32 3
		.amdhsa_float_denorm_mode_16_64 3
		.amdhsa_dx10_clamp 1
		.amdhsa_ieee_mode 1
		.amdhsa_fp16_overflow 0
		.amdhsa_tg_split 0
		.amdhsa_exception_fp_ieee_invalid_op 0
		.amdhsa_exception_fp_denorm_src 0
		.amdhsa_exception_fp_ieee_div_zero 0
		.amdhsa_exception_fp_ieee_overflow 0
		.amdhsa_exception_fp_ieee_underflow 0
		.amdhsa_exception_fp_ieee_inexact 0
		.amdhsa_exception_int_div_zero 0
	.end_amdhsa_kernel
	.section	.text._ZN7rocprim17ROCPRIM_400000_NS6detail17trampoline_kernelINS0_14default_configENS1_38merge_sort_block_merge_config_selectorIlNS0_10empty_typeEEEZZNS1_27merge_sort_block_merge_implIS3_PlPS5_mZN2at6native12_GLOBAL__N_124unique_dim_cuda_templateIhEESt5tupleIJNSA_6TensorESF_SF_EERKSF_lbbbEUlllE_EE10hipError_tT0_T1_T2_jT3_P12ihipStream_tbPNSt15iterator_traitsISL_E10value_typeEPNSR_ISM_E10value_typeEPSN_NS1_7vsmem_tEENKUlT_SL_SM_SN_E_clIS8_S8_S9_S9_EESK_S10_SL_SM_SN_EUlS10_E0_NS1_11comp_targetILNS1_3genE3ELNS1_11target_archE908ELNS1_3gpuE7ELNS1_3repE0EEENS1_38merge_mergepath_config_static_selectorELNS0_4arch9wavefront6targetE1EEEvSM_,"axG",@progbits,_ZN7rocprim17ROCPRIM_400000_NS6detail17trampoline_kernelINS0_14default_configENS1_38merge_sort_block_merge_config_selectorIlNS0_10empty_typeEEEZZNS1_27merge_sort_block_merge_implIS3_PlPS5_mZN2at6native12_GLOBAL__N_124unique_dim_cuda_templateIhEESt5tupleIJNSA_6TensorESF_SF_EERKSF_lbbbEUlllE_EE10hipError_tT0_T1_T2_jT3_P12ihipStream_tbPNSt15iterator_traitsISL_E10value_typeEPNSR_ISM_E10value_typeEPSN_NS1_7vsmem_tEENKUlT_SL_SM_SN_E_clIS8_S8_S9_S9_EESK_S10_SL_SM_SN_EUlS10_E0_NS1_11comp_targetILNS1_3genE3ELNS1_11target_archE908ELNS1_3gpuE7ELNS1_3repE0EEENS1_38merge_mergepath_config_static_selectorELNS0_4arch9wavefront6targetE1EEEvSM_,comdat
.Lfunc_end30:
	.size	_ZN7rocprim17ROCPRIM_400000_NS6detail17trampoline_kernelINS0_14default_configENS1_38merge_sort_block_merge_config_selectorIlNS0_10empty_typeEEEZZNS1_27merge_sort_block_merge_implIS3_PlPS5_mZN2at6native12_GLOBAL__N_124unique_dim_cuda_templateIhEESt5tupleIJNSA_6TensorESF_SF_EERKSF_lbbbEUlllE_EE10hipError_tT0_T1_T2_jT3_P12ihipStream_tbPNSt15iterator_traitsISL_E10value_typeEPNSR_ISM_E10value_typeEPSN_NS1_7vsmem_tEENKUlT_SL_SM_SN_E_clIS8_S8_S9_S9_EESK_S10_SL_SM_SN_EUlS10_E0_NS1_11comp_targetILNS1_3genE3ELNS1_11target_archE908ELNS1_3gpuE7ELNS1_3repE0EEENS1_38merge_mergepath_config_static_selectorELNS0_4arch9wavefront6targetE1EEEvSM_, .Lfunc_end30-_ZN7rocprim17ROCPRIM_400000_NS6detail17trampoline_kernelINS0_14default_configENS1_38merge_sort_block_merge_config_selectorIlNS0_10empty_typeEEEZZNS1_27merge_sort_block_merge_implIS3_PlPS5_mZN2at6native12_GLOBAL__N_124unique_dim_cuda_templateIhEESt5tupleIJNSA_6TensorESF_SF_EERKSF_lbbbEUlllE_EE10hipError_tT0_T1_T2_jT3_P12ihipStream_tbPNSt15iterator_traitsISL_E10value_typeEPNSR_ISM_E10value_typeEPSN_NS1_7vsmem_tEENKUlT_SL_SM_SN_E_clIS8_S8_S9_S9_EESK_S10_SL_SM_SN_EUlS10_E0_NS1_11comp_targetILNS1_3genE3ELNS1_11target_archE908ELNS1_3gpuE7ELNS1_3repE0EEENS1_38merge_mergepath_config_static_selectorELNS0_4arch9wavefront6targetE1EEEvSM_
                                        ; -- End function
	.set _ZN7rocprim17ROCPRIM_400000_NS6detail17trampoline_kernelINS0_14default_configENS1_38merge_sort_block_merge_config_selectorIlNS0_10empty_typeEEEZZNS1_27merge_sort_block_merge_implIS3_PlPS5_mZN2at6native12_GLOBAL__N_124unique_dim_cuda_templateIhEESt5tupleIJNSA_6TensorESF_SF_EERKSF_lbbbEUlllE_EE10hipError_tT0_T1_T2_jT3_P12ihipStream_tbPNSt15iterator_traitsISL_E10value_typeEPNSR_ISM_E10value_typeEPSN_NS1_7vsmem_tEENKUlT_SL_SM_SN_E_clIS8_S8_S9_S9_EESK_S10_SL_SM_SN_EUlS10_E0_NS1_11comp_targetILNS1_3genE3ELNS1_11target_archE908ELNS1_3gpuE7ELNS1_3repE0EEENS1_38merge_mergepath_config_static_selectorELNS0_4arch9wavefront6targetE1EEEvSM_.num_vgpr, 0
	.set _ZN7rocprim17ROCPRIM_400000_NS6detail17trampoline_kernelINS0_14default_configENS1_38merge_sort_block_merge_config_selectorIlNS0_10empty_typeEEEZZNS1_27merge_sort_block_merge_implIS3_PlPS5_mZN2at6native12_GLOBAL__N_124unique_dim_cuda_templateIhEESt5tupleIJNSA_6TensorESF_SF_EERKSF_lbbbEUlllE_EE10hipError_tT0_T1_T2_jT3_P12ihipStream_tbPNSt15iterator_traitsISL_E10value_typeEPNSR_ISM_E10value_typeEPSN_NS1_7vsmem_tEENKUlT_SL_SM_SN_E_clIS8_S8_S9_S9_EESK_S10_SL_SM_SN_EUlS10_E0_NS1_11comp_targetILNS1_3genE3ELNS1_11target_archE908ELNS1_3gpuE7ELNS1_3repE0EEENS1_38merge_mergepath_config_static_selectorELNS0_4arch9wavefront6targetE1EEEvSM_.num_agpr, 0
	.set _ZN7rocprim17ROCPRIM_400000_NS6detail17trampoline_kernelINS0_14default_configENS1_38merge_sort_block_merge_config_selectorIlNS0_10empty_typeEEEZZNS1_27merge_sort_block_merge_implIS3_PlPS5_mZN2at6native12_GLOBAL__N_124unique_dim_cuda_templateIhEESt5tupleIJNSA_6TensorESF_SF_EERKSF_lbbbEUlllE_EE10hipError_tT0_T1_T2_jT3_P12ihipStream_tbPNSt15iterator_traitsISL_E10value_typeEPNSR_ISM_E10value_typeEPSN_NS1_7vsmem_tEENKUlT_SL_SM_SN_E_clIS8_S8_S9_S9_EESK_S10_SL_SM_SN_EUlS10_E0_NS1_11comp_targetILNS1_3genE3ELNS1_11target_archE908ELNS1_3gpuE7ELNS1_3repE0EEENS1_38merge_mergepath_config_static_selectorELNS0_4arch9wavefront6targetE1EEEvSM_.numbered_sgpr, 0
	.set _ZN7rocprim17ROCPRIM_400000_NS6detail17trampoline_kernelINS0_14default_configENS1_38merge_sort_block_merge_config_selectorIlNS0_10empty_typeEEEZZNS1_27merge_sort_block_merge_implIS3_PlPS5_mZN2at6native12_GLOBAL__N_124unique_dim_cuda_templateIhEESt5tupleIJNSA_6TensorESF_SF_EERKSF_lbbbEUlllE_EE10hipError_tT0_T1_T2_jT3_P12ihipStream_tbPNSt15iterator_traitsISL_E10value_typeEPNSR_ISM_E10value_typeEPSN_NS1_7vsmem_tEENKUlT_SL_SM_SN_E_clIS8_S8_S9_S9_EESK_S10_SL_SM_SN_EUlS10_E0_NS1_11comp_targetILNS1_3genE3ELNS1_11target_archE908ELNS1_3gpuE7ELNS1_3repE0EEENS1_38merge_mergepath_config_static_selectorELNS0_4arch9wavefront6targetE1EEEvSM_.num_named_barrier, 0
	.set _ZN7rocprim17ROCPRIM_400000_NS6detail17trampoline_kernelINS0_14default_configENS1_38merge_sort_block_merge_config_selectorIlNS0_10empty_typeEEEZZNS1_27merge_sort_block_merge_implIS3_PlPS5_mZN2at6native12_GLOBAL__N_124unique_dim_cuda_templateIhEESt5tupleIJNSA_6TensorESF_SF_EERKSF_lbbbEUlllE_EE10hipError_tT0_T1_T2_jT3_P12ihipStream_tbPNSt15iterator_traitsISL_E10value_typeEPNSR_ISM_E10value_typeEPSN_NS1_7vsmem_tEENKUlT_SL_SM_SN_E_clIS8_S8_S9_S9_EESK_S10_SL_SM_SN_EUlS10_E0_NS1_11comp_targetILNS1_3genE3ELNS1_11target_archE908ELNS1_3gpuE7ELNS1_3repE0EEENS1_38merge_mergepath_config_static_selectorELNS0_4arch9wavefront6targetE1EEEvSM_.private_seg_size, 0
	.set _ZN7rocprim17ROCPRIM_400000_NS6detail17trampoline_kernelINS0_14default_configENS1_38merge_sort_block_merge_config_selectorIlNS0_10empty_typeEEEZZNS1_27merge_sort_block_merge_implIS3_PlPS5_mZN2at6native12_GLOBAL__N_124unique_dim_cuda_templateIhEESt5tupleIJNSA_6TensorESF_SF_EERKSF_lbbbEUlllE_EE10hipError_tT0_T1_T2_jT3_P12ihipStream_tbPNSt15iterator_traitsISL_E10value_typeEPNSR_ISM_E10value_typeEPSN_NS1_7vsmem_tEENKUlT_SL_SM_SN_E_clIS8_S8_S9_S9_EESK_S10_SL_SM_SN_EUlS10_E0_NS1_11comp_targetILNS1_3genE3ELNS1_11target_archE908ELNS1_3gpuE7ELNS1_3repE0EEENS1_38merge_mergepath_config_static_selectorELNS0_4arch9wavefront6targetE1EEEvSM_.uses_vcc, 0
	.set _ZN7rocprim17ROCPRIM_400000_NS6detail17trampoline_kernelINS0_14default_configENS1_38merge_sort_block_merge_config_selectorIlNS0_10empty_typeEEEZZNS1_27merge_sort_block_merge_implIS3_PlPS5_mZN2at6native12_GLOBAL__N_124unique_dim_cuda_templateIhEESt5tupleIJNSA_6TensorESF_SF_EERKSF_lbbbEUlllE_EE10hipError_tT0_T1_T2_jT3_P12ihipStream_tbPNSt15iterator_traitsISL_E10value_typeEPNSR_ISM_E10value_typeEPSN_NS1_7vsmem_tEENKUlT_SL_SM_SN_E_clIS8_S8_S9_S9_EESK_S10_SL_SM_SN_EUlS10_E0_NS1_11comp_targetILNS1_3genE3ELNS1_11target_archE908ELNS1_3gpuE7ELNS1_3repE0EEENS1_38merge_mergepath_config_static_selectorELNS0_4arch9wavefront6targetE1EEEvSM_.uses_flat_scratch, 0
	.set _ZN7rocprim17ROCPRIM_400000_NS6detail17trampoline_kernelINS0_14default_configENS1_38merge_sort_block_merge_config_selectorIlNS0_10empty_typeEEEZZNS1_27merge_sort_block_merge_implIS3_PlPS5_mZN2at6native12_GLOBAL__N_124unique_dim_cuda_templateIhEESt5tupleIJNSA_6TensorESF_SF_EERKSF_lbbbEUlllE_EE10hipError_tT0_T1_T2_jT3_P12ihipStream_tbPNSt15iterator_traitsISL_E10value_typeEPNSR_ISM_E10value_typeEPSN_NS1_7vsmem_tEENKUlT_SL_SM_SN_E_clIS8_S8_S9_S9_EESK_S10_SL_SM_SN_EUlS10_E0_NS1_11comp_targetILNS1_3genE3ELNS1_11target_archE908ELNS1_3gpuE7ELNS1_3repE0EEENS1_38merge_mergepath_config_static_selectorELNS0_4arch9wavefront6targetE1EEEvSM_.has_dyn_sized_stack, 0
	.set _ZN7rocprim17ROCPRIM_400000_NS6detail17trampoline_kernelINS0_14default_configENS1_38merge_sort_block_merge_config_selectorIlNS0_10empty_typeEEEZZNS1_27merge_sort_block_merge_implIS3_PlPS5_mZN2at6native12_GLOBAL__N_124unique_dim_cuda_templateIhEESt5tupleIJNSA_6TensorESF_SF_EERKSF_lbbbEUlllE_EE10hipError_tT0_T1_T2_jT3_P12ihipStream_tbPNSt15iterator_traitsISL_E10value_typeEPNSR_ISM_E10value_typeEPSN_NS1_7vsmem_tEENKUlT_SL_SM_SN_E_clIS8_S8_S9_S9_EESK_S10_SL_SM_SN_EUlS10_E0_NS1_11comp_targetILNS1_3genE3ELNS1_11target_archE908ELNS1_3gpuE7ELNS1_3repE0EEENS1_38merge_mergepath_config_static_selectorELNS0_4arch9wavefront6targetE1EEEvSM_.has_recursion, 0
	.set _ZN7rocprim17ROCPRIM_400000_NS6detail17trampoline_kernelINS0_14default_configENS1_38merge_sort_block_merge_config_selectorIlNS0_10empty_typeEEEZZNS1_27merge_sort_block_merge_implIS3_PlPS5_mZN2at6native12_GLOBAL__N_124unique_dim_cuda_templateIhEESt5tupleIJNSA_6TensorESF_SF_EERKSF_lbbbEUlllE_EE10hipError_tT0_T1_T2_jT3_P12ihipStream_tbPNSt15iterator_traitsISL_E10value_typeEPNSR_ISM_E10value_typeEPSN_NS1_7vsmem_tEENKUlT_SL_SM_SN_E_clIS8_S8_S9_S9_EESK_S10_SL_SM_SN_EUlS10_E0_NS1_11comp_targetILNS1_3genE3ELNS1_11target_archE908ELNS1_3gpuE7ELNS1_3repE0EEENS1_38merge_mergepath_config_static_selectorELNS0_4arch9wavefront6targetE1EEEvSM_.has_indirect_call, 0
	.section	.AMDGPU.csdata,"",@progbits
; Kernel info:
; codeLenInByte = 0
; TotalNumSgprs: 6
; NumVgprs: 0
; NumAgprs: 0
; TotalNumVgprs: 0
; ScratchSize: 0
; MemoryBound: 0
; FloatMode: 240
; IeeeMode: 1
; LDSByteSize: 0 bytes/workgroup (compile time only)
; SGPRBlocks: 0
; VGPRBlocks: 0
; NumSGPRsForWavesPerEU: 6
; NumVGPRsForWavesPerEU: 1
; AccumOffset: 4
; Occupancy: 8
; WaveLimiterHint : 0
; COMPUTE_PGM_RSRC2:SCRATCH_EN: 0
; COMPUTE_PGM_RSRC2:USER_SGPR: 2
; COMPUTE_PGM_RSRC2:TRAP_HANDLER: 0
; COMPUTE_PGM_RSRC2:TGID_X_EN: 1
; COMPUTE_PGM_RSRC2:TGID_Y_EN: 0
; COMPUTE_PGM_RSRC2:TGID_Z_EN: 0
; COMPUTE_PGM_RSRC2:TIDIG_COMP_CNT: 0
; COMPUTE_PGM_RSRC3_GFX90A:ACCUM_OFFSET: 0
; COMPUTE_PGM_RSRC3_GFX90A:TG_SPLIT: 0
	.section	.text._ZN7rocprim17ROCPRIM_400000_NS6detail17trampoline_kernelINS0_14default_configENS1_38merge_sort_block_merge_config_selectorIlNS0_10empty_typeEEEZZNS1_27merge_sort_block_merge_implIS3_PlPS5_mZN2at6native12_GLOBAL__N_124unique_dim_cuda_templateIhEESt5tupleIJNSA_6TensorESF_SF_EERKSF_lbbbEUlllE_EE10hipError_tT0_T1_T2_jT3_P12ihipStream_tbPNSt15iterator_traitsISL_E10value_typeEPNSR_ISM_E10value_typeEPSN_NS1_7vsmem_tEENKUlT_SL_SM_SN_E_clIS8_S8_S9_S9_EESK_S10_SL_SM_SN_EUlS10_E0_NS1_11comp_targetILNS1_3genE2ELNS1_11target_archE906ELNS1_3gpuE6ELNS1_3repE0EEENS1_38merge_mergepath_config_static_selectorELNS0_4arch9wavefront6targetE1EEEvSM_,"axG",@progbits,_ZN7rocprim17ROCPRIM_400000_NS6detail17trampoline_kernelINS0_14default_configENS1_38merge_sort_block_merge_config_selectorIlNS0_10empty_typeEEEZZNS1_27merge_sort_block_merge_implIS3_PlPS5_mZN2at6native12_GLOBAL__N_124unique_dim_cuda_templateIhEESt5tupleIJNSA_6TensorESF_SF_EERKSF_lbbbEUlllE_EE10hipError_tT0_T1_T2_jT3_P12ihipStream_tbPNSt15iterator_traitsISL_E10value_typeEPNSR_ISM_E10value_typeEPSN_NS1_7vsmem_tEENKUlT_SL_SM_SN_E_clIS8_S8_S9_S9_EESK_S10_SL_SM_SN_EUlS10_E0_NS1_11comp_targetILNS1_3genE2ELNS1_11target_archE906ELNS1_3gpuE6ELNS1_3repE0EEENS1_38merge_mergepath_config_static_selectorELNS0_4arch9wavefront6targetE1EEEvSM_,comdat
	.globl	_ZN7rocprim17ROCPRIM_400000_NS6detail17trampoline_kernelINS0_14default_configENS1_38merge_sort_block_merge_config_selectorIlNS0_10empty_typeEEEZZNS1_27merge_sort_block_merge_implIS3_PlPS5_mZN2at6native12_GLOBAL__N_124unique_dim_cuda_templateIhEESt5tupleIJNSA_6TensorESF_SF_EERKSF_lbbbEUlllE_EE10hipError_tT0_T1_T2_jT3_P12ihipStream_tbPNSt15iterator_traitsISL_E10value_typeEPNSR_ISM_E10value_typeEPSN_NS1_7vsmem_tEENKUlT_SL_SM_SN_E_clIS8_S8_S9_S9_EESK_S10_SL_SM_SN_EUlS10_E0_NS1_11comp_targetILNS1_3genE2ELNS1_11target_archE906ELNS1_3gpuE6ELNS1_3repE0EEENS1_38merge_mergepath_config_static_selectorELNS0_4arch9wavefront6targetE1EEEvSM_ ; -- Begin function _ZN7rocprim17ROCPRIM_400000_NS6detail17trampoline_kernelINS0_14default_configENS1_38merge_sort_block_merge_config_selectorIlNS0_10empty_typeEEEZZNS1_27merge_sort_block_merge_implIS3_PlPS5_mZN2at6native12_GLOBAL__N_124unique_dim_cuda_templateIhEESt5tupleIJNSA_6TensorESF_SF_EERKSF_lbbbEUlllE_EE10hipError_tT0_T1_T2_jT3_P12ihipStream_tbPNSt15iterator_traitsISL_E10value_typeEPNSR_ISM_E10value_typeEPSN_NS1_7vsmem_tEENKUlT_SL_SM_SN_E_clIS8_S8_S9_S9_EESK_S10_SL_SM_SN_EUlS10_E0_NS1_11comp_targetILNS1_3genE2ELNS1_11target_archE906ELNS1_3gpuE6ELNS1_3repE0EEENS1_38merge_mergepath_config_static_selectorELNS0_4arch9wavefront6targetE1EEEvSM_
	.p2align	8
	.type	_ZN7rocprim17ROCPRIM_400000_NS6detail17trampoline_kernelINS0_14default_configENS1_38merge_sort_block_merge_config_selectorIlNS0_10empty_typeEEEZZNS1_27merge_sort_block_merge_implIS3_PlPS5_mZN2at6native12_GLOBAL__N_124unique_dim_cuda_templateIhEESt5tupleIJNSA_6TensorESF_SF_EERKSF_lbbbEUlllE_EE10hipError_tT0_T1_T2_jT3_P12ihipStream_tbPNSt15iterator_traitsISL_E10value_typeEPNSR_ISM_E10value_typeEPSN_NS1_7vsmem_tEENKUlT_SL_SM_SN_E_clIS8_S8_S9_S9_EESK_S10_SL_SM_SN_EUlS10_E0_NS1_11comp_targetILNS1_3genE2ELNS1_11target_archE906ELNS1_3gpuE6ELNS1_3repE0EEENS1_38merge_mergepath_config_static_selectorELNS0_4arch9wavefront6targetE1EEEvSM_,@function
_ZN7rocprim17ROCPRIM_400000_NS6detail17trampoline_kernelINS0_14default_configENS1_38merge_sort_block_merge_config_selectorIlNS0_10empty_typeEEEZZNS1_27merge_sort_block_merge_implIS3_PlPS5_mZN2at6native12_GLOBAL__N_124unique_dim_cuda_templateIhEESt5tupleIJNSA_6TensorESF_SF_EERKSF_lbbbEUlllE_EE10hipError_tT0_T1_T2_jT3_P12ihipStream_tbPNSt15iterator_traitsISL_E10value_typeEPNSR_ISM_E10value_typeEPSN_NS1_7vsmem_tEENKUlT_SL_SM_SN_E_clIS8_S8_S9_S9_EESK_S10_SL_SM_SN_EUlS10_E0_NS1_11comp_targetILNS1_3genE2ELNS1_11target_archE906ELNS1_3gpuE6ELNS1_3repE0EEENS1_38merge_mergepath_config_static_selectorELNS0_4arch9wavefront6targetE1EEEvSM_: ; @_ZN7rocprim17ROCPRIM_400000_NS6detail17trampoline_kernelINS0_14default_configENS1_38merge_sort_block_merge_config_selectorIlNS0_10empty_typeEEEZZNS1_27merge_sort_block_merge_implIS3_PlPS5_mZN2at6native12_GLOBAL__N_124unique_dim_cuda_templateIhEESt5tupleIJNSA_6TensorESF_SF_EERKSF_lbbbEUlllE_EE10hipError_tT0_T1_T2_jT3_P12ihipStream_tbPNSt15iterator_traitsISL_E10value_typeEPNSR_ISM_E10value_typeEPSN_NS1_7vsmem_tEENKUlT_SL_SM_SN_E_clIS8_S8_S9_S9_EESK_S10_SL_SM_SN_EUlS10_E0_NS1_11comp_targetILNS1_3genE2ELNS1_11target_archE906ELNS1_3gpuE6ELNS1_3repE0EEENS1_38merge_mergepath_config_static_selectorELNS0_4arch9wavefront6targetE1EEEvSM_
; %bb.0:
	.section	.rodata,"a",@progbits
	.p2align	6, 0x0
	.amdhsa_kernel _ZN7rocprim17ROCPRIM_400000_NS6detail17trampoline_kernelINS0_14default_configENS1_38merge_sort_block_merge_config_selectorIlNS0_10empty_typeEEEZZNS1_27merge_sort_block_merge_implIS3_PlPS5_mZN2at6native12_GLOBAL__N_124unique_dim_cuda_templateIhEESt5tupleIJNSA_6TensorESF_SF_EERKSF_lbbbEUlllE_EE10hipError_tT0_T1_T2_jT3_P12ihipStream_tbPNSt15iterator_traitsISL_E10value_typeEPNSR_ISM_E10value_typeEPSN_NS1_7vsmem_tEENKUlT_SL_SM_SN_E_clIS8_S8_S9_S9_EESK_S10_SL_SM_SN_EUlS10_E0_NS1_11comp_targetILNS1_3genE2ELNS1_11target_archE906ELNS1_3gpuE6ELNS1_3repE0EEENS1_38merge_mergepath_config_static_selectorELNS0_4arch9wavefront6targetE1EEEvSM_
		.amdhsa_group_segment_fixed_size 0
		.amdhsa_private_segment_fixed_size 0
		.amdhsa_kernarg_size 88
		.amdhsa_user_sgpr_count 2
		.amdhsa_user_sgpr_dispatch_ptr 0
		.amdhsa_user_sgpr_queue_ptr 0
		.amdhsa_user_sgpr_kernarg_segment_ptr 1
		.amdhsa_user_sgpr_dispatch_id 0
		.amdhsa_user_sgpr_kernarg_preload_length 0
		.amdhsa_user_sgpr_kernarg_preload_offset 0
		.amdhsa_user_sgpr_private_segment_size 0
		.amdhsa_uses_dynamic_stack 0
		.amdhsa_enable_private_segment 0
		.amdhsa_system_sgpr_workgroup_id_x 1
		.amdhsa_system_sgpr_workgroup_id_y 0
		.amdhsa_system_sgpr_workgroup_id_z 0
		.amdhsa_system_sgpr_workgroup_info 0
		.amdhsa_system_vgpr_workitem_id 0
		.amdhsa_next_free_vgpr 1
		.amdhsa_next_free_sgpr 0
		.amdhsa_accum_offset 4
		.amdhsa_reserve_vcc 0
		.amdhsa_float_round_mode_32 0
		.amdhsa_float_round_mode_16_64 0
		.amdhsa_float_denorm_mode_32 3
		.amdhsa_float_denorm_mode_16_64 3
		.amdhsa_dx10_clamp 1
		.amdhsa_ieee_mode 1
		.amdhsa_fp16_overflow 0
		.amdhsa_tg_split 0
		.amdhsa_exception_fp_ieee_invalid_op 0
		.amdhsa_exception_fp_denorm_src 0
		.amdhsa_exception_fp_ieee_div_zero 0
		.amdhsa_exception_fp_ieee_overflow 0
		.amdhsa_exception_fp_ieee_underflow 0
		.amdhsa_exception_fp_ieee_inexact 0
		.amdhsa_exception_int_div_zero 0
	.end_amdhsa_kernel
	.section	.text._ZN7rocprim17ROCPRIM_400000_NS6detail17trampoline_kernelINS0_14default_configENS1_38merge_sort_block_merge_config_selectorIlNS0_10empty_typeEEEZZNS1_27merge_sort_block_merge_implIS3_PlPS5_mZN2at6native12_GLOBAL__N_124unique_dim_cuda_templateIhEESt5tupleIJNSA_6TensorESF_SF_EERKSF_lbbbEUlllE_EE10hipError_tT0_T1_T2_jT3_P12ihipStream_tbPNSt15iterator_traitsISL_E10value_typeEPNSR_ISM_E10value_typeEPSN_NS1_7vsmem_tEENKUlT_SL_SM_SN_E_clIS8_S8_S9_S9_EESK_S10_SL_SM_SN_EUlS10_E0_NS1_11comp_targetILNS1_3genE2ELNS1_11target_archE906ELNS1_3gpuE6ELNS1_3repE0EEENS1_38merge_mergepath_config_static_selectorELNS0_4arch9wavefront6targetE1EEEvSM_,"axG",@progbits,_ZN7rocprim17ROCPRIM_400000_NS6detail17trampoline_kernelINS0_14default_configENS1_38merge_sort_block_merge_config_selectorIlNS0_10empty_typeEEEZZNS1_27merge_sort_block_merge_implIS3_PlPS5_mZN2at6native12_GLOBAL__N_124unique_dim_cuda_templateIhEESt5tupleIJNSA_6TensorESF_SF_EERKSF_lbbbEUlllE_EE10hipError_tT0_T1_T2_jT3_P12ihipStream_tbPNSt15iterator_traitsISL_E10value_typeEPNSR_ISM_E10value_typeEPSN_NS1_7vsmem_tEENKUlT_SL_SM_SN_E_clIS8_S8_S9_S9_EESK_S10_SL_SM_SN_EUlS10_E0_NS1_11comp_targetILNS1_3genE2ELNS1_11target_archE906ELNS1_3gpuE6ELNS1_3repE0EEENS1_38merge_mergepath_config_static_selectorELNS0_4arch9wavefront6targetE1EEEvSM_,comdat
.Lfunc_end31:
	.size	_ZN7rocprim17ROCPRIM_400000_NS6detail17trampoline_kernelINS0_14default_configENS1_38merge_sort_block_merge_config_selectorIlNS0_10empty_typeEEEZZNS1_27merge_sort_block_merge_implIS3_PlPS5_mZN2at6native12_GLOBAL__N_124unique_dim_cuda_templateIhEESt5tupleIJNSA_6TensorESF_SF_EERKSF_lbbbEUlllE_EE10hipError_tT0_T1_T2_jT3_P12ihipStream_tbPNSt15iterator_traitsISL_E10value_typeEPNSR_ISM_E10value_typeEPSN_NS1_7vsmem_tEENKUlT_SL_SM_SN_E_clIS8_S8_S9_S9_EESK_S10_SL_SM_SN_EUlS10_E0_NS1_11comp_targetILNS1_3genE2ELNS1_11target_archE906ELNS1_3gpuE6ELNS1_3repE0EEENS1_38merge_mergepath_config_static_selectorELNS0_4arch9wavefront6targetE1EEEvSM_, .Lfunc_end31-_ZN7rocprim17ROCPRIM_400000_NS6detail17trampoline_kernelINS0_14default_configENS1_38merge_sort_block_merge_config_selectorIlNS0_10empty_typeEEEZZNS1_27merge_sort_block_merge_implIS3_PlPS5_mZN2at6native12_GLOBAL__N_124unique_dim_cuda_templateIhEESt5tupleIJNSA_6TensorESF_SF_EERKSF_lbbbEUlllE_EE10hipError_tT0_T1_T2_jT3_P12ihipStream_tbPNSt15iterator_traitsISL_E10value_typeEPNSR_ISM_E10value_typeEPSN_NS1_7vsmem_tEENKUlT_SL_SM_SN_E_clIS8_S8_S9_S9_EESK_S10_SL_SM_SN_EUlS10_E0_NS1_11comp_targetILNS1_3genE2ELNS1_11target_archE906ELNS1_3gpuE6ELNS1_3repE0EEENS1_38merge_mergepath_config_static_selectorELNS0_4arch9wavefront6targetE1EEEvSM_
                                        ; -- End function
	.set _ZN7rocprim17ROCPRIM_400000_NS6detail17trampoline_kernelINS0_14default_configENS1_38merge_sort_block_merge_config_selectorIlNS0_10empty_typeEEEZZNS1_27merge_sort_block_merge_implIS3_PlPS5_mZN2at6native12_GLOBAL__N_124unique_dim_cuda_templateIhEESt5tupleIJNSA_6TensorESF_SF_EERKSF_lbbbEUlllE_EE10hipError_tT0_T1_T2_jT3_P12ihipStream_tbPNSt15iterator_traitsISL_E10value_typeEPNSR_ISM_E10value_typeEPSN_NS1_7vsmem_tEENKUlT_SL_SM_SN_E_clIS8_S8_S9_S9_EESK_S10_SL_SM_SN_EUlS10_E0_NS1_11comp_targetILNS1_3genE2ELNS1_11target_archE906ELNS1_3gpuE6ELNS1_3repE0EEENS1_38merge_mergepath_config_static_selectorELNS0_4arch9wavefront6targetE1EEEvSM_.num_vgpr, 0
	.set _ZN7rocprim17ROCPRIM_400000_NS6detail17trampoline_kernelINS0_14default_configENS1_38merge_sort_block_merge_config_selectorIlNS0_10empty_typeEEEZZNS1_27merge_sort_block_merge_implIS3_PlPS5_mZN2at6native12_GLOBAL__N_124unique_dim_cuda_templateIhEESt5tupleIJNSA_6TensorESF_SF_EERKSF_lbbbEUlllE_EE10hipError_tT0_T1_T2_jT3_P12ihipStream_tbPNSt15iterator_traitsISL_E10value_typeEPNSR_ISM_E10value_typeEPSN_NS1_7vsmem_tEENKUlT_SL_SM_SN_E_clIS8_S8_S9_S9_EESK_S10_SL_SM_SN_EUlS10_E0_NS1_11comp_targetILNS1_3genE2ELNS1_11target_archE906ELNS1_3gpuE6ELNS1_3repE0EEENS1_38merge_mergepath_config_static_selectorELNS0_4arch9wavefront6targetE1EEEvSM_.num_agpr, 0
	.set _ZN7rocprim17ROCPRIM_400000_NS6detail17trampoline_kernelINS0_14default_configENS1_38merge_sort_block_merge_config_selectorIlNS0_10empty_typeEEEZZNS1_27merge_sort_block_merge_implIS3_PlPS5_mZN2at6native12_GLOBAL__N_124unique_dim_cuda_templateIhEESt5tupleIJNSA_6TensorESF_SF_EERKSF_lbbbEUlllE_EE10hipError_tT0_T1_T2_jT3_P12ihipStream_tbPNSt15iterator_traitsISL_E10value_typeEPNSR_ISM_E10value_typeEPSN_NS1_7vsmem_tEENKUlT_SL_SM_SN_E_clIS8_S8_S9_S9_EESK_S10_SL_SM_SN_EUlS10_E0_NS1_11comp_targetILNS1_3genE2ELNS1_11target_archE906ELNS1_3gpuE6ELNS1_3repE0EEENS1_38merge_mergepath_config_static_selectorELNS0_4arch9wavefront6targetE1EEEvSM_.numbered_sgpr, 0
	.set _ZN7rocprim17ROCPRIM_400000_NS6detail17trampoline_kernelINS0_14default_configENS1_38merge_sort_block_merge_config_selectorIlNS0_10empty_typeEEEZZNS1_27merge_sort_block_merge_implIS3_PlPS5_mZN2at6native12_GLOBAL__N_124unique_dim_cuda_templateIhEESt5tupleIJNSA_6TensorESF_SF_EERKSF_lbbbEUlllE_EE10hipError_tT0_T1_T2_jT3_P12ihipStream_tbPNSt15iterator_traitsISL_E10value_typeEPNSR_ISM_E10value_typeEPSN_NS1_7vsmem_tEENKUlT_SL_SM_SN_E_clIS8_S8_S9_S9_EESK_S10_SL_SM_SN_EUlS10_E0_NS1_11comp_targetILNS1_3genE2ELNS1_11target_archE906ELNS1_3gpuE6ELNS1_3repE0EEENS1_38merge_mergepath_config_static_selectorELNS0_4arch9wavefront6targetE1EEEvSM_.num_named_barrier, 0
	.set _ZN7rocprim17ROCPRIM_400000_NS6detail17trampoline_kernelINS0_14default_configENS1_38merge_sort_block_merge_config_selectorIlNS0_10empty_typeEEEZZNS1_27merge_sort_block_merge_implIS3_PlPS5_mZN2at6native12_GLOBAL__N_124unique_dim_cuda_templateIhEESt5tupleIJNSA_6TensorESF_SF_EERKSF_lbbbEUlllE_EE10hipError_tT0_T1_T2_jT3_P12ihipStream_tbPNSt15iterator_traitsISL_E10value_typeEPNSR_ISM_E10value_typeEPSN_NS1_7vsmem_tEENKUlT_SL_SM_SN_E_clIS8_S8_S9_S9_EESK_S10_SL_SM_SN_EUlS10_E0_NS1_11comp_targetILNS1_3genE2ELNS1_11target_archE906ELNS1_3gpuE6ELNS1_3repE0EEENS1_38merge_mergepath_config_static_selectorELNS0_4arch9wavefront6targetE1EEEvSM_.private_seg_size, 0
	.set _ZN7rocprim17ROCPRIM_400000_NS6detail17trampoline_kernelINS0_14default_configENS1_38merge_sort_block_merge_config_selectorIlNS0_10empty_typeEEEZZNS1_27merge_sort_block_merge_implIS3_PlPS5_mZN2at6native12_GLOBAL__N_124unique_dim_cuda_templateIhEESt5tupleIJNSA_6TensorESF_SF_EERKSF_lbbbEUlllE_EE10hipError_tT0_T1_T2_jT3_P12ihipStream_tbPNSt15iterator_traitsISL_E10value_typeEPNSR_ISM_E10value_typeEPSN_NS1_7vsmem_tEENKUlT_SL_SM_SN_E_clIS8_S8_S9_S9_EESK_S10_SL_SM_SN_EUlS10_E0_NS1_11comp_targetILNS1_3genE2ELNS1_11target_archE906ELNS1_3gpuE6ELNS1_3repE0EEENS1_38merge_mergepath_config_static_selectorELNS0_4arch9wavefront6targetE1EEEvSM_.uses_vcc, 0
	.set _ZN7rocprim17ROCPRIM_400000_NS6detail17trampoline_kernelINS0_14default_configENS1_38merge_sort_block_merge_config_selectorIlNS0_10empty_typeEEEZZNS1_27merge_sort_block_merge_implIS3_PlPS5_mZN2at6native12_GLOBAL__N_124unique_dim_cuda_templateIhEESt5tupleIJNSA_6TensorESF_SF_EERKSF_lbbbEUlllE_EE10hipError_tT0_T1_T2_jT3_P12ihipStream_tbPNSt15iterator_traitsISL_E10value_typeEPNSR_ISM_E10value_typeEPSN_NS1_7vsmem_tEENKUlT_SL_SM_SN_E_clIS8_S8_S9_S9_EESK_S10_SL_SM_SN_EUlS10_E0_NS1_11comp_targetILNS1_3genE2ELNS1_11target_archE906ELNS1_3gpuE6ELNS1_3repE0EEENS1_38merge_mergepath_config_static_selectorELNS0_4arch9wavefront6targetE1EEEvSM_.uses_flat_scratch, 0
	.set _ZN7rocprim17ROCPRIM_400000_NS6detail17trampoline_kernelINS0_14default_configENS1_38merge_sort_block_merge_config_selectorIlNS0_10empty_typeEEEZZNS1_27merge_sort_block_merge_implIS3_PlPS5_mZN2at6native12_GLOBAL__N_124unique_dim_cuda_templateIhEESt5tupleIJNSA_6TensorESF_SF_EERKSF_lbbbEUlllE_EE10hipError_tT0_T1_T2_jT3_P12ihipStream_tbPNSt15iterator_traitsISL_E10value_typeEPNSR_ISM_E10value_typeEPSN_NS1_7vsmem_tEENKUlT_SL_SM_SN_E_clIS8_S8_S9_S9_EESK_S10_SL_SM_SN_EUlS10_E0_NS1_11comp_targetILNS1_3genE2ELNS1_11target_archE906ELNS1_3gpuE6ELNS1_3repE0EEENS1_38merge_mergepath_config_static_selectorELNS0_4arch9wavefront6targetE1EEEvSM_.has_dyn_sized_stack, 0
	.set _ZN7rocprim17ROCPRIM_400000_NS6detail17trampoline_kernelINS0_14default_configENS1_38merge_sort_block_merge_config_selectorIlNS0_10empty_typeEEEZZNS1_27merge_sort_block_merge_implIS3_PlPS5_mZN2at6native12_GLOBAL__N_124unique_dim_cuda_templateIhEESt5tupleIJNSA_6TensorESF_SF_EERKSF_lbbbEUlllE_EE10hipError_tT0_T1_T2_jT3_P12ihipStream_tbPNSt15iterator_traitsISL_E10value_typeEPNSR_ISM_E10value_typeEPSN_NS1_7vsmem_tEENKUlT_SL_SM_SN_E_clIS8_S8_S9_S9_EESK_S10_SL_SM_SN_EUlS10_E0_NS1_11comp_targetILNS1_3genE2ELNS1_11target_archE906ELNS1_3gpuE6ELNS1_3repE0EEENS1_38merge_mergepath_config_static_selectorELNS0_4arch9wavefront6targetE1EEEvSM_.has_recursion, 0
	.set _ZN7rocprim17ROCPRIM_400000_NS6detail17trampoline_kernelINS0_14default_configENS1_38merge_sort_block_merge_config_selectorIlNS0_10empty_typeEEEZZNS1_27merge_sort_block_merge_implIS3_PlPS5_mZN2at6native12_GLOBAL__N_124unique_dim_cuda_templateIhEESt5tupleIJNSA_6TensorESF_SF_EERKSF_lbbbEUlllE_EE10hipError_tT0_T1_T2_jT3_P12ihipStream_tbPNSt15iterator_traitsISL_E10value_typeEPNSR_ISM_E10value_typeEPSN_NS1_7vsmem_tEENKUlT_SL_SM_SN_E_clIS8_S8_S9_S9_EESK_S10_SL_SM_SN_EUlS10_E0_NS1_11comp_targetILNS1_3genE2ELNS1_11target_archE906ELNS1_3gpuE6ELNS1_3repE0EEENS1_38merge_mergepath_config_static_selectorELNS0_4arch9wavefront6targetE1EEEvSM_.has_indirect_call, 0
	.section	.AMDGPU.csdata,"",@progbits
; Kernel info:
; codeLenInByte = 0
; TotalNumSgprs: 6
; NumVgprs: 0
; NumAgprs: 0
; TotalNumVgprs: 0
; ScratchSize: 0
; MemoryBound: 0
; FloatMode: 240
; IeeeMode: 1
; LDSByteSize: 0 bytes/workgroup (compile time only)
; SGPRBlocks: 0
; VGPRBlocks: 0
; NumSGPRsForWavesPerEU: 6
; NumVGPRsForWavesPerEU: 1
; AccumOffset: 4
; Occupancy: 8
; WaveLimiterHint : 0
; COMPUTE_PGM_RSRC2:SCRATCH_EN: 0
; COMPUTE_PGM_RSRC2:USER_SGPR: 2
; COMPUTE_PGM_RSRC2:TRAP_HANDLER: 0
; COMPUTE_PGM_RSRC2:TGID_X_EN: 1
; COMPUTE_PGM_RSRC2:TGID_Y_EN: 0
; COMPUTE_PGM_RSRC2:TGID_Z_EN: 0
; COMPUTE_PGM_RSRC2:TIDIG_COMP_CNT: 0
; COMPUTE_PGM_RSRC3_GFX90A:ACCUM_OFFSET: 0
; COMPUTE_PGM_RSRC3_GFX90A:TG_SPLIT: 0
	.section	.text._ZN7rocprim17ROCPRIM_400000_NS6detail17trampoline_kernelINS0_14default_configENS1_38merge_sort_block_merge_config_selectorIlNS0_10empty_typeEEEZZNS1_27merge_sort_block_merge_implIS3_PlPS5_mZN2at6native12_GLOBAL__N_124unique_dim_cuda_templateIhEESt5tupleIJNSA_6TensorESF_SF_EERKSF_lbbbEUlllE_EE10hipError_tT0_T1_T2_jT3_P12ihipStream_tbPNSt15iterator_traitsISL_E10value_typeEPNSR_ISM_E10value_typeEPSN_NS1_7vsmem_tEENKUlT_SL_SM_SN_E_clIS8_S8_S9_S9_EESK_S10_SL_SM_SN_EUlS10_E0_NS1_11comp_targetILNS1_3genE9ELNS1_11target_archE1100ELNS1_3gpuE3ELNS1_3repE0EEENS1_38merge_mergepath_config_static_selectorELNS0_4arch9wavefront6targetE1EEEvSM_,"axG",@progbits,_ZN7rocprim17ROCPRIM_400000_NS6detail17trampoline_kernelINS0_14default_configENS1_38merge_sort_block_merge_config_selectorIlNS0_10empty_typeEEEZZNS1_27merge_sort_block_merge_implIS3_PlPS5_mZN2at6native12_GLOBAL__N_124unique_dim_cuda_templateIhEESt5tupleIJNSA_6TensorESF_SF_EERKSF_lbbbEUlllE_EE10hipError_tT0_T1_T2_jT3_P12ihipStream_tbPNSt15iterator_traitsISL_E10value_typeEPNSR_ISM_E10value_typeEPSN_NS1_7vsmem_tEENKUlT_SL_SM_SN_E_clIS8_S8_S9_S9_EESK_S10_SL_SM_SN_EUlS10_E0_NS1_11comp_targetILNS1_3genE9ELNS1_11target_archE1100ELNS1_3gpuE3ELNS1_3repE0EEENS1_38merge_mergepath_config_static_selectorELNS0_4arch9wavefront6targetE1EEEvSM_,comdat
	.globl	_ZN7rocprim17ROCPRIM_400000_NS6detail17trampoline_kernelINS0_14default_configENS1_38merge_sort_block_merge_config_selectorIlNS0_10empty_typeEEEZZNS1_27merge_sort_block_merge_implIS3_PlPS5_mZN2at6native12_GLOBAL__N_124unique_dim_cuda_templateIhEESt5tupleIJNSA_6TensorESF_SF_EERKSF_lbbbEUlllE_EE10hipError_tT0_T1_T2_jT3_P12ihipStream_tbPNSt15iterator_traitsISL_E10value_typeEPNSR_ISM_E10value_typeEPSN_NS1_7vsmem_tEENKUlT_SL_SM_SN_E_clIS8_S8_S9_S9_EESK_S10_SL_SM_SN_EUlS10_E0_NS1_11comp_targetILNS1_3genE9ELNS1_11target_archE1100ELNS1_3gpuE3ELNS1_3repE0EEENS1_38merge_mergepath_config_static_selectorELNS0_4arch9wavefront6targetE1EEEvSM_ ; -- Begin function _ZN7rocprim17ROCPRIM_400000_NS6detail17trampoline_kernelINS0_14default_configENS1_38merge_sort_block_merge_config_selectorIlNS0_10empty_typeEEEZZNS1_27merge_sort_block_merge_implIS3_PlPS5_mZN2at6native12_GLOBAL__N_124unique_dim_cuda_templateIhEESt5tupleIJNSA_6TensorESF_SF_EERKSF_lbbbEUlllE_EE10hipError_tT0_T1_T2_jT3_P12ihipStream_tbPNSt15iterator_traitsISL_E10value_typeEPNSR_ISM_E10value_typeEPSN_NS1_7vsmem_tEENKUlT_SL_SM_SN_E_clIS8_S8_S9_S9_EESK_S10_SL_SM_SN_EUlS10_E0_NS1_11comp_targetILNS1_3genE9ELNS1_11target_archE1100ELNS1_3gpuE3ELNS1_3repE0EEENS1_38merge_mergepath_config_static_selectorELNS0_4arch9wavefront6targetE1EEEvSM_
	.p2align	8
	.type	_ZN7rocprim17ROCPRIM_400000_NS6detail17trampoline_kernelINS0_14default_configENS1_38merge_sort_block_merge_config_selectorIlNS0_10empty_typeEEEZZNS1_27merge_sort_block_merge_implIS3_PlPS5_mZN2at6native12_GLOBAL__N_124unique_dim_cuda_templateIhEESt5tupleIJNSA_6TensorESF_SF_EERKSF_lbbbEUlllE_EE10hipError_tT0_T1_T2_jT3_P12ihipStream_tbPNSt15iterator_traitsISL_E10value_typeEPNSR_ISM_E10value_typeEPSN_NS1_7vsmem_tEENKUlT_SL_SM_SN_E_clIS8_S8_S9_S9_EESK_S10_SL_SM_SN_EUlS10_E0_NS1_11comp_targetILNS1_3genE9ELNS1_11target_archE1100ELNS1_3gpuE3ELNS1_3repE0EEENS1_38merge_mergepath_config_static_selectorELNS0_4arch9wavefront6targetE1EEEvSM_,@function
_ZN7rocprim17ROCPRIM_400000_NS6detail17trampoline_kernelINS0_14default_configENS1_38merge_sort_block_merge_config_selectorIlNS0_10empty_typeEEEZZNS1_27merge_sort_block_merge_implIS3_PlPS5_mZN2at6native12_GLOBAL__N_124unique_dim_cuda_templateIhEESt5tupleIJNSA_6TensorESF_SF_EERKSF_lbbbEUlllE_EE10hipError_tT0_T1_T2_jT3_P12ihipStream_tbPNSt15iterator_traitsISL_E10value_typeEPNSR_ISM_E10value_typeEPSN_NS1_7vsmem_tEENKUlT_SL_SM_SN_E_clIS8_S8_S9_S9_EESK_S10_SL_SM_SN_EUlS10_E0_NS1_11comp_targetILNS1_3genE9ELNS1_11target_archE1100ELNS1_3gpuE3ELNS1_3repE0EEENS1_38merge_mergepath_config_static_selectorELNS0_4arch9wavefront6targetE1EEEvSM_: ; @_ZN7rocprim17ROCPRIM_400000_NS6detail17trampoline_kernelINS0_14default_configENS1_38merge_sort_block_merge_config_selectorIlNS0_10empty_typeEEEZZNS1_27merge_sort_block_merge_implIS3_PlPS5_mZN2at6native12_GLOBAL__N_124unique_dim_cuda_templateIhEESt5tupleIJNSA_6TensorESF_SF_EERKSF_lbbbEUlllE_EE10hipError_tT0_T1_T2_jT3_P12ihipStream_tbPNSt15iterator_traitsISL_E10value_typeEPNSR_ISM_E10value_typeEPSN_NS1_7vsmem_tEENKUlT_SL_SM_SN_E_clIS8_S8_S9_S9_EESK_S10_SL_SM_SN_EUlS10_E0_NS1_11comp_targetILNS1_3genE9ELNS1_11target_archE1100ELNS1_3gpuE3ELNS1_3repE0EEENS1_38merge_mergepath_config_static_selectorELNS0_4arch9wavefront6targetE1EEEvSM_
; %bb.0:
	.section	.rodata,"a",@progbits
	.p2align	6, 0x0
	.amdhsa_kernel _ZN7rocprim17ROCPRIM_400000_NS6detail17trampoline_kernelINS0_14default_configENS1_38merge_sort_block_merge_config_selectorIlNS0_10empty_typeEEEZZNS1_27merge_sort_block_merge_implIS3_PlPS5_mZN2at6native12_GLOBAL__N_124unique_dim_cuda_templateIhEESt5tupleIJNSA_6TensorESF_SF_EERKSF_lbbbEUlllE_EE10hipError_tT0_T1_T2_jT3_P12ihipStream_tbPNSt15iterator_traitsISL_E10value_typeEPNSR_ISM_E10value_typeEPSN_NS1_7vsmem_tEENKUlT_SL_SM_SN_E_clIS8_S8_S9_S9_EESK_S10_SL_SM_SN_EUlS10_E0_NS1_11comp_targetILNS1_3genE9ELNS1_11target_archE1100ELNS1_3gpuE3ELNS1_3repE0EEENS1_38merge_mergepath_config_static_selectorELNS0_4arch9wavefront6targetE1EEEvSM_
		.amdhsa_group_segment_fixed_size 0
		.amdhsa_private_segment_fixed_size 0
		.amdhsa_kernarg_size 88
		.amdhsa_user_sgpr_count 2
		.amdhsa_user_sgpr_dispatch_ptr 0
		.amdhsa_user_sgpr_queue_ptr 0
		.amdhsa_user_sgpr_kernarg_segment_ptr 1
		.amdhsa_user_sgpr_dispatch_id 0
		.amdhsa_user_sgpr_kernarg_preload_length 0
		.amdhsa_user_sgpr_kernarg_preload_offset 0
		.amdhsa_user_sgpr_private_segment_size 0
		.amdhsa_uses_dynamic_stack 0
		.amdhsa_enable_private_segment 0
		.amdhsa_system_sgpr_workgroup_id_x 1
		.amdhsa_system_sgpr_workgroup_id_y 0
		.amdhsa_system_sgpr_workgroup_id_z 0
		.amdhsa_system_sgpr_workgroup_info 0
		.amdhsa_system_vgpr_workitem_id 0
		.amdhsa_next_free_vgpr 1
		.amdhsa_next_free_sgpr 0
		.amdhsa_accum_offset 4
		.amdhsa_reserve_vcc 0
		.amdhsa_float_round_mode_32 0
		.amdhsa_float_round_mode_16_64 0
		.amdhsa_float_denorm_mode_32 3
		.amdhsa_float_denorm_mode_16_64 3
		.amdhsa_dx10_clamp 1
		.amdhsa_ieee_mode 1
		.amdhsa_fp16_overflow 0
		.amdhsa_tg_split 0
		.amdhsa_exception_fp_ieee_invalid_op 0
		.amdhsa_exception_fp_denorm_src 0
		.amdhsa_exception_fp_ieee_div_zero 0
		.amdhsa_exception_fp_ieee_overflow 0
		.amdhsa_exception_fp_ieee_underflow 0
		.amdhsa_exception_fp_ieee_inexact 0
		.amdhsa_exception_int_div_zero 0
	.end_amdhsa_kernel
	.section	.text._ZN7rocprim17ROCPRIM_400000_NS6detail17trampoline_kernelINS0_14default_configENS1_38merge_sort_block_merge_config_selectorIlNS0_10empty_typeEEEZZNS1_27merge_sort_block_merge_implIS3_PlPS5_mZN2at6native12_GLOBAL__N_124unique_dim_cuda_templateIhEESt5tupleIJNSA_6TensorESF_SF_EERKSF_lbbbEUlllE_EE10hipError_tT0_T1_T2_jT3_P12ihipStream_tbPNSt15iterator_traitsISL_E10value_typeEPNSR_ISM_E10value_typeEPSN_NS1_7vsmem_tEENKUlT_SL_SM_SN_E_clIS8_S8_S9_S9_EESK_S10_SL_SM_SN_EUlS10_E0_NS1_11comp_targetILNS1_3genE9ELNS1_11target_archE1100ELNS1_3gpuE3ELNS1_3repE0EEENS1_38merge_mergepath_config_static_selectorELNS0_4arch9wavefront6targetE1EEEvSM_,"axG",@progbits,_ZN7rocprim17ROCPRIM_400000_NS6detail17trampoline_kernelINS0_14default_configENS1_38merge_sort_block_merge_config_selectorIlNS0_10empty_typeEEEZZNS1_27merge_sort_block_merge_implIS3_PlPS5_mZN2at6native12_GLOBAL__N_124unique_dim_cuda_templateIhEESt5tupleIJNSA_6TensorESF_SF_EERKSF_lbbbEUlllE_EE10hipError_tT0_T1_T2_jT3_P12ihipStream_tbPNSt15iterator_traitsISL_E10value_typeEPNSR_ISM_E10value_typeEPSN_NS1_7vsmem_tEENKUlT_SL_SM_SN_E_clIS8_S8_S9_S9_EESK_S10_SL_SM_SN_EUlS10_E0_NS1_11comp_targetILNS1_3genE9ELNS1_11target_archE1100ELNS1_3gpuE3ELNS1_3repE0EEENS1_38merge_mergepath_config_static_selectorELNS0_4arch9wavefront6targetE1EEEvSM_,comdat
.Lfunc_end32:
	.size	_ZN7rocprim17ROCPRIM_400000_NS6detail17trampoline_kernelINS0_14default_configENS1_38merge_sort_block_merge_config_selectorIlNS0_10empty_typeEEEZZNS1_27merge_sort_block_merge_implIS3_PlPS5_mZN2at6native12_GLOBAL__N_124unique_dim_cuda_templateIhEESt5tupleIJNSA_6TensorESF_SF_EERKSF_lbbbEUlllE_EE10hipError_tT0_T1_T2_jT3_P12ihipStream_tbPNSt15iterator_traitsISL_E10value_typeEPNSR_ISM_E10value_typeEPSN_NS1_7vsmem_tEENKUlT_SL_SM_SN_E_clIS8_S8_S9_S9_EESK_S10_SL_SM_SN_EUlS10_E0_NS1_11comp_targetILNS1_3genE9ELNS1_11target_archE1100ELNS1_3gpuE3ELNS1_3repE0EEENS1_38merge_mergepath_config_static_selectorELNS0_4arch9wavefront6targetE1EEEvSM_, .Lfunc_end32-_ZN7rocprim17ROCPRIM_400000_NS6detail17trampoline_kernelINS0_14default_configENS1_38merge_sort_block_merge_config_selectorIlNS0_10empty_typeEEEZZNS1_27merge_sort_block_merge_implIS3_PlPS5_mZN2at6native12_GLOBAL__N_124unique_dim_cuda_templateIhEESt5tupleIJNSA_6TensorESF_SF_EERKSF_lbbbEUlllE_EE10hipError_tT0_T1_T2_jT3_P12ihipStream_tbPNSt15iterator_traitsISL_E10value_typeEPNSR_ISM_E10value_typeEPSN_NS1_7vsmem_tEENKUlT_SL_SM_SN_E_clIS8_S8_S9_S9_EESK_S10_SL_SM_SN_EUlS10_E0_NS1_11comp_targetILNS1_3genE9ELNS1_11target_archE1100ELNS1_3gpuE3ELNS1_3repE0EEENS1_38merge_mergepath_config_static_selectorELNS0_4arch9wavefront6targetE1EEEvSM_
                                        ; -- End function
	.set _ZN7rocprim17ROCPRIM_400000_NS6detail17trampoline_kernelINS0_14default_configENS1_38merge_sort_block_merge_config_selectorIlNS0_10empty_typeEEEZZNS1_27merge_sort_block_merge_implIS3_PlPS5_mZN2at6native12_GLOBAL__N_124unique_dim_cuda_templateIhEESt5tupleIJNSA_6TensorESF_SF_EERKSF_lbbbEUlllE_EE10hipError_tT0_T1_T2_jT3_P12ihipStream_tbPNSt15iterator_traitsISL_E10value_typeEPNSR_ISM_E10value_typeEPSN_NS1_7vsmem_tEENKUlT_SL_SM_SN_E_clIS8_S8_S9_S9_EESK_S10_SL_SM_SN_EUlS10_E0_NS1_11comp_targetILNS1_3genE9ELNS1_11target_archE1100ELNS1_3gpuE3ELNS1_3repE0EEENS1_38merge_mergepath_config_static_selectorELNS0_4arch9wavefront6targetE1EEEvSM_.num_vgpr, 0
	.set _ZN7rocprim17ROCPRIM_400000_NS6detail17trampoline_kernelINS0_14default_configENS1_38merge_sort_block_merge_config_selectorIlNS0_10empty_typeEEEZZNS1_27merge_sort_block_merge_implIS3_PlPS5_mZN2at6native12_GLOBAL__N_124unique_dim_cuda_templateIhEESt5tupleIJNSA_6TensorESF_SF_EERKSF_lbbbEUlllE_EE10hipError_tT0_T1_T2_jT3_P12ihipStream_tbPNSt15iterator_traitsISL_E10value_typeEPNSR_ISM_E10value_typeEPSN_NS1_7vsmem_tEENKUlT_SL_SM_SN_E_clIS8_S8_S9_S9_EESK_S10_SL_SM_SN_EUlS10_E0_NS1_11comp_targetILNS1_3genE9ELNS1_11target_archE1100ELNS1_3gpuE3ELNS1_3repE0EEENS1_38merge_mergepath_config_static_selectorELNS0_4arch9wavefront6targetE1EEEvSM_.num_agpr, 0
	.set _ZN7rocprim17ROCPRIM_400000_NS6detail17trampoline_kernelINS0_14default_configENS1_38merge_sort_block_merge_config_selectorIlNS0_10empty_typeEEEZZNS1_27merge_sort_block_merge_implIS3_PlPS5_mZN2at6native12_GLOBAL__N_124unique_dim_cuda_templateIhEESt5tupleIJNSA_6TensorESF_SF_EERKSF_lbbbEUlllE_EE10hipError_tT0_T1_T2_jT3_P12ihipStream_tbPNSt15iterator_traitsISL_E10value_typeEPNSR_ISM_E10value_typeEPSN_NS1_7vsmem_tEENKUlT_SL_SM_SN_E_clIS8_S8_S9_S9_EESK_S10_SL_SM_SN_EUlS10_E0_NS1_11comp_targetILNS1_3genE9ELNS1_11target_archE1100ELNS1_3gpuE3ELNS1_3repE0EEENS1_38merge_mergepath_config_static_selectorELNS0_4arch9wavefront6targetE1EEEvSM_.numbered_sgpr, 0
	.set _ZN7rocprim17ROCPRIM_400000_NS6detail17trampoline_kernelINS0_14default_configENS1_38merge_sort_block_merge_config_selectorIlNS0_10empty_typeEEEZZNS1_27merge_sort_block_merge_implIS3_PlPS5_mZN2at6native12_GLOBAL__N_124unique_dim_cuda_templateIhEESt5tupleIJNSA_6TensorESF_SF_EERKSF_lbbbEUlllE_EE10hipError_tT0_T1_T2_jT3_P12ihipStream_tbPNSt15iterator_traitsISL_E10value_typeEPNSR_ISM_E10value_typeEPSN_NS1_7vsmem_tEENKUlT_SL_SM_SN_E_clIS8_S8_S9_S9_EESK_S10_SL_SM_SN_EUlS10_E0_NS1_11comp_targetILNS1_3genE9ELNS1_11target_archE1100ELNS1_3gpuE3ELNS1_3repE0EEENS1_38merge_mergepath_config_static_selectorELNS0_4arch9wavefront6targetE1EEEvSM_.num_named_barrier, 0
	.set _ZN7rocprim17ROCPRIM_400000_NS6detail17trampoline_kernelINS0_14default_configENS1_38merge_sort_block_merge_config_selectorIlNS0_10empty_typeEEEZZNS1_27merge_sort_block_merge_implIS3_PlPS5_mZN2at6native12_GLOBAL__N_124unique_dim_cuda_templateIhEESt5tupleIJNSA_6TensorESF_SF_EERKSF_lbbbEUlllE_EE10hipError_tT0_T1_T2_jT3_P12ihipStream_tbPNSt15iterator_traitsISL_E10value_typeEPNSR_ISM_E10value_typeEPSN_NS1_7vsmem_tEENKUlT_SL_SM_SN_E_clIS8_S8_S9_S9_EESK_S10_SL_SM_SN_EUlS10_E0_NS1_11comp_targetILNS1_3genE9ELNS1_11target_archE1100ELNS1_3gpuE3ELNS1_3repE0EEENS1_38merge_mergepath_config_static_selectorELNS0_4arch9wavefront6targetE1EEEvSM_.private_seg_size, 0
	.set _ZN7rocprim17ROCPRIM_400000_NS6detail17trampoline_kernelINS0_14default_configENS1_38merge_sort_block_merge_config_selectorIlNS0_10empty_typeEEEZZNS1_27merge_sort_block_merge_implIS3_PlPS5_mZN2at6native12_GLOBAL__N_124unique_dim_cuda_templateIhEESt5tupleIJNSA_6TensorESF_SF_EERKSF_lbbbEUlllE_EE10hipError_tT0_T1_T2_jT3_P12ihipStream_tbPNSt15iterator_traitsISL_E10value_typeEPNSR_ISM_E10value_typeEPSN_NS1_7vsmem_tEENKUlT_SL_SM_SN_E_clIS8_S8_S9_S9_EESK_S10_SL_SM_SN_EUlS10_E0_NS1_11comp_targetILNS1_3genE9ELNS1_11target_archE1100ELNS1_3gpuE3ELNS1_3repE0EEENS1_38merge_mergepath_config_static_selectorELNS0_4arch9wavefront6targetE1EEEvSM_.uses_vcc, 0
	.set _ZN7rocprim17ROCPRIM_400000_NS6detail17trampoline_kernelINS0_14default_configENS1_38merge_sort_block_merge_config_selectorIlNS0_10empty_typeEEEZZNS1_27merge_sort_block_merge_implIS3_PlPS5_mZN2at6native12_GLOBAL__N_124unique_dim_cuda_templateIhEESt5tupleIJNSA_6TensorESF_SF_EERKSF_lbbbEUlllE_EE10hipError_tT0_T1_T2_jT3_P12ihipStream_tbPNSt15iterator_traitsISL_E10value_typeEPNSR_ISM_E10value_typeEPSN_NS1_7vsmem_tEENKUlT_SL_SM_SN_E_clIS8_S8_S9_S9_EESK_S10_SL_SM_SN_EUlS10_E0_NS1_11comp_targetILNS1_3genE9ELNS1_11target_archE1100ELNS1_3gpuE3ELNS1_3repE0EEENS1_38merge_mergepath_config_static_selectorELNS0_4arch9wavefront6targetE1EEEvSM_.uses_flat_scratch, 0
	.set _ZN7rocprim17ROCPRIM_400000_NS6detail17trampoline_kernelINS0_14default_configENS1_38merge_sort_block_merge_config_selectorIlNS0_10empty_typeEEEZZNS1_27merge_sort_block_merge_implIS3_PlPS5_mZN2at6native12_GLOBAL__N_124unique_dim_cuda_templateIhEESt5tupleIJNSA_6TensorESF_SF_EERKSF_lbbbEUlllE_EE10hipError_tT0_T1_T2_jT3_P12ihipStream_tbPNSt15iterator_traitsISL_E10value_typeEPNSR_ISM_E10value_typeEPSN_NS1_7vsmem_tEENKUlT_SL_SM_SN_E_clIS8_S8_S9_S9_EESK_S10_SL_SM_SN_EUlS10_E0_NS1_11comp_targetILNS1_3genE9ELNS1_11target_archE1100ELNS1_3gpuE3ELNS1_3repE0EEENS1_38merge_mergepath_config_static_selectorELNS0_4arch9wavefront6targetE1EEEvSM_.has_dyn_sized_stack, 0
	.set _ZN7rocprim17ROCPRIM_400000_NS6detail17trampoline_kernelINS0_14default_configENS1_38merge_sort_block_merge_config_selectorIlNS0_10empty_typeEEEZZNS1_27merge_sort_block_merge_implIS3_PlPS5_mZN2at6native12_GLOBAL__N_124unique_dim_cuda_templateIhEESt5tupleIJNSA_6TensorESF_SF_EERKSF_lbbbEUlllE_EE10hipError_tT0_T1_T2_jT3_P12ihipStream_tbPNSt15iterator_traitsISL_E10value_typeEPNSR_ISM_E10value_typeEPSN_NS1_7vsmem_tEENKUlT_SL_SM_SN_E_clIS8_S8_S9_S9_EESK_S10_SL_SM_SN_EUlS10_E0_NS1_11comp_targetILNS1_3genE9ELNS1_11target_archE1100ELNS1_3gpuE3ELNS1_3repE0EEENS1_38merge_mergepath_config_static_selectorELNS0_4arch9wavefront6targetE1EEEvSM_.has_recursion, 0
	.set _ZN7rocprim17ROCPRIM_400000_NS6detail17trampoline_kernelINS0_14default_configENS1_38merge_sort_block_merge_config_selectorIlNS0_10empty_typeEEEZZNS1_27merge_sort_block_merge_implIS3_PlPS5_mZN2at6native12_GLOBAL__N_124unique_dim_cuda_templateIhEESt5tupleIJNSA_6TensorESF_SF_EERKSF_lbbbEUlllE_EE10hipError_tT0_T1_T2_jT3_P12ihipStream_tbPNSt15iterator_traitsISL_E10value_typeEPNSR_ISM_E10value_typeEPSN_NS1_7vsmem_tEENKUlT_SL_SM_SN_E_clIS8_S8_S9_S9_EESK_S10_SL_SM_SN_EUlS10_E0_NS1_11comp_targetILNS1_3genE9ELNS1_11target_archE1100ELNS1_3gpuE3ELNS1_3repE0EEENS1_38merge_mergepath_config_static_selectorELNS0_4arch9wavefront6targetE1EEEvSM_.has_indirect_call, 0
	.section	.AMDGPU.csdata,"",@progbits
; Kernel info:
; codeLenInByte = 0
; TotalNumSgprs: 6
; NumVgprs: 0
; NumAgprs: 0
; TotalNumVgprs: 0
; ScratchSize: 0
; MemoryBound: 0
; FloatMode: 240
; IeeeMode: 1
; LDSByteSize: 0 bytes/workgroup (compile time only)
; SGPRBlocks: 0
; VGPRBlocks: 0
; NumSGPRsForWavesPerEU: 6
; NumVGPRsForWavesPerEU: 1
; AccumOffset: 4
; Occupancy: 8
; WaveLimiterHint : 0
; COMPUTE_PGM_RSRC2:SCRATCH_EN: 0
; COMPUTE_PGM_RSRC2:USER_SGPR: 2
; COMPUTE_PGM_RSRC2:TRAP_HANDLER: 0
; COMPUTE_PGM_RSRC2:TGID_X_EN: 1
; COMPUTE_PGM_RSRC2:TGID_Y_EN: 0
; COMPUTE_PGM_RSRC2:TGID_Z_EN: 0
; COMPUTE_PGM_RSRC2:TIDIG_COMP_CNT: 0
; COMPUTE_PGM_RSRC3_GFX90A:ACCUM_OFFSET: 0
; COMPUTE_PGM_RSRC3_GFX90A:TG_SPLIT: 0
	.section	.text._ZN7rocprim17ROCPRIM_400000_NS6detail17trampoline_kernelINS0_14default_configENS1_38merge_sort_block_merge_config_selectorIlNS0_10empty_typeEEEZZNS1_27merge_sort_block_merge_implIS3_PlPS5_mZN2at6native12_GLOBAL__N_124unique_dim_cuda_templateIhEESt5tupleIJNSA_6TensorESF_SF_EERKSF_lbbbEUlllE_EE10hipError_tT0_T1_T2_jT3_P12ihipStream_tbPNSt15iterator_traitsISL_E10value_typeEPNSR_ISM_E10value_typeEPSN_NS1_7vsmem_tEENKUlT_SL_SM_SN_E_clIS8_S8_S9_S9_EESK_S10_SL_SM_SN_EUlS10_E0_NS1_11comp_targetILNS1_3genE8ELNS1_11target_archE1030ELNS1_3gpuE2ELNS1_3repE0EEENS1_38merge_mergepath_config_static_selectorELNS0_4arch9wavefront6targetE1EEEvSM_,"axG",@progbits,_ZN7rocprim17ROCPRIM_400000_NS6detail17trampoline_kernelINS0_14default_configENS1_38merge_sort_block_merge_config_selectorIlNS0_10empty_typeEEEZZNS1_27merge_sort_block_merge_implIS3_PlPS5_mZN2at6native12_GLOBAL__N_124unique_dim_cuda_templateIhEESt5tupleIJNSA_6TensorESF_SF_EERKSF_lbbbEUlllE_EE10hipError_tT0_T1_T2_jT3_P12ihipStream_tbPNSt15iterator_traitsISL_E10value_typeEPNSR_ISM_E10value_typeEPSN_NS1_7vsmem_tEENKUlT_SL_SM_SN_E_clIS8_S8_S9_S9_EESK_S10_SL_SM_SN_EUlS10_E0_NS1_11comp_targetILNS1_3genE8ELNS1_11target_archE1030ELNS1_3gpuE2ELNS1_3repE0EEENS1_38merge_mergepath_config_static_selectorELNS0_4arch9wavefront6targetE1EEEvSM_,comdat
	.globl	_ZN7rocprim17ROCPRIM_400000_NS6detail17trampoline_kernelINS0_14default_configENS1_38merge_sort_block_merge_config_selectorIlNS0_10empty_typeEEEZZNS1_27merge_sort_block_merge_implIS3_PlPS5_mZN2at6native12_GLOBAL__N_124unique_dim_cuda_templateIhEESt5tupleIJNSA_6TensorESF_SF_EERKSF_lbbbEUlllE_EE10hipError_tT0_T1_T2_jT3_P12ihipStream_tbPNSt15iterator_traitsISL_E10value_typeEPNSR_ISM_E10value_typeEPSN_NS1_7vsmem_tEENKUlT_SL_SM_SN_E_clIS8_S8_S9_S9_EESK_S10_SL_SM_SN_EUlS10_E0_NS1_11comp_targetILNS1_3genE8ELNS1_11target_archE1030ELNS1_3gpuE2ELNS1_3repE0EEENS1_38merge_mergepath_config_static_selectorELNS0_4arch9wavefront6targetE1EEEvSM_ ; -- Begin function _ZN7rocprim17ROCPRIM_400000_NS6detail17trampoline_kernelINS0_14default_configENS1_38merge_sort_block_merge_config_selectorIlNS0_10empty_typeEEEZZNS1_27merge_sort_block_merge_implIS3_PlPS5_mZN2at6native12_GLOBAL__N_124unique_dim_cuda_templateIhEESt5tupleIJNSA_6TensorESF_SF_EERKSF_lbbbEUlllE_EE10hipError_tT0_T1_T2_jT3_P12ihipStream_tbPNSt15iterator_traitsISL_E10value_typeEPNSR_ISM_E10value_typeEPSN_NS1_7vsmem_tEENKUlT_SL_SM_SN_E_clIS8_S8_S9_S9_EESK_S10_SL_SM_SN_EUlS10_E0_NS1_11comp_targetILNS1_3genE8ELNS1_11target_archE1030ELNS1_3gpuE2ELNS1_3repE0EEENS1_38merge_mergepath_config_static_selectorELNS0_4arch9wavefront6targetE1EEEvSM_
	.p2align	8
	.type	_ZN7rocprim17ROCPRIM_400000_NS6detail17trampoline_kernelINS0_14default_configENS1_38merge_sort_block_merge_config_selectorIlNS0_10empty_typeEEEZZNS1_27merge_sort_block_merge_implIS3_PlPS5_mZN2at6native12_GLOBAL__N_124unique_dim_cuda_templateIhEESt5tupleIJNSA_6TensorESF_SF_EERKSF_lbbbEUlllE_EE10hipError_tT0_T1_T2_jT3_P12ihipStream_tbPNSt15iterator_traitsISL_E10value_typeEPNSR_ISM_E10value_typeEPSN_NS1_7vsmem_tEENKUlT_SL_SM_SN_E_clIS8_S8_S9_S9_EESK_S10_SL_SM_SN_EUlS10_E0_NS1_11comp_targetILNS1_3genE8ELNS1_11target_archE1030ELNS1_3gpuE2ELNS1_3repE0EEENS1_38merge_mergepath_config_static_selectorELNS0_4arch9wavefront6targetE1EEEvSM_,@function
_ZN7rocprim17ROCPRIM_400000_NS6detail17trampoline_kernelINS0_14default_configENS1_38merge_sort_block_merge_config_selectorIlNS0_10empty_typeEEEZZNS1_27merge_sort_block_merge_implIS3_PlPS5_mZN2at6native12_GLOBAL__N_124unique_dim_cuda_templateIhEESt5tupleIJNSA_6TensorESF_SF_EERKSF_lbbbEUlllE_EE10hipError_tT0_T1_T2_jT3_P12ihipStream_tbPNSt15iterator_traitsISL_E10value_typeEPNSR_ISM_E10value_typeEPSN_NS1_7vsmem_tEENKUlT_SL_SM_SN_E_clIS8_S8_S9_S9_EESK_S10_SL_SM_SN_EUlS10_E0_NS1_11comp_targetILNS1_3genE8ELNS1_11target_archE1030ELNS1_3gpuE2ELNS1_3repE0EEENS1_38merge_mergepath_config_static_selectorELNS0_4arch9wavefront6targetE1EEEvSM_: ; @_ZN7rocprim17ROCPRIM_400000_NS6detail17trampoline_kernelINS0_14default_configENS1_38merge_sort_block_merge_config_selectorIlNS0_10empty_typeEEEZZNS1_27merge_sort_block_merge_implIS3_PlPS5_mZN2at6native12_GLOBAL__N_124unique_dim_cuda_templateIhEESt5tupleIJNSA_6TensorESF_SF_EERKSF_lbbbEUlllE_EE10hipError_tT0_T1_T2_jT3_P12ihipStream_tbPNSt15iterator_traitsISL_E10value_typeEPNSR_ISM_E10value_typeEPSN_NS1_7vsmem_tEENKUlT_SL_SM_SN_E_clIS8_S8_S9_S9_EESK_S10_SL_SM_SN_EUlS10_E0_NS1_11comp_targetILNS1_3genE8ELNS1_11target_archE1030ELNS1_3gpuE2ELNS1_3repE0EEENS1_38merge_mergepath_config_static_selectorELNS0_4arch9wavefront6targetE1EEEvSM_
; %bb.0:
	.section	.rodata,"a",@progbits
	.p2align	6, 0x0
	.amdhsa_kernel _ZN7rocprim17ROCPRIM_400000_NS6detail17trampoline_kernelINS0_14default_configENS1_38merge_sort_block_merge_config_selectorIlNS0_10empty_typeEEEZZNS1_27merge_sort_block_merge_implIS3_PlPS5_mZN2at6native12_GLOBAL__N_124unique_dim_cuda_templateIhEESt5tupleIJNSA_6TensorESF_SF_EERKSF_lbbbEUlllE_EE10hipError_tT0_T1_T2_jT3_P12ihipStream_tbPNSt15iterator_traitsISL_E10value_typeEPNSR_ISM_E10value_typeEPSN_NS1_7vsmem_tEENKUlT_SL_SM_SN_E_clIS8_S8_S9_S9_EESK_S10_SL_SM_SN_EUlS10_E0_NS1_11comp_targetILNS1_3genE8ELNS1_11target_archE1030ELNS1_3gpuE2ELNS1_3repE0EEENS1_38merge_mergepath_config_static_selectorELNS0_4arch9wavefront6targetE1EEEvSM_
		.amdhsa_group_segment_fixed_size 0
		.amdhsa_private_segment_fixed_size 0
		.amdhsa_kernarg_size 88
		.amdhsa_user_sgpr_count 2
		.amdhsa_user_sgpr_dispatch_ptr 0
		.amdhsa_user_sgpr_queue_ptr 0
		.amdhsa_user_sgpr_kernarg_segment_ptr 1
		.amdhsa_user_sgpr_dispatch_id 0
		.amdhsa_user_sgpr_kernarg_preload_length 0
		.amdhsa_user_sgpr_kernarg_preload_offset 0
		.amdhsa_user_sgpr_private_segment_size 0
		.amdhsa_uses_dynamic_stack 0
		.amdhsa_enable_private_segment 0
		.amdhsa_system_sgpr_workgroup_id_x 1
		.amdhsa_system_sgpr_workgroup_id_y 0
		.amdhsa_system_sgpr_workgroup_id_z 0
		.amdhsa_system_sgpr_workgroup_info 0
		.amdhsa_system_vgpr_workitem_id 0
		.amdhsa_next_free_vgpr 1
		.amdhsa_next_free_sgpr 0
		.amdhsa_accum_offset 4
		.amdhsa_reserve_vcc 0
		.amdhsa_float_round_mode_32 0
		.amdhsa_float_round_mode_16_64 0
		.amdhsa_float_denorm_mode_32 3
		.amdhsa_float_denorm_mode_16_64 3
		.amdhsa_dx10_clamp 1
		.amdhsa_ieee_mode 1
		.amdhsa_fp16_overflow 0
		.amdhsa_tg_split 0
		.amdhsa_exception_fp_ieee_invalid_op 0
		.amdhsa_exception_fp_denorm_src 0
		.amdhsa_exception_fp_ieee_div_zero 0
		.amdhsa_exception_fp_ieee_overflow 0
		.amdhsa_exception_fp_ieee_underflow 0
		.amdhsa_exception_fp_ieee_inexact 0
		.amdhsa_exception_int_div_zero 0
	.end_amdhsa_kernel
	.section	.text._ZN7rocprim17ROCPRIM_400000_NS6detail17trampoline_kernelINS0_14default_configENS1_38merge_sort_block_merge_config_selectorIlNS0_10empty_typeEEEZZNS1_27merge_sort_block_merge_implIS3_PlPS5_mZN2at6native12_GLOBAL__N_124unique_dim_cuda_templateIhEESt5tupleIJNSA_6TensorESF_SF_EERKSF_lbbbEUlllE_EE10hipError_tT0_T1_T2_jT3_P12ihipStream_tbPNSt15iterator_traitsISL_E10value_typeEPNSR_ISM_E10value_typeEPSN_NS1_7vsmem_tEENKUlT_SL_SM_SN_E_clIS8_S8_S9_S9_EESK_S10_SL_SM_SN_EUlS10_E0_NS1_11comp_targetILNS1_3genE8ELNS1_11target_archE1030ELNS1_3gpuE2ELNS1_3repE0EEENS1_38merge_mergepath_config_static_selectorELNS0_4arch9wavefront6targetE1EEEvSM_,"axG",@progbits,_ZN7rocprim17ROCPRIM_400000_NS6detail17trampoline_kernelINS0_14default_configENS1_38merge_sort_block_merge_config_selectorIlNS0_10empty_typeEEEZZNS1_27merge_sort_block_merge_implIS3_PlPS5_mZN2at6native12_GLOBAL__N_124unique_dim_cuda_templateIhEESt5tupleIJNSA_6TensorESF_SF_EERKSF_lbbbEUlllE_EE10hipError_tT0_T1_T2_jT3_P12ihipStream_tbPNSt15iterator_traitsISL_E10value_typeEPNSR_ISM_E10value_typeEPSN_NS1_7vsmem_tEENKUlT_SL_SM_SN_E_clIS8_S8_S9_S9_EESK_S10_SL_SM_SN_EUlS10_E0_NS1_11comp_targetILNS1_3genE8ELNS1_11target_archE1030ELNS1_3gpuE2ELNS1_3repE0EEENS1_38merge_mergepath_config_static_selectorELNS0_4arch9wavefront6targetE1EEEvSM_,comdat
.Lfunc_end33:
	.size	_ZN7rocprim17ROCPRIM_400000_NS6detail17trampoline_kernelINS0_14default_configENS1_38merge_sort_block_merge_config_selectorIlNS0_10empty_typeEEEZZNS1_27merge_sort_block_merge_implIS3_PlPS5_mZN2at6native12_GLOBAL__N_124unique_dim_cuda_templateIhEESt5tupleIJNSA_6TensorESF_SF_EERKSF_lbbbEUlllE_EE10hipError_tT0_T1_T2_jT3_P12ihipStream_tbPNSt15iterator_traitsISL_E10value_typeEPNSR_ISM_E10value_typeEPSN_NS1_7vsmem_tEENKUlT_SL_SM_SN_E_clIS8_S8_S9_S9_EESK_S10_SL_SM_SN_EUlS10_E0_NS1_11comp_targetILNS1_3genE8ELNS1_11target_archE1030ELNS1_3gpuE2ELNS1_3repE0EEENS1_38merge_mergepath_config_static_selectorELNS0_4arch9wavefront6targetE1EEEvSM_, .Lfunc_end33-_ZN7rocprim17ROCPRIM_400000_NS6detail17trampoline_kernelINS0_14default_configENS1_38merge_sort_block_merge_config_selectorIlNS0_10empty_typeEEEZZNS1_27merge_sort_block_merge_implIS3_PlPS5_mZN2at6native12_GLOBAL__N_124unique_dim_cuda_templateIhEESt5tupleIJNSA_6TensorESF_SF_EERKSF_lbbbEUlllE_EE10hipError_tT0_T1_T2_jT3_P12ihipStream_tbPNSt15iterator_traitsISL_E10value_typeEPNSR_ISM_E10value_typeEPSN_NS1_7vsmem_tEENKUlT_SL_SM_SN_E_clIS8_S8_S9_S9_EESK_S10_SL_SM_SN_EUlS10_E0_NS1_11comp_targetILNS1_3genE8ELNS1_11target_archE1030ELNS1_3gpuE2ELNS1_3repE0EEENS1_38merge_mergepath_config_static_selectorELNS0_4arch9wavefront6targetE1EEEvSM_
                                        ; -- End function
	.set _ZN7rocprim17ROCPRIM_400000_NS6detail17trampoline_kernelINS0_14default_configENS1_38merge_sort_block_merge_config_selectorIlNS0_10empty_typeEEEZZNS1_27merge_sort_block_merge_implIS3_PlPS5_mZN2at6native12_GLOBAL__N_124unique_dim_cuda_templateIhEESt5tupleIJNSA_6TensorESF_SF_EERKSF_lbbbEUlllE_EE10hipError_tT0_T1_T2_jT3_P12ihipStream_tbPNSt15iterator_traitsISL_E10value_typeEPNSR_ISM_E10value_typeEPSN_NS1_7vsmem_tEENKUlT_SL_SM_SN_E_clIS8_S8_S9_S9_EESK_S10_SL_SM_SN_EUlS10_E0_NS1_11comp_targetILNS1_3genE8ELNS1_11target_archE1030ELNS1_3gpuE2ELNS1_3repE0EEENS1_38merge_mergepath_config_static_selectorELNS0_4arch9wavefront6targetE1EEEvSM_.num_vgpr, 0
	.set _ZN7rocprim17ROCPRIM_400000_NS6detail17trampoline_kernelINS0_14default_configENS1_38merge_sort_block_merge_config_selectorIlNS0_10empty_typeEEEZZNS1_27merge_sort_block_merge_implIS3_PlPS5_mZN2at6native12_GLOBAL__N_124unique_dim_cuda_templateIhEESt5tupleIJNSA_6TensorESF_SF_EERKSF_lbbbEUlllE_EE10hipError_tT0_T1_T2_jT3_P12ihipStream_tbPNSt15iterator_traitsISL_E10value_typeEPNSR_ISM_E10value_typeEPSN_NS1_7vsmem_tEENKUlT_SL_SM_SN_E_clIS8_S8_S9_S9_EESK_S10_SL_SM_SN_EUlS10_E0_NS1_11comp_targetILNS1_3genE8ELNS1_11target_archE1030ELNS1_3gpuE2ELNS1_3repE0EEENS1_38merge_mergepath_config_static_selectorELNS0_4arch9wavefront6targetE1EEEvSM_.num_agpr, 0
	.set _ZN7rocprim17ROCPRIM_400000_NS6detail17trampoline_kernelINS0_14default_configENS1_38merge_sort_block_merge_config_selectorIlNS0_10empty_typeEEEZZNS1_27merge_sort_block_merge_implIS3_PlPS5_mZN2at6native12_GLOBAL__N_124unique_dim_cuda_templateIhEESt5tupleIJNSA_6TensorESF_SF_EERKSF_lbbbEUlllE_EE10hipError_tT0_T1_T2_jT3_P12ihipStream_tbPNSt15iterator_traitsISL_E10value_typeEPNSR_ISM_E10value_typeEPSN_NS1_7vsmem_tEENKUlT_SL_SM_SN_E_clIS8_S8_S9_S9_EESK_S10_SL_SM_SN_EUlS10_E0_NS1_11comp_targetILNS1_3genE8ELNS1_11target_archE1030ELNS1_3gpuE2ELNS1_3repE0EEENS1_38merge_mergepath_config_static_selectorELNS0_4arch9wavefront6targetE1EEEvSM_.numbered_sgpr, 0
	.set _ZN7rocprim17ROCPRIM_400000_NS6detail17trampoline_kernelINS0_14default_configENS1_38merge_sort_block_merge_config_selectorIlNS0_10empty_typeEEEZZNS1_27merge_sort_block_merge_implIS3_PlPS5_mZN2at6native12_GLOBAL__N_124unique_dim_cuda_templateIhEESt5tupleIJNSA_6TensorESF_SF_EERKSF_lbbbEUlllE_EE10hipError_tT0_T1_T2_jT3_P12ihipStream_tbPNSt15iterator_traitsISL_E10value_typeEPNSR_ISM_E10value_typeEPSN_NS1_7vsmem_tEENKUlT_SL_SM_SN_E_clIS8_S8_S9_S9_EESK_S10_SL_SM_SN_EUlS10_E0_NS1_11comp_targetILNS1_3genE8ELNS1_11target_archE1030ELNS1_3gpuE2ELNS1_3repE0EEENS1_38merge_mergepath_config_static_selectorELNS0_4arch9wavefront6targetE1EEEvSM_.num_named_barrier, 0
	.set _ZN7rocprim17ROCPRIM_400000_NS6detail17trampoline_kernelINS0_14default_configENS1_38merge_sort_block_merge_config_selectorIlNS0_10empty_typeEEEZZNS1_27merge_sort_block_merge_implIS3_PlPS5_mZN2at6native12_GLOBAL__N_124unique_dim_cuda_templateIhEESt5tupleIJNSA_6TensorESF_SF_EERKSF_lbbbEUlllE_EE10hipError_tT0_T1_T2_jT3_P12ihipStream_tbPNSt15iterator_traitsISL_E10value_typeEPNSR_ISM_E10value_typeEPSN_NS1_7vsmem_tEENKUlT_SL_SM_SN_E_clIS8_S8_S9_S9_EESK_S10_SL_SM_SN_EUlS10_E0_NS1_11comp_targetILNS1_3genE8ELNS1_11target_archE1030ELNS1_3gpuE2ELNS1_3repE0EEENS1_38merge_mergepath_config_static_selectorELNS0_4arch9wavefront6targetE1EEEvSM_.private_seg_size, 0
	.set _ZN7rocprim17ROCPRIM_400000_NS6detail17trampoline_kernelINS0_14default_configENS1_38merge_sort_block_merge_config_selectorIlNS0_10empty_typeEEEZZNS1_27merge_sort_block_merge_implIS3_PlPS5_mZN2at6native12_GLOBAL__N_124unique_dim_cuda_templateIhEESt5tupleIJNSA_6TensorESF_SF_EERKSF_lbbbEUlllE_EE10hipError_tT0_T1_T2_jT3_P12ihipStream_tbPNSt15iterator_traitsISL_E10value_typeEPNSR_ISM_E10value_typeEPSN_NS1_7vsmem_tEENKUlT_SL_SM_SN_E_clIS8_S8_S9_S9_EESK_S10_SL_SM_SN_EUlS10_E0_NS1_11comp_targetILNS1_3genE8ELNS1_11target_archE1030ELNS1_3gpuE2ELNS1_3repE0EEENS1_38merge_mergepath_config_static_selectorELNS0_4arch9wavefront6targetE1EEEvSM_.uses_vcc, 0
	.set _ZN7rocprim17ROCPRIM_400000_NS6detail17trampoline_kernelINS0_14default_configENS1_38merge_sort_block_merge_config_selectorIlNS0_10empty_typeEEEZZNS1_27merge_sort_block_merge_implIS3_PlPS5_mZN2at6native12_GLOBAL__N_124unique_dim_cuda_templateIhEESt5tupleIJNSA_6TensorESF_SF_EERKSF_lbbbEUlllE_EE10hipError_tT0_T1_T2_jT3_P12ihipStream_tbPNSt15iterator_traitsISL_E10value_typeEPNSR_ISM_E10value_typeEPSN_NS1_7vsmem_tEENKUlT_SL_SM_SN_E_clIS8_S8_S9_S9_EESK_S10_SL_SM_SN_EUlS10_E0_NS1_11comp_targetILNS1_3genE8ELNS1_11target_archE1030ELNS1_3gpuE2ELNS1_3repE0EEENS1_38merge_mergepath_config_static_selectorELNS0_4arch9wavefront6targetE1EEEvSM_.uses_flat_scratch, 0
	.set _ZN7rocprim17ROCPRIM_400000_NS6detail17trampoline_kernelINS0_14default_configENS1_38merge_sort_block_merge_config_selectorIlNS0_10empty_typeEEEZZNS1_27merge_sort_block_merge_implIS3_PlPS5_mZN2at6native12_GLOBAL__N_124unique_dim_cuda_templateIhEESt5tupleIJNSA_6TensorESF_SF_EERKSF_lbbbEUlllE_EE10hipError_tT0_T1_T2_jT3_P12ihipStream_tbPNSt15iterator_traitsISL_E10value_typeEPNSR_ISM_E10value_typeEPSN_NS1_7vsmem_tEENKUlT_SL_SM_SN_E_clIS8_S8_S9_S9_EESK_S10_SL_SM_SN_EUlS10_E0_NS1_11comp_targetILNS1_3genE8ELNS1_11target_archE1030ELNS1_3gpuE2ELNS1_3repE0EEENS1_38merge_mergepath_config_static_selectorELNS0_4arch9wavefront6targetE1EEEvSM_.has_dyn_sized_stack, 0
	.set _ZN7rocprim17ROCPRIM_400000_NS6detail17trampoline_kernelINS0_14default_configENS1_38merge_sort_block_merge_config_selectorIlNS0_10empty_typeEEEZZNS1_27merge_sort_block_merge_implIS3_PlPS5_mZN2at6native12_GLOBAL__N_124unique_dim_cuda_templateIhEESt5tupleIJNSA_6TensorESF_SF_EERKSF_lbbbEUlllE_EE10hipError_tT0_T1_T2_jT3_P12ihipStream_tbPNSt15iterator_traitsISL_E10value_typeEPNSR_ISM_E10value_typeEPSN_NS1_7vsmem_tEENKUlT_SL_SM_SN_E_clIS8_S8_S9_S9_EESK_S10_SL_SM_SN_EUlS10_E0_NS1_11comp_targetILNS1_3genE8ELNS1_11target_archE1030ELNS1_3gpuE2ELNS1_3repE0EEENS1_38merge_mergepath_config_static_selectorELNS0_4arch9wavefront6targetE1EEEvSM_.has_recursion, 0
	.set _ZN7rocprim17ROCPRIM_400000_NS6detail17trampoline_kernelINS0_14default_configENS1_38merge_sort_block_merge_config_selectorIlNS0_10empty_typeEEEZZNS1_27merge_sort_block_merge_implIS3_PlPS5_mZN2at6native12_GLOBAL__N_124unique_dim_cuda_templateIhEESt5tupleIJNSA_6TensorESF_SF_EERKSF_lbbbEUlllE_EE10hipError_tT0_T1_T2_jT3_P12ihipStream_tbPNSt15iterator_traitsISL_E10value_typeEPNSR_ISM_E10value_typeEPSN_NS1_7vsmem_tEENKUlT_SL_SM_SN_E_clIS8_S8_S9_S9_EESK_S10_SL_SM_SN_EUlS10_E0_NS1_11comp_targetILNS1_3genE8ELNS1_11target_archE1030ELNS1_3gpuE2ELNS1_3repE0EEENS1_38merge_mergepath_config_static_selectorELNS0_4arch9wavefront6targetE1EEEvSM_.has_indirect_call, 0
	.section	.AMDGPU.csdata,"",@progbits
; Kernel info:
; codeLenInByte = 0
; TotalNumSgprs: 6
; NumVgprs: 0
; NumAgprs: 0
; TotalNumVgprs: 0
; ScratchSize: 0
; MemoryBound: 0
; FloatMode: 240
; IeeeMode: 1
; LDSByteSize: 0 bytes/workgroup (compile time only)
; SGPRBlocks: 0
; VGPRBlocks: 0
; NumSGPRsForWavesPerEU: 6
; NumVGPRsForWavesPerEU: 1
; AccumOffset: 4
; Occupancy: 8
; WaveLimiterHint : 0
; COMPUTE_PGM_RSRC2:SCRATCH_EN: 0
; COMPUTE_PGM_RSRC2:USER_SGPR: 2
; COMPUTE_PGM_RSRC2:TRAP_HANDLER: 0
; COMPUTE_PGM_RSRC2:TGID_X_EN: 1
; COMPUTE_PGM_RSRC2:TGID_Y_EN: 0
; COMPUTE_PGM_RSRC2:TGID_Z_EN: 0
; COMPUTE_PGM_RSRC2:TIDIG_COMP_CNT: 0
; COMPUTE_PGM_RSRC3_GFX90A:ACCUM_OFFSET: 0
; COMPUTE_PGM_RSRC3_GFX90A:TG_SPLIT: 0
	.section	.text._ZN7rocprim17ROCPRIM_400000_NS6detail17trampoline_kernelINS0_14default_configENS1_38merge_sort_block_merge_config_selectorIlNS0_10empty_typeEEEZZNS1_27merge_sort_block_merge_implIS3_PlPS5_mZN2at6native12_GLOBAL__N_124unique_dim_cuda_templateIhEESt5tupleIJNSA_6TensorESF_SF_EERKSF_lbbbEUlllE_EE10hipError_tT0_T1_T2_jT3_P12ihipStream_tbPNSt15iterator_traitsISL_E10value_typeEPNSR_ISM_E10value_typeEPSN_NS1_7vsmem_tEENKUlT_SL_SM_SN_E_clIS8_S8_S9_S9_EESK_S10_SL_SM_SN_EUlS10_E1_NS1_11comp_targetILNS1_3genE0ELNS1_11target_archE4294967295ELNS1_3gpuE0ELNS1_3repE0EEENS1_36merge_oddeven_config_static_selectorELNS0_4arch9wavefront6targetE1EEEvSM_,"axG",@progbits,_ZN7rocprim17ROCPRIM_400000_NS6detail17trampoline_kernelINS0_14default_configENS1_38merge_sort_block_merge_config_selectorIlNS0_10empty_typeEEEZZNS1_27merge_sort_block_merge_implIS3_PlPS5_mZN2at6native12_GLOBAL__N_124unique_dim_cuda_templateIhEESt5tupleIJNSA_6TensorESF_SF_EERKSF_lbbbEUlllE_EE10hipError_tT0_T1_T2_jT3_P12ihipStream_tbPNSt15iterator_traitsISL_E10value_typeEPNSR_ISM_E10value_typeEPSN_NS1_7vsmem_tEENKUlT_SL_SM_SN_E_clIS8_S8_S9_S9_EESK_S10_SL_SM_SN_EUlS10_E1_NS1_11comp_targetILNS1_3genE0ELNS1_11target_archE4294967295ELNS1_3gpuE0ELNS1_3repE0EEENS1_36merge_oddeven_config_static_selectorELNS0_4arch9wavefront6targetE1EEEvSM_,comdat
	.globl	_ZN7rocprim17ROCPRIM_400000_NS6detail17trampoline_kernelINS0_14default_configENS1_38merge_sort_block_merge_config_selectorIlNS0_10empty_typeEEEZZNS1_27merge_sort_block_merge_implIS3_PlPS5_mZN2at6native12_GLOBAL__N_124unique_dim_cuda_templateIhEESt5tupleIJNSA_6TensorESF_SF_EERKSF_lbbbEUlllE_EE10hipError_tT0_T1_T2_jT3_P12ihipStream_tbPNSt15iterator_traitsISL_E10value_typeEPNSR_ISM_E10value_typeEPSN_NS1_7vsmem_tEENKUlT_SL_SM_SN_E_clIS8_S8_S9_S9_EESK_S10_SL_SM_SN_EUlS10_E1_NS1_11comp_targetILNS1_3genE0ELNS1_11target_archE4294967295ELNS1_3gpuE0ELNS1_3repE0EEENS1_36merge_oddeven_config_static_selectorELNS0_4arch9wavefront6targetE1EEEvSM_ ; -- Begin function _ZN7rocprim17ROCPRIM_400000_NS6detail17trampoline_kernelINS0_14default_configENS1_38merge_sort_block_merge_config_selectorIlNS0_10empty_typeEEEZZNS1_27merge_sort_block_merge_implIS3_PlPS5_mZN2at6native12_GLOBAL__N_124unique_dim_cuda_templateIhEESt5tupleIJNSA_6TensorESF_SF_EERKSF_lbbbEUlllE_EE10hipError_tT0_T1_T2_jT3_P12ihipStream_tbPNSt15iterator_traitsISL_E10value_typeEPNSR_ISM_E10value_typeEPSN_NS1_7vsmem_tEENKUlT_SL_SM_SN_E_clIS8_S8_S9_S9_EESK_S10_SL_SM_SN_EUlS10_E1_NS1_11comp_targetILNS1_3genE0ELNS1_11target_archE4294967295ELNS1_3gpuE0ELNS1_3repE0EEENS1_36merge_oddeven_config_static_selectorELNS0_4arch9wavefront6targetE1EEEvSM_
	.p2align	8
	.type	_ZN7rocprim17ROCPRIM_400000_NS6detail17trampoline_kernelINS0_14default_configENS1_38merge_sort_block_merge_config_selectorIlNS0_10empty_typeEEEZZNS1_27merge_sort_block_merge_implIS3_PlPS5_mZN2at6native12_GLOBAL__N_124unique_dim_cuda_templateIhEESt5tupleIJNSA_6TensorESF_SF_EERKSF_lbbbEUlllE_EE10hipError_tT0_T1_T2_jT3_P12ihipStream_tbPNSt15iterator_traitsISL_E10value_typeEPNSR_ISM_E10value_typeEPSN_NS1_7vsmem_tEENKUlT_SL_SM_SN_E_clIS8_S8_S9_S9_EESK_S10_SL_SM_SN_EUlS10_E1_NS1_11comp_targetILNS1_3genE0ELNS1_11target_archE4294967295ELNS1_3gpuE0ELNS1_3repE0EEENS1_36merge_oddeven_config_static_selectorELNS0_4arch9wavefront6targetE1EEEvSM_,@function
_ZN7rocprim17ROCPRIM_400000_NS6detail17trampoline_kernelINS0_14default_configENS1_38merge_sort_block_merge_config_selectorIlNS0_10empty_typeEEEZZNS1_27merge_sort_block_merge_implIS3_PlPS5_mZN2at6native12_GLOBAL__N_124unique_dim_cuda_templateIhEESt5tupleIJNSA_6TensorESF_SF_EERKSF_lbbbEUlllE_EE10hipError_tT0_T1_T2_jT3_P12ihipStream_tbPNSt15iterator_traitsISL_E10value_typeEPNSR_ISM_E10value_typeEPSN_NS1_7vsmem_tEENKUlT_SL_SM_SN_E_clIS8_S8_S9_S9_EESK_S10_SL_SM_SN_EUlS10_E1_NS1_11comp_targetILNS1_3genE0ELNS1_11target_archE4294967295ELNS1_3gpuE0ELNS1_3repE0EEENS1_36merge_oddeven_config_static_selectorELNS0_4arch9wavefront6targetE1EEEvSM_: ; @_ZN7rocprim17ROCPRIM_400000_NS6detail17trampoline_kernelINS0_14default_configENS1_38merge_sort_block_merge_config_selectorIlNS0_10empty_typeEEEZZNS1_27merge_sort_block_merge_implIS3_PlPS5_mZN2at6native12_GLOBAL__N_124unique_dim_cuda_templateIhEESt5tupleIJNSA_6TensorESF_SF_EERKSF_lbbbEUlllE_EE10hipError_tT0_T1_T2_jT3_P12ihipStream_tbPNSt15iterator_traitsISL_E10value_typeEPNSR_ISM_E10value_typeEPSN_NS1_7vsmem_tEENKUlT_SL_SM_SN_E_clIS8_S8_S9_S9_EESK_S10_SL_SM_SN_EUlS10_E1_NS1_11comp_targetILNS1_3genE0ELNS1_11target_archE4294967295ELNS1_3gpuE0ELNS1_3repE0EEENS1_36merge_oddeven_config_static_selectorELNS0_4arch9wavefront6targetE1EEEvSM_
; %bb.0:
	s_load_dword s22, s[0:1], 0x20
	s_waitcnt lgkmcnt(0)
	s_lshr_b32 s3, s22, 8
	s_cmp_lg_u32 s2, s3
	s_cselect_b64 s[12:13], -1, 0
	s_cmp_eq_u32 s2, s3
	s_cselect_b64 s[20:21], -1, 0
	s_lshl_b32 s18, s2, 8
	s_sub_i32 s3, s22, s18
	v_cmp_gt_u32_e64 s[4:5], s3, v0
	s_or_b64 s[6:7], s[12:13], s[4:5]
	s_and_saveexec_b64 s[8:9], s[6:7]
	s_cbranch_execz .LBB34_54
; %bb.1:
	s_load_dwordx4 s[8:11], s[0:1], 0x0
	s_load_dword s23, s[0:1], 0x28
	s_mov_b32 s19, 0
	s_lshl_b64 s[6:7], s[18:19], 3
	v_lshlrev_b32_e32 v1, 3, v0
	s_waitcnt lgkmcnt(0)
	s_add_u32 s6, s8, s6
	s_addc_u32 s7, s9, s7
	global_load_dwordx2 v[2:3], v1, s[6:7]
	s_lshr_b32 s3, s23, 8
	s_sub_i32 s6, 0, s3
	s_and_b32 s2, s2, s6
	s_and_b32 s3, s2, s3
	s_cmp_lg_u32 s3, 0
	s_cselect_b64 s[6:7], -1, 0
	s_lshl_b32 s19, s2, 8
	s_sub_i32 s2, 0, s23
	s_cmp_eq_u32 s3, 0
	s_cselect_b32 s33, s23, s2
	s_add_i32 s33, s33, s19
	s_cmp_lt_u32 s33, s22
	s_cbranch_scc1 .LBB34_3
; %bb.2:
	v_add_u32_e32 v4, s18, v0
	v_cmp_gt_u32_e32 vcc, s22, v4
	s_or_b64 s[12:13], vcc, s[12:13]
	s_and_b64 s[16:17], s[12:13], exec
	s_cbranch_execz .LBB34_4
	s_branch .LBB34_52
.LBB34_3:
	s_mov_b64 s[16:17], 0
                                        ; implicit-def: $vgpr4
.LBB34_4:
	s_load_dwordx4 s[12:15], s[0:1], 0x30
	s_min_u32 s40, s33, s22
	s_add_i32 s0, s40, s23
	s_min_u32 s41, s0, s22
	s_min_u32 s0, s19, s40
	v_add_u32_e32 v0, s18, v0
	s_add_i32 s19, s19, s40
	v_subrev_u32_e32 v0, s19, v0
	v_add_u32_e32 v14, s0, v0
	s_waitcnt vmcnt(0) lgkmcnt(0)
	v_mul_lo_u32 v4, v3, s12
	v_mul_lo_u32 v5, v2, s13
	v_mad_u64_u32 v[0:1], s[0:1], v2, s12, 0
	v_add3_u32 v1, v1, v5, v4
	v_cmp_gt_i64_e64 s[18:19], s[12:13], 0
	s_and_b64 vcc, exec, s[20:21]
	s_cbranch_vccz .LBB34_26
; %bb.5:
                                        ; implicit-def: $vgpr4
	s_and_saveexec_b64 s[20:21], s[4:5]
	s_cbranch_execz .LBB34_29
; %bb.6:
	s_cmp_ge_u32 s33, s41
	v_mov_b32_e32 v15, s40
	s_cbranch_scc1 .LBB34_28
; %bb.7:
	v_cndmask_b32_e64 v6, 0, 1, s[6:7]
	v_cmp_ne_u32_e64 s[0:1], 1, v6
	v_cndmask_b32_e64 v6, 0, 1, s[18:19]
	v_lshl_add_u64 v[4:5], s[14:15], 0, v[0:1]
	s_mov_b64 s[4:5], 0
	v_mov_b32_e32 v16, s41
	v_mov_b32_e32 v15, s40
	;; [unrolled: 1-line block ×3, first 2 shown]
	v_cmp_ne_u32_e64 s[2:3], 1, v6
	s_branch .LBB34_10
.LBB34_8:                               ;   in Loop: Header=BB34_10 Depth=1
	s_or_b64 exec, exec, s[24:25]
.LBB34_9:                               ;   in Loop: Header=BB34_10 Depth=1
	s_waitcnt vmcnt(0)
	v_add_u32_e32 v8, 1, v6
	v_cndmask_b32_e64 v16, v6, v16, s[22:23]
	v_cndmask_b32_e64 v15, v15, v8, s[22:23]
	v_cmp_ge_u32_e32 vcc, v15, v16
	s_or_b64 s[4:5], vcc, s[4:5]
	s_andn2_b64 exec, exec, s[4:5]
	s_cbranch_execz .LBB34_27
.LBB34_10:                              ; =>This Loop Header: Depth=1
                                        ;     Child Loop BB34_14 Depth 2
                                        ;     Child Loop BB34_23 Depth 2
	v_add_u32_e32 v6, v15, v16
	v_lshrrev_b32_e32 v6, 1, v6
	v_lshl_add_u64 v[8:9], v[6:7], 3, s[8:9]
	global_load_dwordx2 v[8:9], v[8:9], off
	s_and_b64 vcc, exec, s[0:1]
	s_mov_b64 s[24:25], -1
                                        ; implicit-def: $sgpr22_sgpr23
	s_cbranch_vccnz .LBB34_19
; %bb.11:                               ;   in Loop: Header=BB34_10 Depth=1
	s_and_b64 vcc, exec, s[2:3]
	s_cbranch_vccnz .LBB34_17
; %bb.12:                               ;   in Loop: Header=BB34_10 Depth=1
	v_mov_b64_e32 v[10:11], s[14:15]
	s_waitcnt vmcnt(0)
	v_mad_u64_u32 v[10:11], s[22:23], v8, s12, v[10:11]
	v_mul_lo_u32 v12, v8, s13
	v_mul_lo_u32 v13, v9, s12
	v_add3_u32 v11, v13, v11, v12
	s_mov_b64 s[22:23], 0
	s_mov_b64 s[28:29], s[12:13]
	v_mov_b64_e32 v[12:13], v[4:5]
                                        ; implicit-def: $sgpr24_sgpr25
                                        ; implicit-def: $sgpr26_sgpr27
                                        ; implicit-def: $sgpr30_sgpr31
                                        ; implicit-def: $sgpr34_sgpr35
	s_branch .LBB34_14
.LBB34_13:                              ;   in Loop: Header=BB34_14 Depth=2
	s_or_b64 exec, exec, s[38:39]
	s_and_b64 s[38:39], exec, s[26:27]
	s_or_b64 s[22:23], s[38:39], s[22:23]
	s_andn2_b64 s[34:35], s[34:35], exec
	s_and_b64 s[36:37], s[36:37], exec
	s_or_b64 s[34:35], s[34:35], s[36:37]
	s_andn2_b64 s[24:25], s[24:25], exec
	s_and_b64 s[36:37], s[30:31], exec
	s_or_b64 s[24:25], s[24:25], s[36:37]
	s_andn2_b64 exec, exec, s[22:23]
	s_cbranch_execz .LBB34_16
.LBB34_14:                              ;   Parent Loop BB34_10 Depth=1
                                        ; =>  This Inner Loop Header: Depth=2
	global_load_ubyte v17, v[12:13], off
	global_load_ubyte v18, v[10:11], off
	s_andn2_b64 s[30:31], s[30:31], exec
	s_or_b64 s[26:27], s[26:27], exec
	s_waitcnt vmcnt(0)
	v_cmp_le_u16_sdwa s[38:39], v17, v18 src0_sel:BYTE_0 src1_sel:BYTE_0
	v_cmp_lt_u16_sdwa s[36:37], v17, v18 src0_sel:BYTE_0 src1_sel:BYTE_0
	s_and_b64 s[38:39], s[38:39], s[34:35]
	s_or_b64 s[36:37], s[36:37], s[38:39]
	s_and_b64 s[38:39], s[36:37], exec
	v_cmp_eq_u16_sdwa s[42:43], v17, v18 src0_sel:BYTE_0 src1_sel:BYTE_0
	s_or_b64 s[30:31], s[30:31], s[38:39]
	s_and_saveexec_b64 s[38:39], s[42:43]
	s_cbranch_execz .LBB34_13
; %bb.15:                               ;   in Loop: Header=BB34_14 Depth=2
	s_add_u32 s28, s28, -1
	s_addc_u32 s29, s29, -1
	s_cmp_eq_u64 s[28:29], 0
	s_cselect_b64 s[34:35], -1, 0
	s_andn2_b64 s[26:27], s[26:27], exec
	s_and_b64 s[34:35], s[34:35], exec
	v_lshl_add_u64 v[12:13], v[12:13], 0, 1
	v_lshl_add_u64 v[10:11], v[10:11], 0, 1
	s_andn2_b64 s[30:31], s[30:31], exec
	s_or_b64 s[26:27], s[26:27], s[34:35]
                                        ; implicit-def: $sgpr34_sgpr35
	s_branch .LBB34_13
.LBB34_16:                              ;   in Loop: Header=BB34_10 Depth=1
	s_or_b64 exec, exec, s[22:23]
	s_xor_b64 s[22:23], s[24:25], -1
	s_branch .LBB34_18
.LBB34_17:                              ;   in Loop: Header=BB34_10 Depth=1
	s_mov_b64 s[22:23], -1
.LBB34_18:                              ;   in Loop: Header=BB34_10 Depth=1
	s_mov_b64 s[24:25], 0
.LBB34_19:                              ;   in Loop: Header=BB34_10 Depth=1
	s_andn2_b64 vcc, exec, s[24:25]
	s_cbranch_vccnz .LBB34_9
; %bb.20:                               ;   in Loop: Header=BB34_10 Depth=1
	s_and_b64 vcc, exec, s[2:3]
	s_cbranch_vccnz .LBB34_25
; %bb.21:                               ;   in Loop: Header=BB34_10 Depth=1
	v_mov_b64_e32 v[10:11], s[14:15]
	s_waitcnt vmcnt(0)
	v_mad_u64_u32 v[10:11], s[22:23], v8, s12, v[10:11]
	v_mul_lo_u32 v8, v8, s13
	v_mul_lo_u32 v9, v9, s12
	v_add3_u32 v11, v9, v11, v8
	s_mov_b64 s[24:25], 0
	s_mov_b64 s[28:29], s[12:13]
	v_mov_b64_e32 v[8:9], v[4:5]
                                        ; implicit-def: $sgpr22_sgpr23
                                        ; implicit-def: $sgpr26_sgpr27
                                        ; implicit-def: $sgpr30_sgpr31
                                        ; implicit-def: $sgpr34_sgpr35
	s_branch .LBB34_23
.LBB34_22:                              ;   in Loop: Header=BB34_23 Depth=2
	s_or_b64 exec, exec, s[38:39]
	s_and_b64 s[38:39], exec, s[26:27]
	s_or_b64 s[24:25], s[38:39], s[24:25]
	s_andn2_b64 s[34:35], s[34:35], exec
	s_and_b64 s[36:37], s[36:37], exec
	s_or_b64 s[34:35], s[34:35], s[36:37]
	s_andn2_b64 s[22:23], s[22:23], exec
	s_and_b64 s[36:37], s[30:31], exec
	s_or_b64 s[22:23], s[22:23], s[36:37]
	s_andn2_b64 exec, exec, s[24:25]
	s_cbranch_execz .LBB34_8
.LBB34_23:                              ;   Parent Loop BB34_10 Depth=1
                                        ; =>  This Inner Loop Header: Depth=2
	global_load_ubyte v12, v[10:11], off
	global_load_ubyte v13, v[8:9], off
	s_andn2_b64 s[30:31], s[30:31], exec
	s_or_b64 s[26:27], s[26:27], exec
	s_waitcnt vmcnt(0)
	v_cmp_le_u16_sdwa s[38:39], v12, v13 src0_sel:BYTE_0 src1_sel:BYTE_0
	v_cmp_lt_u16_sdwa s[36:37], v12, v13 src0_sel:BYTE_0 src1_sel:BYTE_0
	s_and_b64 s[38:39], s[38:39], s[34:35]
	s_or_b64 s[36:37], s[36:37], s[38:39]
	s_and_b64 s[38:39], s[36:37], exec
	v_cmp_eq_u16_sdwa s[42:43], v12, v13 src0_sel:BYTE_0 src1_sel:BYTE_0
	s_or_b64 s[30:31], s[30:31], s[38:39]
	s_and_saveexec_b64 s[38:39], s[42:43]
	s_cbranch_execz .LBB34_22
; %bb.24:                               ;   in Loop: Header=BB34_23 Depth=2
	s_add_u32 s28, s28, -1
	s_addc_u32 s29, s29, -1
	s_cmp_eq_u64 s[28:29], 0
	s_cselect_b64 s[34:35], -1, 0
	s_andn2_b64 s[26:27], s[26:27], exec
	s_and_b64 s[34:35], s[34:35], exec
	v_lshl_add_u64 v[10:11], v[10:11], 0, 1
	v_lshl_add_u64 v[8:9], v[8:9], 0, 1
	s_andn2_b64 s[30:31], s[30:31], exec
	s_or_b64 s[26:27], s[26:27], s[34:35]
                                        ; implicit-def: $sgpr34_sgpr35
	s_branch .LBB34_22
.LBB34_25:                              ;   in Loop: Header=BB34_10 Depth=1
	s_mov_b64 s[22:23], 0
	s_branch .LBB34_9
.LBB34_26:
                                        ; implicit-def: $vgpr4
	s_cbranch_execnz .LBB34_30
	s_branch .LBB34_52
.LBB34_27:
	s_or_b64 exec, exec, s[4:5]
.LBB34_28:
	v_add_u32_e32 v4, v15, v14
	s_or_b64 s[16:17], s[16:17], exec
.LBB34_29:
	s_or_b64 exec, exec, s[20:21]
	s_branch .LBB34_52
.LBB34_30:
	s_cmp_ge_u32 s33, s41
	v_mov_b32_e32 v12, s40
	s_cbranch_scc1 .LBB34_51
; %bb.31:
	v_cndmask_b32_e64 v4, 0, 1, s[6:7]
	v_cmp_ne_u32_e64 s[0:1], 1, v4
	v_cndmask_b32_e64 v4, 0, 1, s[18:19]
	v_lshl_add_u64 v[0:1], s[14:15], 0, v[0:1]
	s_mov_b64 s[4:5], 0
	v_mov_b32_e32 v13, s41
	v_mov_b32_e32 v12, s40
	;; [unrolled: 1-line block ×3, first 2 shown]
	v_cmp_ne_u32_e64 s[2:3], 1, v4
	s_branch .LBB34_34
.LBB34_32:                              ;   in Loop: Header=BB34_34 Depth=1
	s_or_b64 exec, exec, s[16:17]
.LBB34_33:                              ;   in Loop: Header=BB34_34 Depth=1
	s_waitcnt vmcnt(0)
	v_add_u32_e32 v6, 1, v4
	v_cndmask_b32_e64 v13, v4, v13, s[6:7]
	v_cndmask_b32_e64 v12, v12, v6, s[6:7]
	v_cmp_ge_u32_e32 vcc, v12, v13
	s_or_b64 s[4:5], vcc, s[4:5]
	s_andn2_b64 exec, exec, s[4:5]
	s_cbranch_execz .LBB34_50
.LBB34_34:                              ; =>This Loop Header: Depth=1
                                        ;     Child Loop BB34_38 Depth 2
                                        ;     Child Loop BB34_47 Depth 2
	v_add_u32_e32 v4, v12, v13
	v_lshrrev_b32_e32 v4, 1, v4
	v_lshl_add_u64 v[6:7], v[4:5], 3, s[8:9]
	global_load_dwordx2 v[6:7], v[6:7], off
	s_and_b64 vcc, exec, s[0:1]
	s_mov_b64 s[16:17], -1
                                        ; implicit-def: $sgpr6_sgpr7
	s_cbranch_vccnz .LBB34_43
; %bb.35:                               ;   in Loop: Header=BB34_34 Depth=1
	s_and_b64 vcc, exec, s[2:3]
	s_cbranch_vccnz .LBB34_41
; %bb.36:                               ;   in Loop: Header=BB34_34 Depth=1
	v_mov_b64_e32 v[8:9], s[14:15]
	s_waitcnt vmcnt(0)
	v_mad_u64_u32 v[8:9], s[6:7], v6, s12, v[8:9]
	v_mul_lo_u32 v10, v6, s13
	v_mul_lo_u32 v11, v7, s12
	v_add3_u32 v9, v11, v9, v10
	s_mov_b64 s[6:7], 0
	s_mov_b64 s[20:21], s[12:13]
	v_mov_b64_e32 v[10:11], v[0:1]
                                        ; implicit-def: $sgpr16_sgpr17
                                        ; implicit-def: $sgpr18_sgpr19
                                        ; implicit-def: $sgpr22_sgpr23
                                        ; implicit-def: $sgpr24_sgpr25
	s_branch .LBB34_38
.LBB34_37:                              ;   in Loop: Header=BB34_38 Depth=2
	s_or_b64 exec, exec, s[28:29]
	s_and_b64 s[28:29], exec, s[18:19]
	s_or_b64 s[6:7], s[28:29], s[6:7]
	s_andn2_b64 s[24:25], s[24:25], exec
	s_and_b64 s[26:27], s[26:27], exec
	s_or_b64 s[24:25], s[24:25], s[26:27]
	s_andn2_b64 s[16:17], s[16:17], exec
	s_and_b64 s[26:27], s[22:23], exec
	s_or_b64 s[16:17], s[16:17], s[26:27]
	s_andn2_b64 exec, exec, s[6:7]
	s_cbranch_execz .LBB34_40
.LBB34_38:                              ;   Parent Loop BB34_34 Depth=1
                                        ; =>  This Inner Loop Header: Depth=2
	global_load_ubyte v15, v[10:11], off
	global_load_ubyte v16, v[8:9], off
	s_andn2_b64 s[22:23], s[22:23], exec
	s_or_b64 s[18:19], s[18:19], exec
	s_waitcnt vmcnt(0)
	v_cmp_le_u16_sdwa s[28:29], v15, v16 src0_sel:BYTE_0 src1_sel:BYTE_0
	v_cmp_lt_u16_sdwa s[26:27], v15, v16 src0_sel:BYTE_0 src1_sel:BYTE_0
	s_and_b64 s[28:29], s[28:29], s[24:25]
	s_or_b64 s[26:27], s[26:27], s[28:29]
	s_and_b64 s[28:29], s[26:27], exec
	v_cmp_eq_u16_sdwa s[30:31], v15, v16 src0_sel:BYTE_0 src1_sel:BYTE_0
	s_or_b64 s[22:23], s[22:23], s[28:29]
	s_and_saveexec_b64 s[28:29], s[30:31]
	s_cbranch_execz .LBB34_37
; %bb.39:                               ;   in Loop: Header=BB34_38 Depth=2
	s_add_u32 s20, s20, -1
	s_addc_u32 s21, s21, -1
	s_cmp_eq_u64 s[20:21], 0
	s_cselect_b64 s[24:25], -1, 0
	s_andn2_b64 s[18:19], s[18:19], exec
	s_and_b64 s[24:25], s[24:25], exec
	v_lshl_add_u64 v[10:11], v[10:11], 0, 1
	v_lshl_add_u64 v[8:9], v[8:9], 0, 1
	s_andn2_b64 s[22:23], s[22:23], exec
	s_or_b64 s[18:19], s[18:19], s[24:25]
                                        ; implicit-def: $sgpr24_sgpr25
	s_branch .LBB34_37
.LBB34_40:                              ;   in Loop: Header=BB34_34 Depth=1
	s_or_b64 exec, exec, s[6:7]
	s_xor_b64 s[6:7], s[16:17], -1
	s_branch .LBB34_42
.LBB34_41:                              ;   in Loop: Header=BB34_34 Depth=1
	s_mov_b64 s[6:7], -1
.LBB34_42:                              ;   in Loop: Header=BB34_34 Depth=1
	s_mov_b64 s[16:17], 0
.LBB34_43:                              ;   in Loop: Header=BB34_34 Depth=1
	s_andn2_b64 vcc, exec, s[16:17]
	s_cbranch_vccnz .LBB34_33
; %bb.44:                               ;   in Loop: Header=BB34_34 Depth=1
	s_and_b64 vcc, exec, s[2:3]
	s_cbranch_vccnz .LBB34_49
; %bb.45:                               ;   in Loop: Header=BB34_34 Depth=1
	v_mov_b64_e32 v[8:9], s[14:15]
	s_waitcnt vmcnt(0)
	v_mad_u64_u32 v[8:9], s[6:7], v6, s12, v[8:9]
	v_mul_lo_u32 v6, v6, s13
	v_mul_lo_u32 v7, v7, s12
	v_add3_u32 v9, v7, v9, v6
	s_mov_b64 s[16:17], 0
	s_mov_b64 s[20:21], s[12:13]
	v_mov_b64_e32 v[6:7], v[0:1]
                                        ; implicit-def: $sgpr6_sgpr7
                                        ; implicit-def: $sgpr18_sgpr19
                                        ; implicit-def: $sgpr22_sgpr23
                                        ; implicit-def: $sgpr24_sgpr25
	s_branch .LBB34_47
.LBB34_46:                              ;   in Loop: Header=BB34_47 Depth=2
	s_or_b64 exec, exec, s[28:29]
	s_and_b64 s[28:29], exec, s[18:19]
	s_or_b64 s[16:17], s[28:29], s[16:17]
	s_andn2_b64 s[24:25], s[24:25], exec
	s_and_b64 s[26:27], s[26:27], exec
	s_or_b64 s[24:25], s[24:25], s[26:27]
	s_andn2_b64 s[6:7], s[6:7], exec
	s_and_b64 s[26:27], s[22:23], exec
	s_or_b64 s[6:7], s[6:7], s[26:27]
	s_andn2_b64 exec, exec, s[16:17]
	s_cbranch_execz .LBB34_32
.LBB34_47:                              ;   Parent Loop BB34_34 Depth=1
                                        ; =>  This Inner Loop Header: Depth=2
	global_load_ubyte v10, v[8:9], off
	global_load_ubyte v11, v[6:7], off
	s_andn2_b64 s[22:23], s[22:23], exec
	s_or_b64 s[18:19], s[18:19], exec
	s_waitcnt vmcnt(0)
	v_cmp_le_u16_sdwa s[28:29], v10, v11 src0_sel:BYTE_0 src1_sel:BYTE_0
	v_cmp_lt_u16_sdwa s[26:27], v10, v11 src0_sel:BYTE_0 src1_sel:BYTE_0
	s_and_b64 s[28:29], s[28:29], s[24:25]
	s_or_b64 s[26:27], s[26:27], s[28:29]
	s_and_b64 s[28:29], s[26:27], exec
	v_cmp_eq_u16_sdwa s[30:31], v10, v11 src0_sel:BYTE_0 src1_sel:BYTE_0
	s_or_b64 s[22:23], s[22:23], s[28:29]
	s_and_saveexec_b64 s[28:29], s[30:31]
	s_cbranch_execz .LBB34_46
; %bb.48:                               ;   in Loop: Header=BB34_47 Depth=2
	s_add_u32 s20, s20, -1
	s_addc_u32 s21, s21, -1
	s_cmp_eq_u64 s[20:21], 0
	s_cselect_b64 s[24:25], -1, 0
	s_andn2_b64 s[18:19], s[18:19], exec
	s_and_b64 s[24:25], s[24:25], exec
	v_lshl_add_u64 v[8:9], v[8:9], 0, 1
	v_lshl_add_u64 v[6:7], v[6:7], 0, 1
	s_andn2_b64 s[22:23], s[22:23], exec
	s_or_b64 s[18:19], s[18:19], s[24:25]
                                        ; implicit-def: $sgpr24_sgpr25
	s_branch .LBB34_46
.LBB34_49:                              ;   in Loop: Header=BB34_34 Depth=1
	s_mov_b64 s[6:7], 0
	s_branch .LBB34_33
.LBB34_50:
	s_or_b64 exec, exec, s[4:5]
.LBB34_51:
	v_add_u32_e32 v4, v12, v14
	s_mov_b64 s[16:17], -1
.LBB34_52:
	s_and_b64 exec, exec, s[16:17]
	s_cbranch_execz .LBB34_54
; %bb.53:
	v_mov_b32_e32 v0, s10
	v_mov_b32_e32 v1, s11
	;; [unrolled: 1-line block ×3, first 2 shown]
	v_lshl_add_u64 v[0:1], v[4:5], 3, v[0:1]
	s_waitcnt vmcnt(0)
	global_store_dwordx2 v[0:1], v[2:3], off
.LBB34_54:
	s_endpgm
	.section	.rodata,"a",@progbits
	.p2align	6, 0x0
	.amdhsa_kernel _ZN7rocprim17ROCPRIM_400000_NS6detail17trampoline_kernelINS0_14default_configENS1_38merge_sort_block_merge_config_selectorIlNS0_10empty_typeEEEZZNS1_27merge_sort_block_merge_implIS3_PlPS5_mZN2at6native12_GLOBAL__N_124unique_dim_cuda_templateIhEESt5tupleIJNSA_6TensorESF_SF_EERKSF_lbbbEUlllE_EE10hipError_tT0_T1_T2_jT3_P12ihipStream_tbPNSt15iterator_traitsISL_E10value_typeEPNSR_ISM_E10value_typeEPSN_NS1_7vsmem_tEENKUlT_SL_SM_SN_E_clIS8_S8_S9_S9_EESK_S10_SL_SM_SN_EUlS10_E1_NS1_11comp_targetILNS1_3genE0ELNS1_11target_archE4294967295ELNS1_3gpuE0ELNS1_3repE0EEENS1_36merge_oddeven_config_static_selectorELNS0_4arch9wavefront6targetE1EEEvSM_
		.amdhsa_group_segment_fixed_size 0
		.amdhsa_private_segment_fixed_size 0
		.amdhsa_kernarg_size 64
		.amdhsa_user_sgpr_count 2
		.amdhsa_user_sgpr_dispatch_ptr 0
		.amdhsa_user_sgpr_queue_ptr 0
		.amdhsa_user_sgpr_kernarg_segment_ptr 1
		.amdhsa_user_sgpr_dispatch_id 0
		.amdhsa_user_sgpr_kernarg_preload_length 0
		.amdhsa_user_sgpr_kernarg_preload_offset 0
		.amdhsa_user_sgpr_private_segment_size 0
		.amdhsa_uses_dynamic_stack 0
		.amdhsa_enable_private_segment 0
		.amdhsa_system_sgpr_workgroup_id_x 1
		.amdhsa_system_sgpr_workgroup_id_y 0
		.amdhsa_system_sgpr_workgroup_id_z 0
		.amdhsa_system_sgpr_workgroup_info 0
		.amdhsa_system_vgpr_workitem_id 0
		.amdhsa_next_free_vgpr 19
		.amdhsa_next_free_sgpr 44
		.amdhsa_accum_offset 20
		.amdhsa_reserve_vcc 1
		.amdhsa_float_round_mode_32 0
		.amdhsa_float_round_mode_16_64 0
		.amdhsa_float_denorm_mode_32 3
		.amdhsa_float_denorm_mode_16_64 3
		.amdhsa_dx10_clamp 1
		.amdhsa_ieee_mode 1
		.amdhsa_fp16_overflow 0
		.amdhsa_tg_split 0
		.amdhsa_exception_fp_ieee_invalid_op 0
		.amdhsa_exception_fp_denorm_src 0
		.amdhsa_exception_fp_ieee_div_zero 0
		.amdhsa_exception_fp_ieee_overflow 0
		.amdhsa_exception_fp_ieee_underflow 0
		.amdhsa_exception_fp_ieee_inexact 0
		.amdhsa_exception_int_div_zero 0
	.end_amdhsa_kernel
	.section	.text._ZN7rocprim17ROCPRIM_400000_NS6detail17trampoline_kernelINS0_14default_configENS1_38merge_sort_block_merge_config_selectorIlNS0_10empty_typeEEEZZNS1_27merge_sort_block_merge_implIS3_PlPS5_mZN2at6native12_GLOBAL__N_124unique_dim_cuda_templateIhEESt5tupleIJNSA_6TensorESF_SF_EERKSF_lbbbEUlllE_EE10hipError_tT0_T1_T2_jT3_P12ihipStream_tbPNSt15iterator_traitsISL_E10value_typeEPNSR_ISM_E10value_typeEPSN_NS1_7vsmem_tEENKUlT_SL_SM_SN_E_clIS8_S8_S9_S9_EESK_S10_SL_SM_SN_EUlS10_E1_NS1_11comp_targetILNS1_3genE0ELNS1_11target_archE4294967295ELNS1_3gpuE0ELNS1_3repE0EEENS1_36merge_oddeven_config_static_selectorELNS0_4arch9wavefront6targetE1EEEvSM_,"axG",@progbits,_ZN7rocprim17ROCPRIM_400000_NS6detail17trampoline_kernelINS0_14default_configENS1_38merge_sort_block_merge_config_selectorIlNS0_10empty_typeEEEZZNS1_27merge_sort_block_merge_implIS3_PlPS5_mZN2at6native12_GLOBAL__N_124unique_dim_cuda_templateIhEESt5tupleIJNSA_6TensorESF_SF_EERKSF_lbbbEUlllE_EE10hipError_tT0_T1_T2_jT3_P12ihipStream_tbPNSt15iterator_traitsISL_E10value_typeEPNSR_ISM_E10value_typeEPSN_NS1_7vsmem_tEENKUlT_SL_SM_SN_E_clIS8_S8_S9_S9_EESK_S10_SL_SM_SN_EUlS10_E1_NS1_11comp_targetILNS1_3genE0ELNS1_11target_archE4294967295ELNS1_3gpuE0ELNS1_3repE0EEENS1_36merge_oddeven_config_static_selectorELNS0_4arch9wavefront6targetE1EEEvSM_,comdat
.Lfunc_end34:
	.size	_ZN7rocprim17ROCPRIM_400000_NS6detail17trampoline_kernelINS0_14default_configENS1_38merge_sort_block_merge_config_selectorIlNS0_10empty_typeEEEZZNS1_27merge_sort_block_merge_implIS3_PlPS5_mZN2at6native12_GLOBAL__N_124unique_dim_cuda_templateIhEESt5tupleIJNSA_6TensorESF_SF_EERKSF_lbbbEUlllE_EE10hipError_tT0_T1_T2_jT3_P12ihipStream_tbPNSt15iterator_traitsISL_E10value_typeEPNSR_ISM_E10value_typeEPSN_NS1_7vsmem_tEENKUlT_SL_SM_SN_E_clIS8_S8_S9_S9_EESK_S10_SL_SM_SN_EUlS10_E1_NS1_11comp_targetILNS1_3genE0ELNS1_11target_archE4294967295ELNS1_3gpuE0ELNS1_3repE0EEENS1_36merge_oddeven_config_static_selectorELNS0_4arch9wavefront6targetE1EEEvSM_, .Lfunc_end34-_ZN7rocprim17ROCPRIM_400000_NS6detail17trampoline_kernelINS0_14default_configENS1_38merge_sort_block_merge_config_selectorIlNS0_10empty_typeEEEZZNS1_27merge_sort_block_merge_implIS3_PlPS5_mZN2at6native12_GLOBAL__N_124unique_dim_cuda_templateIhEESt5tupleIJNSA_6TensorESF_SF_EERKSF_lbbbEUlllE_EE10hipError_tT0_T1_T2_jT3_P12ihipStream_tbPNSt15iterator_traitsISL_E10value_typeEPNSR_ISM_E10value_typeEPSN_NS1_7vsmem_tEENKUlT_SL_SM_SN_E_clIS8_S8_S9_S9_EESK_S10_SL_SM_SN_EUlS10_E1_NS1_11comp_targetILNS1_3genE0ELNS1_11target_archE4294967295ELNS1_3gpuE0ELNS1_3repE0EEENS1_36merge_oddeven_config_static_selectorELNS0_4arch9wavefront6targetE1EEEvSM_
                                        ; -- End function
	.set _ZN7rocprim17ROCPRIM_400000_NS6detail17trampoline_kernelINS0_14default_configENS1_38merge_sort_block_merge_config_selectorIlNS0_10empty_typeEEEZZNS1_27merge_sort_block_merge_implIS3_PlPS5_mZN2at6native12_GLOBAL__N_124unique_dim_cuda_templateIhEESt5tupleIJNSA_6TensorESF_SF_EERKSF_lbbbEUlllE_EE10hipError_tT0_T1_T2_jT3_P12ihipStream_tbPNSt15iterator_traitsISL_E10value_typeEPNSR_ISM_E10value_typeEPSN_NS1_7vsmem_tEENKUlT_SL_SM_SN_E_clIS8_S8_S9_S9_EESK_S10_SL_SM_SN_EUlS10_E1_NS1_11comp_targetILNS1_3genE0ELNS1_11target_archE4294967295ELNS1_3gpuE0ELNS1_3repE0EEENS1_36merge_oddeven_config_static_selectorELNS0_4arch9wavefront6targetE1EEEvSM_.num_vgpr, 19
	.set _ZN7rocprim17ROCPRIM_400000_NS6detail17trampoline_kernelINS0_14default_configENS1_38merge_sort_block_merge_config_selectorIlNS0_10empty_typeEEEZZNS1_27merge_sort_block_merge_implIS3_PlPS5_mZN2at6native12_GLOBAL__N_124unique_dim_cuda_templateIhEESt5tupleIJNSA_6TensorESF_SF_EERKSF_lbbbEUlllE_EE10hipError_tT0_T1_T2_jT3_P12ihipStream_tbPNSt15iterator_traitsISL_E10value_typeEPNSR_ISM_E10value_typeEPSN_NS1_7vsmem_tEENKUlT_SL_SM_SN_E_clIS8_S8_S9_S9_EESK_S10_SL_SM_SN_EUlS10_E1_NS1_11comp_targetILNS1_3genE0ELNS1_11target_archE4294967295ELNS1_3gpuE0ELNS1_3repE0EEENS1_36merge_oddeven_config_static_selectorELNS0_4arch9wavefront6targetE1EEEvSM_.num_agpr, 0
	.set _ZN7rocprim17ROCPRIM_400000_NS6detail17trampoline_kernelINS0_14default_configENS1_38merge_sort_block_merge_config_selectorIlNS0_10empty_typeEEEZZNS1_27merge_sort_block_merge_implIS3_PlPS5_mZN2at6native12_GLOBAL__N_124unique_dim_cuda_templateIhEESt5tupleIJNSA_6TensorESF_SF_EERKSF_lbbbEUlllE_EE10hipError_tT0_T1_T2_jT3_P12ihipStream_tbPNSt15iterator_traitsISL_E10value_typeEPNSR_ISM_E10value_typeEPSN_NS1_7vsmem_tEENKUlT_SL_SM_SN_E_clIS8_S8_S9_S9_EESK_S10_SL_SM_SN_EUlS10_E1_NS1_11comp_targetILNS1_3genE0ELNS1_11target_archE4294967295ELNS1_3gpuE0ELNS1_3repE0EEENS1_36merge_oddeven_config_static_selectorELNS0_4arch9wavefront6targetE1EEEvSM_.numbered_sgpr, 44
	.set _ZN7rocprim17ROCPRIM_400000_NS6detail17trampoline_kernelINS0_14default_configENS1_38merge_sort_block_merge_config_selectorIlNS0_10empty_typeEEEZZNS1_27merge_sort_block_merge_implIS3_PlPS5_mZN2at6native12_GLOBAL__N_124unique_dim_cuda_templateIhEESt5tupleIJNSA_6TensorESF_SF_EERKSF_lbbbEUlllE_EE10hipError_tT0_T1_T2_jT3_P12ihipStream_tbPNSt15iterator_traitsISL_E10value_typeEPNSR_ISM_E10value_typeEPSN_NS1_7vsmem_tEENKUlT_SL_SM_SN_E_clIS8_S8_S9_S9_EESK_S10_SL_SM_SN_EUlS10_E1_NS1_11comp_targetILNS1_3genE0ELNS1_11target_archE4294967295ELNS1_3gpuE0ELNS1_3repE0EEENS1_36merge_oddeven_config_static_selectorELNS0_4arch9wavefront6targetE1EEEvSM_.num_named_barrier, 0
	.set _ZN7rocprim17ROCPRIM_400000_NS6detail17trampoline_kernelINS0_14default_configENS1_38merge_sort_block_merge_config_selectorIlNS0_10empty_typeEEEZZNS1_27merge_sort_block_merge_implIS3_PlPS5_mZN2at6native12_GLOBAL__N_124unique_dim_cuda_templateIhEESt5tupleIJNSA_6TensorESF_SF_EERKSF_lbbbEUlllE_EE10hipError_tT0_T1_T2_jT3_P12ihipStream_tbPNSt15iterator_traitsISL_E10value_typeEPNSR_ISM_E10value_typeEPSN_NS1_7vsmem_tEENKUlT_SL_SM_SN_E_clIS8_S8_S9_S9_EESK_S10_SL_SM_SN_EUlS10_E1_NS1_11comp_targetILNS1_3genE0ELNS1_11target_archE4294967295ELNS1_3gpuE0ELNS1_3repE0EEENS1_36merge_oddeven_config_static_selectorELNS0_4arch9wavefront6targetE1EEEvSM_.private_seg_size, 0
	.set _ZN7rocprim17ROCPRIM_400000_NS6detail17trampoline_kernelINS0_14default_configENS1_38merge_sort_block_merge_config_selectorIlNS0_10empty_typeEEEZZNS1_27merge_sort_block_merge_implIS3_PlPS5_mZN2at6native12_GLOBAL__N_124unique_dim_cuda_templateIhEESt5tupleIJNSA_6TensorESF_SF_EERKSF_lbbbEUlllE_EE10hipError_tT0_T1_T2_jT3_P12ihipStream_tbPNSt15iterator_traitsISL_E10value_typeEPNSR_ISM_E10value_typeEPSN_NS1_7vsmem_tEENKUlT_SL_SM_SN_E_clIS8_S8_S9_S9_EESK_S10_SL_SM_SN_EUlS10_E1_NS1_11comp_targetILNS1_3genE0ELNS1_11target_archE4294967295ELNS1_3gpuE0ELNS1_3repE0EEENS1_36merge_oddeven_config_static_selectorELNS0_4arch9wavefront6targetE1EEEvSM_.uses_vcc, 1
	.set _ZN7rocprim17ROCPRIM_400000_NS6detail17trampoline_kernelINS0_14default_configENS1_38merge_sort_block_merge_config_selectorIlNS0_10empty_typeEEEZZNS1_27merge_sort_block_merge_implIS3_PlPS5_mZN2at6native12_GLOBAL__N_124unique_dim_cuda_templateIhEESt5tupleIJNSA_6TensorESF_SF_EERKSF_lbbbEUlllE_EE10hipError_tT0_T1_T2_jT3_P12ihipStream_tbPNSt15iterator_traitsISL_E10value_typeEPNSR_ISM_E10value_typeEPSN_NS1_7vsmem_tEENKUlT_SL_SM_SN_E_clIS8_S8_S9_S9_EESK_S10_SL_SM_SN_EUlS10_E1_NS1_11comp_targetILNS1_3genE0ELNS1_11target_archE4294967295ELNS1_3gpuE0ELNS1_3repE0EEENS1_36merge_oddeven_config_static_selectorELNS0_4arch9wavefront6targetE1EEEvSM_.uses_flat_scratch, 0
	.set _ZN7rocprim17ROCPRIM_400000_NS6detail17trampoline_kernelINS0_14default_configENS1_38merge_sort_block_merge_config_selectorIlNS0_10empty_typeEEEZZNS1_27merge_sort_block_merge_implIS3_PlPS5_mZN2at6native12_GLOBAL__N_124unique_dim_cuda_templateIhEESt5tupleIJNSA_6TensorESF_SF_EERKSF_lbbbEUlllE_EE10hipError_tT0_T1_T2_jT3_P12ihipStream_tbPNSt15iterator_traitsISL_E10value_typeEPNSR_ISM_E10value_typeEPSN_NS1_7vsmem_tEENKUlT_SL_SM_SN_E_clIS8_S8_S9_S9_EESK_S10_SL_SM_SN_EUlS10_E1_NS1_11comp_targetILNS1_3genE0ELNS1_11target_archE4294967295ELNS1_3gpuE0ELNS1_3repE0EEENS1_36merge_oddeven_config_static_selectorELNS0_4arch9wavefront6targetE1EEEvSM_.has_dyn_sized_stack, 0
	.set _ZN7rocprim17ROCPRIM_400000_NS6detail17trampoline_kernelINS0_14default_configENS1_38merge_sort_block_merge_config_selectorIlNS0_10empty_typeEEEZZNS1_27merge_sort_block_merge_implIS3_PlPS5_mZN2at6native12_GLOBAL__N_124unique_dim_cuda_templateIhEESt5tupleIJNSA_6TensorESF_SF_EERKSF_lbbbEUlllE_EE10hipError_tT0_T1_T2_jT3_P12ihipStream_tbPNSt15iterator_traitsISL_E10value_typeEPNSR_ISM_E10value_typeEPSN_NS1_7vsmem_tEENKUlT_SL_SM_SN_E_clIS8_S8_S9_S9_EESK_S10_SL_SM_SN_EUlS10_E1_NS1_11comp_targetILNS1_3genE0ELNS1_11target_archE4294967295ELNS1_3gpuE0ELNS1_3repE0EEENS1_36merge_oddeven_config_static_selectorELNS0_4arch9wavefront6targetE1EEEvSM_.has_recursion, 0
	.set _ZN7rocprim17ROCPRIM_400000_NS6detail17trampoline_kernelINS0_14default_configENS1_38merge_sort_block_merge_config_selectorIlNS0_10empty_typeEEEZZNS1_27merge_sort_block_merge_implIS3_PlPS5_mZN2at6native12_GLOBAL__N_124unique_dim_cuda_templateIhEESt5tupleIJNSA_6TensorESF_SF_EERKSF_lbbbEUlllE_EE10hipError_tT0_T1_T2_jT3_P12ihipStream_tbPNSt15iterator_traitsISL_E10value_typeEPNSR_ISM_E10value_typeEPSN_NS1_7vsmem_tEENKUlT_SL_SM_SN_E_clIS8_S8_S9_S9_EESK_S10_SL_SM_SN_EUlS10_E1_NS1_11comp_targetILNS1_3genE0ELNS1_11target_archE4294967295ELNS1_3gpuE0ELNS1_3repE0EEENS1_36merge_oddeven_config_static_selectorELNS0_4arch9wavefront6targetE1EEEvSM_.has_indirect_call, 0
	.section	.AMDGPU.csdata,"",@progbits
; Kernel info:
; codeLenInByte = 1692
; TotalNumSgprs: 50
; NumVgprs: 19
; NumAgprs: 0
; TotalNumVgprs: 19
; ScratchSize: 0
; MemoryBound: 0
; FloatMode: 240
; IeeeMode: 1
; LDSByteSize: 0 bytes/workgroup (compile time only)
; SGPRBlocks: 6
; VGPRBlocks: 2
; NumSGPRsForWavesPerEU: 50
; NumVGPRsForWavesPerEU: 19
; AccumOffset: 20
; Occupancy: 8
; WaveLimiterHint : 0
; COMPUTE_PGM_RSRC2:SCRATCH_EN: 0
; COMPUTE_PGM_RSRC2:USER_SGPR: 2
; COMPUTE_PGM_RSRC2:TRAP_HANDLER: 0
; COMPUTE_PGM_RSRC2:TGID_X_EN: 1
; COMPUTE_PGM_RSRC2:TGID_Y_EN: 0
; COMPUTE_PGM_RSRC2:TGID_Z_EN: 0
; COMPUTE_PGM_RSRC2:TIDIG_COMP_CNT: 0
; COMPUTE_PGM_RSRC3_GFX90A:ACCUM_OFFSET: 4
; COMPUTE_PGM_RSRC3_GFX90A:TG_SPLIT: 0
	.section	.text._ZN7rocprim17ROCPRIM_400000_NS6detail17trampoline_kernelINS0_14default_configENS1_38merge_sort_block_merge_config_selectorIlNS0_10empty_typeEEEZZNS1_27merge_sort_block_merge_implIS3_PlPS5_mZN2at6native12_GLOBAL__N_124unique_dim_cuda_templateIhEESt5tupleIJNSA_6TensorESF_SF_EERKSF_lbbbEUlllE_EE10hipError_tT0_T1_T2_jT3_P12ihipStream_tbPNSt15iterator_traitsISL_E10value_typeEPNSR_ISM_E10value_typeEPSN_NS1_7vsmem_tEENKUlT_SL_SM_SN_E_clIS8_S8_S9_S9_EESK_S10_SL_SM_SN_EUlS10_E1_NS1_11comp_targetILNS1_3genE10ELNS1_11target_archE1201ELNS1_3gpuE5ELNS1_3repE0EEENS1_36merge_oddeven_config_static_selectorELNS0_4arch9wavefront6targetE1EEEvSM_,"axG",@progbits,_ZN7rocprim17ROCPRIM_400000_NS6detail17trampoline_kernelINS0_14default_configENS1_38merge_sort_block_merge_config_selectorIlNS0_10empty_typeEEEZZNS1_27merge_sort_block_merge_implIS3_PlPS5_mZN2at6native12_GLOBAL__N_124unique_dim_cuda_templateIhEESt5tupleIJNSA_6TensorESF_SF_EERKSF_lbbbEUlllE_EE10hipError_tT0_T1_T2_jT3_P12ihipStream_tbPNSt15iterator_traitsISL_E10value_typeEPNSR_ISM_E10value_typeEPSN_NS1_7vsmem_tEENKUlT_SL_SM_SN_E_clIS8_S8_S9_S9_EESK_S10_SL_SM_SN_EUlS10_E1_NS1_11comp_targetILNS1_3genE10ELNS1_11target_archE1201ELNS1_3gpuE5ELNS1_3repE0EEENS1_36merge_oddeven_config_static_selectorELNS0_4arch9wavefront6targetE1EEEvSM_,comdat
	.globl	_ZN7rocprim17ROCPRIM_400000_NS6detail17trampoline_kernelINS0_14default_configENS1_38merge_sort_block_merge_config_selectorIlNS0_10empty_typeEEEZZNS1_27merge_sort_block_merge_implIS3_PlPS5_mZN2at6native12_GLOBAL__N_124unique_dim_cuda_templateIhEESt5tupleIJNSA_6TensorESF_SF_EERKSF_lbbbEUlllE_EE10hipError_tT0_T1_T2_jT3_P12ihipStream_tbPNSt15iterator_traitsISL_E10value_typeEPNSR_ISM_E10value_typeEPSN_NS1_7vsmem_tEENKUlT_SL_SM_SN_E_clIS8_S8_S9_S9_EESK_S10_SL_SM_SN_EUlS10_E1_NS1_11comp_targetILNS1_3genE10ELNS1_11target_archE1201ELNS1_3gpuE5ELNS1_3repE0EEENS1_36merge_oddeven_config_static_selectorELNS0_4arch9wavefront6targetE1EEEvSM_ ; -- Begin function _ZN7rocprim17ROCPRIM_400000_NS6detail17trampoline_kernelINS0_14default_configENS1_38merge_sort_block_merge_config_selectorIlNS0_10empty_typeEEEZZNS1_27merge_sort_block_merge_implIS3_PlPS5_mZN2at6native12_GLOBAL__N_124unique_dim_cuda_templateIhEESt5tupleIJNSA_6TensorESF_SF_EERKSF_lbbbEUlllE_EE10hipError_tT0_T1_T2_jT3_P12ihipStream_tbPNSt15iterator_traitsISL_E10value_typeEPNSR_ISM_E10value_typeEPSN_NS1_7vsmem_tEENKUlT_SL_SM_SN_E_clIS8_S8_S9_S9_EESK_S10_SL_SM_SN_EUlS10_E1_NS1_11comp_targetILNS1_3genE10ELNS1_11target_archE1201ELNS1_3gpuE5ELNS1_3repE0EEENS1_36merge_oddeven_config_static_selectorELNS0_4arch9wavefront6targetE1EEEvSM_
	.p2align	8
	.type	_ZN7rocprim17ROCPRIM_400000_NS6detail17trampoline_kernelINS0_14default_configENS1_38merge_sort_block_merge_config_selectorIlNS0_10empty_typeEEEZZNS1_27merge_sort_block_merge_implIS3_PlPS5_mZN2at6native12_GLOBAL__N_124unique_dim_cuda_templateIhEESt5tupleIJNSA_6TensorESF_SF_EERKSF_lbbbEUlllE_EE10hipError_tT0_T1_T2_jT3_P12ihipStream_tbPNSt15iterator_traitsISL_E10value_typeEPNSR_ISM_E10value_typeEPSN_NS1_7vsmem_tEENKUlT_SL_SM_SN_E_clIS8_S8_S9_S9_EESK_S10_SL_SM_SN_EUlS10_E1_NS1_11comp_targetILNS1_3genE10ELNS1_11target_archE1201ELNS1_3gpuE5ELNS1_3repE0EEENS1_36merge_oddeven_config_static_selectorELNS0_4arch9wavefront6targetE1EEEvSM_,@function
_ZN7rocprim17ROCPRIM_400000_NS6detail17trampoline_kernelINS0_14default_configENS1_38merge_sort_block_merge_config_selectorIlNS0_10empty_typeEEEZZNS1_27merge_sort_block_merge_implIS3_PlPS5_mZN2at6native12_GLOBAL__N_124unique_dim_cuda_templateIhEESt5tupleIJNSA_6TensorESF_SF_EERKSF_lbbbEUlllE_EE10hipError_tT0_T1_T2_jT3_P12ihipStream_tbPNSt15iterator_traitsISL_E10value_typeEPNSR_ISM_E10value_typeEPSN_NS1_7vsmem_tEENKUlT_SL_SM_SN_E_clIS8_S8_S9_S9_EESK_S10_SL_SM_SN_EUlS10_E1_NS1_11comp_targetILNS1_3genE10ELNS1_11target_archE1201ELNS1_3gpuE5ELNS1_3repE0EEENS1_36merge_oddeven_config_static_selectorELNS0_4arch9wavefront6targetE1EEEvSM_: ; @_ZN7rocprim17ROCPRIM_400000_NS6detail17trampoline_kernelINS0_14default_configENS1_38merge_sort_block_merge_config_selectorIlNS0_10empty_typeEEEZZNS1_27merge_sort_block_merge_implIS3_PlPS5_mZN2at6native12_GLOBAL__N_124unique_dim_cuda_templateIhEESt5tupleIJNSA_6TensorESF_SF_EERKSF_lbbbEUlllE_EE10hipError_tT0_T1_T2_jT3_P12ihipStream_tbPNSt15iterator_traitsISL_E10value_typeEPNSR_ISM_E10value_typeEPSN_NS1_7vsmem_tEENKUlT_SL_SM_SN_E_clIS8_S8_S9_S9_EESK_S10_SL_SM_SN_EUlS10_E1_NS1_11comp_targetILNS1_3genE10ELNS1_11target_archE1201ELNS1_3gpuE5ELNS1_3repE0EEENS1_36merge_oddeven_config_static_selectorELNS0_4arch9wavefront6targetE1EEEvSM_
; %bb.0:
	.section	.rodata,"a",@progbits
	.p2align	6, 0x0
	.amdhsa_kernel _ZN7rocprim17ROCPRIM_400000_NS6detail17trampoline_kernelINS0_14default_configENS1_38merge_sort_block_merge_config_selectorIlNS0_10empty_typeEEEZZNS1_27merge_sort_block_merge_implIS3_PlPS5_mZN2at6native12_GLOBAL__N_124unique_dim_cuda_templateIhEESt5tupleIJNSA_6TensorESF_SF_EERKSF_lbbbEUlllE_EE10hipError_tT0_T1_T2_jT3_P12ihipStream_tbPNSt15iterator_traitsISL_E10value_typeEPNSR_ISM_E10value_typeEPSN_NS1_7vsmem_tEENKUlT_SL_SM_SN_E_clIS8_S8_S9_S9_EESK_S10_SL_SM_SN_EUlS10_E1_NS1_11comp_targetILNS1_3genE10ELNS1_11target_archE1201ELNS1_3gpuE5ELNS1_3repE0EEENS1_36merge_oddeven_config_static_selectorELNS0_4arch9wavefront6targetE1EEEvSM_
		.amdhsa_group_segment_fixed_size 0
		.amdhsa_private_segment_fixed_size 0
		.amdhsa_kernarg_size 64
		.amdhsa_user_sgpr_count 2
		.amdhsa_user_sgpr_dispatch_ptr 0
		.amdhsa_user_sgpr_queue_ptr 0
		.amdhsa_user_sgpr_kernarg_segment_ptr 1
		.amdhsa_user_sgpr_dispatch_id 0
		.amdhsa_user_sgpr_kernarg_preload_length 0
		.amdhsa_user_sgpr_kernarg_preload_offset 0
		.amdhsa_user_sgpr_private_segment_size 0
		.amdhsa_uses_dynamic_stack 0
		.amdhsa_enable_private_segment 0
		.amdhsa_system_sgpr_workgroup_id_x 1
		.amdhsa_system_sgpr_workgroup_id_y 0
		.amdhsa_system_sgpr_workgroup_id_z 0
		.amdhsa_system_sgpr_workgroup_info 0
		.amdhsa_system_vgpr_workitem_id 0
		.amdhsa_next_free_vgpr 1
		.amdhsa_next_free_sgpr 0
		.amdhsa_accum_offset 4
		.amdhsa_reserve_vcc 0
		.amdhsa_float_round_mode_32 0
		.amdhsa_float_round_mode_16_64 0
		.amdhsa_float_denorm_mode_32 3
		.amdhsa_float_denorm_mode_16_64 3
		.amdhsa_dx10_clamp 1
		.amdhsa_ieee_mode 1
		.amdhsa_fp16_overflow 0
		.amdhsa_tg_split 0
		.amdhsa_exception_fp_ieee_invalid_op 0
		.amdhsa_exception_fp_denorm_src 0
		.amdhsa_exception_fp_ieee_div_zero 0
		.amdhsa_exception_fp_ieee_overflow 0
		.amdhsa_exception_fp_ieee_underflow 0
		.amdhsa_exception_fp_ieee_inexact 0
		.amdhsa_exception_int_div_zero 0
	.end_amdhsa_kernel
	.section	.text._ZN7rocprim17ROCPRIM_400000_NS6detail17trampoline_kernelINS0_14default_configENS1_38merge_sort_block_merge_config_selectorIlNS0_10empty_typeEEEZZNS1_27merge_sort_block_merge_implIS3_PlPS5_mZN2at6native12_GLOBAL__N_124unique_dim_cuda_templateIhEESt5tupleIJNSA_6TensorESF_SF_EERKSF_lbbbEUlllE_EE10hipError_tT0_T1_T2_jT3_P12ihipStream_tbPNSt15iterator_traitsISL_E10value_typeEPNSR_ISM_E10value_typeEPSN_NS1_7vsmem_tEENKUlT_SL_SM_SN_E_clIS8_S8_S9_S9_EESK_S10_SL_SM_SN_EUlS10_E1_NS1_11comp_targetILNS1_3genE10ELNS1_11target_archE1201ELNS1_3gpuE5ELNS1_3repE0EEENS1_36merge_oddeven_config_static_selectorELNS0_4arch9wavefront6targetE1EEEvSM_,"axG",@progbits,_ZN7rocprim17ROCPRIM_400000_NS6detail17trampoline_kernelINS0_14default_configENS1_38merge_sort_block_merge_config_selectorIlNS0_10empty_typeEEEZZNS1_27merge_sort_block_merge_implIS3_PlPS5_mZN2at6native12_GLOBAL__N_124unique_dim_cuda_templateIhEESt5tupleIJNSA_6TensorESF_SF_EERKSF_lbbbEUlllE_EE10hipError_tT0_T1_T2_jT3_P12ihipStream_tbPNSt15iterator_traitsISL_E10value_typeEPNSR_ISM_E10value_typeEPSN_NS1_7vsmem_tEENKUlT_SL_SM_SN_E_clIS8_S8_S9_S9_EESK_S10_SL_SM_SN_EUlS10_E1_NS1_11comp_targetILNS1_3genE10ELNS1_11target_archE1201ELNS1_3gpuE5ELNS1_3repE0EEENS1_36merge_oddeven_config_static_selectorELNS0_4arch9wavefront6targetE1EEEvSM_,comdat
.Lfunc_end35:
	.size	_ZN7rocprim17ROCPRIM_400000_NS6detail17trampoline_kernelINS0_14default_configENS1_38merge_sort_block_merge_config_selectorIlNS0_10empty_typeEEEZZNS1_27merge_sort_block_merge_implIS3_PlPS5_mZN2at6native12_GLOBAL__N_124unique_dim_cuda_templateIhEESt5tupleIJNSA_6TensorESF_SF_EERKSF_lbbbEUlllE_EE10hipError_tT0_T1_T2_jT3_P12ihipStream_tbPNSt15iterator_traitsISL_E10value_typeEPNSR_ISM_E10value_typeEPSN_NS1_7vsmem_tEENKUlT_SL_SM_SN_E_clIS8_S8_S9_S9_EESK_S10_SL_SM_SN_EUlS10_E1_NS1_11comp_targetILNS1_3genE10ELNS1_11target_archE1201ELNS1_3gpuE5ELNS1_3repE0EEENS1_36merge_oddeven_config_static_selectorELNS0_4arch9wavefront6targetE1EEEvSM_, .Lfunc_end35-_ZN7rocprim17ROCPRIM_400000_NS6detail17trampoline_kernelINS0_14default_configENS1_38merge_sort_block_merge_config_selectorIlNS0_10empty_typeEEEZZNS1_27merge_sort_block_merge_implIS3_PlPS5_mZN2at6native12_GLOBAL__N_124unique_dim_cuda_templateIhEESt5tupleIJNSA_6TensorESF_SF_EERKSF_lbbbEUlllE_EE10hipError_tT0_T1_T2_jT3_P12ihipStream_tbPNSt15iterator_traitsISL_E10value_typeEPNSR_ISM_E10value_typeEPSN_NS1_7vsmem_tEENKUlT_SL_SM_SN_E_clIS8_S8_S9_S9_EESK_S10_SL_SM_SN_EUlS10_E1_NS1_11comp_targetILNS1_3genE10ELNS1_11target_archE1201ELNS1_3gpuE5ELNS1_3repE0EEENS1_36merge_oddeven_config_static_selectorELNS0_4arch9wavefront6targetE1EEEvSM_
                                        ; -- End function
	.set _ZN7rocprim17ROCPRIM_400000_NS6detail17trampoline_kernelINS0_14default_configENS1_38merge_sort_block_merge_config_selectorIlNS0_10empty_typeEEEZZNS1_27merge_sort_block_merge_implIS3_PlPS5_mZN2at6native12_GLOBAL__N_124unique_dim_cuda_templateIhEESt5tupleIJNSA_6TensorESF_SF_EERKSF_lbbbEUlllE_EE10hipError_tT0_T1_T2_jT3_P12ihipStream_tbPNSt15iterator_traitsISL_E10value_typeEPNSR_ISM_E10value_typeEPSN_NS1_7vsmem_tEENKUlT_SL_SM_SN_E_clIS8_S8_S9_S9_EESK_S10_SL_SM_SN_EUlS10_E1_NS1_11comp_targetILNS1_3genE10ELNS1_11target_archE1201ELNS1_3gpuE5ELNS1_3repE0EEENS1_36merge_oddeven_config_static_selectorELNS0_4arch9wavefront6targetE1EEEvSM_.num_vgpr, 0
	.set _ZN7rocprim17ROCPRIM_400000_NS6detail17trampoline_kernelINS0_14default_configENS1_38merge_sort_block_merge_config_selectorIlNS0_10empty_typeEEEZZNS1_27merge_sort_block_merge_implIS3_PlPS5_mZN2at6native12_GLOBAL__N_124unique_dim_cuda_templateIhEESt5tupleIJNSA_6TensorESF_SF_EERKSF_lbbbEUlllE_EE10hipError_tT0_T1_T2_jT3_P12ihipStream_tbPNSt15iterator_traitsISL_E10value_typeEPNSR_ISM_E10value_typeEPSN_NS1_7vsmem_tEENKUlT_SL_SM_SN_E_clIS8_S8_S9_S9_EESK_S10_SL_SM_SN_EUlS10_E1_NS1_11comp_targetILNS1_3genE10ELNS1_11target_archE1201ELNS1_3gpuE5ELNS1_3repE0EEENS1_36merge_oddeven_config_static_selectorELNS0_4arch9wavefront6targetE1EEEvSM_.num_agpr, 0
	.set _ZN7rocprim17ROCPRIM_400000_NS6detail17trampoline_kernelINS0_14default_configENS1_38merge_sort_block_merge_config_selectorIlNS0_10empty_typeEEEZZNS1_27merge_sort_block_merge_implIS3_PlPS5_mZN2at6native12_GLOBAL__N_124unique_dim_cuda_templateIhEESt5tupleIJNSA_6TensorESF_SF_EERKSF_lbbbEUlllE_EE10hipError_tT0_T1_T2_jT3_P12ihipStream_tbPNSt15iterator_traitsISL_E10value_typeEPNSR_ISM_E10value_typeEPSN_NS1_7vsmem_tEENKUlT_SL_SM_SN_E_clIS8_S8_S9_S9_EESK_S10_SL_SM_SN_EUlS10_E1_NS1_11comp_targetILNS1_3genE10ELNS1_11target_archE1201ELNS1_3gpuE5ELNS1_3repE0EEENS1_36merge_oddeven_config_static_selectorELNS0_4arch9wavefront6targetE1EEEvSM_.numbered_sgpr, 0
	.set _ZN7rocprim17ROCPRIM_400000_NS6detail17trampoline_kernelINS0_14default_configENS1_38merge_sort_block_merge_config_selectorIlNS0_10empty_typeEEEZZNS1_27merge_sort_block_merge_implIS3_PlPS5_mZN2at6native12_GLOBAL__N_124unique_dim_cuda_templateIhEESt5tupleIJNSA_6TensorESF_SF_EERKSF_lbbbEUlllE_EE10hipError_tT0_T1_T2_jT3_P12ihipStream_tbPNSt15iterator_traitsISL_E10value_typeEPNSR_ISM_E10value_typeEPSN_NS1_7vsmem_tEENKUlT_SL_SM_SN_E_clIS8_S8_S9_S9_EESK_S10_SL_SM_SN_EUlS10_E1_NS1_11comp_targetILNS1_3genE10ELNS1_11target_archE1201ELNS1_3gpuE5ELNS1_3repE0EEENS1_36merge_oddeven_config_static_selectorELNS0_4arch9wavefront6targetE1EEEvSM_.num_named_barrier, 0
	.set _ZN7rocprim17ROCPRIM_400000_NS6detail17trampoline_kernelINS0_14default_configENS1_38merge_sort_block_merge_config_selectorIlNS0_10empty_typeEEEZZNS1_27merge_sort_block_merge_implIS3_PlPS5_mZN2at6native12_GLOBAL__N_124unique_dim_cuda_templateIhEESt5tupleIJNSA_6TensorESF_SF_EERKSF_lbbbEUlllE_EE10hipError_tT0_T1_T2_jT3_P12ihipStream_tbPNSt15iterator_traitsISL_E10value_typeEPNSR_ISM_E10value_typeEPSN_NS1_7vsmem_tEENKUlT_SL_SM_SN_E_clIS8_S8_S9_S9_EESK_S10_SL_SM_SN_EUlS10_E1_NS1_11comp_targetILNS1_3genE10ELNS1_11target_archE1201ELNS1_3gpuE5ELNS1_3repE0EEENS1_36merge_oddeven_config_static_selectorELNS0_4arch9wavefront6targetE1EEEvSM_.private_seg_size, 0
	.set _ZN7rocprim17ROCPRIM_400000_NS6detail17trampoline_kernelINS0_14default_configENS1_38merge_sort_block_merge_config_selectorIlNS0_10empty_typeEEEZZNS1_27merge_sort_block_merge_implIS3_PlPS5_mZN2at6native12_GLOBAL__N_124unique_dim_cuda_templateIhEESt5tupleIJNSA_6TensorESF_SF_EERKSF_lbbbEUlllE_EE10hipError_tT0_T1_T2_jT3_P12ihipStream_tbPNSt15iterator_traitsISL_E10value_typeEPNSR_ISM_E10value_typeEPSN_NS1_7vsmem_tEENKUlT_SL_SM_SN_E_clIS8_S8_S9_S9_EESK_S10_SL_SM_SN_EUlS10_E1_NS1_11comp_targetILNS1_3genE10ELNS1_11target_archE1201ELNS1_3gpuE5ELNS1_3repE0EEENS1_36merge_oddeven_config_static_selectorELNS0_4arch9wavefront6targetE1EEEvSM_.uses_vcc, 0
	.set _ZN7rocprim17ROCPRIM_400000_NS6detail17trampoline_kernelINS0_14default_configENS1_38merge_sort_block_merge_config_selectorIlNS0_10empty_typeEEEZZNS1_27merge_sort_block_merge_implIS3_PlPS5_mZN2at6native12_GLOBAL__N_124unique_dim_cuda_templateIhEESt5tupleIJNSA_6TensorESF_SF_EERKSF_lbbbEUlllE_EE10hipError_tT0_T1_T2_jT3_P12ihipStream_tbPNSt15iterator_traitsISL_E10value_typeEPNSR_ISM_E10value_typeEPSN_NS1_7vsmem_tEENKUlT_SL_SM_SN_E_clIS8_S8_S9_S9_EESK_S10_SL_SM_SN_EUlS10_E1_NS1_11comp_targetILNS1_3genE10ELNS1_11target_archE1201ELNS1_3gpuE5ELNS1_3repE0EEENS1_36merge_oddeven_config_static_selectorELNS0_4arch9wavefront6targetE1EEEvSM_.uses_flat_scratch, 0
	.set _ZN7rocprim17ROCPRIM_400000_NS6detail17trampoline_kernelINS0_14default_configENS1_38merge_sort_block_merge_config_selectorIlNS0_10empty_typeEEEZZNS1_27merge_sort_block_merge_implIS3_PlPS5_mZN2at6native12_GLOBAL__N_124unique_dim_cuda_templateIhEESt5tupleIJNSA_6TensorESF_SF_EERKSF_lbbbEUlllE_EE10hipError_tT0_T1_T2_jT3_P12ihipStream_tbPNSt15iterator_traitsISL_E10value_typeEPNSR_ISM_E10value_typeEPSN_NS1_7vsmem_tEENKUlT_SL_SM_SN_E_clIS8_S8_S9_S9_EESK_S10_SL_SM_SN_EUlS10_E1_NS1_11comp_targetILNS1_3genE10ELNS1_11target_archE1201ELNS1_3gpuE5ELNS1_3repE0EEENS1_36merge_oddeven_config_static_selectorELNS0_4arch9wavefront6targetE1EEEvSM_.has_dyn_sized_stack, 0
	.set _ZN7rocprim17ROCPRIM_400000_NS6detail17trampoline_kernelINS0_14default_configENS1_38merge_sort_block_merge_config_selectorIlNS0_10empty_typeEEEZZNS1_27merge_sort_block_merge_implIS3_PlPS5_mZN2at6native12_GLOBAL__N_124unique_dim_cuda_templateIhEESt5tupleIJNSA_6TensorESF_SF_EERKSF_lbbbEUlllE_EE10hipError_tT0_T1_T2_jT3_P12ihipStream_tbPNSt15iterator_traitsISL_E10value_typeEPNSR_ISM_E10value_typeEPSN_NS1_7vsmem_tEENKUlT_SL_SM_SN_E_clIS8_S8_S9_S9_EESK_S10_SL_SM_SN_EUlS10_E1_NS1_11comp_targetILNS1_3genE10ELNS1_11target_archE1201ELNS1_3gpuE5ELNS1_3repE0EEENS1_36merge_oddeven_config_static_selectorELNS0_4arch9wavefront6targetE1EEEvSM_.has_recursion, 0
	.set _ZN7rocprim17ROCPRIM_400000_NS6detail17trampoline_kernelINS0_14default_configENS1_38merge_sort_block_merge_config_selectorIlNS0_10empty_typeEEEZZNS1_27merge_sort_block_merge_implIS3_PlPS5_mZN2at6native12_GLOBAL__N_124unique_dim_cuda_templateIhEESt5tupleIJNSA_6TensorESF_SF_EERKSF_lbbbEUlllE_EE10hipError_tT0_T1_T2_jT3_P12ihipStream_tbPNSt15iterator_traitsISL_E10value_typeEPNSR_ISM_E10value_typeEPSN_NS1_7vsmem_tEENKUlT_SL_SM_SN_E_clIS8_S8_S9_S9_EESK_S10_SL_SM_SN_EUlS10_E1_NS1_11comp_targetILNS1_3genE10ELNS1_11target_archE1201ELNS1_3gpuE5ELNS1_3repE0EEENS1_36merge_oddeven_config_static_selectorELNS0_4arch9wavefront6targetE1EEEvSM_.has_indirect_call, 0
	.section	.AMDGPU.csdata,"",@progbits
; Kernel info:
; codeLenInByte = 0
; TotalNumSgprs: 6
; NumVgprs: 0
; NumAgprs: 0
; TotalNumVgprs: 0
; ScratchSize: 0
; MemoryBound: 0
; FloatMode: 240
; IeeeMode: 1
; LDSByteSize: 0 bytes/workgroup (compile time only)
; SGPRBlocks: 0
; VGPRBlocks: 0
; NumSGPRsForWavesPerEU: 6
; NumVGPRsForWavesPerEU: 1
; AccumOffset: 4
; Occupancy: 8
; WaveLimiterHint : 0
; COMPUTE_PGM_RSRC2:SCRATCH_EN: 0
; COMPUTE_PGM_RSRC2:USER_SGPR: 2
; COMPUTE_PGM_RSRC2:TRAP_HANDLER: 0
; COMPUTE_PGM_RSRC2:TGID_X_EN: 1
; COMPUTE_PGM_RSRC2:TGID_Y_EN: 0
; COMPUTE_PGM_RSRC2:TGID_Z_EN: 0
; COMPUTE_PGM_RSRC2:TIDIG_COMP_CNT: 0
; COMPUTE_PGM_RSRC3_GFX90A:ACCUM_OFFSET: 0
; COMPUTE_PGM_RSRC3_GFX90A:TG_SPLIT: 0
	.section	.text._ZN7rocprim17ROCPRIM_400000_NS6detail17trampoline_kernelINS0_14default_configENS1_38merge_sort_block_merge_config_selectorIlNS0_10empty_typeEEEZZNS1_27merge_sort_block_merge_implIS3_PlPS5_mZN2at6native12_GLOBAL__N_124unique_dim_cuda_templateIhEESt5tupleIJNSA_6TensorESF_SF_EERKSF_lbbbEUlllE_EE10hipError_tT0_T1_T2_jT3_P12ihipStream_tbPNSt15iterator_traitsISL_E10value_typeEPNSR_ISM_E10value_typeEPSN_NS1_7vsmem_tEENKUlT_SL_SM_SN_E_clIS8_S8_S9_S9_EESK_S10_SL_SM_SN_EUlS10_E1_NS1_11comp_targetILNS1_3genE5ELNS1_11target_archE942ELNS1_3gpuE9ELNS1_3repE0EEENS1_36merge_oddeven_config_static_selectorELNS0_4arch9wavefront6targetE1EEEvSM_,"axG",@progbits,_ZN7rocprim17ROCPRIM_400000_NS6detail17trampoline_kernelINS0_14default_configENS1_38merge_sort_block_merge_config_selectorIlNS0_10empty_typeEEEZZNS1_27merge_sort_block_merge_implIS3_PlPS5_mZN2at6native12_GLOBAL__N_124unique_dim_cuda_templateIhEESt5tupleIJNSA_6TensorESF_SF_EERKSF_lbbbEUlllE_EE10hipError_tT0_T1_T2_jT3_P12ihipStream_tbPNSt15iterator_traitsISL_E10value_typeEPNSR_ISM_E10value_typeEPSN_NS1_7vsmem_tEENKUlT_SL_SM_SN_E_clIS8_S8_S9_S9_EESK_S10_SL_SM_SN_EUlS10_E1_NS1_11comp_targetILNS1_3genE5ELNS1_11target_archE942ELNS1_3gpuE9ELNS1_3repE0EEENS1_36merge_oddeven_config_static_selectorELNS0_4arch9wavefront6targetE1EEEvSM_,comdat
	.globl	_ZN7rocprim17ROCPRIM_400000_NS6detail17trampoline_kernelINS0_14default_configENS1_38merge_sort_block_merge_config_selectorIlNS0_10empty_typeEEEZZNS1_27merge_sort_block_merge_implIS3_PlPS5_mZN2at6native12_GLOBAL__N_124unique_dim_cuda_templateIhEESt5tupleIJNSA_6TensorESF_SF_EERKSF_lbbbEUlllE_EE10hipError_tT0_T1_T2_jT3_P12ihipStream_tbPNSt15iterator_traitsISL_E10value_typeEPNSR_ISM_E10value_typeEPSN_NS1_7vsmem_tEENKUlT_SL_SM_SN_E_clIS8_S8_S9_S9_EESK_S10_SL_SM_SN_EUlS10_E1_NS1_11comp_targetILNS1_3genE5ELNS1_11target_archE942ELNS1_3gpuE9ELNS1_3repE0EEENS1_36merge_oddeven_config_static_selectorELNS0_4arch9wavefront6targetE1EEEvSM_ ; -- Begin function _ZN7rocprim17ROCPRIM_400000_NS6detail17trampoline_kernelINS0_14default_configENS1_38merge_sort_block_merge_config_selectorIlNS0_10empty_typeEEEZZNS1_27merge_sort_block_merge_implIS3_PlPS5_mZN2at6native12_GLOBAL__N_124unique_dim_cuda_templateIhEESt5tupleIJNSA_6TensorESF_SF_EERKSF_lbbbEUlllE_EE10hipError_tT0_T1_T2_jT3_P12ihipStream_tbPNSt15iterator_traitsISL_E10value_typeEPNSR_ISM_E10value_typeEPSN_NS1_7vsmem_tEENKUlT_SL_SM_SN_E_clIS8_S8_S9_S9_EESK_S10_SL_SM_SN_EUlS10_E1_NS1_11comp_targetILNS1_3genE5ELNS1_11target_archE942ELNS1_3gpuE9ELNS1_3repE0EEENS1_36merge_oddeven_config_static_selectorELNS0_4arch9wavefront6targetE1EEEvSM_
	.p2align	8
	.type	_ZN7rocprim17ROCPRIM_400000_NS6detail17trampoline_kernelINS0_14default_configENS1_38merge_sort_block_merge_config_selectorIlNS0_10empty_typeEEEZZNS1_27merge_sort_block_merge_implIS3_PlPS5_mZN2at6native12_GLOBAL__N_124unique_dim_cuda_templateIhEESt5tupleIJNSA_6TensorESF_SF_EERKSF_lbbbEUlllE_EE10hipError_tT0_T1_T2_jT3_P12ihipStream_tbPNSt15iterator_traitsISL_E10value_typeEPNSR_ISM_E10value_typeEPSN_NS1_7vsmem_tEENKUlT_SL_SM_SN_E_clIS8_S8_S9_S9_EESK_S10_SL_SM_SN_EUlS10_E1_NS1_11comp_targetILNS1_3genE5ELNS1_11target_archE942ELNS1_3gpuE9ELNS1_3repE0EEENS1_36merge_oddeven_config_static_selectorELNS0_4arch9wavefront6targetE1EEEvSM_,@function
_ZN7rocprim17ROCPRIM_400000_NS6detail17trampoline_kernelINS0_14default_configENS1_38merge_sort_block_merge_config_selectorIlNS0_10empty_typeEEEZZNS1_27merge_sort_block_merge_implIS3_PlPS5_mZN2at6native12_GLOBAL__N_124unique_dim_cuda_templateIhEESt5tupleIJNSA_6TensorESF_SF_EERKSF_lbbbEUlllE_EE10hipError_tT0_T1_T2_jT3_P12ihipStream_tbPNSt15iterator_traitsISL_E10value_typeEPNSR_ISM_E10value_typeEPSN_NS1_7vsmem_tEENKUlT_SL_SM_SN_E_clIS8_S8_S9_S9_EESK_S10_SL_SM_SN_EUlS10_E1_NS1_11comp_targetILNS1_3genE5ELNS1_11target_archE942ELNS1_3gpuE9ELNS1_3repE0EEENS1_36merge_oddeven_config_static_selectorELNS0_4arch9wavefront6targetE1EEEvSM_: ; @_ZN7rocprim17ROCPRIM_400000_NS6detail17trampoline_kernelINS0_14default_configENS1_38merge_sort_block_merge_config_selectorIlNS0_10empty_typeEEEZZNS1_27merge_sort_block_merge_implIS3_PlPS5_mZN2at6native12_GLOBAL__N_124unique_dim_cuda_templateIhEESt5tupleIJNSA_6TensorESF_SF_EERKSF_lbbbEUlllE_EE10hipError_tT0_T1_T2_jT3_P12ihipStream_tbPNSt15iterator_traitsISL_E10value_typeEPNSR_ISM_E10value_typeEPSN_NS1_7vsmem_tEENKUlT_SL_SM_SN_E_clIS8_S8_S9_S9_EESK_S10_SL_SM_SN_EUlS10_E1_NS1_11comp_targetILNS1_3genE5ELNS1_11target_archE942ELNS1_3gpuE9ELNS1_3repE0EEENS1_36merge_oddeven_config_static_selectorELNS0_4arch9wavefront6targetE1EEEvSM_
; %bb.0:
	.section	.rodata,"a",@progbits
	.p2align	6, 0x0
	.amdhsa_kernel _ZN7rocprim17ROCPRIM_400000_NS6detail17trampoline_kernelINS0_14default_configENS1_38merge_sort_block_merge_config_selectorIlNS0_10empty_typeEEEZZNS1_27merge_sort_block_merge_implIS3_PlPS5_mZN2at6native12_GLOBAL__N_124unique_dim_cuda_templateIhEESt5tupleIJNSA_6TensorESF_SF_EERKSF_lbbbEUlllE_EE10hipError_tT0_T1_T2_jT3_P12ihipStream_tbPNSt15iterator_traitsISL_E10value_typeEPNSR_ISM_E10value_typeEPSN_NS1_7vsmem_tEENKUlT_SL_SM_SN_E_clIS8_S8_S9_S9_EESK_S10_SL_SM_SN_EUlS10_E1_NS1_11comp_targetILNS1_3genE5ELNS1_11target_archE942ELNS1_3gpuE9ELNS1_3repE0EEENS1_36merge_oddeven_config_static_selectorELNS0_4arch9wavefront6targetE1EEEvSM_
		.amdhsa_group_segment_fixed_size 0
		.amdhsa_private_segment_fixed_size 0
		.amdhsa_kernarg_size 64
		.amdhsa_user_sgpr_count 2
		.amdhsa_user_sgpr_dispatch_ptr 0
		.amdhsa_user_sgpr_queue_ptr 0
		.amdhsa_user_sgpr_kernarg_segment_ptr 1
		.amdhsa_user_sgpr_dispatch_id 0
		.amdhsa_user_sgpr_kernarg_preload_length 0
		.amdhsa_user_sgpr_kernarg_preload_offset 0
		.amdhsa_user_sgpr_private_segment_size 0
		.amdhsa_uses_dynamic_stack 0
		.amdhsa_enable_private_segment 0
		.amdhsa_system_sgpr_workgroup_id_x 1
		.amdhsa_system_sgpr_workgroup_id_y 0
		.amdhsa_system_sgpr_workgroup_id_z 0
		.amdhsa_system_sgpr_workgroup_info 0
		.amdhsa_system_vgpr_workitem_id 0
		.amdhsa_next_free_vgpr 1
		.amdhsa_next_free_sgpr 0
		.amdhsa_accum_offset 4
		.amdhsa_reserve_vcc 0
		.amdhsa_float_round_mode_32 0
		.amdhsa_float_round_mode_16_64 0
		.amdhsa_float_denorm_mode_32 3
		.amdhsa_float_denorm_mode_16_64 3
		.amdhsa_dx10_clamp 1
		.amdhsa_ieee_mode 1
		.amdhsa_fp16_overflow 0
		.amdhsa_tg_split 0
		.amdhsa_exception_fp_ieee_invalid_op 0
		.amdhsa_exception_fp_denorm_src 0
		.amdhsa_exception_fp_ieee_div_zero 0
		.amdhsa_exception_fp_ieee_overflow 0
		.amdhsa_exception_fp_ieee_underflow 0
		.amdhsa_exception_fp_ieee_inexact 0
		.amdhsa_exception_int_div_zero 0
	.end_amdhsa_kernel
	.section	.text._ZN7rocprim17ROCPRIM_400000_NS6detail17trampoline_kernelINS0_14default_configENS1_38merge_sort_block_merge_config_selectorIlNS0_10empty_typeEEEZZNS1_27merge_sort_block_merge_implIS3_PlPS5_mZN2at6native12_GLOBAL__N_124unique_dim_cuda_templateIhEESt5tupleIJNSA_6TensorESF_SF_EERKSF_lbbbEUlllE_EE10hipError_tT0_T1_T2_jT3_P12ihipStream_tbPNSt15iterator_traitsISL_E10value_typeEPNSR_ISM_E10value_typeEPSN_NS1_7vsmem_tEENKUlT_SL_SM_SN_E_clIS8_S8_S9_S9_EESK_S10_SL_SM_SN_EUlS10_E1_NS1_11comp_targetILNS1_3genE5ELNS1_11target_archE942ELNS1_3gpuE9ELNS1_3repE0EEENS1_36merge_oddeven_config_static_selectorELNS0_4arch9wavefront6targetE1EEEvSM_,"axG",@progbits,_ZN7rocprim17ROCPRIM_400000_NS6detail17trampoline_kernelINS0_14default_configENS1_38merge_sort_block_merge_config_selectorIlNS0_10empty_typeEEEZZNS1_27merge_sort_block_merge_implIS3_PlPS5_mZN2at6native12_GLOBAL__N_124unique_dim_cuda_templateIhEESt5tupleIJNSA_6TensorESF_SF_EERKSF_lbbbEUlllE_EE10hipError_tT0_T1_T2_jT3_P12ihipStream_tbPNSt15iterator_traitsISL_E10value_typeEPNSR_ISM_E10value_typeEPSN_NS1_7vsmem_tEENKUlT_SL_SM_SN_E_clIS8_S8_S9_S9_EESK_S10_SL_SM_SN_EUlS10_E1_NS1_11comp_targetILNS1_3genE5ELNS1_11target_archE942ELNS1_3gpuE9ELNS1_3repE0EEENS1_36merge_oddeven_config_static_selectorELNS0_4arch9wavefront6targetE1EEEvSM_,comdat
.Lfunc_end36:
	.size	_ZN7rocprim17ROCPRIM_400000_NS6detail17trampoline_kernelINS0_14default_configENS1_38merge_sort_block_merge_config_selectorIlNS0_10empty_typeEEEZZNS1_27merge_sort_block_merge_implIS3_PlPS5_mZN2at6native12_GLOBAL__N_124unique_dim_cuda_templateIhEESt5tupleIJNSA_6TensorESF_SF_EERKSF_lbbbEUlllE_EE10hipError_tT0_T1_T2_jT3_P12ihipStream_tbPNSt15iterator_traitsISL_E10value_typeEPNSR_ISM_E10value_typeEPSN_NS1_7vsmem_tEENKUlT_SL_SM_SN_E_clIS8_S8_S9_S9_EESK_S10_SL_SM_SN_EUlS10_E1_NS1_11comp_targetILNS1_3genE5ELNS1_11target_archE942ELNS1_3gpuE9ELNS1_3repE0EEENS1_36merge_oddeven_config_static_selectorELNS0_4arch9wavefront6targetE1EEEvSM_, .Lfunc_end36-_ZN7rocprim17ROCPRIM_400000_NS6detail17trampoline_kernelINS0_14default_configENS1_38merge_sort_block_merge_config_selectorIlNS0_10empty_typeEEEZZNS1_27merge_sort_block_merge_implIS3_PlPS5_mZN2at6native12_GLOBAL__N_124unique_dim_cuda_templateIhEESt5tupleIJNSA_6TensorESF_SF_EERKSF_lbbbEUlllE_EE10hipError_tT0_T1_T2_jT3_P12ihipStream_tbPNSt15iterator_traitsISL_E10value_typeEPNSR_ISM_E10value_typeEPSN_NS1_7vsmem_tEENKUlT_SL_SM_SN_E_clIS8_S8_S9_S9_EESK_S10_SL_SM_SN_EUlS10_E1_NS1_11comp_targetILNS1_3genE5ELNS1_11target_archE942ELNS1_3gpuE9ELNS1_3repE0EEENS1_36merge_oddeven_config_static_selectorELNS0_4arch9wavefront6targetE1EEEvSM_
                                        ; -- End function
	.set _ZN7rocprim17ROCPRIM_400000_NS6detail17trampoline_kernelINS0_14default_configENS1_38merge_sort_block_merge_config_selectorIlNS0_10empty_typeEEEZZNS1_27merge_sort_block_merge_implIS3_PlPS5_mZN2at6native12_GLOBAL__N_124unique_dim_cuda_templateIhEESt5tupleIJNSA_6TensorESF_SF_EERKSF_lbbbEUlllE_EE10hipError_tT0_T1_T2_jT3_P12ihipStream_tbPNSt15iterator_traitsISL_E10value_typeEPNSR_ISM_E10value_typeEPSN_NS1_7vsmem_tEENKUlT_SL_SM_SN_E_clIS8_S8_S9_S9_EESK_S10_SL_SM_SN_EUlS10_E1_NS1_11comp_targetILNS1_3genE5ELNS1_11target_archE942ELNS1_3gpuE9ELNS1_3repE0EEENS1_36merge_oddeven_config_static_selectorELNS0_4arch9wavefront6targetE1EEEvSM_.num_vgpr, 0
	.set _ZN7rocprim17ROCPRIM_400000_NS6detail17trampoline_kernelINS0_14default_configENS1_38merge_sort_block_merge_config_selectorIlNS0_10empty_typeEEEZZNS1_27merge_sort_block_merge_implIS3_PlPS5_mZN2at6native12_GLOBAL__N_124unique_dim_cuda_templateIhEESt5tupleIJNSA_6TensorESF_SF_EERKSF_lbbbEUlllE_EE10hipError_tT0_T1_T2_jT3_P12ihipStream_tbPNSt15iterator_traitsISL_E10value_typeEPNSR_ISM_E10value_typeEPSN_NS1_7vsmem_tEENKUlT_SL_SM_SN_E_clIS8_S8_S9_S9_EESK_S10_SL_SM_SN_EUlS10_E1_NS1_11comp_targetILNS1_3genE5ELNS1_11target_archE942ELNS1_3gpuE9ELNS1_3repE0EEENS1_36merge_oddeven_config_static_selectorELNS0_4arch9wavefront6targetE1EEEvSM_.num_agpr, 0
	.set _ZN7rocprim17ROCPRIM_400000_NS6detail17trampoline_kernelINS0_14default_configENS1_38merge_sort_block_merge_config_selectorIlNS0_10empty_typeEEEZZNS1_27merge_sort_block_merge_implIS3_PlPS5_mZN2at6native12_GLOBAL__N_124unique_dim_cuda_templateIhEESt5tupleIJNSA_6TensorESF_SF_EERKSF_lbbbEUlllE_EE10hipError_tT0_T1_T2_jT3_P12ihipStream_tbPNSt15iterator_traitsISL_E10value_typeEPNSR_ISM_E10value_typeEPSN_NS1_7vsmem_tEENKUlT_SL_SM_SN_E_clIS8_S8_S9_S9_EESK_S10_SL_SM_SN_EUlS10_E1_NS1_11comp_targetILNS1_3genE5ELNS1_11target_archE942ELNS1_3gpuE9ELNS1_3repE0EEENS1_36merge_oddeven_config_static_selectorELNS0_4arch9wavefront6targetE1EEEvSM_.numbered_sgpr, 0
	.set _ZN7rocprim17ROCPRIM_400000_NS6detail17trampoline_kernelINS0_14default_configENS1_38merge_sort_block_merge_config_selectorIlNS0_10empty_typeEEEZZNS1_27merge_sort_block_merge_implIS3_PlPS5_mZN2at6native12_GLOBAL__N_124unique_dim_cuda_templateIhEESt5tupleIJNSA_6TensorESF_SF_EERKSF_lbbbEUlllE_EE10hipError_tT0_T1_T2_jT3_P12ihipStream_tbPNSt15iterator_traitsISL_E10value_typeEPNSR_ISM_E10value_typeEPSN_NS1_7vsmem_tEENKUlT_SL_SM_SN_E_clIS8_S8_S9_S9_EESK_S10_SL_SM_SN_EUlS10_E1_NS1_11comp_targetILNS1_3genE5ELNS1_11target_archE942ELNS1_3gpuE9ELNS1_3repE0EEENS1_36merge_oddeven_config_static_selectorELNS0_4arch9wavefront6targetE1EEEvSM_.num_named_barrier, 0
	.set _ZN7rocprim17ROCPRIM_400000_NS6detail17trampoline_kernelINS0_14default_configENS1_38merge_sort_block_merge_config_selectorIlNS0_10empty_typeEEEZZNS1_27merge_sort_block_merge_implIS3_PlPS5_mZN2at6native12_GLOBAL__N_124unique_dim_cuda_templateIhEESt5tupleIJNSA_6TensorESF_SF_EERKSF_lbbbEUlllE_EE10hipError_tT0_T1_T2_jT3_P12ihipStream_tbPNSt15iterator_traitsISL_E10value_typeEPNSR_ISM_E10value_typeEPSN_NS1_7vsmem_tEENKUlT_SL_SM_SN_E_clIS8_S8_S9_S9_EESK_S10_SL_SM_SN_EUlS10_E1_NS1_11comp_targetILNS1_3genE5ELNS1_11target_archE942ELNS1_3gpuE9ELNS1_3repE0EEENS1_36merge_oddeven_config_static_selectorELNS0_4arch9wavefront6targetE1EEEvSM_.private_seg_size, 0
	.set _ZN7rocprim17ROCPRIM_400000_NS6detail17trampoline_kernelINS0_14default_configENS1_38merge_sort_block_merge_config_selectorIlNS0_10empty_typeEEEZZNS1_27merge_sort_block_merge_implIS3_PlPS5_mZN2at6native12_GLOBAL__N_124unique_dim_cuda_templateIhEESt5tupleIJNSA_6TensorESF_SF_EERKSF_lbbbEUlllE_EE10hipError_tT0_T1_T2_jT3_P12ihipStream_tbPNSt15iterator_traitsISL_E10value_typeEPNSR_ISM_E10value_typeEPSN_NS1_7vsmem_tEENKUlT_SL_SM_SN_E_clIS8_S8_S9_S9_EESK_S10_SL_SM_SN_EUlS10_E1_NS1_11comp_targetILNS1_3genE5ELNS1_11target_archE942ELNS1_3gpuE9ELNS1_3repE0EEENS1_36merge_oddeven_config_static_selectorELNS0_4arch9wavefront6targetE1EEEvSM_.uses_vcc, 0
	.set _ZN7rocprim17ROCPRIM_400000_NS6detail17trampoline_kernelINS0_14default_configENS1_38merge_sort_block_merge_config_selectorIlNS0_10empty_typeEEEZZNS1_27merge_sort_block_merge_implIS3_PlPS5_mZN2at6native12_GLOBAL__N_124unique_dim_cuda_templateIhEESt5tupleIJNSA_6TensorESF_SF_EERKSF_lbbbEUlllE_EE10hipError_tT0_T1_T2_jT3_P12ihipStream_tbPNSt15iterator_traitsISL_E10value_typeEPNSR_ISM_E10value_typeEPSN_NS1_7vsmem_tEENKUlT_SL_SM_SN_E_clIS8_S8_S9_S9_EESK_S10_SL_SM_SN_EUlS10_E1_NS1_11comp_targetILNS1_3genE5ELNS1_11target_archE942ELNS1_3gpuE9ELNS1_3repE0EEENS1_36merge_oddeven_config_static_selectorELNS0_4arch9wavefront6targetE1EEEvSM_.uses_flat_scratch, 0
	.set _ZN7rocprim17ROCPRIM_400000_NS6detail17trampoline_kernelINS0_14default_configENS1_38merge_sort_block_merge_config_selectorIlNS0_10empty_typeEEEZZNS1_27merge_sort_block_merge_implIS3_PlPS5_mZN2at6native12_GLOBAL__N_124unique_dim_cuda_templateIhEESt5tupleIJNSA_6TensorESF_SF_EERKSF_lbbbEUlllE_EE10hipError_tT0_T1_T2_jT3_P12ihipStream_tbPNSt15iterator_traitsISL_E10value_typeEPNSR_ISM_E10value_typeEPSN_NS1_7vsmem_tEENKUlT_SL_SM_SN_E_clIS8_S8_S9_S9_EESK_S10_SL_SM_SN_EUlS10_E1_NS1_11comp_targetILNS1_3genE5ELNS1_11target_archE942ELNS1_3gpuE9ELNS1_3repE0EEENS1_36merge_oddeven_config_static_selectorELNS0_4arch9wavefront6targetE1EEEvSM_.has_dyn_sized_stack, 0
	.set _ZN7rocprim17ROCPRIM_400000_NS6detail17trampoline_kernelINS0_14default_configENS1_38merge_sort_block_merge_config_selectorIlNS0_10empty_typeEEEZZNS1_27merge_sort_block_merge_implIS3_PlPS5_mZN2at6native12_GLOBAL__N_124unique_dim_cuda_templateIhEESt5tupleIJNSA_6TensorESF_SF_EERKSF_lbbbEUlllE_EE10hipError_tT0_T1_T2_jT3_P12ihipStream_tbPNSt15iterator_traitsISL_E10value_typeEPNSR_ISM_E10value_typeEPSN_NS1_7vsmem_tEENKUlT_SL_SM_SN_E_clIS8_S8_S9_S9_EESK_S10_SL_SM_SN_EUlS10_E1_NS1_11comp_targetILNS1_3genE5ELNS1_11target_archE942ELNS1_3gpuE9ELNS1_3repE0EEENS1_36merge_oddeven_config_static_selectorELNS0_4arch9wavefront6targetE1EEEvSM_.has_recursion, 0
	.set _ZN7rocprim17ROCPRIM_400000_NS6detail17trampoline_kernelINS0_14default_configENS1_38merge_sort_block_merge_config_selectorIlNS0_10empty_typeEEEZZNS1_27merge_sort_block_merge_implIS3_PlPS5_mZN2at6native12_GLOBAL__N_124unique_dim_cuda_templateIhEESt5tupleIJNSA_6TensorESF_SF_EERKSF_lbbbEUlllE_EE10hipError_tT0_T1_T2_jT3_P12ihipStream_tbPNSt15iterator_traitsISL_E10value_typeEPNSR_ISM_E10value_typeEPSN_NS1_7vsmem_tEENKUlT_SL_SM_SN_E_clIS8_S8_S9_S9_EESK_S10_SL_SM_SN_EUlS10_E1_NS1_11comp_targetILNS1_3genE5ELNS1_11target_archE942ELNS1_3gpuE9ELNS1_3repE0EEENS1_36merge_oddeven_config_static_selectorELNS0_4arch9wavefront6targetE1EEEvSM_.has_indirect_call, 0
	.section	.AMDGPU.csdata,"",@progbits
; Kernel info:
; codeLenInByte = 0
; TotalNumSgprs: 6
; NumVgprs: 0
; NumAgprs: 0
; TotalNumVgprs: 0
; ScratchSize: 0
; MemoryBound: 0
; FloatMode: 240
; IeeeMode: 1
; LDSByteSize: 0 bytes/workgroup (compile time only)
; SGPRBlocks: 0
; VGPRBlocks: 0
; NumSGPRsForWavesPerEU: 6
; NumVGPRsForWavesPerEU: 1
; AccumOffset: 4
; Occupancy: 8
; WaveLimiterHint : 0
; COMPUTE_PGM_RSRC2:SCRATCH_EN: 0
; COMPUTE_PGM_RSRC2:USER_SGPR: 2
; COMPUTE_PGM_RSRC2:TRAP_HANDLER: 0
; COMPUTE_PGM_RSRC2:TGID_X_EN: 1
; COMPUTE_PGM_RSRC2:TGID_Y_EN: 0
; COMPUTE_PGM_RSRC2:TGID_Z_EN: 0
; COMPUTE_PGM_RSRC2:TIDIG_COMP_CNT: 0
; COMPUTE_PGM_RSRC3_GFX90A:ACCUM_OFFSET: 0
; COMPUTE_PGM_RSRC3_GFX90A:TG_SPLIT: 0
	.section	.text._ZN7rocprim17ROCPRIM_400000_NS6detail17trampoline_kernelINS0_14default_configENS1_38merge_sort_block_merge_config_selectorIlNS0_10empty_typeEEEZZNS1_27merge_sort_block_merge_implIS3_PlPS5_mZN2at6native12_GLOBAL__N_124unique_dim_cuda_templateIhEESt5tupleIJNSA_6TensorESF_SF_EERKSF_lbbbEUlllE_EE10hipError_tT0_T1_T2_jT3_P12ihipStream_tbPNSt15iterator_traitsISL_E10value_typeEPNSR_ISM_E10value_typeEPSN_NS1_7vsmem_tEENKUlT_SL_SM_SN_E_clIS8_S8_S9_S9_EESK_S10_SL_SM_SN_EUlS10_E1_NS1_11comp_targetILNS1_3genE4ELNS1_11target_archE910ELNS1_3gpuE8ELNS1_3repE0EEENS1_36merge_oddeven_config_static_selectorELNS0_4arch9wavefront6targetE1EEEvSM_,"axG",@progbits,_ZN7rocprim17ROCPRIM_400000_NS6detail17trampoline_kernelINS0_14default_configENS1_38merge_sort_block_merge_config_selectorIlNS0_10empty_typeEEEZZNS1_27merge_sort_block_merge_implIS3_PlPS5_mZN2at6native12_GLOBAL__N_124unique_dim_cuda_templateIhEESt5tupleIJNSA_6TensorESF_SF_EERKSF_lbbbEUlllE_EE10hipError_tT0_T1_T2_jT3_P12ihipStream_tbPNSt15iterator_traitsISL_E10value_typeEPNSR_ISM_E10value_typeEPSN_NS1_7vsmem_tEENKUlT_SL_SM_SN_E_clIS8_S8_S9_S9_EESK_S10_SL_SM_SN_EUlS10_E1_NS1_11comp_targetILNS1_3genE4ELNS1_11target_archE910ELNS1_3gpuE8ELNS1_3repE0EEENS1_36merge_oddeven_config_static_selectorELNS0_4arch9wavefront6targetE1EEEvSM_,comdat
	.globl	_ZN7rocprim17ROCPRIM_400000_NS6detail17trampoline_kernelINS0_14default_configENS1_38merge_sort_block_merge_config_selectorIlNS0_10empty_typeEEEZZNS1_27merge_sort_block_merge_implIS3_PlPS5_mZN2at6native12_GLOBAL__N_124unique_dim_cuda_templateIhEESt5tupleIJNSA_6TensorESF_SF_EERKSF_lbbbEUlllE_EE10hipError_tT0_T1_T2_jT3_P12ihipStream_tbPNSt15iterator_traitsISL_E10value_typeEPNSR_ISM_E10value_typeEPSN_NS1_7vsmem_tEENKUlT_SL_SM_SN_E_clIS8_S8_S9_S9_EESK_S10_SL_SM_SN_EUlS10_E1_NS1_11comp_targetILNS1_3genE4ELNS1_11target_archE910ELNS1_3gpuE8ELNS1_3repE0EEENS1_36merge_oddeven_config_static_selectorELNS0_4arch9wavefront6targetE1EEEvSM_ ; -- Begin function _ZN7rocprim17ROCPRIM_400000_NS6detail17trampoline_kernelINS0_14default_configENS1_38merge_sort_block_merge_config_selectorIlNS0_10empty_typeEEEZZNS1_27merge_sort_block_merge_implIS3_PlPS5_mZN2at6native12_GLOBAL__N_124unique_dim_cuda_templateIhEESt5tupleIJNSA_6TensorESF_SF_EERKSF_lbbbEUlllE_EE10hipError_tT0_T1_T2_jT3_P12ihipStream_tbPNSt15iterator_traitsISL_E10value_typeEPNSR_ISM_E10value_typeEPSN_NS1_7vsmem_tEENKUlT_SL_SM_SN_E_clIS8_S8_S9_S9_EESK_S10_SL_SM_SN_EUlS10_E1_NS1_11comp_targetILNS1_3genE4ELNS1_11target_archE910ELNS1_3gpuE8ELNS1_3repE0EEENS1_36merge_oddeven_config_static_selectorELNS0_4arch9wavefront6targetE1EEEvSM_
	.p2align	8
	.type	_ZN7rocprim17ROCPRIM_400000_NS6detail17trampoline_kernelINS0_14default_configENS1_38merge_sort_block_merge_config_selectorIlNS0_10empty_typeEEEZZNS1_27merge_sort_block_merge_implIS3_PlPS5_mZN2at6native12_GLOBAL__N_124unique_dim_cuda_templateIhEESt5tupleIJNSA_6TensorESF_SF_EERKSF_lbbbEUlllE_EE10hipError_tT0_T1_T2_jT3_P12ihipStream_tbPNSt15iterator_traitsISL_E10value_typeEPNSR_ISM_E10value_typeEPSN_NS1_7vsmem_tEENKUlT_SL_SM_SN_E_clIS8_S8_S9_S9_EESK_S10_SL_SM_SN_EUlS10_E1_NS1_11comp_targetILNS1_3genE4ELNS1_11target_archE910ELNS1_3gpuE8ELNS1_3repE0EEENS1_36merge_oddeven_config_static_selectorELNS0_4arch9wavefront6targetE1EEEvSM_,@function
_ZN7rocprim17ROCPRIM_400000_NS6detail17trampoline_kernelINS0_14default_configENS1_38merge_sort_block_merge_config_selectorIlNS0_10empty_typeEEEZZNS1_27merge_sort_block_merge_implIS3_PlPS5_mZN2at6native12_GLOBAL__N_124unique_dim_cuda_templateIhEESt5tupleIJNSA_6TensorESF_SF_EERKSF_lbbbEUlllE_EE10hipError_tT0_T1_T2_jT3_P12ihipStream_tbPNSt15iterator_traitsISL_E10value_typeEPNSR_ISM_E10value_typeEPSN_NS1_7vsmem_tEENKUlT_SL_SM_SN_E_clIS8_S8_S9_S9_EESK_S10_SL_SM_SN_EUlS10_E1_NS1_11comp_targetILNS1_3genE4ELNS1_11target_archE910ELNS1_3gpuE8ELNS1_3repE0EEENS1_36merge_oddeven_config_static_selectorELNS0_4arch9wavefront6targetE1EEEvSM_: ; @_ZN7rocprim17ROCPRIM_400000_NS6detail17trampoline_kernelINS0_14default_configENS1_38merge_sort_block_merge_config_selectorIlNS0_10empty_typeEEEZZNS1_27merge_sort_block_merge_implIS3_PlPS5_mZN2at6native12_GLOBAL__N_124unique_dim_cuda_templateIhEESt5tupleIJNSA_6TensorESF_SF_EERKSF_lbbbEUlllE_EE10hipError_tT0_T1_T2_jT3_P12ihipStream_tbPNSt15iterator_traitsISL_E10value_typeEPNSR_ISM_E10value_typeEPSN_NS1_7vsmem_tEENKUlT_SL_SM_SN_E_clIS8_S8_S9_S9_EESK_S10_SL_SM_SN_EUlS10_E1_NS1_11comp_targetILNS1_3genE4ELNS1_11target_archE910ELNS1_3gpuE8ELNS1_3repE0EEENS1_36merge_oddeven_config_static_selectorELNS0_4arch9wavefront6targetE1EEEvSM_
; %bb.0:
	.section	.rodata,"a",@progbits
	.p2align	6, 0x0
	.amdhsa_kernel _ZN7rocprim17ROCPRIM_400000_NS6detail17trampoline_kernelINS0_14default_configENS1_38merge_sort_block_merge_config_selectorIlNS0_10empty_typeEEEZZNS1_27merge_sort_block_merge_implIS3_PlPS5_mZN2at6native12_GLOBAL__N_124unique_dim_cuda_templateIhEESt5tupleIJNSA_6TensorESF_SF_EERKSF_lbbbEUlllE_EE10hipError_tT0_T1_T2_jT3_P12ihipStream_tbPNSt15iterator_traitsISL_E10value_typeEPNSR_ISM_E10value_typeEPSN_NS1_7vsmem_tEENKUlT_SL_SM_SN_E_clIS8_S8_S9_S9_EESK_S10_SL_SM_SN_EUlS10_E1_NS1_11comp_targetILNS1_3genE4ELNS1_11target_archE910ELNS1_3gpuE8ELNS1_3repE0EEENS1_36merge_oddeven_config_static_selectorELNS0_4arch9wavefront6targetE1EEEvSM_
		.amdhsa_group_segment_fixed_size 0
		.amdhsa_private_segment_fixed_size 0
		.amdhsa_kernarg_size 64
		.amdhsa_user_sgpr_count 2
		.amdhsa_user_sgpr_dispatch_ptr 0
		.amdhsa_user_sgpr_queue_ptr 0
		.amdhsa_user_sgpr_kernarg_segment_ptr 1
		.amdhsa_user_sgpr_dispatch_id 0
		.amdhsa_user_sgpr_kernarg_preload_length 0
		.amdhsa_user_sgpr_kernarg_preload_offset 0
		.amdhsa_user_sgpr_private_segment_size 0
		.amdhsa_uses_dynamic_stack 0
		.amdhsa_enable_private_segment 0
		.amdhsa_system_sgpr_workgroup_id_x 1
		.amdhsa_system_sgpr_workgroup_id_y 0
		.amdhsa_system_sgpr_workgroup_id_z 0
		.amdhsa_system_sgpr_workgroup_info 0
		.amdhsa_system_vgpr_workitem_id 0
		.amdhsa_next_free_vgpr 1
		.amdhsa_next_free_sgpr 0
		.amdhsa_accum_offset 4
		.amdhsa_reserve_vcc 0
		.amdhsa_float_round_mode_32 0
		.amdhsa_float_round_mode_16_64 0
		.amdhsa_float_denorm_mode_32 3
		.amdhsa_float_denorm_mode_16_64 3
		.amdhsa_dx10_clamp 1
		.amdhsa_ieee_mode 1
		.amdhsa_fp16_overflow 0
		.amdhsa_tg_split 0
		.amdhsa_exception_fp_ieee_invalid_op 0
		.amdhsa_exception_fp_denorm_src 0
		.amdhsa_exception_fp_ieee_div_zero 0
		.amdhsa_exception_fp_ieee_overflow 0
		.amdhsa_exception_fp_ieee_underflow 0
		.amdhsa_exception_fp_ieee_inexact 0
		.amdhsa_exception_int_div_zero 0
	.end_amdhsa_kernel
	.section	.text._ZN7rocprim17ROCPRIM_400000_NS6detail17trampoline_kernelINS0_14default_configENS1_38merge_sort_block_merge_config_selectorIlNS0_10empty_typeEEEZZNS1_27merge_sort_block_merge_implIS3_PlPS5_mZN2at6native12_GLOBAL__N_124unique_dim_cuda_templateIhEESt5tupleIJNSA_6TensorESF_SF_EERKSF_lbbbEUlllE_EE10hipError_tT0_T1_T2_jT3_P12ihipStream_tbPNSt15iterator_traitsISL_E10value_typeEPNSR_ISM_E10value_typeEPSN_NS1_7vsmem_tEENKUlT_SL_SM_SN_E_clIS8_S8_S9_S9_EESK_S10_SL_SM_SN_EUlS10_E1_NS1_11comp_targetILNS1_3genE4ELNS1_11target_archE910ELNS1_3gpuE8ELNS1_3repE0EEENS1_36merge_oddeven_config_static_selectorELNS0_4arch9wavefront6targetE1EEEvSM_,"axG",@progbits,_ZN7rocprim17ROCPRIM_400000_NS6detail17trampoline_kernelINS0_14default_configENS1_38merge_sort_block_merge_config_selectorIlNS0_10empty_typeEEEZZNS1_27merge_sort_block_merge_implIS3_PlPS5_mZN2at6native12_GLOBAL__N_124unique_dim_cuda_templateIhEESt5tupleIJNSA_6TensorESF_SF_EERKSF_lbbbEUlllE_EE10hipError_tT0_T1_T2_jT3_P12ihipStream_tbPNSt15iterator_traitsISL_E10value_typeEPNSR_ISM_E10value_typeEPSN_NS1_7vsmem_tEENKUlT_SL_SM_SN_E_clIS8_S8_S9_S9_EESK_S10_SL_SM_SN_EUlS10_E1_NS1_11comp_targetILNS1_3genE4ELNS1_11target_archE910ELNS1_3gpuE8ELNS1_3repE0EEENS1_36merge_oddeven_config_static_selectorELNS0_4arch9wavefront6targetE1EEEvSM_,comdat
.Lfunc_end37:
	.size	_ZN7rocprim17ROCPRIM_400000_NS6detail17trampoline_kernelINS0_14default_configENS1_38merge_sort_block_merge_config_selectorIlNS0_10empty_typeEEEZZNS1_27merge_sort_block_merge_implIS3_PlPS5_mZN2at6native12_GLOBAL__N_124unique_dim_cuda_templateIhEESt5tupleIJNSA_6TensorESF_SF_EERKSF_lbbbEUlllE_EE10hipError_tT0_T1_T2_jT3_P12ihipStream_tbPNSt15iterator_traitsISL_E10value_typeEPNSR_ISM_E10value_typeEPSN_NS1_7vsmem_tEENKUlT_SL_SM_SN_E_clIS8_S8_S9_S9_EESK_S10_SL_SM_SN_EUlS10_E1_NS1_11comp_targetILNS1_3genE4ELNS1_11target_archE910ELNS1_3gpuE8ELNS1_3repE0EEENS1_36merge_oddeven_config_static_selectorELNS0_4arch9wavefront6targetE1EEEvSM_, .Lfunc_end37-_ZN7rocprim17ROCPRIM_400000_NS6detail17trampoline_kernelINS0_14default_configENS1_38merge_sort_block_merge_config_selectorIlNS0_10empty_typeEEEZZNS1_27merge_sort_block_merge_implIS3_PlPS5_mZN2at6native12_GLOBAL__N_124unique_dim_cuda_templateIhEESt5tupleIJNSA_6TensorESF_SF_EERKSF_lbbbEUlllE_EE10hipError_tT0_T1_T2_jT3_P12ihipStream_tbPNSt15iterator_traitsISL_E10value_typeEPNSR_ISM_E10value_typeEPSN_NS1_7vsmem_tEENKUlT_SL_SM_SN_E_clIS8_S8_S9_S9_EESK_S10_SL_SM_SN_EUlS10_E1_NS1_11comp_targetILNS1_3genE4ELNS1_11target_archE910ELNS1_3gpuE8ELNS1_3repE0EEENS1_36merge_oddeven_config_static_selectorELNS0_4arch9wavefront6targetE1EEEvSM_
                                        ; -- End function
	.set _ZN7rocprim17ROCPRIM_400000_NS6detail17trampoline_kernelINS0_14default_configENS1_38merge_sort_block_merge_config_selectorIlNS0_10empty_typeEEEZZNS1_27merge_sort_block_merge_implIS3_PlPS5_mZN2at6native12_GLOBAL__N_124unique_dim_cuda_templateIhEESt5tupleIJNSA_6TensorESF_SF_EERKSF_lbbbEUlllE_EE10hipError_tT0_T1_T2_jT3_P12ihipStream_tbPNSt15iterator_traitsISL_E10value_typeEPNSR_ISM_E10value_typeEPSN_NS1_7vsmem_tEENKUlT_SL_SM_SN_E_clIS8_S8_S9_S9_EESK_S10_SL_SM_SN_EUlS10_E1_NS1_11comp_targetILNS1_3genE4ELNS1_11target_archE910ELNS1_3gpuE8ELNS1_3repE0EEENS1_36merge_oddeven_config_static_selectorELNS0_4arch9wavefront6targetE1EEEvSM_.num_vgpr, 0
	.set _ZN7rocprim17ROCPRIM_400000_NS6detail17trampoline_kernelINS0_14default_configENS1_38merge_sort_block_merge_config_selectorIlNS0_10empty_typeEEEZZNS1_27merge_sort_block_merge_implIS3_PlPS5_mZN2at6native12_GLOBAL__N_124unique_dim_cuda_templateIhEESt5tupleIJNSA_6TensorESF_SF_EERKSF_lbbbEUlllE_EE10hipError_tT0_T1_T2_jT3_P12ihipStream_tbPNSt15iterator_traitsISL_E10value_typeEPNSR_ISM_E10value_typeEPSN_NS1_7vsmem_tEENKUlT_SL_SM_SN_E_clIS8_S8_S9_S9_EESK_S10_SL_SM_SN_EUlS10_E1_NS1_11comp_targetILNS1_3genE4ELNS1_11target_archE910ELNS1_3gpuE8ELNS1_3repE0EEENS1_36merge_oddeven_config_static_selectorELNS0_4arch9wavefront6targetE1EEEvSM_.num_agpr, 0
	.set _ZN7rocprim17ROCPRIM_400000_NS6detail17trampoline_kernelINS0_14default_configENS1_38merge_sort_block_merge_config_selectorIlNS0_10empty_typeEEEZZNS1_27merge_sort_block_merge_implIS3_PlPS5_mZN2at6native12_GLOBAL__N_124unique_dim_cuda_templateIhEESt5tupleIJNSA_6TensorESF_SF_EERKSF_lbbbEUlllE_EE10hipError_tT0_T1_T2_jT3_P12ihipStream_tbPNSt15iterator_traitsISL_E10value_typeEPNSR_ISM_E10value_typeEPSN_NS1_7vsmem_tEENKUlT_SL_SM_SN_E_clIS8_S8_S9_S9_EESK_S10_SL_SM_SN_EUlS10_E1_NS1_11comp_targetILNS1_3genE4ELNS1_11target_archE910ELNS1_3gpuE8ELNS1_3repE0EEENS1_36merge_oddeven_config_static_selectorELNS0_4arch9wavefront6targetE1EEEvSM_.numbered_sgpr, 0
	.set _ZN7rocprim17ROCPRIM_400000_NS6detail17trampoline_kernelINS0_14default_configENS1_38merge_sort_block_merge_config_selectorIlNS0_10empty_typeEEEZZNS1_27merge_sort_block_merge_implIS3_PlPS5_mZN2at6native12_GLOBAL__N_124unique_dim_cuda_templateIhEESt5tupleIJNSA_6TensorESF_SF_EERKSF_lbbbEUlllE_EE10hipError_tT0_T1_T2_jT3_P12ihipStream_tbPNSt15iterator_traitsISL_E10value_typeEPNSR_ISM_E10value_typeEPSN_NS1_7vsmem_tEENKUlT_SL_SM_SN_E_clIS8_S8_S9_S9_EESK_S10_SL_SM_SN_EUlS10_E1_NS1_11comp_targetILNS1_3genE4ELNS1_11target_archE910ELNS1_3gpuE8ELNS1_3repE0EEENS1_36merge_oddeven_config_static_selectorELNS0_4arch9wavefront6targetE1EEEvSM_.num_named_barrier, 0
	.set _ZN7rocprim17ROCPRIM_400000_NS6detail17trampoline_kernelINS0_14default_configENS1_38merge_sort_block_merge_config_selectorIlNS0_10empty_typeEEEZZNS1_27merge_sort_block_merge_implIS3_PlPS5_mZN2at6native12_GLOBAL__N_124unique_dim_cuda_templateIhEESt5tupleIJNSA_6TensorESF_SF_EERKSF_lbbbEUlllE_EE10hipError_tT0_T1_T2_jT3_P12ihipStream_tbPNSt15iterator_traitsISL_E10value_typeEPNSR_ISM_E10value_typeEPSN_NS1_7vsmem_tEENKUlT_SL_SM_SN_E_clIS8_S8_S9_S9_EESK_S10_SL_SM_SN_EUlS10_E1_NS1_11comp_targetILNS1_3genE4ELNS1_11target_archE910ELNS1_3gpuE8ELNS1_3repE0EEENS1_36merge_oddeven_config_static_selectorELNS0_4arch9wavefront6targetE1EEEvSM_.private_seg_size, 0
	.set _ZN7rocprim17ROCPRIM_400000_NS6detail17trampoline_kernelINS0_14default_configENS1_38merge_sort_block_merge_config_selectorIlNS0_10empty_typeEEEZZNS1_27merge_sort_block_merge_implIS3_PlPS5_mZN2at6native12_GLOBAL__N_124unique_dim_cuda_templateIhEESt5tupleIJNSA_6TensorESF_SF_EERKSF_lbbbEUlllE_EE10hipError_tT0_T1_T2_jT3_P12ihipStream_tbPNSt15iterator_traitsISL_E10value_typeEPNSR_ISM_E10value_typeEPSN_NS1_7vsmem_tEENKUlT_SL_SM_SN_E_clIS8_S8_S9_S9_EESK_S10_SL_SM_SN_EUlS10_E1_NS1_11comp_targetILNS1_3genE4ELNS1_11target_archE910ELNS1_3gpuE8ELNS1_3repE0EEENS1_36merge_oddeven_config_static_selectorELNS0_4arch9wavefront6targetE1EEEvSM_.uses_vcc, 0
	.set _ZN7rocprim17ROCPRIM_400000_NS6detail17trampoline_kernelINS0_14default_configENS1_38merge_sort_block_merge_config_selectorIlNS0_10empty_typeEEEZZNS1_27merge_sort_block_merge_implIS3_PlPS5_mZN2at6native12_GLOBAL__N_124unique_dim_cuda_templateIhEESt5tupleIJNSA_6TensorESF_SF_EERKSF_lbbbEUlllE_EE10hipError_tT0_T1_T2_jT3_P12ihipStream_tbPNSt15iterator_traitsISL_E10value_typeEPNSR_ISM_E10value_typeEPSN_NS1_7vsmem_tEENKUlT_SL_SM_SN_E_clIS8_S8_S9_S9_EESK_S10_SL_SM_SN_EUlS10_E1_NS1_11comp_targetILNS1_3genE4ELNS1_11target_archE910ELNS1_3gpuE8ELNS1_3repE0EEENS1_36merge_oddeven_config_static_selectorELNS0_4arch9wavefront6targetE1EEEvSM_.uses_flat_scratch, 0
	.set _ZN7rocprim17ROCPRIM_400000_NS6detail17trampoline_kernelINS0_14default_configENS1_38merge_sort_block_merge_config_selectorIlNS0_10empty_typeEEEZZNS1_27merge_sort_block_merge_implIS3_PlPS5_mZN2at6native12_GLOBAL__N_124unique_dim_cuda_templateIhEESt5tupleIJNSA_6TensorESF_SF_EERKSF_lbbbEUlllE_EE10hipError_tT0_T1_T2_jT3_P12ihipStream_tbPNSt15iterator_traitsISL_E10value_typeEPNSR_ISM_E10value_typeEPSN_NS1_7vsmem_tEENKUlT_SL_SM_SN_E_clIS8_S8_S9_S9_EESK_S10_SL_SM_SN_EUlS10_E1_NS1_11comp_targetILNS1_3genE4ELNS1_11target_archE910ELNS1_3gpuE8ELNS1_3repE0EEENS1_36merge_oddeven_config_static_selectorELNS0_4arch9wavefront6targetE1EEEvSM_.has_dyn_sized_stack, 0
	.set _ZN7rocprim17ROCPRIM_400000_NS6detail17trampoline_kernelINS0_14default_configENS1_38merge_sort_block_merge_config_selectorIlNS0_10empty_typeEEEZZNS1_27merge_sort_block_merge_implIS3_PlPS5_mZN2at6native12_GLOBAL__N_124unique_dim_cuda_templateIhEESt5tupleIJNSA_6TensorESF_SF_EERKSF_lbbbEUlllE_EE10hipError_tT0_T1_T2_jT3_P12ihipStream_tbPNSt15iterator_traitsISL_E10value_typeEPNSR_ISM_E10value_typeEPSN_NS1_7vsmem_tEENKUlT_SL_SM_SN_E_clIS8_S8_S9_S9_EESK_S10_SL_SM_SN_EUlS10_E1_NS1_11comp_targetILNS1_3genE4ELNS1_11target_archE910ELNS1_3gpuE8ELNS1_3repE0EEENS1_36merge_oddeven_config_static_selectorELNS0_4arch9wavefront6targetE1EEEvSM_.has_recursion, 0
	.set _ZN7rocprim17ROCPRIM_400000_NS6detail17trampoline_kernelINS0_14default_configENS1_38merge_sort_block_merge_config_selectorIlNS0_10empty_typeEEEZZNS1_27merge_sort_block_merge_implIS3_PlPS5_mZN2at6native12_GLOBAL__N_124unique_dim_cuda_templateIhEESt5tupleIJNSA_6TensorESF_SF_EERKSF_lbbbEUlllE_EE10hipError_tT0_T1_T2_jT3_P12ihipStream_tbPNSt15iterator_traitsISL_E10value_typeEPNSR_ISM_E10value_typeEPSN_NS1_7vsmem_tEENKUlT_SL_SM_SN_E_clIS8_S8_S9_S9_EESK_S10_SL_SM_SN_EUlS10_E1_NS1_11comp_targetILNS1_3genE4ELNS1_11target_archE910ELNS1_3gpuE8ELNS1_3repE0EEENS1_36merge_oddeven_config_static_selectorELNS0_4arch9wavefront6targetE1EEEvSM_.has_indirect_call, 0
	.section	.AMDGPU.csdata,"",@progbits
; Kernel info:
; codeLenInByte = 0
; TotalNumSgprs: 6
; NumVgprs: 0
; NumAgprs: 0
; TotalNumVgprs: 0
; ScratchSize: 0
; MemoryBound: 0
; FloatMode: 240
; IeeeMode: 1
; LDSByteSize: 0 bytes/workgroup (compile time only)
; SGPRBlocks: 0
; VGPRBlocks: 0
; NumSGPRsForWavesPerEU: 6
; NumVGPRsForWavesPerEU: 1
; AccumOffset: 4
; Occupancy: 8
; WaveLimiterHint : 0
; COMPUTE_PGM_RSRC2:SCRATCH_EN: 0
; COMPUTE_PGM_RSRC2:USER_SGPR: 2
; COMPUTE_PGM_RSRC2:TRAP_HANDLER: 0
; COMPUTE_PGM_RSRC2:TGID_X_EN: 1
; COMPUTE_PGM_RSRC2:TGID_Y_EN: 0
; COMPUTE_PGM_RSRC2:TGID_Z_EN: 0
; COMPUTE_PGM_RSRC2:TIDIG_COMP_CNT: 0
; COMPUTE_PGM_RSRC3_GFX90A:ACCUM_OFFSET: 0
; COMPUTE_PGM_RSRC3_GFX90A:TG_SPLIT: 0
	.section	.text._ZN7rocprim17ROCPRIM_400000_NS6detail17trampoline_kernelINS0_14default_configENS1_38merge_sort_block_merge_config_selectorIlNS0_10empty_typeEEEZZNS1_27merge_sort_block_merge_implIS3_PlPS5_mZN2at6native12_GLOBAL__N_124unique_dim_cuda_templateIhEESt5tupleIJNSA_6TensorESF_SF_EERKSF_lbbbEUlllE_EE10hipError_tT0_T1_T2_jT3_P12ihipStream_tbPNSt15iterator_traitsISL_E10value_typeEPNSR_ISM_E10value_typeEPSN_NS1_7vsmem_tEENKUlT_SL_SM_SN_E_clIS8_S8_S9_S9_EESK_S10_SL_SM_SN_EUlS10_E1_NS1_11comp_targetILNS1_3genE3ELNS1_11target_archE908ELNS1_3gpuE7ELNS1_3repE0EEENS1_36merge_oddeven_config_static_selectorELNS0_4arch9wavefront6targetE1EEEvSM_,"axG",@progbits,_ZN7rocprim17ROCPRIM_400000_NS6detail17trampoline_kernelINS0_14default_configENS1_38merge_sort_block_merge_config_selectorIlNS0_10empty_typeEEEZZNS1_27merge_sort_block_merge_implIS3_PlPS5_mZN2at6native12_GLOBAL__N_124unique_dim_cuda_templateIhEESt5tupleIJNSA_6TensorESF_SF_EERKSF_lbbbEUlllE_EE10hipError_tT0_T1_T2_jT3_P12ihipStream_tbPNSt15iterator_traitsISL_E10value_typeEPNSR_ISM_E10value_typeEPSN_NS1_7vsmem_tEENKUlT_SL_SM_SN_E_clIS8_S8_S9_S9_EESK_S10_SL_SM_SN_EUlS10_E1_NS1_11comp_targetILNS1_3genE3ELNS1_11target_archE908ELNS1_3gpuE7ELNS1_3repE0EEENS1_36merge_oddeven_config_static_selectorELNS0_4arch9wavefront6targetE1EEEvSM_,comdat
	.globl	_ZN7rocprim17ROCPRIM_400000_NS6detail17trampoline_kernelINS0_14default_configENS1_38merge_sort_block_merge_config_selectorIlNS0_10empty_typeEEEZZNS1_27merge_sort_block_merge_implIS3_PlPS5_mZN2at6native12_GLOBAL__N_124unique_dim_cuda_templateIhEESt5tupleIJNSA_6TensorESF_SF_EERKSF_lbbbEUlllE_EE10hipError_tT0_T1_T2_jT3_P12ihipStream_tbPNSt15iterator_traitsISL_E10value_typeEPNSR_ISM_E10value_typeEPSN_NS1_7vsmem_tEENKUlT_SL_SM_SN_E_clIS8_S8_S9_S9_EESK_S10_SL_SM_SN_EUlS10_E1_NS1_11comp_targetILNS1_3genE3ELNS1_11target_archE908ELNS1_3gpuE7ELNS1_3repE0EEENS1_36merge_oddeven_config_static_selectorELNS0_4arch9wavefront6targetE1EEEvSM_ ; -- Begin function _ZN7rocprim17ROCPRIM_400000_NS6detail17trampoline_kernelINS0_14default_configENS1_38merge_sort_block_merge_config_selectorIlNS0_10empty_typeEEEZZNS1_27merge_sort_block_merge_implIS3_PlPS5_mZN2at6native12_GLOBAL__N_124unique_dim_cuda_templateIhEESt5tupleIJNSA_6TensorESF_SF_EERKSF_lbbbEUlllE_EE10hipError_tT0_T1_T2_jT3_P12ihipStream_tbPNSt15iterator_traitsISL_E10value_typeEPNSR_ISM_E10value_typeEPSN_NS1_7vsmem_tEENKUlT_SL_SM_SN_E_clIS8_S8_S9_S9_EESK_S10_SL_SM_SN_EUlS10_E1_NS1_11comp_targetILNS1_3genE3ELNS1_11target_archE908ELNS1_3gpuE7ELNS1_3repE0EEENS1_36merge_oddeven_config_static_selectorELNS0_4arch9wavefront6targetE1EEEvSM_
	.p2align	8
	.type	_ZN7rocprim17ROCPRIM_400000_NS6detail17trampoline_kernelINS0_14default_configENS1_38merge_sort_block_merge_config_selectorIlNS0_10empty_typeEEEZZNS1_27merge_sort_block_merge_implIS3_PlPS5_mZN2at6native12_GLOBAL__N_124unique_dim_cuda_templateIhEESt5tupleIJNSA_6TensorESF_SF_EERKSF_lbbbEUlllE_EE10hipError_tT0_T1_T2_jT3_P12ihipStream_tbPNSt15iterator_traitsISL_E10value_typeEPNSR_ISM_E10value_typeEPSN_NS1_7vsmem_tEENKUlT_SL_SM_SN_E_clIS8_S8_S9_S9_EESK_S10_SL_SM_SN_EUlS10_E1_NS1_11comp_targetILNS1_3genE3ELNS1_11target_archE908ELNS1_3gpuE7ELNS1_3repE0EEENS1_36merge_oddeven_config_static_selectorELNS0_4arch9wavefront6targetE1EEEvSM_,@function
_ZN7rocprim17ROCPRIM_400000_NS6detail17trampoline_kernelINS0_14default_configENS1_38merge_sort_block_merge_config_selectorIlNS0_10empty_typeEEEZZNS1_27merge_sort_block_merge_implIS3_PlPS5_mZN2at6native12_GLOBAL__N_124unique_dim_cuda_templateIhEESt5tupleIJNSA_6TensorESF_SF_EERKSF_lbbbEUlllE_EE10hipError_tT0_T1_T2_jT3_P12ihipStream_tbPNSt15iterator_traitsISL_E10value_typeEPNSR_ISM_E10value_typeEPSN_NS1_7vsmem_tEENKUlT_SL_SM_SN_E_clIS8_S8_S9_S9_EESK_S10_SL_SM_SN_EUlS10_E1_NS1_11comp_targetILNS1_3genE3ELNS1_11target_archE908ELNS1_3gpuE7ELNS1_3repE0EEENS1_36merge_oddeven_config_static_selectorELNS0_4arch9wavefront6targetE1EEEvSM_: ; @_ZN7rocprim17ROCPRIM_400000_NS6detail17trampoline_kernelINS0_14default_configENS1_38merge_sort_block_merge_config_selectorIlNS0_10empty_typeEEEZZNS1_27merge_sort_block_merge_implIS3_PlPS5_mZN2at6native12_GLOBAL__N_124unique_dim_cuda_templateIhEESt5tupleIJNSA_6TensorESF_SF_EERKSF_lbbbEUlllE_EE10hipError_tT0_T1_T2_jT3_P12ihipStream_tbPNSt15iterator_traitsISL_E10value_typeEPNSR_ISM_E10value_typeEPSN_NS1_7vsmem_tEENKUlT_SL_SM_SN_E_clIS8_S8_S9_S9_EESK_S10_SL_SM_SN_EUlS10_E1_NS1_11comp_targetILNS1_3genE3ELNS1_11target_archE908ELNS1_3gpuE7ELNS1_3repE0EEENS1_36merge_oddeven_config_static_selectorELNS0_4arch9wavefront6targetE1EEEvSM_
; %bb.0:
	.section	.rodata,"a",@progbits
	.p2align	6, 0x0
	.amdhsa_kernel _ZN7rocprim17ROCPRIM_400000_NS6detail17trampoline_kernelINS0_14default_configENS1_38merge_sort_block_merge_config_selectorIlNS0_10empty_typeEEEZZNS1_27merge_sort_block_merge_implIS3_PlPS5_mZN2at6native12_GLOBAL__N_124unique_dim_cuda_templateIhEESt5tupleIJNSA_6TensorESF_SF_EERKSF_lbbbEUlllE_EE10hipError_tT0_T1_T2_jT3_P12ihipStream_tbPNSt15iterator_traitsISL_E10value_typeEPNSR_ISM_E10value_typeEPSN_NS1_7vsmem_tEENKUlT_SL_SM_SN_E_clIS8_S8_S9_S9_EESK_S10_SL_SM_SN_EUlS10_E1_NS1_11comp_targetILNS1_3genE3ELNS1_11target_archE908ELNS1_3gpuE7ELNS1_3repE0EEENS1_36merge_oddeven_config_static_selectorELNS0_4arch9wavefront6targetE1EEEvSM_
		.amdhsa_group_segment_fixed_size 0
		.amdhsa_private_segment_fixed_size 0
		.amdhsa_kernarg_size 64
		.amdhsa_user_sgpr_count 2
		.amdhsa_user_sgpr_dispatch_ptr 0
		.amdhsa_user_sgpr_queue_ptr 0
		.amdhsa_user_sgpr_kernarg_segment_ptr 1
		.amdhsa_user_sgpr_dispatch_id 0
		.amdhsa_user_sgpr_kernarg_preload_length 0
		.amdhsa_user_sgpr_kernarg_preload_offset 0
		.amdhsa_user_sgpr_private_segment_size 0
		.amdhsa_uses_dynamic_stack 0
		.amdhsa_enable_private_segment 0
		.amdhsa_system_sgpr_workgroup_id_x 1
		.amdhsa_system_sgpr_workgroup_id_y 0
		.amdhsa_system_sgpr_workgroup_id_z 0
		.amdhsa_system_sgpr_workgroup_info 0
		.amdhsa_system_vgpr_workitem_id 0
		.amdhsa_next_free_vgpr 1
		.amdhsa_next_free_sgpr 0
		.amdhsa_accum_offset 4
		.amdhsa_reserve_vcc 0
		.amdhsa_float_round_mode_32 0
		.amdhsa_float_round_mode_16_64 0
		.amdhsa_float_denorm_mode_32 3
		.amdhsa_float_denorm_mode_16_64 3
		.amdhsa_dx10_clamp 1
		.amdhsa_ieee_mode 1
		.amdhsa_fp16_overflow 0
		.amdhsa_tg_split 0
		.amdhsa_exception_fp_ieee_invalid_op 0
		.amdhsa_exception_fp_denorm_src 0
		.amdhsa_exception_fp_ieee_div_zero 0
		.amdhsa_exception_fp_ieee_overflow 0
		.amdhsa_exception_fp_ieee_underflow 0
		.amdhsa_exception_fp_ieee_inexact 0
		.amdhsa_exception_int_div_zero 0
	.end_amdhsa_kernel
	.section	.text._ZN7rocprim17ROCPRIM_400000_NS6detail17trampoline_kernelINS0_14default_configENS1_38merge_sort_block_merge_config_selectorIlNS0_10empty_typeEEEZZNS1_27merge_sort_block_merge_implIS3_PlPS5_mZN2at6native12_GLOBAL__N_124unique_dim_cuda_templateIhEESt5tupleIJNSA_6TensorESF_SF_EERKSF_lbbbEUlllE_EE10hipError_tT0_T1_T2_jT3_P12ihipStream_tbPNSt15iterator_traitsISL_E10value_typeEPNSR_ISM_E10value_typeEPSN_NS1_7vsmem_tEENKUlT_SL_SM_SN_E_clIS8_S8_S9_S9_EESK_S10_SL_SM_SN_EUlS10_E1_NS1_11comp_targetILNS1_3genE3ELNS1_11target_archE908ELNS1_3gpuE7ELNS1_3repE0EEENS1_36merge_oddeven_config_static_selectorELNS0_4arch9wavefront6targetE1EEEvSM_,"axG",@progbits,_ZN7rocprim17ROCPRIM_400000_NS6detail17trampoline_kernelINS0_14default_configENS1_38merge_sort_block_merge_config_selectorIlNS0_10empty_typeEEEZZNS1_27merge_sort_block_merge_implIS3_PlPS5_mZN2at6native12_GLOBAL__N_124unique_dim_cuda_templateIhEESt5tupleIJNSA_6TensorESF_SF_EERKSF_lbbbEUlllE_EE10hipError_tT0_T1_T2_jT3_P12ihipStream_tbPNSt15iterator_traitsISL_E10value_typeEPNSR_ISM_E10value_typeEPSN_NS1_7vsmem_tEENKUlT_SL_SM_SN_E_clIS8_S8_S9_S9_EESK_S10_SL_SM_SN_EUlS10_E1_NS1_11comp_targetILNS1_3genE3ELNS1_11target_archE908ELNS1_3gpuE7ELNS1_3repE0EEENS1_36merge_oddeven_config_static_selectorELNS0_4arch9wavefront6targetE1EEEvSM_,comdat
.Lfunc_end38:
	.size	_ZN7rocprim17ROCPRIM_400000_NS6detail17trampoline_kernelINS0_14default_configENS1_38merge_sort_block_merge_config_selectorIlNS0_10empty_typeEEEZZNS1_27merge_sort_block_merge_implIS3_PlPS5_mZN2at6native12_GLOBAL__N_124unique_dim_cuda_templateIhEESt5tupleIJNSA_6TensorESF_SF_EERKSF_lbbbEUlllE_EE10hipError_tT0_T1_T2_jT3_P12ihipStream_tbPNSt15iterator_traitsISL_E10value_typeEPNSR_ISM_E10value_typeEPSN_NS1_7vsmem_tEENKUlT_SL_SM_SN_E_clIS8_S8_S9_S9_EESK_S10_SL_SM_SN_EUlS10_E1_NS1_11comp_targetILNS1_3genE3ELNS1_11target_archE908ELNS1_3gpuE7ELNS1_3repE0EEENS1_36merge_oddeven_config_static_selectorELNS0_4arch9wavefront6targetE1EEEvSM_, .Lfunc_end38-_ZN7rocprim17ROCPRIM_400000_NS6detail17trampoline_kernelINS0_14default_configENS1_38merge_sort_block_merge_config_selectorIlNS0_10empty_typeEEEZZNS1_27merge_sort_block_merge_implIS3_PlPS5_mZN2at6native12_GLOBAL__N_124unique_dim_cuda_templateIhEESt5tupleIJNSA_6TensorESF_SF_EERKSF_lbbbEUlllE_EE10hipError_tT0_T1_T2_jT3_P12ihipStream_tbPNSt15iterator_traitsISL_E10value_typeEPNSR_ISM_E10value_typeEPSN_NS1_7vsmem_tEENKUlT_SL_SM_SN_E_clIS8_S8_S9_S9_EESK_S10_SL_SM_SN_EUlS10_E1_NS1_11comp_targetILNS1_3genE3ELNS1_11target_archE908ELNS1_3gpuE7ELNS1_3repE0EEENS1_36merge_oddeven_config_static_selectorELNS0_4arch9wavefront6targetE1EEEvSM_
                                        ; -- End function
	.set _ZN7rocprim17ROCPRIM_400000_NS6detail17trampoline_kernelINS0_14default_configENS1_38merge_sort_block_merge_config_selectorIlNS0_10empty_typeEEEZZNS1_27merge_sort_block_merge_implIS3_PlPS5_mZN2at6native12_GLOBAL__N_124unique_dim_cuda_templateIhEESt5tupleIJNSA_6TensorESF_SF_EERKSF_lbbbEUlllE_EE10hipError_tT0_T1_T2_jT3_P12ihipStream_tbPNSt15iterator_traitsISL_E10value_typeEPNSR_ISM_E10value_typeEPSN_NS1_7vsmem_tEENKUlT_SL_SM_SN_E_clIS8_S8_S9_S9_EESK_S10_SL_SM_SN_EUlS10_E1_NS1_11comp_targetILNS1_3genE3ELNS1_11target_archE908ELNS1_3gpuE7ELNS1_3repE0EEENS1_36merge_oddeven_config_static_selectorELNS0_4arch9wavefront6targetE1EEEvSM_.num_vgpr, 0
	.set _ZN7rocprim17ROCPRIM_400000_NS6detail17trampoline_kernelINS0_14default_configENS1_38merge_sort_block_merge_config_selectorIlNS0_10empty_typeEEEZZNS1_27merge_sort_block_merge_implIS3_PlPS5_mZN2at6native12_GLOBAL__N_124unique_dim_cuda_templateIhEESt5tupleIJNSA_6TensorESF_SF_EERKSF_lbbbEUlllE_EE10hipError_tT0_T1_T2_jT3_P12ihipStream_tbPNSt15iterator_traitsISL_E10value_typeEPNSR_ISM_E10value_typeEPSN_NS1_7vsmem_tEENKUlT_SL_SM_SN_E_clIS8_S8_S9_S9_EESK_S10_SL_SM_SN_EUlS10_E1_NS1_11comp_targetILNS1_3genE3ELNS1_11target_archE908ELNS1_3gpuE7ELNS1_3repE0EEENS1_36merge_oddeven_config_static_selectorELNS0_4arch9wavefront6targetE1EEEvSM_.num_agpr, 0
	.set _ZN7rocprim17ROCPRIM_400000_NS6detail17trampoline_kernelINS0_14default_configENS1_38merge_sort_block_merge_config_selectorIlNS0_10empty_typeEEEZZNS1_27merge_sort_block_merge_implIS3_PlPS5_mZN2at6native12_GLOBAL__N_124unique_dim_cuda_templateIhEESt5tupleIJNSA_6TensorESF_SF_EERKSF_lbbbEUlllE_EE10hipError_tT0_T1_T2_jT3_P12ihipStream_tbPNSt15iterator_traitsISL_E10value_typeEPNSR_ISM_E10value_typeEPSN_NS1_7vsmem_tEENKUlT_SL_SM_SN_E_clIS8_S8_S9_S9_EESK_S10_SL_SM_SN_EUlS10_E1_NS1_11comp_targetILNS1_3genE3ELNS1_11target_archE908ELNS1_3gpuE7ELNS1_3repE0EEENS1_36merge_oddeven_config_static_selectorELNS0_4arch9wavefront6targetE1EEEvSM_.numbered_sgpr, 0
	.set _ZN7rocprim17ROCPRIM_400000_NS6detail17trampoline_kernelINS0_14default_configENS1_38merge_sort_block_merge_config_selectorIlNS0_10empty_typeEEEZZNS1_27merge_sort_block_merge_implIS3_PlPS5_mZN2at6native12_GLOBAL__N_124unique_dim_cuda_templateIhEESt5tupleIJNSA_6TensorESF_SF_EERKSF_lbbbEUlllE_EE10hipError_tT0_T1_T2_jT3_P12ihipStream_tbPNSt15iterator_traitsISL_E10value_typeEPNSR_ISM_E10value_typeEPSN_NS1_7vsmem_tEENKUlT_SL_SM_SN_E_clIS8_S8_S9_S9_EESK_S10_SL_SM_SN_EUlS10_E1_NS1_11comp_targetILNS1_3genE3ELNS1_11target_archE908ELNS1_3gpuE7ELNS1_3repE0EEENS1_36merge_oddeven_config_static_selectorELNS0_4arch9wavefront6targetE1EEEvSM_.num_named_barrier, 0
	.set _ZN7rocprim17ROCPRIM_400000_NS6detail17trampoline_kernelINS0_14default_configENS1_38merge_sort_block_merge_config_selectorIlNS0_10empty_typeEEEZZNS1_27merge_sort_block_merge_implIS3_PlPS5_mZN2at6native12_GLOBAL__N_124unique_dim_cuda_templateIhEESt5tupleIJNSA_6TensorESF_SF_EERKSF_lbbbEUlllE_EE10hipError_tT0_T1_T2_jT3_P12ihipStream_tbPNSt15iterator_traitsISL_E10value_typeEPNSR_ISM_E10value_typeEPSN_NS1_7vsmem_tEENKUlT_SL_SM_SN_E_clIS8_S8_S9_S9_EESK_S10_SL_SM_SN_EUlS10_E1_NS1_11comp_targetILNS1_3genE3ELNS1_11target_archE908ELNS1_3gpuE7ELNS1_3repE0EEENS1_36merge_oddeven_config_static_selectorELNS0_4arch9wavefront6targetE1EEEvSM_.private_seg_size, 0
	.set _ZN7rocprim17ROCPRIM_400000_NS6detail17trampoline_kernelINS0_14default_configENS1_38merge_sort_block_merge_config_selectorIlNS0_10empty_typeEEEZZNS1_27merge_sort_block_merge_implIS3_PlPS5_mZN2at6native12_GLOBAL__N_124unique_dim_cuda_templateIhEESt5tupleIJNSA_6TensorESF_SF_EERKSF_lbbbEUlllE_EE10hipError_tT0_T1_T2_jT3_P12ihipStream_tbPNSt15iterator_traitsISL_E10value_typeEPNSR_ISM_E10value_typeEPSN_NS1_7vsmem_tEENKUlT_SL_SM_SN_E_clIS8_S8_S9_S9_EESK_S10_SL_SM_SN_EUlS10_E1_NS1_11comp_targetILNS1_3genE3ELNS1_11target_archE908ELNS1_3gpuE7ELNS1_3repE0EEENS1_36merge_oddeven_config_static_selectorELNS0_4arch9wavefront6targetE1EEEvSM_.uses_vcc, 0
	.set _ZN7rocprim17ROCPRIM_400000_NS6detail17trampoline_kernelINS0_14default_configENS1_38merge_sort_block_merge_config_selectorIlNS0_10empty_typeEEEZZNS1_27merge_sort_block_merge_implIS3_PlPS5_mZN2at6native12_GLOBAL__N_124unique_dim_cuda_templateIhEESt5tupleIJNSA_6TensorESF_SF_EERKSF_lbbbEUlllE_EE10hipError_tT0_T1_T2_jT3_P12ihipStream_tbPNSt15iterator_traitsISL_E10value_typeEPNSR_ISM_E10value_typeEPSN_NS1_7vsmem_tEENKUlT_SL_SM_SN_E_clIS8_S8_S9_S9_EESK_S10_SL_SM_SN_EUlS10_E1_NS1_11comp_targetILNS1_3genE3ELNS1_11target_archE908ELNS1_3gpuE7ELNS1_3repE0EEENS1_36merge_oddeven_config_static_selectorELNS0_4arch9wavefront6targetE1EEEvSM_.uses_flat_scratch, 0
	.set _ZN7rocprim17ROCPRIM_400000_NS6detail17trampoline_kernelINS0_14default_configENS1_38merge_sort_block_merge_config_selectorIlNS0_10empty_typeEEEZZNS1_27merge_sort_block_merge_implIS3_PlPS5_mZN2at6native12_GLOBAL__N_124unique_dim_cuda_templateIhEESt5tupleIJNSA_6TensorESF_SF_EERKSF_lbbbEUlllE_EE10hipError_tT0_T1_T2_jT3_P12ihipStream_tbPNSt15iterator_traitsISL_E10value_typeEPNSR_ISM_E10value_typeEPSN_NS1_7vsmem_tEENKUlT_SL_SM_SN_E_clIS8_S8_S9_S9_EESK_S10_SL_SM_SN_EUlS10_E1_NS1_11comp_targetILNS1_3genE3ELNS1_11target_archE908ELNS1_3gpuE7ELNS1_3repE0EEENS1_36merge_oddeven_config_static_selectorELNS0_4arch9wavefront6targetE1EEEvSM_.has_dyn_sized_stack, 0
	.set _ZN7rocprim17ROCPRIM_400000_NS6detail17trampoline_kernelINS0_14default_configENS1_38merge_sort_block_merge_config_selectorIlNS0_10empty_typeEEEZZNS1_27merge_sort_block_merge_implIS3_PlPS5_mZN2at6native12_GLOBAL__N_124unique_dim_cuda_templateIhEESt5tupleIJNSA_6TensorESF_SF_EERKSF_lbbbEUlllE_EE10hipError_tT0_T1_T2_jT3_P12ihipStream_tbPNSt15iterator_traitsISL_E10value_typeEPNSR_ISM_E10value_typeEPSN_NS1_7vsmem_tEENKUlT_SL_SM_SN_E_clIS8_S8_S9_S9_EESK_S10_SL_SM_SN_EUlS10_E1_NS1_11comp_targetILNS1_3genE3ELNS1_11target_archE908ELNS1_3gpuE7ELNS1_3repE0EEENS1_36merge_oddeven_config_static_selectorELNS0_4arch9wavefront6targetE1EEEvSM_.has_recursion, 0
	.set _ZN7rocprim17ROCPRIM_400000_NS6detail17trampoline_kernelINS0_14default_configENS1_38merge_sort_block_merge_config_selectorIlNS0_10empty_typeEEEZZNS1_27merge_sort_block_merge_implIS3_PlPS5_mZN2at6native12_GLOBAL__N_124unique_dim_cuda_templateIhEESt5tupleIJNSA_6TensorESF_SF_EERKSF_lbbbEUlllE_EE10hipError_tT0_T1_T2_jT3_P12ihipStream_tbPNSt15iterator_traitsISL_E10value_typeEPNSR_ISM_E10value_typeEPSN_NS1_7vsmem_tEENKUlT_SL_SM_SN_E_clIS8_S8_S9_S9_EESK_S10_SL_SM_SN_EUlS10_E1_NS1_11comp_targetILNS1_3genE3ELNS1_11target_archE908ELNS1_3gpuE7ELNS1_3repE0EEENS1_36merge_oddeven_config_static_selectorELNS0_4arch9wavefront6targetE1EEEvSM_.has_indirect_call, 0
	.section	.AMDGPU.csdata,"",@progbits
; Kernel info:
; codeLenInByte = 0
; TotalNumSgprs: 6
; NumVgprs: 0
; NumAgprs: 0
; TotalNumVgprs: 0
; ScratchSize: 0
; MemoryBound: 0
; FloatMode: 240
; IeeeMode: 1
; LDSByteSize: 0 bytes/workgroup (compile time only)
; SGPRBlocks: 0
; VGPRBlocks: 0
; NumSGPRsForWavesPerEU: 6
; NumVGPRsForWavesPerEU: 1
; AccumOffset: 4
; Occupancy: 8
; WaveLimiterHint : 0
; COMPUTE_PGM_RSRC2:SCRATCH_EN: 0
; COMPUTE_PGM_RSRC2:USER_SGPR: 2
; COMPUTE_PGM_RSRC2:TRAP_HANDLER: 0
; COMPUTE_PGM_RSRC2:TGID_X_EN: 1
; COMPUTE_PGM_RSRC2:TGID_Y_EN: 0
; COMPUTE_PGM_RSRC2:TGID_Z_EN: 0
; COMPUTE_PGM_RSRC2:TIDIG_COMP_CNT: 0
; COMPUTE_PGM_RSRC3_GFX90A:ACCUM_OFFSET: 0
; COMPUTE_PGM_RSRC3_GFX90A:TG_SPLIT: 0
	.section	.text._ZN7rocprim17ROCPRIM_400000_NS6detail17trampoline_kernelINS0_14default_configENS1_38merge_sort_block_merge_config_selectorIlNS0_10empty_typeEEEZZNS1_27merge_sort_block_merge_implIS3_PlPS5_mZN2at6native12_GLOBAL__N_124unique_dim_cuda_templateIhEESt5tupleIJNSA_6TensorESF_SF_EERKSF_lbbbEUlllE_EE10hipError_tT0_T1_T2_jT3_P12ihipStream_tbPNSt15iterator_traitsISL_E10value_typeEPNSR_ISM_E10value_typeEPSN_NS1_7vsmem_tEENKUlT_SL_SM_SN_E_clIS8_S8_S9_S9_EESK_S10_SL_SM_SN_EUlS10_E1_NS1_11comp_targetILNS1_3genE2ELNS1_11target_archE906ELNS1_3gpuE6ELNS1_3repE0EEENS1_36merge_oddeven_config_static_selectorELNS0_4arch9wavefront6targetE1EEEvSM_,"axG",@progbits,_ZN7rocprim17ROCPRIM_400000_NS6detail17trampoline_kernelINS0_14default_configENS1_38merge_sort_block_merge_config_selectorIlNS0_10empty_typeEEEZZNS1_27merge_sort_block_merge_implIS3_PlPS5_mZN2at6native12_GLOBAL__N_124unique_dim_cuda_templateIhEESt5tupleIJNSA_6TensorESF_SF_EERKSF_lbbbEUlllE_EE10hipError_tT0_T1_T2_jT3_P12ihipStream_tbPNSt15iterator_traitsISL_E10value_typeEPNSR_ISM_E10value_typeEPSN_NS1_7vsmem_tEENKUlT_SL_SM_SN_E_clIS8_S8_S9_S9_EESK_S10_SL_SM_SN_EUlS10_E1_NS1_11comp_targetILNS1_3genE2ELNS1_11target_archE906ELNS1_3gpuE6ELNS1_3repE0EEENS1_36merge_oddeven_config_static_selectorELNS0_4arch9wavefront6targetE1EEEvSM_,comdat
	.globl	_ZN7rocprim17ROCPRIM_400000_NS6detail17trampoline_kernelINS0_14default_configENS1_38merge_sort_block_merge_config_selectorIlNS0_10empty_typeEEEZZNS1_27merge_sort_block_merge_implIS3_PlPS5_mZN2at6native12_GLOBAL__N_124unique_dim_cuda_templateIhEESt5tupleIJNSA_6TensorESF_SF_EERKSF_lbbbEUlllE_EE10hipError_tT0_T1_T2_jT3_P12ihipStream_tbPNSt15iterator_traitsISL_E10value_typeEPNSR_ISM_E10value_typeEPSN_NS1_7vsmem_tEENKUlT_SL_SM_SN_E_clIS8_S8_S9_S9_EESK_S10_SL_SM_SN_EUlS10_E1_NS1_11comp_targetILNS1_3genE2ELNS1_11target_archE906ELNS1_3gpuE6ELNS1_3repE0EEENS1_36merge_oddeven_config_static_selectorELNS0_4arch9wavefront6targetE1EEEvSM_ ; -- Begin function _ZN7rocprim17ROCPRIM_400000_NS6detail17trampoline_kernelINS0_14default_configENS1_38merge_sort_block_merge_config_selectorIlNS0_10empty_typeEEEZZNS1_27merge_sort_block_merge_implIS3_PlPS5_mZN2at6native12_GLOBAL__N_124unique_dim_cuda_templateIhEESt5tupleIJNSA_6TensorESF_SF_EERKSF_lbbbEUlllE_EE10hipError_tT0_T1_T2_jT3_P12ihipStream_tbPNSt15iterator_traitsISL_E10value_typeEPNSR_ISM_E10value_typeEPSN_NS1_7vsmem_tEENKUlT_SL_SM_SN_E_clIS8_S8_S9_S9_EESK_S10_SL_SM_SN_EUlS10_E1_NS1_11comp_targetILNS1_3genE2ELNS1_11target_archE906ELNS1_3gpuE6ELNS1_3repE0EEENS1_36merge_oddeven_config_static_selectorELNS0_4arch9wavefront6targetE1EEEvSM_
	.p2align	8
	.type	_ZN7rocprim17ROCPRIM_400000_NS6detail17trampoline_kernelINS0_14default_configENS1_38merge_sort_block_merge_config_selectorIlNS0_10empty_typeEEEZZNS1_27merge_sort_block_merge_implIS3_PlPS5_mZN2at6native12_GLOBAL__N_124unique_dim_cuda_templateIhEESt5tupleIJNSA_6TensorESF_SF_EERKSF_lbbbEUlllE_EE10hipError_tT0_T1_T2_jT3_P12ihipStream_tbPNSt15iterator_traitsISL_E10value_typeEPNSR_ISM_E10value_typeEPSN_NS1_7vsmem_tEENKUlT_SL_SM_SN_E_clIS8_S8_S9_S9_EESK_S10_SL_SM_SN_EUlS10_E1_NS1_11comp_targetILNS1_3genE2ELNS1_11target_archE906ELNS1_3gpuE6ELNS1_3repE0EEENS1_36merge_oddeven_config_static_selectorELNS0_4arch9wavefront6targetE1EEEvSM_,@function
_ZN7rocprim17ROCPRIM_400000_NS6detail17trampoline_kernelINS0_14default_configENS1_38merge_sort_block_merge_config_selectorIlNS0_10empty_typeEEEZZNS1_27merge_sort_block_merge_implIS3_PlPS5_mZN2at6native12_GLOBAL__N_124unique_dim_cuda_templateIhEESt5tupleIJNSA_6TensorESF_SF_EERKSF_lbbbEUlllE_EE10hipError_tT0_T1_T2_jT3_P12ihipStream_tbPNSt15iterator_traitsISL_E10value_typeEPNSR_ISM_E10value_typeEPSN_NS1_7vsmem_tEENKUlT_SL_SM_SN_E_clIS8_S8_S9_S9_EESK_S10_SL_SM_SN_EUlS10_E1_NS1_11comp_targetILNS1_3genE2ELNS1_11target_archE906ELNS1_3gpuE6ELNS1_3repE0EEENS1_36merge_oddeven_config_static_selectorELNS0_4arch9wavefront6targetE1EEEvSM_: ; @_ZN7rocprim17ROCPRIM_400000_NS6detail17trampoline_kernelINS0_14default_configENS1_38merge_sort_block_merge_config_selectorIlNS0_10empty_typeEEEZZNS1_27merge_sort_block_merge_implIS3_PlPS5_mZN2at6native12_GLOBAL__N_124unique_dim_cuda_templateIhEESt5tupleIJNSA_6TensorESF_SF_EERKSF_lbbbEUlllE_EE10hipError_tT0_T1_T2_jT3_P12ihipStream_tbPNSt15iterator_traitsISL_E10value_typeEPNSR_ISM_E10value_typeEPSN_NS1_7vsmem_tEENKUlT_SL_SM_SN_E_clIS8_S8_S9_S9_EESK_S10_SL_SM_SN_EUlS10_E1_NS1_11comp_targetILNS1_3genE2ELNS1_11target_archE906ELNS1_3gpuE6ELNS1_3repE0EEENS1_36merge_oddeven_config_static_selectorELNS0_4arch9wavefront6targetE1EEEvSM_
; %bb.0:
	.section	.rodata,"a",@progbits
	.p2align	6, 0x0
	.amdhsa_kernel _ZN7rocprim17ROCPRIM_400000_NS6detail17trampoline_kernelINS0_14default_configENS1_38merge_sort_block_merge_config_selectorIlNS0_10empty_typeEEEZZNS1_27merge_sort_block_merge_implIS3_PlPS5_mZN2at6native12_GLOBAL__N_124unique_dim_cuda_templateIhEESt5tupleIJNSA_6TensorESF_SF_EERKSF_lbbbEUlllE_EE10hipError_tT0_T1_T2_jT3_P12ihipStream_tbPNSt15iterator_traitsISL_E10value_typeEPNSR_ISM_E10value_typeEPSN_NS1_7vsmem_tEENKUlT_SL_SM_SN_E_clIS8_S8_S9_S9_EESK_S10_SL_SM_SN_EUlS10_E1_NS1_11comp_targetILNS1_3genE2ELNS1_11target_archE906ELNS1_3gpuE6ELNS1_3repE0EEENS1_36merge_oddeven_config_static_selectorELNS0_4arch9wavefront6targetE1EEEvSM_
		.amdhsa_group_segment_fixed_size 0
		.amdhsa_private_segment_fixed_size 0
		.amdhsa_kernarg_size 64
		.amdhsa_user_sgpr_count 2
		.amdhsa_user_sgpr_dispatch_ptr 0
		.amdhsa_user_sgpr_queue_ptr 0
		.amdhsa_user_sgpr_kernarg_segment_ptr 1
		.amdhsa_user_sgpr_dispatch_id 0
		.amdhsa_user_sgpr_kernarg_preload_length 0
		.amdhsa_user_sgpr_kernarg_preload_offset 0
		.amdhsa_user_sgpr_private_segment_size 0
		.amdhsa_uses_dynamic_stack 0
		.amdhsa_enable_private_segment 0
		.amdhsa_system_sgpr_workgroup_id_x 1
		.amdhsa_system_sgpr_workgroup_id_y 0
		.amdhsa_system_sgpr_workgroup_id_z 0
		.amdhsa_system_sgpr_workgroup_info 0
		.amdhsa_system_vgpr_workitem_id 0
		.amdhsa_next_free_vgpr 1
		.amdhsa_next_free_sgpr 0
		.amdhsa_accum_offset 4
		.amdhsa_reserve_vcc 0
		.amdhsa_float_round_mode_32 0
		.amdhsa_float_round_mode_16_64 0
		.amdhsa_float_denorm_mode_32 3
		.amdhsa_float_denorm_mode_16_64 3
		.amdhsa_dx10_clamp 1
		.amdhsa_ieee_mode 1
		.amdhsa_fp16_overflow 0
		.amdhsa_tg_split 0
		.amdhsa_exception_fp_ieee_invalid_op 0
		.amdhsa_exception_fp_denorm_src 0
		.amdhsa_exception_fp_ieee_div_zero 0
		.amdhsa_exception_fp_ieee_overflow 0
		.amdhsa_exception_fp_ieee_underflow 0
		.amdhsa_exception_fp_ieee_inexact 0
		.amdhsa_exception_int_div_zero 0
	.end_amdhsa_kernel
	.section	.text._ZN7rocprim17ROCPRIM_400000_NS6detail17trampoline_kernelINS0_14default_configENS1_38merge_sort_block_merge_config_selectorIlNS0_10empty_typeEEEZZNS1_27merge_sort_block_merge_implIS3_PlPS5_mZN2at6native12_GLOBAL__N_124unique_dim_cuda_templateIhEESt5tupleIJNSA_6TensorESF_SF_EERKSF_lbbbEUlllE_EE10hipError_tT0_T1_T2_jT3_P12ihipStream_tbPNSt15iterator_traitsISL_E10value_typeEPNSR_ISM_E10value_typeEPSN_NS1_7vsmem_tEENKUlT_SL_SM_SN_E_clIS8_S8_S9_S9_EESK_S10_SL_SM_SN_EUlS10_E1_NS1_11comp_targetILNS1_3genE2ELNS1_11target_archE906ELNS1_3gpuE6ELNS1_3repE0EEENS1_36merge_oddeven_config_static_selectorELNS0_4arch9wavefront6targetE1EEEvSM_,"axG",@progbits,_ZN7rocprim17ROCPRIM_400000_NS6detail17trampoline_kernelINS0_14default_configENS1_38merge_sort_block_merge_config_selectorIlNS0_10empty_typeEEEZZNS1_27merge_sort_block_merge_implIS3_PlPS5_mZN2at6native12_GLOBAL__N_124unique_dim_cuda_templateIhEESt5tupleIJNSA_6TensorESF_SF_EERKSF_lbbbEUlllE_EE10hipError_tT0_T1_T2_jT3_P12ihipStream_tbPNSt15iterator_traitsISL_E10value_typeEPNSR_ISM_E10value_typeEPSN_NS1_7vsmem_tEENKUlT_SL_SM_SN_E_clIS8_S8_S9_S9_EESK_S10_SL_SM_SN_EUlS10_E1_NS1_11comp_targetILNS1_3genE2ELNS1_11target_archE906ELNS1_3gpuE6ELNS1_3repE0EEENS1_36merge_oddeven_config_static_selectorELNS0_4arch9wavefront6targetE1EEEvSM_,comdat
.Lfunc_end39:
	.size	_ZN7rocprim17ROCPRIM_400000_NS6detail17trampoline_kernelINS0_14default_configENS1_38merge_sort_block_merge_config_selectorIlNS0_10empty_typeEEEZZNS1_27merge_sort_block_merge_implIS3_PlPS5_mZN2at6native12_GLOBAL__N_124unique_dim_cuda_templateIhEESt5tupleIJNSA_6TensorESF_SF_EERKSF_lbbbEUlllE_EE10hipError_tT0_T1_T2_jT3_P12ihipStream_tbPNSt15iterator_traitsISL_E10value_typeEPNSR_ISM_E10value_typeEPSN_NS1_7vsmem_tEENKUlT_SL_SM_SN_E_clIS8_S8_S9_S9_EESK_S10_SL_SM_SN_EUlS10_E1_NS1_11comp_targetILNS1_3genE2ELNS1_11target_archE906ELNS1_3gpuE6ELNS1_3repE0EEENS1_36merge_oddeven_config_static_selectorELNS0_4arch9wavefront6targetE1EEEvSM_, .Lfunc_end39-_ZN7rocprim17ROCPRIM_400000_NS6detail17trampoline_kernelINS0_14default_configENS1_38merge_sort_block_merge_config_selectorIlNS0_10empty_typeEEEZZNS1_27merge_sort_block_merge_implIS3_PlPS5_mZN2at6native12_GLOBAL__N_124unique_dim_cuda_templateIhEESt5tupleIJNSA_6TensorESF_SF_EERKSF_lbbbEUlllE_EE10hipError_tT0_T1_T2_jT3_P12ihipStream_tbPNSt15iterator_traitsISL_E10value_typeEPNSR_ISM_E10value_typeEPSN_NS1_7vsmem_tEENKUlT_SL_SM_SN_E_clIS8_S8_S9_S9_EESK_S10_SL_SM_SN_EUlS10_E1_NS1_11comp_targetILNS1_3genE2ELNS1_11target_archE906ELNS1_3gpuE6ELNS1_3repE0EEENS1_36merge_oddeven_config_static_selectorELNS0_4arch9wavefront6targetE1EEEvSM_
                                        ; -- End function
	.set _ZN7rocprim17ROCPRIM_400000_NS6detail17trampoline_kernelINS0_14default_configENS1_38merge_sort_block_merge_config_selectorIlNS0_10empty_typeEEEZZNS1_27merge_sort_block_merge_implIS3_PlPS5_mZN2at6native12_GLOBAL__N_124unique_dim_cuda_templateIhEESt5tupleIJNSA_6TensorESF_SF_EERKSF_lbbbEUlllE_EE10hipError_tT0_T1_T2_jT3_P12ihipStream_tbPNSt15iterator_traitsISL_E10value_typeEPNSR_ISM_E10value_typeEPSN_NS1_7vsmem_tEENKUlT_SL_SM_SN_E_clIS8_S8_S9_S9_EESK_S10_SL_SM_SN_EUlS10_E1_NS1_11comp_targetILNS1_3genE2ELNS1_11target_archE906ELNS1_3gpuE6ELNS1_3repE0EEENS1_36merge_oddeven_config_static_selectorELNS0_4arch9wavefront6targetE1EEEvSM_.num_vgpr, 0
	.set _ZN7rocprim17ROCPRIM_400000_NS6detail17trampoline_kernelINS0_14default_configENS1_38merge_sort_block_merge_config_selectorIlNS0_10empty_typeEEEZZNS1_27merge_sort_block_merge_implIS3_PlPS5_mZN2at6native12_GLOBAL__N_124unique_dim_cuda_templateIhEESt5tupleIJNSA_6TensorESF_SF_EERKSF_lbbbEUlllE_EE10hipError_tT0_T1_T2_jT3_P12ihipStream_tbPNSt15iterator_traitsISL_E10value_typeEPNSR_ISM_E10value_typeEPSN_NS1_7vsmem_tEENKUlT_SL_SM_SN_E_clIS8_S8_S9_S9_EESK_S10_SL_SM_SN_EUlS10_E1_NS1_11comp_targetILNS1_3genE2ELNS1_11target_archE906ELNS1_3gpuE6ELNS1_3repE0EEENS1_36merge_oddeven_config_static_selectorELNS0_4arch9wavefront6targetE1EEEvSM_.num_agpr, 0
	.set _ZN7rocprim17ROCPRIM_400000_NS6detail17trampoline_kernelINS0_14default_configENS1_38merge_sort_block_merge_config_selectorIlNS0_10empty_typeEEEZZNS1_27merge_sort_block_merge_implIS3_PlPS5_mZN2at6native12_GLOBAL__N_124unique_dim_cuda_templateIhEESt5tupleIJNSA_6TensorESF_SF_EERKSF_lbbbEUlllE_EE10hipError_tT0_T1_T2_jT3_P12ihipStream_tbPNSt15iterator_traitsISL_E10value_typeEPNSR_ISM_E10value_typeEPSN_NS1_7vsmem_tEENKUlT_SL_SM_SN_E_clIS8_S8_S9_S9_EESK_S10_SL_SM_SN_EUlS10_E1_NS1_11comp_targetILNS1_3genE2ELNS1_11target_archE906ELNS1_3gpuE6ELNS1_3repE0EEENS1_36merge_oddeven_config_static_selectorELNS0_4arch9wavefront6targetE1EEEvSM_.numbered_sgpr, 0
	.set _ZN7rocprim17ROCPRIM_400000_NS6detail17trampoline_kernelINS0_14default_configENS1_38merge_sort_block_merge_config_selectorIlNS0_10empty_typeEEEZZNS1_27merge_sort_block_merge_implIS3_PlPS5_mZN2at6native12_GLOBAL__N_124unique_dim_cuda_templateIhEESt5tupleIJNSA_6TensorESF_SF_EERKSF_lbbbEUlllE_EE10hipError_tT0_T1_T2_jT3_P12ihipStream_tbPNSt15iterator_traitsISL_E10value_typeEPNSR_ISM_E10value_typeEPSN_NS1_7vsmem_tEENKUlT_SL_SM_SN_E_clIS8_S8_S9_S9_EESK_S10_SL_SM_SN_EUlS10_E1_NS1_11comp_targetILNS1_3genE2ELNS1_11target_archE906ELNS1_3gpuE6ELNS1_3repE0EEENS1_36merge_oddeven_config_static_selectorELNS0_4arch9wavefront6targetE1EEEvSM_.num_named_barrier, 0
	.set _ZN7rocprim17ROCPRIM_400000_NS6detail17trampoline_kernelINS0_14default_configENS1_38merge_sort_block_merge_config_selectorIlNS0_10empty_typeEEEZZNS1_27merge_sort_block_merge_implIS3_PlPS5_mZN2at6native12_GLOBAL__N_124unique_dim_cuda_templateIhEESt5tupleIJNSA_6TensorESF_SF_EERKSF_lbbbEUlllE_EE10hipError_tT0_T1_T2_jT3_P12ihipStream_tbPNSt15iterator_traitsISL_E10value_typeEPNSR_ISM_E10value_typeEPSN_NS1_7vsmem_tEENKUlT_SL_SM_SN_E_clIS8_S8_S9_S9_EESK_S10_SL_SM_SN_EUlS10_E1_NS1_11comp_targetILNS1_3genE2ELNS1_11target_archE906ELNS1_3gpuE6ELNS1_3repE0EEENS1_36merge_oddeven_config_static_selectorELNS0_4arch9wavefront6targetE1EEEvSM_.private_seg_size, 0
	.set _ZN7rocprim17ROCPRIM_400000_NS6detail17trampoline_kernelINS0_14default_configENS1_38merge_sort_block_merge_config_selectorIlNS0_10empty_typeEEEZZNS1_27merge_sort_block_merge_implIS3_PlPS5_mZN2at6native12_GLOBAL__N_124unique_dim_cuda_templateIhEESt5tupleIJNSA_6TensorESF_SF_EERKSF_lbbbEUlllE_EE10hipError_tT0_T1_T2_jT3_P12ihipStream_tbPNSt15iterator_traitsISL_E10value_typeEPNSR_ISM_E10value_typeEPSN_NS1_7vsmem_tEENKUlT_SL_SM_SN_E_clIS8_S8_S9_S9_EESK_S10_SL_SM_SN_EUlS10_E1_NS1_11comp_targetILNS1_3genE2ELNS1_11target_archE906ELNS1_3gpuE6ELNS1_3repE0EEENS1_36merge_oddeven_config_static_selectorELNS0_4arch9wavefront6targetE1EEEvSM_.uses_vcc, 0
	.set _ZN7rocprim17ROCPRIM_400000_NS6detail17trampoline_kernelINS0_14default_configENS1_38merge_sort_block_merge_config_selectorIlNS0_10empty_typeEEEZZNS1_27merge_sort_block_merge_implIS3_PlPS5_mZN2at6native12_GLOBAL__N_124unique_dim_cuda_templateIhEESt5tupleIJNSA_6TensorESF_SF_EERKSF_lbbbEUlllE_EE10hipError_tT0_T1_T2_jT3_P12ihipStream_tbPNSt15iterator_traitsISL_E10value_typeEPNSR_ISM_E10value_typeEPSN_NS1_7vsmem_tEENKUlT_SL_SM_SN_E_clIS8_S8_S9_S9_EESK_S10_SL_SM_SN_EUlS10_E1_NS1_11comp_targetILNS1_3genE2ELNS1_11target_archE906ELNS1_3gpuE6ELNS1_3repE0EEENS1_36merge_oddeven_config_static_selectorELNS0_4arch9wavefront6targetE1EEEvSM_.uses_flat_scratch, 0
	.set _ZN7rocprim17ROCPRIM_400000_NS6detail17trampoline_kernelINS0_14default_configENS1_38merge_sort_block_merge_config_selectorIlNS0_10empty_typeEEEZZNS1_27merge_sort_block_merge_implIS3_PlPS5_mZN2at6native12_GLOBAL__N_124unique_dim_cuda_templateIhEESt5tupleIJNSA_6TensorESF_SF_EERKSF_lbbbEUlllE_EE10hipError_tT0_T1_T2_jT3_P12ihipStream_tbPNSt15iterator_traitsISL_E10value_typeEPNSR_ISM_E10value_typeEPSN_NS1_7vsmem_tEENKUlT_SL_SM_SN_E_clIS8_S8_S9_S9_EESK_S10_SL_SM_SN_EUlS10_E1_NS1_11comp_targetILNS1_3genE2ELNS1_11target_archE906ELNS1_3gpuE6ELNS1_3repE0EEENS1_36merge_oddeven_config_static_selectorELNS0_4arch9wavefront6targetE1EEEvSM_.has_dyn_sized_stack, 0
	.set _ZN7rocprim17ROCPRIM_400000_NS6detail17trampoline_kernelINS0_14default_configENS1_38merge_sort_block_merge_config_selectorIlNS0_10empty_typeEEEZZNS1_27merge_sort_block_merge_implIS3_PlPS5_mZN2at6native12_GLOBAL__N_124unique_dim_cuda_templateIhEESt5tupleIJNSA_6TensorESF_SF_EERKSF_lbbbEUlllE_EE10hipError_tT0_T1_T2_jT3_P12ihipStream_tbPNSt15iterator_traitsISL_E10value_typeEPNSR_ISM_E10value_typeEPSN_NS1_7vsmem_tEENKUlT_SL_SM_SN_E_clIS8_S8_S9_S9_EESK_S10_SL_SM_SN_EUlS10_E1_NS1_11comp_targetILNS1_3genE2ELNS1_11target_archE906ELNS1_3gpuE6ELNS1_3repE0EEENS1_36merge_oddeven_config_static_selectorELNS0_4arch9wavefront6targetE1EEEvSM_.has_recursion, 0
	.set _ZN7rocprim17ROCPRIM_400000_NS6detail17trampoline_kernelINS0_14default_configENS1_38merge_sort_block_merge_config_selectorIlNS0_10empty_typeEEEZZNS1_27merge_sort_block_merge_implIS3_PlPS5_mZN2at6native12_GLOBAL__N_124unique_dim_cuda_templateIhEESt5tupleIJNSA_6TensorESF_SF_EERKSF_lbbbEUlllE_EE10hipError_tT0_T1_T2_jT3_P12ihipStream_tbPNSt15iterator_traitsISL_E10value_typeEPNSR_ISM_E10value_typeEPSN_NS1_7vsmem_tEENKUlT_SL_SM_SN_E_clIS8_S8_S9_S9_EESK_S10_SL_SM_SN_EUlS10_E1_NS1_11comp_targetILNS1_3genE2ELNS1_11target_archE906ELNS1_3gpuE6ELNS1_3repE0EEENS1_36merge_oddeven_config_static_selectorELNS0_4arch9wavefront6targetE1EEEvSM_.has_indirect_call, 0
	.section	.AMDGPU.csdata,"",@progbits
; Kernel info:
; codeLenInByte = 0
; TotalNumSgprs: 6
; NumVgprs: 0
; NumAgprs: 0
; TotalNumVgprs: 0
; ScratchSize: 0
; MemoryBound: 0
; FloatMode: 240
; IeeeMode: 1
; LDSByteSize: 0 bytes/workgroup (compile time only)
; SGPRBlocks: 0
; VGPRBlocks: 0
; NumSGPRsForWavesPerEU: 6
; NumVGPRsForWavesPerEU: 1
; AccumOffset: 4
; Occupancy: 8
; WaveLimiterHint : 0
; COMPUTE_PGM_RSRC2:SCRATCH_EN: 0
; COMPUTE_PGM_RSRC2:USER_SGPR: 2
; COMPUTE_PGM_RSRC2:TRAP_HANDLER: 0
; COMPUTE_PGM_RSRC2:TGID_X_EN: 1
; COMPUTE_PGM_RSRC2:TGID_Y_EN: 0
; COMPUTE_PGM_RSRC2:TGID_Z_EN: 0
; COMPUTE_PGM_RSRC2:TIDIG_COMP_CNT: 0
; COMPUTE_PGM_RSRC3_GFX90A:ACCUM_OFFSET: 0
; COMPUTE_PGM_RSRC3_GFX90A:TG_SPLIT: 0
	.section	.text._ZN7rocprim17ROCPRIM_400000_NS6detail17trampoline_kernelINS0_14default_configENS1_38merge_sort_block_merge_config_selectorIlNS0_10empty_typeEEEZZNS1_27merge_sort_block_merge_implIS3_PlPS5_mZN2at6native12_GLOBAL__N_124unique_dim_cuda_templateIhEESt5tupleIJNSA_6TensorESF_SF_EERKSF_lbbbEUlllE_EE10hipError_tT0_T1_T2_jT3_P12ihipStream_tbPNSt15iterator_traitsISL_E10value_typeEPNSR_ISM_E10value_typeEPSN_NS1_7vsmem_tEENKUlT_SL_SM_SN_E_clIS8_S8_S9_S9_EESK_S10_SL_SM_SN_EUlS10_E1_NS1_11comp_targetILNS1_3genE9ELNS1_11target_archE1100ELNS1_3gpuE3ELNS1_3repE0EEENS1_36merge_oddeven_config_static_selectorELNS0_4arch9wavefront6targetE1EEEvSM_,"axG",@progbits,_ZN7rocprim17ROCPRIM_400000_NS6detail17trampoline_kernelINS0_14default_configENS1_38merge_sort_block_merge_config_selectorIlNS0_10empty_typeEEEZZNS1_27merge_sort_block_merge_implIS3_PlPS5_mZN2at6native12_GLOBAL__N_124unique_dim_cuda_templateIhEESt5tupleIJNSA_6TensorESF_SF_EERKSF_lbbbEUlllE_EE10hipError_tT0_T1_T2_jT3_P12ihipStream_tbPNSt15iterator_traitsISL_E10value_typeEPNSR_ISM_E10value_typeEPSN_NS1_7vsmem_tEENKUlT_SL_SM_SN_E_clIS8_S8_S9_S9_EESK_S10_SL_SM_SN_EUlS10_E1_NS1_11comp_targetILNS1_3genE9ELNS1_11target_archE1100ELNS1_3gpuE3ELNS1_3repE0EEENS1_36merge_oddeven_config_static_selectorELNS0_4arch9wavefront6targetE1EEEvSM_,comdat
	.globl	_ZN7rocprim17ROCPRIM_400000_NS6detail17trampoline_kernelINS0_14default_configENS1_38merge_sort_block_merge_config_selectorIlNS0_10empty_typeEEEZZNS1_27merge_sort_block_merge_implIS3_PlPS5_mZN2at6native12_GLOBAL__N_124unique_dim_cuda_templateIhEESt5tupleIJNSA_6TensorESF_SF_EERKSF_lbbbEUlllE_EE10hipError_tT0_T1_T2_jT3_P12ihipStream_tbPNSt15iterator_traitsISL_E10value_typeEPNSR_ISM_E10value_typeEPSN_NS1_7vsmem_tEENKUlT_SL_SM_SN_E_clIS8_S8_S9_S9_EESK_S10_SL_SM_SN_EUlS10_E1_NS1_11comp_targetILNS1_3genE9ELNS1_11target_archE1100ELNS1_3gpuE3ELNS1_3repE0EEENS1_36merge_oddeven_config_static_selectorELNS0_4arch9wavefront6targetE1EEEvSM_ ; -- Begin function _ZN7rocprim17ROCPRIM_400000_NS6detail17trampoline_kernelINS0_14default_configENS1_38merge_sort_block_merge_config_selectorIlNS0_10empty_typeEEEZZNS1_27merge_sort_block_merge_implIS3_PlPS5_mZN2at6native12_GLOBAL__N_124unique_dim_cuda_templateIhEESt5tupleIJNSA_6TensorESF_SF_EERKSF_lbbbEUlllE_EE10hipError_tT0_T1_T2_jT3_P12ihipStream_tbPNSt15iterator_traitsISL_E10value_typeEPNSR_ISM_E10value_typeEPSN_NS1_7vsmem_tEENKUlT_SL_SM_SN_E_clIS8_S8_S9_S9_EESK_S10_SL_SM_SN_EUlS10_E1_NS1_11comp_targetILNS1_3genE9ELNS1_11target_archE1100ELNS1_3gpuE3ELNS1_3repE0EEENS1_36merge_oddeven_config_static_selectorELNS0_4arch9wavefront6targetE1EEEvSM_
	.p2align	8
	.type	_ZN7rocprim17ROCPRIM_400000_NS6detail17trampoline_kernelINS0_14default_configENS1_38merge_sort_block_merge_config_selectorIlNS0_10empty_typeEEEZZNS1_27merge_sort_block_merge_implIS3_PlPS5_mZN2at6native12_GLOBAL__N_124unique_dim_cuda_templateIhEESt5tupleIJNSA_6TensorESF_SF_EERKSF_lbbbEUlllE_EE10hipError_tT0_T1_T2_jT3_P12ihipStream_tbPNSt15iterator_traitsISL_E10value_typeEPNSR_ISM_E10value_typeEPSN_NS1_7vsmem_tEENKUlT_SL_SM_SN_E_clIS8_S8_S9_S9_EESK_S10_SL_SM_SN_EUlS10_E1_NS1_11comp_targetILNS1_3genE9ELNS1_11target_archE1100ELNS1_3gpuE3ELNS1_3repE0EEENS1_36merge_oddeven_config_static_selectorELNS0_4arch9wavefront6targetE1EEEvSM_,@function
_ZN7rocprim17ROCPRIM_400000_NS6detail17trampoline_kernelINS0_14default_configENS1_38merge_sort_block_merge_config_selectorIlNS0_10empty_typeEEEZZNS1_27merge_sort_block_merge_implIS3_PlPS5_mZN2at6native12_GLOBAL__N_124unique_dim_cuda_templateIhEESt5tupleIJNSA_6TensorESF_SF_EERKSF_lbbbEUlllE_EE10hipError_tT0_T1_T2_jT3_P12ihipStream_tbPNSt15iterator_traitsISL_E10value_typeEPNSR_ISM_E10value_typeEPSN_NS1_7vsmem_tEENKUlT_SL_SM_SN_E_clIS8_S8_S9_S9_EESK_S10_SL_SM_SN_EUlS10_E1_NS1_11comp_targetILNS1_3genE9ELNS1_11target_archE1100ELNS1_3gpuE3ELNS1_3repE0EEENS1_36merge_oddeven_config_static_selectorELNS0_4arch9wavefront6targetE1EEEvSM_: ; @_ZN7rocprim17ROCPRIM_400000_NS6detail17trampoline_kernelINS0_14default_configENS1_38merge_sort_block_merge_config_selectorIlNS0_10empty_typeEEEZZNS1_27merge_sort_block_merge_implIS3_PlPS5_mZN2at6native12_GLOBAL__N_124unique_dim_cuda_templateIhEESt5tupleIJNSA_6TensorESF_SF_EERKSF_lbbbEUlllE_EE10hipError_tT0_T1_T2_jT3_P12ihipStream_tbPNSt15iterator_traitsISL_E10value_typeEPNSR_ISM_E10value_typeEPSN_NS1_7vsmem_tEENKUlT_SL_SM_SN_E_clIS8_S8_S9_S9_EESK_S10_SL_SM_SN_EUlS10_E1_NS1_11comp_targetILNS1_3genE9ELNS1_11target_archE1100ELNS1_3gpuE3ELNS1_3repE0EEENS1_36merge_oddeven_config_static_selectorELNS0_4arch9wavefront6targetE1EEEvSM_
; %bb.0:
	.section	.rodata,"a",@progbits
	.p2align	6, 0x0
	.amdhsa_kernel _ZN7rocprim17ROCPRIM_400000_NS6detail17trampoline_kernelINS0_14default_configENS1_38merge_sort_block_merge_config_selectorIlNS0_10empty_typeEEEZZNS1_27merge_sort_block_merge_implIS3_PlPS5_mZN2at6native12_GLOBAL__N_124unique_dim_cuda_templateIhEESt5tupleIJNSA_6TensorESF_SF_EERKSF_lbbbEUlllE_EE10hipError_tT0_T1_T2_jT3_P12ihipStream_tbPNSt15iterator_traitsISL_E10value_typeEPNSR_ISM_E10value_typeEPSN_NS1_7vsmem_tEENKUlT_SL_SM_SN_E_clIS8_S8_S9_S9_EESK_S10_SL_SM_SN_EUlS10_E1_NS1_11comp_targetILNS1_3genE9ELNS1_11target_archE1100ELNS1_3gpuE3ELNS1_3repE0EEENS1_36merge_oddeven_config_static_selectorELNS0_4arch9wavefront6targetE1EEEvSM_
		.amdhsa_group_segment_fixed_size 0
		.amdhsa_private_segment_fixed_size 0
		.amdhsa_kernarg_size 64
		.amdhsa_user_sgpr_count 2
		.amdhsa_user_sgpr_dispatch_ptr 0
		.amdhsa_user_sgpr_queue_ptr 0
		.amdhsa_user_sgpr_kernarg_segment_ptr 1
		.amdhsa_user_sgpr_dispatch_id 0
		.amdhsa_user_sgpr_kernarg_preload_length 0
		.amdhsa_user_sgpr_kernarg_preload_offset 0
		.amdhsa_user_sgpr_private_segment_size 0
		.amdhsa_uses_dynamic_stack 0
		.amdhsa_enable_private_segment 0
		.amdhsa_system_sgpr_workgroup_id_x 1
		.amdhsa_system_sgpr_workgroup_id_y 0
		.amdhsa_system_sgpr_workgroup_id_z 0
		.amdhsa_system_sgpr_workgroup_info 0
		.amdhsa_system_vgpr_workitem_id 0
		.amdhsa_next_free_vgpr 1
		.amdhsa_next_free_sgpr 0
		.amdhsa_accum_offset 4
		.amdhsa_reserve_vcc 0
		.amdhsa_float_round_mode_32 0
		.amdhsa_float_round_mode_16_64 0
		.amdhsa_float_denorm_mode_32 3
		.amdhsa_float_denorm_mode_16_64 3
		.amdhsa_dx10_clamp 1
		.amdhsa_ieee_mode 1
		.amdhsa_fp16_overflow 0
		.amdhsa_tg_split 0
		.amdhsa_exception_fp_ieee_invalid_op 0
		.amdhsa_exception_fp_denorm_src 0
		.amdhsa_exception_fp_ieee_div_zero 0
		.amdhsa_exception_fp_ieee_overflow 0
		.amdhsa_exception_fp_ieee_underflow 0
		.amdhsa_exception_fp_ieee_inexact 0
		.amdhsa_exception_int_div_zero 0
	.end_amdhsa_kernel
	.section	.text._ZN7rocprim17ROCPRIM_400000_NS6detail17trampoline_kernelINS0_14default_configENS1_38merge_sort_block_merge_config_selectorIlNS0_10empty_typeEEEZZNS1_27merge_sort_block_merge_implIS3_PlPS5_mZN2at6native12_GLOBAL__N_124unique_dim_cuda_templateIhEESt5tupleIJNSA_6TensorESF_SF_EERKSF_lbbbEUlllE_EE10hipError_tT0_T1_T2_jT3_P12ihipStream_tbPNSt15iterator_traitsISL_E10value_typeEPNSR_ISM_E10value_typeEPSN_NS1_7vsmem_tEENKUlT_SL_SM_SN_E_clIS8_S8_S9_S9_EESK_S10_SL_SM_SN_EUlS10_E1_NS1_11comp_targetILNS1_3genE9ELNS1_11target_archE1100ELNS1_3gpuE3ELNS1_3repE0EEENS1_36merge_oddeven_config_static_selectorELNS0_4arch9wavefront6targetE1EEEvSM_,"axG",@progbits,_ZN7rocprim17ROCPRIM_400000_NS6detail17trampoline_kernelINS0_14default_configENS1_38merge_sort_block_merge_config_selectorIlNS0_10empty_typeEEEZZNS1_27merge_sort_block_merge_implIS3_PlPS5_mZN2at6native12_GLOBAL__N_124unique_dim_cuda_templateIhEESt5tupleIJNSA_6TensorESF_SF_EERKSF_lbbbEUlllE_EE10hipError_tT0_T1_T2_jT3_P12ihipStream_tbPNSt15iterator_traitsISL_E10value_typeEPNSR_ISM_E10value_typeEPSN_NS1_7vsmem_tEENKUlT_SL_SM_SN_E_clIS8_S8_S9_S9_EESK_S10_SL_SM_SN_EUlS10_E1_NS1_11comp_targetILNS1_3genE9ELNS1_11target_archE1100ELNS1_3gpuE3ELNS1_3repE0EEENS1_36merge_oddeven_config_static_selectorELNS0_4arch9wavefront6targetE1EEEvSM_,comdat
.Lfunc_end40:
	.size	_ZN7rocprim17ROCPRIM_400000_NS6detail17trampoline_kernelINS0_14default_configENS1_38merge_sort_block_merge_config_selectorIlNS0_10empty_typeEEEZZNS1_27merge_sort_block_merge_implIS3_PlPS5_mZN2at6native12_GLOBAL__N_124unique_dim_cuda_templateIhEESt5tupleIJNSA_6TensorESF_SF_EERKSF_lbbbEUlllE_EE10hipError_tT0_T1_T2_jT3_P12ihipStream_tbPNSt15iterator_traitsISL_E10value_typeEPNSR_ISM_E10value_typeEPSN_NS1_7vsmem_tEENKUlT_SL_SM_SN_E_clIS8_S8_S9_S9_EESK_S10_SL_SM_SN_EUlS10_E1_NS1_11comp_targetILNS1_3genE9ELNS1_11target_archE1100ELNS1_3gpuE3ELNS1_3repE0EEENS1_36merge_oddeven_config_static_selectorELNS0_4arch9wavefront6targetE1EEEvSM_, .Lfunc_end40-_ZN7rocprim17ROCPRIM_400000_NS6detail17trampoline_kernelINS0_14default_configENS1_38merge_sort_block_merge_config_selectorIlNS0_10empty_typeEEEZZNS1_27merge_sort_block_merge_implIS3_PlPS5_mZN2at6native12_GLOBAL__N_124unique_dim_cuda_templateIhEESt5tupleIJNSA_6TensorESF_SF_EERKSF_lbbbEUlllE_EE10hipError_tT0_T1_T2_jT3_P12ihipStream_tbPNSt15iterator_traitsISL_E10value_typeEPNSR_ISM_E10value_typeEPSN_NS1_7vsmem_tEENKUlT_SL_SM_SN_E_clIS8_S8_S9_S9_EESK_S10_SL_SM_SN_EUlS10_E1_NS1_11comp_targetILNS1_3genE9ELNS1_11target_archE1100ELNS1_3gpuE3ELNS1_3repE0EEENS1_36merge_oddeven_config_static_selectorELNS0_4arch9wavefront6targetE1EEEvSM_
                                        ; -- End function
	.set _ZN7rocprim17ROCPRIM_400000_NS6detail17trampoline_kernelINS0_14default_configENS1_38merge_sort_block_merge_config_selectorIlNS0_10empty_typeEEEZZNS1_27merge_sort_block_merge_implIS3_PlPS5_mZN2at6native12_GLOBAL__N_124unique_dim_cuda_templateIhEESt5tupleIJNSA_6TensorESF_SF_EERKSF_lbbbEUlllE_EE10hipError_tT0_T1_T2_jT3_P12ihipStream_tbPNSt15iterator_traitsISL_E10value_typeEPNSR_ISM_E10value_typeEPSN_NS1_7vsmem_tEENKUlT_SL_SM_SN_E_clIS8_S8_S9_S9_EESK_S10_SL_SM_SN_EUlS10_E1_NS1_11comp_targetILNS1_3genE9ELNS1_11target_archE1100ELNS1_3gpuE3ELNS1_3repE0EEENS1_36merge_oddeven_config_static_selectorELNS0_4arch9wavefront6targetE1EEEvSM_.num_vgpr, 0
	.set _ZN7rocprim17ROCPRIM_400000_NS6detail17trampoline_kernelINS0_14default_configENS1_38merge_sort_block_merge_config_selectorIlNS0_10empty_typeEEEZZNS1_27merge_sort_block_merge_implIS3_PlPS5_mZN2at6native12_GLOBAL__N_124unique_dim_cuda_templateIhEESt5tupleIJNSA_6TensorESF_SF_EERKSF_lbbbEUlllE_EE10hipError_tT0_T1_T2_jT3_P12ihipStream_tbPNSt15iterator_traitsISL_E10value_typeEPNSR_ISM_E10value_typeEPSN_NS1_7vsmem_tEENKUlT_SL_SM_SN_E_clIS8_S8_S9_S9_EESK_S10_SL_SM_SN_EUlS10_E1_NS1_11comp_targetILNS1_3genE9ELNS1_11target_archE1100ELNS1_3gpuE3ELNS1_3repE0EEENS1_36merge_oddeven_config_static_selectorELNS0_4arch9wavefront6targetE1EEEvSM_.num_agpr, 0
	.set _ZN7rocprim17ROCPRIM_400000_NS6detail17trampoline_kernelINS0_14default_configENS1_38merge_sort_block_merge_config_selectorIlNS0_10empty_typeEEEZZNS1_27merge_sort_block_merge_implIS3_PlPS5_mZN2at6native12_GLOBAL__N_124unique_dim_cuda_templateIhEESt5tupleIJNSA_6TensorESF_SF_EERKSF_lbbbEUlllE_EE10hipError_tT0_T1_T2_jT3_P12ihipStream_tbPNSt15iterator_traitsISL_E10value_typeEPNSR_ISM_E10value_typeEPSN_NS1_7vsmem_tEENKUlT_SL_SM_SN_E_clIS8_S8_S9_S9_EESK_S10_SL_SM_SN_EUlS10_E1_NS1_11comp_targetILNS1_3genE9ELNS1_11target_archE1100ELNS1_3gpuE3ELNS1_3repE0EEENS1_36merge_oddeven_config_static_selectorELNS0_4arch9wavefront6targetE1EEEvSM_.numbered_sgpr, 0
	.set _ZN7rocprim17ROCPRIM_400000_NS6detail17trampoline_kernelINS0_14default_configENS1_38merge_sort_block_merge_config_selectorIlNS0_10empty_typeEEEZZNS1_27merge_sort_block_merge_implIS3_PlPS5_mZN2at6native12_GLOBAL__N_124unique_dim_cuda_templateIhEESt5tupleIJNSA_6TensorESF_SF_EERKSF_lbbbEUlllE_EE10hipError_tT0_T1_T2_jT3_P12ihipStream_tbPNSt15iterator_traitsISL_E10value_typeEPNSR_ISM_E10value_typeEPSN_NS1_7vsmem_tEENKUlT_SL_SM_SN_E_clIS8_S8_S9_S9_EESK_S10_SL_SM_SN_EUlS10_E1_NS1_11comp_targetILNS1_3genE9ELNS1_11target_archE1100ELNS1_3gpuE3ELNS1_3repE0EEENS1_36merge_oddeven_config_static_selectorELNS0_4arch9wavefront6targetE1EEEvSM_.num_named_barrier, 0
	.set _ZN7rocprim17ROCPRIM_400000_NS6detail17trampoline_kernelINS0_14default_configENS1_38merge_sort_block_merge_config_selectorIlNS0_10empty_typeEEEZZNS1_27merge_sort_block_merge_implIS3_PlPS5_mZN2at6native12_GLOBAL__N_124unique_dim_cuda_templateIhEESt5tupleIJNSA_6TensorESF_SF_EERKSF_lbbbEUlllE_EE10hipError_tT0_T1_T2_jT3_P12ihipStream_tbPNSt15iterator_traitsISL_E10value_typeEPNSR_ISM_E10value_typeEPSN_NS1_7vsmem_tEENKUlT_SL_SM_SN_E_clIS8_S8_S9_S9_EESK_S10_SL_SM_SN_EUlS10_E1_NS1_11comp_targetILNS1_3genE9ELNS1_11target_archE1100ELNS1_3gpuE3ELNS1_3repE0EEENS1_36merge_oddeven_config_static_selectorELNS0_4arch9wavefront6targetE1EEEvSM_.private_seg_size, 0
	.set _ZN7rocprim17ROCPRIM_400000_NS6detail17trampoline_kernelINS0_14default_configENS1_38merge_sort_block_merge_config_selectorIlNS0_10empty_typeEEEZZNS1_27merge_sort_block_merge_implIS3_PlPS5_mZN2at6native12_GLOBAL__N_124unique_dim_cuda_templateIhEESt5tupleIJNSA_6TensorESF_SF_EERKSF_lbbbEUlllE_EE10hipError_tT0_T1_T2_jT3_P12ihipStream_tbPNSt15iterator_traitsISL_E10value_typeEPNSR_ISM_E10value_typeEPSN_NS1_7vsmem_tEENKUlT_SL_SM_SN_E_clIS8_S8_S9_S9_EESK_S10_SL_SM_SN_EUlS10_E1_NS1_11comp_targetILNS1_3genE9ELNS1_11target_archE1100ELNS1_3gpuE3ELNS1_3repE0EEENS1_36merge_oddeven_config_static_selectorELNS0_4arch9wavefront6targetE1EEEvSM_.uses_vcc, 0
	.set _ZN7rocprim17ROCPRIM_400000_NS6detail17trampoline_kernelINS0_14default_configENS1_38merge_sort_block_merge_config_selectorIlNS0_10empty_typeEEEZZNS1_27merge_sort_block_merge_implIS3_PlPS5_mZN2at6native12_GLOBAL__N_124unique_dim_cuda_templateIhEESt5tupleIJNSA_6TensorESF_SF_EERKSF_lbbbEUlllE_EE10hipError_tT0_T1_T2_jT3_P12ihipStream_tbPNSt15iterator_traitsISL_E10value_typeEPNSR_ISM_E10value_typeEPSN_NS1_7vsmem_tEENKUlT_SL_SM_SN_E_clIS8_S8_S9_S9_EESK_S10_SL_SM_SN_EUlS10_E1_NS1_11comp_targetILNS1_3genE9ELNS1_11target_archE1100ELNS1_3gpuE3ELNS1_3repE0EEENS1_36merge_oddeven_config_static_selectorELNS0_4arch9wavefront6targetE1EEEvSM_.uses_flat_scratch, 0
	.set _ZN7rocprim17ROCPRIM_400000_NS6detail17trampoline_kernelINS0_14default_configENS1_38merge_sort_block_merge_config_selectorIlNS0_10empty_typeEEEZZNS1_27merge_sort_block_merge_implIS3_PlPS5_mZN2at6native12_GLOBAL__N_124unique_dim_cuda_templateIhEESt5tupleIJNSA_6TensorESF_SF_EERKSF_lbbbEUlllE_EE10hipError_tT0_T1_T2_jT3_P12ihipStream_tbPNSt15iterator_traitsISL_E10value_typeEPNSR_ISM_E10value_typeEPSN_NS1_7vsmem_tEENKUlT_SL_SM_SN_E_clIS8_S8_S9_S9_EESK_S10_SL_SM_SN_EUlS10_E1_NS1_11comp_targetILNS1_3genE9ELNS1_11target_archE1100ELNS1_3gpuE3ELNS1_3repE0EEENS1_36merge_oddeven_config_static_selectorELNS0_4arch9wavefront6targetE1EEEvSM_.has_dyn_sized_stack, 0
	.set _ZN7rocprim17ROCPRIM_400000_NS6detail17trampoline_kernelINS0_14default_configENS1_38merge_sort_block_merge_config_selectorIlNS0_10empty_typeEEEZZNS1_27merge_sort_block_merge_implIS3_PlPS5_mZN2at6native12_GLOBAL__N_124unique_dim_cuda_templateIhEESt5tupleIJNSA_6TensorESF_SF_EERKSF_lbbbEUlllE_EE10hipError_tT0_T1_T2_jT3_P12ihipStream_tbPNSt15iterator_traitsISL_E10value_typeEPNSR_ISM_E10value_typeEPSN_NS1_7vsmem_tEENKUlT_SL_SM_SN_E_clIS8_S8_S9_S9_EESK_S10_SL_SM_SN_EUlS10_E1_NS1_11comp_targetILNS1_3genE9ELNS1_11target_archE1100ELNS1_3gpuE3ELNS1_3repE0EEENS1_36merge_oddeven_config_static_selectorELNS0_4arch9wavefront6targetE1EEEvSM_.has_recursion, 0
	.set _ZN7rocprim17ROCPRIM_400000_NS6detail17trampoline_kernelINS0_14default_configENS1_38merge_sort_block_merge_config_selectorIlNS0_10empty_typeEEEZZNS1_27merge_sort_block_merge_implIS3_PlPS5_mZN2at6native12_GLOBAL__N_124unique_dim_cuda_templateIhEESt5tupleIJNSA_6TensorESF_SF_EERKSF_lbbbEUlllE_EE10hipError_tT0_T1_T2_jT3_P12ihipStream_tbPNSt15iterator_traitsISL_E10value_typeEPNSR_ISM_E10value_typeEPSN_NS1_7vsmem_tEENKUlT_SL_SM_SN_E_clIS8_S8_S9_S9_EESK_S10_SL_SM_SN_EUlS10_E1_NS1_11comp_targetILNS1_3genE9ELNS1_11target_archE1100ELNS1_3gpuE3ELNS1_3repE0EEENS1_36merge_oddeven_config_static_selectorELNS0_4arch9wavefront6targetE1EEEvSM_.has_indirect_call, 0
	.section	.AMDGPU.csdata,"",@progbits
; Kernel info:
; codeLenInByte = 0
; TotalNumSgprs: 6
; NumVgprs: 0
; NumAgprs: 0
; TotalNumVgprs: 0
; ScratchSize: 0
; MemoryBound: 0
; FloatMode: 240
; IeeeMode: 1
; LDSByteSize: 0 bytes/workgroup (compile time only)
; SGPRBlocks: 0
; VGPRBlocks: 0
; NumSGPRsForWavesPerEU: 6
; NumVGPRsForWavesPerEU: 1
; AccumOffset: 4
; Occupancy: 8
; WaveLimiterHint : 0
; COMPUTE_PGM_RSRC2:SCRATCH_EN: 0
; COMPUTE_PGM_RSRC2:USER_SGPR: 2
; COMPUTE_PGM_RSRC2:TRAP_HANDLER: 0
; COMPUTE_PGM_RSRC2:TGID_X_EN: 1
; COMPUTE_PGM_RSRC2:TGID_Y_EN: 0
; COMPUTE_PGM_RSRC2:TGID_Z_EN: 0
; COMPUTE_PGM_RSRC2:TIDIG_COMP_CNT: 0
; COMPUTE_PGM_RSRC3_GFX90A:ACCUM_OFFSET: 0
; COMPUTE_PGM_RSRC3_GFX90A:TG_SPLIT: 0
	.section	.text._ZN7rocprim17ROCPRIM_400000_NS6detail17trampoline_kernelINS0_14default_configENS1_38merge_sort_block_merge_config_selectorIlNS0_10empty_typeEEEZZNS1_27merge_sort_block_merge_implIS3_PlPS5_mZN2at6native12_GLOBAL__N_124unique_dim_cuda_templateIhEESt5tupleIJNSA_6TensorESF_SF_EERKSF_lbbbEUlllE_EE10hipError_tT0_T1_T2_jT3_P12ihipStream_tbPNSt15iterator_traitsISL_E10value_typeEPNSR_ISM_E10value_typeEPSN_NS1_7vsmem_tEENKUlT_SL_SM_SN_E_clIS8_S8_S9_S9_EESK_S10_SL_SM_SN_EUlS10_E1_NS1_11comp_targetILNS1_3genE8ELNS1_11target_archE1030ELNS1_3gpuE2ELNS1_3repE0EEENS1_36merge_oddeven_config_static_selectorELNS0_4arch9wavefront6targetE1EEEvSM_,"axG",@progbits,_ZN7rocprim17ROCPRIM_400000_NS6detail17trampoline_kernelINS0_14default_configENS1_38merge_sort_block_merge_config_selectorIlNS0_10empty_typeEEEZZNS1_27merge_sort_block_merge_implIS3_PlPS5_mZN2at6native12_GLOBAL__N_124unique_dim_cuda_templateIhEESt5tupleIJNSA_6TensorESF_SF_EERKSF_lbbbEUlllE_EE10hipError_tT0_T1_T2_jT3_P12ihipStream_tbPNSt15iterator_traitsISL_E10value_typeEPNSR_ISM_E10value_typeEPSN_NS1_7vsmem_tEENKUlT_SL_SM_SN_E_clIS8_S8_S9_S9_EESK_S10_SL_SM_SN_EUlS10_E1_NS1_11comp_targetILNS1_3genE8ELNS1_11target_archE1030ELNS1_3gpuE2ELNS1_3repE0EEENS1_36merge_oddeven_config_static_selectorELNS0_4arch9wavefront6targetE1EEEvSM_,comdat
	.globl	_ZN7rocprim17ROCPRIM_400000_NS6detail17trampoline_kernelINS0_14default_configENS1_38merge_sort_block_merge_config_selectorIlNS0_10empty_typeEEEZZNS1_27merge_sort_block_merge_implIS3_PlPS5_mZN2at6native12_GLOBAL__N_124unique_dim_cuda_templateIhEESt5tupleIJNSA_6TensorESF_SF_EERKSF_lbbbEUlllE_EE10hipError_tT0_T1_T2_jT3_P12ihipStream_tbPNSt15iterator_traitsISL_E10value_typeEPNSR_ISM_E10value_typeEPSN_NS1_7vsmem_tEENKUlT_SL_SM_SN_E_clIS8_S8_S9_S9_EESK_S10_SL_SM_SN_EUlS10_E1_NS1_11comp_targetILNS1_3genE8ELNS1_11target_archE1030ELNS1_3gpuE2ELNS1_3repE0EEENS1_36merge_oddeven_config_static_selectorELNS0_4arch9wavefront6targetE1EEEvSM_ ; -- Begin function _ZN7rocprim17ROCPRIM_400000_NS6detail17trampoline_kernelINS0_14default_configENS1_38merge_sort_block_merge_config_selectorIlNS0_10empty_typeEEEZZNS1_27merge_sort_block_merge_implIS3_PlPS5_mZN2at6native12_GLOBAL__N_124unique_dim_cuda_templateIhEESt5tupleIJNSA_6TensorESF_SF_EERKSF_lbbbEUlllE_EE10hipError_tT0_T1_T2_jT3_P12ihipStream_tbPNSt15iterator_traitsISL_E10value_typeEPNSR_ISM_E10value_typeEPSN_NS1_7vsmem_tEENKUlT_SL_SM_SN_E_clIS8_S8_S9_S9_EESK_S10_SL_SM_SN_EUlS10_E1_NS1_11comp_targetILNS1_3genE8ELNS1_11target_archE1030ELNS1_3gpuE2ELNS1_3repE0EEENS1_36merge_oddeven_config_static_selectorELNS0_4arch9wavefront6targetE1EEEvSM_
	.p2align	8
	.type	_ZN7rocprim17ROCPRIM_400000_NS6detail17trampoline_kernelINS0_14default_configENS1_38merge_sort_block_merge_config_selectorIlNS0_10empty_typeEEEZZNS1_27merge_sort_block_merge_implIS3_PlPS5_mZN2at6native12_GLOBAL__N_124unique_dim_cuda_templateIhEESt5tupleIJNSA_6TensorESF_SF_EERKSF_lbbbEUlllE_EE10hipError_tT0_T1_T2_jT3_P12ihipStream_tbPNSt15iterator_traitsISL_E10value_typeEPNSR_ISM_E10value_typeEPSN_NS1_7vsmem_tEENKUlT_SL_SM_SN_E_clIS8_S8_S9_S9_EESK_S10_SL_SM_SN_EUlS10_E1_NS1_11comp_targetILNS1_3genE8ELNS1_11target_archE1030ELNS1_3gpuE2ELNS1_3repE0EEENS1_36merge_oddeven_config_static_selectorELNS0_4arch9wavefront6targetE1EEEvSM_,@function
_ZN7rocprim17ROCPRIM_400000_NS6detail17trampoline_kernelINS0_14default_configENS1_38merge_sort_block_merge_config_selectorIlNS0_10empty_typeEEEZZNS1_27merge_sort_block_merge_implIS3_PlPS5_mZN2at6native12_GLOBAL__N_124unique_dim_cuda_templateIhEESt5tupleIJNSA_6TensorESF_SF_EERKSF_lbbbEUlllE_EE10hipError_tT0_T1_T2_jT3_P12ihipStream_tbPNSt15iterator_traitsISL_E10value_typeEPNSR_ISM_E10value_typeEPSN_NS1_7vsmem_tEENKUlT_SL_SM_SN_E_clIS8_S8_S9_S9_EESK_S10_SL_SM_SN_EUlS10_E1_NS1_11comp_targetILNS1_3genE8ELNS1_11target_archE1030ELNS1_3gpuE2ELNS1_3repE0EEENS1_36merge_oddeven_config_static_selectorELNS0_4arch9wavefront6targetE1EEEvSM_: ; @_ZN7rocprim17ROCPRIM_400000_NS6detail17trampoline_kernelINS0_14default_configENS1_38merge_sort_block_merge_config_selectorIlNS0_10empty_typeEEEZZNS1_27merge_sort_block_merge_implIS3_PlPS5_mZN2at6native12_GLOBAL__N_124unique_dim_cuda_templateIhEESt5tupleIJNSA_6TensorESF_SF_EERKSF_lbbbEUlllE_EE10hipError_tT0_T1_T2_jT3_P12ihipStream_tbPNSt15iterator_traitsISL_E10value_typeEPNSR_ISM_E10value_typeEPSN_NS1_7vsmem_tEENKUlT_SL_SM_SN_E_clIS8_S8_S9_S9_EESK_S10_SL_SM_SN_EUlS10_E1_NS1_11comp_targetILNS1_3genE8ELNS1_11target_archE1030ELNS1_3gpuE2ELNS1_3repE0EEENS1_36merge_oddeven_config_static_selectorELNS0_4arch9wavefront6targetE1EEEvSM_
; %bb.0:
	.section	.rodata,"a",@progbits
	.p2align	6, 0x0
	.amdhsa_kernel _ZN7rocprim17ROCPRIM_400000_NS6detail17trampoline_kernelINS0_14default_configENS1_38merge_sort_block_merge_config_selectorIlNS0_10empty_typeEEEZZNS1_27merge_sort_block_merge_implIS3_PlPS5_mZN2at6native12_GLOBAL__N_124unique_dim_cuda_templateIhEESt5tupleIJNSA_6TensorESF_SF_EERKSF_lbbbEUlllE_EE10hipError_tT0_T1_T2_jT3_P12ihipStream_tbPNSt15iterator_traitsISL_E10value_typeEPNSR_ISM_E10value_typeEPSN_NS1_7vsmem_tEENKUlT_SL_SM_SN_E_clIS8_S8_S9_S9_EESK_S10_SL_SM_SN_EUlS10_E1_NS1_11comp_targetILNS1_3genE8ELNS1_11target_archE1030ELNS1_3gpuE2ELNS1_3repE0EEENS1_36merge_oddeven_config_static_selectorELNS0_4arch9wavefront6targetE1EEEvSM_
		.amdhsa_group_segment_fixed_size 0
		.amdhsa_private_segment_fixed_size 0
		.amdhsa_kernarg_size 64
		.amdhsa_user_sgpr_count 2
		.amdhsa_user_sgpr_dispatch_ptr 0
		.amdhsa_user_sgpr_queue_ptr 0
		.amdhsa_user_sgpr_kernarg_segment_ptr 1
		.amdhsa_user_sgpr_dispatch_id 0
		.amdhsa_user_sgpr_kernarg_preload_length 0
		.amdhsa_user_sgpr_kernarg_preload_offset 0
		.amdhsa_user_sgpr_private_segment_size 0
		.amdhsa_uses_dynamic_stack 0
		.amdhsa_enable_private_segment 0
		.amdhsa_system_sgpr_workgroup_id_x 1
		.amdhsa_system_sgpr_workgroup_id_y 0
		.amdhsa_system_sgpr_workgroup_id_z 0
		.amdhsa_system_sgpr_workgroup_info 0
		.amdhsa_system_vgpr_workitem_id 0
		.amdhsa_next_free_vgpr 1
		.amdhsa_next_free_sgpr 0
		.amdhsa_accum_offset 4
		.amdhsa_reserve_vcc 0
		.amdhsa_float_round_mode_32 0
		.amdhsa_float_round_mode_16_64 0
		.amdhsa_float_denorm_mode_32 3
		.amdhsa_float_denorm_mode_16_64 3
		.amdhsa_dx10_clamp 1
		.amdhsa_ieee_mode 1
		.amdhsa_fp16_overflow 0
		.amdhsa_tg_split 0
		.amdhsa_exception_fp_ieee_invalid_op 0
		.amdhsa_exception_fp_denorm_src 0
		.amdhsa_exception_fp_ieee_div_zero 0
		.amdhsa_exception_fp_ieee_overflow 0
		.amdhsa_exception_fp_ieee_underflow 0
		.amdhsa_exception_fp_ieee_inexact 0
		.amdhsa_exception_int_div_zero 0
	.end_amdhsa_kernel
	.section	.text._ZN7rocprim17ROCPRIM_400000_NS6detail17trampoline_kernelINS0_14default_configENS1_38merge_sort_block_merge_config_selectorIlNS0_10empty_typeEEEZZNS1_27merge_sort_block_merge_implIS3_PlPS5_mZN2at6native12_GLOBAL__N_124unique_dim_cuda_templateIhEESt5tupleIJNSA_6TensorESF_SF_EERKSF_lbbbEUlllE_EE10hipError_tT0_T1_T2_jT3_P12ihipStream_tbPNSt15iterator_traitsISL_E10value_typeEPNSR_ISM_E10value_typeEPSN_NS1_7vsmem_tEENKUlT_SL_SM_SN_E_clIS8_S8_S9_S9_EESK_S10_SL_SM_SN_EUlS10_E1_NS1_11comp_targetILNS1_3genE8ELNS1_11target_archE1030ELNS1_3gpuE2ELNS1_3repE0EEENS1_36merge_oddeven_config_static_selectorELNS0_4arch9wavefront6targetE1EEEvSM_,"axG",@progbits,_ZN7rocprim17ROCPRIM_400000_NS6detail17trampoline_kernelINS0_14default_configENS1_38merge_sort_block_merge_config_selectorIlNS0_10empty_typeEEEZZNS1_27merge_sort_block_merge_implIS3_PlPS5_mZN2at6native12_GLOBAL__N_124unique_dim_cuda_templateIhEESt5tupleIJNSA_6TensorESF_SF_EERKSF_lbbbEUlllE_EE10hipError_tT0_T1_T2_jT3_P12ihipStream_tbPNSt15iterator_traitsISL_E10value_typeEPNSR_ISM_E10value_typeEPSN_NS1_7vsmem_tEENKUlT_SL_SM_SN_E_clIS8_S8_S9_S9_EESK_S10_SL_SM_SN_EUlS10_E1_NS1_11comp_targetILNS1_3genE8ELNS1_11target_archE1030ELNS1_3gpuE2ELNS1_3repE0EEENS1_36merge_oddeven_config_static_selectorELNS0_4arch9wavefront6targetE1EEEvSM_,comdat
.Lfunc_end41:
	.size	_ZN7rocprim17ROCPRIM_400000_NS6detail17trampoline_kernelINS0_14default_configENS1_38merge_sort_block_merge_config_selectorIlNS0_10empty_typeEEEZZNS1_27merge_sort_block_merge_implIS3_PlPS5_mZN2at6native12_GLOBAL__N_124unique_dim_cuda_templateIhEESt5tupleIJNSA_6TensorESF_SF_EERKSF_lbbbEUlllE_EE10hipError_tT0_T1_T2_jT3_P12ihipStream_tbPNSt15iterator_traitsISL_E10value_typeEPNSR_ISM_E10value_typeEPSN_NS1_7vsmem_tEENKUlT_SL_SM_SN_E_clIS8_S8_S9_S9_EESK_S10_SL_SM_SN_EUlS10_E1_NS1_11comp_targetILNS1_3genE8ELNS1_11target_archE1030ELNS1_3gpuE2ELNS1_3repE0EEENS1_36merge_oddeven_config_static_selectorELNS0_4arch9wavefront6targetE1EEEvSM_, .Lfunc_end41-_ZN7rocprim17ROCPRIM_400000_NS6detail17trampoline_kernelINS0_14default_configENS1_38merge_sort_block_merge_config_selectorIlNS0_10empty_typeEEEZZNS1_27merge_sort_block_merge_implIS3_PlPS5_mZN2at6native12_GLOBAL__N_124unique_dim_cuda_templateIhEESt5tupleIJNSA_6TensorESF_SF_EERKSF_lbbbEUlllE_EE10hipError_tT0_T1_T2_jT3_P12ihipStream_tbPNSt15iterator_traitsISL_E10value_typeEPNSR_ISM_E10value_typeEPSN_NS1_7vsmem_tEENKUlT_SL_SM_SN_E_clIS8_S8_S9_S9_EESK_S10_SL_SM_SN_EUlS10_E1_NS1_11comp_targetILNS1_3genE8ELNS1_11target_archE1030ELNS1_3gpuE2ELNS1_3repE0EEENS1_36merge_oddeven_config_static_selectorELNS0_4arch9wavefront6targetE1EEEvSM_
                                        ; -- End function
	.set _ZN7rocprim17ROCPRIM_400000_NS6detail17trampoline_kernelINS0_14default_configENS1_38merge_sort_block_merge_config_selectorIlNS0_10empty_typeEEEZZNS1_27merge_sort_block_merge_implIS3_PlPS5_mZN2at6native12_GLOBAL__N_124unique_dim_cuda_templateIhEESt5tupleIJNSA_6TensorESF_SF_EERKSF_lbbbEUlllE_EE10hipError_tT0_T1_T2_jT3_P12ihipStream_tbPNSt15iterator_traitsISL_E10value_typeEPNSR_ISM_E10value_typeEPSN_NS1_7vsmem_tEENKUlT_SL_SM_SN_E_clIS8_S8_S9_S9_EESK_S10_SL_SM_SN_EUlS10_E1_NS1_11comp_targetILNS1_3genE8ELNS1_11target_archE1030ELNS1_3gpuE2ELNS1_3repE0EEENS1_36merge_oddeven_config_static_selectorELNS0_4arch9wavefront6targetE1EEEvSM_.num_vgpr, 0
	.set _ZN7rocprim17ROCPRIM_400000_NS6detail17trampoline_kernelINS0_14default_configENS1_38merge_sort_block_merge_config_selectorIlNS0_10empty_typeEEEZZNS1_27merge_sort_block_merge_implIS3_PlPS5_mZN2at6native12_GLOBAL__N_124unique_dim_cuda_templateIhEESt5tupleIJNSA_6TensorESF_SF_EERKSF_lbbbEUlllE_EE10hipError_tT0_T1_T2_jT3_P12ihipStream_tbPNSt15iterator_traitsISL_E10value_typeEPNSR_ISM_E10value_typeEPSN_NS1_7vsmem_tEENKUlT_SL_SM_SN_E_clIS8_S8_S9_S9_EESK_S10_SL_SM_SN_EUlS10_E1_NS1_11comp_targetILNS1_3genE8ELNS1_11target_archE1030ELNS1_3gpuE2ELNS1_3repE0EEENS1_36merge_oddeven_config_static_selectorELNS0_4arch9wavefront6targetE1EEEvSM_.num_agpr, 0
	.set _ZN7rocprim17ROCPRIM_400000_NS6detail17trampoline_kernelINS0_14default_configENS1_38merge_sort_block_merge_config_selectorIlNS0_10empty_typeEEEZZNS1_27merge_sort_block_merge_implIS3_PlPS5_mZN2at6native12_GLOBAL__N_124unique_dim_cuda_templateIhEESt5tupleIJNSA_6TensorESF_SF_EERKSF_lbbbEUlllE_EE10hipError_tT0_T1_T2_jT3_P12ihipStream_tbPNSt15iterator_traitsISL_E10value_typeEPNSR_ISM_E10value_typeEPSN_NS1_7vsmem_tEENKUlT_SL_SM_SN_E_clIS8_S8_S9_S9_EESK_S10_SL_SM_SN_EUlS10_E1_NS1_11comp_targetILNS1_3genE8ELNS1_11target_archE1030ELNS1_3gpuE2ELNS1_3repE0EEENS1_36merge_oddeven_config_static_selectorELNS0_4arch9wavefront6targetE1EEEvSM_.numbered_sgpr, 0
	.set _ZN7rocprim17ROCPRIM_400000_NS6detail17trampoline_kernelINS0_14default_configENS1_38merge_sort_block_merge_config_selectorIlNS0_10empty_typeEEEZZNS1_27merge_sort_block_merge_implIS3_PlPS5_mZN2at6native12_GLOBAL__N_124unique_dim_cuda_templateIhEESt5tupleIJNSA_6TensorESF_SF_EERKSF_lbbbEUlllE_EE10hipError_tT0_T1_T2_jT3_P12ihipStream_tbPNSt15iterator_traitsISL_E10value_typeEPNSR_ISM_E10value_typeEPSN_NS1_7vsmem_tEENKUlT_SL_SM_SN_E_clIS8_S8_S9_S9_EESK_S10_SL_SM_SN_EUlS10_E1_NS1_11comp_targetILNS1_3genE8ELNS1_11target_archE1030ELNS1_3gpuE2ELNS1_3repE0EEENS1_36merge_oddeven_config_static_selectorELNS0_4arch9wavefront6targetE1EEEvSM_.num_named_barrier, 0
	.set _ZN7rocprim17ROCPRIM_400000_NS6detail17trampoline_kernelINS0_14default_configENS1_38merge_sort_block_merge_config_selectorIlNS0_10empty_typeEEEZZNS1_27merge_sort_block_merge_implIS3_PlPS5_mZN2at6native12_GLOBAL__N_124unique_dim_cuda_templateIhEESt5tupleIJNSA_6TensorESF_SF_EERKSF_lbbbEUlllE_EE10hipError_tT0_T1_T2_jT3_P12ihipStream_tbPNSt15iterator_traitsISL_E10value_typeEPNSR_ISM_E10value_typeEPSN_NS1_7vsmem_tEENKUlT_SL_SM_SN_E_clIS8_S8_S9_S9_EESK_S10_SL_SM_SN_EUlS10_E1_NS1_11comp_targetILNS1_3genE8ELNS1_11target_archE1030ELNS1_3gpuE2ELNS1_3repE0EEENS1_36merge_oddeven_config_static_selectorELNS0_4arch9wavefront6targetE1EEEvSM_.private_seg_size, 0
	.set _ZN7rocprim17ROCPRIM_400000_NS6detail17trampoline_kernelINS0_14default_configENS1_38merge_sort_block_merge_config_selectorIlNS0_10empty_typeEEEZZNS1_27merge_sort_block_merge_implIS3_PlPS5_mZN2at6native12_GLOBAL__N_124unique_dim_cuda_templateIhEESt5tupleIJNSA_6TensorESF_SF_EERKSF_lbbbEUlllE_EE10hipError_tT0_T1_T2_jT3_P12ihipStream_tbPNSt15iterator_traitsISL_E10value_typeEPNSR_ISM_E10value_typeEPSN_NS1_7vsmem_tEENKUlT_SL_SM_SN_E_clIS8_S8_S9_S9_EESK_S10_SL_SM_SN_EUlS10_E1_NS1_11comp_targetILNS1_3genE8ELNS1_11target_archE1030ELNS1_3gpuE2ELNS1_3repE0EEENS1_36merge_oddeven_config_static_selectorELNS0_4arch9wavefront6targetE1EEEvSM_.uses_vcc, 0
	.set _ZN7rocprim17ROCPRIM_400000_NS6detail17trampoline_kernelINS0_14default_configENS1_38merge_sort_block_merge_config_selectorIlNS0_10empty_typeEEEZZNS1_27merge_sort_block_merge_implIS3_PlPS5_mZN2at6native12_GLOBAL__N_124unique_dim_cuda_templateIhEESt5tupleIJNSA_6TensorESF_SF_EERKSF_lbbbEUlllE_EE10hipError_tT0_T1_T2_jT3_P12ihipStream_tbPNSt15iterator_traitsISL_E10value_typeEPNSR_ISM_E10value_typeEPSN_NS1_7vsmem_tEENKUlT_SL_SM_SN_E_clIS8_S8_S9_S9_EESK_S10_SL_SM_SN_EUlS10_E1_NS1_11comp_targetILNS1_3genE8ELNS1_11target_archE1030ELNS1_3gpuE2ELNS1_3repE0EEENS1_36merge_oddeven_config_static_selectorELNS0_4arch9wavefront6targetE1EEEvSM_.uses_flat_scratch, 0
	.set _ZN7rocprim17ROCPRIM_400000_NS6detail17trampoline_kernelINS0_14default_configENS1_38merge_sort_block_merge_config_selectorIlNS0_10empty_typeEEEZZNS1_27merge_sort_block_merge_implIS3_PlPS5_mZN2at6native12_GLOBAL__N_124unique_dim_cuda_templateIhEESt5tupleIJNSA_6TensorESF_SF_EERKSF_lbbbEUlllE_EE10hipError_tT0_T1_T2_jT3_P12ihipStream_tbPNSt15iterator_traitsISL_E10value_typeEPNSR_ISM_E10value_typeEPSN_NS1_7vsmem_tEENKUlT_SL_SM_SN_E_clIS8_S8_S9_S9_EESK_S10_SL_SM_SN_EUlS10_E1_NS1_11comp_targetILNS1_3genE8ELNS1_11target_archE1030ELNS1_3gpuE2ELNS1_3repE0EEENS1_36merge_oddeven_config_static_selectorELNS0_4arch9wavefront6targetE1EEEvSM_.has_dyn_sized_stack, 0
	.set _ZN7rocprim17ROCPRIM_400000_NS6detail17trampoline_kernelINS0_14default_configENS1_38merge_sort_block_merge_config_selectorIlNS0_10empty_typeEEEZZNS1_27merge_sort_block_merge_implIS3_PlPS5_mZN2at6native12_GLOBAL__N_124unique_dim_cuda_templateIhEESt5tupleIJNSA_6TensorESF_SF_EERKSF_lbbbEUlllE_EE10hipError_tT0_T1_T2_jT3_P12ihipStream_tbPNSt15iterator_traitsISL_E10value_typeEPNSR_ISM_E10value_typeEPSN_NS1_7vsmem_tEENKUlT_SL_SM_SN_E_clIS8_S8_S9_S9_EESK_S10_SL_SM_SN_EUlS10_E1_NS1_11comp_targetILNS1_3genE8ELNS1_11target_archE1030ELNS1_3gpuE2ELNS1_3repE0EEENS1_36merge_oddeven_config_static_selectorELNS0_4arch9wavefront6targetE1EEEvSM_.has_recursion, 0
	.set _ZN7rocprim17ROCPRIM_400000_NS6detail17trampoline_kernelINS0_14default_configENS1_38merge_sort_block_merge_config_selectorIlNS0_10empty_typeEEEZZNS1_27merge_sort_block_merge_implIS3_PlPS5_mZN2at6native12_GLOBAL__N_124unique_dim_cuda_templateIhEESt5tupleIJNSA_6TensorESF_SF_EERKSF_lbbbEUlllE_EE10hipError_tT0_T1_T2_jT3_P12ihipStream_tbPNSt15iterator_traitsISL_E10value_typeEPNSR_ISM_E10value_typeEPSN_NS1_7vsmem_tEENKUlT_SL_SM_SN_E_clIS8_S8_S9_S9_EESK_S10_SL_SM_SN_EUlS10_E1_NS1_11comp_targetILNS1_3genE8ELNS1_11target_archE1030ELNS1_3gpuE2ELNS1_3repE0EEENS1_36merge_oddeven_config_static_selectorELNS0_4arch9wavefront6targetE1EEEvSM_.has_indirect_call, 0
	.section	.AMDGPU.csdata,"",@progbits
; Kernel info:
; codeLenInByte = 0
; TotalNumSgprs: 6
; NumVgprs: 0
; NumAgprs: 0
; TotalNumVgprs: 0
; ScratchSize: 0
; MemoryBound: 0
; FloatMode: 240
; IeeeMode: 1
; LDSByteSize: 0 bytes/workgroup (compile time only)
; SGPRBlocks: 0
; VGPRBlocks: 0
; NumSGPRsForWavesPerEU: 6
; NumVGPRsForWavesPerEU: 1
; AccumOffset: 4
; Occupancy: 8
; WaveLimiterHint : 0
; COMPUTE_PGM_RSRC2:SCRATCH_EN: 0
; COMPUTE_PGM_RSRC2:USER_SGPR: 2
; COMPUTE_PGM_RSRC2:TRAP_HANDLER: 0
; COMPUTE_PGM_RSRC2:TGID_X_EN: 1
; COMPUTE_PGM_RSRC2:TGID_Y_EN: 0
; COMPUTE_PGM_RSRC2:TGID_Z_EN: 0
; COMPUTE_PGM_RSRC2:TIDIG_COMP_CNT: 0
; COMPUTE_PGM_RSRC3_GFX90A:ACCUM_OFFSET: 0
; COMPUTE_PGM_RSRC3_GFX90A:TG_SPLIT: 0
	.section	.text._ZN7rocprim17ROCPRIM_400000_NS6detail17trampoline_kernelINS0_14default_configENS1_25transform_config_selectorIlLb1EEEZNS1_14transform_implILb1ES3_S5_PlS7_NS0_8identityIlEEEE10hipError_tT2_T3_mT4_P12ihipStream_tbEUlT_E_NS1_11comp_targetILNS1_3genE0ELNS1_11target_archE4294967295ELNS1_3gpuE0ELNS1_3repE0EEENS1_30default_config_static_selectorELNS0_4arch9wavefront6targetE1EEEvT1_,"axG",@progbits,_ZN7rocprim17ROCPRIM_400000_NS6detail17trampoline_kernelINS0_14default_configENS1_25transform_config_selectorIlLb1EEEZNS1_14transform_implILb1ES3_S5_PlS7_NS0_8identityIlEEEE10hipError_tT2_T3_mT4_P12ihipStream_tbEUlT_E_NS1_11comp_targetILNS1_3genE0ELNS1_11target_archE4294967295ELNS1_3gpuE0ELNS1_3repE0EEENS1_30default_config_static_selectorELNS0_4arch9wavefront6targetE1EEEvT1_,comdat
	.protected	_ZN7rocprim17ROCPRIM_400000_NS6detail17trampoline_kernelINS0_14default_configENS1_25transform_config_selectorIlLb1EEEZNS1_14transform_implILb1ES3_S5_PlS7_NS0_8identityIlEEEE10hipError_tT2_T3_mT4_P12ihipStream_tbEUlT_E_NS1_11comp_targetILNS1_3genE0ELNS1_11target_archE4294967295ELNS1_3gpuE0ELNS1_3repE0EEENS1_30default_config_static_selectorELNS0_4arch9wavefront6targetE1EEEvT1_ ; -- Begin function _ZN7rocprim17ROCPRIM_400000_NS6detail17trampoline_kernelINS0_14default_configENS1_25transform_config_selectorIlLb1EEEZNS1_14transform_implILb1ES3_S5_PlS7_NS0_8identityIlEEEE10hipError_tT2_T3_mT4_P12ihipStream_tbEUlT_E_NS1_11comp_targetILNS1_3genE0ELNS1_11target_archE4294967295ELNS1_3gpuE0ELNS1_3repE0EEENS1_30default_config_static_selectorELNS0_4arch9wavefront6targetE1EEEvT1_
	.globl	_ZN7rocprim17ROCPRIM_400000_NS6detail17trampoline_kernelINS0_14default_configENS1_25transform_config_selectorIlLb1EEEZNS1_14transform_implILb1ES3_S5_PlS7_NS0_8identityIlEEEE10hipError_tT2_T3_mT4_P12ihipStream_tbEUlT_E_NS1_11comp_targetILNS1_3genE0ELNS1_11target_archE4294967295ELNS1_3gpuE0ELNS1_3repE0EEENS1_30default_config_static_selectorELNS0_4arch9wavefront6targetE1EEEvT1_
	.p2align	8
	.type	_ZN7rocprim17ROCPRIM_400000_NS6detail17trampoline_kernelINS0_14default_configENS1_25transform_config_selectorIlLb1EEEZNS1_14transform_implILb1ES3_S5_PlS7_NS0_8identityIlEEEE10hipError_tT2_T3_mT4_P12ihipStream_tbEUlT_E_NS1_11comp_targetILNS1_3genE0ELNS1_11target_archE4294967295ELNS1_3gpuE0ELNS1_3repE0EEENS1_30default_config_static_selectorELNS0_4arch9wavefront6targetE1EEEvT1_,@function
_ZN7rocprim17ROCPRIM_400000_NS6detail17trampoline_kernelINS0_14default_configENS1_25transform_config_selectorIlLb1EEEZNS1_14transform_implILb1ES3_S5_PlS7_NS0_8identityIlEEEE10hipError_tT2_T3_mT4_P12ihipStream_tbEUlT_E_NS1_11comp_targetILNS1_3genE0ELNS1_11target_archE4294967295ELNS1_3gpuE0ELNS1_3repE0EEENS1_30default_config_static_selectorELNS0_4arch9wavefront6targetE1EEEvT1_: ; @_ZN7rocprim17ROCPRIM_400000_NS6detail17trampoline_kernelINS0_14default_configENS1_25transform_config_selectorIlLb1EEEZNS1_14transform_implILb1ES3_S5_PlS7_NS0_8identityIlEEEE10hipError_tT2_T3_mT4_P12ihipStream_tbEUlT_E_NS1_11comp_targetILNS1_3genE0ELNS1_11target_archE4294967295ELNS1_3gpuE0ELNS1_3repE0EEENS1_30default_config_static_selectorELNS0_4arch9wavefront6targetE1EEEvT1_
; %bb.0:
	s_load_dword s3, s[0:1], 0x28
	s_load_dword s5, s[0:1], 0x10
	s_lshl_b32 s4, s2, 7
	s_waitcnt lgkmcnt(0)
	s_add_i32 s3, s3, -1
	s_cmp_lg_u32 s2, s3
	s_cselect_b64 s[2:3], -1, 0
	s_sub_i32 s5, s5, s4
	v_cmp_gt_u32_e32 vcc, s5, v0
	s_or_b64 s[2:3], vcc, s[2:3]
	s_and_saveexec_b64 s[6:7], s[2:3]
	s_cbranch_execz .LBB42_2
; %bb.1:
	s_load_dwordx4 s[8:11], s[0:1], 0x0
	s_load_dwordx2 s[2:3], s[0:1], 0x18
	s_mov_b32 s5, 0
	v_lshlrev_b32_e32 v2, 3, v0
	s_waitcnt lgkmcnt(0)
	s_lshl_b64 s[0:1], s[10:11], 3
	s_add_u32 s6, s8, s0
	s_addc_u32 s7, s9, s1
	s_lshl_b64 s[4:5], s[4:5], 3
	s_add_u32 s6, s6, s4
	s_addc_u32 s7, s7, s5
	global_load_dwordx2 v[0:1], v2, s[6:7]
	s_add_u32 s0, s2, s0
	s_addc_u32 s1, s3, s1
	s_add_u32 s0, s0, s4
	s_addc_u32 s1, s1, s5
	s_waitcnt vmcnt(0)
	global_store_dwordx2 v2, v[0:1], s[0:1]
.LBB42_2:
	s_endpgm
	.section	.rodata,"a",@progbits
	.p2align	6, 0x0
	.amdhsa_kernel _ZN7rocprim17ROCPRIM_400000_NS6detail17trampoline_kernelINS0_14default_configENS1_25transform_config_selectorIlLb1EEEZNS1_14transform_implILb1ES3_S5_PlS7_NS0_8identityIlEEEE10hipError_tT2_T3_mT4_P12ihipStream_tbEUlT_E_NS1_11comp_targetILNS1_3genE0ELNS1_11target_archE4294967295ELNS1_3gpuE0ELNS1_3repE0EEENS1_30default_config_static_selectorELNS0_4arch9wavefront6targetE1EEEvT1_
		.amdhsa_group_segment_fixed_size 0
		.amdhsa_private_segment_fixed_size 0
		.amdhsa_kernarg_size 296
		.amdhsa_user_sgpr_count 2
		.amdhsa_user_sgpr_dispatch_ptr 0
		.amdhsa_user_sgpr_queue_ptr 0
		.amdhsa_user_sgpr_kernarg_segment_ptr 1
		.amdhsa_user_sgpr_dispatch_id 0
		.amdhsa_user_sgpr_kernarg_preload_length 0
		.amdhsa_user_sgpr_kernarg_preload_offset 0
		.amdhsa_user_sgpr_private_segment_size 0
		.amdhsa_uses_dynamic_stack 0
		.amdhsa_enable_private_segment 0
		.amdhsa_system_sgpr_workgroup_id_x 1
		.amdhsa_system_sgpr_workgroup_id_y 0
		.amdhsa_system_sgpr_workgroup_id_z 0
		.amdhsa_system_sgpr_workgroup_info 0
		.amdhsa_system_vgpr_workitem_id 0
		.amdhsa_next_free_vgpr 3
		.amdhsa_next_free_sgpr 12
		.amdhsa_accum_offset 4
		.amdhsa_reserve_vcc 1
		.amdhsa_float_round_mode_32 0
		.amdhsa_float_round_mode_16_64 0
		.amdhsa_float_denorm_mode_32 3
		.amdhsa_float_denorm_mode_16_64 3
		.amdhsa_dx10_clamp 1
		.amdhsa_ieee_mode 1
		.amdhsa_fp16_overflow 0
		.amdhsa_tg_split 0
		.amdhsa_exception_fp_ieee_invalid_op 0
		.amdhsa_exception_fp_denorm_src 0
		.amdhsa_exception_fp_ieee_div_zero 0
		.amdhsa_exception_fp_ieee_overflow 0
		.amdhsa_exception_fp_ieee_underflow 0
		.amdhsa_exception_fp_ieee_inexact 0
		.amdhsa_exception_int_div_zero 0
	.end_amdhsa_kernel
	.section	.text._ZN7rocprim17ROCPRIM_400000_NS6detail17trampoline_kernelINS0_14default_configENS1_25transform_config_selectorIlLb1EEEZNS1_14transform_implILb1ES3_S5_PlS7_NS0_8identityIlEEEE10hipError_tT2_T3_mT4_P12ihipStream_tbEUlT_E_NS1_11comp_targetILNS1_3genE0ELNS1_11target_archE4294967295ELNS1_3gpuE0ELNS1_3repE0EEENS1_30default_config_static_selectorELNS0_4arch9wavefront6targetE1EEEvT1_,"axG",@progbits,_ZN7rocprim17ROCPRIM_400000_NS6detail17trampoline_kernelINS0_14default_configENS1_25transform_config_selectorIlLb1EEEZNS1_14transform_implILb1ES3_S5_PlS7_NS0_8identityIlEEEE10hipError_tT2_T3_mT4_P12ihipStream_tbEUlT_E_NS1_11comp_targetILNS1_3genE0ELNS1_11target_archE4294967295ELNS1_3gpuE0ELNS1_3repE0EEENS1_30default_config_static_selectorELNS0_4arch9wavefront6targetE1EEEvT1_,comdat
.Lfunc_end42:
	.size	_ZN7rocprim17ROCPRIM_400000_NS6detail17trampoline_kernelINS0_14default_configENS1_25transform_config_selectorIlLb1EEEZNS1_14transform_implILb1ES3_S5_PlS7_NS0_8identityIlEEEE10hipError_tT2_T3_mT4_P12ihipStream_tbEUlT_E_NS1_11comp_targetILNS1_3genE0ELNS1_11target_archE4294967295ELNS1_3gpuE0ELNS1_3repE0EEENS1_30default_config_static_selectorELNS0_4arch9wavefront6targetE1EEEvT1_, .Lfunc_end42-_ZN7rocprim17ROCPRIM_400000_NS6detail17trampoline_kernelINS0_14default_configENS1_25transform_config_selectorIlLb1EEEZNS1_14transform_implILb1ES3_S5_PlS7_NS0_8identityIlEEEE10hipError_tT2_T3_mT4_P12ihipStream_tbEUlT_E_NS1_11comp_targetILNS1_3genE0ELNS1_11target_archE4294967295ELNS1_3gpuE0ELNS1_3repE0EEENS1_30default_config_static_selectorELNS0_4arch9wavefront6targetE1EEEvT1_
                                        ; -- End function
	.set _ZN7rocprim17ROCPRIM_400000_NS6detail17trampoline_kernelINS0_14default_configENS1_25transform_config_selectorIlLb1EEEZNS1_14transform_implILb1ES3_S5_PlS7_NS0_8identityIlEEEE10hipError_tT2_T3_mT4_P12ihipStream_tbEUlT_E_NS1_11comp_targetILNS1_3genE0ELNS1_11target_archE4294967295ELNS1_3gpuE0ELNS1_3repE0EEENS1_30default_config_static_selectorELNS0_4arch9wavefront6targetE1EEEvT1_.num_vgpr, 3
	.set _ZN7rocprim17ROCPRIM_400000_NS6detail17trampoline_kernelINS0_14default_configENS1_25transform_config_selectorIlLb1EEEZNS1_14transform_implILb1ES3_S5_PlS7_NS0_8identityIlEEEE10hipError_tT2_T3_mT4_P12ihipStream_tbEUlT_E_NS1_11comp_targetILNS1_3genE0ELNS1_11target_archE4294967295ELNS1_3gpuE0ELNS1_3repE0EEENS1_30default_config_static_selectorELNS0_4arch9wavefront6targetE1EEEvT1_.num_agpr, 0
	.set _ZN7rocprim17ROCPRIM_400000_NS6detail17trampoline_kernelINS0_14default_configENS1_25transform_config_selectorIlLb1EEEZNS1_14transform_implILb1ES3_S5_PlS7_NS0_8identityIlEEEE10hipError_tT2_T3_mT4_P12ihipStream_tbEUlT_E_NS1_11comp_targetILNS1_3genE0ELNS1_11target_archE4294967295ELNS1_3gpuE0ELNS1_3repE0EEENS1_30default_config_static_selectorELNS0_4arch9wavefront6targetE1EEEvT1_.numbered_sgpr, 12
	.set _ZN7rocprim17ROCPRIM_400000_NS6detail17trampoline_kernelINS0_14default_configENS1_25transform_config_selectorIlLb1EEEZNS1_14transform_implILb1ES3_S5_PlS7_NS0_8identityIlEEEE10hipError_tT2_T3_mT4_P12ihipStream_tbEUlT_E_NS1_11comp_targetILNS1_3genE0ELNS1_11target_archE4294967295ELNS1_3gpuE0ELNS1_3repE0EEENS1_30default_config_static_selectorELNS0_4arch9wavefront6targetE1EEEvT1_.num_named_barrier, 0
	.set _ZN7rocprim17ROCPRIM_400000_NS6detail17trampoline_kernelINS0_14default_configENS1_25transform_config_selectorIlLb1EEEZNS1_14transform_implILb1ES3_S5_PlS7_NS0_8identityIlEEEE10hipError_tT2_T3_mT4_P12ihipStream_tbEUlT_E_NS1_11comp_targetILNS1_3genE0ELNS1_11target_archE4294967295ELNS1_3gpuE0ELNS1_3repE0EEENS1_30default_config_static_selectorELNS0_4arch9wavefront6targetE1EEEvT1_.private_seg_size, 0
	.set _ZN7rocprim17ROCPRIM_400000_NS6detail17trampoline_kernelINS0_14default_configENS1_25transform_config_selectorIlLb1EEEZNS1_14transform_implILb1ES3_S5_PlS7_NS0_8identityIlEEEE10hipError_tT2_T3_mT4_P12ihipStream_tbEUlT_E_NS1_11comp_targetILNS1_3genE0ELNS1_11target_archE4294967295ELNS1_3gpuE0ELNS1_3repE0EEENS1_30default_config_static_selectorELNS0_4arch9wavefront6targetE1EEEvT1_.uses_vcc, 1
	.set _ZN7rocprim17ROCPRIM_400000_NS6detail17trampoline_kernelINS0_14default_configENS1_25transform_config_selectorIlLb1EEEZNS1_14transform_implILb1ES3_S5_PlS7_NS0_8identityIlEEEE10hipError_tT2_T3_mT4_P12ihipStream_tbEUlT_E_NS1_11comp_targetILNS1_3genE0ELNS1_11target_archE4294967295ELNS1_3gpuE0ELNS1_3repE0EEENS1_30default_config_static_selectorELNS0_4arch9wavefront6targetE1EEEvT1_.uses_flat_scratch, 0
	.set _ZN7rocprim17ROCPRIM_400000_NS6detail17trampoline_kernelINS0_14default_configENS1_25transform_config_selectorIlLb1EEEZNS1_14transform_implILb1ES3_S5_PlS7_NS0_8identityIlEEEE10hipError_tT2_T3_mT4_P12ihipStream_tbEUlT_E_NS1_11comp_targetILNS1_3genE0ELNS1_11target_archE4294967295ELNS1_3gpuE0ELNS1_3repE0EEENS1_30default_config_static_selectorELNS0_4arch9wavefront6targetE1EEEvT1_.has_dyn_sized_stack, 0
	.set _ZN7rocprim17ROCPRIM_400000_NS6detail17trampoline_kernelINS0_14default_configENS1_25transform_config_selectorIlLb1EEEZNS1_14transform_implILb1ES3_S5_PlS7_NS0_8identityIlEEEE10hipError_tT2_T3_mT4_P12ihipStream_tbEUlT_E_NS1_11comp_targetILNS1_3genE0ELNS1_11target_archE4294967295ELNS1_3gpuE0ELNS1_3repE0EEENS1_30default_config_static_selectorELNS0_4arch9wavefront6targetE1EEEvT1_.has_recursion, 0
	.set _ZN7rocprim17ROCPRIM_400000_NS6detail17trampoline_kernelINS0_14default_configENS1_25transform_config_selectorIlLb1EEEZNS1_14transform_implILb1ES3_S5_PlS7_NS0_8identityIlEEEE10hipError_tT2_T3_mT4_P12ihipStream_tbEUlT_E_NS1_11comp_targetILNS1_3genE0ELNS1_11target_archE4294967295ELNS1_3gpuE0ELNS1_3repE0EEENS1_30default_config_static_selectorELNS0_4arch9wavefront6targetE1EEEvT1_.has_indirect_call, 0
	.section	.AMDGPU.csdata,"",@progbits
; Kernel info:
; codeLenInByte = 148
; TotalNumSgprs: 18
; NumVgprs: 3
; NumAgprs: 0
; TotalNumVgprs: 3
; ScratchSize: 0
; MemoryBound: 0
; FloatMode: 240
; IeeeMode: 1
; LDSByteSize: 0 bytes/workgroup (compile time only)
; SGPRBlocks: 2
; VGPRBlocks: 0
; NumSGPRsForWavesPerEU: 18
; NumVGPRsForWavesPerEU: 3
; AccumOffset: 4
; Occupancy: 8
; WaveLimiterHint : 0
; COMPUTE_PGM_RSRC2:SCRATCH_EN: 0
; COMPUTE_PGM_RSRC2:USER_SGPR: 2
; COMPUTE_PGM_RSRC2:TRAP_HANDLER: 0
; COMPUTE_PGM_RSRC2:TGID_X_EN: 1
; COMPUTE_PGM_RSRC2:TGID_Y_EN: 0
; COMPUTE_PGM_RSRC2:TGID_Z_EN: 0
; COMPUTE_PGM_RSRC2:TIDIG_COMP_CNT: 0
; COMPUTE_PGM_RSRC3_GFX90A:ACCUM_OFFSET: 0
; COMPUTE_PGM_RSRC3_GFX90A:TG_SPLIT: 0
	.section	.text._ZN7rocprim17ROCPRIM_400000_NS6detail17trampoline_kernelINS0_14default_configENS1_25transform_config_selectorIlLb1EEEZNS1_14transform_implILb1ES3_S5_PlS7_NS0_8identityIlEEEE10hipError_tT2_T3_mT4_P12ihipStream_tbEUlT_E_NS1_11comp_targetILNS1_3genE10ELNS1_11target_archE1201ELNS1_3gpuE5ELNS1_3repE0EEENS1_30default_config_static_selectorELNS0_4arch9wavefront6targetE1EEEvT1_,"axG",@progbits,_ZN7rocprim17ROCPRIM_400000_NS6detail17trampoline_kernelINS0_14default_configENS1_25transform_config_selectorIlLb1EEEZNS1_14transform_implILb1ES3_S5_PlS7_NS0_8identityIlEEEE10hipError_tT2_T3_mT4_P12ihipStream_tbEUlT_E_NS1_11comp_targetILNS1_3genE10ELNS1_11target_archE1201ELNS1_3gpuE5ELNS1_3repE0EEENS1_30default_config_static_selectorELNS0_4arch9wavefront6targetE1EEEvT1_,comdat
	.protected	_ZN7rocprim17ROCPRIM_400000_NS6detail17trampoline_kernelINS0_14default_configENS1_25transform_config_selectorIlLb1EEEZNS1_14transform_implILb1ES3_S5_PlS7_NS0_8identityIlEEEE10hipError_tT2_T3_mT4_P12ihipStream_tbEUlT_E_NS1_11comp_targetILNS1_3genE10ELNS1_11target_archE1201ELNS1_3gpuE5ELNS1_3repE0EEENS1_30default_config_static_selectorELNS0_4arch9wavefront6targetE1EEEvT1_ ; -- Begin function _ZN7rocprim17ROCPRIM_400000_NS6detail17trampoline_kernelINS0_14default_configENS1_25transform_config_selectorIlLb1EEEZNS1_14transform_implILb1ES3_S5_PlS7_NS0_8identityIlEEEE10hipError_tT2_T3_mT4_P12ihipStream_tbEUlT_E_NS1_11comp_targetILNS1_3genE10ELNS1_11target_archE1201ELNS1_3gpuE5ELNS1_3repE0EEENS1_30default_config_static_selectorELNS0_4arch9wavefront6targetE1EEEvT1_
	.globl	_ZN7rocprim17ROCPRIM_400000_NS6detail17trampoline_kernelINS0_14default_configENS1_25transform_config_selectorIlLb1EEEZNS1_14transform_implILb1ES3_S5_PlS7_NS0_8identityIlEEEE10hipError_tT2_T3_mT4_P12ihipStream_tbEUlT_E_NS1_11comp_targetILNS1_3genE10ELNS1_11target_archE1201ELNS1_3gpuE5ELNS1_3repE0EEENS1_30default_config_static_selectorELNS0_4arch9wavefront6targetE1EEEvT1_
	.p2align	8
	.type	_ZN7rocprim17ROCPRIM_400000_NS6detail17trampoline_kernelINS0_14default_configENS1_25transform_config_selectorIlLb1EEEZNS1_14transform_implILb1ES3_S5_PlS7_NS0_8identityIlEEEE10hipError_tT2_T3_mT4_P12ihipStream_tbEUlT_E_NS1_11comp_targetILNS1_3genE10ELNS1_11target_archE1201ELNS1_3gpuE5ELNS1_3repE0EEENS1_30default_config_static_selectorELNS0_4arch9wavefront6targetE1EEEvT1_,@function
_ZN7rocprim17ROCPRIM_400000_NS6detail17trampoline_kernelINS0_14default_configENS1_25transform_config_selectorIlLb1EEEZNS1_14transform_implILb1ES3_S5_PlS7_NS0_8identityIlEEEE10hipError_tT2_T3_mT4_P12ihipStream_tbEUlT_E_NS1_11comp_targetILNS1_3genE10ELNS1_11target_archE1201ELNS1_3gpuE5ELNS1_3repE0EEENS1_30default_config_static_selectorELNS0_4arch9wavefront6targetE1EEEvT1_: ; @_ZN7rocprim17ROCPRIM_400000_NS6detail17trampoline_kernelINS0_14default_configENS1_25transform_config_selectorIlLb1EEEZNS1_14transform_implILb1ES3_S5_PlS7_NS0_8identityIlEEEE10hipError_tT2_T3_mT4_P12ihipStream_tbEUlT_E_NS1_11comp_targetILNS1_3genE10ELNS1_11target_archE1201ELNS1_3gpuE5ELNS1_3repE0EEENS1_30default_config_static_selectorELNS0_4arch9wavefront6targetE1EEEvT1_
; %bb.0:
	.section	.rodata,"a",@progbits
	.p2align	6, 0x0
	.amdhsa_kernel _ZN7rocprim17ROCPRIM_400000_NS6detail17trampoline_kernelINS0_14default_configENS1_25transform_config_selectorIlLb1EEEZNS1_14transform_implILb1ES3_S5_PlS7_NS0_8identityIlEEEE10hipError_tT2_T3_mT4_P12ihipStream_tbEUlT_E_NS1_11comp_targetILNS1_3genE10ELNS1_11target_archE1201ELNS1_3gpuE5ELNS1_3repE0EEENS1_30default_config_static_selectorELNS0_4arch9wavefront6targetE1EEEvT1_
		.amdhsa_group_segment_fixed_size 0
		.amdhsa_private_segment_fixed_size 0
		.amdhsa_kernarg_size 40
		.amdhsa_user_sgpr_count 2
		.amdhsa_user_sgpr_dispatch_ptr 0
		.amdhsa_user_sgpr_queue_ptr 0
		.amdhsa_user_sgpr_kernarg_segment_ptr 1
		.amdhsa_user_sgpr_dispatch_id 0
		.amdhsa_user_sgpr_kernarg_preload_length 0
		.amdhsa_user_sgpr_kernarg_preload_offset 0
		.amdhsa_user_sgpr_private_segment_size 0
		.amdhsa_uses_dynamic_stack 0
		.amdhsa_enable_private_segment 0
		.amdhsa_system_sgpr_workgroup_id_x 1
		.amdhsa_system_sgpr_workgroup_id_y 0
		.amdhsa_system_sgpr_workgroup_id_z 0
		.amdhsa_system_sgpr_workgroup_info 0
		.amdhsa_system_vgpr_workitem_id 0
		.amdhsa_next_free_vgpr 1
		.amdhsa_next_free_sgpr 0
		.amdhsa_accum_offset 4
		.amdhsa_reserve_vcc 0
		.amdhsa_float_round_mode_32 0
		.amdhsa_float_round_mode_16_64 0
		.amdhsa_float_denorm_mode_32 3
		.amdhsa_float_denorm_mode_16_64 3
		.amdhsa_dx10_clamp 1
		.amdhsa_ieee_mode 1
		.amdhsa_fp16_overflow 0
		.amdhsa_tg_split 0
		.amdhsa_exception_fp_ieee_invalid_op 0
		.amdhsa_exception_fp_denorm_src 0
		.amdhsa_exception_fp_ieee_div_zero 0
		.amdhsa_exception_fp_ieee_overflow 0
		.amdhsa_exception_fp_ieee_underflow 0
		.amdhsa_exception_fp_ieee_inexact 0
		.amdhsa_exception_int_div_zero 0
	.end_amdhsa_kernel
	.section	.text._ZN7rocprim17ROCPRIM_400000_NS6detail17trampoline_kernelINS0_14default_configENS1_25transform_config_selectorIlLb1EEEZNS1_14transform_implILb1ES3_S5_PlS7_NS0_8identityIlEEEE10hipError_tT2_T3_mT4_P12ihipStream_tbEUlT_E_NS1_11comp_targetILNS1_3genE10ELNS1_11target_archE1201ELNS1_3gpuE5ELNS1_3repE0EEENS1_30default_config_static_selectorELNS0_4arch9wavefront6targetE1EEEvT1_,"axG",@progbits,_ZN7rocprim17ROCPRIM_400000_NS6detail17trampoline_kernelINS0_14default_configENS1_25transform_config_selectorIlLb1EEEZNS1_14transform_implILb1ES3_S5_PlS7_NS0_8identityIlEEEE10hipError_tT2_T3_mT4_P12ihipStream_tbEUlT_E_NS1_11comp_targetILNS1_3genE10ELNS1_11target_archE1201ELNS1_3gpuE5ELNS1_3repE0EEENS1_30default_config_static_selectorELNS0_4arch9wavefront6targetE1EEEvT1_,comdat
.Lfunc_end43:
	.size	_ZN7rocprim17ROCPRIM_400000_NS6detail17trampoline_kernelINS0_14default_configENS1_25transform_config_selectorIlLb1EEEZNS1_14transform_implILb1ES3_S5_PlS7_NS0_8identityIlEEEE10hipError_tT2_T3_mT4_P12ihipStream_tbEUlT_E_NS1_11comp_targetILNS1_3genE10ELNS1_11target_archE1201ELNS1_3gpuE5ELNS1_3repE0EEENS1_30default_config_static_selectorELNS0_4arch9wavefront6targetE1EEEvT1_, .Lfunc_end43-_ZN7rocprim17ROCPRIM_400000_NS6detail17trampoline_kernelINS0_14default_configENS1_25transform_config_selectorIlLb1EEEZNS1_14transform_implILb1ES3_S5_PlS7_NS0_8identityIlEEEE10hipError_tT2_T3_mT4_P12ihipStream_tbEUlT_E_NS1_11comp_targetILNS1_3genE10ELNS1_11target_archE1201ELNS1_3gpuE5ELNS1_3repE0EEENS1_30default_config_static_selectorELNS0_4arch9wavefront6targetE1EEEvT1_
                                        ; -- End function
	.set _ZN7rocprim17ROCPRIM_400000_NS6detail17trampoline_kernelINS0_14default_configENS1_25transform_config_selectorIlLb1EEEZNS1_14transform_implILb1ES3_S5_PlS7_NS0_8identityIlEEEE10hipError_tT2_T3_mT4_P12ihipStream_tbEUlT_E_NS1_11comp_targetILNS1_3genE10ELNS1_11target_archE1201ELNS1_3gpuE5ELNS1_3repE0EEENS1_30default_config_static_selectorELNS0_4arch9wavefront6targetE1EEEvT1_.num_vgpr, 0
	.set _ZN7rocprim17ROCPRIM_400000_NS6detail17trampoline_kernelINS0_14default_configENS1_25transform_config_selectorIlLb1EEEZNS1_14transform_implILb1ES3_S5_PlS7_NS0_8identityIlEEEE10hipError_tT2_T3_mT4_P12ihipStream_tbEUlT_E_NS1_11comp_targetILNS1_3genE10ELNS1_11target_archE1201ELNS1_3gpuE5ELNS1_3repE0EEENS1_30default_config_static_selectorELNS0_4arch9wavefront6targetE1EEEvT1_.num_agpr, 0
	.set _ZN7rocprim17ROCPRIM_400000_NS6detail17trampoline_kernelINS0_14default_configENS1_25transform_config_selectorIlLb1EEEZNS1_14transform_implILb1ES3_S5_PlS7_NS0_8identityIlEEEE10hipError_tT2_T3_mT4_P12ihipStream_tbEUlT_E_NS1_11comp_targetILNS1_3genE10ELNS1_11target_archE1201ELNS1_3gpuE5ELNS1_3repE0EEENS1_30default_config_static_selectorELNS0_4arch9wavefront6targetE1EEEvT1_.numbered_sgpr, 0
	.set _ZN7rocprim17ROCPRIM_400000_NS6detail17trampoline_kernelINS0_14default_configENS1_25transform_config_selectorIlLb1EEEZNS1_14transform_implILb1ES3_S5_PlS7_NS0_8identityIlEEEE10hipError_tT2_T3_mT4_P12ihipStream_tbEUlT_E_NS1_11comp_targetILNS1_3genE10ELNS1_11target_archE1201ELNS1_3gpuE5ELNS1_3repE0EEENS1_30default_config_static_selectorELNS0_4arch9wavefront6targetE1EEEvT1_.num_named_barrier, 0
	.set _ZN7rocprim17ROCPRIM_400000_NS6detail17trampoline_kernelINS0_14default_configENS1_25transform_config_selectorIlLb1EEEZNS1_14transform_implILb1ES3_S5_PlS7_NS0_8identityIlEEEE10hipError_tT2_T3_mT4_P12ihipStream_tbEUlT_E_NS1_11comp_targetILNS1_3genE10ELNS1_11target_archE1201ELNS1_3gpuE5ELNS1_3repE0EEENS1_30default_config_static_selectorELNS0_4arch9wavefront6targetE1EEEvT1_.private_seg_size, 0
	.set _ZN7rocprim17ROCPRIM_400000_NS6detail17trampoline_kernelINS0_14default_configENS1_25transform_config_selectorIlLb1EEEZNS1_14transform_implILb1ES3_S5_PlS7_NS0_8identityIlEEEE10hipError_tT2_T3_mT4_P12ihipStream_tbEUlT_E_NS1_11comp_targetILNS1_3genE10ELNS1_11target_archE1201ELNS1_3gpuE5ELNS1_3repE0EEENS1_30default_config_static_selectorELNS0_4arch9wavefront6targetE1EEEvT1_.uses_vcc, 0
	.set _ZN7rocprim17ROCPRIM_400000_NS6detail17trampoline_kernelINS0_14default_configENS1_25transform_config_selectorIlLb1EEEZNS1_14transform_implILb1ES3_S5_PlS7_NS0_8identityIlEEEE10hipError_tT2_T3_mT4_P12ihipStream_tbEUlT_E_NS1_11comp_targetILNS1_3genE10ELNS1_11target_archE1201ELNS1_3gpuE5ELNS1_3repE0EEENS1_30default_config_static_selectorELNS0_4arch9wavefront6targetE1EEEvT1_.uses_flat_scratch, 0
	.set _ZN7rocprim17ROCPRIM_400000_NS6detail17trampoline_kernelINS0_14default_configENS1_25transform_config_selectorIlLb1EEEZNS1_14transform_implILb1ES3_S5_PlS7_NS0_8identityIlEEEE10hipError_tT2_T3_mT4_P12ihipStream_tbEUlT_E_NS1_11comp_targetILNS1_3genE10ELNS1_11target_archE1201ELNS1_3gpuE5ELNS1_3repE0EEENS1_30default_config_static_selectorELNS0_4arch9wavefront6targetE1EEEvT1_.has_dyn_sized_stack, 0
	.set _ZN7rocprim17ROCPRIM_400000_NS6detail17trampoline_kernelINS0_14default_configENS1_25transform_config_selectorIlLb1EEEZNS1_14transform_implILb1ES3_S5_PlS7_NS0_8identityIlEEEE10hipError_tT2_T3_mT4_P12ihipStream_tbEUlT_E_NS1_11comp_targetILNS1_3genE10ELNS1_11target_archE1201ELNS1_3gpuE5ELNS1_3repE0EEENS1_30default_config_static_selectorELNS0_4arch9wavefront6targetE1EEEvT1_.has_recursion, 0
	.set _ZN7rocprim17ROCPRIM_400000_NS6detail17trampoline_kernelINS0_14default_configENS1_25transform_config_selectorIlLb1EEEZNS1_14transform_implILb1ES3_S5_PlS7_NS0_8identityIlEEEE10hipError_tT2_T3_mT4_P12ihipStream_tbEUlT_E_NS1_11comp_targetILNS1_3genE10ELNS1_11target_archE1201ELNS1_3gpuE5ELNS1_3repE0EEENS1_30default_config_static_selectorELNS0_4arch9wavefront6targetE1EEEvT1_.has_indirect_call, 0
	.section	.AMDGPU.csdata,"",@progbits
; Kernel info:
; codeLenInByte = 0
; TotalNumSgprs: 6
; NumVgprs: 0
; NumAgprs: 0
; TotalNumVgprs: 0
; ScratchSize: 0
; MemoryBound: 0
; FloatMode: 240
; IeeeMode: 1
; LDSByteSize: 0 bytes/workgroup (compile time only)
; SGPRBlocks: 0
; VGPRBlocks: 0
; NumSGPRsForWavesPerEU: 6
; NumVGPRsForWavesPerEU: 1
; AccumOffset: 4
; Occupancy: 8
; WaveLimiterHint : 0
; COMPUTE_PGM_RSRC2:SCRATCH_EN: 0
; COMPUTE_PGM_RSRC2:USER_SGPR: 2
; COMPUTE_PGM_RSRC2:TRAP_HANDLER: 0
; COMPUTE_PGM_RSRC2:TGID_X_EN: 1
; COMPUTE_PGM_RSRC2:TGID_Y_EN: 0
; COMPUTE_PGM_RSRC2:TGID_Z_EN: 0
; COMPUTE_PGM_RSRC2:TIDIG_COMP_CNT: 0
; COMPUTE_PGM_RSRC3_GFX90A:ACCUM_OFFSET: 0
; COMPUTE_PGM_RSRC3_GFX90A:TG_SPLIT: 0
	.section	.text._ZN7rocprim17ROCPRIM_400000_NS6detail17trampoline_kernelINS0_14default_configENS1_25transform_config_selectorIlLb1EEEZNS1_14transform_implILb1ES3_S5_PlS7_NS0_8identityIlEEEE10hipError_tT2_T3_mT4_P12ihipStream_tbEUlT_E_NS1_11comp_targetILNS1_3genE5ELNS1_11target_archE942ELNS1_3gpuE9ELNS1_3repE0EEENS1_30default_config_static_selectorELNS0_4arch9wavefront6targetE1EEEvT1_,"axG",@progbits,_ZN7rocprim17ROCPRIM_400000_NS6detail17trampoline_kernelINS0_14default_configENS1_25transform_config_selectorIlLb1EEEZNS1_14transform_implILb1ES3_S5_PlS7_NS0_8identityIlEEEE10hipError_tT2_T3_mT4_P12ihipStream_tbEUlT_E_NS1_11comp_targetILNS1_3genE5ELNS1_11target_archE942ELNS1_3gpuE9ELNS1_3repE0EEENS1_30default_config_static_selectorELNS0_4arch9wavefront6targetE1EEEvT1_,comdat
	.protected	_ZN7rocprim17ROCPRIM_400000_NS6detail17trampoline_kernelINS0_14default_configENS1_25transform_config_selectorIlLb1EEEZNS1_14transform_implILb1ES3_S5_PlS7_NS0_8identityIlEEEE10hipError_tT2_T3_mT4_P12ihipStream_tbEUlT_E_NS1_11comp_targetILNS1_3genE5ELNS1_11target_archE942ELNS1_3gpuE9ELNS1_3repE0EEENS1_30default_config_static_selectorELNS0_4arch9wavefront6targetE1EEEvT1_ ; -- Begin function _ZN7rocprim17ROCPRIM_400000_NS6detail17trampoline_kernelINS0_14default_configENS1_25transform_config_selectorIlLb1EEEZNS1_14transform_implILb1ES3_S5_PlS7_NS0_8identityIlEEEE10hipError_tT2_T3_mT4_P12ihipStream_tbEUlT_E_NS1_11comp_targetILNS1_3genE5ELNS1_11target_archE942ELNS1_3gpuE9ELNS1_3repE0EEENS1_30default_config_static_selectorELNS0_4arch9wavefront6targetE1EEEvT1_
	.globl	_ZN7rocprim17ROCPRIM_400000_NS6detail17trampoline_kernelINS0_14default_configENS1_25transform_config_selectorIlLb1EEEZNS1_14transform_implILb1ES3_S5_PlS7_NS0_8identityIlEEEE10hipError_tT2_T3_mT4_P12ihipStream_tbEUlT_E_NS1_11comp_targetILNS1_3genE5ELNS1_11target_archE942ELNS1_3gpuE9ELNS1_3repE0EEENS1_30default_config_static_selectorELNS0_4arch9wavefront6targetE1EEEvT1_
	.p2align	8
	.type	_ZN7rocprim17ROCPRIM_400000_NS6detail17trampoline_kernelINS0_14default_configENS1_25transform_config_selectorIlLb1EEEZNS1_14transform_implILb1ES3_S5_PlS7_NS0_8identityIlEEEE10hipError_tT2_T3_mT4_P12ihipStream_tbEUlT_E_NS1_11comp_targetILNS1_3genE5ELNS1_11target_archE942ELNS1_3gpuE9ELNS1_3repE0EEENS1_30default_config_static_selectorELNS0_4arch9wavefront6targetE1EEEvT1_,@function
_ZN7rocprim17ROCPRIM_400000_NS6detail17trampoline_kernelINS0_14default_configENS1_25transform_config_selectorIlLb1EEEZNS1_14transform_implILb1ES3_S5_PlS7_NS0_8identityIlEEEE10hipError_tT2_T3_mT4_P12ihipStream_tbEUlT_E_NS1_11comp_targetILNS1_3genE5ELNS1_11target_archE942ELNS1_3gpuE9ELNS1_3repE0EEENS1_30default_config_static_selectorELNS0_4arch9wavefront6targetE1EEEvT1_: ; @_ZN7rocprim17ROCPRIM_400000_NS6detail17trampoline_kernelINS0_14default_configENS1_25transform_config_selectorIlLb1EEEZNS1_14transform_implILb1ES3_S5_PlS7_NS0_8identityIlEEEE10hipError_tT2_T3_mT4_P12ihipStream_tbEUlT_E_NS1_11comp_targetILNS1_3genE5ELNS1_11target_archE942ELNS1_3gpuE9ELNS1_3repE0EEENS1_30default_config_static_selectorELNS0_4arch9wavefront6targetE1EEEvT1_
; %bb.0:
	.section	.rodata,"a",@progbits
	.p2align	6, 0x0
	.amdhsa_kernel _ZN7rocprim17ROCPRIM_400000_NS6detail17trampoline_kernelINS0_14default_configENS1_25transform_config_selectorIlLb1EEEZNS1_14transform_implILb1ES3_S5_PlS7_NS0_8identityIlEEEE10hipError_tT2_T3_mT4_P12ihipStream_tbEUlT_E_NS1_11comp_targetILNS1_3genE5ELNS1_11target_archE942ELNS1_3gpuE9ELNS1_3repE0EEENS1_30default_config_static_selectorELNS0_4arch9wavefront6targetE1EEEvT1_
		.amdhsa_group_segment_fixed_size 0
		.amdhsa_private_segment_fixed_size 0
		.amdhsa_kernarg_size 40
		.amdhsa_user_sgpr_count 2
		.amdhsa_user_sgpr_dispatch_ptr 0
		.amdhsa_user_sgpr_queue_ptr 0
		.amdhsa_user_sgpr_kernarg_segment_ptr 1
		.amdhsa_user_sgpr_dispatch_id 0
		.amdhsa_user_sgpr_kernarg_preload_length 0
		.amdhsa_user_sgpr_kernarg_preload_offset 0
		.amdhsa_user_sgpr_private_segment_size 0
		.amdhsa_uses_dynamic_stack 0
		.amdhsa_enable_private_segment 0
		.amdhsa_system_sgpr_workgroup_id_x 1
		.amdhsa_system_sgpr_workgroup_id_y 0
		.amdhsa_system_sgpr_workgroup_id_z 0
		.amdhsa_system_sgpr_workgroup_info 0
		.amdhsa_system_vgpr_workitem_id 0
		.amdhsa_next_free_vgpr 1
		.amdhsa_next_free_sgpr 0
		.amdhsa_accum_offset 4
		.amdhsa_reserve_vcc 0
		.amdhsa_float_round_mode_32 0
		.amdhsa_float_round_mode_16_64 0
		.amdhsa_float_denorm_mode_32 3
		.amdhsa_float_denorm_mode_16_64 3
		.amdhsa_dx10_clamp 1
		.amdhsa_ieee_mode 1
		.amdhsa_fp16_overflow 0
		.amdhsa_tg_split 0
		.amdhsa_exception_fp_ieee_invalid_op 0
		.amdhsa_exception_fp_denorm_src 0
		.amdhsa_exception_fp_ieee_div_zero 0
		.amdhsa_exception_fp_ieee_overflow 0
		.amdhsa_exception_fp_ieee_underflow 0
		.amdhsa_exception_fp_ieee_inexact 0
		.amdhsa_exception_int_div_zero 0
	.end_amdhsa_kernel
	.section	.text._ZN7rocprim17ROCPRIM_400000_NS6detail17trampoline_kernelINS0_14default_configENS1_25transform_config_selectorIlLb1EEEZNS1_14transform_implILb1ES3_S5_PlS7_NS0_8identityIlEEEE10hipError_tT2_T3_mT4_P12ihipStream_tbEUlT_E_NS1_11comp_targetILNS1_3genE5ELNS1_11target_archE942ELNS1_3gpuE9ELNS1_3repE0EEENS1_30default_config_static_selectorELNS0_4arch9wavefront6targetE1EEEvT1_,"axG",@progbits,_ZN7rocprim17ROCPRIM_400000_NS6detail17trampoline_kernelINS0_14default_configENS1_25transform_config_selectorIlLb1EEEZNS1_14transform_implILb1ES3_S5_PlS7_NS0_8identityIlEEEE10hipError_tT2_T3_mT4_P12ihipStream_tbEUlT_E_NS1_11comp_targetILNS1_3genE5ELNS1_11target_archE942ELNS1_3gpuE9ELNS1_3repE0EEENS1_30default_config_static_selectorELNS0_4arch9wavefront6targetE1EEEvT1_,comdat
.Lfunc_end44:
	.size	_ZN7rocprim17ROCPRIM_400000_NS6detail17trampoline_kernelINS0_14default_configENS1_25transform_config_selectorIlLb1EEEZNS1_14transform_implILb1ES3_S5_PlS7_NS0_8identityIlEEEE10hipError_tT2_T3_mT4_P12ihipStream_tbEUlT_E_NS1_11comp_targetILNS1_3genE5ELNS1_11target_archE942ELNS1_3gpuE9ELNS1_3repE0EEENS1_30default_config_static_selectorELNS0_4arch9wavefront6targetE1EEEvT1_, .Lfunc_end44-_ZN7rocprim17ROCPRIM_400000_NS6detail17trampoline_kernelINS0_14default_configENS1_25transform_config_selectorIlLb1EEEZNS1_14transform_implILb1ES3_S5_PlS7_NS0_8identityIlEEEE10hipError_tT2_T3_mT4_P12ihipStream_tbEUlT_E_NS1_11comp_targetILNS1_3genE5ELNS1_11target_archE942ELNS1_3gpuE9ELNS1_3repE0EEENS1_30default_config_static_selectorELNS0_4arch9wavefront6targetE1EEEvT1_
                                        ; -- End function
	.set _ZN7rocprim17ROCPRIM_400000_NS6detail17trampoline_kernelINS0_14default_configENS1_25transform_config_selectorIlLb1EEEZNS1_14transform_implILb1ES3_S5_PlS7_NS0_8identityIlEEEE10hipError_tT2_T3_mT4_P12ihipStream_tbEUlT_E_NS1_11comp_targetILNS1_3genE5ELNS1_11target_archE942ELNS1_3gpuE9ELNS1_3repE0EEENS1_30default_config_static_selectorELNS0_4arch9wavefront6targetE1EEEvT1_.num_vgpr, 0
	.set _ZN7rocprim17ROCPRIM_400000_NS6detail17trampoline_kernelINS0_14default_configENS1_25transform_config_selectorIlLb1EEEZNS1_14transform_implILb1ES3_S5_PlS7_NS0_8identityIlEEEE10hipError_tT2_T3_mT4_P12ihipStream_tbEUlT_E_NS1_11comp_targetILNS1_3genE5ELNS1_11target_archE942ELNS1_3gpuE9ELNS1_3repE0EEENS1_30default_config_static_selectorELNS0_4arch9wavefront6targetE1EEEvT1_.num_agpr, 0
	.set _ZN7rocprim17ROCPRIM_400000_NS6detail17trampoline_kernelINS0_14default_configENS1_25transform_config_selectorIlLb1EEEZNS1_14transform_implILb1ES3_S5_PlS7_NS0_8identityIlEEEE10hipError_tT2_T3_mT4_P12ihipStream_tbEUlT_E_NS1_11comp_targetILNS1_3genE5ELNS1_11target_archE942ELNS1_3gpuE9ELNS1_3repE0EEENS1_30default_config_static_selectorELNS0_4arch9wavefront6targetE1EEEvT1_.numbered_sgpr, 0
	.set _ZN7rocprim17ROCPRIM_400000_NS6detail17trampoline_kernelINS0_14default_configENS1_25transform_config_selectorIlLb1EEEZNS1_14transform_implILb1ES3_S5_PlS7_NS0_8identityIlEEEE10hipError_tT2_T3_mT4_P12ihipStream_tbEUlT_E_NS1_11comp_targetILNS1_3genE5ELNS1_11target_archE942ELNS1_3gpuE9ELNS1_3repE0EEENS1_30default_config_static_selectorELNS0_4arch9wavefront6targetE1EEEvT1_.num_named_barrier, 0
	.set _ZN7rocprim17ROCPRIM_400000_NS6detail17trampoline_kernelINS0_14default_configENS1_25transform_config_selectorIlLb1EEEZNS1_14transform_implILb1ES3_S5_PlS7_NS0_8identityIlEEEE10hipError_tT2_T3_mT4_P12ihipStream_tbEUlT_E_NS1_11comp_targetILNS1_3genE5ELNS1_11target_archE942ELNS1_3gpuE9ELNS1_3repE0EEENS1_30default_config_static_selectorELNS0_4arch9wavefront6targetE1EEEvT1_.private_seg_size, 0
	.set _ZN7rocprim17ROCPRIM_400000_NS6detail17trampoline_kernelINS0_14default_configENS1_25transform_config_selectorIlLb1EEEZNS1_14transform_implILb1ES3_S5_PlS7_NS0_8identityIlEEEE10hipError_tT2_T3_mT4_P12ihipStream_tbEUlT_E_NS1_11comp_targetILNS1_3genE5ELNS1_11target_archE942ELNS1_3gpuE9ELNS1_3repE0EEENS1_30default_config_static_selectorELNS0_4arch9wavefront6targetE1EEEvT1_.uses_vcc, 0
	.set _ZN7rocprim17ROCPRIM_400000_NS6detail17trampoline_kernelINS0_14default_configENS1_25transform_config_selectorIlLb1EEEZNS1_14transform_implILb1ES3_S5_PlS7_NS0_8identityIlEEEE10hipError_tT2_T3_mT4_P12ihipStream_tbEUlT_E_NS1_11comp_targetILNS1_3genE5ELNS1_11target_archE942ELNS1_3gpuE9ELNS1_3repE0EEENS1_30default_config_static_selectorELNS0_4arch9wavefront6targetE1EEEvT1_.uses_flat_scratch, 0
	.set _ZN7rocprim17ROCPRIM_400000_NS6detail17trampoline_kernelINS0_14default_configENS1_25transform_config_selectorIlLb1EEEZNS1_14transform_implILb1ES3_S5_PlS7_NS0_8identityIlEEEE10hipError_tT2_T3_mT4_P12ihipStream_tbEUlT_E_NS1_11comp_targetILNS1_3genE5ELNS1_11target_archE942ELNS1_3gpuE9ELNS1_3repE0EEENS1_30default_config_static_selectorELNS0_4arch9wavefront6targetE1EEEvT1_.has_dyn_sized_stack, 0
	.set _ZN7rocprim17ROCPRIM_400000_NS6detail17trampoline_kernelINS0_14default_configENS1_25transform_config_selectorIlLb1EEEZNS1_14transform_implILb1ES3_S5_PlS7_NS0_8identityIlEEEE10hipError_tT2_T3_mT4_P12ihipStream_tbEUlT_E_NS1_11comp_targetILNS1_3genE5ELNS1_11target_archE942ELNS1_3gpuE9ELNS1_3repE0EEENS1_30default_config_static_selectorELNS0_4arch9wavefront6targetE1EEEvT1_.has_recursion, 0
	.set _ZN7rocprim17ROCPRIM_400000_NS6detail17trampoline_kernelINS0_14default_configENS1_25transform_config_selectorIlLb1EEEZNS1_14transform_implILb1ES3_S5_PlS7_NS0_8identityIlEEEE10hipError_tT2_T3_mT4_P12ihipStream_tbEUlT_E_NS1_11comp_targetILNS1_3genE5ELNS1_11target_archE942ELNS1_3gpuE9ELNS1_3repE0EEENS1_30default_config_static_selectorELNS0_4arch9wavefront6targetE1EEEvT1_.has_indirect_call, 0
	.section	.AMDGPU.csdata,"",@progbits
; Kernel info:
; codeLenInByte = 0
; TotalNumSgprs: 6
; NumVgprs: 0
; NumAgprs: 0
; TotalNumVgprs: 0
; ScratchSize: 0
; MemoryBound: 0
; FloatMode: 240
; IeeeMode: 1
; LDSByteSize: 0 bytes/workgroup (compile time only)
; SGPRBlocks: 0
; VGPRBlocks: 0
; NumSGPRsForWavesPerEU: 6
; NumVGPRsForWavesPerEU: 1
; AccumOffset: 4
; Occupancy: 8
; WaveLimiterHint : 0
; COMPUTE_PGM_RSRC2:SCRATCH_EN: 0
; COMPUTE_PGM_RSRC2:USER_SGPR: 2
; COMPUTE_PGM_RSRC2:TRAP_HANDLER: 0
; COMPUTE_PGM_RSRC2:TGID_X_EN: 1
; COMPUTE_PGM_RSRC2:TGID_Y_EN: 0
; COMPUTE_PGM_RSRC2:TGID_Z_EN: 0
; COMPUTE_PGM_RSRC2:TIDIG_COMP_CNT: 0
; COMPUTE_PGM_RSRC3_GFX90A:ACCUM_OFFSET: 0
; COMPUTE_PGM_RSRC3_GFX90A:TG_SPLIT: 0
	.section	.text._ZN7rocprim17ROCPRIM_400000_NS6detail17trampoline_kernelINS0_14default_configENS1_25transform_config_selectorIlLb1EEEZNS1_14transform_implILb1ES3_S5_PlS7_NS0_8identityIlEEEE10hipError_tT2_T3_mT4_P12ihipStream_tbEUlT_E_NS1_11comp_targetILNS1_3genE4ELNS1_11target_archE910ELNS1_3gpuE8ELNS1_3repE0EEENS1_30default_config_static_selectorELNS0_4arch9wavefront6targetE1EEEvT1_,"axG",@progbits,_ZN7rocprim17ROCPRIM_400000_NS6detail17trampoline_kernelINS0_14default_configENS1_25transform_config_selectorIlLb1EEEZNS1_14transform_implILb1ES3_S5_PlS7_NS0_8identityIlEEEE10hipError_tT2_T3_mT4_P12ihipStream_tbEUlT_E_NS1_11comp_targetILNS1_3genE4ELNS1_11target_archE910ELNS1_3gpuE8ELNS1_3repE0EEENS1_30default_config_static_selectorELNS0_4arch9wavefront6targetE1EEEvT1_,comdat
	.protected	_ZN7rocprim17ROCPRIM_400000_NS6detail17trampoline_kernelINS0_14default_configENS1_25transform_config_selectorIlLb1EEEZNS1_14transform_implILb1ES3_S5_PlS7_NS0_8identityIlEEEE10hipError_tT2_T3_mT4_P12ihipStream_tbEUlT_E_NS1_11comp_targetILNS1_3genE4ELNS1_11target_archE910ELNS1_3gpuE8ELNS1_3repE0EEENS1_30default_config_static_selectorELNS0_4arch9wavefront6targetE1EEEvT1_ ; -- Begin function _ZN7rocprim17ROCPRIM_400000_NS6detail17trampoline_kernelINS0_14default_configENS1_25transform_config_selectorIlLb1EEEZNS1_14transform_implILb1ES3_S5_PlS7_NS0_8identityIlEEEE10hipError_tT2_T3_mT4_P12ihipStream_tbEUlT_E_NS1_11comp_targetILNS1_3genE4ELNS1_11target_archE910ELNS1_3gpuE8ELNS1_3repE0EEENS1_30default_config_static_selectorELNS0_4arch9wavefront6targetE1EEEvT1_
	.globl	_ZN7rocprim17ROCPRIM_400000_NS6detail17trampoline_kernelINS0_14default_configENS1_25transform_config_selectorIlLb1EEEZNS1_14transform_implILb1ES3_S5_PlS7_NS0_8identityIlEEEE10hipError_tT2_T3_mT4_P12ihipStream_tbEUlT_E_NS1_11comp_targetILNS1_3genE4ELNS1_11target_archE910ELNS1_3gpuE8ELNS1_3repE0EEENS1_30default_config_static_selectorELNS0_4arch9wavefront6targetE1EEEvT1_
	.p2align	8
	.type	_ZN7rocprim17ROCPRIM_400000_NS6detail17trampoline_kernelINS0_14default_configENS1_25transform_config_selectorIlLb1EEEZNS1_14transform_implILb1ES3_S5_PlS7_NS0_8identityIlEEEE10hipError_tT2_T3_mT4_P12ihipStream_tbEUlT_E_NS1_11comp_targetILNS1_3genE4ELNS1_11target_archE910ELNS1_3gpuE8ELNS1_3repE0EEENS1_30default_config_static_selectorELNS0_4arch9wavefront6targetE1EEEvT1_,@function
_ZN7rocprim17ROCPRIM_400000_NS6detail17trampoline_kernelINS0_14default_configENS1_25transform_config_selectorIlLb1EEEZNS1_14transform_implILb1ES3_S5_PlS7_NS0_8identityIlEEEE10hipError_tT2_T3_mT4_P12ihipStream_tbEUlT_E_NS1_11comp_targetILNS1_3genE4ELNS1_11target_archE910ELNS1_3gpuE8ELNS1_3repE0EEENS1_30default_config_static_selectorELNS0_4arch9wavefront6targetE1EEEvT1_: ; @_ZN7rocprim17ROCPRIM_400000_NS6detail17trampoline_kernelINS0_14default_configENS1_25transform_config_selectorIlLb1EEEZNS1_14transform_implILb1ES3_S5_PlS7_NS0_8identityIlEEEE10hipError_tT2_T3_mT4_P12ihipStream_tbEUlT_E_NS1_11comp_targetILNS1_3genE4ELNS1_11target_archE910ELNS1_3gpuE8ELNS1_3repE0EEENS1_30default_config_static_selectorELNS0_4arch9wavefront6targetE1EEEvT1_
; %bb.0:
	.section	.rodata,"a",@progbits
	.p2align	6, 0x0
	.amdhsa_kernel _ZN7rocprim17ROCPRIM_400000_NS6detail17trampoline_kernelINS0_14default_configENS1_25transform_config_selectorIlLb1EEEZNS1_14transform_implILb1ES3_S5_PlS7_NS0_8identityIlEEEE10hipError_tT2_T3_mT4_P12ihipStream_tbEUlT_E_NS1_11comp_targetILNS1_3genE4ELNS1_11target_archE910ELNS1_3gpuE8ELNS1_3repE0EEENS1_30default_config_static_selectorELNS0_4arch9wavefront6targetE1EEEvT1_
		.amdhsa_group_segment_fixed_size 0
		.amdhsa_private_segment_fixed_size 0
		.amdhsa_kernarg_size 40
		.amdhsa_user_sgpr_count 2
		.amdhsa_user_sgpr_dispatch_ptr 0
		.amdhsa_user_sgpr_queue_ptr 0
		.amdhsa_user_sgpr_kernarg_segment_ptr 1
		.amdhsa_user_sgpr_dispatch_id 0
		.amdhsa_user_sgpr_kernarg_preload_length 0
		.amdhsa_user_sgpr_kernarg_preload_offset 0
		.amdhsa_user_sgpr_private_segment_size 0
		.amdhsa_uses_dynamic_stack 0
		.amdhsa_enable_private_segment 0
		.amdhsa_system_sgpr_workgroup_id_x 1
		.amdhsa_system_sgpr_workgroup_id_y 0
		.amdhsa_system_sgpr_workgroup_id_z 0
		.amdhsa_system_sgpr_workgroup_info 0
		.amdhsa_system_vgpr_workitem_id 0
		.amdhsa_next_free_vgpr 1
		.amdhsa_next_free_sgpr 0
		.amdhsa_accum_offset 4
		.amdhsa_reserve_vcc 0
		.amdhsa_float_round_mode_32 0
		.amdhsa_float_round_mode_16_64 0
		.amdhsa_float_denorm_mode_32 3
		.amdhsa_float_denorm_mode_16_64 3
		.amdhsa_dx10_clamp 1
		.amdhsa_ieee_mode 1
		.amdhsa_fp16_overflow 0
		.amdhsa_tg_split 0
		.amdhsa_exception_fp_ieee_invalid_op 0
		.amdhsa_exception_fp_denorm_src 0
		.amdhsa_exception_fp_ieee_div_zero 0
		.amdhsa_exception_fp_ieee_overflow 0
		.amdhsa_exception_fp_ieee_underflow 0
		.amdhsa_exception_fp_ieee_inexact 0
		.amdhsa_exception_int_div_zero 0
	.end_amdhsa_kernel
	.section	.text._ZN7rocprim17ROCPRIM_400000_NS6detail17trampoline_kernelINS0_14default_configENS1_25transform_config_selectorIlLb1EEEZNS1_14transform_implILb1ES3_S5_PlS7_NS0_8identityIlEEEE10hipError_tT2_T3_mT4_P12ihipStream_tbEUlT_E_NS1_11comp_targetILNS1_3genE4ELNS1_11target_archE910ELNS1_3gpuE8ELNS1_3repE0EEENS1_30default_config_static_selectorELNS0_4arch9wavefront6targetE1EEEvT1_,"axG",@progbits,_ZN7rocprim17ROCPRIM_400000_NS6detail17trampoline_kernelINS0_14default_configENS1_25transform_config_selectorIlLb1EEEZNS1_14transform_implILb1ES3_S5_PlS7_NS0_8identityIlEEEE10hipError_tT2_T3_mT4_P12ihipStream_tbEUlT_E_NS1_11comp_targetILNS1_3genE4ELNS1_11target_archE910ELNS1_3gpuE8ELNS1_3repE0EEENS1_30default_config_static_selectorELNS0_4arch9wavefront6targetE1EEEvT1_,comdat
.Lfunc_end45:
	.size	_ZN7rocprim17ROCPRIM_400000_NS6detail17trampoline_kernelINS0_14default_configENS1_25transform_config_selectorIlLb1EEEZNS1_14transform_implILb1ES3_S5_PlS7_NS0_8identityIlEEEE10hipError_tT2_T3_mT4_P12ihipStream_tbEUlT_E_NS1_11comp_targetILNS1_3genE4ELNS1_11target_archE910ELNS1_3gpuE8ELNS1_3repE0EEENS1_30default_config_static_selectorELNS0_4arch9wavefront6targetE1EEEvT1_, .Lfunc_end45-_ZN7rocprim17ROCPRIM_400000_NS6detail17trampoline_kernelINS0_14default_configENS1_25transform_config_selectorIlLb1EEEZNS1_14transform_implILb1ES3_S5_PlS7_NS0_8identityIlEEEE10hipError_tT2_T3_mT4_P12ihipStream_tbEUlT_E_NS1_11comp_targetILNS1_3genE4ELNS1_11target_archE910ELNS1_3gpuE8ELNS1_3repE0EEENS1_30default_config_static_selectorELNS0_4arch9wavefront6targetE1EEEvT1_
                                        ; -- End function
	.set _ZN7rocprim17ROCPRIM_400000_NS6detail17trampoline_kernelINS0_14default_configENS1_25transform_config_selectorIlLb1EEEZNS1_14transform_implILb1ES3_S5_PlS7_NS0_8identityIlEEEE10hipError_tT2_T3_mT4_P12ihipStream_tbEUlT_E_NS1_11comp_targetILNS1_3genE4ELNS1_11target_archE910ELNS1_3gpuE8ELNS1_3repE0EEENS1_30default_config_static_selectorELNS0_4arch9wavefront6targetE1EEEvT1_.num_vgpr, 0
	.set _ZN7rocprim17ROCPRIM_400000_NS6detail17trampoline_kernelINS0_14default_configENS1_25transform_config_selectorIlLb1EEEZNS1_14transform_implILb1ES3_S5_PlS7_NS0_8identityIlEEEE10hipError_tT2_T3_mT4_P12ihipStream_tbEUlT_E_NS1_11comp_targetILNS1_3genE4ELNS1_11target_archE910ELNS1_3gpuE8ELNS1_3repE0EEENS1_30default_config_static_selectorELNS0_4arch9wavefront6targetE1EEEvT1_.num_agpr, 0
	.set _ZN7rocprim17ROCPRIM_400000_NS6detail17trampoline_kernelINS0_14default_configENS1_25transform_config_selectorIlLb1EEEZNS1_14transform_implILb1ES3_S5_PlS7_NS0_8identityIlEEEE10hipError_tT2_T3_mT4_P12ihipStream_tbEUlT_E_NS1_11comp_targetILNS1_3genE4ELNS1_11target_archE910ELNS1_3gpuE8ELNS1_3repE0EEENS1_30default_config_static_selectorELNS0_4arch9wavefront6targetE1EEEvT1_.numbered_sgpr, 0
	.set _ZN7rocprim17ROCPRIM_400000_NS6detail17trampoline_kernelINS0_14default_configENS1_25transform_config_selectorIlLb1EEEZNS1_14transform_implILb1ES3_S5_PlS7_NS0_8identityIlEEEE10hipError_tT2_T3_mT4_P12ihipStream_tbEUlT_E_NS1_11comp_targetILNS1_3genE4ELNS1_11target_archE910ELNS1_3gpuE8ELNS1_3repE0EEENS1_30default_config_static_selectorELNS0_4arch9wavefront6targetE1EEEvT1_.num_named_barrier, 0
	.set _ZN7rocprim17ROCPRIM_400000_NS6detail17trampoline_kernelINS0_14default_configENS1_25transform_config_selectorIlLb1EEEZNS1_14transform_implILb1ES3_S5_PlS7_NS0_8identityIlEEEE10hipError_tT2_T3_mT4_P12ihipStream_tbEUlT_E_NS1_11comp_targetILNS1_3genE4ELNS1_11target_archE910ELNS1_3gpuE8ELNS1_3repE0EEENS1_30default_config_static_selectorELNS0_4arch9wavefront6targetE1EEEvT1_.private_seg_size, 0
	.set _ZN7rocprim17ROCPRIM_400000_NS6detail17trampoline_kernelINS0_14default_configENS1_25transform_config_selectorIlLb1EEEZNS1_14transform_implILb1ES3_S5_PlS7_NS0_8identityIlEEEE10hipError_tT2_T3_mT4_P12ihipStream_tbEUlT_E_NS1_11comp_targetILNS1_3genE4ELNS1_11target_archE910ELNS1_3gpuE8ELNS1_3repE0EEENS1_30default_config_static_selectorELNS0_4arch9wavefront6targetE1EEEvT1_.uses_vcc, 0
	.set _ZN7rocprim17ROCPRIM_400000_NS6detail17trampoline_kernelINS0_14default_configENS1_25transform_config_selectorIlLb1EEEZNS1_14transform_implILb1ES3_S5_PlS7_NS0_8identityIlEEEE10hipError_tT2_T3_mT4_P12ihipStream_tbEUlT_E_NS1_11comp_targetILNS1_3genE4ELNS1_11target_archE910ELNS1_3gpuE8ELNS1_3repE0EEENS1_30default_config_static_selectorELNS0_4arch9wavefront6targetE1EEEvT1_.uses_flat_scratch, 0
	.set _ZN7rocprim17ROCPRIM_400000_NS6detail17trampoline_kernelINS0_14default_configENS1_25transform_config_selectorIlLb1EEEZNS1_14transform_implILb1ES3_S5_PlS7_NS0_8identityIlEEEE10hipError_tT2_T3_mT4_P12ihipStream_tbEUlT_E_NS1_11comp_targetILNS1_3genE4ELNS1_11target_archE910ELNS1_3gpuE8ELNS1_3repE0EEENS1_30default_config_static_selectorELNS0_4arch9wavefront6targetE1EEEvT1_.has_dyn_sized_stack, 0
	.set _ZN7rocprim17ROCPRIM_400000_NS6detail17trampoline_kernelINS0_14default_configENS1_25transform_config_selectorIlLb1EEEZNS1_14transform_implILb1ES3_S5_PlS7_NS0_8identityIlEEEE10hipError_tT2_T3_mT4_P12ihipStream_tbEUlT_E_NS1_11comp_targetILNS1_3genE4ELNS1_11target_archE910ELNS1_3gpuE8ELNS1_3repE0EEENS1_30default_config_static_selectorELNS0_4arch9wavefront6targetE1EEEvT1_.has_recursion, 0
	.set _ZN7rocprim17ROCPRIM_400000_NS6detail17trampoline_kernelINS0_14default_configENS1_25transform_config_selectorIlLb1EEEZNS1_14transform_implILb1ES3_S5_PlS7_NS0_8identityIlEEEE10hipError_tT2_T3_mT4_P12ihipStream_tbEUlT_E_NS1_11comp_targetILNS1_3genE4ELNS1_11target_archE910ELNS1_3gpuE8ELNS1_3repE0EEENS1_30default_config_static_selectorELNS0_4arch9wavefront6targetE1EEEvT1_.has_indirect_call, 0
	.section	.AMDGPU.csdata,"",@progbits
; Kernel info:
; codeLenInByte = 0
; TotalNumSgprs: 6
; NumVgprs: 0
; NumAgprs: 0
; TotalNumVgprs: 0
; ScratchSize: 0
; MemoryBound: 0
; FloatMode: 240
; IeeeMode: 1
; LDSByteSize: 0 bytes/workgroup (compile time only)
; SGPRBlocks: 0
; VGPRBlocks: 0
; NumSGPRsForWavesPerEU: 6
; NumVGPRsForWavesPerEU: 1
; AccumOffset: 4
; Occupancy: 8
; WaveLimiterHint : 0
; COMPUTE_PGM_RSRC2:SCRATCH_EN: 0
; COMPUTE_PGM_RSRC2:USER_SGPR: 2
; COMPUTE_PGM_RSRC2:TRAP_HANDLER: 0
; COMPUTE_PGM_RSRC2:TGID_X_EN: 1
; COMPUTE_PGM_RSRC2:TGID_Y_EN: 0
; COMPUTE_PGM_RSRC2:TGID_Z_EN: 0
; COMPUTE_PGM_RSRC2:TIDIG_COMP_CNT: 0
; COMPUTE_PGM_RSRC3_GFX90A:ACCUM_OFFSET: 0
; COMPUTE_PGM_RSRC3_GFX90A:TG_SPLIT: 0
	.section	.text._ZN7rocprim17ROCPRIM_400000_NS6detail17trampoline_kernelINS0_14default_configENS1_25transform_config_selectorIlLb1EEEZNS1_14transform_implILb1ES3_S5_PlS7_NS0_8identityIlEEEE10hipError_tT2_T3_mT4_P12ihipStream_tbEUlT_E_NS1_11comp_targetILNS1_3genE3ELNS1_11target_archE908ELNS1_3gpuE7ELNS1_3repE0EEENS1_30default_config_static_selectorELNS0_4arch9wavefront6targetE1EEEvT1_,"axG",@progbits,_ZN7rocprim17ROCPRIM_400000_NS6detail17trampoline_kernelINS0_14default_configENS1_25transform_config_selectorIlLb1EEEZNS1_14transform_implILb1ES3_S5_PlS7_NS0_8identityIlEEEE10hipError_tT2_T3_mT4_P12ihipStream_tbEUlT_E_NS1_11comp_targetILNS1_3genE3ELNS1_11target_archE908ELNS1_3gpuE7ELNS1_3repE0EEENS1_30default_config_static_selectorELNS0_4arch9wavefront6targetE1EEEvT1_,comdat
	.protected	_ZN7rocprim17ROCPRIM_400000_NS6detail17trampoline_kernelINS0_14default_configENS1_25transform_config_selectorIlLb1EEEZNS1_14transform_implILb1ES3_S5_PlS7_NS0_8identityIlEEEE10hipError_tT2_T3_mT4_P12ihipStream_tbEUlT_E_NS1_11comp_targetILNS1_3genE3ELNS1_11target_archE908ELNS1_3gpuE7ELNS1_3repE0EEENS1_30default_config_static_selectorELNS0_4arch9wavefront6targetE1EEEvT1_ ; -- Begin function _ZN7rocprim17ROCPRIM_400000_NS6detail17trampoline_kernelINS0_14default_configENS1_25transform_config_selectorIlLb1EEEZNS1_14transform_implILb1ES3_S5_PlS7_NS0_8identityIlEEEE10hipError_tT2_T3_mT4_P12ihipStream_tbEUlT_E_NS1_11comp_targetILNS1_3genE3ELNS1_11target_archE908ELNS1_3gpuE7ELNS1_3repE0EEENS1_30default_config_static_selectorELNS0_4arch9wavefront6targetE1EEEvT1_
	.globl	_ZN7rocprim17ROCPRIM_400000_NS6detail17trampoline_kernelINS0_14default_configENS1_25transform_config_selectorIlLb1EEEZNS1_14transform_implILb1ES3_S5_PlS7_NS0_8identityIlEEEE10hipError_tT2_T3_mT4_P12ihipStream_tbEUlT_E_NS1_11comp_targetILNS1_3genE3ELNS1_11target_archE908ELNS1_3gpuE7ELNS1_3repE0EEENS1_30default_config_static_selectorELNS0_4arch9wavefront6targetE1EEEvT1_
	.p2align	8
	.type	_ZN7rocprim17ROCPRIM_400000_NS6detail17trampoline_kernelINS0_14default_configENS1_25transform_config_selectorIlLb1EEEZNS1_14transform_implILb1ES3_S5_PlS7_NS0_8identityIlEEEE10hipError_tT2_T3_mT4_P12ihipStream_tbEUlT_E_NS1_11comp_targetILNS1_3genE3ELNS1_11target_archE908ELNS1_3gpuE7ELNS1_3repE0EEENS1_30default_config_static_selectorELNS0_4arch9wavefront6targetE1EEEvT1_,@function
_ZN7rocprim17ROCPRIM_400000_NS6detail17trampoline_kernelINS0_14default_configENS1_25transform_config_selectorIlLb1EEEZNS1_14transform_implILb1ES3_S5_PlS7_NS0_8identityIlEEEE10hipError_tT2_T3_mT4_P12ihipStream_tbEUlT_E_NS1_11comp_targetILNS1_3genE3ELNS1_11target_archE908ELNS1_3gpuE7ELNS1_3repE0EEENS1_30default_config_static_selectorELNS0_4arch9wavefront6targetE1EEEvT1_: ; @_ZN7rocprim17ROCPRIM_400000_NS6detail17trampoline_kernelINS0_14default_configENS1_25transform_config_selectorIlLb1EEEZNS1_14transform_implILb1ES3_S5_PlS7_NS0_8identityIlEEEE10hipError_tT2_T3_mT4_P12ihipStream_tbEUlT_E_NS1_11comp_targetILNS1_3genE3ELNS1_11target_archE908ELNS1_3gpuE7ELNS1_3repE0EEENS1_30default_config_static_selectorELNS0_4arch9wavefront6targetE1EEEvT1_
; %bb.0:
	.section	.rodata,"a",@progbits
	.p2align	6, 0x0
	.amdhsa_kernel _ZN7rocprim17ROCPRIM_400000_NS6detail17trampoline_kernelINS0_14default_configENS1_25transform_config_selectorIlLb1EEEZNS1_14transform_implILb1ES3_S5_PlS7_NS0_8identityIlEEEE10hipError_tT2_T3_mT4_P12ihipStream_tbEUlT_E_NS1_11comp_targetILNS1_3genE3ELNS1_11target_archE908ELNS1_3gpuE7ELNS1_3repE0EEENS1_30default_config_static_selectorELNS0_4arch9wavefront6targetE1EEEvT1_
		.amdhsa_group_segment_fixed_size 0
		.amdhsa_private_segment_fixed_size 0
		.amdhsa_kernarg_size 40
		.amdhsa_user_sgpr_count 2
		.amdhsa_user_sgpr_dispatch_ptr 0
		.amdhsa_user_sgpr_queue_ptr 0
		.amdhsa_user_sgpr_kernarg_segment_ptr 1
		.amdhsa_user_sgpr_dispatch_id 0
		.amdhsa_user_sgpr_kernarg_preload_length 0
		.amdhsa_user_sgpr_kernarg_preload_offset 0
		.amdhsa_user_sgpr_private_segment_size 0
		.amdhsa_uses_dynamic_stack 0
		.amdhsa_enable_private_segment 0
		.amdhsa_system_sgpr_workgroup_id_x 1
		.amdhsa_system_sgpr_workgroup_id_y 0
		.amdhsa_system_sgpr_workgroup_id_z 0
		.amdhsa_system_sgpr_workgroup_info 0
		.amdhsa_system_vgpr_workitem_id 0
		.amdhsa_next_free_vgpr 1
		.amdhsa_next_free_sgpr 0
		.amdhsa_accum_offset 4
		.amdhsa_reserve_vcc 0
		.amdhsa_float_round_mode_32 0
		.amdhsa_float_round_mode_16_64 0
		.amdhsa_float_denorm_mode_32 3
		.amdhsa_float_denorm_mode_16_64 3
		.amdhsa_dx10_clamp 1
		.amdhsa_ieee_mode 1
		.amdhsa_fp16_overflow 0
		.amdhsa_tg_split 0
		.amdhsa_exception_fp_ieee_invalid_op 0
		.amdhsa_exception_fp_denorm_src 0
		.amdhsa_exception_fp_ieee_div_zero 0
		.amdhsa_exception_fp_ieee_overflow 0
		.amdhsa_exception_fp_ieee_underflow 0
		.amdhsa_exception_fp_ieee_inexact 0
		.amdhsa_exception_int_div_zero 0
	.end_amdhsa_kernel
	.section	.text._ZN7rocprim17ROCPRIM_400000_NS6detail17trampoline_kernelINS0_14default_configENS1_25transform_config_selectorIlLb1EEEZNS1_14transform_implILb1ES3_S5_PlS7_NS0_8identityIlEEEE10hipError_tT2_T3_mT4_P12ihipStream_tbEUlT_E_NS1_11comp_targetILNS1_3genE3ELNS1_11target_archE908ELNS1_3gpuE7ELNS1_3repE0EEENS1_30default_config_static_selectorELNS0_4arch9wavefront6targetE1EEEvT1_,"axG",@progbits,_ZN7rocprim17ROCPRIM_400000_NS6detail17trampoline_kernelINS0_14default_configENS1_25transform_config_selectorIlLb1EEEZNS1_14transform_implILb1ES3_S5_PlS7_NS0_8identityIlEEEE10hipError_tT2_T3_mT4_P12ihipStream_tbEUlT_E_NS1_11comp_targetILNS1_3genE3ELNS1_11target_archE908ELNS1_3gpuE7ELNS1_3repE0EEENS1_30default_config_static_selectorELNS0_4arch9wavefront6targetE1EEEvT1_,comdat
.Lfunc_end46:
	.size	_ZN7rocprim17ROCPRIM_400000_NS6detail17trampoline_kernelINS0_14default_configENS1_25transform_config_selectorIlLb1EEEZNS1_14transform_implILb1ES3_S5_PlS7_NS0_8identityIlEEEE10hipError_tT2_T3_mT4_P12ihipStream_tbEUlT_E_NS1_11comp_targetILNS1_3genE3ELNS1_11target_archE908ELNS1_3gpuE7ELNS1_3repE0EEENS1_30default_config_static_selectorELNS0_4arch9wavefront6targetE1EEEvT1_, .Lfunc_end46-_ZN7rocprim17ROCPRIM_400000_NS6detail17trampoline_kernelINS0_14default_configENS1_25transform_config_selectorIlLb1EEEZNS1_14transform_implILb1ES3_S5_PlS7_NS0_8identityIlEEEE10hipError_tT2_T3_mT4_P12ihipStream_tbEUlT_E_NS1_11comp_targetILNS1_3genE3ELNS1_11target_archE908ELNS1_3gpuE7ELNS1_3repE0EEENS1_30default_config_static_selectorELNS0_4arch9wavefront6targetE1EEEvT1_
                                        ; -- End function
	.set _ZN7rocprim17ROCPRIM_400000_NS6detail17trampoline_kernelINS0_14default_configENS1_25transform_config_selectorIlLb1EEEZNS1_14transform_implILb1ES3_S5_PlS7_NS0_8identityIlEEEE10hipError_tT2_T3_mT4_P12ihipStream_tbEUlT_E_NS1_11comp_targetILNS1_3genE3ELNS1_11target_archE908ELNS1_3gpuE7ELNS1_3repE0EEENS1_30default_config_static_selectorELNS0_4arch9wavefront6targetE1EEEvT1_.num_vgpr, 0
	.set _ZN7rocprim17ROCPRIM_400000_NS6detail17trampoline_kernelINS0_14default_configENS1_25transform_config_selectorIlLb1EEEZNS1_14transform_implILb1ES3_S5_PlS7_NS0_8identityIlEEEE10hipError_tT2_T3_mT4_P12ihipStream_tbEUlT_E_NS1_11comp_targetILNS1_3genE3ELNS1_11target_archE908ELNS1_3gpuE7ELNS1_3repE0EEENS1_30default_config_static_selectorELNS0_4arch9wavefront6targetE1EEEvT1_.num_agpr, 0
	.set _ZN7rocprim17ROCPRIM_400000_NS6detail17trampoline_kernelINS0_14default_configENS1_25transform_config_selectorIlLb1EEEZNS1_14transform_implILb1ES3_S5_PlS7_NS0_8identityIlEEEE10hipError_tT2_T3_mT4_P12ihipStream_tbEUlT_E_NS1_11comp_targetILNS1_3genE3ELNS1_11target_archE908ELNS1_3gpuE7ELNS1_3repE0EEENS1_30default_config_static_selectorELNS0_4arch9wavefront6targetE1EEEvT1_.numbered_sgpr, 0
	.set _ZN7rocprim17ROCPRIM_400000_NS6detail17trampoline_kernelINS0_14default_configENS1_25transform_config_selectorIlLb1EEEZNS1_14transform_implILb1ES3_S5_PlS7_NS0_8identityIlEEEE10hipError_tT2_T3_mT4_P12ihipStream_tbEUlT_E_NS1_11comp_targetILNS1_3genE3ELNS1_11target_archE908ELNS1_3gpuE7ELNS1_3repE0EEENS1_30default_config_static_selectorELNS0_4arch9wavefront6targetE1EEEvT1_.num_named_barrier, 0
	.set _ZN7rocprim17ROCPRIM_400000_NS6detail17trampoline_kernelINS0_14default_configENS1_25transform_config_selectorIlLb1EEEZNS1_14transform_implILb1ES3_S5_PlS7_NS0_8identityIlEEEE10hipError_tT2_T3_mT4_P12ihipStream_tbEUlT_E_NS1_11comp_targetILNS1_3genE3ELNS1_11target_archE908ELNS1_3gpuE7ELNS1_3repE0EEENS1_30default_config_static_selectorELNS0_4arch9wavefront6targetE1EEEvT1_.private_seg_size, 0
	.set _ZN7rocprim17ROCPRIM_400000_NS6detail17trampoline_kernelINS0_14default_configENS1_25transform_config_selectorIlLb1EEEZNS1_14transform_implILb1ES3_S5_PlS7_NS0_8identityIlEEEE10hipError_tT2_T3_mT4_P12ihipStream_tbEUlT_E_NS1_11comp_targetILNS1_3genE3ELNS1_11target_archE908ELNS1_3gpuE7ELNS1_3repE0EEENS1_30default_config_static_selectorELNS0_4arch9wavefront6targetE1EEEvT1_.uses_vcc, 0
	.set _ZN7rocprim17ROCPRIM_400000_NS6detail17trampoline_kernelINS0_14default_configENS1_25transform_config_selectorIlLb1EEEZNS1_14transform_implILb1ES3_S5_PlS7_NS0_8identityIlEEEE10hipError_tT2_T3_mT4_P12ihipStream_tbEUlT_E_NS1_11comp_targetILNS1_3genE3ELNS1_11target_archE908ELNS1_3gpuE7ELNS1_3repE0EEENS1_30default_config_static_selectorELNS0_4arch9wavefront6targetE1EEEvT1_.uses_flat_scratch, 0
	.set _ZN7rocprim17ROCPRIM_400000_NS6detail17trampoline_kernelINS0_14default_configENS1_25transform_config_selectorIlLb1EEEZNS1_14transform_implILb1ES3_S5_PlS7_NS0_8identityIlEEEE10hipError_tT2_T3_mT4_P12ihipStream_tbEUlT_E_NS1_11comp_targetILNS1_3genE3ELNS1_11target_archE908ELNS1_3gpuE7ELNS1_3repE0EEENS1_30default_config_static_selectorELNS0_4arch9wavefront6targetE1EEEvT1_.has_dyn_sized_stack, 0
	.set _ZN7rocprim17ROCPRIM_400000_NS6detail17trampoline_kernelINS0_14default_configENS1_25transform_config_selectorIlLb1EEEZNS1_14transform_implILb1ES3_S5_PlS7_NS0_8identityIlEEEE10hipError_tT2_T3_mT4_P12ihipStream_tbEUlT_E_NS1_11comp_targetILNS1_3genE3ELNS1_11target_archE908ELNS1_3gpuE7ELNS1_3repE0EEENS1_30default_config_static_selectorELNS0_4arch9wavefront6targetE1EEEvT1_.has_recursion, 0
	.set _ZN7rocprim17ROCPRIM_400000_NS6detail17trampoline_kernelINS0_14default_configENS1_25transform_config_selectorIlLb1EEEZNS1_14transform_implILb1ES3_S5_PlS7_NS0_8identityIlEEEE10hipError_tT2_T3_mT4_P12ihipStream_tbEUlT_E_NS1_11comp_targetILNS1_3genE3ELNS1_11target_archE908ELNS1_3gpuE7ELNS1_3repE0EEENS1_30default_config_static_selectorELNS0_4arch9wavefront6targetE1EEEvT1_.has_indirect_call, 0
	.section	.AMDGPU.csdata,"",@progbits
; Kernel info:
; codeLenInByte = 0
; TotalNumSgprs: 6
; NumVgprs: 0
; NumAgprs: 0
; TotalNumVgprs: 0
; ScratchSize: 0
; MemoryBound: 0
; FloatMode: 240
; IeeeMode: 1
; LDSByteSize: 0 bytes/workgroup (compile time only)
; SGPRBlocks: 0
; VGPRBlocks: 0
; NumSGPRsForWavesPerEU: 6
; NumVGPRsForWavesPerEU: 1
; AccumOffset: 4
; Occupancy: 8
; WaveLimiterHint : 0
; COMPUTE_PGM_RSRC2:SCRATCH_EN: 0
; COMPUTE_PGM_RSRC2:USER_SGPR: 2
; COMPUTE_PGM_RSRC2:TRAP_HANDLER: 0
; COMPUTE_PGM_RSRC2:TGID_X_EN: 1
; COMPUTE_PGM_RSRC2:TGID_Y_EN: 0
; COMPUTE_PGM_RSRC2:TGID_Z_EN: 0
; COMPUTE_PGM_RSRC2:TIDIG_COMP_CNT: 0
; COMPUTE_PGM_RSRC3_GFX90A:ACCUM_OFFSET: 0
; COMPUTE_PGM_RSRC3_GFX90A:TG_SPLIT: 0
	.section	.text._ZN7rocprim17ROCPRIM_400000_NS6detail17trampoline_kernelINS0_14default_configENS1_25transform_config_selectorIlLb1EEEZNS1_14transform_implILb1ES3_S5_PlS7_NS0_8identityIlEEEE10hipError_tT2_T3_mT4_P12ihipStream_tbEUlT_E_NS1_11comp_targetILNS1_3genE2ELNS1_11target_archE906ELNS1_3gpuE6ELNS1_3repE0EEENS1_30default_config_static_selectorELNS0_4arch9wavefront6targetE1EEEvT1_,"axG",@progbits,_ZN7rocprim17ROCPRIM_400000_NS6detail17trampoline_kernelINS0_14default_configENS1_25transform_config_selectorIlLb1EEEZNS1_14transform_implILb1ES3_S5_PlS7_NS0_8identityIlEEEE10hipError_tT2_T3_mT4_P12ihipStream_tbEUlT_E_NS1_11comp_targetILNS1_3genE2ELNS1_11target_archE906ELNS1_3gpuE6ELNS1_3repE0EEENS1_30default_config_static_selectorELNS0_4arch9wavefront6targetE1EEEvT1_,comdat
	.protected	_ZN7rocprim17ROCPRIM_400000_NS6detail17trampoline_kernelINS0_14default_configENS1_25transform_config_selectorIlLb1EEEZNS1_14transform_implILb1ES3_S5_PlS7_NS0_8identityIlEEEE10hipError_tT2_T3_mT4_P12ihipStream_tbEUlT_E_NS1_11comp_targetILNS1_3genE2ELNS1_11target_archE906ELNS1_3gpuE6ELNS1_3repE0EEENS1_30default_config_static_selectorELNS0_4arch9wavefront6targetE1EEEvT1_ ; -- Begin function _ZN7rocprim17ROCPRIM_400000_NS6detail17trampoline_kernelINS0_14default_configENS1_25transform_config_selectorIlLb1EEEZNS1_14transform_implILb1ES3_S5_PlS7_NS0_8identityIlEEEE10hipError_tT2_T3_mT4_P12ihipStream_tbEUlT_E_NS1_11comp_targetILNS1_3genE2ELNS1_11target_archE906ELNS1_3gpuE6ELNS1_3repE0EEENS1_30default_config_static_selectorELNS0_4arch9wavefront6targetE1EEEvT1_
	.globl	_ZN7rocprim17ROCPRIM_400000_NS6detail17trampoline_kernelINS0_14default_configENS1_25transform_config_selectorIlLb1EEEZNS1_14transform_implILb1ES3_S5_PlS7_NS0_8identityIlEEEE10hipError_tT2_T3_mT4_P12ihipStream_tbEUlT_E_NS1_11comp_targetILNS1_3genE2ELNS1_11target_archE906ELNS1_3gpuE6ELNS1_3repE0EEENS1_30default_config_static_selectorELNS0_4arch9wavefront6targetE1EEEvT1_
	.p2align	8
	.type	_ZN7rocprim17ROCPRIM_400000_NS6detail17trampoline_kernelINS0_14default_configENS1_25transform_config_selectorIlLb1EEEZNS1_14transform_implILb1ES3_S5_PlS7_NS0_8identityIlEEEE10hipError_tT2_T3_mT4_P12ihipStream_tbEUlT_E_NS1_11comp_targetILNS1_3genE2ELNS1_11target_archE906ELNS1_3gpuE6ELNS1_3repE0EEENS1_30default_config_static_selectorELNS0_4arch9wavefront6targetE1EEEvT1_,@function
_ZN7rocprim17ROCPRIM_400000_NS6detail17trampoline_kernelINS0_14default_configENS1_25transform_config_selectorIlLb1EEEZNS1_14transform_implILb1ES3_S5_PlS7_NS0_8identityIlEEEE10hipError_tT2_T3_mT4_P12ihipStream_tbEUlT_E_NS1_11comp_targetILNS1_3genE2ELNS1_11target_archE906ELNS1_3gpuE6ELNS1_3repE0EEENS1_30default_config_static_selectorELNS0_4arch9wavefront6targetE1EEEvT1_: ; @_ZN7rocprim17ROCPRIM_400000_NS6detail17trampoline_kernelINS0_14default_configENS1_25transform_config_selectorIlLb1EEEZNS1_14transform_implILb1ES3_S5_PlS7_NS0_8identityIlEEEE10hipError_tT2_T3_mT4_P12ihipStream_tbEUlT_E_NS1_11comp_targetILNS1_3genE2ELNS1_11target_archE906ELNS1_3gpuE6ELNS1_3repE0EEENS1_30default_config_static_selectorELNS0_4arch9wavefront6targetE1EEEvT1_
; %bb.0:
	.section	.rodata,"a",@progbits
	.p2align	6, 0x0
	.amdhsa_kernel _ZN7rocprim17ROCPRIM_400000_NS6detail17trampoline_kernelINS0_14default_configENS1_25transform_config_selectorIlLb1EEEZNS1_14transform_implILb1ES3_S5_PlS7_NS0_8identityIlEEEE10hipError_tT2_T3_mT4_P12ihipStream_tbEUlT_E_NS1_11comp_targetILNS1_3genE2ELNS1_11target_archE906ELNS1_3gpuE6ELNS1_3repE0EEENS1_30default_config_static_selectorELNS0_4arch9wavefront6targetE1EEEvT1_
		.amdhsa_group_segment_fixed_size 0
		.amdhsa_private_segment_fixed_size 0
		.amdhsa_kernarg_size 40
		.amdhsa_user_sgpr_count 2
		.amdhsa_user_sgpr_dispatch_ptr 0
		.amdhsa_user_sgpr_queue_ptr 0
		.amdhsa_user_sgpr_kernarg_segment_ptr 1
		.amdhsa_user_sgpr_dispatch_id 0
		.amdhsa_user_sgpr_kernarg_preload_length 0
		.amdhsa_user_sgpr_kernarg_preload_offset 0
		.amdhsa_user_sgpr_private_segment_size 0
		.amdhsa_uses_dynamic_stack 0
		.amdhsa_enable_private_segment 0
		.amdhsa_system_sgpr_workgroup_id_x 1
		.amdhsa_system_sgpr_workgroup_id_y 0
		.amdhsa_system_sgpr_workgroup_id_z 0
		.amdhsa_system_sgpr_workgroup_info 0
		.amdhsa_system_vgpr_workitem_id 0
		.amdhsa_next_free_vgpr 1
		.amdhsa_next_free_sgpr 0
		.amdhsa_accum_offset 4
		.amdhsa_reserve_vcc 0
		.amdhsa_float_round_mode_32 0
		.amdhsa_float_round_mode_16_64 0
		.amdhsa_float_denorm_mode_32 3
		.amdhsa_float_denorm_mode_16_64 3
		.amdhsa_dx10_clamp 1
		.amdhsa_ieee_mode 1
		.amdhsa_fp16_overflow 0
		.amdhsa_tg_split 0
		.amdhsa_exception_fp_ieee_invalid_op 0
		.amdhsa_exception_fp_denorm_src 0
		.amdhsa_exception_fp_ieee_div_zero 0
		.amdhsa_exception_fp_ieee_overflow 0
		.amdhsa_exception_fp_ieee_underflow 0
		.amdhsa_exception_fp_ieee_inexact 0
		.amdhsa_exception_int_div_zero 0
	.end_amdhsa_kernel
	.section	.text._ZN7rocprim17ROCPRIM_400000_NS6detail17trampoline_kernelINS0_14default_configENS1_25transform_config_selectorIlLb1EEEZNS1_14transform_implILb1ES3_S5_PlS7_NS0_8identityIlEEEE10hipError_tT2_T3_mT4_P12ihipStream_tbEUlT_E_NS1_11comp_targetILNS1_3genE2ELNS1_11target_archE906ELNS1_3gpuE6ELNS1_3repE0EEENS1_30default_config_static_selectorELNS0_4arch9wavefront6targetE1EEEvT1_,"axG",@progbits,_ZN7rocprim17ROCPRIM_400000_NS6detail17trampoline_kernelINS0_14default_configENS1_25transform_config_selectorIlLb1EEEZNS1_14transform_implILb1ES3_S5_PlS7_NS0_8identityIlEEEE10hipError_tT2_T3_mT4_P12ihipStream_tbEUlT_E_NS1_11comp_targetILNS1_3genE2ELNS1_11target_archE906ELNS1_3gpuE6ELNS1_3repE0EEENS1_30default_config_static_selectorELNS0_4arch9wavefront6targetE1EEEvT1_,comdat
.Lfunc_end47:
	.size	_ZN7rocprim17ROCPRIM_400000_NS6detail17trampoline_kernelINS0_14default_configENS1_25transform_config_selectorIlLb1EEEZNS1_14transform_implILb1ES3_S5_PlS7_NS0_8identityIlEEEE10hipError_tT2_T3_mT4_P12ihipStream_tbEUlT_E_NS1_11comp_targetILNS1_3genE2ELNS1_11target_archE906ELNS1_3gpuE6ELNS1_3repE0EEENS1_30default_config_static_selectorELNS0_4arch9wavefront6targetE1EEEvT1_, .Lfunc_end47-_ZN7rocprim17ROCPRIM_400000_NS6detail17trampoline_kernelINS0_14default_configENS1_25transform_config_selectorIlLb1EEEZNS1_14transform_implILb1ES3_S5_PlS7_NS0_8identityIlEEEE10hipError_tT2_T3_mT4_P12ihipStream_tbEUlT_E_NS1_11comp_targetILNS1_3genE2ELNS1_11target_archE906ELNS1_3gpuE6ELNS1_3repE0EEENS1_30default_config_static_selectorELNS0_4arch9wavefront6targetE1EEEvT1_
                                        ; -- End function
	.set _ZN7rocprim17ROCPRIM_400000_NS6detail17trampoline_kernelINS0_14default_configENS1_25transform_config_selectorIlLb1EEEZNS1_14transform_implILb1ES3_S5_PlS7_NS0_8identityIlEEEE10hipError_tT2_T3_mT4_P12ihipStream_tbEUlT_E_NS1_11comp_targetILNS1_3genE2ELNS1_11target_archE906ELNS1_3gpuE6ELNS1_3repE0EEENS1_30default_config_static_selectorELNS0_4arch9wavefront6targetE1EEEvT1_.num_vgpr, 0
	.set _ZN7rocprim17ROCPRIM_400000_NS6detail17trampoline_kernelINS0_14default_configENS1_25transform_config_selectorIlLb1EEEZNS1_14transform_implILb1ES3_S5_PlS7_NS0_8identityIlEEEE10hipError_tT2_T3_mT4_P12ihipStream_tbEUlT_E_NS1_11comp_targetILNS1_3genE2ELNS1_11target_archE906ELNS1_3gpuE6ELNS1_3repE0EEENS1_30default_config_static_selectorELNS0_4arch9wavefront6targetE1EEEvT1_.num_agpr, 0
	.set _ZN7rocprim17ROCPRIM_400000_NS6detail17trampoline_kernelINS0_14default_configENS1_25transform_config_selectorIlLb1EEEZNS1_14transform_implILb1ES3_S5_PlS7_NS0_8identityIlEEEE10hipError_tT2_T3_mT4_P12ihipStream_tbEUlT_E_NS1_11comp_targetILNS1_3genE2ELNS1_11target_archE906ELNS1_3gpuE6ELNS1_3repE0EEENS1_30default_config_static_selectorELNS0_4arch9wavefront6targetE1EEEvT1_.numbered_sgpr, 0
	.set _ZN7rocprim17ROCPRIM_400000_NS6detail17trampoline_kernelINS0_14default_configENS1_25transform_config_selectorIlLb1EEEZNS1_14transform_implILb1ES3_S5_PlS7_NS0_8identityIlEEEE10hipError_tT2_T3_mT4_P12ihipStream_tbEUlT_E_NS1_11comp_targetILNS1_3genE2ELNS1_11target_archE906ELNS1_3gpuE6ELNS1_3repE0EEENS1_30default_config_static_selectorELNS0_4arch9wavefront6targetE1EEEvT1_.num_named_barrier, 0
	.set _ZN7rocprim17ROCPRIM_400000_NS6detail17trampoline_kernelINS0_14default_configENS1_25transform_config_selectorIlLb1EEEZNS1_14transform_implILb1ES3_S5_PlS7_NS0_8identityIlEEEE10hipError_tT2_T3_mT4_P12ihipStream_tbEUlT_E_NS1_11comp_targetILNS1_3genE2ELNS1_11target_archE906ELNS1_3gpuE6ELNS1_3repE0EEENS1_30default_config_static_selectorELNS0_4arch9wavefront6targetE1EEEvT1_.private_seg_size, 0
	.set _ZN7rocprim17ROCPRIM_400000_NS6detail17trampoline_kernelINS0_14default_configENS1_25transform_config_selectorIlLb1EEEZNS1_14transform_implILb1ES3_S5_PlS7_NS0_8identityIlEEEE10hipError_tT2_T3_mT4_P12ihipStream_tbEUlT_E_NS1_11comp_targetILNS1_3genE2ELNS1_11target_archE906ELNS1_3gpuE6ELNS1_3repE0EEENS1_30default_config_static_selectorELNS0_4arch9wavefront6targetE1EEEvT1_.uses_vcc, 0
	.set _ZN7rocprim17ROCPRIM_400000_NS6detail17trampoline_kernelINS0_14default_configENS1_25transform_config_selectorIlLb1EEEZNS1_14transform_implILb1ES3_S5_PlS7_NS0_8identityIlEEEE10hipError_tT2_T3_mT4_P12ihipStream_tbEUlT_E_NS1_11comp_targetILNS1_3genE2ELNS1_11target_archE906ELNS1_3gpuE6ELNS1_3repE0EEENS1_30default_config_static_selectorELNS0_4arch9wavefront6targetE1EEEvT1_.uses_flat_scratch, 0
	.set _ZN7rocprim17ROCPRIM_400000_NS6detail17trampoline_kernelINS0_14default_configENS1_25transform_config_selectorIlLb1EEEZNS1_14transform_implILb1ES3_S5_PlS7_NS0_8identityIlEEEE10hipError_tT2_T3_mT4_P12ihipStream_tbEUlT_E_NS1_11comp_targetILNS1_3genE2ELNS1_11target_archE906ELNS1_3gpuE6ELNS1_3repE0EEENS1_30default_config_static_selectorELNS0_4arch9wavefront6targetE1EEEvT1_.has_dyn_sized_stack, 0
	.set _ZN7rocprim17ROCPRIM_400000_NS6detail17trampoline_kernelINS0_14default_configENS1_25transform_config_selectorIlLb1EEEZNS1_14transform_implILb1ES3_S5_PlS7_NS0_8identityIlEEEE10hipError_tT2_T3_mT4_P12ihipStream_tbEUlT_E_NS1_11comp_targetILNS1_3genE2ELNS1_11target_archE906ELNS1_3gpuE6ELNS1_3repE0EEENS1_30default_config_static_selectorELNS0_4arch9wavefront6targetE1EEEvT1_.has_recursion, 0
	.set _ZN7rocprim17ROCPRIM_400000_NS6detail17trampoline_kernelINS0_14default_configENS1_25transform_config_selectorIlLb1EEEZNS1_14transform_implILb1ES3_S5_PlS7_NS0_8identityIlEEEE10hipError_tT2_T3_mT4_P12ihipStream_tbEUlT_E_NS1_11comp_targetILNS1_3genE2ELNS1_11target_archE906ELNS1_3gpuE6ELNS1_3repE0EEENS1_30default_config_static_selectorELNS0_4arch9wavefront6targetE1EEEvT1_.has_indirect_call, 0
	.section	.AMDGPU.csdata,"",@progbits
; Kernel info:
; codeLenInByte = 0
; TotalNumSgprs: 6
; NumVgprs: 0
; NumAgprs: 0
; TotalNumVgprs: 0
; ScratchSize: 0
; MemoryBound: 0
; FloatMode: 240
; IeeeMode: 1
; LDSByteSize: 0 bytes/workgroup (compile time only)
; SGPRBlocks: 0
; VGPRBlocks: 0
; NumSGPRsForWavesPerEU: 6
; NumVGPRsForWavesPerEU: 1
; AccumOffset: 4
; Occupancy: 8
; WaveLimiterHint : 0
; COMPUTE_PGM_RSRC2:SCRATCH_EN: 0
; COMPUTE_PGM_RSRC2:USER_SGPR: 2
; COMPUTE_PGM_RSRC2:TRAP_HANDLER: 0
; COMPUTE_PGM_RSRC2:TGID_X_EN: 1
; COMPUTE_PGM_RSRC2:TGID_Y_EN: 0
; COMPUTE_PGM_RSRC2:TGID_Z_EN: 0
; COMPUTE_PGM_RSRC2:TIDIG_COMP_CNT: 0
; COMPUTE_PGM_RSRC3_GFX90A:ACCUM_OFFSET: 0
; COMPUTE_PGM_RSRC3_GFX90A:TG_SPLIT: 0
	.section	.text._ZN7rocprim17ROCPRIM_400000_NS6detail17trampoline_kernelINS0_14default_configENS1_25transform_config_selectorIlLb1EEEZNS1_14transform_implILb1ES3_S5_PlS7_NS0_8identityIlEEEE10hipError_tT2_T3_mT4_P12ihipStream_tbEUlT_E_NS1_11comp_targetILNS1_3genE9ELNS1_11target_archE1100ELNS1_3gpuE3ELNS1_3repE0EEENS1_30default_config_static_selectorELNS0_4arch9wavefront6targetE1EEEvT1_,"axG",@progbits,_ZN7rocprim17ROCPRIM_400000_NS6detail17trampoline_kernelINS0_14default_configENS1_25transform_config_selectorIlLb1EEEZNS1_14transform_implILb1ES3_S5_PlS7_NS0_8identityIlEEEE10hipError_tT2_T3_mT4_P12ihipStream_tbEUlT_E_NS1_11comp_targetILNS1_3genE9ELNS1_11target_archE1100ELNS1_3gpuE3ELNS1_3repE0EEENS1_30default_config_static_selectorELNS0_4arch9wavefront6targetE1EEEvT1_,comdat
	.protected	_ZN7rocprim17ROCPRIM_400000_NS6detail17trampoline_kernelINS0_14default_configENS1_25transform_config_selectorIlLb1EEEZNS1_14transform_implILb1ES3_S5_PlS7_NS0_8identityIlEEEE10hipError_tT2_T3_mT4_P12ihipStream_tbEUlT_E_NS1_11comp_targetILNS1_3genE9ELNS1_11target_archE1100ELNS1_3gpuE3ELNS1_3repE0EEENS1_30default_config_static_selectorELNS0_4arch9wavefront6targetE1EEEvT1_ ; -- Begin function _ZN7rocprim17ROCPRIM_400000_NS6detail17trampoline_kernelINS0_14default_configENS1_25transform_config_selectorIlLb1EEEZNS1_14transform_implILb1ES3_S5_PlS7_NS0_8identityIlEEEE10hipError_tT2_T3_mT4_P12ihipStream_tbEUlT_E_NS1_11comp_targetILNS1_3genE9ELNS1_11target_archE1100ELNS1_3gpuE3ELNS1_3repE0EEENS1_30default_config_static_selectorELNS0_4arch9wavefront6targetE1EEEvT1_
	.globl	_ZN7rocprim17ROCPRIM_400000_NS6detail17trampoline_kernelINS0_14default_configENS1_25transform_config_selectorIlLb1EEEZNS1_14transform_implILb1ES3_S5_PlS7_NS0_8identityIlEEEE10hipError_tT2_T3_mT4_P12ihipStream_tbEUlT_E_NS1_11comp_targetILNS1_3genE9ELNS1_11target_archE1100ELNS1_3gpuE3ELNS1_3repE0EEENS1_30default_config_static_selectorELNS0_4arch9wavefront6targetE1EEEvT1_
	.p2align	8
	.type	_ZN7rocprim17ROCPRIM_400000_NS6detail17trampoline_kernelINS0_14default_configENS1_25transform_config_selectorIlLb1EEEZNS1_14transform_implILb1ES3_S5_PlS7_NS0_8identityIlEEEE10hipError_tT2_T3_mT4_P12ihipStream_tbEUlT_E_NS1_11comp_targetILNS1_3genE9ELNS1_11target_archE1100ELNS1_3gpuE3ELNS1_3repE0EEENS1_30default_config_static_selectorELNS0_4arch9wavefront6targetE1EEEvT1_,@function
_ZN7rocprim17ROCPRIM_400000_NS6detail17trampoline_kernelINS0_14default_configENS1_25transform_config_selectorIlLb1EEEZNS1_14transform_implILb1ES3_S5_PlS7_NS0_8identityIlEEEE10hipError_tT2_T3_mT4_P12ihipStream_tbEUlT_E_NS1_11comp_targetILNS1_3genE9ELNS1_11target_archE1100ELNS1_3gpuE3ELNS1_3repE0EEENS1_30default_config_static_selectorELNS0_4arch9wavefront6targetE1EEEvT1_: ; @_ZN7rocprim17ROCPRIM_400000_NS6detail17trampoline_kernelINS0_14default_configENS1_25transform_config_selectorIlLb1EEEZNS1_14transform_implILb1ES3_S5_PlS7_NS0_8identityIlEEEE10hipError_tT2_T3_mT4_P12ihipStream_tbEUlT_E_NS1_11comp_targetILNS1_3genE9ELNS1_11target_archE1100ELNS1_3gpuE3ELNS1_3repE0EEENS1_30default_config_static_selectorELNS0_4arch9wavefront6targetE1EEEvT1_
; %bb.0:
	.section	.rodata,"a",@progbits
	.p2align	6, 0x0
	.amdhsa_kernel _ZN7rocprim17ROCPRIM_400000_NS6detail17trampoline_kernelINS0_14default_configENS1_25transform_config_selectorIlLb1EEEZNS1_14transform_implILb1ES3_S5_PlS7_NS0_8identityIlEEEE10hipError_tT2_T3_mT4_P12ihipStream_tbEUlT_E_NS1_11comp_targetILNS1_3genE9ELNS1_11target_archE1100ELNS1_3gpuE3ELNS1_3repE0EEENS1_30default_config_static_selectorELNS0_4arch9wavefront6targetE1EEEvT1_
		.amdhsa_group_segment_fixed_size 0
		.amdhsa_private_segment_fixed_size 0
		.amdhsa_kernarg_size 40
		.amdhsa_user_sgpr_count 2
		.amdhsa_user_sgpr_dispatch_ptr 0
		.amdhsa_user_sgpr_queue_ptr 0
		.amdhsa_user_sgpr_kernarg_segment_ptr 1
		.amdhsa_user_sgpr_dispatch_id 0
		.amdhsa_user_sgpr_kernarg_preload_length 0
		.amdhsa_user_sgpr_kernarg_preload_offset 0
		.amdhsa_user_sgpr_private_segment_size 0
		.amdhsa_uses_dynamic_stack 0
		.amdhsa_enable_private_segment 0
		.amdhsa_system_sgpr_workgroup_id_x 1
		.amdhsa_system_sgpr_workgroup_id_y 0
		.amdhsa_system_sgpr_workgroup_id_z 0
		.amdhsa_system_sgpr_workgroup_info 0
		.amdhsa_system_vgpr_workitem_id 0
		.amdhsa_next_free_vgpr 1
		.amdhsa_next_free_sgpr 0
		.amdhsa_accum_offset 4
		.amdhsa_reserve_vcc 0
		.amdhsa_float_round_mode_32 0
		.amdhsa_float_round_mode_16_64 0
		.amdhsa_float_denorm_mode_32 3
		.amdhsa_float_denorm_mode_16_64 3
		.amdhsa_dx10_clamp 1
		.amdhsa_ieee_mode 1
		.amdhsa_fp16_overflow 0
		.amdhsa_tg_split 0
		.amdhsa_exception_fp_ieee_invalid_op 0
		.amdhsa_exception_fp_denorm_src 0
		.amdhsa_exception_fp_ieee_div_zero 0
		.amdhsa_exception_fp_ieee_overflow 0
		.amdhsa_exception_fp_ieee_underflow 0
		.amdhsa_exception_fp_ieee_inexact 0
		.amdhsa_exception_int_div_zero 0
	.end_amdhsa_kernel
	.section	.text._ZN7rocprim17ROCPRIM_400000_NS6detail17trampoline_kernelINS0_14default_configENS1_25transform_config_selectorIlLb1EEEZNS1_14transform_implILb1ES3_S5_PlS7_NS0_8identityIlEEEE10hipError_tT2_T3_mT4_P12ihipStream_tbEUlT_E_NS1_11comp_targetILNS1_3genE9ELNS1_11target_archE1100ELNS1_3gpuE3ELNS1_3repE0EEENS1_30default_config_static_selectorELNS0_4arch9wavefront6targetE1EEEvT1_,"axG",@progbits,_ZN7rocprim17ROCPRIM_400000_NS6detail17trampoline_kernelINS0_14default_configENS1_25transform_config_selectorIlLb1EEEZNS1_14transform_implILb1ES3_S5_PlS7_NS0_8identityIlEEEE10hipError_tT2_T3_mT4_P12ihipStream_tbEUlT_E_NS1_11comp_targetILNS1_3genE9ELNS1_11target_archE1100ELNS1_3gpuE3ELNS1_3repE0EEENS1_30default_config_static_selectorELNS0_4arch9wavefront6targetE1EEEvT1_,comdat
.Lfunc_end48:
	.size	_ZN7rocprim17ROCPRIM_400000_NS6detail17trampoline_kernelINS0_14default_configENS1_25transform_config_selectorIlLb1EEEZNS1_14transform_implILb1ES3_S5_PlS7_NS0_8identityIlEEEE10hipError_tT2_T3_mT4_P12ihipStream_tbEUlT_E_NS1_11comp_targetILNS1_3genE9ELNS1_11target_archE1100ELNS1_3gpuE3ELNS1_3repE0EEENS1_30default_config_static_selectorELNS0_4arch9wavefront6targetE1EEEvT1_, .Lfunc_end48-_ZN7rocprim17ROCPRIM_400000_NS6detail17trampoline_kernelINS0_14default_configENS1_25transform_config_selectorIlLb1EEEZNS1_14transform_implILb1ES3_S5_PlS7_NS0_8identityIlEEEE10hipError_tT2_T3_mT4_P12ihipStream_tbEUlT_E_NS1_11comp_targetILNS1_3genE9ELNS1_11target_archE1100ELNS1_3gpuE3ELNS1_3repE0EEENS1_30default_config_static_selectorELNS0_4arch9wavefront6targetE1EEEvT1_
                                        ; -- End function
	.set _ZN7rocprim17ROCPRIM_400000_NS6detail17trampoline_kernelINS0_14default_configENS1_25transform_config_selectorIlLb1EEEZNS1_14transform_implILb1ES3_S5_PlS7_NS0_8identityIlEEEE10hipError_tT2_T3_mT4_P12ihipStream_tbEUlT_E_NS1_11comp_targetILNS1_3genE9ELNS1_11target_archE1100ELNS1_3gpuE3ELNS1_3repE0EEENS1_30default_config_static_selectorELNS0_4arch9wavefront6targetE1EEEvT1_.num_vgpr, 0
	.set _ZN7rocprim17ROCPRIM_400000_NS6detail17trampoline_kernelINS0_14default_configENS1_25transform_config_selectorIlLb1EEEZNS1_14transform_implILb1ES3_S5_PlS7_NS0_8identityIlEEEE10hipError_tT2_T3_mT4_P12ihipStream_tbEUlT_E_NS1_11comp_targetILNS1_3genE9ELNS1_11target_archE1100ELNS1_3gpuE3ELNS1_3repE0EEENS1_30default_config_static_selectorELNS0_4arch9wavefront6targetE1EEEvT1_.num_agpr, 0
	.set _ZN7rocprim17ROCPRIM_400000_NS6detail17trampoline_kernelINS0_14default_configENS1_25transform_config_selectorIlLb1EEEZNS1_14transform_implILb1ES3_S5_PlS7_NS0_8identityIlEEEE10hipError_tT2_T3_mT4_P12ihipStream_tbEUlT_E_NS1_11comp_targetILNS1_3genE9ELNS1_11target_archE1100ELNS1_3gpuE3ELNS1_3repE0EEENS1_30default_config_static_selectorELNS0_4arch9wavefront6targetE1EEEvT1_.numbered_sgpr, 0
	.set _ZN7rocprim17ROCPRIM_400000_NS6detail17trampoline_kernelINS0_14default_configENS1_25transform_config_selectorIlLb1EEEZNS1_14transform_implILb1ES3_S5_PlS7_NS0_8identityIlEEEE10hipError_tT2_T3_mT4_P12ihipStream_tbEUlT_E_NS1_11comp_targetILNS1_3genE9ELNS1_11target_archE1100ELNS1_3gpuE3ELNS1_3repE0EEENS1_30default_config_static_selectorELNS0_4arch9wavefront6targetE1EEEvT1_.num_named_barrier, 0
	.set _ZN7rocprim17ROCPRIM_400000_NS6detail17trampoline_kernelINS0_14default_configENS1_25transform_config_selectorIlLb1EEEZNS1_14transform_implILb1ES3_S5_PlS7_NS0_8identityIlEEEE10hipError_tT2_T3_mT4_P12ihipStream_tbEUlT_E_NS1_11comp_targetILNS1_3genE9ELNS1_11target_archE1100ELNS1_3gpuE3ELNS1_3repE0EEENS1_30default_config_static_selectorELNS0_4arch9wavefront6targetE1EEEvT1_.private_seg_size, 0
	.set _ZN7rocprim17ROCPRIM_400000_NS6detail17trampoline_kernelINS0_14default_configENS1_25transform_config_selectorIlLb1EEEZNS1_14transform_implILb1ES3_S5_PlS7_NS0_8identityIlEEEE10hipError_tT2_T3_mT4_P12ihipStream_tbEUlT_E_NS1_11comp_targetILNS1_3genE9ELNS1_11target_archE1100ELNS1_3gpuE3ELNS1_3repE0EEENS1_30default_config_static_selectorELNS0_4arch9wavefront6targetE1EEEvT1_.uses_vcc, 0
	.set _ZN7rocprim17ROCPRIM_400000_NS6detail17trampoline_kernelINS0_14default_configENS1_25transform_config_selectorIlLb1EEEZNS1_14transform_implILb1ES3_S5_PlS7_NS0_8identityIlEEEE10hipError_tT2_T3_mT4_P12ihipStream_tbEUlT_E_NS1_11comp_targetILNS1_3genE9ELNS1_11target_archE1100ELNS1_3gpuE3ELNS1_3repE0EEENS1_30default_config_static_selectorELNS0_4arch9wavefront6targetE1EEEvT1_.uses_flat_scratch, 0
	.set _ZN7rocprim17ROCPRIM_400000_NS6detail17trampoline_kernelINS0_14default_configENS1_25transform_config_selectorIlLb1EEEZNS1_14transform_implILb1ES3_S5_PlS7_NS0_8identityIlEEEE10hipError_tT2_T3_mT4_P12ihipStream_tbEUlT_E_NS1_11comp_targetILNS1_3genE9ELNS1_11target_archE1100ELNS1_3gpuE3ELNS1_3repE0EEENS1_30default_config_static_selectorELNS0_4arch9wavefront6targetE1EEEvT1_.has_dyn_sized_stack, 0
	.set _ZN7rocprim17ROCPRIM_400000_NS6detail17trampoline_kernelINS0_14default_configENS1_25transform_config_selectorIlLb1EEEZNS1_14transform_implILb1ES3_S5_PlS7_NS0_8identityIlEEEE10hipError_tT2_T3_mT4_P12ihipStream_tbEUlT_E_NS1_11comp_targetILNS1_3genE9ELNS1_11target_archE1100ELNS1_3gpuE3ELNS1_3repE0EEENS1_30default_config_static_selectorELNS0_4arch9wavefront6targetE1EEEvT1_.has_recursion, 0
	.set _ZN7rocprim17ROCPRIM_400000_NS6detail17trampoline_kernelINS0_14default_configENS1_25transform_config_selectorIlLb1EEEZNS1_14transform_implILb1ES3_S5_PlS7_NS0_8identityIlEEEE10hipError_tT2_T3_mT4_P12ihipStream_tbEUlT_E_NS1_11comp_targetILNS1_3genE9ELNS1_11target_archE1100ELNS1_3gpuE3ELNS1_3repE0EEENS1_30default_config_static_selectorELNS0_4arch9wavefront6targetE1EEEvT1_.has_indirect_call, 0
	.section	.AMDGPU.csdata,"",@progbits
; Kernel info:
; codeLenInByte = 0
; TotalNumSgprs: 6
; NumVgprs: 0
; NumAgprs: 0
; TotalNumVgprs: 0
; ScratchSize: 0
; MemoryBound: 0
; FloatMode: 240
; IeeeMode: 1
; LDSByteSize: 0 bytes/workgroup (compile time only)
; SGPRBlocks: 0
; VGPRBlocks: 0
; NumSGPRsForWavesPerEU: 6
; NumVGPRsForWavesPerEU: 1
; AccumOffset: 4
; Occupancy: 8
; WaveLimiterHint : 0
; COMPUTE_PGM_RSRC2:SCRATCH_EN: 0
; COMPUTE_PGM_RSRC2:USER_SGPR: 2
; COMPUTE_PGM_RSRC2:TRAP_HANDLER: 0
; COMPUTE_PGM_RSRC2:TGID_X_EN: 1
; COMPUTE_PGM_RSRC2:TGID_Y_EN: 0
; COMPUTE_PGM_RSRC2:TGID_Z_EN: 0
; COMPUTE_PGM_RSRC2:TIDIG_COMP_CNT: 0
; COMPUTE_PGM_RSRC3_GFX90A:ACCUM_OFFSET: 0
; COMPUTE_PGM_RSRC3_GFX90A:TG_SPLIT: 0
	.section	.text._ZN7rocprim17ROCPRIM_400000_NS6detail17trampoline_kernelINS0_14default_configENS1_25transform_config_selectorIlLb1EEEZNS1_14transform_implILb1ES3_S5_PlS7_NS0_8identityIlEEEE10hipError_tT2_T3_mT4_P12ihipStream_tbEUlT_E_NS1_11comp_targetILNS1_3genE8ELNS1_11target_archE1030ELNS1_3gpuE2ELNS1_3repE0EEENS1_30default_config_static_selectorELNS0_4arch9wavefront6targetE1EEEvT1_,"axG",@progbits,_ZN7rocprim17ROCPRIM_400000_NS6detail17trampoline_kernelINS0_14default_configENS1_25transform_config_selectorIlLb1EEEZNS1_14transform_implILb1ES3_S5_PlS7_NS0_8identityIlEEEE10hipError_tT2_T3_mT4_P12ihipStream_tbEUlT_E_NS1_11comp_targetILNS1_3genE8ELNS1_11target_archE1030ELNS1_3gpuE2ELNS1_3repE0EEENS1_30default_config_static_selectorELNS0_4arch9wavefront6targetE1EEEvT1_,comdat
	.protected	_ZN7rocprim17ROCPRIM_400000_NS6detail17trampoline_kernelINS0_14default_configENS1_25transform_config_selectorIlLb1EEEZNS1_14transform_implILb1ES3_S5_PlS7_NS0_8identityIlEEEE10hipError_tT2_T3_mT4_P12ihipStream_tbEUlT_E_NS1_11comp_targetILNS1_3genE8ELNS1_11target_archE1030ELNS1_3gpuE2ELNS1_3repE0EEENS1_30default_config_static_selectorELNS0_4arch9wavefront6targetE1EEEvT1_ ; -- Begin function _ZN7rocprim17ROCPRIM_400000_NS6detail17trampoline_kernelINS0_14default_configENS1_25transform_config_selectorIlLb1EEEZNS1_14transform_implILb1ES3_S5_PlS7_NS0_8identityIlEEEE10hipError_tT2_T3_mT4_P12ihipStream_tbEUlT_E_NS1_11comp_targetILNS1_3genE8ELNS1_11target_archE1030ELNS1_3gpuE2ELNS1_3repE0EEENS1_30default_config_static_selectorELNS0_4arch9wavefront6targetE1EEEvT1_
	.globl	_ZN7rocprim17ROCPRIM_400000_NS6detail17trampoline_kernelINS0_14default_configENS1_25transform_config_selectorIlLb1EEEZNS1_14transform_implILb1ES3_S5_PlS7_NS0_8identityIlEEEE10hipError_tT2_T3_mT4_P12ihipStream_tbEUlT_E_NS1_11comp_targetILNS1_3genE8ELNS1_11target_archE1030ELNS1_3gpuE2ELNS1_3repE0EEENS1_30default_config_static_selectorELNS0_4arch9wavefront6targetE1EEEvT1_
	.p2align	8
	.type	_ZN7rocprim17ROCPRIM_400000_NS6detail17trampoline_kernelINS0_14default_configENS1_25transform_config_selectorIlLb1EEEZNS1_14transform_implILb1ES3_S5_PlS7_NS0_8identityIlEEEE10hipError_tT2_T3_mT4_P12ihipStream_tbEUlT_E_NS1_11comp_targetILNS1_3genE8ELNS1_11target_archE1030ELNS1_3gpuE2ELNS1_3repE0EEENS1_30default_config_static_selectorELNS0_4arch9wavefront6targetE1EEEvT1_,@function
_ZN7rocprim17ROCPRIM_400000_NS6detail17trampoline_kernelINS0_14default_configENS1_25transform_config_selectorIlLb1EEEZNS1_14transform_implILb1ES3_S5_PlS7_NS0_8identityIlEEEE10hipError_tT2_T3_mT4_P12ihipStream_tbEUlT_E_NS1_11comp_targetILNS1_3genE8ELNS1_11target_archE1030ELNS1_3gpuE2ELNS1_3repE0EEENS1_30default_config_static_selectorELNS0_4arch9wavefront6targetE1EEEvT1_: ; @_ZN7rocprim17ROCPRIM_400000_NS6detail17trampoline_kernelINS0_14default_configENS1_25transform_config_selectorIlLb1EEEZNS1_14transform_implILb1ES3_S5_PlS7_NS0_8identityIlEEEE10hipError_tT2_T3_mT4_P12ihipStream_tbEUlT_E_NS1_11comp_targetILNS1_3genE8ELNS1_11target_archE1030ELNS1_3gpuE2ELNS1_3repE0EEENS1_30default_config_static_selectorELNS0_4arch9wavefront6targetE1EEEvT1_
; %bb.0:
	.section	.rodata,"a",@progbits
	.p2align	6, 0x0
	.amdhsa_kernel _ZN7rocprim17ROCPRIM_400000_NS6detail17trampoline_kernelINS0_14default_configENS1_25transform_config_selectorIlLb1EEEZNS1_14transform_implILb1ES3_S5_PlS7_NS0_8identityIlEEEE10hipError_tT2_T3_mT4_P12ihipStream_tbEUlT_E_NS1_11comp_targetILNS1_3genE8ELNS1_11target_archE1030ELNS1_3gpuE2ELNS1_3repE0EEENS1_30default_config_static_selectorELNS0_4arch9wavefront6targetE1EEEvT1_
		.amdhsa_group_segment_fixed_size 0
		.amdhsa_private_segment_fixed_size 0
		.amdhsa_kernarg_size 40
		.amdhsa_user_sgpr_count 2
		.amdhsa_user_sgpr_dispatch_ptr 0
		.amdhsa_user_sgpr_queue_ptr 0
		.amdhsa_user_sgpr_kernarg_segment_ptr 1
		.amdhsa_user_sgpr_dispatch_id 0
		.amdhsa_user_sgpr_kernarg_preload_length 0
		.amdhsa_user_sgpr_kernarg_preload_offset 0
		.amdhsa_user_sgpr_private_segment_size 0
		.amdhsa_uses_dynamic_stack 0
		.amdhsa_enable_private_segment 0
		.amdhsa_system_sgpr_workgroup_id_x 1
		.amdhsa_system_sgpr_workgroup_id_y 0
		.amdhsa_system_sgpr_workgroup_id_z 0
		.amdhsa_system_sgpr_workgroup_info 0
		.amdhsa_system_vgpr_workitem_id 0
		.amdhsa_next_free_vgpr 1
		.amdhsa_next_free_sgpr 0
		.amdhsa_accum_offset 4
		.amdhsa_reserve_vcc 0
		.amdhsa_float_round_mode_32 0
		.amdhsa_float_round_mode_16_64 0
		.amdhsa_float_denorm_mode_32 3
		.amdhsa_float_denorm_mode_16_64 3
		.amdhsa_dx10_clamp 1
		.amdhsa_ieee_mode 1
		.amdhsa_fp16_overflow 0
		.amdhsa_tg_split 0
		.amdhsa_exception_fp_ieee_invalid_op 0
		.amdhsa_exception_fp_denorm_src 0
		.amdhsa_exception_fp_ieee_div_zero 0
		.amdhsa_exception_fp_ieee_overflow 0
		.amdhsa_exception_fp_ieee_underflow 0
		.amdhsa_exception_fp_ieee_inexact 0
		.amdhsa_exception_int_div_zero 0
	.end_amdhsa_kernel
	.section	.text._ZN7rocprim17ROCPRIM_400000_NS6detail17trampoline_kernelINS0_14default_configENS1_25transform_config_selectorIlLb1EEEZNS1_14transform_implILb1ES3_S5_PlS7_NS0_8identityIlEEEE10hipError_tT2_T3_mT4_P12ihipStream_tbEUlT_E_NS1_11comp_targetILNS1_3genE8ELNS1_11target_archE1030ELNS1_3gpuE2ELNS1_3repE0EEENS1_30default_config_static_selectorELNS0_4arch9wavefront6targetE1EEEvT1_,"axG",@progbits,_ZN7rocprim17ROCPRIM_400000_NS6detail17trampoline_kernelINS0_14default_configENS1_25transform_config_selectorIlLb1EEEZNS1_14transform_implILb1ES3_S5_PlS7_NS0_8identityIlEEEE10hipError_tT2_T3_mT4_P12ihipStream_tbEUlT_E_NS1_11comp_targetILNS1_3genE8ELNS1_11target_archE1030ELNS1_3gpuE2ELNS1_3repE0EEENS1_30default_config_static_selectorELNS0_4arch9wavefront6targetE1EEEvT1_,comdat
.Lfunc_end49:
	.size	_ZN7rocprim17ROCPRIM_400000_NS6detail17trampoline_kernelINS0_14default_configENS1_25transform_config_selectorIlLb1EEEZNS1_14transform_implILb1ES3_S5_PlS7_NS0_8identityIlEEEE10hipError_tT2_T3_mT4_P12ihipStream_tbEUlT_E_NS1_11comp_targetILNS1_3genE8ELNS1_11target_archE1030ELNS1_3gpuE2ELNS1_3repE0EEENS1_30default_config_static_selectorELNS0_4arch9wavefront6targetE1EEEvT1_, .Lfunc_end49-_ZN7rocprim17ROCPRIM_400000_NS6detail17trampoline_kernelINS0_14default_configENS1_25transform_config_selectorIlLb1EEEZNS1_14transform_implILb1ES3_S5_PlS7_NS0_8identityIlEEEE10hipError_tT2_T3_mT4_P12ihipStream_tbEUlT_E_NS1_11comp_targetILNS1_3genE8ELNS1_11target_archE1030ELNS1_3gpuE2ELNS1_3repE0EEENS1_30default_config_static_selectorELNS0_4arch9wavefront6targetE1EEEvT1_
                                        ; -- End function
	.set _ZN7rocprim17ROCPRIM_400000_NS6detail17trampoline_kernelINS0_14default_configENS1_25transform_config_selectorIlLb1EEEZNS1_14transform_implILb1ES3_S5_PlS7_NS0_8identityIlEEEE10hipError_tT2_T3_mT4_P12ihipStream_tbEUlT_E_NS1_11comp_targetILNS1_3genE8ELNS1_11target_archE1030ELNS1_3gpuE2ELNS1_3repE0EEENS1_30default_config_static_selectorELNS0_4arch9wavefront6targetE1EEEvT1_.num_vgpr, 0
	.set _ZN7rocprim17ROCPRIM_400000_NS6detail17trampoline_kernelINS0_14default_configENS1_25transform_config_selectorIlLb1EEEZNS1_14transform_implILb1ES3_S5_PlS7_NS0_8identityIlEEEE10hipError_tT2_T3_mT4_P12ihipStream_tbEUlT_E_NS1_11comp_targetILNS1_3genE8ELNS1_11target_archE1030ELNS1_3gpuE2ELNS1_3repE0EEENS1_30default_config_static_selectorELNS0_4arch9wavefront6targetE1EEEvT1_.num_agpr, 0
	.set _ZN7rocprim17ROCPRIM_400000_NS6detail17trampoline_kernelINS0_14default_configENS1_25transform_config_selectorIlLb1EEEZNS1_14transform_implILb1ES3_S5_PlS7_NS0_8identityIlEEEE10hipError_tT2_T3_mT4_P12ihipStream_tbEUlT_E_NS1_11comp_targetILNS1_3genE8ELNS1_11target_archE1030ELNS1_3gpuE2ELNS1_3repE0EEENS1_30default_config_static_selectorELNS0_4arch9wavefront6targetE1EEEvT1_.numbered_sgpr, 0
	.set _ZN7rocprim17ROCPRIM_400000_NS6detail17trampoline_kernelINS0_14default_configENS1_25transform_config_selectorIlLb1EEEZNS1_14transform_implILb1ES3_S5_PlS7_NS0_8identityIlEEEE10hipError_tT2_T3_mT4_P12ihipStream_tbEUlT_E_NS1_11comp_targetILNS1_3genE8ELNS1_11target_archE1030ELNS1_3gpuE2ELNS1_3repE0EEENS1_30default_config_static_selectorELNS0_4arch9wavefront6targetE1EEEvT1_.num_named_barrier, 0
	.set _ZN7rocprim17ROCPRIM_400000_NS6detail17trampoline_kernelINS0_14default_configENS1_25transform_config_selectorIlLb1EEEZNS1_14transform_implILb1ES3_S5_PlS7_NS0_8identityIlEEEE10hipError_tT2_T3_mT4_P12ihipStream_tbEUlT_E_NS1_11comp_targetILNS1_3genE8ELNS1_11target_archE1030ELNS1_3gpuE2ELNS1_3repE0EEENS1_30default_config_static_selectorELNS0_4arch9wavefront6targetE1EEEvT1_.private_seg_size, 0
	.set _ZN7rocprim17ROCPRIM_400000_NS6detail17trampoline_kernelINS0_14default_configENS1_25transform_config_selectorIlLb1EEEZNS1_14transform_implILb1ES3_S5_PlS7_NS0_8identityIlEEEE10hipError_tT2_T3_mT4_P12ihipStream_tbEUlT_E_NS1_11comp_targetILNS1_3genE8ELNS1_11target_archE1030ELNS1_3gpuE2ELNS1_3repE0EEENS1_30default_config_static_selectorELNS0_4arch9wavefront6targetE1EEEvT1_.uses_vcc, 0
	.set _ZN7rocprim17ROCPRIM_400000_NS6detail17trampoline_kernelINS0_14default_configENS1_25transform_config_selectorIlLb1EEEZNS1_14transform_implILb1ES3_S5_PlS7_NS0_8identityIlEEEE10hipError_tT2_T3_mT4_P12ihipStream_tbEUlT_E_NS1_11comp_targetILNS1_3genE8ELNS1_11target_archE1030ELNS1_3gpuE2ELNS1_3repE0EEENS1_30default_config_static_selectorELNS0_4arch9wavefront6targetE1EEEvT1_.uses_flat_scratch, 0
	.set _ZN7rocprim17ROCPRIM_400000_NS6detail17trampoline_kernelINS0_14default_configENS1_25transform_config_selectorIlLb1EEEZNS1_14transform_implILb1ES3_S5_PlS7_NS0_8identityIlEEEE10hipError_tT2_T3_mT4_P12ihipStream_tbEUlT_E_NS1_11comp_targetILNS1_3genE8ELNS1_11target_archE1030ELNS1_3gpuE2ELNS1_3repE0EEENS1_30default_config_static_selectorELNS0_4arch9wavefront6targetE1EEEvT1_.has_dyn_sized_stack, 0
	.set _ZN7rocprim17ROCPRIM_400000_NS6detail17trampoline_kernelINS0_14default_configENS1_25transform_config_selectorIlLb1EEEZNS1_14transform_implILb1ES3_S5_PlS7_NS0_8identityIlEEEE10hipError_tT2_T3_mT4_P12ihipStream_tbEUlT_E_NS1_11comp_targetILNS1_3genE8ELNS1_11target_archE1030ELNS1_3gpuE2ELNS1_3repE0EEENS1_30default_config_static_selectorELNS0_4arch9wavefront6targetE1EEEvT1_.has_recursion, 0
	.set _ZN7rocprim17ROCPRIM_400000_NS6detail17trampoline_kernelINS0_14default_configENS1_25transform_config_selectorIlLb1EEEZNS1_14transform_implILb1ES3_S5_PlS7_NS0_8identityIlEEEE10hipError_tT2_T3_mT4_P12ihipStream_tbEUlT_E_NS1_11comp_targetILNS1_3genE8ELNS1_11target_archE1030ELNS1_3gpuE2ELNS1_3repE0EEENS1_30default_config_static_selectorELNS0_4arch9wavefront6targetE1EEEvT1_.has_indirect_call, 0
	.section	.AMDGPU.csdata,"",@progbits
; Kernel info:
; codeLenInByte = 0
; TotalNumSgprs: 6
; NumVgprs: 0
; NumAgprs: 0
; TotalNumVgprs: 0
; ScratchSize: 0
; MemoryBound: 0
; FloatMode: 240
; IeeeMode: 1
; LDSByteSize: 0 bytes/workgroup (compile time only)
; SGPRBlocks: 0
; VGPRBlocks: 0
; NumSGPRsForWavesPerEU: 6
; NumVGPRsForWavesPerEU: 1
; AccumOffset: 4
; Occupancy: 8
; WaveLimiterHint : 0
; COMPUTE_PGM_RSRC2:SCRATCH_EN: 0
; COMPUTE_PGM_RSRC2:USER_SGPR: 2
; COMPUTE_PGM_RSRC2:TRAP_HANDLER: 0
; COMPUTE_PGM_RSRC2:TGID_X_EN: 1
; COMPUTE_PGM_RSRC2:TGID_Y_EN: 0
; COMPUTE_PGM_RSRC2:TGID_Z_EN: 0
; COMPUTE_PGM_RSRC2:TIDIG_COMP_CNT: 0
; COMPUTE_PGM_RSRC3_GFX90A:ACCUM_OFFSET: 0
; COMPUTE_PGM_RSRC3_GFX90A:TG_SPLIT: 0
	.section	.text._ZN7rocprim17ROCPRIM_400000_NS6detail17trampoline_kernelINS0_14default_configENS1_25transform_config_selectorINS0_10empty_typeELb1EEEZNS1_14transform_implILb1ES3_S6_PS5_S8_NS0_8identityIS5_EEEE10hipError_tT2_T3_mT4_P12ihipStream_tbEUlT_E_NS1_11comp_targetILNS1_3genE0ELNS1_11target_archE4294967295ELNS1_3gpuE0ELNS1_3repE0EEENS1_30default_config_static_selectorELNS0_4arch9wavefront6targetE1EEEvT1_,"axG",@progbits,_ZN7rocprim17ROCPRIM_400000_NS6detail17trampoline_kernelINS0_14default_configENS1_25transform_config_selectorINS0_10empty_typeELb1EEEZNS1_14transform_implILb1ES3_S6_PS5_S8_NS0_8identityIS5_EEEE10hipError_tT2_T3_mT4_P12ihipStream_tbEUlT_E_NS1_11comp_targetILNS1_3genE0ELNS1_11target_archE4294967295ELNS1_3gpuE0ELNS1_3repE0EEENS1_30default_config_static_selectorELNS0_4arch9wavefront6targetE1EEEvT1_,comdat
	.protected	_ZN7rocprim17ROCPRIM_400000_NS6detail17trampoline_kernelINS0_14default_configENS1_25transform_config_selectorINS0_10empty_typeELb1EEEZNS1_14transform_implILb1ES3_S6_PS5_S8_NS0_8identityIS5_EEEE10hipError_tT2_T3_mT4_P12ihipStream_tbEUlT_E_NS1_11comp_targetILNS1_3genE0ELNS1_11target_archE4294967295ELNS1_3gpuE0ELNS1_3repE0EEENS1_30default_config_static_selectorELNS0_4arch9wavefront6targetE1EEEvT1_ ; -- Begin function _ZN7rocprim17ROCPRIM_400000_NS6detail17trampoline_kernelINS0_14default_configENS1_25transform_config_selectorINS0_10empty_typeELb1EEEZNS1_14transform_implILb1ES3_S6_PS5_S8_NS0_8identityIS5_EEEE10hipError_tT2_T3_mT4_P12ihipStream_tbEUlT_E_NS1_11comp_targetILNS1_3genE0ELNS1_11target_archE4294967295ELNS1_3gpuE0ELNS1_3repE0EEENS1_30default_config_static_selectorELNS0_4arch9wavefront6targetE1EEEvT1_
	.globl	_ZN7rocprim17ROCPRIM_400000_NS6detail17trampoline_kernelINS0_14default_configENS1_25transform_config_selectorINS0_10empty_typeELb1EEEZNS1_14transform_implILb1ES3_S6_PS5_S8_NS0_8identityIS5_EEEE10hipError_tT2_T3_mT4_P12ihipStream_tbEUlT_E_NS1_11comp_targetILNS1_3genE0ELNS1_11target_archE4294967295ELNS1_3gpuE0ELNS1_3repE0EEENS1_30default_config_static_selectorELNS0_4arch9wavefront6targetE1EEEvT1_
	.p2align	8
	.type	_ZN7rocprim17ROCPRIM_400000_NS6detail17trampoline_kernelINS0_14default_configENS1_25transform_config_selectorINS0_10empty_typeELb1EEEZNS1_14transform_implILb1ES3_S6_PS5_S8_NS0_8identityIS5_EEEE10hipError_tT2_T3_mT4_P12ihipStream_tbEUlT_E_NS1_11comp_targetILNS1_3genE0ELNS1_11target_archE4294967295ELNS1_3gpuE0ELNS1_3repE0EEENS1_30default_config_static_selectorELNS0_4arch9wavefront6targetE1EEEvT1_,@function
_ZN7rocprim17ROCPRIM_400000_NS6detail17trampoline_kernelINS0_14default_configENS1_25transform_config_selectorINS0_10empty_typeELb1EEEZNS1_14transform_implILb1ES3_S6_PS5_S8_NS0_8identityIS5_EEEE10hipError_tT2_T3_mT4_P12ihipStream_tbEUlT_E_NS1_11comp_targetILNS1_3genE0ELNS1_11target_archE4294967295ELNS1_3gpuE0ELNS1_3repE0EEENS1_30default_config_static_selectorELNS0_4arch9wavefront6targetE1EEEvT1_: ; @_ZN7rocprim17ROCPRIM_400000_NS6detail17trampoline_kernelINS0_14default_configENS1_25transform_config_selectorINS0_10empty_typeELb1EEEZNS1_14transform_implILb1ES3_S6_PS5_S8_NS0_8identityIS5_EEEE10hipError_tT2_T3_mT4_P12ihipStream_tbEUlT_E_NS1_11comp_targetILNS1_3genE0ELNS1_11target_archE4294967295ELNS1_3gpuE0ELNS1_3repE0EEENS1_30default_config_static_selectorELNS0_4arch9wavefront6targetE1EEEvT1_
; %bb.0:
	s_endpgm
	.section	.rodata,"a",@progbits
	.p2align	6, 0x0
	.amdhsa_kernel _ZN7rocprim17ROCPRIM_400000_NS6detail17trampoline_kernelINS0_14default_configENS1_25transform_config_selectorINS0_10empty_typeELb1EEEZNS1_14transform_implILb1ES3_S6_PS5_S8_NS0_8identityIS5_EEEE10hipError_tT2_T3_mT4_P12ihipStream_tbEUlT_E_NS1_11comp_targetILNS1_3genE0ELNS1_11target_archE4294967295ELNS1_3gpuE0ELNS1_3repE0EEENS1_30default_config_static_selectorELNS0_4arch9wavefront6targetE1EEEvT1_
		.amdhsa_group_segment_fixed_size 0
		.amdhsa_private_segment_fixed_size 0
		.amdhsa_kernarg_size 40
		.amdhsa_user_sgpr_count 2
		.amdhsa_user_sgpr_dispatch_ptr 0
		.amdhsa_user_sgpr_queue_ptr 0
		.amdhsa_user_sgpr_kernarg_segment_ptr 1
		.amdhsa_user_sgpr_dispatch_id 0
		.amdhsa_user_sgpr_kernarg_preload_length 0
		.amdhsa_user_sgpr_kernarg_preload_offset 0
		.amdhsa_user_sgpr_private_segment_size 0
		.amdhsa_uses_dynamic_stack 0
		.amdhsa_enable_private_segment 0
		.amdhsa_system_sgpr_workgroup_id_x 1
		.amdhsa_system_sgpr_workgroup_id_y 0
		.amdhsa_system_sgpr_workgroup_id_z 0
		.amdhsa_system_sgpr_workgroup_info 0
		.amdhsa_system_vgpr_workitem_id 0
		.amdhsa_next_free_vgpr 1
		.amdhsa_next_free_sgpr 0
		.amdhsa_accum_offset 4
		.amdhsa_reserve_vcc 0
		.amdhsa_float_round_mode_32 0
		.amdhsa_float_round_mode_16_64 0
		.amdhsa_float_denorm_mode_32 3
		.amdhsa_float_denorm_mode_16_64 3
		.amdhsa_dx10_clamp 1
		.amdhsa_ieee_mode 1
		.amdhsa_fp16_overflow 0
		.amdhsa_tg_split 0
		.amdhsa_exception_fp_ieee_invalid_op 0
		.amdhsa_exception_fp_denorm_src 0
		.amdhsa_exception_fp_ieee_div_zero 0
		.amdhsa_exception_fp_ieee_overflow 0
		.amdhsa_exception_fp_ieee_underflow 0
		.amdhsa_exception_fp_ieee_inexact 0
		.amdhsa_exception_int_div_zero 0
	.end_amdhsa_kernel
	.section	.text._ZN7rocprim17ROCPRIM_400000_NS6detail17trampoline_kernelINS0_14default_configENS1_25transform_config_selectorINS0_10empty_typeELb1EEEZNS1_14transform_implILb1ES3_S6_PS5_S8_NS0_8identityIS5_EEEE10hipError_tT2_T3_mT4_P12ihipStream_tbEUlT_E_NS1_11comp_targetILNS1_3genE0ELNS1_11target_archE4294967295ELNS1_3gpuE0ELNS1_3repE0EEENS1_30default_config_static_selectorELNS0_4arch9wavefront6targetE1EEEvT1_,"axG",@progbits,_ZN7rocprim17ROCPRIM_400000_NS6detail17trampoline_kernelINS0_14default_configENS1_25transform_config_selectorINS0_10empty_typeELb1EEEZNS1_14transform_implILb1ES3_S6_PS5_S8_NS0_8identityIS5_EEEE10hipError_tT2_T3_mT4_P12ihipStream_tbEUlT_E_NS1_11comp_targetILNS1_3genE0ELNS1_11target_archE4294967295ELNS1_3gpuE0ELNS1_3repE0EEENS1_30default_config_static_selectorELNS0_4arch9wavefront6targetE1EEEvT1_,comdat
.Lfunc_end50:
	.size	_ZN7rocprim17ROCPRIM_400000_NS6detail17trampoline_kernelINS0_14default_configENS1_25transform_config_selectorINS0_10empty_typeELb1EEEZNS1_14transform_implILb1ES3_S6_PS5_S8_NS0_8identityIS5_EEEE10hipError_tT2_T3_mT4_P12ihipStream_tbEUlT_E_NS1_11comp_targetILNS1_3genE0ELNS1_11target_archE4294967295ELNS1_3gpuE0ELNS1_3repE0EEENS1_30default_config_static_selectorELNS0_4arch9wavefront6targetE1EEEvT1_, .Lfunc_end50-_ZN7rocprim17ROCPRIM_400000_NS6detail17trampoline_kernelINS0_14default_configENS1_25transform_config_selectorINS0_10empty_typeELb1EEEZNS1_14transform_implILb1ES3_S6_PS5_S8_NS0_8identityIS5_EEEE10hipError_tT2_T3_mT4_P12ihipStream_tbEUlT_E_NS1_11comp_targetILNS1_3genE0ELNS1_11target_archE4294967295ELNS1_3gpuE0ELNS1_3repE0EEENS1_30default_config_static_selectorELNS0_4arch9wavefront6targetE1EEEvT1_
                                        ; -- End function
	.set _ZN7rocprim17ROCPRIM_400000_NS6detail17trampoline_kernelINS0_14default_configENS1_25transform_config_selectorINS0_10empty_typeELb1EEEZNS1_14transform_implILb1ES3_S6_PS5_S8_NS0_8identityIS5_EEEE10hipError_tT2_T3_mT4_P12ihipStream_tbEUlT_E_NS1_11comp_targetILNS1_3genE0ELNS1_11target_archE4294967295ELNS1_3gpuE0ELNS1_3repE0EEENS1_30default_config_static_selectorELNS0_4arch9wavefront6targetE1EEEvT1_.num_vgpr, 0
	.set _ZN7rocprim17ROCPRIM_400000_NS6detail17trampoline_kernelINS0_14default_configENS1_25transform_config_selectorINS0_10empty_typeELb1EEEZNS1_14transform_implILb1ES3_S6_PS5_S8_NS0_8identityIS5_EEEE10hipError_tT2_T3_mT4_P12ihipStream_tbEUlT_E_NS1_11comp_targetILNS1_3genE0ELNS1_11target_archE4294967295ELNS1_3gpuE0ELNS1_3repE0EEENS1_30default_config_static_selectorELNS0_4arch9wavefront6targetE1EEEvT1_.num_agpr, 0
	.set _ZN7rocprim17ROCPRIM_400000_NS6detail17trampoline_kernelINS0_14default_configENS1_25transform_config_selectorINS0_10empty_typeELb1EEEZNS1_14transform_implILb1ES3_S6_PS5_S8_NS0_8identityIS5_EEEE10hipError_tT2_T3_mT4_P12ihipStream_tbEUlT_E_NS1_11comp_targetILNS1_3genE0ELNS1_11target_archE4294967295ELNS1_3gpuE0ELNS1_3repE0EEENS1_30default_config_static_selectorELNS0_4arch9wavefront6targetE1EEEvT1_.numbered_sgpr, 0
	.set _ZN7rocprim17ROCPRIM_400000_NS6detail17trampoline_kernelINS0_14default_configENS1_25transform_config_selectorINS0_10empty_typeELb1EEEZNS1_14transform_implILb1ES3_S6_PS5_S8_NS0_8identityIS5_EEEE10hipError_tT2_T3_mT4_P12ihipStream_tbEUlT_E_NS1_11comp_targetILNS1_3genE0ELNS1_11target_archE4294967295ELNS1_3gpuE0ELNS1_3repE0EEENS1_30default_config_static_selectorELNS0_4arch9wavefront6targetE1EEEvT1_.num_named_barrier, 0
	.set _ZN7rocprim17ROCPRIM_400000_NS6detail17trampoline_kernelINS0_14default_configENS1_25transform_config_selectorINS0_10empty_typeELb1EEEZNS1_14transform_implILb1ES3_S6_PS5_S8_NS0_8identityIS5_EEEE10hipError_tT2_T3_mT4_P12ihipStream_tbEUlT_E_NS1_11comp_targetILNS1_3genE0ELNS1_11target_archE4294967295ELNS1_3gpuE0ELNS1_3repE0EEENS1_30default_config_static_selectorELNS0_4arch9wavefront6targetE1EEEvT1_.private_seg_size, 0
	.set _ZN7rocprim17ROCPRIM_400000_NS6detail17trampoline_kernelINS0_14default_configENS1_25transform_config_selectorINS0_10empty_typeELb1EEEZNS1_14transform_implILb1ES3_S6_PS5_S8_NS0_8identityIS5_EEEE10hipError_tT2_T3_mT4_P12ihipStream_tbEUlT_E_NS1_11comp_targetILNS1_3genE0ELNS1_11target_archE4294967295ELNS1_3gpuE0ELNS1_3repE0EEENS1_30default_config_static_selectorELNS0_4arch9wavefront6targetE1EEEvT1_.uses_vcc, 0
	.set _ZN7rocprim17ROCPRIM_400000_NS6detail17trampoline_kernelINS0_14default_configENS1_25transform_config_selectorINS0_10empty_typeELb1EEEZNS1_14transform_implILb1ES3_S6_PS5_S8_NS0_8identityIS5_EEEE10hipError_tT2_T3_mT4_P12ihipStream_tbEUlT_E_NS1_11comp_targetILNS1_3genE0ELNS1_11target_archE4294967295ELNS1_3gpuE0ELNS1_3repE0EEENS1_30default_config_static_selectorELNS0_4arch9wavefront6targetE1EEEvT1_.uses_flat_scratch, 0
	.set _ZN7rocprim17ROCPRIM_400000_NS6detail17trampoline_kernelINS0_14default_configENS1_25transform_config_selectorINS0_10empty_typeELb1EEEZNS1_14transform_implILb1ES3_S6_PS5_S8_NS0_8identityIS5_EEEE10hipError_tT2_T3_mT4_P12ihipStream_tbEUlT_E_NS1_11comp_targetILNS1_3genE0ELNS1_11target_archE4294967295ELNS1_3gpuE0ELNS1_3repE0EEENS1_30default_config_static_selectorELNS0_4arch9wavefront6targetE1EEEvT1_.has_dyn_sized_stack, 0
	.set _ZN7rocprim17ROCPRIM_400000_NS6detail17trampoline_kernelINS0_14default_configENS1_25transform_config_selectorINS0_10empty_typeELb1EEEZNS1_14transform_implILb1ES3_S6_PS5_S8_NS0_8identityIS5_EEEE10hipError_tT2_T3_mT4_P12ihipStream_tbEUlT_E_NS1_11comp_targetILNS1_3genE0ELNS1_11target_archE4294967295ELNS1_3gpuE0ELNS1_3repE0EEENS1_30default_config_static_selectorELNS0_4arch9wavefront6targetE1EEEvT1_.has_recursion, 0
	.set _ZN7rocprim17ROCPRIM_400000_NS6detail17trampoline_kernelINS0_14default_configENS1_25transform_config_selectorINS0_10empty_typeELb1EEEZNS1_14transform_implILb1ES3_S6_PS5_S8_NS0_8identityIS5_EEEE10hipError_tT2_T3_mT4_P12ihipStream_tbEUlT_E_NS1_11comp_targetILNS1_3genE0ELNS1_11target_archE4294967295ELNS1_3gpuE0ELNS1_3repE0EEENS1_30default_config_static_selectorELNS0_4arch9wavefront6targetE1EEEvT1_.has_indirect_call, 0
	.section	.AMDGPU.csdata,"",@progbits
; Kernel info:
; codeLenInByte = 4
; TotalNumSgprs: 6
; NumVgprs: 0
; NumAgprs: 0
; TotalNumVgprs: 0
; ScratchSize: 0
; MemoryBound: 0
; FloatMode: 240
; IeeeMode: 1
; LDSByteSize: 0 bytes/workgroup (compile time only)
; SGPRBlocks: 0
; VGPRBlocks: 0
; NumSGPRsForWavesPerEU: 6
; NumVGPRsForWavesPerEU: 1
; AccumOffset: 4
; Occupancy: 8
; WaveLimiterHint : 0
; COMPUTE_PGM_RSRC2:SCRATCH_EN: 0
; COMPUTE_PGM_RSRC2:USER_SGPR: 2
; COMPUTE_PGM_RSRC2:TRAP_HANDLER: 0
; COMPUTE_PGM_RSRC2:TGID_X_EN: 1
; COMPUTE_PGM_RSRC2:TGID_Y_EN: 0
; COMPUTE_PGM_RSRC2:TGID_Z_EN: 0
; COMPUTE_PGM_RSRC2:TIDIG_COMP_CNT: 0
; COMPUTE_PGM_RSRC3_GFX90A:ACCUM_OFFSET: 0
; COMPUTE_PGM_RSRC3_GFX90A:TG_SPLIT: 0
	.section	.text._ZN7rocprim17ROCPRIM_400000_NS6detail17trampoline_kernelINS0_14default_configENS1_25transform_config_selectorINS0_10empty_typeELb1EEEZNS1_14transform_implILb1ES3_S6_PS5_S8_NS0_8identityIS5_EEEE10hipError_tT2_T3_mT4_P12ihipStream_tbEUlT_E_NS1_11comp_targetILNS1_3genE10ELNS1_11target_archE1201ELNS1_3gpuE5ELNS1_3repE0EEENS1_30default_config_static_selectorELNS0_4arch9wavefront6targetE1EEEvT1_,"axG",@progbits,_ZN7rocprim17ROCPRIM_400000_NS6detail17trampoline_kernelINS0_14default_configENS1_25transform_config_selectorINS0_10empty_typeELb1EEEZNS1_14transform_implILb1ES3_S6_PS5_S8_NS0_8identityIS5_EEEE10hipError_tT2_T3_mT4_P12ihipStream_tbEUlT_E_NS1_11comp_targetILNS1_3genE10ELNS1_11target_archE1201ELNS1_3gpuE5ELNS1_3repE0EEENS1_30default_config_static_selectorELNS0_4arch9wavefront6targetE1EEEvT1_,comdat
	.protected	_ZN7rocprim17ROCPRIM_400000_NS6detail17trampoline_kernelINS0_14default_configENS1_25transform_config_selectorINS0_10empty_typeELb1EEEZNS1_14transform_implILb1ES3_S6_PS5_S8_NS0_8identityIS5_EEEE10hipError_tT2_T3_mT4_P12ihipStream_tbEUlT_E_NS1_11comp_targetILNS1_3genE10ELNS1_11target_archE1201ELNS1_3gpuE5ELNS1_3repE0EEENS1_30default_config_static_selectorELNS0_4arch9wavefront6targetE1EEEvT1_ ; -- Begin function _ZN7rocprim17ROCPRIM_400000_NS6detail17trampoline_kernelINS0_14default_configENS1_25transform_config_selectorINS0_10empty_typeELb1EEEZNS1_14transform_implILb1ES3_S6_PS5_S8_NS0_8identityIS5_EEEE10hipError_tT2_T3_mT4_P12ihipStream_tbEUlT_E_NS1_11comp_targetILNS1_3genE10ELNS1_11target_archE1201ELNS1_3gpuE5ELNS1_3repE0EEENS1_30default_config_static_selectorELNS0_4arch9wavefront6targetE1EEEvT1_
	.globl	_ZN7rocprim17ROCPRIM_400000_NS6detail17trampoline_kernelINS0_14default_configENS1_25transform_config_selectorINS0_10empty_typeELb1EEEZNS1_14transform_implILb1ES3_S6_PS5_S8_NS0_8identityIS5_EEEE10hipError_tT2_T3_mT4_P12ihipStream_tbEUlT_E_NS1_11comp_targetILNS1_3genE10ELNS1_11target_archE1201ELNS1_3gpuE5ELNS1_3repE0EEENS1_30default_config_static_selectorELNS0_4arch9wavefront6targetE1EEEvT1_
	.p2align	8
	.type	_ZN7rocprim17ROCPRIM_400000_NS6detail17trampoline_kernelINS0_14default_configENS1_25transform_config_selectorINS0_10empty_typeELb1EEEZNS1_14transform_implILb1ES3_S6_PS5_S8_NS0_8identityIS5_EEEE10hipError_tT2_T3_mT4_P12ihipStream_tbEUlT_E_NS1_11comp_targetILNS1_3genE10ELNS1_11target_archE1201ELNS1_3gpuE5ELNS1_3repE0EEENS1_30default_config_static_selectorELNS0_4arch9wavefront6targetE1EEEvT1_,@function
_ZN7rocprim17ROCPRIM_400000_NS6detail17trampoline_kernelINS0_14default_configENS1_25transform_config_selectorINS0_10empty_typeELb1EEEZNS1_14transform_implILb1ES3_S6_PS5_S8_NS0_8identityIS5_EEEE10hipError_tT2_T3_mT4_P12ihipStream_tbEUlT_E_NS1_11comp_targetILNS1_3genE10ELNS1_11target_archE1201ELNS1_3gpuE5ELNS1_3repE0EEENS1_30default_config_static_selectorELNS0_4arch9wavefront6targetE1EEEvT1_: ; @_ZN7rocprim17ROCPRIM_400000_NS6detail17trampoline_kernelINS0_14default_configENS1_25transform_config_selectorINS0_10empty_typeELb1EEEZNS1_14transform_implILb1ES3_S6_PS5_S8_NS0_8identityIS5_EEEE10hipError_tT2_T3_mT4_P12ihipStream_tbEUlT_E_NS1_11comp_targetILNS1_3genE10ELNS1_11target_archE1201ELNS1_3gpuE5ELNS1_3repE0EEENS1_30default_config_static_selectorELNS0_4arch9wavefront6targetE1EEEvT1_
; %bb.0:
	.section	.rodata,"a",@progbits
	.p2align	6, 0x0
	.amdhsa_kernel _ZN7rocprim17ROCPRIM_400000_NS6detail17trampoline_kernelINS0_14default_configENS1_25transform_config_selectorINS0_10empty_typeELb1EEEZNS1_14transform_implILb1ES3_S6_PS5_S8_NS0_8identityIS5_EEEE10hipError_tT2_T3_mT4_P12ihipStream_tbEUlT_E_NS1_11comp_targetILNS1_3genE10ELNS1_11target_archE1201ELNS1_3gpuE5ELNS1_3repE0EEENS1_30default_config_static_selectorELNS0_4arch9wavefront6targetE1EEEvT1_
		.amdhsa_group_segment_fixed_size 0
		.amdhsa_private_segment_fixed_size 0
		.amdhsa_kernarg_size 40
		.amdhsa_user_sgpr_count 2
		.amdhsa_user_sgpr_dispatch_ptr 0
		.amdhsa_user_sgpr_queue_ptr 0
		.amdhsa_user_sgpr_kernarg_segment_ptr 1
		.amdhsa_user_sgpr_dispatch_id 0
		.amdhsa_user_sgpr_kernarg_preload_length 0
		.amdhsa_user_sgpr_kernarg_preload_offset 0
		.amdhsa_user_sgpr_private_segment_size 0
		.amdhsa_uses_dynamic_stack 0
		.amdhsa_enable_private_segment 0
		.amdhsa_system_sgpr_workgroup_id_x 1
		.amdhsa_system_sgpr_workgroup_id_y 0
		.amdhsa_system_sgpr_workgroup_id_z 0
		.amdhsa_system_sgpr_workgroup_info 0
		.amdhsa_system_vgpr_workitem_id 0
		.amdhsa_next_free_vgpr 1
		.amdhsa_next_free_sgpr 0
		.amdhsa_accum_offset 4
		.amdhsa_reserve_vcc 0
		.amdhsa_float_round_mode_32 0
		.amdhsa_float_round_mode_16_64 0
		.amdhsa_float_denorm_mode_32 3
		.amdhsa_float_denorm_mode_16_64 3
		.amdhsa_dx10_clamp 1
		.amdhsa_ieee_mode 1
		.amdhsa_fp16_overflow 0
		.amdhsa_tg_split 0
		.amdhsa_exception_fp_ieee_invalid_op 0
		.amdhsa_exception_fp_denorm_src 0
		.amdhsa_exception_fp_ieee_div_zero 0
		.amdhsa_exception_fp_ieee_overflow 0
		.amdhsa_exception_fp_ieee_underflow 0
		.amdhsa_exception_fp_ieee_inexact 0
		.amdhsa_exception_int_div_zero 0
	.end_amdhsa_kernel
	.section	.text._ZN7rocprim17ROCPRIM_400000_NS6detail17trampoline_kernelINS0_14default_configENS1_25transform_config_selectorINS0_10empty_typeELb1EEEZNS1_14transform_implILb1ES3_S6_PS5_S8_NS0_8identityIS5_EEEE10hipError_tT2_T3_mT4_P12ihipStream_tbEUlT_E_NS1_11comp_targetILNS1_3genE10ELNS1_11target_archE1201ELNS1_3gpuE5ELNS1_3repE0EEENS1_30default_config_static_selectorELNS0_4arch9wavefront6targetE1EEEvT1_,"axG",@progbits,_ZN7rocprim17ROCPRIM_400000_NS6detail17trampoline_kernelINS0_14default_configENS1_25transform_config_selectorINS0_10empty_typeELb1EEEZNS1_14transform_implILb1ES3_S6_PS5_S8_NS0_8identityIS5_EEEE10hipError_tT2_T3_mT4_P12ihipStream_tbEUlT_E_NS1_11comp_targetILNS1_3genE10ELNS1_11target_archE1201ELNS1_3gpuE5ELNS1_3repE0EEENS1_30default_config_static_selectorELNS0_4arch9wavefront6targetE1EEEvT1_,comdat
.Lfunc_end51:
	.size	_ZN7rocprim17ROCPRIM_400000_NS6detail17trampoline_kernelINS0_14default_configENS1_25transform_config_selectorINS0_10empty_typeELb1EEEZNS1_14transform_implILb1ES3_S6_PS5_S8_NS0_8identityIS5_EEEE10hipError_tT2_T3_mT4_P12ihipStream_tbEUlT_E_NS1_11comp_targetILNS1_3genE10ELNS1_11target_archE1201ELNS1_3gpuE5ELNS1_3repE0EEENS1_30default_config_static_selectorELNS0_4arch9wavefront6targetE1EEEvT1_, .Lfunc_end51-_ZN7rocprim17ROCPRIM_400000_NS6detail17trampoline_kernelINS0_14default_configENS1_25transform_config_selectorINS0_10empty_typeELb1EEEZNS1_14transform_implILb1ES3_S6_PS5_S8_NS0_8identityIS5_EEEE10hipError_tT2_T3_mT4_P12ihipStream_tbEUlT_E_NS1_11comp_targetILNS1_3genE10ELNS1_11target_archE1201ELNS1_3gpuE5ELNS1_3repE0EEENS1_30default_config_static_selectorELNS0_4arch9wavefront6targetE1EEEvT1_
                                        ; -- End function
	.set _ZN7rocprim17ROCPRIM_400000_NS6detail17trampoline_kernelINS0_14default_configENS1_25transform_config_selectorINS0_10empty_typeELb1EEEZNS1_14transform_implILb1ES3_S6_PS5_S8_NS0_8identityIS5_EEEE10hipError_tT2_T3_mT4_P12ihipStream_tbEUlT_E_NS1_11comp_targetILNS1_3genE10ELNS1_11target_archE1201ELNS1_3gpuE5ELNS1_3repE0EEENS1_30default_config_static_selectorELNS0_4arch9wavefront6targetE1EEEvT1_.num_vgpr, 0
	.set _ZN7rocprim17ROCPRIM_400000_NS6detail17trampoline_kernelINS0_14default_configENS1_25transform_config_selectorINS0_10empty_typeELb1EEEZNS1_14transform_implILb1ES3_S6_PS5_S8_NS0_8identityIS5_EEEE10hipError_tT2_T3_mT4_P12ihipStream_tbEUlT_E_NS1_11comp_targetILNS1_3genE10ELNS1_11target_archE1201ELNS1_3gpuE5ELNS1_3repE0EEENS1_30default_config_static_selectorELNS0_4arch9wavefront6targetE1EEEvT1_.num_agpr, 0
	.set _ZN7rocprim17ROCPRIM_400000_NS6detail17trampoline_kernelINS0_14default_configENS1_25transform_config_selectorINS0_10empty_typeELb1EEEZNS1_14transform_implILb1ES3_S6_PS5_S8_NS0_8identityIS5_EEEE10hipError_tT2_T3_mT4_P12ihipStream_tbEUlT_E_NS1_11comp_targetILNS1_3genE10ELNS1_11target_archE1201ELNS1_3gpuE5ELNS1_3repE0EEENS1_30default_config_static_selectorELNS0_4arch9wavefront6targetE1EEEvT1_.numbered_sgpr, 0
	.set _ZN7rocprim17ROCPRIM_400000_NS6detail17trampoline_kernelINS0_14default_configENS1_25transform_config_selectorINS0_10empty_typeELb1EEEZNS1_14transform_implILb1ES3_S6_PS5_S8_NS0_8identityIS5_EEEE10hipError_tT2_T3_mT4_P12ihipStream_tbEUlT_E_NS1_11comp_targetILNS1_3genE10ELNS1_11target_archE1201ELNS1_3gpuE5ELNS1_3repE0EEENS1_30default_config_static_selectorELNS0_4arch9wavefront6targetE1EEEvT1_.num_named_barrier, 0
	.set _ZN7rocprim17ROCPRIM_400000_NS6detail17trampoline_kernelINS0_14default_configENS1_25transform_config_selectorINS0_10empty_typeELb1EEEZNS1_14transform_implILb1ES3_S6_PS5_S8_NS0_8identityIS5_EEEE10hipError_tT2_T3_mT4_P12ihipStream_tbEUlT_E_NS1_11comp_targetILNS1_3genE10ELNS1_11target_archE1201ELNS1_3gpuE5ELNS1_3repE0EEENS1_30default_config_static_selectorELNS0_4arch9wavefront6targetE1EEEvT1_.private_seg_size, 0
	.set _ZN7rocprim17ROCPRIM_400000_NS6detail17trampoline_kernelINS0_14default_configENS1_25transform_config_selectorINS0_10empty_typeELb1EEEZNS1_14transform_implILb1ES3_S6_PS5_S8_NS0_8identityIS5_EEEE10hipError_tT2_T3_mT4_P12ihipStream_tbEUlT_E_NS1_11comp_targetILNS1_3genE10ELNS1_11target_archE1201ELNS1_3gpuE5ELNS1_3repE0EEENS1_30default_config_static_selectorELNS0_4arch9wavefront6targetE1EEEvT1_.uses_vcc, 0
	.set _ZN7rocprim17ROCPRIM_400000_NS6detail17trampoline_kernelINS0_14default_configENS1_25transform_config_selectorINS0_10empty_typeELb1EEEZNS1_14transform_implILb1ES3_S6_PS5_S8_NS0_8identityIS5_EEEE10hipError_tT2_T3_mT4_P12ihipStream_tbEUlT_E_NS1_11comp_targetILNS1_3genE10ELNS1_11target_archE1201ELNS1_3gpuE5ELNS1_3repE0EEENS1_30default_config_static_selectorELNS0_4arch9wavefront6targetE1EEEvT1_.uses_flat_scratch, 0
	.set _ZN7rocprim17ROCPRIM_400000_NS6detail17trampoline_kernelINS0_14default_configENS1_25transform_config_selectorINS0_10empty_typeELb1EEEZNS1_14transform_implILb1ES3_S6_PS5_S8_NS0_8identityIS5_EEEE10hipError_tT2_T3_mT4_P12ihipStream_tbEUlT_E_NS1_11comp_targetILNS1_3genE10ELNS1_11target_archE1201ELNS1_3gpuE5ELNS1_3repE0EEENS1_30default_config_static_selectorELNS0_4arch9wavefront6targetE1EEEvT1_.has_dyn_sized_stack, 0
	.set _ZN7rocprim17ROCPRIM_400000_NS6detail17trampoline_kernelINS0_14default_configENS1_25transform_config_selectorINS0_10empty_typeELb1EEEZNS1_14transform_implILb1ES3_S6_PS5_S8_NS0_8identityIS5_EEEE10hipError_tT2_T3_mT4_P12ihipStream_tbEUlT_E_NS1_11comp_targetILNS1_3genE10ELNS1_11target_archE1201ELNS1_3gpuE5ELNS1_3repE0EEENS1_30default_config_static_selectorELNS0_4arch9wavefront6targetE1EEEvT1_.has_recursion, 0
	.set _ZN7rocprim17ROCPRIM_400000_NS6detail17trampoline_kernelINS0_14default_configENS1_25transform_config_selectorINS0_10empty_typeELb1EEEZNS1_14transform_implILb1ES3_S6_PS5_S8_NS0_8identityIS5_EEEE10hipError_tT2_T3_mT4_P12ihipStream_tbEUlT_E_NS1_11comp_targetILNS1_3genE10ELNS1_11target_archE1201ELNS1_3gpuE5ELNS1_3repE0EEENS1_30default_config_static_selectorELNS0_4arch9wavefront6targetE1EEEvT1_.has_indirect_call, 0
	.section	.AMDGPU.csdata,"",@progbits
; Kernel info:
; codeLenInByte = 0
; TotalNumSgprs: 6
; NumVgprs: 0
; NumAgprs: 0
; TotalNumVgprs: 0
; ScratchSize: 0
; MemoryBound: 0
; FloatMode: 240
; IeeeMode: 1
; LDSByteSize: 0 bytes/workgroup (compile time only)
; SGPRBlocks: 0
; VGPRBlocks: 0
; NumSGPRsForWavesPerEU: 6
; NumVGPRsForWavesPerEU: 1
; AccumOffset: 4
; Occupancy: 8
; WaveLimiterHint : 0
; COMPUTE_PGM_RSRC2:SCRATCH_EN: 0
; COMPUTE_PGM_RSRC2:USER_SGPR: 2
; COMPUTE_PGM_RSRC2:TRAP_HANDLER: 0
; COMPUTE_PGM_RSRC2:TGID_X_EN: 1
; COMPUTE_PGM_RSRC2:TGID_Y_EN: 0
; COMPUTE_PGM_RSRC2:TGID_Z_EN: 0
; COMPUTE_PGM_RSRC2:TIDIG_COMP_CNT: 0
; COMPUTE_PGM_RSRC3_GFX90A:ACCUM_OFFSET: 0
; COMPUTE_PGM_RSRC3_GFX90A:TG_SPLIT: 0
	.section	.text._ZN7rocprim17ROCPRIM_400000_NS6detail17trampoline_kernelINS0_14default_configENS1_25transform_config_selectorINS0_10empty_typeELb1EEEZNS1_14transform_implILb1ES3_S6_PS5_S8_NS0_8identityIS5_EEEE10hipError_tT2_T3_mT4_P12ihipStream_tbEUlT_E_NS1_11comp_targetILNS1_3genE5ELNS1_11target_archE942ELNS1_3gpuE9ELNS1_3repE0EEENS1_30default_config_static_selectorELNS0_4arch9wavefront6targetE1EEEvT1_,"axG",@progbits,_ZN7rocprim17ROCPRIM_400000_NS6detail17trampoline_kernelINS0_14default_configENS1_25transform_config_selectorINS0_10empty_typeELb1EEEZNS1_14transform_implILb1ES3_S6_PS5_S8_NS0_8identityIS5_EEEE10hipError_tT2_T3_mT4_P12ihipStream_tbEUlT_E_NS1_11comp_targetILNS1_3genE5ELNS1_11target_archE942ELNS1_3gpuE9ELNS1_3repE0EEENS1_30default_config_static_selectorELNS0_4arch9wavefront6targetE1EEEvT1_,comdat
	.protected	_ZN7rocprim17ROCPRIM_400000_NS6detail17trampoline_kernelINS0_14default_configENS1_25transform_config_selectorINS0_10empty_typeELb1EEEZNS1_14transform_implILb1ES3_S6_PS5_S8_NS0_8identityIS5_EEEE10hipError_tT2_T3_mT4_P12ihipStream_tbEUlT_E_NS1_11comp_targetILNS1_3genE5ELNS1_11target_archE942ELNS1_3gpuE9ELNS1_3repE0EEENS1_30default_config_static_selectorELNS0_4arch9wavefront6targetE1EEEvT1_ ; -- Begin function _ZN7rocprim17ROCPRIM_400000_NS6detail17trampoline_kernelINS0_14default_configENS1_25transform_config_selectorINS0_10empty_typeELb1EEEZNS1_14transform_implILb1ES3_S6_PS5_S8_NS0_8identityIS5_EEEE10hipError_tT2_T3_mT4_P12ihipStream_tbEUlT_E_NS1_11comp_targetILNS1_3genE5ELNS1_11target_archE942ELNS1_3gpuE9ELNS1_3repE0EEENS1_30default_config_static_selectorELNS0_4arch9wavefront6targetE1EEEvT1_
	.globl	_ZN7rocprim17ROCPRIM_400000_NS6detail17trampoline_kernelINS0_14default_configENS1_25transform_config_selectorINS0_10empty_typeELb1EEEZNS1_14transform_implILb1ES3_S6_PS5_S8_NS0_8identityIS5_EEEE10hipError_tT2_T3_mT4_P12ihipStream_tbEUlT_E_NS1_11comp_targetILNS1_3genE5ELNS1_11target_archE942ELNS1_3gpuE9ELNS1_3repE0EEENS1_30default_config_static_selectorELNS0_4arch9wavefront6targetE1EEEvT1_
	.p2align	8
	.type	_ZN7rocprim17ROCPRIM_400000_NS6detail17trampoline_kernelINS0_14default_configENS1_25transform_config_selectorINS0_10empty_typeELb1EEEZNS1_14transform_implILb1ES3_S6_PS5_S8_NS0_8identityIS5_EEEE10hipError_tT2_T3_mT4_P12ihipStream_tbEUlT_E_NS1_11comp_targetILNS1_3genE5ELNS1_11target_archE942ELNS1_3gpuE9ELNS1_3repE0EEENS1_30default_config_static_selectorELNS0_4arch9wavefront6targetE1EEEvT1_,@function
_ZN7rocprim17ROCPRIM_400000_NS6detail17trampoline_kernelINS0_14default_configENS1_25transform_config_selectorINS0_10empty_typeELb1EEEZNS1_14transform_implILb1ES3_S6_PS5_S8_NS0_8identityIS5_EEEE10hipError_tT2_T3_mT4_P12ihipStream_tbEUlT_E_NS1_11comp_targetILNS1_3genE5ELNS1_11target_archE942ELNS1_3gpuE9ELNS1_3repE0EEENS1_30default_config_static_selectorELNS0_4arch9wavefront6targetE1EEEvT1_: ; @_ZN7rocprim17ROCPRIM_400000_NS6detail17trampoline_kernelINS0_14default_configENS1_25transform_config_selectorINS0_10empty_typeELb1EEEZNS1_14transform_implILb1ES3_S6_PS5_S8_NS0_8identityIS5_EEEE10hipError_tT2_T3_mT4_P12ihipStream_tbEUlT_E_NS1_11comp_targetILNS1_3genE5ELNS1_11target_archE942ELNS1_3gpuE9ELNS1_3repE0EEENS1_30default_config_static_selectorELNS0_4arch9wavefront6targetE1EEEvT1_
; %bb.0:
	.section	.rodata,"a",@progbits
	.p2align	6, 0x0
	.amdhsa_kernel _ZN7rocprim17ROCPRIM_400000_NS6detail17trampoline_kernelINS0_14default_configENS1_25transform_config_selectorINS0_10empty_typeELb1EEEZNS1_14transform_implILb1ES3_S6_PS5_S8_NS0_8identityIS5_EEEE10hipError_tT2_T3_mT4_P12ihipStream_tbEUlT_E_NS1_11comp_targetILNS1_3genE5ELNS1_11target_archE942ELNS1_3gpuE9ELNS1_3repE0EEENS1_30default_config_static_selectorELNS0_4arch9wavefront6targetE1EEEvT1_
		.amdhsa_group_segment_fixed_size 0
		.amdhsa_private_segment_fixed_size 0
		.amdhsa_kernarg_size 40
		.amdhsa_user_sgpr_count 2
		.amdhsa_user_sgpr_dispatch_ptr 0
		.amdhsa_user_sgpr_queue_ptr 0
		.amdhsa_user_sgpr_kernarg_segment_ptr 1
		.amdhsa_user_sgpr_dispatch_id 0
		.amdhsa_user_sgpr_kernarg_preload_length 0
		.amdhsa_user_sgpr_kernarg_preload_offset 0
		.amdhsa_user_sgpr_private_segment_size 0
		.amdhsa_uses_dynamic_stack 0
		.amdhsa_enable_private_segment 0
		.amdhsa_system_sgpr_workgroup_id_x 1
		.amdhsa_system_sgpr_workgroup_id_y 0
		.amdhsa_system_sgpr_workgroup_id_z 0
		.amdhsa_system_sgpr_workgroup_info 0
		.amdhsa_system_vgpr_workitem_id 0
		.amdhsa_next_free_vgpr 1
		.amdhsa_next_free_sgpr 0
		.amdhsa_accum_offset 4
		.amdhsa_reserve_vcc 0
		.amdhsa_float_round_mode_32 0
		.amdhsa_float_round_mode_16_64 0
		.amdhsa_float_denorm_mode_32 3
		.amdhsa_float_denorm_mode_16_64 3
		.amdhsa_dx10_clamp 1
		.amdhsa_ieee_mode 1
		.amdhsa_fp16_overflow 0
		.amdhsa_tg_split 0
		.amdhsa_exception_fp_ieee_invalid_op 0
		.amdhsa_exception_fp_denorm_src 0
		.amdhsa_exception_fp_ieee_div_zero 0
		.amdhsa_exception_fp_ieee_overflow 0
		.amdhsa_exception_fp_ieee_underflow 0
		.amdhsa_exception_fp_ieee_inexact 0
		.amdhsa_exception_int_div_zero 0
	.end_amdhsa_kernel
	.section	.text._ZN7rocprim17ROCPRIM_400000_NS6detail17trampoline_kernelINS0_14default_configENS1_25transform_config_selectorINS0_10empty_typeELb1EEEZNS1_14transform_implILb1ES3_S6_PS5_S8_NS0_8identityIS5_EEEE10hipError_tT2_T3_mT4_P12ihipStream_tbEUlT_E_NS1_11comp_targetILNS1_3genE5ELNS1_11target_archE942ELNS1_3gpuE9ELNS1_3repE0EEENS1_30default_config_static_selectorELNS0_4arch9wavefront6targetE1EEEvT1_,"axG",@progbits,_ZN7rocprim17ROCPRIM_400000_NS6detail17trampoline_kernelINS0_14default_configENS1_25transform_config_selectorINS0_10empty_typeELb1EEEZNS1_14transform_implILb1ES3_S6_PS5_S8_NS0_8identityIS5_EEEE10hipError_tT2_T3_mT4_P12ihipStream_tbEUlT_E_NS1_11comp_targetILNS1_3genE5ELNS1_11target_archE942ELNS1_3gpuE9ELNS1_3repE0EEENS1_30default_config_static_selectorELNS0_4arch9wavefront6targetE1EEEvT1_,comdat
.Lfunc_end52:
	.size	_ZN7rocprim17ROCPRIM_400000_NS6detail17trampoline_kernelINS0_14default_configENS1_25transform_config_selectorINS0_10empty_typeELb1EEEZNS1_14transform_implILb1ES3_S6_PS5_S8_NS0_8identityIS5_EEEE10hipError_tT2_T3_mT4_P12ihipStream_tbEUlT_E_NS1_11comp_targetILNS1_3genE5ELNS1_11target_archE942ELNS1_3gpuE9ELNS1_3repE0EEENS1_30default_config_static_selectorELNS0_4arch9wavefront6targetE1EEEvT1_, .Lfunc_end52-_ZN7rocprim17ROCPRIM_400000_NS6detail17trampoline_kernelINS0_14default_configENS1_25transform_config_selectorINS0_10empty_typeELb1EEEZNS1_14transform_implILb1ES3_S6_PS5_S8_NS0_8identityIS5_EEEE10hipError_tT2_T3_mT4_P12ihipStream_tbEUlT_E_NS1_11comp_targetILNS1_3genE5ELNS1_11target_archE942ELNS1_3gpuE9ELNS1_3repE0EEENS1_30default_config_static_selectorELNS0_4arch9wavefront6targetE1EEEvT1_
                                        ; -- End function
	.set _ZN7rocprim17ROCPRIM_400000_NS6detail17trampoline_kernelINS0_14default_configENS1_25transform_config_selectorINS0_10empty_typeELb1EEEZNS1_14transform_implILb1ES3_S6_PS5_S8_NS0_8identityIS5_EEEE10hipError_tT2_T3_mT4_P12ihipStream_tbEUlT_E_NS1_11comp_targetILNS1_3genE5ELNS1_11target_archE942ELNS1_3gpuE9ELNS1_3repE0EEENS1_30default_config_static_selectorELNS0_4arch9wavefront6targetE1EEEvT1_.num_vgpr, 0
	.set _ZN7rocprim17ROCPRIM_400000_NS6detail17trampoline_kernelINS0_14default_configENS1_25transform_config_selectorINS0_10empty_typeELb1EEEZNS1_14transform_implILb1ES3_S6_PS5_S8_NS0_8identityIS5_EEEE10hipError_tT2_T3_mT4_P12ihipStream_tbEUlT_E_NS1_11comp_targetILNS1_3genE5ELNS1_11target_archE942ELNS1_3gpuE9ELNS1_3repE0EEENS1_30default_config_static_selectorELNS0_4arch9wavefront6targetE1EEEvT1_.num_agpr, 0
	.set _ZN7rocprim17ROCPRIM_400000_NS6detail17trampoline_kernelINS0_14default_configENS1_25transform_config_selectorINS0_10empty_typeELb1EEEZNS1_14transform_implILb1ES3_S6_PS5_S8_NS0_8identityIS5_EEEE10hipError_tT2_T3_mT4_P12ihipStream_tbEUlT_E_NS1_11comp_targetILNS1_3genE5ELNS1_11target_archE942ELNS1_3gpuE9ELNS1_3repE0EEENS1_30default_config_static_selectorELNS0_4arch9wavefront6targetE1EEEvT1_.numbered_sgpr, 0
	.set _ZN7rocprim17ROCPRIM_400000_NS6detail17trampoline_kernelINS0_14default_configENS1_25transform_config_selectorINS0_10empty_typeELb1EEEZNS1_14transform_implILb1ES3_S6_PS5_S8_NS0_8identityIS5_EEEE10hipError_tT2_T3_mT4_P12ihipStream_tbEUlT_E_NS1_11comp_targetILNS1_3genE5ELNS1_11target_archE942ELNS1_3gpuE9ELNS1_3repE0EEENS1_30default_config_static_selectorELNS0_4arch9wavefront6targetE1EEEvT1_.num_named_barrier, 0
	.set _ZN7rocprim17ROCPRIM_400000_NS6detail17trampoline_kernelINS0_14default_configENS1_25transform_config_selectorINS0_10empty_typeELb1EEEZNS1_14transform_implILb1ES3_S6_PS5_S8_NS0_8identityIS5_EEEE10hipError_tT2_T3_mT4_P12ihipStream_tbEUlT_E_NS1_11comp_targetILNS1_3genE5ELNS1_11target_archE942ELNS1_3gpuE9ELNS1_3repE0EEENS1_30default_config_static_selectorELNS0_4arch9wavefront6targetE1EEEvT1_.private_seg_size, 0
	.set _ZN7rocprim17ROCPRIM_400000_NS6detail17trampoline_kernelINS0_14default_configENS1_25transform_config_selectorINS0_10empty_typeELb1EEEZNS1_14transform_implILb1ES3_S6_PS5_S8_NS0_8identityIS5_EEEE10hipError_tT2_T3_mT4_P12ihipStream_tbEUlT_E_NS1_11comp_targetILNS1_3genE5ELNS1_11target_archE942ELNS1_3gpuE9ELNS1_3repE0EEENS1_30default_config_static_selectorELNS0_4arch9wavefront6targetE1EEEvT1_.uses_vcc, 0
	.set _ZN7rocprim17ROCPRIM_400000_NS6detail17trampoline_kernelINS0_14default_configENS1_25transform_config_selectorINS0_10empty_typeELb1EEEZNS1_14transform_implILb1ES3_S6_PS5_S8_NS0_8identityIS5_EEEE10hipError_tT2_T3_mT4_P12ihipStream_tbEUlT_E_NS1_11comp_targetILNS1_3genE5ELNS1_11target_archE942ELNS1_3gpuE9ELNS1_3repE0EEENS1_30default_config_static_selectorELNS0_4arch9wavefront6targetE1EEEvT1_.uses_flat_scratch, 0
	.set _ZN7rocprim17ROCPRIM_400000_NS6detail17trampoline_kernelINS0_14default_configENS1_25transform_config_selectorINS0_10empty_typeELb1EEEZNS1_14transform_implILb1ES3_S6_PS5_S8_NS0_8identityIS5_EEEE10hipError_tT2_T3_mT4_P12ihipStream_tbEUlT_E_NS1_11comp_targetILNS1_3genE5ELNS1_11target_archE942ELNS1_3gpuE9ELNS1_3repE0EEENS1_30default_config_static_selectorELNS0_4arch9wavefront6targetE1EEEvT1_.has_dyn_sized_stack, 0
	.set _ZN7rocprim17ROCPRIM_400000_NS6detail17trampoline_kernelINS0_14default_configENS1_25transform_config_selectorINS0_10empty_typeELb1EEEZNS1_14transform_implILb1ES3_S6_PS5_S8_NS0_8identityIS5_EEEE10hipError_tT2_T3_mT4_P12ihipStream_tbEUlT_E_NS1_11comp_targetILNS1_3genE5ELNS1_11target_archE942ELNS1_3gpuE9ELNS1_3repE0EEENS1_30default_config_static_selectorELNS0_4arch9wavefront6targetE1EEEvT1_.has_recursion, 0
	.set _ZN7rocprim17ROCPRIM_400000_NS6detail17trampoline_kernelINS0_14default_configENS1_25transform_config_selectorINS0_10empty_typeELb1EEEZNS1_14transform_implILb1ES3_S6_PS5_S8_NS0_8identityIS5_EEEE10hipError_tT2_T3_mT4_P12ihipStream_tbEUlT_E_NS1_11comp_targetILNS1_3genE5ELNS1_11target_archE942ELNS1_3gpuE9ELNS1_3repE0EEENS1_30default_config_static_selectorELNS0_4arch9wavefront6targetE1EEEvT1_.has_indirect_call, 0
	.section	.AMDGPU.csdata,"",@progbits
; Kernel info:
; codeLenInByte = 0
; TotalNumSgprs: 6
; NumVgprs: 0
; NumAgprs: 0
; TotalNumVgprs: 0
; ScratchSize: 0
; MemoryBound: 0
; FloatMode: 240
; IeeeMode: 1
; LDSByteSize: 0 bytes/workgroup (compile time only)
; SGPRBlocks: 0
; VGPRBlocks: 0
; NumSGPRsForWavesPerEU: 6
; NumVGPRsForWavesPerEU: 1
; AccumOffset: 4
; Occupancy: 8
; WaveLimiterHint : 0
; COMPUTE_PGM_RSRC2:SCRATCH_EN: 0
; COMPUTE_PGM_RSRC2:USER_SGPR: 2
; COMPUTE_PGM_RSRC2:TRAP_HANDLER: 0
; COMPUTE_PGM_RSRC2:TGID_X_EN: 1
; COMPUTE_PGM_RSRC2:TGID_Y_EN: 0
; COMPUTE_PGM_RSRC2:TGID_Z_EN: 0
; COMPUTE_PGM_RSRC2:TIDIG_COMP_CNT: 0
; COMPUTE_PGM_RSRC3_GFX90A:ACCUM_OFFSET: 0
; COMPUTE_PGM_RSRC3_GFX90A:TG_SPLIT: 0
	.section	.text._ZN7rocprim17ROCPRIM_400000_NS6detail17trampoline_kernelINS0_14default_configENS1_25transform_config_selectorINS0_10empty_typeELb1EEEZNS1_14transform_implILb1ES3_S6_PS5_S8_NS0_8identityIS5_EEEE10hipError_tT2_T3_mT4_P12ihipStream_tbEUlT_E_NS1_11comp_targetILNS1_3genE4ELNS1_11target_archE910ELNS1_3gpuE8ELNS1_3repE0EEENS1_30default_config_static_selectorELNS0_4arch9wavefront6targetE1EEEvT1_,"axG",@progbits,_ZN7rocprim17ROCPRIM_400000_NS6detail17trampoline_kernelINS0_14default_configENS1_25transform_config_selectorINS0_10empty_typeELb1EEEZNS1_14transform_implILb1ES3_S6_PS5_S8_NS0_8identityIS5_EEEE10hipError_tT2_T3_mT4_P12ihipStream_tbEUlT_E_NS1_11comp_targetILNS1_3genE4ELNS1_11target_archE910ELNS1_3gpuE8ELNS1_3repE0EEENS1_30default_config_static_selectorELNS0_4arch9wavefront6targetE1EEEvT1_,comdat
	.protected	_ZN7rocprim17ROCPRIM_400000_NS6detail17trampoline_kernelINS0_14default_configENS1_25transform_config_selectorINS0_10empty_typeELb1EEEZNS1_14transform_implILb1ES3_S6_PS5_S8_NS0_8identityIS5_EEEE10hipError_tT2_T3_mT4_P12ihipStream_tbEUlT_E_NS1_11comp_targetILNS1_3genE4ELNS1_11target_archE910ELNS1_3gpuE8ELNS1_3repE0EEENS1_30default_config_static_selectorELNS0_4arch9wavefront6targetE1EEEvT1_ ; -- Begin function _ZN7rocprim17ROCPRIM_400000_NS6detail17trampoline_kernelINS0_14default_configENS1_25transform_config_selectorINS0_10empty_typeELb1EEEZNS1_14transform_implILb1ES3_S6_PS5_S8_NS0_8identityIS5_EEEE10hipError_tT2_T3_mT4_P12ihipStream_tbEUlT_E_NS1_11comp_targetILNS1_3genE4ELNS1_11target_archE910ELNS1_3gpuE8ELNS1_3repE0EEENS1_30default_config_static_selectorELNS0_4arch9wavefront6targetE1EEEvT1_
	.globl	_ZN7rocprim17ROCPRIM_400000_NS6detail17trampoline_kernelINS0_14default_configENS1_25transform_config_selectorINS0_10empty_typeELb1EEEZNS1_14transform_implILb1ES3_S6_PS5_S8_NS0_8identityIS5_EEEE10hipError_tT2_T3_mT4_P12ihipStream_tbEUlT_E_NS1_11comp_targetILNS1_3genE4ELNS1_11target_archE910ELNS1_3gpuE8ELNS1_3repE0EEENS1_30default_config_static_selectorELNS0_4arch9wavefront6targetE1EEEvT1_
	.p2align	8
	.type	_ZN7rocprim17ROCPRIM_400000_NS6detail17trampoline_kernelINS0_14default_configENS1_25transform_config_selectorINS0_10empty_typeELb1EEEZNS1_14transform_implILb1ES3_S6_PS5_S8_NS0_8identityIS5_EEEE10hipError_tT2_T3_mT4_P12ihipStream_tbEUlT_E_NS1_11comp_targetILNS1_3genE4ELNS1_11target_archE910ELNS1_3gpuE8ELNS1_3repE0EEENS1_30default_config_static_selectorELNS0_4arch9wavefront6targetE1EEEvT1_,@function
_ZN7rocprim17ROCPRIM_400000_NS6detail17trampoline_kernelINS0_14default_configENS1_25transform_config_selectorINS0_10empty_typeELb1EEEZNS1_14transform_implILb1ES3_S6_PS5_S8_NS0_8identityIS5_EEEE10hipError_tT2_T3_mT4_P12ihipStream_tbEUlT_E_NS1_11comp_targetILNS1_3genE4ELNS1_11target_archE910ELNS1_3gpuE8ELNS1_3repE0EEENS1_30default_config_static_selectorELNS0_4arch9wavefront6targetE1EEEvT1_: ; @_ZN7rocprim17ROCPRIM_400000_NS6detail17trampoline_kernelINS0_14default_configENS1_25transform_config_selectorINS0_10empty_typeELb1EEEZNS1_14transform_implILb1ES3_S6_PS5_S8_NS0_8identityIS5_EEEE10hipError_tT2_T3_mT4_P12ihipStream_tbEUlT_E_NS1_11comp_targetILNS1_3genE4ELNS1_11target_archE910ELNS1_3gpuE8ELNS1_3repE0EEENS1_30default_config_static_selectorELNS0_4arch9wavefront6targetE1EEEvT1_
; %bb.0:
	.section	.rodata,"a",@progbits
	.p2align	6, 0x0
	.amdhsa_kernel _ZN7rocprim17ROCPRIM_400000_NS6detail17trampoline_kernelINS0_14default_configENS1_25transform_config_selectorINS0_10empty_typeELb1EEEZNS1_14transform_implILb1ES3_S6_PS5_S8_NS0_8identityIS5_EEEE10hipError_tT2_T3_mT4_P12ihipStream_tbEUlT_E_NS1_11comp_targetILNS1_3genE4ELNS1_11target_archE910ELNS1_3gpuE8ELNS1_3repE0EEENS1_30default_config_static_selectorELNS0_4arch9wavefront6targetE1EEEvT1_
		.amdhsa_group_segment_fixed_size 0
		.amdhsa_private_segment_fixed_size 0
		.amdhsa_kernarg_size 40
		.amdhsa_user_sgpr_count 2
		.amdhsa_user_sgpr_dispatch_ptr 0
		.amdhsa_user_sgpr_queue_ptr 0
		.amdhsa_user_sgpr_kernarg_segment_ptr 1
		.amdhsa_user_sgpr_dispatch_id 0
		.amdhsa_user_sgpr_kernarg_preload_length 0
		.amdhsa_user_sgpr_kernarg_preload_offset 0
		.amdhsa_user_sgpr_private_segment_size 0
		.amdhsa_uses_dynamic_stack 0
		.amdhsa_enable_private_segment 0
		.amdhsa_system_sgpr_workgroup_id_x 1
		.amdhsa_system_sgpr_workgroup_id_y 0
		.amdhsa_system_sgpr_workgroup_id_z 0
		.amdhsa_system_sgpr_workgroup_info 0
		.amdhsa_system_vgpr_workitem_id 0
		.amdhsa_next_free_vgpr 1
		.amdhsa_next_free_sgpr 0
		.amdhsa_accum_offset 4
		.amdhsa_reserve_vcc 0
		.amdhsa_float_round_mode_32 0
		.amdhsa_float_round_mode_16_64 0
		.amdhsa_float_denorm_mode_32 3
		.amdhsa_float_denorm_mode_16_64 3
		.amdhsa_dx10_clamp 1
		.amdhsa_ieee_mode 1
		.amdhsa_fp16_overflow 0
		.amdhsa_tg_split 0
		.amdhsa_exception_fp_ieee_invalid_op 0
		.amdhsa_exception_fp_denorm_src 0
		.amdhsa_exception_fp_ieee_div_zero 0
		.amdhsa_exception_fp_ieee_overflow 0
		.amdhsa_exception_fp_ieee_underflow 0
		.amdhsa_exception_fp_ieee_inexact 0
		.amdhsa_exception_int_div_zero 0
	.end_amdhsa_kernel
	.section	.text._ZN7rocprim17ROCPRIM_400000_NS6detail17trampoline_kernelINS0_14default_configENS1_25transform_config_selectorINS0_10empty_typeELb1EEEZNS1_14transform_implILb1ES3_S6_PS5_S8_NS0_8identityIS5_EEEE10hipError_tT2_T3_mT4_P12ihipStream_tbEUlT_E_NS1_11comp_targetILNS1_3genE4ELNS1_11target_archE910ELNS1_3gpuE8ELNS1_3repE0EEENS1_30default_config_static_selectorELNS0_4arch9wavefront6targetE1EEEvT1_,"axG",@progbits,_ZN7rocprim17ROCPRIM_400000_NS6detail17trampoline_kernelINS0_14default_configENS1_25transform_config_selectorINS0_10empty_typeELb1EEEZNS1_14transform_implILb1ES3_S6_PS5_S8_NS0_8identityIS5_EEEE10hipError_tT2_T3_mT4_P12ihipStream_tbEUlT_E_NS1_11comp_targetILNS1_3genE4ELNS1_11target_archE910ELNS1_3gpuE8ELNS1_3repE0EEENS1_30default_config_static_selectorELNS0_4arch9wavefront6targetE1EEEvT1_,comdat
.Lfunc_end53:
	.size	_ZN7rocprim17ROCPRIM_400000_NS6detail17trampoline_kernelINS0_14default_configENS1_25transform_config_selectorINS0_10empty_typeELb1EEEZNS1_14transform_implILb1ES3_S6_PS5_S8_NS0_8identityIS5_EEEE10hipError_tT2_T3_mT4_P12ihipStream_tbEUlT_E_NS1_11comp_targetILNS1_3genE4ELNS1_11target_archE910ELNS1_3gpuE8ELNS1_3repE0EEENS1_30default_config_static_selectorELNS0_4arch9wavefront6targetE1EEEvT1_, .Lfunc_end53-_ZN7rocprim17ROCPRIM_400000_NS6detail17trampoline_kernelINS0_14default_configENS1_25transform_config_selectorINS0_10empty_typeELb1EEEZNS1_14transform_implILb1ES3_S6_PS5_S8_NS0_8identityIS5_EEEE10hipError_tT2_T3_mT4_P12ihipStream_tbEUlT_E_NS1_11comp_targetILNS1_3genE4ELNS1_11target_archE910ELNS1_3gpuE8ELNS1_3repE0EEENS1_30default_config_static_selectorELNS0_4arch9wavefront6targetE1EEEvT1_
                                        ; -- End function
	.set _ZN7rocprim17ROCPRIM_400000_NS6detail17trampoline_kernelINS0_14default_configENS1_25transform_config_selectorINS0_10empty_typeELb1EEEZNS1_14transform_implILb1ES3_S6_PS5_S8_NS0_8identityIS5_EEEE10hipError_tT2_T3_mT4_P12ihipStream_tbEUlT_E_NS1_11comp_targetILNS1_3genE4ELNS1_11target_archE910ELNS1_3gpuE8ELNS1_3repE0EEENS1_30default_config_static_selectorELNS0_4arch9wavefront6targetE1EEEvT1_.num_vgpr, 0
	.set _ZN7rocprim17ROCPRIM_400000_NS6detail17trampoline_kernelINS0_14default_configENS1_25transform_config_selectorINS0_10empty_typeELb1EEEZNS1_14transform_implILb1ES3_S6_PS5_S8_NS0_8identityIS5_EEEE10hipError_tT2_T3_mT4_P12ihipStream_tbEUlT_E_NS1_11comp_targetILNS1_3genE4ELNS1_11target_archE910ELNS1_3gpuE8ELNS1_3repE0EEENS1_30default_config_static_selectorELNS0_4arch9wavefront6targetE1EEEvT1_.num_agpr, 0
	.set _ZN7rocprim17ROCPRIM_400000_NS6detail17trampoline_kernelINS0_14default_configENS1_25transform_config_selectorINS0_10empty_typeELb1EEEZNS1_14transform_implILb1ES3_S6_PS5_S8_NS0_8identityIS5_EEEE10hipError_tT2_T3_mT4_P12ihipStream_tbEUlT_E_NS1_11comp_targetILNS1_3genE4ELNS1_11target_archE910ELNS1_3gpuE8ELNS1_3repE0EEENS1_30default_config_static_selectorELNS0_4arch9wavefront6targetE1EEEvT1_.numbered_sgpr, 0
	.set _ZN7rocprim17ROCPRIM_400000_NS6detail17trampoline_kernelINS0_14default_configENS1_25transform_config_selectorINS0_10empty_typeELb1EEEZNS1_14transform_implILb1ES3_S6_PS5_S8_NS0_8identityIS5_EEEE10hipError_tT2_T3_mT4_P12ihipStream_tbEUlT_E_NS1_11comp_targetILNS1_3genE4ELNS1_11target_archE910ELNS1_3gpuE8ELNS1_3repE0EEENS1_30default_config_static_selectorELNS0_4arch9wavefront6targetE1EEEvT1_.num_named_barrier, 0
	.set _ZN7rocprim17ROCPRIM_400000_NS6detail17trampoline_kernelINS0_14default_configENS1_25transform_config_selectorINS0_10empty_typeELb1EEEZNS1_14transform_implILb1ES3_S6_PS5_S8_NS0_8identityIS5_EEEE10hipError_tT2_T3_mT4_P12ihipStream_tbEUlT_E_NS1_11comp_targetILNS1_3genE4ELNS1_11target_archE910ELNS1_3gpuE8ELNS1_3repE0EEENS1_30default_config_static_selectorELNS0_4arch9wavefront6targetE1EEEvT1_.private_seg_size, 0
	.set _ZN7rocprim17ROCPRIM_400000_NS6detail17trampoline_kernelINS0_14default_configENS1_25transform_config_selectorINS0_10empty_typeELb1EEEZNS1_14transform_implILb1ES3_S6_PS5_S8_NS0_8identityIS5_EEEE10hipError_tT2_T3_mT4_P12ihipStream_tbEUlT_E_NS1_11comp_targetILNS1_3genE4ELNS1_11target_archE910ELNS1_3gpuE8ELNS1_3repE0EEENS1_30default_config_static_selectorELNS0_4arch9wavefront6targetE1EEEvT1_.uses_vcc, 0
	.set _ZN7rocprim17ROCPRIM_400000_NS6detail17trampoline_kernelINS0_14default_configENS1_25transform_config_selectorINS0_10empty_typeELb1EEEZNS1_14transform_implILb1ES3_S6_PS5_S8_NS0_8identityIS5_EEEE10hipError_tT2_T3_mT4_P12ihipStream_tbEUlT_E_NS1_11comp_targetILNS1_3genE4ELNS1_11target_archE910ELNS1_3gpuE8ELNS1_3repE0EEENS1_30default_config_static_selectorELNS0_4arch9wavefront6targetE1EEEvT1_.uses_flat_scratch, 0
	.set _ZN7rocprim17ROCPRIM_400000_NS6detail17trampoline_kernelINS0_14default_configENS1_25transform_config_selectorINS0_10empty_typeELb1EEEZNS1_14transform_implILb1ES3_S6_PS5_S8_NS0_8identityIS5_EEEE10hipError_tT2_T3_mT4_P12ihipStream_tbEUlT_E_NS1_11comp_targetILNS1_3genE4ELNS1_11target_archE910ELNS1_3gpuE8ELNS1_3repE0EEENS1_30default_config_static_selectorELNS0_4arch9wavefront6targetE1EEEvT1_.has_dyn_sized_stack, 0
	.set _ZN7rocprim17ROCPRIM_400000_NS6detail17trampoline_kernelINS0_14default_configENS1_25transform_config_selectorINS0_10empty_typeELb1EEEZNS1_14transform_implILb1ES3_S6_PS5_S8_NS0_8identityIS5_EEEE10hipError_tT2_T3_mT4_P12ihipStream_tbEUlT_E_NS1_11comp_targetILNS1_3genE4ELNS1_11target_archE910ELNS1_3gpuE8ELNS1_3repE0EEENS1_30default_config_static_selectorELNS0_4arch9wavefront6targetE1EEEvT1_.has_recursion, 0
	.set _ZN7rocprim17ROCPRIM_400000_NS6detail17trampoline_kernelINS0_14default_configENS1_25transform_config_selectorINS0_10empty_typeELb1EEEZNS1_14transform_implILb1ES3_S6_PS5_S8_NS0_8identityIS5_EEEE10hipError_tT2_T3_mT4_P12ihipStream_tbEUlT_E_NS1_11comp_targetILNS1_3genE4ELNS1_11target_archE910ELNS1_3gpuE8ELNS1_3repE0EEENS1_30default_config_static_selectorELNS0_4arch9wavefront6targetE1EEEvT1_.has_indirect_call, 0
	.section	.AMDGPU.csdata,"",@progbits
; Kernel info:
; codeLenInByte = 0
; TotalNumSgprs: 6
; NumVgprs: 0
; NumAgprs: 0
; TotalNumVgprs: 0
; ScratchSize: 0
; MemoryBound: 0
; FloatMode: 240
; IeeeMode: 1
; LDSByteSize: 0 bytes/workgroup (compile time only)
; SGPRBlocks: 0
; VGPRBlocks: 0
; NumSGPRsForWavesPerEU: 6
; NumVGPRsForWavesPerEU: 1
; AccumOffset: 4
; Occupancy: 8
; WaveLimiterHint : 0
; COMPUTE_PGM_RSRC2:SCRATCH_EN: 0
; COMPUTE_PGM_RSRC2:USER_SGPR: 2
; COMPUTE_PGM_RSRC2:TRAP_HANDLER: 0
; COMPUTE_PGM_RSRC2:TGID_X_EN: 1
; COMPUTE_PGM_RSRC2:TGID_Y_EN: 0
; COMPUTE_PGM_RSRC2:TGID_Z_EN: 0
; COMPUTE_PGM_RSRC2:TIDIG_COMP_CNT: 0
; COMPUTE_PGM_RSRC3_GFX90A:ACCUM_OFFSET: 0
; COMPUTE_PGM_RSRC3_GFX90A:TG_SPLIT: 0
	.section	.text._ZN7rocprim17ROCPRIM_400000_NS6detail17trampoline_kernelINS0_14default_configENS1_25transform_config_selectorINS0_10empty_typeELb1EEEZNS1_14transform_implILb1ES3_S6_PS5_S8_NS0_8identityIS5_EEEE10hipError_tT2_T3_mT4_P12ihipStream_tbEUlT_E_NS1_11comp_targetILNS1_3genE3ELNS1_11target_archE908ELNS1_3gpuE7ELNS1_3repE0EEENS1_30default_config_static_selectorELNS0_4arch9wavefront6targetE1EEEvT1_,"axG",@progbits,_ZN7rocprim17ROCPRIM_400000_NS6detail17trampoline_kernelINS0_14default_configENS1_25transform_config_selectorINS0_10empty_typeELb1EEEZNS1_14transform_implILb1ES3_S6_PS5_S8_NS0_8identityIS5_EEEE10hipError_tT2_T3_mT4_P12ihipStream_tbEUlT_E_NS1_11comp_targetILNS1_3genE3ELNS1_11target_archE908ELNS1_3gpuE7ELNS1_3repE0EEENS1_30default_config_static_selectorELNS0_4arch9wavefront6targetE1EEEvT1_,comdat
	.protected	_ZN7rocprim17ROCPRIM_400000_NS6detail17trampoline_kernelINS0_14default_configENS1_25transform_config_selectorINS0_10empty_typeELb1EEEZNS1_14transform_implILb1ES3_S6_PS5_S8_NS0_8identityIS5_EEEE10hipError_tT2_T3_mT4_P12ihipStream_tbEUlT_E_NS1_11comp_targetILNS1_3genE3ELNS1_11target_archE908ELNS1_3gpuE7ELNS1_3repE0EEENS1_30default_config_static_selectorELNS0_4arch9wavefront6targetE1EEEvT1_ ; -- Begin function _ZN7rocprim17ROCPRIM_400000_NS6detail17trampoline_kernelINS0_14default_configENS1_25transform_config_selectorINS0_10empty_typeELb1EEEZNS1_14transform_implILb1ES3_S6_PS5_S8_NS0_8identityIS5_EEEE10hipError_tT2_T3_mT4_P12ihipStream_tbEUlT_E_NS1_11comp_targetILNS1_3genE3ELNS1_11target_archE908ELNS1_3gpuE7ELNS1_3repE0EEENS1_30default_config_static_selectorELNS0_4arch9wavefront6targetE1EEEvT1_
	.globl	_ZN7rocprim17ROCPRIM_400000_NS6detail17trampoline_kernelINS0_14default_configENS1_25transform_config_selectorINS0_10empty_typeELb1EEEZNS1_14transform_implILb1ES3_S6_PS5_S8_NS0_8identityIS5_EEEE10hipError_tT2_T3_mT4_P12ihipStream_tbEUlT_E_NS1_11comp_targetILNS1_3genE3ELNS1_11target_archE908ELNS1_3gpuE7ELNS1_3repE0EEENS1_30default_config_static_selectorELNS0_4arch9wavefront6targetE1EEEvT1_
	.p2align	8
	.type	_ZN7rocprim17ROCPRIM_400000_NS6detail17trampoline_kernelINS0_14default_configENS1_25transform_config_selectorINS0_10empty_typeELb1EEEZNS1_14transform_implILb1ES3_S6_PS5_S8_NS0_8identityIS5_EEEE10hipError_tT2_T3_mT4_P12ihipStream_tbEUlT_E_NS1_11comp_targetILNS1_3genE3ELNS1_11target_archE908ELNS1_3gpuE7ELNS1_3repE0EEENS1_30default_config_static_selectorELNS0_4arch9wavefront6targetE1EEEvT1_,@function
_ZN7rocprim17ROCPRIM_400000_NS6detail17trampoline_kernelINS0_14default_configENS1_25transform_config_selectorINS0_10empty_typeELb1EEEZNS1_14transform_implILb1ES3_S6_PS5_S8_NS0_8identityIS5_EEEE10hipError_tT2_T3_mT4_P12ihipStream_tbEUlT_E_NS1_11comp_targetILNS1_3genE3ELNS1_11target_archE908ELNS1_3gpuE7ELNS1_3repE0EEENS1_30default_config_static_selectorELNS0_4arch9wavefront6targetE1EEEvT1_: ; @_ZN7rocprim17ROCPRIM_400000_NS6detail17trampoline_kernelINS0_14default_configENS1_25transform_config_selectorINS0_10empty_typeELb1EEEZNS1_14transform_implILb1ES3_S6_PS5_S8_NS0_8identityIS5_EEEE10hipError_tT2_T3_mT4_P12ihipStream_tbEUlT_E_NS1_11comp_targetILNS1_3genE3ELNS1_11target_archE908ELNS1_3gpuE7ELNS1_3repE0EEENS1_30default_config_static_selectorELNS0_4arch9wavefront6targetE1EEEvT1_
; %bb.0:
	.section	.rodata,"a",@progbits
	.p2align	6, 0x0
	.amdhsa_kernel _ZN7rocprim17ROCPRIM_400000_NS6detail17trampoline_kernelINS0_14default_configENS1_25transform_config_selectorINS0_10empty_typeELb1EEEZNS1_14transform_implILb1ES3_S6_PS5_S8_NS0_8identityIS5_EEEE10hipError_tT2_T3_mT4_P12ihipStream_tbEUlT_E_NS1_11comp_targetILNS1_3genE3ELNS1_11target_archE908ELNS1_3gpuE7ELNS1_3repE0EEENS1_30default_config_static_selectorELNS0_4arch9wavefront6targetE1EEEvT1_
		.amdhsa_group_segment_fixed_size 0
		.amdhsa_private_segment_fixed_size 0
		.amdhsa_kernarg_size 40
		.amdhsa_user_sgpr_count 2
		.amdhsa_user_sgpr_dispatch_ptr 0
		.amdhsa_user_sgpr_queue_ptr 0
		.amdhsa_user_sgpr_kernarg_segment_ptr 1
		.amdhsa_user_sgpr_dispatch_id 0
		.amdhsa_user_sgpr_kernarg_preload_length 0
		.amdhsa_user_sgpr_kernarg_preload_offset 0
		.amdhsa_user_sgpr_private_segment_size 0
		.amdhsa_uses_dynamic_stack 0
		.amdhsa_enable_private_segment 0
		.amdhsa_system_sgpr_workgroup_id_x 1
		.amdhsa_system_sgpr_workgroup_id_y 0
		.amdhsa_system_sgpr_workgroup_id_z 0
		.amdhsa_system_sgpr_workgroup_info 0
		.amdhsa_system_vgpr_workitem_id 0
		.amdhsa_next_free_vgpr 1
		.amdhsa_next_free_sgpr 0
		.amdhsa_accum_offset 4
		.amdhsa_reserve_vcc 0
		.amdhsa_float_round_mode_32 0
		.amdhsa_float_round_mode_16_64 0
		.amdhsa_float_denorm_mode_32 3
		.amdhsa_float_denorm_mode_16_64 3
		.amdhsa_dx10_clamp 1
		.amdhsa_ieee_mode 1
		.amdhsa_fp16_overflow 0
		.amdhsa_tg_split 0
		.amdhsa_exception_fp_ieee_invalid_op 0
		.amdhsa_exception_fp_denorm_src 0
		.amdhsa_exception_fp_ieee_div_zero 0
		.amdhsa_exception_fp_ieee_overflow 0
		.amdhsa_exception_fp_ieee_underflow 0
		.amdhsa_exception_fp_ieee_inexact 0
		.amdhsa_exception_int_div_zero 0
	.end_amdhsa_kernel
	.section	.text._ZN7rocprim17ROCPRIM_400000_NS6detail17trampoline_kernelINS0_14default_configENS1_25transform_config_selectorINS0_10empty_typeELb1EEEZNS1_14transform_implILb1ES3_S6_PS5_S8_NS0_8identityIS5_EEEE10hipError_tT2_T3_mT4_P12ihipStream_tbEUlT_E_NS1_11comp_targetILNS1_3genE3ELNS1_11target_archE908ELNS1_3gpuE7ELNS1_3repE0EEENS1_30default_config_static_selectorELNS0_4arch9wavefront6targetE1EEEvT1_,"axG",@progbits,_ZN7rocprim17ROCPRIM_400000_NS6detail17trampoline_kernelINS0_14default_configENS1_25transform_config_selectorINS0_10empty_typeELb1EEEZNS1_14transform_implILb1ES3_S6_PS5_S8_NS0_8identityIS5_EEEE10hipError_tT2_T3_mT4_P12ihipStream_tbEUlT_E_NS1_11comp_targetILNS1_3genE3ELNS1_11target_archE908ELNS1_3gpuE7ELNS1_3repE0EEENS1_30default_config_static_selectorELNS0_4arch9wavefront6targetE1EEEvT1_,comdat
.Lfunc_end54:
	.size	_ZN7rocprim17ROCPRIM_400000_NS6detail17trampoline_kernelINS0_14default_configENS1_25transform_config_selectorINS0_10empty_typeELb1EEEZNS1_14transform_implILb1ES3_S6_PS5_S8_NS0_8identityIS5_EEEE10hipError_tT2_T3_mT4_P12ihipStream_tbEUlT_E_NS1_11comp_targetILNS1_3genE3ELNS1_11target_archE908ELNS1_3gpuE7ELNS1_3repE0EEENS1_30default_config_static_selectorELNS0_4arch9wavefront6targetE1EEEvT1_, .Lfunc_end54-_ZN7rocprim17ROCPRIM_400000_NS6detail17trampoline_kernelINS0_14default_configENS1_25transform_config_selectorINS0_10empty_typeELb1EEEZNS1_14transform_implILb1ES3_S6_PS5_S8_NS0_8identityIS5_EEEE10hipError_tT2_T3_mT4_P12ihipStream_tbEUlT_E_NS1_11comp_targetILNS1_3genE3ELNS1_11target_archE908ELNS1_3gpuE7ELNS1_3repE0EEENS1_30default_config_static_selectorELNS0_4arch9wavefront6targetE1EEEvT1_
                                        ; -- End function
	.set _ZN7rocprim17ROCPRIM_400000_NS6detail17trampoline_kernelINS0_14default_configENS1_25transform_config_selectorINS0_10empty_typeELb1EEEZNS1_14transform_implILb1ES3_S6_PS5_S8_NS0_8identityIS5_EEEE10hipError_tT2_T3_mT4_P12ihipStream_tbEUlT_E_NS1_11comp_targetILNS1_3genE3ELNS1_11target_archE908ELNS1_3gpuE7ELNS1_3repE0EEENS1_30default_config_static_selectorELNS0_4arch9wavefront6targetE1EEEvT1_.num_vgpr, 0
	.set _ZN7rocprim17ROCPRIM_400000_NS6detail17trampoline_kernelINS0_14default_configENS1_25transform_config_selectorINS0_10empty_typeELb1EEEZNS1_14transform_implILb1ES3_S6_PS5_S8_NS0_8identityIS5_EEEE10hipError_tT2_T3_mT4_P12ihipStream_tbEUlT_E_NS1_11comp_targetILNS1_3genE3ELNS1_11target_archE908ELNS1_3gpuE7ELNS1_3repE0EEENS1_30default_config_static_selectorELNS0_4arch9wavefront6targetE1EEEvT1_.num_agpr, 0
	.set _ZN7rocprim17ROCPRIM_400000_NS6detail17trampoline_kernelINS0_14default_configENS1_25transform_config_selectorINS0_10empty_typeELb1EEEZNS1_14transform_implILb1ES3_S6_PS5_S8_NS0_8identityIS5_EEEE10hipError_tT2_T3_mT4_P12ihipStream_tbEUlT_E_NS1_11comp_targetILNS1_3genE3ELNS1_11target_archE908ELNS1_3gpuE7ELNS1_3repE0EEENS1_30default_config_static_selectorELNS0_4arch9wavefront6targetE1EEEvT1_.numbered_sgpr, 0
	.set _ZN7rocprim17ROCPRIM_400000_NS6detail17trampoline_kernelINS0_14default_configENS1_25transform_config_selectorINS0_10empty_typeELb1EEEZNS1_14transform_implILb1ES3_S6_PS5_S8_NS0_8identityIS5_EEEE10hipError_tT2_T3_mT4_P12ihipStream_tbEUlT_E_NS1_11comp_targetILNS1_3genE3ELNS1_11target_archE908ELNS1_3gpuE7ELNS1_3repE0EEENS1_30default_config_static_selectorELNS0_4arch9wavefront6targetE1EEEvT1_.num_named_barrier, 0
	.set _ZN7rocprim17ROCPRIM_400000_NS6detail17trampoline_kernelINS0_14default_configENS1_25transform_config_selectorINS0_10empty_typeELb1EEEZNS1_14transform_implILb1ES3_S6_PS5_S8_NS0_8identityIS5_EEEE10hipError_tT2_T3_mT4_P12ihipStream_tbEUlT_E_NS1_11comp_targetILNS1_3genE3ELNS1_11target_archE908ELNS1_3gpuE7ELNS1_3repE0EEENS1_30default_config_static_selectorELNS0_4arch9wavefront6targetE1EEEvT1_.private_seg_size, 0
	.set _ZN7rocprim17ROCPRIM_400000_NS6detail17trampoline_kernelINS0_14default_configENS1_25transform_config_selectorINS0_10empty_typeELb1EEEZNS1_14transform_implILb1ES3_S6_PS5_S8_NS0_8identityIS5_EEEE10hipError_tT2_T3_mT4_P12ihipStream_tbEUlT_E_NS1_11comp_targetILNS1_3genE3ELNS1_11target_archE908ELNS1_3gpuE7ELNS1_3repE0EEENS1_30default_config_static_selectorELNS0_4arch9wavefront6targetE1EEEvT1_.uses_vcc, 0
	.set _ZN7rocprim17ROCPRIM_400000_NS6detail17trampoline_kernelINS0_14default_configENS1_25transform_config_selectorINS0_10empty_typeELb1EEEZNS1_14transform_implILb1ES3_S6_PS5_S8_NS0_8identityIS5_EEEE10hipError_tT2_T3_mT4_P12ihipStream_tbEUlT_E_NS1_11comp_targetILNS1_3genE3ELNS1_11target_archE908ELNS1_3gpuE7ELNS1_3repE0EEENS1_30default_config_static_selectorELNS0_4arch9wavefront6targetE1EEEvT1_.uses_flat_scratch, 0
	.set _ZN7rocprim17ROCPRIM_400000_NS6detail17trampoline_kernelINS0_14default_configENS1_25transform_config_selectorINS0_10empty_typeELb1EEEZNS1_14transform_implILb1ES3_S6_PS5_S8_NS0_8identityIS5_EEEE10hipError_tT2_T3_mT4_P12ihipStream_tbEUlT_E_NS1_11comp_targetILNS1_3genE3ELNS1_11target_archE908ELNS1_3gpuE7ELNS1_3repE0EEENS1_30default_config_static_selectorELNS0_4arch9wavefront6targetE1EEEvT1_.has_dyn_sized_stack, 0
	.set _ZN7rocprim17ROCPRIM_400000_NS6detail17trampoline_kernelINS0_14default_configENS1_25transform_config_selectorINS0_10empty_typeELb1EEEZNS1_14transform_implILb1ES3_S6_PS5_S8_NS0_8identityIS5_EEEE10hipError_tT2_T3_mT4_P12ihipStream_tbEUlT_E_NS1_11comp_targetILNS1_3genE3ELNS1_11target_archE908ELNS1_3gpuE7ELNS1_3repE0EEENS1_30default_config_static_selectorELNS0_4arch9wavefront6targetE1EEEvT1_.has_recursion, 0
	.set _ZN7rocprim17ROCPRIM_400000_NS6detail17trampoline_kernelINS0_14default_configENS1_25transform_config_selectorINS0_10empty_typeELb1EEEZNS1_14transform_implILb1ES3_S6_PS5_S8_NS0_8identityIS5_EEEE10hipError_tT2_T3_mT4_P12ihipStream_tbEUlT_E_NS1_11comp_targetILNS1_3genE3ELNS1_11target_archE908ELNS1_3gpuE7ELNS1_3repE0EEENS1_30default_config_static_selectorELNS0_4arch9wavefront6targetE1EEEvT1_.has_indirect_call, 0
	.section	.AMDGPU.csdata,"",@progbits
; Kernel info:
; codeLenInByte = 0
; TotalNumSgprs: 6
; NumVgprs: 0
; NumAgprs: 0
; TotalNumVgprs: 0
; ScratchSize: 0
; MemoryBound: 0
; FloatMode: 240
; IeeeMode: 1
; LDSByteSize: 0 bytes/workgroup (compile time only)
; SGPRBlocks: 0
; VGPRBlocks: 0
; NumSGPRsForWavesPerEU: 6
; NumVGPRsForWavesPerEU: 1
; AccumOffset: 4
; Occupancy: 8
; WaveLimiterHint : 0
; COMPUTE_PGM_RSRC2:SCRATCH_EN: 0
; COMPUTE_PGM_RSRC2:USER_SGPR: 2
; COMPUTE_PGM_RSRC2:TRAP_HANDLER: 0
; COMPUTE_PGM_RSRC2:TGID_X_EN: 1
; COMPUTE_PGM_RSRC2:TGID_Y_EN: 0
; COMPUTE_PGM_RSRC2:TGID_Z_EN: 0
; COMPUTE_PGM_RSRC2:TIDIG_COMP_CNT: 0
; COMPUTE_PGM_RSRC3_GFX90A:ACCUM_OFFSET: 0
; COMPUTE_PGM_RSRC3_GFX90A:TG_SPLIT: 0
	.section	.text._ZN7rocprim17ROCPRIM_400000_NS6detail17trampoline_kernelINS0_14default_configENS1_25transform_config_selectorINS0_10empty_typeELb1EEEZNS1_14transform_implILb1ES3_S6_PS5_S8_NS0_8identityIS5_EEEE10hipError_tT2_T3_mT4_P12ihipStream_tbEUlT_E_NS1_11comp_targetILNS1_3genE2ELNS1_11target_archE906ELNS1_3gpuE6ELNS1_3repE0EEENS1_30default_config_static_selectorELNS0_4arch9wavefront6targetE1EEEvT1_,"axG",@progbits,_ZN7rocprim17ROCPRIM_400000_NS6detail17trampoline_kernelINS0_14default_configENS1_25transform_config_selectorINS0_10empty_typeELb1EEEZNS1_14transform_implILb1ES3_S6_PS5_S8_NS0_8identityIS5_EEEE10hipError_tT2_T3_mT4_P12ihipStream_tbEUlT_E_NS1_11comp_targetILNS1_3genE2ELNS1_11target_archE906ELNS1_3gpuE6ELNS1_3repE0EEENS1_30default_config_static_selectorELNS0_4arch9wavefront6targetE1EEEvT1_,comdat
	.protected	_ZN7rocprim17ROCPRIM_400000_NS6detail17trampoline_kernelINS0_14default_configENS1_25transform_config_selectorINS0_10empty_typeELb1EEEZNS1_14transform_implILb1ES3_S6_PS5_S8_NS0_8identityIS5_EEEE10hipError_tT2_T3_mT4_P12ihipStream_tbEUlT_E_NS1_11comp_targetILNS1_3genE2ELNS1_11target_archE906ELNS1_3gpuE6ELNS1_3repE0EEENS1_30default_config_static_selectorELNS0_4arch9wavefront6targetE1EEEvT1_ ; -- Begin function _ZN7rocprim17ROCPRIM_400000_NS6detail17trampoline_kernelINS0_14default_configENS1_25transform_config_selectorINS0_10empty_typeELb1EEEZNS1_14transform_implILb1ES3_S6_PS5_S8_NS0_8identityIS5_EEEE10hipError_tT2_T3_mT4_P12ihipStream_tbEUlT_E_NS1_11comp_targetILNS1_3genE2ELNS1_11target_archE906ELNS1_3gpuE6ELNS1_3repE0EEENS1_30default_config_static_selectorELNS0_4arch9wavefront6targetE1EEEvT1_
	.globl	_ZN7rocprim17ROCPRIM_400000_NS6detail17trampoline_kernelINS0_14default_configENS1_25transform_config_selectorINS0_10empty_typeELb1EEEZNS1_14transform_implILb1ES3_S6_PS5_S8_NS0_8identityIS5_EEEE10hipError_tT2_T3_mT4_P12ihipStream_tbEUlT_E_NS1_11comp_targetILNS1_3genE2ELNS1_11target_archE906ELNS1_3gpuE6ELNS1_3repE0EEENS1_30default_config_static_selectorELNS0_4arch9wavefront6targetE1EEEvT1_
	.p2align	8
	.type	_ZN7rocprim17ROCPRIM_400000_NS6detail17trampoline_kernelINS0_14default_configENS1_25transform_config_selectorINS0_10empty_typeELb1EEEZNS1_14transform_implILb1ES3_S6_PS5_S8_NS0_8identityIS5_EEEE10hipError_tT2_T3_mT4_P12ihipStream_tbEUlT_E_NS1_11comp_targetILNS1_3genE2ELNS1_11target_archE906ELNS1_3gpuE6ELNS1_3repE0EEENS1_30default_config_static_selectorELNS0_4arch9wavefront6targetE1EEEvT1_,@function
_ZN7rocprim17ROCPRIM_400000_NS6detail17trampoline_kernelINS0_14default_configENS1_25transform_config_selectorINS0_10empty_typeELb1EEEZNS1_14transform_implILb1ES3_S6_PS5_S8_NS0_8identityIS5_EEEE10hipError_tT2_T3_mT4_P12ihipStream_tbEUlT_E_NS1_11comp_targetILNS1_3genE2ELNS1_11target_archE906ELNS1_3gpuE6ELNS1_3repE0EEENS1_30default_config_static_selectorELNS0_4arch9wavefront6targetE1EEEvT1_: ; @_ZN7rocprim17ROCPRIM_400000_NS6detail17trampoline_kernelINS0_14default_configENS1_25transform_config_selectorINS0_10empty_typeELb1EEEZNS1_14transform_implILb1ES3_S6_PS5_S8_NS0_8identityIS5_EEEE10hipError_tT2_T3_mT4_P12ihipStream_tbEUlT_E_NS1_11comp_targetILNS1_3genE2ELNS1_11target_archE906ELNS1_3gpuE6ELNS1_3repE0EEENS1_30default_config_static_selectorELNS0_4arch9wavefront6targetE1EEEvT1_
; %bb.0:
	.section	.rodata,"a",@progbits
	.p2align	6, 0x0
	.amdhsa_kernel _ZN7rocprim17ROCPRIM_400000_NS6detail17trampoline_kernelINS0_14default_configENS1_25transform_config_selectorINS0_10empty_typeELb1EEEZNS1_14transform_implILb1ES3_S6_PS5_S8_NS0_8identityIS5_EEEE10hipError_tT2_T3_mT4_P12ihipStream_tbEUlT_E_NS1_11comp_targetILNS1_3genE2ELNS1_11target_archE906ELNS1_3gpuE6ELNS1_3repE0EEENS1_30default_config_static_selectorELNS0_4arch9wavefront6targetE1EEEvT1_
		.amdhsa_group_segment_fixed_size 0
		.amdhsa_private_segment_fixed_size 0
		.amdhsa_kernarg_size 40
		.amdhsa_user_sgpr_count 2
		.amdhsa_user_sgpr_dispatch_ptr 0
		.amdhsa_user_sgpr_queue_ptr 0
		.amdhsa_user_sgpr_kernarg_segment_ptr 1
		.amdhsa_user_sgpr_dispatch_id 0
		.amdhsa_user_sgpr_kernarg_preload_length 0
		.amdhsa_user_sgpr_kernarg_preload_offset 0
		.amdhsa_user_sgpr_private_segment_size 0
		.amdhsa_uses_dynamic_stack 0
		.amdhsa_enable_private_segment 0
		.amdhsa_system_sgpr_workgroup_id_x 1
		.amdhsa_system_sgpr_workgroup_id_y 0
		.amdhsa_system_sgpr_workgroup_id_z 0
		.amdhsa_system_sgpr_workgroup_info 0
		.amdhsa_system_vgpr_workitem_id 0
		.amdhsa_next_free_vgpr 1
		.amdhsa_next_free_sgpr 0
		.amdhsa_accum_offset 4
		.amdhsa_reserve_vcc 0
		.amdhsa_float_round_mode_32 0
		.amdhsa_float_round_mode_16_64 0
		.amdhsa_float_denorm_mode_32 3
		.amdhsa_float_denorm_mode_16_64 3
		.amdhsa_dx10_clamp 1
		.amdhsa_ieee_mode 1
		.amdhsa_fp16_overflow 0
		.amdhsa_tg_split 0
		.amdhsa_exception_fp_ieee_invalid_op 0
		.amdhsa_exception_fp_denorm_src 0
		.amdhsa_exception_fp_ieee_div_zero 0
		.amdhsa_exception_fp_ieee_overflow 0
		.amdhsa_exception_fp_ieee_underflow 0
		.amdhsa_exception_fp_ieee_inexact 0
		.amdhsa_exception_int_div_zero 0
	.end_amdhsa_kernel
	.section	.text._ZN7rocprim17ROCPRIM_400000_NS6detail17trampoline_kernelINS0_14default_configENS1_25transform_config_selectorINS0_10empty_typeELb1EEEZNS1_14transform_implILb1ES3_S6_PS5_S8_NS0_8identityIS5_EEEE10hipError_tT2_T3_mT4_P12ihipStream_tbEUlT_E_NS1_11comp_targetILNS1_3genE2ELNS1_11target_archE906ELNS1_3gpuE6ELNS1_3repE0EEENS1_30default_config_static_selectorELNS0_4arch9wavefront6targetE1EEEvT1_,"axG",@progbits,_ZN7rocprim17ROCPRIM_400000_NS6detail17trampoline_kernelINS0_14default_configENS1_25transform_config_selectorINS0_10empty_typeELb1EEEZNS1_14transform_implILb1ES3_S6_PS5_S8_NS0_8identityIS5_EEEE10hipError_tT2_T3_mT4_P12ihipStream_tbEUlT_E_NS1_11comp_targetILNS1_3genE2ELNS1_11target_archE906ELNS1_3gpuE6ELNS1_3repE0EEENS1_30default_config_static_selectorELNS0_4arch9wavefront6targetE1EEEvT1_,comdat
.Lfunc_end55:
	.size	_ZN7rocprim17ROCPRIM_400000_NS6detail17trampoline_kernelINS0_14default_configENS1_25transform_config_selectorINS0_10empty_typeELb1EEEZNS1_14transform_implILb1ES3_S6_PS5_S8_NS0_8identityIS5_EEEE10hipError_tT2_T3_mT4_P12ihipStream_tbEUlT_E_NS1_11comp_targetILNS1_3genE2ELNS1_11target_archE906ELNS1_3gpuE6ELNS1_3repE0EEENS1_30default_config_static_selectorELNS0_4arch9wavefront6targetE1EEEvT1_, .Lfunc_end55-_ZN7rocprim17ROCPRIM_400000_NS6detail17trampoline_kernelINS0_14default_configENS1_25transform_config_selectorINS0_10empty_typeELb1EEEZNS1_14transform_implILb1ES3_S6_PS5_S8_NS0_8identityIS5_EEEE10hipError_tT2_T3_mT4_P12ihipStream_tbEUlT_E_NS1_11comp_targetILNS1_3genE2ELNS1_11target_archE906ELNS1_3gpuE6ELNS1_3repE0EEENS1_30default_config_static_selectorELNS0_4arch9wavefront6targetE1EEEvT1_
                                        ; -- End function
	.set _ZN7rocprim17ROCPRIM_400000_NS6detail17trampoline_kernelINS0_14default_configENS1_25transform_config_selectorINS0_10empty_typeELb1EEEZNS1_14transform_implILb1ES3_S6_PS5_S8_NS0_8identityIS5_EEEE10hipError_tT2_T3_mT4_P12ihipStream_tbEUlT_E_NS1_11comp_targetILNS1_3genE2ELNS1_11target_archE906ELNS1_3gpuE6ELNS1_3repE0EEENS1_30default_config_static_selectorELNS0_4arch9wavefront6targetE1EEEvT1_.num_vgpr, 0
	.set _ZN7rocprim17ROCPRIM_400000_NS6detail17trampoline_kernelINS0_14default_configENS1_25transform_config_selectorINS0_10empty_typeELb1EEEZNS1_14transform_implILb1ES3_S6_PS5_S8_NS0_8identityIS5_EEEE10hipError_tT2_T3_mT4_P12ihipStream_tbEUlT_E_NS1_11comp_targetILNS1_3genE2ELNS1_11target_archE906ELNS1_3gpuE6ELNS1_3repE0EEENS1_30default_config_static_selectorELNS0_4arch9wavefront6targetE1EEEvT1_.num_agpr, 0
	.set _ZN7rocprim17ROCPRIM_400000_NS6detail17trampoline_kernelINS0_14default_configENS1_25transform_config_selectorINS0_10empty_typeELb1EEEZNS1_14transform_implILb1ES3_S6_PS5_S8_NS0_8identityIS5_EEEE10hipError_tT2_T3_mT4_P12ihipStream_tbEUlT_E_NS1_11comp_targetILNS1_3genE2ELNS1_11target_archE906ELNS1_3gpuE6ELNS1_3repE0EEENS1_30default_config_static_selectorELNS0_4arch9wavefront6targetE1EEEvT1_.numbered_sgpr, 0
	.set _ZN7rocprim17ROCPRIM_400000_NS6detail17trampoline_kernelINS0_14default_configENS1_25transform_config_selectorINS0_10empty_typeELb1EEEZNS1_14transform_implILb1ES3_S6_PS5_S8_NS0_8identityIS5_EEEE10hipError_tT2_T3_mT4_P12ihipStream_tbEUlT_E_NS1_11comp_targetILNS1_3genE2ELNS1_11target_archE906ELNS1_3gpuE6ELNS1_3repE0EEENS1_30default_config_static_selectorELNS0_4arch9wavefront6targetE1EEEvT1_.num_named_barrier, 0
	.set _ZN7rocprim17ROCPRIM_400000_NS6detail17trampoline_kernelINS0_14default_configENS1_25transform_config_selectorINS0_10empty_typeELb1EEEZNS1_14transform_implILb1ES3_S6_PS5_S8_NS0_8identityIS5_EEEE10hipError_tT2_T3_mT4_P12ihipStream_tbEUlT_E_NS1_11comp_targetILNS1_3genE2ELNS1_11target_archE906ELNS1_3gpuE6ELNS1_3repE0EEENS1_30default_config_static_selectorELNS0_4arch9wavefront6targetE1EEEvT1_.private_seg_size, 0
	.set _ZN7rocprim17ROCPRIM_400000_NS6detail17trampoline_kernelINS0_14default_configENS1_25transform_config_selectorINS0_10empty_typeELb1EEEZNS1_14transform_implILb1ES3_S6_PS5_S8_NS0_8identityIS5_EEEE10hipError_tT2_T3_mT4_P12ihipStream_tbEUlT_E_NS1_11comp_targetILNS1_3genE2ELNS1_11target_archE906ELNS1_3gpuE6ELNS1_3repE0EEENS1_30default_config_static_selectorELNS0_4arch9wavefront6targetE1EEEvT1_.uses_vcc, 0
	.set _ZN7rocprim17ROCPRIM_400000_NS6detail17trampoline_kernelINS0_14default_configENS1_25transform_config_selectorINS0_10empty_typeELb1EEEZNS1_14transform_implILb1ES3_S6_PS5_S8_NS0_8identityIS5_EEEE10hipError_tT2_T3_mT4_P12ihipStream_tbEUlT_E_NS1_11comp_targetILNS1_3genE2ELNS1_11target_archE906ELNS1_3gpuE6ELNS1_3repE0EEENS1_30default_config_static_selectorELNS0_4arch9wavefront6targetE1EEEvT1_.uses_flat_scratch, 0
	.set _ZN7rocprim17ROCPRIM_400000_NS6detail17trampoline_kernelINS0_14default_configENS1_25transform_config_selectorINS0_10empty_typeELb1EEEZNS1_14transform_implILb1ES3_S6_PS5_S8_NS0_8identityIS5_EEEE10hipError_tT2_T3_mT4_P12ihipStream_tbEUlT_E_NS1_11comp_targetILNS1_3genE2ELNS1_11target_archE906ELNS1_3gpuE6ELNS1_3repE0EEENS1_30default_config_static_selectorELNS0_4arch9wavefront6targetE1EEEvT1_.has_dyn_sized_stack, 0
	.set _ZN7rocprim17ROCPRIM_400000_NS6detail17trampoline_kernelINS0_14default_configENS1_25transform_config_selectorINS0_10empty_typeELb1EEEZNS1_14transform_implILb1ES3_S6_PS5_S8_NS0_8identityIS5_EEEE10hipError_tT2_T3_mT4_P12ihipStream_tbEUlT_E_NS1_11comp_targetILNS1_3genE2ELNS1_11target_archE906ELNS1_3gpuE6ELNS1_3repE0EEENS1_30default_config_static_selectorELNS0_4arch9wavefront6targetE1EEEvT1_.has_recursion, 0
	.set _ZN7rocprim17ROCPRIM_400000_NS6detail17trampoline_kernelINS0_14default_configENS1_25transform_config_selectorINS0_10empty_typeELb1EEEZNS1_14transform_implILb1ES3_S6_PS5_S8_NS0_8identityIS5_EEEE10hipError_tT2_T3_mT4_P12ihipStream_tbEUlT_E_NS1_11comp_targetILNS1_3genE2ELNS1_11target_archE906ELNS1_3gpuE6ELNS1_3repE0EEENS1_30default_config_static_selectorELNS0_4arch9wavefront6targetE1EEEvT1_.has_indirect_call, 0
	.section	.AMDGPU.csdata,"",@progbits
; Kernel info:
; codeLenInByte = 0
; TotalNumSgprs: 6
; NumVgprs: 0
; NumAgprs: 0
; TotalNumVgprs: 0
; ScratchSize: 0
; MemoryBound: 0
; FloatMode: 240
; IeeeMode: 1
; LDSByteSize: 0 bytes/workgroup (compile time only)
; SGPRBlocks: 0
; VGPRBlocks: 0
; NumSGPRsForWavesPerEU: 6
; NumVGPRsForWavesPerEU: 1
; AccumOffset: 4
; Occupancy: 8
; WaveLimiterHint : 0
; COMPUTE_PGM_RSRC2:SCRATCH_EN: 0
; COMPUTE_PGM_RSRC2:USER_SGPR: 2
; COMPUTE_PGM_RSRC2:TRAP_HANDLER: 0
; COMPUTE_PGM_RSRC2:TGID_X_EN: 1
; COMPUTE_PGM_RSRC2:TGID_Y_EN: 0
; COMPUTE_PGM_RSRC2:TGID_Z_EN: 0
; COMPUTE_PGM_RSRC2:TIDIG_COMP_CNT: 0
; COMPUTE_PGM_RSRC3_GFX90A:ACCUM_OFFSET: 0
; COMPUTE_PGM_RSRC3_GFX90A:TG_SPLIT: 0
	.section	.text._ZN7rocprim17ROCPRIM_400000_NS6detail17trampoline_kernelINS0_14default_configENS1_25transform_config_selectorINS0_10empty_typeELb1EEEZNS1_14transform_implILb1ES3_S6_PS5_S8_NS0_8identityIS5_EEEE10hipError_tT2_T3_mT4_P12ihipStream_tbEUlT_E_NS1_11comp_targetILNS1_3genE9ELNS1_11target_archE1100ELNS1_3gpuE3ELNS1_3repE0EEENS1_30default_config_static_selectorELNS0_4arch9wavefront6targetE1EEEvT1_,"axG",@progbits,_ZN7rocprim17ROCPRIM_400000_NS6detail17trampoline_kernelINS0_14default_configENS1_25transform_config_selectorINS0_10empty_typeELb1EEEZNS1_14transform_implILb1ES3_S6_PS5_S8_NS0_8identityIS5_EEEE10hipError_tT2_T3_mT4_P12ihipStream_tbEUlT_E_NS1_11comp_targetILNS1_3genE9ELNS1_11target_archE1100ELNS1_3gpuE3ELNS1_3repE0EEENS1_30default_config_static_selectorELNS0_4arch9wavefront6targetE1EEEvT1_,comdat
	.protected	_ZN7rocprim17ROCPRIM_400000_NS6detail17trampoline_kernelINS0_14default_configENS1_25transform_config_selectorINS0_10empty_typeELb1EEEZNS1_14transform_implILb1ES3_S6_PS5_S8_NS0_8identityIS5_EEEE10hipError_tT2_T3_mT4_P12ihipStream_tbEUlT_E_NS1_11comp_targetILNS1_3genE9ELNS1_11target_archE1100ELNS1_3gpuE3ELNS1_3repE0EEENS1_30default_config_static_selectorELNS0_4arch9wavefront6targetE1EEEvT1_ ; -- Begin function _ZN7rocprim17ROCPRIM_400000_NS6detail17trampoline_kernelINS0_14default_configENS1_25transform_config_selectorINS0_10empty_typeELb1EEEZNS1_14transform_implILb1ES3_S6_PS5_S8_NS0_8identityIS5_EEEE10hipError_tT2_T3_mT4_P12ihipStream_tbEUlT_E_NS1_11comp_targetILNS1_3genE9ELNS1_11target_archE1100ELNS1_3gpuE3ELNS1_3repE0EEENS1_30default_config_static_selectorELNS0_4arch9wavefront6targetE1EEEvT1_
	.globl	_ZN7rocprim17ROCPRIM_400000_NS6detail17trampoline_kernelINS0_14default_configENS1_25transform_config_selectorINS0_10empty_typeELb1EEEZNS1_14transform_implILb1ES3_S6_PS5_S8_NS0_8identityIS5_EEEE10hipError_tT2_T3_mT4_P12ihipStream_tbEUlT_E_NS1_11comp_targetILNS1_3genE9ELNS1_11target_archE1100ELNS1_3gpuE3ELNS1_3repE0EEENS1_30default_config_static_selectorELNS0_4arch9wavefront6targetE1EEEvT1_
	.p2align	8
	.type	_ZN7rocprim17ROCPRIM_400000_NS6detail17trampoline_kernelINS0_14default_configENS1_25transform_config_selectorINS0_10empty_typeELb1EEEZNS1_14transform_implILb1ES3_S6_PS5_S8_NS0_8identityIS5_EEEE10hipError_tT2_T3_mT4_P12ihipStream_tbEUlT_E_NS1_11comp_targetILNS1_3genE9ELNS1_11target_archE1100ELNS1_3gpuE3ELNS1_3repE0EEENS1_30default_config_static_selectorELNS0_4arch9wavefront6targetE1EEEvT1_,@function
_ZN7rocprim17ROCPRIM_400000_NS6detail17trampoline_kernelINS0_14default_configENS1_25transform_config_selectorINS0_10empty_typeELb1EEEZNS1_14transform_implILb1ES3_S6_PS5_S8_NS0_8identityIS5_EEEE10hipError_tT2_T3_mT4_P12ihipStream_tbEUlT_E_NS1_11comp_targetILNS1_3genE9ELNS1_11target_archE1100ELNS1_3gpuE3ELNS1_3repE0EEENS1_30default_config_static_selectorELNS0_4arch9wavefront6targetE1EEEvT1_: ; @_ZN7rocprim17ROCPRIM_400000_NS6detail17trampoline_kernelINS0_14default_configENS1_25transform_config_selectorINS0_10empty_typeELb1EEEZNS1_14transform_implILb1ES3_S6_PS5_S8_NS0_8identityIS5_EEEE10hipError_tT2_T3_mT4_P12ihipStream_tbEUlT_E_NS1_11comp_targetILNS1_3genE9ELNS1_11target_archE1100ELNS1_3gpuE3ELNS1_3repE0EEENS1_30default_config_static_selectorELNS0_4arch9wavefront6targetE1EEEvT1_
; %bb.0:
	.section	.rodata,"a",@progbits
	.p2align	6, 0x0
	.amdhsa_kernel _ZN7rocprim17ROCPRIM_400000_NS6detail17trampoline_kernelINS0_14default_configENS1_25transform_config_selectorINS0_10empty_typeELb1EEEZNS1_14transform_implILb1ES3_S6_PS5_S8_NS0_8identityIS5_EEEE10hipError_tT2_T3_mT4_P12ihipStream_tbEUlT_E_NS1_11comp_targetILNS1_3genE9ELNS1_11target_archE1100ELNS1_3gpuE3ELNS1_3repE0EEENS1_30default_config_static_selectorELNS0_4arch9wavefront6targetE1EEEvT1_
		.amdhsa_group_segment_fixed_size 0
		.amdhsa_private_segment_fixed_size 0
		.amdhsa_kernarg_size 40
		.amdhsa_user_sgpr_count 2
		.amdhsa_user_sgpr_dispatch_ptr 0
		.amdhsa_user_sgpr_queue_ptr 0
		.amdhsa_user_sgpr_kernarg_segment_ptr 1
		.amdhsa_user_sgpr_dispatch_id 0
		.amdhsa_user_sgpr_kernarg_preload_length 0
		.amdhsa_user_sgpr_kernarg_preload_offset 0
		.amdhsa_user_sgpr_private_segment_size 0
		.amdhsa_uses_dynamic_stack 0
		.amdhsa_enable_private_segment 0
		.amdhsa_system_sgpr_workgroup_id_x 1
		.amdhsa_system_sgpr_workgroup_id_y 0
		.amdhsa_system_sgpr_workgroup_id_z 0
		.amdhsa_system_sgpr_workgroup_info 0
		.amdhsa_system_vgpr_workitem_id 0
		.amdhsa_next_free_vgpr 1
		.amdhsa_next_free_sgpr 0
		.amdhsa_accum_offset 4
		.amdhsa_reserve_vcc 0
		.amdhsa_float_round_mode_32 0
		.amdhsa_float_round_mode_16_64 0
		.amdhsa_float_denorm_mode_32 3
		.amdhsa_float_denorm_mode_16_64 3
		.amdhsa_dx10_clamp 1
		.amdhsa_ieee_mode 1
		.amdhsa_fp16_overflow 0
		.amdhsa_tg_split 0
		.amdhsa_exception_fp_ieee_invalid_op 0
		.amdhsa_exception_fp_denorm_src 0
		.amdhsa_exception_fp_ieee_div_zero 0
		.amdhsa_exception_fp_ieee_overflow 0
		.amdhsa_exception_fp_ieee_underflow 0
		.amdhsa_exception_fp_ieee_inexact 0
		.amdhsa_exception_int_div_zero 0
	.end_amdhsa_kernel
	.section	.text._ZN7rocprim17ROCPRIM_400000_NS6detail17trampoline_kernelINS0_14default_configENS1_25transform_config_selectorINS0_10empty_typeELb1EEEZNS1_14transform_implILb1ES3_S6_PS5_S8_NS0_8identityIS5_EEEE10hipError_tT2_T3_mT4_P12ihipStream_tbEUlT_E_NS1_11comp_targetILNS1_3genE9ELNS1_11target_archE1100ELNS1_3gpuE3ELNS1_3repE0EEENS1_30default_config_static_selectorELNS0_4arch9wavefront6targetE1EEEvT1_,"axG",@progbits,_ZN7rocprim17ROCPRIM_400000_NS6detail17trampoline_kernelINS0_14default_configENS1_25transform_config_selectorINS0_10empty_typeELb1EEEZNS1_14transform_implILb1ES3_S6_PS5_S8_NS0_8identityIS5_EEEE10hipError_tT2_T3_mT4_P12ihipStream_tbEUlT_E_NS1_11comp_targetILNS1_3genE9ELNS1_11target_archE1100ELNS1_3gpuE3ELNS1_3repE0EEENS1_30default_config_static_selectorELNS0_4arch9wavefront6targetE1EEEvT1_,comdat
.Lfunc_end56:
	.size	_ZN7rocprim17ROCPRIM_400000_NS6detail17trampoline_kernelINS0_14default_configENS1_25transform_config_selectorINS0_10empty_typeELb1EEEZNS1_14transform_implILb1ES3_S6_PS5_S8_NS0_8identityIS5_EEEE10hipError_tT2_T3_mT4_P12ihipStream_tbEUlT_E_NS1_11comp_targetILNS1_3genE9ELNS1_11target_archE1100ELNS1_3gpuE3ELNS1_3repE0EEENS1_30default_config_static_selectorELNS0_4arch9wavefront6targetE1EEEvT1_, .Lfunc_end56-_ZN7rocprim17ROCPRIM_400000_NS6detail17trampoline_kernelINS0_14default_configENS1_25transform_config_selectorINS0_10empty_typeELb1EEEZNS1_14transform_implILb1ES3_S6_PS5_S8_NS0_8identityIS5_EEEE10hipError_tT2_T3_mT4_P12ihipStream_tbEUlT_E_NS1_11comp_targetILNS1_3genE9ELNS1_11target_archE1100ELNS1_3gpuE3ELNS1_3repE0EEENS1_30default_config_static_selectorELNS0_4arch9wavefront6targetE1EEEvT1_
                                        ; -- End function
	.set _ZN7rocprim17ROCPRIM_400000_NS6detail17trampoline_kernelINS0_14default_configENS1_25transform_config_selectorINS0_10empty_typeELb1EEEZNS1_14transform_implILb1ES3_S6_PS5_S8_NS0_8identityIS5_EEEE10hipError_tT2_T3_mT4_P12ihipStream_tbEUlT_E_NS1_11comp_targetILNS1_3genE9ELNS1_11target_archE1100ELNS1_3gpuE3ELNS1_3repE0EEENS1_30default_config_static_selectorELNS0_4arch9wavefront6targetE1EEEvT1_.num_vgpr, 0
	.set _ZN7rocprim17ROCPRIM_400000_NS6detail17trampoline_kernelINS0_14default_configENS1_25transform_config_selectorINS0_10empty_typeELb1EEEZNS1_14transform_implILb1ES3_S6_PS5_S8_NS0_8identityIS5_EEEE10hipError_tT2_T3_mT4_P12ihipStream_tbEUlT_E_NS1_11comp_targetILNS1_3genE9ELNS1_11target_archE1100ELNS1_3gpuE3ELNS1_3repE0EEENS1_30default_config_static_selectorELNS0_4arch9wavefront6targetE1EEEvT1_.num_agpr, 0
	.set _ZN7rocprim17ROCPRIM_400000_NS6detail17trampoline_kernelINS0_14default_configENS1_25transform_config_selectorINS0_10empty_typeELb1EEEZNS1_14transform_implILb1ES3_S6_PS5_S8_NS0_8identityIS5_EEEE10hipError_tT2_T3_mT4_P12ihipStream_tbEUlT_E_NS1_11comp_targetILNS1_3genE9ELNS1_11target_archE1100ELNS1_3gpuE3ELNS1_3repE0EEENS1_30default_config_static_selectorELNS0_4arch9wavefront6targetE1EEEvT1_.numbered_sgpr, 0
	.set _ZN7rocprim17ROCPRIM_400000_NS6detail17trampoline_kernelINS0_14default_configENS1_25transform_config_selectorINS0_10empty_typeELb1EEEZNS1_14transform_implILb1ES3_S6_PS5_S8_NS0_8identityIS5_EEEE10hipError_tT2_T3_mT4_P12ihipStream_tbEUlT_E_NS1_11comp_targetILNS1_3genE9ELNS1_11target_archE1100ELNS1_3gpuE3ELNS1_3repE0EEENS1_30default_config_static_selectorELNS0_4arch9wavefront6targetE1EEEvT1_.num_named_barrier, 0
	.set _ZN7rocprim17ROCPRIM_400000_NS6detail17trampoline_kernelINS0_14default_configENS1_25transform_config_selectorINS0_10empty_typeELb1EEEZNS1_14transform_implILb1ES3_S6_PS5_S8_NS0_8identityIS5_EEEE10hipError_tT2_T3_mT4_P12ihipStream_tbEUlT_E_NS1_11comp_targetILNS1_3genE9ELNS1_11target_archE1100ELNS1_3gpuE3ELNS1_3repE0EEENS1_30default_config_static_selectorELNS0_4arch9wavefront6targetE1EEEvT1_.private_seg_size, 0
	.set _ZN7rocprim17ROCPRIM_400000_NS6detail17trampoline_kernelINS0_14default_configENS1_25transform_config_selectorINS0_10empty_typeELb1EEEZNS1_14transform_implILb1ES3_S6_PS5_S8_NS0_8identityIS5_EEEE10hipError_tT2_T3_mT4_P12ihipStream_tbEUlT_E_NS1_11comp_targetILNS1_3genE9ELNS1_11target_archE1100ELNS1_3gpuE3ELNS1_3repE0EEENS1_30default_config_static_selectorELNS0_4arch9wavefront6targetE1EEEvT1_.uses_vcc, 0
	.set _ZN7rocprim17ROCPRIM_400000_NS6detail17trampoline_kernelINS0_14default_configENS1_25transform_config_selectorINS0_10empty_typeELb1EEEZNS1_14transform_implILb1ES3_S6_PS5_S8_NS0_8identityIS5_EEEE10hipError_tT2_T3_mT4_P12ihipStream_tbEUlT_E_NS1_11comp_targetILNS1_3genE9ELNS1_11target_archE1100ELNS1_3gpuE3ELNS1_3repE0EEENS1_30default_config_static_selectorELNS0_4arch9wavefront6targetE1EEEvT1_.uses_flat_scratch, 0
	.set _ZN7rocprim17ROCPRIM_400000_NS6detail17trampoline_kernelINS0_14default_configENS1_25transform_config_selectorINS0_10empty_typeELb1EEEZNS1_14transform_implILb1ES3_S6_PS5_S8_NS0_8identityIS5_EEEE10hipError_tT2_T3_mT4_P12ihipStream_tbEUlT_E_NS1_11comp_targetILNS1_3genE9ELNS1_11target_archE1100ELNS1_3gpuE3ELNS1_3repE0EEENS1_30default_config_static_selectorELNS0_4arch9wavefront6targetE1EEEvT1_.has_dyn_sized_stack, 0
	.set _ZN7rocprim17ROCPRIM_400000_NS6detail17trampoline_kernelINS0_14default_configENS1_25transform_config_selectorINS0_10empty_typeELb1EEEZNS1_14transform_implILb1ES3_S6_PS5_S8_NS0_8identityIS5_EEEE10hipError_tT2_T3_mT4_P12ihipStream_tbEUlT_E_NS1_11comp_targetILNS1_3genE9ELNS1_11target_archE1100ELNS1_3gpuE3ELNS1_3repE0EEENS1_30default_config_static_selectorELNS0_4arch9wavefront6targetE1EEEvT1_.has_recursion, 0
	.set _ZN7rocprim17ROCPRIM_400000_NS6detail17trampoline_kernelINS0_14default_configENS1_25transform_config_selectorINS0_10empty_typeELb1EEEZNS1_14transform_implILb1ES3_S6_PS5_S8_NS0_8identityIS5_EEEE10hipError_tT2_T3_mT4_P12ihipStream_tbEUlT_E_NS1_11comp_targetILNS1_3genE9ELNS1_11target_archE1100ELNS1_3gpuE3ELNS1_3repE0EEENS1_30default_config_static_selectorELNS0_4arch9wavefront6targetE1EEEvT1_.has_indirect_call, 0
	.section	.AMDGPU.csdata,"",@progbits
; Kernel info:
; codeLenInByte = 0
; TotalNumSgprs: 6
; NumVgprs: 0
; NumAgprs: 0
; TotalNumVgprs: 0
; ScratchSize: 0
; MemoryBound: 0
; FloatMode: 240
; IeeeMode: 1
; LDSByteSize: 0 bytes/workgroup (compile time only)
; SGPRBlocks: 0
; VGPRBlocks: 0
; NumSGPRsForWavesPerEU: 6
; NumVGPRsForWavesPerEU: 1
; AccumOffset: 4
; Occupancy: 8
; WaveLimiterHint : 0
; COMPUTE_PGM_RSRC2:SCRATCH_EN: 0
; COMPUTE_PGM_RSRC2:USER_SGPR: 2
; COMPUTE_PGM_RSRC2:TRAP_HANDLER: 0
; COMPUTE_PGM_RSRC2:TGID_X_EN: 1
; COMPUTE_PGM_RSRC2:TGID_Y_EN: 0
; COMPUTE_PGM_RSRC2:TGID_Z_EN: 0
; COMPUTE_PGM_RSRC2:TIDIG_COMP_CNT: 0
; COMPUTE_PGM_RSRC3_GFX90A:ACCUM_OFFSET: 0
; COMPUTE_PGM_RSRC3_GFX90A:TG_SPLIT: 0
	.section	.text._ZN7rocprim17ROCPRIM_400000_NS6detail17trampoline_kernelINS0_14default_configENS1_25transform_config_selectorINS0_10empty_typeELb1EEEZNS1_14transform_implILb1ES3_S6_PS5_S8_NS0_8identityIS5_EEEE10hipError_tT2_T3_mT4_P12ihipStream_tbEUlT_E_NS1_11comp_targetILNS1_3genE8ELNS1_11target_archE1030ELNS1_3gpuE2ELNS1_3repE0EEENS1_30default_config_static_selectorELNS0_4arch9wavefront6targetE1EEEvT1_,"axG",@progbits,_ZN7rocprim17ROCPRIM_400000_NS6detail17trampoline_kernelINS0_14default_configENS1_25transform_config_selectorINS0_10empty_typeELb1EEEZNS1_14transform_implILb1ES3_S6_PS5_S8_NS0_8identityIS5_EEEE10hipError_tT2_T3_mT4_P12ihipStream_tbEUlT_E_NS1_11comp_targetILNS1_3genE8ELNS1_11target_archE1030ELNS1_3gpuE2ELNS1_3repE0EEENS1_30default_config_static_selectorELNS0_4arch9wavefront6targetE1EEEvT1_,comdat
	.protected	_ZN7rocprim17ROCPRIM_400000_NS6detail17trampoline_kernelINS0_14default_configENS1_25transform_config_selectorINS0_10empty_typeELb1EEEZNS1_14transform_implILb1ES3_S6_PS5_S8_NS0_8identityIS5_EEEE10hipError_tT2_T3_mT4_P12ihipStream_tbEUlT_E_NS1_11comp_targetILNS1_3genE8ELNS1_11target_archE1030ELNS1_3gpuE2ELNS1_3repE0EEENS1_30default_config_static_selectorELNS0_4arch9wavefront6targetE1EEEvT1_ ; -- Begin function _ZN7rocprim17ROCPRIM_400000_NS6detail17trampoline_kernelINS0_14default_configENS1_25transform_config_selectorINS0_10empty_typeELb1EEEZNS1_14transform_implILb1ES3_S6_PS5_S8_NS0_8identityIS5_EEEE10hipError_tT2_T3_mT4_P12ihipStream_tbEUlT_E_NS1_11comp_targetILNS1_3genE8ELNS1_11target_archE1030ELNS1_3gpuE2ELNS1_3repE0EEENS1_30default_config_static_selectorELNS0_4arch9wavefront6targetE1EEEvT1_
	.globl	_ZN7rocprim17ROCPRIM_400000_NS6detail17trampoline_kernelINS0_14default_configENS1_25transform_config_selectorINS0_10empty_typeELb1EEEZNS1_14transform_implILb1ES3_S6_PS5_S8_NS0_8identityIS5_EEEE10hipError_tT2_T3_mT4_P12ihipStream_tbEUlT_E_NS1_11comp_targetILNS1_3genE8ELNS1_11target_archE1030ELNS1_3gpuE2ELNS1_3repE0EEENS1_30default_config_static_selectorELNS0_4arch9wavefront6targetE1EEEvT1_
	.p2align	8
	.type	_ZN7rocprim17ROCPRIM_400000_NS6detail17trampoline_kernelINS0_14default_configENS1_25transform_config_selectorINS0_10empty_typeELb1EEEZNS1_14transform_implILb1ES3_S6_PS5_S8_NS0_8identityIS5_EEEE10hipError_tT2_T3_mT4_P12ihipStream_tbEUlT_E_NS1_11comp_targetILNS1_3genE8ELNS1_11target_archE1030ELNS1_3gpuE2ELNS1_3repE0EEENS1_30default_config_static_selectorELNS0_4arch9wavefront6targetE1EEEvT1_,@function
_ZN7rocprim17ROCPRIM_400000_NS6detail17trampoline_kernelINS0_14default_configENS1_25transform_config_selectorINS0_10empty_typeELb1EEEZNS1_14transform_implILb1ES3_S6_PS5_S8_NS0_8identityIS5_EEEE10hipError_tT2_T3_mT4_P12ihipStream_tbEUlT_E_NS1_11comp_targetILNS1_3genE8ELNS1_11target_archE1030ELNS1_3gpuE2ELNS1_3repE0EEENS1_30default_config_static_selectorELNS0_4arch9wavefront6targetE1EEEvT1_: ; @_ZN7rocprim17ROCPRIM_400000_NS6detail17trampoline_kernelINS0_14default_configENS1_25transform_config_selectorINS0_10empty_typeELb1EEEZNS1_14transform_implILb1ES3_S6_PS5_S8_NS0_8identityIS5_EEEE10hipError_tT2_T3_mT4_P12ihipStream_tbEUlT_E_NS1_11comp_targetILNS1_3genE8ELNS1_11target_archE1030ELNS1_3gpuE2ELNS1_3repE0EEENS1_30default_config_static_selectorELNS0_4arch9wavefront6targetE1EEEvT1_
; %bb.0:
	.section	.rodata,"a",@progbits
	.p2align	6, 0x0
	.amdhsa_kernel _ZN7rocprim17ROCPRIM_400000_NS6detail17trampoline_kernelINS0_14default_configENS1_25transform_config_selectorINS0_10empty_typeELb1EEEZNS1_14transform_implILb1ES3_S6_PS5_S8_NS0_8identityIS5_EEEE10hipError_tT2_T3_mT4_P12ihipStream_tbEUlT_E_NS1_11comp_targetILNS1_3genE8ELNS1_11target_archE1030ELNS1_3gpuE2ELNS1_3repE0EEENS1_30default_config_static_selectorELNS0_4arch9wavefront6targetE1EEEvT1_
		.amdhsa_group_segment_fixed_size 0
		.amdhsa_private_segment_fixed_size 0
		.amdhsa_kernarg_size 40
		.amdhsa_user_sgpr_count 2
		.amdhsa_user_sgpr_dispatch_ptr 0
		.amdhsa_user_sgpr_queue_ptr 0
		.amdhsa_user_sgpr_kernarg_segment_ptr 1
		.amdhsa_user_sgpr_dispatch_id 0
		.amdhsa_user_sgpr_kernarg_preload_length 0
		.amdhsa_user_sgpr_kernarg_preload_offset 0
		.amdhsa_user_sgpr_private_segment_size 0
		.amdhsa_uses_dynamic_stack 0
		.amdhsa_enable_private_segment 0
		.amdhsa_system_sgpr_workgroup_id_x 1
		.amdhsa_system_sgpr_workgroup_id_y 0
		.amdhsa_system_sgpr_workgroup_id_z 0
		.amdhsa_system_sgpr_workgroup_info 0
		.amdhsa_system_vgpr_workitem_id 0
		.amdhsa_next_free_vgpr 1
		.amdhsa_next_free_sgpr 0
		.amdhsa_accum_offset 4
		.amdhsa_reserve_vcc 0
		.amdhsa_float_round_mode_32 0
		.amdhsa_float_round_mode_16_64 0
		.amdhsa_float_denorm_mode_32 3
		.amdhsa_float_denorm_mode_16_64 3
		.amdhsa_dx10_clamp 1
		.amdhsa_ieee_mode 1
		.amdhsa_fp16_overflow 0
		.amdhsa_tg_split 0
		.amdhsa_exception_fp_ieee_invalid_op 0
		.amdhsa_exception_fp_denorm_src 0
		.amdhsa_exception_fp_ieee_div_zero 0
		.amdhsa_exception_fp_ieee_overflow 0
		.amdhsa_exception_fp_ieee_underflow 0
		.amdhsa_exception_fp_ieee_inexact 0
		.amdhsa_exception_int_div_zero 0
	.end_amdhsa_kernel
	.section	.text._ZN7rocprim17ROCPRIM_400000_NS6detail17trampoline_kernelINS0_14default_configENS1_25transform_config_selectorINS0_10empty_typeELb1EEEZNS1_14transform_implILb1ES3_S6_PS5_S8_NS0_8identityIS5_EEEE10hipError_tT2_T3_mT4_P12ihipStream_tbEUlT_E_NS1_11comp_targetILNS1_3genE8ELNS1_11target_archE1030ELNS1_3gpuE2ELNS1_3repE0EEENS1_30default_config_static_selectorELNS0_4arch9wavefront6targetE1EEEvT1_,"axG",@progbits,_ZN7rocprim17ROCPRIM_400000_NS6detail17trampoline_kernelINS0_14default_configENS1_25transform_config_selectorINS0_10empty_typeELb1EEEZNS1_14transform_implILb1ES3_S6_PS5_S8_NS0_8identityIS5_EEEE10hipError_tT2_T3_mT4_P12ihipStream_tbEUlT_E_NS1_11comp_targetILNS1_3genE8ELNS1_11target_archE1030ELNS1_3gpuE2ELNS1_3repE0EEENS1_30default_config_static_selectorELNS0_4arch9wavefront6targetE1EEEvT1_,comdat
.Lfunc_end57:
	.size	_ZN7rocprim17ROCPRIM_400000_NS6detail17trampoline_kernelINS0_14default_configENS1_25transform_config_selectorINS0_10empty_typeELb1EEEZNS1_14transform_implILb1ES3_S6_PS5_S8_NS0_8identityIS5_EEEE10hipError_tT2_T3_mT4_P12ihipStream_tbEUlT_E_NS1_11comp_targetILNS1_3genE8ELNS1_11target_archE1030ELNS1_3gpuE2ELNS1_3repE0EEENS1_30default_config_static_selectorELNS0_4arch9wavefront6targetE1EEEvT1_, .Lfunc_end57-_ZN7rocprim17ROCPRIM_400000_NS6detail17trampoline_kernelINS0_14default_configENS1_25transform_config_selectorINS0_10empty_typeELb1EEEZNS1_14transform_implILb1ES3_S6_PS5_S8_NS0_8identityIS5_EEEE10hipError_tT2_T3_mT4_P12ihipStream_tbEUlT_E_NS1_11comp_targetILNS1_3genE8ELNS1_11target_archE1030ELNS1_3gpuE2ELNS1_3repE0EEENS1_30default_config_static_selectorELNS0_4arch9wavefront6targetE1EEEvT1_
                                        ; -- End function
	.set _ZN7rocprim17ROCPRIM_400000_NS6detail17trampoline_kernelINS0_14default_configENS1_25transform_config_selectorINS0_10empty_typeELb1EEEZNS1_14transform_implILb1ES3_S6_PS5_S8_NS0_8identityIS5_EEEE10hipError_tT2_T3_mT4_P12ihipStream_tbEUlT_E_NS1_11comp_targetILNS1_3genE8ELNS1_11target_archE1030ELNS1_3gpuE2ELNS1_3repE0EEENS1_30default_config_static_selectorELNS0_4arch9wavefront6targetE1EEEvT1_.num_vgpr, 0
	.set _ZN7rocprim17ROCPRIM_400000_NS6detail17trampoline_kernelINS0_14default_configENS1_25transform_config_selectorINS0_10empty_typeELb1EEEZNS1_14transform_implILb1ES3_S6_PS5_S8_NS0_8identityIS5_EEEE10hipError_tT2_T3_mT4_P12ihipStream_tbEUlT_E_NS1_11comp_targetILNS1_3genE8ELNS1_11target_archE1030ELNS1_3gpuE2ELNS1_3repE0EEENS1_30default_config_static_selectorELNS0_4arch9wavefront6targetE1EEEvT1_.num_agpr, 0
	.set _ZN7rocprim17ROCPRIM_400000_NS6detail17trampoline_kernelINS0_14default_configENS1_25transform_config_selectorINS0_10empty_typeELb1EEEZNS1_14transform_implILb1ES3_S6_PS5_S8_NS0_8identityIS5_EEEE10hipError_tT2_T3_mT4_P12ihipStream_tbEUlT_E_NS1_11comp_targetILNS1_3genE8ELNS1_11target_archE1030ELNS1_3gpuE2ELNS1_3repE0EEENS1_30default_config_static_selectorELNS0_4arch9wavefront6targetE1EEEvT1_.numbered_sgpr, 0
	.set _ZN7rocprim17ROCPRIM_400000_NS6detail17trampoline_kernelINS0_14default_configENS1_25transform_config_selectorINS0_10empty_typeELb1EEEZNS1_14transform_implILb1ES3_S6_PS5_S8_NS0_8identityIS5_EEEE10hipError_tT2_T3_mT4_P12ihipStream_tbEUlT_E_NS1_11comp_targetILNS1_3genE8ELNS1_11target_archE1030ELNS1_3gpuE2ELNS1_3repE0EEENS1_30default_config_static_selectorELNS0_4arch9wavefront6targetE1EEEvT1_.num_named_barrier, 0
	.set _ZN7rocprim17ROCPRIM_400000_NS6detail17trampoline_kernelINS0_14default_configENS1_25transform_config_selectorINS0_10empty_typeELb1EEEZNS1_14transform_implILb1ES3_S6_PS5_S8_NS0_8identityIS5_EEEE10hipError_tT2_T3_mT4_P12ihipStream_tbEUlT_E_NS1_11comp_targetILNS1_3genE8ELNS1_11target_archE1030ELNS1_3gpuE2ELNS1_3repE0EEENS1_30default_config_static_selectorELNS0_4arch9wavefront6targetE1EEEvT1_.private_seg_size, 0
	.set _ZN7rocprim17ROCPRIM_400000_NS6detail17trampoline_kernelINS0_14default_configENS1_25transform_config_selectorINS0_10empty_typeELb1EEEZNS1_14transform_implILb1ES3_S6_PS5_S8_NS0_8identityIS5_EEEE10hipError_tT2_T3_mT4_P12ihipStream_tbEUlT_E_NS1_11comp_targetILNS1_3genE8ELNS1_11target_archE1030ELNS1_3gpuE2ELNS1_3repE0EEENS1_30default_config_static_selectorELNS0_4arch9wavefront6targetE1EEEvT1_.uses_vcc, 0
	.set _ZN7rocprim17ROCPRIM_400000_NS6detail17trampoline_kernelINS0_14default_configENS1_25transform_config_selectorINS0_10empty_typeELb1EEEZNS1_14transform_implILb1ES3_S6_PS5_S8_NS0_8identityIS5_EEEE10hipError_tT2_T3_mT4_P12ihipStream_tbEUlT_E_NS1_11comp_targetILNS1_3genE8ELNS1_11target_archE1030ELNS1_3gpuE2ELNS1_3repE0EEENS1_30default_config_static_selectorELNS0_4arch9wavefront6targetE1EEEvT1_.uses_flat_scratch, 0
	.set _ZN7rocprim17ROCPRIM_400000_NS6detail17trampoline_kernelINS0_14default_configENS1_25transform_config_selectorINS0_10empty_typeELb1EEEZNS1_14transform_implILb1ES3_S6_PS5_S8_NS0_8identityIS5_EEEE10hipError_tT2_T3_mT4_P12ihipStream_tbEUlT_E_NS1_11comp_targetILNS1_3genE8ELNS1_11target_archE1030ELNS1_3gpuE2ELNS1_3repE0EEENS1_30default_config_static_selectorELNS0_4arch9wavefront6targetE1EEEvT1_.has_dyn_sized_stack, 0
	.set _ZN7rocprim17ROCPRIM_400000_NS6detail17trampoline_kernelINS0_14default_configENS1_25transform_config_selectorINS0_10empty_typeELb1EEEZNS1_14transform_implILb1ES3_S6_PS5_S8_NS0_8identityIS5_EEEE10hipError_tT2_T3_mT4_P12ihipStream_tbEUlT_E_NS1_11comp_targetILNS1_3genE8ELNS1_11target_archE1030ELNS1_3gpuE2ELNS1_3repE0EEENS1_30default_config_static_selectorELNS0_4arch9wavefront6targetE1EEEvT1_.has_recursion, 0
	.set _ZN7rocprim17ROCPRIM_400000_NS6detail17trampoline_kernelINS0_14default_configENS1_25transform_config_selectorINS0_10empty_typeELb1EEEZNS1_14transform_implILb1ES3_S6_PS5_S8_NS0_8identityIS5_EEEE10hipError_tT2_T3_mT4_P12ihipStream_tbEUlT_E_NS1_11comp_targetILNS1_3genE8ELNS1_11target_archE1030ELNS1_3gpuE2ELNS1_3repE0EEENS1_30default_config_static_selectorELNS0_4arch9wavefront6targetE1EEEvT1_.has_indirect_call, 0
	.section	.AMDGPU.csdata,"",@progbits
; Kernel info:
; codeLenInByte = 0
; TotalNumSgprs: 6
; NumVgprs: 0
; NumAgprs: 0
; TotalNumVgprs: 0
; ScratchSize: 0
; MemoryBound: 0
; FloatMode: 240
; IeeeMode: 1
; LDSByteSize: 0 bytes/workgroup (compile time only)
; SGPRBlocks: 0
; VGPRBlocks: 0
; NumSGPRsForWavesPerEU: 6
; NumVGPRsForWavesPerEU: 1
; AccumOffset: 4
; Occupancy: 8
; WaveLimiterHint : 0
; COMPUTE_PGM_RSRC2:SCRATCH_EN: 0
; COMPUTE_PGM_RSRC2:USER_SGPR: 2
; COMPUTE_PGM_RSRC2:TRAP_HANDLER: 0
; COMPUTE_PGM_RSRC2:TGID_X_EN: 1
; COMPUTE_PGM_RSRC2:TGID_Y_EN: 0
; COMPUTE_PGM_RSRC2:TGID_Z_EN: 0
; COMPUTE_PGM_RSRC2:TIDIG_COMP_CNT: 0
; COMPUTE_PGM_RSRC3_GFX90A:ACCUM_OFFSET: 0
; COMPUTE_PGM_RSRC3_GFX90A:TG_SPLIT: 0
	.section	.text._ZN7rocprim17ROCPRIM_400000_NS6detail17trampoline_kernelINS0_14default_configENS1_35adjacent_difference_config_selectorILb0ElEEZNS1_24adjacent_difference_implIS3_Lb0ELb0EPlS7_ZN2at6native12_GLOBAL__N_124unique_dim_cuda_templateIhEESt5tupleIJNS8_6TensorESD_SD_EERKSD_lbbbEUlllE1_EE10hipError_tPvRmT2_T3_mT4_P12ihipStream_tbEUlT_E_NS1_11comp_targetILNS1_3genE0ELNS1_11target_archE4294967295ELNS1_3gpuE0ELNS1_3repE0EEENS1_30default_config_static_selectorELNS0_4arch9wavefront6targetE1EEEvT1_,"axG",@progbits,_ZN7rocprim17ROCPRIM_400000_NS6detail17trampoline_kernelINS0_14default_configENS1_35adjacent_difference_config_selectorILb0ElEEZNS1_24adjacent_difference_implIS3_Lb0ELb0EPlS7_ZN2at6native12_GLOBAL__N_124unique_dim_cuda_templateIhEESt5tupleIJNS8_6TensorESD_SD_EERKSD_lbbbEUlllE1_EE10hipError_tPvRmT2_T3_mT4_P12ihipStream_tbEUlT_E_NS1_11comp_targetILNS1_3genE0ELNS1_11target_archE4294967295ELNS1_3gpuE0ELNS1_3repE0EEENS1_30default_config_static_selectorELNS0_4arch9wavefront6targetE1EEEvT1_,comdat
	.globl	_ZN7rocprim17ROCPRIM_400000_NS6detail17trampoline_kernelINS0_14default_configENS1_35adjacent_difference_config_selectorILb0ElEEZNS1_24adjacent_difference_implIS3_Lb0ELb0EPlS7_ZN2at6native12_GLOBAL__N_124unique_dim_cuda_templateIhEESt5tupleIJNS8_6TensorESD_SD_EERKSD_lbbbEUlllE1_EE10hipError_tPvRmT2_T3_mT4_P12ihipStream_tbEUlT_E_NS1_11comp_targetILNS1_3genE0ELNS1_11target_archE4294967295ELNS1_3gpuE0ELNS1_3repE0EEENS1_30default_config_static_selectorELNS0_4arch9wavefront6targetE1EEEvT1_ ; -- Begin function _ZN7rocprim17ROCPRIM_400000_NS6detail17trampoline_kernelINS0_14default_configENS1_35adjacent_difference_config_selectorILb0ElEEZNS1_24adjacent_difference_implIS3_Lb0ELb0EPlS7_ZN2at6native12_GLOBAL__N_124unique_dim_cuda_templateIhEESt5tupleIJNS8_6TensorESD_SD_EERKSD_lbbbEUlllE1_EE10hipError_tPvRmT2_T3_mT4_P12ihipStream_tbEUlT_E_NS1_11comp_targetILNS1_3genE0ELNS1_11target_archE4294967295ELNS1_3gpuE0ELNS1_3repE0EEENS1_30default_config_static_selectorELNS0_4arch9wavefront6targetE1EEEvT1_
	.p2align	8
	.type	_ZN7rocprim17ROCPRIM_400000_NS6detail17trampoline_kernelINS0_14default_configENS1_35adjacent_difference_config_selectorILb0ElEEZNS1_24adjacent_difference_implIS3_Lb0ELb0EPlS7_ZN2at6native12_GLOBAL__N_124unique_dim_cuda_templateIhEESt5tupleIJNS8_6TensorESD_SD_EERKSD_lbbbEUlllE1_EE10hipError_tPvRmT2_T3_mT4_P12ihipStream_tbEUlT_E_NS1_11comp_targetILNS1_3genE0ELNS1_11target_archE4294967295ELNS1_3gpuE0ELNS1_3repE0EEENS1_30default_config_static_selectorELNS0_4arch9wavefront6targetE1EEEvT1_,@function
_ZN7rocprim17ROCPRIM_400000_NS6detail17trampoline_kernelINS0_14default_configENS1_35adjacent_difference_config_selectorILb0ElEEZNS1_24adjacent_difference_implIS3_Lb0ELb0EPlS7_ZN2at6native12_GLOBAL__N_124unique_dim_cuda_templateIhEESt5tupleIJNS8_6TensorESD_SD_EERKSD_lbbbEUlllE1_EE10hipError_tPvRmT2_T3_mT4_P12ihipStream_tbEUlT_E_NS1_11comp_targetILNS1_3genE0ELNS1_11target_archE4294967295ELNS1_3gpuE0ELNS1_3repE0EEENS1_30default_config_static_selectorELNS0_4arch9wavefront6targetE1EEEvT1_: ; @_ZN7rocprim17ROCPRIM_400000_NS6detail17trampoline_kernelINS0_14default_configENS1_35adjacent_difference_config_selectorILb0ElEEZNS1_24adjacent_difference_implIS3_Lb0ELb0EPlS7_ZN2at6native12_GLOBAL__N_124unique_dim_cuda_templateIhEESt5tupleIJNS8_6TensorESD_SD_EERKSD_lbbbEUlllE1_EE10hipError_tPvRmT2_T3_mT4_P12ihipStream_tbEUlT_E_NS1_11comp_targetILNS1_3genE0ELNS1_11target_archE4294967295ELNS1_3gpuE0ELNS1_3repE0EEENS1_30default_config_static_selectorELNS0_4arch9wavefront6targetE1EEEvT1_
; %bb.0:
	s_load_dwordx8 s[4:11], s[0:1], 0x0
	s_load_dwordx4 s[12:15], s[0:1], 0x20
	s_load_dwordx2 s[16:17], s[0:1], 0x38
	s_mov_b32 s19, 0
	s_mov_b64 s[20:21], -1
	s_waitcnt lgkmcnt(0)
	s_lshl_b64 s[6:7], s[6:7], 3
	s_add_u32 s22, s4, s6
	s_addc_u32 s23, s5, s7
	s_lshl_b32 s4, s2, 7
	s_lshr_b64 s[0:1], s[10:11], 7
	s_and_b32 s18, s10, 0x7f
	s_cmp_lg_u64 s[18:19], 0
	s_cselect_b64 s[18:19], -1, 0
	v_cndmask_b32_e64 v1, 0, 1, s[18:19]
	s_nop 0
	v_readfirstlane_b32 s3, v1
	s_add_u32 s18, s0, s3
	s_addc_u32 s19, s1, 0
	s_add_u32 s2, s16, s2
	s_addc_u32 s3, s17, 0
	s_add_u32 s16, s18, -1
	s_addc_u32 s17, s19, -1
	v_mov_b64_e32 v[2:3], s[16:17]
	v_cmp_ge_u64_e64 s[0:1], s[2:3], v[2:3]
	s_and_b64 vcc, exec, s[0:1]
                                        ; implicit-def: $vgpr1
	s_cbranch_vccz .LBB58_4
; %bb.1:
	s_lshl_b32 s5, s16, 7
	s_sub_i32 s5, s10, s5
	v_cmp_gt_u32_e32 vcc, s5, v0
                                        ; implicit-def: $vgpr2_vgpr3
	s_and_saveexec_b64 s[20:21], vcc
	s_cbranch_execz .LBB58_3
; %bb.2:
	s_mov_b32 s5, 0
	s_lshl_b64 s[24:25], s[4:5], 3
	s_add_u32 s24, s22, s24
	s_addc_u32 s25, s23, s25
	v_lshlrev_b32_e32 v1, 3, v0
	global_load_dwordx2 v[2:3], v1, s[24:25]
.LBB58_3:
	s_or_b64 exec, exec, s[20:21]
	v_lshlrev_b32_e32 v1, 3, v0
	s_mov_b64 s[20:21], 0
	s_waitcnt vmcnt(0)
	ds_write_b64 v1, v[2:3]
	s_waitcnt lgkmcnt(0)
	s_barrier
.LBB58_4:
	s_and_b64 vcc, exec, s[20:21]
	s_cbranch_vccz .LBB58_6
; %bb.5:
	s_mov_b32 s5, 0
	s_lshl_b64 s[20:21], s[4:5], 3
	s_add_u32 s20, s22, s20
	s_addc_u32 s21, s23, s21
	v_lshlrev_b32_e32 v1, 3, v0
	global_load_dwordx2 v[2:3], v1, s[20:21]
	s_waitcnt vmcnt(0)
	ds_write_b64 v1, v[2:3]
	s_waitcnt lgkmcnt(0)
	s_barrier
.LBB58_6:
	ds_read_b64 v[2:3], v1
	s_cmp_eq_u64 s[2:3], 0
	s_waitcnt lgkmcnt(0)
	s_barrier
	s_cbranch_scc1 .LBB58_15
; %bb.7:
	s_mov_b32 s5, 0
	s_lshl_b64 s[20:21], s[4:5], 3
	s_add_u32 s5, s22, s20
	s_addc_u32 s11, s23, s21
	s_add_u32 s20, s5, -8
	s_addc_u32 s21, s11, -1
	s_load_dwordx2 s[20:21], s[20:21], 0x0
	s_cmp_eq_u64 s[2:3], s[16:17]
	s_cbranch_scc1 .LBB58_16
; %bb.8:
	v_lshlrev_b32_e32 v1, 3, v0
	v_cmp_ne_u32_e32 vcc, 0, v0
	s_waitcnt lgkmcnt(0)
	v_mov_b64_e32 v[8:9], s[20:21]
	ds_write_b64 v1, v[2:3]
	s_waitcnt lgkmcnt(0)
	s_barrier
	s_and_saveexec_b64 s[22:23], vcc
; %bb.9:
	v_add_u32_e32 v1, -8, v1
	ds_read_b64 v[8:9], v1
; %bb.10:
	s_or_b64 exec, exec, s[22:23]
	v_cmp_lt_i64_e64 s[22:23], s[12:13], 1
	s_and_b64 vcc, exec, s[22:23]
	s_cbranch_vccnz .LBB58_18
; %bb.11:
	v_mov_b64_e32 v[6:7], s[14:15]
	v_mad_u64_u32 v[4:5], s[22:23], v2, s12, v[6:7]
	v_mul_lo_u32 v1, v2, s13
	v_mul_lo_u32 v10, v3, s12
	v_add3_u32 v5, v10, v5, v1
	s_waitcnt lgkmcnt(0)
	v_mad_u64_u32 v[6:7], s[22:23], v8, s12, v[6:7]
	v_mul_lo_u32 v1, v8, s13
	v_mul_lo_u32 v8, v9, s12
	v_add3_u32 v7, v8, v7, v1
	s_mov_b64 s[22:23], 0
	s_mov_b64 s[24:25], s[12:13]
                                        ; implicit-def: $sgpr26_sgpr27
	s_branch .LBB58_13
.LBB58_12:                              ;   in Loop: Header=BB58_13 Depth=1
	s_or_b64 exec, exec, s[28:29]
	s_and_b64 s[28:29], exec, s[26:27]
	s_or_b64 s[22:23], s[28:29], s[22:23]
	s_andn2_b64 exec, exec, s[22:23]
	s_cbranch_execz .LBB58_17
.LBB58_13:                              ; =>This Inner Loop Header: Depth=1
	global_load_ubyte v1, v[4:5], off
	global_load_ubyte v8, v[6:7], off
	v_mov_b64_e32 v[10:11], 1
	s_or_b64 s[26:27], s[26:27], exec
	s_waitcnt vmcnt(0)
	v_cmp_eq_u16_e32 vcc, v1, v8
	s_and_saveexec_b64 s[28:29], vcc
	s_cbranch_execz .LBB58_12
; %bb.14:                               ;   in Loop: Header=BB58_13 Depth=1
	s_add_u32 s24, s24, -1
	s_addc_u32 s25, s25, -1
	s_cmp_eq_u64 s[24:25], 0
	s_cselect_b64 s[30:31], -1, 0
	s_andn2_b64 s[26:27], s[26:27], exec
	s_and_b64 s[30:31], s[30:31], exec
	v_lshl_add_u64 v[4:5], v[4:5], 0, 1
	v_lshl_add_u64 v[6:7], v[6:7], 0, 1
	v_mov_b64_e32 v[10:11], 0
	s_or_b64 s[26:27], s[26:27], s[30:31]
	s_branch .LBB58_12
.LBB58_15:
                                        ; implicit-def: $vgpr10_vgpr11
	s_branch .LBB58_31
.LBB58_16:
                                        ; implicit-def: $vgpr10_vgpr11
	s_cbranch_execnz .LBB58_19
	s_branch .LBB58_30
.LBB58_17:
	s_or_b64 exec, exec, s[22:23]
	s_branch .LBB58_30
.LBB58_18:
	v_mov_b64_e32 v[10:11], 0
	s_branch .LBB58_30
.LBB58_19:
	v_lshlrev_b32_e32 v1, 3, v0
	v_cmp_ne_u32_e32 vcc, 0, v0
	s_waitcnt lgkmcnt(0)
	v_mov_b64_e32 v[8:9], s[20:21]
	ds_write_b64 v1, v[2:3]
	s_waitcnt lgkmcnt(0)
	s_barrier
	s_and_saveexec_b64 s[20:21], vcc
; %bb.20:
	v_add_u32_e32 v1, -8, v1
	ds_read_b64 v[8:9], v1
; %bb.21:
	s_or_b64 exec, exec, s[20:21]
	s_lshl_b32 s2, s2, 7
	s_sub_i32 s2, s10, s2
	v_cmp_gt_u32_e32 vcc, s2, v0
	v_mov_b64_e32 v[10:11], v[2:3]
	s_and_saveexec_b64 s[2:3], vcc
	s_cbranch_execz .LBB58_29
; %bb.22:
	v_cmp_lt_i64_e64 s[20:21], s[12:13], 1
	s_and_b64 vcc, exec, s[20:21]
	s_cbranch_vccnz .LBB58_28
; %bb.23:
	v_mov_b64_e32 v[6:7], s[14:15]
	v_mad_u64_u32 v[4:5], s[20:21], v2, s12, v[6:7]
	v_mul_lo_u32 v1, v2, s13
	v_mul_lo_u32 v10, v3, s12
	v_add3_u32 v5, v10, v5, v1
	s_waitcnt lgkmcnt(0)
	v_mad_u64_u32 v[6:7], s[20:21], v8, s12, v[6:7]
	v_mul_lo_u32 v1, v8, s13
	v_mul_lo_u32 v8, v9, s12
	v_add3_u32 v7, v8, v7, v1
	s_mov_b64 s[20:21], 0
	s_mov_b64 s[22:23], s[12:13]
                                        ; implicit-def: $sgpr24_sgpr25
	s_branch .LBB58_25
.LBB58_24:                              ;   in Loop: Header=BB58_25 Depth=1
	s_or_b64 exec, exec, s[26:27]
	s_and_b64 s[26:27], exec, s[24:25]
	s_or_b64 s[20:21], s[26:27], s[20:21]
	s_andn2_b64 exec, exec, s[20:21]
	s_cbranch_execz .LBB58_27
.LBB58_25:                              ; =>This Inner Loop Header: Depth=1
	global_load_ubyte v1, v[4:5], off
	global_load_ubyte v8, v[6:7], off
	v_mov_b64_e32 v[10:11], 1
	s_or_b64 s[24:25], s[24:25], exec
	s_waitcnt vmcnt(0)
	v_cmp_eq_u16_e32 vcc, v1, v8
	s_and_saveexec_b64 s[26:27], vcc
	s_cbranch_execz .LBB58_24
; %bb.26:                               ;   in Loop: Header=BB58_25 Depth=1
	s_add_u32 s22, s22, -1
	s_addc_u32 s23, s23, -1
	s_cmp_eq_u64 s[22:23], 0
	s_cselect_b64 s[28:29], -1, 0
	s_andn2_b64 s[24:25], s[24:25], exec
	s_and_b64 s[28:29], s[28:29], exec
	v_lshl_add_u64 v[4:5], v[4:5], 0, 1
	v_lshl_add_u64 v[6:7], v[6:7], 0, 1
	v_mov_b64_e32 v[10:11], 0
	s_or_b64 s[24:25], s[24:25], s[28:29]
	s_branch .LBB58_24
.LBB58_27:
	s_or_b64 exec, exec, s[20:21]
	s_branch .LBB58_29
.LBB58_28:
	v_mov_b64_e32 v[10:11], 0
.LBB58_29:
	s_or_b64 exec, exec, s[2:3]
.LBB58_30:
	s_cbranch_execnz .LBB58_51
.LBB58_31:
	s_cmp_eq_u64 s[18:19], 1
	v_cmp_ne_u32_e32 vcc, 0, v0
	s_cbranch_scc1 .LBB58_38
; %bb.32:
	v_lshlrev_b32_e32 v1, 3, v0
	v_mov_b64_e32 v[10:11], v[2:3]
	ds_write_b64 v1, v[2:3]
	s_waitcnt lgkmcnt(0)
	s_barrier
	s_and_saveexec_b64 s[2:3], vcc
	s_cbranch_execz .LBB58_41
; %bb.33:
	v_cmp_lt_i64_e64 s[18:19], s[12:13], 1
	s_and_b64 vcc, exec, s[18:19]
	s_cbranch_vccnz .LBB58_40
; %bb.34:
	v_add_u32_e32 v1, -8, v1
	ds_read_b64 v[6:7], v1
	v_mov_b64_e32 v[8:9], s[14:15]
	v_mad_u64_u32 v[4:5], s[18:19], v2, s12, v[8:9]
	v_mul_lo_u32 v1, v2, s13
	v_mul_lo_u32 v10, v3, s12
	v_add3_u32 v5, v10, v5, v1
	s_waitcnt lgkmcnt(0)
	v_mul_lo_u32 v1, v6, s13
	v_mul_lo_u32 v10, v7, s12
	v_mad_u64_u32 v[6:7], s[18:19], v6, s12, v[8:9]
	v_add3_u32 v7, v10, v7, v1
	s_mov_b64 s[18:19], 0
	s_mov_b64 s[20:21], s[12:13]
                                        ; implicit-def: $sgpr22_sgpr23
	s_branch .LBB58_36
.LBB58_35:                              ;   in Loop: Header=BB58_36 Depth=1
	s_or_b64 exec, exec, s[24:25]
	s_and_b64 s[24:25], exec, s[22:23]
	s_or_b64 s[18:19], s[24:25], s[18:19]
	s_andn2_b64 exec, exec, s[18:19]
	s_cbranch_execz .LBB58_39
.LBB58_36:                              ; =>This Inner Loop Header: Depth=1
	global_load_ubyte v1, v[4:5], off
	global_load_ubyte v8, v[6:7], off
	v_mov_b64_e32 v[10:11], 1
	s_or_b64 s[22:23], s[22:23], exec
	s_waitcnt vmcnt(0)
	v_cmp_eq_u16_e32 vcc, v1, v8
	s_and_saveexec_b64 s[24:25], vcc
	s_cbranch_execz .LBB58_35
; %bb.37:                               ;   in Loop: Header=BB58_36 Depth=1
	s_add_u32 s20, s20, -1
	s_addc_u32 s21, s21, -1
	s_cmp_eq_u64 s[20:21], 0
	s_cselect_b64 s[26:27], -1, 0
	s_andn2_b64 s[22:23], s[22:23], exec
	s_and_b64 s[26:27], s[26:27], exec
	v_lshl_add_u64 v[4:5], v[4:5], 0, 1
	v_lshl_add_u64 v[6:7], v[6:7], 0, 1
	v_mov_b64_e32 v[10:11], 0
	s_or_b64 s[22:23], s[22:23], s[26:27]
	s_branch .LBB58_35
.LBB58_38:
                                        ; implicit-def: $vgpr10_vgpr11
	s_branch .LBB58_42
.LBB58_39:
	s_or_b64 exec, exec, s[18:19]
	s_branch .LBB58_41
.LBB58_40:
	v_mov_b64_e32 v[10:11], 0
.LBB58_41:
	s_or_b64 exec, exec, s[2:3]
	s_cbranch_execnz .LBB58_51
.LBB58_42:
	v_cmp_ne_u32_e32 vcc, 0, v0
	v_cmp_gt_u32_e64 s[2:3], s10, v0
	v_lshlrev_b32_e32 v1, 3, v0
	s_and_b64 s[18:19], vcc, s[2:3]
	ds_write_b64 v1, v[2:3]
	s_waitcnt lgkmcnt(0)
	s_barrier
	s_and_saveexec_b64 s[2:3], s[18:19]
	s_cbranch_execz .LBB58_50
; %bb.43:
	v_cmp_lt_i64_e64 s[18:19], s[12:13], 1
	s_and_b64 vcc, exec, s[18:19]
	s_cbranch_vccnz .LBB58_49
; %bb.44:
	v_add_u32_e32 v1, -8, v1
	ds_read_b64 v[6:7], v1
	v_mov_b64_e32 v[8:9], s[14:15]
	v_mad_u64_u32 v[4:5], s[14:15], v2, s12, v[8:9]
	v_mul_lo_u32 v1, v2, s13
	v_mul_lo_u32 v2, v3, s12
	v_add3_u32 v5, v2, v5, v1
	s_waitcnt lgkmcnt(0)
	v_mul_lo_u32 v1, v6, s13
	v_mul_lo_u32 v2, v7, s12
	v_mad_u64_u32 v[6:7], s[14:15], v6, s12, v[8:9]
	v_add3_u32 v7, v2, v7, v1
	s_mov_b64 s[14:15], 0
                                        ; implicit-def: $sgpr18_sgpr19
	s_branch .LBB58_46
.LBB58_45:                              ;   in Loop: Header=BB58_46 Depth=1
	s_or_b64 exec, exec, s[20:21]
	s_and_b64 s[20:21], exec, s[18:19]
	s_or_b64 s[14:15], s[20:21], s[14:15]
	s_andn2_b64 exec, exec, s[14:15]
	s_cbranch_execz .LBB58_48
.LBB58_46:                              ; =>This Inner Loop Header: Depth=1
	global_load_ubyte v1, v[4:5], off
	global_load_ubyte v8, v[6:7], off
	v_mov_b64_e32 v[2:3], 1
	s_or_b64 s[18:19], s[18:19], exec
	s_waitcnt vmcnt(0)
	v_cmp_eq_u16_e32 vcc, v1, v8
	s_and_saveexec_b64 s[20:21], vcc
	s_cbranch_execz .LBB58_45
; %bb.47:                               ;   in Loop: Header=BB58_46 Depth=1
	s_add_u32 s12, s12, -1
	s_addc_u32 s13, s13, -1
	s_cmp_eq_u64 s[12:13], 0
	s_cselect_b64 s[22:23], -1, 0
	s_andn2_b64 s[18:19], s[18:19], exec
	s_and_b64 s[22:23], s[22:23], exec
	v_lshl_add_u64 v[4:5], v[4:5], 0, 1
	v_lshl_add_u64 v[6:7], v[6:7], 0, 1
	v_mov_b64_e32 v[2:3], 0
	s_or_b64 s[18:19], s[18:19], s[22:23]
	s_branch .LBB58_45
.LBB58_48:
	s_or_b64 exec, exec, s[14:15]
	s_branch .LBB58_50
.LBB58_49:
	v_mov_b64_e32 v[2:3], 0
.LBB58_50:
	s_or_b64 exec, exec, s[2:3]
	v_mov_b64_e32 v[10:11], v[2:3]
.LBB58_51:
	s_add_u32 s6, s8, s6
	s_addc_u32 s7, s9, s7
	s_mov_b64 s[2:3], -1
	s_and_b64 vcc, exec, s[0:1]
	s_waitcnt lgkmcnt(0)
	s_barrier
	s_cbranch_vccnz .LBB58_54
; %bb.52:
	s_andn2_b64 vcc, exec, s[2:3]
	s_cbranch_vccz .LBB58_57
.LBB58_53:
	s_endpgm
.LBB58_54:
	s_lshl_b32 s0, s16, 7
	s_sub_i32 s0, s10, s0
	v_lshlrev_b32_e32 v1, 3, v0
	v_cmp_gt_u32_e32 vcc, s0, v0
	ds_write_b64 v1, v[10:11]
	s_waitcnt lgkmcnt(0)
	s_barrier
	s_and_saveexec_b64 s[0:1], vcc
	s_cbranch_execz .LBB58_56
; %bb.55:
	ds_read_b64 v[2:3], v1
	s_mov_b32 s5, 0
	s_lshl_b64 s[2:3], s[4:5], 3
	s_add_u32 s2, s6, s2
	s_addc_u32 s3, s7, s3
	s_waitcnt lgkmcnt(0)
	global_store_dwordx2 v1, v[2:3], s[2:3]
.LBB58_56:
	s_or_b64 exec, exec, s[0:1]
	s_cbranch_execnz .LBB58_53
.LBB58_57:
	v_lshlrev_b32_e32 v2, 3, v0
	ds_write_b64 v2, v[10:11]
	s_waitcnt lgkmcnt(0)
	s_barrier
	ds_read_b64 v[0:1], v2
	s_mov_b32 s5, 0
	s_lshl_b64 s[0:1], s[4:5], 3
	s_add_u32 s0, s6, s0
	s_addc_u32 s1, s7, s1
	s_waitcnt lgkmcnt(0)
	global_store_dwordx2 v2, v[0:1], s[0:1]
	s_endpgm
	.section	.rodata,"a",@progbits
	.p2align	6, 0x0
	.amdhsa_kernel _ZN7rocprim17ROCPRIM_400000_NS6detail17trampoline_kernelINS0_14default_configENS1_35adjacent_difference_config_selectorILb0ElEEZNS1_24adjacent_difference_implIS3_Lb0ELb0EPlS7_ZN2at6native12_GLOBAL__N_124unique_dim_cuda_templateIhEESt5tupleIJNS8_6TensorESD_SD_EERKSD_lbbbEUlllE1_EE10hipError_tPvRmT2_T3_mT4_P12ihipStream_tbEUlT_E_NS1_11comp_targetILNS1_3genE0ELNS1_11target_archE4294967295ELNS1_3gpuE0ELNS1_3repE0EEENS1_30default_config_static_selectorELNS0_4arch9wavefront6targetE1EEEvT1_
		.amdhsa_group_segment_fixed_size 2048
		.amdhsa_private_segment_fixed_size 0
		.amdhsa_kernarg_size 64
		.amdhsa_user_sgpr_count 2
		.amdhsa_user_sgpr_dispatch_ptr 0
		.amdhsa_user_sgpr_queue_ptr 0
		.amdhsa_user_sgpr_kernarg_segment_ptr 1
		.amdhsa_user_sgpr_dispatch_id 0
		.amdhsa_user_sgpr_kernarg_preload_length 0
		.amdhsa_user_sgpr_kernarg_preload_offset 0
		.amdhsa_user_sgpr_private_segment_size 0
		.amdhsa_uses_dynamic_stack 0
		.amdhsa_enable_private_segment 0
		.amdhsa_system_sgpr_workgroup_id_x 1
		.amdhsa_system_sgpr_workgroup_id_y 0
		.amdhsa_system_sgpr_workgroup_id_z 0
		.amdhsa_system_sgpr_workgroup_info 0
		.amdhsa_system_vgpr_workitem_id 0
		.amdhsa_next_free_vgpr 12
		.amdhsa_next_free_sgpr 32
		.amdhsa_accum_offset 12
		.amdhsa_reserve_vcc 1
		.amdhsa_float_round_mode_32 0
		.amdhsa_float_round_mode_16_64 0
		.amdhsa_float_denorm_mode_32 3
		.amdhsa_float_denorm_mode_16_64 3
		.amdhsa_dx10_clamp 1
		.amdhsa_ieee_mode 1
		.amdhsa_fp16_overflow 0
		.amdhsa_tg_split 0
		.amdhsa_exception_fp_ieee_invalid_op 0
		.amdhsa_exception_fp_denorm_src 0
		.amdhsa_exception_fp_ieee_div_zero 0
		.amdhsa_exception_fp_ieee_overflow 0
		.amdhsa_exception_fp_ieee_underflow 0
		.amdhsa_exception_fp_ieee_inexact 0
		.amdhsa_exception_int_div_zero 0
	.end_amdhsa_kernel
	.section	.text._ZN7rocprim17ROCPRIM_400000_NS6detail17trampoline_kernelINS0_14default_configENS1_35adjacent_difference_config_selectorILb0ElEEZNS1_24adjacent_difference_implIS3_Lb0ELb0EPlS7_ZN2at6native12_GLOBAL__N_124unique_dim_cuda_templateIhEESt5tupleIJNS8_6TensorESD_SD_EERKSD_lbbbEUlllE1_EE10hipError_tPvRmT2_T3_mT4_P12ihipStream_tbEUlT_E_NS1_11comp_targetILNS1_3genE0ELNS1_11target_archE4294967295ELNS1_3gpuE0ELNS1_3repE0EEENS1_30default_config_static_selectorELNS0_4arch9wavefront6targetE1EEEvT1_,"axG",@progbits,_ZN7rocprim17ROCPRIM_400000_NS6detail17trampoline_kernelINS0_14default_configENS1_35adjacent_difference_config_selectorILb0ElEEZNS1_24adjacent_difference_implIS3_Lb0ELb0EPlS7_ZN2at6native12_GLOBAL__N_124unique_dim_cuda_templateIhEESt5tupleIJNS8_6TensorESD_SD_EERKSD_lbbbEUlllE1_EE10hipError_tPvRmT2_T3_mT4_P12ihipStream_tbEUlT_E_NS1_11comp_targetILNS1_3genE0ELNS1_11target_archE4294967295ELNS1_3gpuE0ELNS1_3repE0EEENS1_30default_config_static_selectorELNS0_4arch9wavefront6targetE1EEEvT1_,comdat
.Lfunc_end58:
	.size	_ZN7rocprim17ROCPRIM_400000_NS6detail17trampoline_kernelINS0_14default_configENS1_35adjacent_difference_config_selectorILb0ElEEZNS1_24adjacent_difference_implIS3_Lb0ELb0EPlS7_ZN2at6native12_GLOBAL__N_124unique_dim_cuda_templateIhEESt5tupleIJNS8_6TensorESD_SD_EERKSD_lbbbEUlllE1_EE10hipError_tPvRmT2_T3_mT4_P12ihipStream_tbEUlT_E_NS1_11comp_targetILNS1_3genE0ELNS1_11target_archE4294967295ELNS1_3gpuE0ELNS1_3repE0EEENS1_30default_config_static_selectorELNS0_4arch9wavefront6targetE1EEEvT1_, .Lfunc_end58-_ZN7rocprim17ROCPRIM_400000_NS6detail17trampoline_kernelINS0_14default_configENS1_35adjacent_difference_config_selectorILb0ElEEZNS1_24adjacent_difference_implIS3_Lb0ELb0EPlS7_ZN2at6native12_GLOBAL__N_124unique_dim_cuda_templateIhEESt5tupleIJNS8_6TensorESD_SD_EERKSD_lbbbEUlllE1_EE10hipError_tPvRmT2_T3_mT4_P12ihipStream_tbEUlT_E_NS1_11comp_targetILNS1_3genE0ELNS1_11target_archE4294967295ELNS1_3gpuE0ELNS1_3repE0EEENS1_30default_config_static_selectorELNS0_4arch9wavefront6targetE1EEEvT1_
                                        ; -- End function
	.set _ZN7rocprim17ROCPRIM_400000_NS6detail17trampoline_kernelINS0_14default_configENS1_35adjacent_difference_config_selectorILb0ElEEZNS1_24adjacent_difference_implIS3_Lb0ELb0EPlS7_ZN2at6native12_GLOBAL__N_124unique_dim_cuda_templateIhEESt5tupleIJNS8_6TensorESD_SD_EERKSD_lbbbEUlllE1_EE10hipError_tPvRmT2_T3_mT4_P12ihipStream_tbEUlT_E_NS1_11comp_targetILNS1_3genE0ELNS1_11target_archE4294967295ELNS1_3gpuE0ELNS1_3repE0EEENS1_30default_config_static_selectorELNS0_4arch9wavefront6targetE1EEEvT1_.num_vgpr, 12
	.set _ZN7rocprim17ROCPRIM_400000_NS6detail17trampoline_kernelINS0_14default_configENS1_35adjacent_difference_config_selectorILb0ElEEZNS1_24adjacent_difference_implIS3_Lb0ELb0EPlS7_ZN2at6native12_GLOBAL__N_124unique_dim_cuda_templateIhEESt5tupleIJNS8_6TensorESD_SD_EERKSD_lbbbEUlllE1_EE10hipError_tPvRmT2_T3_mT4_P12ihipStream_tbEUlT_E_NS1_11comp_targetILNS1_3genE0ELNS1_11target_archE4294967295ELNS1_3gpuE0ELNS1_3repE0EEENS1_30default_config_static_selectorELNS0_4arch9wavefront6targetE1EEEvT1_.num_agpr, 0
	.set _ZN7rocprim17ROCPRIM_400000_NS6detail17trampoline_kernelINS0_14default_configENS1_35adjacent_difference_config_selectorILb0ElEEZNS1_24adjacent_difference_implIS3_Lb0ELb0EPlS7_ZN2at6native12_GLOBAL__N_124unique_dim_cuda_templateIhEESt5tupleIJNS8_6TensorESD_SD_EERKSD_lbbbEUlllE1_EE10hipError_tPvRmT2_T3_mT4_P12ihipStream_tbEUlT_E_NS1_11comp_targetILNS1_3genE0ELNS1_11target_archE4294967295ELNS1_3gpuE0ELNS1_3repE0EEENS1_30default_config_static_selectorELNS0_4arch9wavefront6targetE1EEEvT1_.numbered_sgpr, 32
	.set _ZN7rocprim17ROCPRIM_400000_NS6detail17trampoline_kernelINS0_14default_configENS1_35adjacent_difference_config_selectorILb0ElEEZNS1_24adjacent_difference_implIS3_Lb0ELb0EPlS7_ZN2at6native12_GLOBAL__N_124unique_dim_cuda_templateIhEESt5tupleIJNS8_6TensorESD_SD_EERKSD_lbbbEUlllE1_EE10hipError_tPvRmT2_T3_mT4_P12ihipStream_tbEUlT_E_NS1_11comp_targetILNS1_3genE0ELNS1_11target_archE4294967295ELNS1_3gpuE0ELNS1_3repE0EEENS1_30default_config_static_selectorELNS0_4arch9wavefront6targetE1EEEvT1_.num_named_barrier, 0
	.set _ZN7rocprim17ROCPRIM_400000_NS6detail17trampoline_kernelINS0_14default_configENS1_35adjacent_difference_config_selectorILb0ElEEZNS1_24adjacent_difference_implIS3_Lb0ELb0EPlS7_ZN2at6native12_GLOBAL__N_124unique_dim_cuda_templateIhEESt5tupleIJNS8_6TensorESD_SD_EERKSD_lbbbEUlllE1_EE10hipError_tPvRmT2_T3_mT4_P12ihipStream_tbEUlT_E_NS1_11comp_targetILNS1_3genE0ELNS1_11target_archE4294967295ELNS1_3gpuE0ELNS1_3repE0EEENS1_30default_config_static_selectorELNS0_4arch9wavefront6targetE1EEEvT1_.private_seg_size, 0
	.set _ZN7rocprim17ROCPRIM_400000_NS6detail17trampoline_kernelINS0_14default_configENS1_35adjacent_difference_config_selectorILb0ElEEZNS1_24adjacent_difference_implIS3_Lb0ELb0EPlS7_ZN2at6native12_GLOBAL__N_124unique_dim_cuda_templateIhEESt5tupleIJNS8_6TensorESD_SD_EERKSD_lbbbEUlllE1_EE10hipError_tPvRmT2_T3_mT4_P12ihipStream_tbEUlT_E_NS1_11comp_targetILNS1_3genE0ELNS1_11target_archE4294967295ELNS1_3gpuE0ELNS1_3repE0EEENS1_30default_config_static_selectorELNS0_4arch9wavefront6targetE1EEEvT1_.uses_vcc, 1
	.set _ZN7rocprim17ROCPRIM_400000_NS6detail17trampoline_kernelINS0_14default_configENS1_35adjacent_difference_config_selectorILb0ElEEZNS1_24adjacent_difference_implIS3_Lb0ELb0EPlS7_ZN2at6native12_GLOBAL__N_124unique_dim_cuda_templateIhEESt5tupleIJNS8_6TensorESD_SD_EERKSD_lbbbEUlllE1_EE10hipError_tPvRmT2_T3_mT4_P12ihipStream_tbEUlT_E_NS1_11comp_targetILNS1_3genE0ELNS1_11target_archE4294967295ELNS1_3gpuE0ELNS1_3repE0EEENS1_30default_config_static_selectorELNS0_4arch9wavefront6targetE1EEEvT1_.uses_flat_scratch, 0
	.set _ZN7rocprim17ROCPRIM_400000_NS6detail17trampoline_kernelINS0_14default_configENS1_35adjacent_difference_config_selectorILb0ElEEZNS1_24adjacent_difference_implIS3_Lb0ELb0EPlS7_ZN2at6native12_GLOBAL__N_124unique_dim_cuda_templateIhEESt5tupleIJNS8_6TensorESD_SD_EERKSD_lbbbEUlllE1_EE10hipError_tPvRmT2_T3_mT4_P12ihipStream_tbEUlT_E_NS1_11comp_targetILNS1_3genE0ELNS1_11target_archE4294967295ELNS1_3gpuE0ELNS1_3repE0EEENS1_30default_config_static_selectorELNS0_4arch9wavefront6targetE1EEEvT1_.has_dyn_sized_stack, 0
	.set _ZN7rocprim17ROCPRIM_400000_NS6detail17trampoline_kernelINS0_14default_configENS1_35adjacent_difference_config_selectorILb0ElEEZNS1_24adjacent_difference_implIS3_Lb0ELb0EPlS7_ZN2at6native12_GLOBAL__N_124unique_dim_cuda_templateIhEESt5tupleIJNS8_6TensorESD_SD_EERKSD_lbbbEUlllE1_EE10hipError_tPvRmT2_T3_mT4_P12ihipStream_tbEUlT_E_NS1_11comp_targetILNS1_3genE0ELNS1_11target_archE4294967295ELNS1_3gpuE0ELNS1_3repE0EEENS1_30default_config_static_selectorELNS0_4arch9wavefront6targetE1EEEvT1_.has_recursion, 0
	.set _ZN7rocprim17ROCPRIM_400000_NS6detail17trampoline_kernelINS0_14default_configENS1_35adjacent_difference_config_selectorILb0ElEEZNS1_24adjacent_difference_implIS3_Lb0ELb0EPlS7_ZN2at6native12_GLOBAL__N_124unique_dim_cuda_templateIhEESt5tupleIJNS8_6TensorESD_SD_EERKSD_lbbbEUlllE1_EE10hipError_tPvRmT2_T3_mT4_P12ihipStream_tbEUlT_E_NS1_11comp_targetILNS1_3genE0ELNS1_11target_archE4294967295ELNS1_3gpuE0ELNS1_3repE0EEENS1_30default_config_static_selectorELNS0_4arch9wavefront6targetE1EEEvT1_.has_indirect_call, 0
	.section	.AMDGPU.csdata,"",@progbits
; Kernel info:
; codeLenInByte = 1692
; TotalNumSgprs: 38
; NumVgprs: 12
; NumAgprs: 0
; TotalNumVgprs: 12
; ScratchSize: 0
; MemoryBound: 0
; FloatMode: 240
; IeeeMode: 1
; LDSByteSize: 2048 bytes/workgroup (compile time only)
; SGPRBlocks: 4
; VGPRBlocks: 1
; NumSGPRsForWavesPerEU: 38
; NumVGPRsForWavesPerEU: 12
; AccumOffset: 12
; Occupancy: 8
; WaveLimiterHint : 0
; COMPUTE_PGM_RSRC2:SCRATCH_EN: 0
; COMPUTE_PGM_RSRC2:USER_SGPR: 2
; COMPUTE_PGM_RSRC2:TRAP_HANDLER: 0
; COMPUTE_PGM_RSRC2:TGID_X_EN: 1
; COMPUTE_PGM_RSRC2:TGID_Y_EN: 0
; COMPUTE_PGM_RSRC2:TGID_Z_EN: 0
; COMPUTE_PGM_RSRC2:TIDIG_COMP_CNT: 0
; COMPUTE_PGM_RSRC3_GFX90A:ACCUM_OFFSET: 2
; COMPUTE_PGM_RSRC3_GFX90A:TG_SPLIT: 0
	.section	.text._ZN7rocprim17ROCPRIM_400000_NS6detail17trampoline_kernelINS0_14default_configENS1_35adjacent_difference_config_selectorILb0ElEEZNS1_24adjacent_difference_implIS3_Lb0ELb0EPlS7_ZN2at6native12_GLOBAL__N_124unique_dim_cuda_templateIhEESt5tupleIJNS8_6TensorESD_SD_EERKSD_lbbbEUlllE1_EE10hipError_tPvRmT2_T3_mT4_P12ihipStream_tbEUlT_E_NS1_11comp_targetILNS1_3genE10ELNS1_11target_archE1201ELNS1_3gpuE5ELNS1_3repE0EEENS1_30default_config_static_selectorELNS0_4arch9wavefront6targetE1EEEvT1_,"axG",@progbits,_ZN7rocprim17ROCPRIM_400000_NS6detail17trampoline_kernelINS0_14default_configENS1_35adjacent_difference_config_selectorILb0ElEEZNS1_24adjacent_difference_implIS3_Lb0ELb0EPlS7_ZN2at6native12_GLOBAL__N_124unique_dim_cuda_templateIhEESt5tupleIJNS8_6TensorESD_SD_EERKSD_lbbbEUlllE1_EE10hipError_tPvRmT2_T3_mT4_P12ihipStream_tbEUlT_E_NS1_11comp_targetILNS1_3genE10ELNS1_11target_archE1201ELNS1_3gpuE5ELNS1_3repE0EEENS1_30default_config_static_selectorELNS0_4arch9wavefront6targetE1EEEvT1_,comdat
	.globl	_ZN7rocprim17ROCPRIM_400000_NS6detail17trampoline_kernelINS0_14default_configENS1_35adjacent_difference_config_selectorILb0ElEEZNS1_24adjacent_difference_implIS3_Lb0ELb0EPlS7_ZN2at6native12_GLOBAL__N_124unique_dim_cuda_templateIhEESt5tupleIJNS8_6TensorESD_SD_EERKSD_lbbbEUlllE1_EE10hipError_tPvRmT2_T3_mT4_P12ihipStream_tbEUlT_E_NS1_11comp_targetILNS1_3genE10ELNS1_11target_archE1201ELNS1_3gpuE5ELNS1_3repE0EEENS1_30default_config_static_selectorELNS0_4arch9wavefront6targetE1EEEvT1_ ; -- Begin function _ZN7rocprim17ROCPRIM_400000_NS6detail17trampoline_kernelINS0_14default_configENS1_35adjacent_difference_config_selectorILb0ElEEZNS1_24adjacent_difference_implIS3_Lb0ELb0EPlS7_ZN2at6native12_GLOBAL__N_124unique_dim_cuda_templateIhEESt5tupleIJNS8_6TensorESD_SD_EERKSD_lbbbEUlllE1_EE10hipError_tPvRmT2_T3_mT4_P12ihipStream_tbEUlT_E_NS1_11comp_targetILNS1_3genE10ELNS1_11target_archE1201ELNS1_3gpuE5ELNS1_3repE0EEENS1_30default_config_static_selectorELNS0_4arch9wavefront6targetE1EEEvT1_
	.p2align	8
	.type	_ZN7rocprim17ROCPRIM_400000_NS6detail17trampoline_kernelINS0_14default_configENS1_35adjacent_difference_config_selectorILb0ElEEZNS1_24adjacent_difference_implIS3_Lb0ELb0EPlS7_ZN2at6native12_GLOBAL__N_124unique_dim_cuda_templateIhEESt5tupleIJNS8_6TensorESD_SD_EERKSD_lbbbEUlllE1_EE10hipError_tPvRmT2_T3_mT4_P12ihipStream_tbEUlT_E_NS1_11comp_targetILNS1_3genE10ELNS1_11target_archE1201ELNS1_3gpuE5ELNS1_3repE0EEENS1_30default_config_static_selectorELNS0_4arch9wavefront6targetE1EEEvT1_,@function
_ZN7rocprim17ROCPRIM_400000_NS6detail17trampoline_kernelINS0_14default_configENS1_35adjacent_difference_config_selectorILb0ElEEZNS1_24adjacent_difference_implIS3_Lb0ELb0EPlS7_ZN2at6native12_GLOBAL__N_124unique_dim_cuda_templateIhEESt5tupleIJNS8_6TensorESD_SD_EERKSD_lbbbEUlllE1_EE10hipError_tPvRmT2_T3_mT4_P12ihipStream_tbEUlT_E_NS1_11comp_targetILNS1_3genE10ELNS1_11target_archE1201ELNS1_3gpuE5ELNS1_3repE0EEENS1_30default_config_static_selectorELNS0_4arch9wavefront6targetE1EEEvT1_: ; @_ZN7rocprim17ROCPRIM_400000_NS6detail17trampoline_kernelINS0_14default_configENS1_35adjacent_difference_config_selectorILb0ElEEZNS1_24adjacent_difference_implIS3_Lb0ELb0EPlS7_ZN2at6native12_GLOBAL__N_124unique_dim_cuda_templateIhEESt5tupleIJNS8_6TensorESD_SD_EERKSD_lbbbEUlllE1_EE10hipError_tPvRmT2_T3_mT4_P12ihipStream_tbEUlT_E_NS1_11comp_targetILNS1_3genE10ELNS1_11target_archE1201ELNS1_3gpuE5ELNS1_3repE0EEENS1_30default_config_static_selectorELNS0_4arch9wavefront6targetE1EEEvT1_
; %bb.0:
	.section	.rodata,"a",@progbits
	.p2align	6, 0x0
	.amdhsa_kernel _ZN7rocprim17ROCPRIM_400000_NS6detail17trampoline_kernelINS0_14default_configENS1_35adjacent_difference_config_selectorILb0ElEEZNS1_24adjacent_difference_implIS3_Lb0ELb0EPlS7_ZN2at6native12_GLOBAL__N_124unique_dim_cuda_templateIhEESt5tupleIJNS8_6TensorESD_SD_EERKSD_lbbbEUlllE1_EE10hipError_tPvRmT2_T3_mT4_P12ihipStream_tbEUlT_E_NS1_11comp_targetILNS1_3genE10ELNS1_11target_archE1201ELNS1_3gpuE5ELNS1_3repE0EEENS1_30default_config_static_selectorELNS0_4arch9wavefront6targetE1EEEvT1_
		.amdhsa_group_segment_fixed_size 0
		.amdhsa_private_segment_fixed_size 0
		.amdhsa_kernarg_size 64
		.amdhsa_user_sgpr_count 2
		.amdhsa_user_sgpr_dispatch_ptr 0
		.amdhsa_user_sgpr_queue_ptr 0
		.amdhsa_user_sgpr_kernarg_segment_ptr 1
		.amdhsa_user_sgpr_dispatch_id 0
		.amdhsa_user_sgpr_kernarg_preload_length 0
		.amdhsa_user_sgpr_kernarg_preload_offset 0
		.amdhsa_user_sgpr_private_segment_size 0
		.amdhsa_uses_dynamic_stack 0
		.amdhsa_enable_private_segment 0
		.amdhsa_system_sgpr_workgroup_id_x 1
		.amdhsa_system_sgpr_workgroup_id_y 0
		.amdhsa_system_sgpr_workgroup_id_z 0
		.amdhsa_system_sgpr_workgroup_info 0
		.amdhsa_system_vgpr_workitem_id 0
		.amdhsa_next_free_vgpr 1
		.amdhsa_next_free_sgpr 0
		.amdhsa_accum_offset 4
		.amdhsa_reserve_vcc 0
		.amdhsa_float_round_mode_32 0
		.amdhsa_float_round_mode_16_64 0
		.amdhsa_float_denorm_mode_32 3
		.amdhsa_float_denorm_mode_16_64 3
		.amdhsa_dx10_clamp 1
		.amdhsa_ieee_mode 1
		.amdhsa_fp16_overflow 0
		.amdhsa_tg_split 0
		.amdhsa_exception_fp_ieee_invalid_op 0
		.amdhsa_exception_fp_denorm_src 0
		.amdhsa_exception_fp_ieee_div_zero 0
		.amdhsa_exception_fp_ieee_overflow 0
		.amdhsa_exception_fp_ieee_underflow 0
		.amdhsa_exception_fp_ieee_inexact 0
		.amdhsa_exception_int_div_zero 0
	.end_amdhsa_kernel
	.section	.text._ZN7rocprim17ROCPRIM_400000_NS6detail17trampoline_kernelINS0_14default_configENS1_35adjacent_difference_config_selectorILb0ElEEZNS1_24adjacent_difference_implIS3_Lb0ELb0EPlS7_ZN2at6native12_GLOBAL__N_124unique_dim_cuda_templateIhEESt5tupleIJNS8_6TensorESD_SD_EERKSD_lbbbEUlllE1_EE10hipError_tPvRmT2_T3_mT4_P12ihipStream_tbEUlT_E_NS1_11comp_targetILNS1_3genE10ELNS1_11target_archE1201ELNS1_3gpuE5ELNS1_3repE0EEENS1_30default_config_static_selectorELNS0_4arch9wavefront6targetE1EEEvT1_,"axG",@progbits,_ZN7rocprim17ROCPRIM_400000_NS6detail17trampoline_kernelINS0_14default_configENS1_35adjacent_difference_config_selectorILb0ElEEZNS1_24adjacent_difference_implIS3_Lb0ELb0EPlS7_ZN2at6native12_GLOBAL__N_124unique_dim_cuda_templateIhEESt5tupleIJNS8_6TensorESD_SD_EERKSD_lbbbEUlllE1_EE10hipError_tPvRmT2_T3_mT4_P12ihipStream_tbEUlT_E_NS1_11comp_targetILNS1_3genE10ELNS1_11target_archE1201ELNS1_3gpuE5ELNS1_3repE0EEENS1_30default_config_static_selectorELNS0_4arch9wavefront6targetE1EEEvT1_,comdat
.Lfunc_end59:
	.size	_ZN7rocprim17ROCPRIM_400000_NS6detail17trampoline_kernelINS0_14default_configENS1_35adjacent_difference_config_selectorILb0ElEEZNS1_24adjacent_difference_implIS3_Lb0ELb0EPlS7_ZN2at6native12_GLOBAL__N_124unique_dim_cuda_templateIhEESt5tupleIJNS8_6TensorESD_SD_EERKSD_lbbbEUlllE1_EE10hipError_tPvRmT2_T3_mT4_P12ihipStream_tbEUlT_E_NS1_11comp_targetILNS1_3genE10ELNS1_11target_archE1201ELNS1_3gpuE5ELNS1_3repE0EEENS1_30default_config_static_selectorELNS0_4arch9wavefront6targetE1EEEvT1_, .Lfunc_end59-_ZN7rocprim17ROCPRIM_400000_NS6detail17trampoline_kernelINS0_14default_configENS1_35adjacent_difference_config_selectorILb0ElEEZNS1_24adjacent_difference_implIS3_Lb0ELb0EPlS7_ZN2at6native12_GLOBAL__N_124unique_dim_cuda_templateIhEESt5tupleIJNS8_6TensorESD_SD_EERKSD_lbbbEUlllE1_EE10hipError_tPvRmT2_T3_mT4_P12ihipStream_tbEUlT_E_NS1_11comp_targetILNS1_3genE10ELNS1_11target_archE1201ELNS1_3gpuE5ELNS1_3repE0EEENS1_30default_config_static_selectorELNS0_4arch9wavefront6targetE1EEEvT1_
                                        ; -- End function
	.set _ZN7rocprim17ROCPRIM_400000_NS6detail17trampoline_kernelINS0_14default_configENS1_35adjacent_difference_config_selectorILb0ElEEZNS1_24adjacent_difference_implIS3_Lb0ELb0EPlS7_ZN2at6native12_GLOBAL__N_124unique_dim_cuda_templateIhEESt5tupleIJNS8_6TensorESD_SD_EERKSD_lbbbEUlllE1_EE10hipError_tPvRmT2_T3_mT4_P12ihipStream_tbEUlT_E_NS1_11comp_targetILNS1_3genE10ELNS1_11target_archE1201ELNS1_3gpuE5ELNS1_3repE0EEENS1_30default_config_static_selectorELNS0_4arch9wavefront6targetE1EEEvT1_.num_vgpr, 0
	.set _ZN7rocprim17ROCPRIM_400000_NS6detail17trampoline_kernelINS0_14default_configENS1_35adjacent_difference_config_selectorILb0ElEEZNS1_24adjacent_difference_implIS3_Lb0ELb0EPlS7_ZN2at6native12_GLOBAL__N_124unique_dim_cuda_templateIhEESt5tupleIJNS8_6TensorESD_SD_EERKSD_lbbbEUlllE1_EE10hipError_tPvRmT2_T3_mT4_P12ihipStream_tbEUlT_E_NS1_11comp_targetILNS1_3genE10ELNS1_11target_archE1201ELNS1_3gpuE5ELNS1_3repE0EEENS1_30default_config_static_selectorELNS0_4arch9wavefront6targetE1EEEvT1_.num_agpr, 0
	.set _ZN7rocprim17ROCPRIM_400000_NS6detail17trampoline_kernelINS0_14default_configENS1_35adjacent_difference_config_selectorILb0ElEEZNS1_24adjacent_difference_implIS3_Lb0ELb0EPlS7_ZN2at6native12_GLOBAL__N_124unique_dim_cuda_templateIhEESt5tupleIJNS8_6TensorESD_SD_EERKSD_lbbbEUlllE1_EE10hipError_tPvRmT2_T3_mT4_P12ihipStream_tbEUlT_E_NS1_11comp_targetILNS1_3genE10ELNS1_11target_archE1201ELNS1_3gpuE5ELNS1_3repE0EEENS1_30default_config_static_selectorELNS0_4arch9wavefront6targetE1EEEvT1_.numbered_sgpr, 0
	.set _ZN7rocprim17ROCPRIM_400000_NS6detail17trampoline_kernelINS0_14default_configENS1_35adjacent_difference_config_selectorILb0ElEEZNS1_24adjacent_difference_implIS3_Lb0ELb0EPlS7_ZN2at6native12_GLOBAL__N_124unique_dim_cuda_templateIhEESt5tupleIJNS8_6TensorESD_SD_EERKSD_lbbbEUlllE1_EE10hipError_tPvRmT2_T3_mT4_P12ihipStream_tbEUlT_E_NS1_11comp_targetILNS1_3genE10ELNS1_11target_archE1201ELNS1_3gpuE5ELNS1_3repE0EEENS1_30default_config_static_selectorELNS0_4arch9wavefront6targetE1EEEvT1_.num_named_barrier, 0
	.set _ZN7rocprim17ROCPRIM_400000_NS6detail17trampoline_kernelINS0_14default_configENS1_35adjacent_difference_config_selectorILb0ElEEZNS1_24adjacent_difference_implIS3_Lb0ELb0EPlS7_ZN2at6native12_GLOBAL__N_124unique_dim_cuda_templateIhEESt5tupleIJNS8_6TensorESD_SD_EERKSD_lbbbEUlllE1_EE10hipError_tPvRmT2_T3_mT4_P12ihipStream_tbEUlT_E_NS1_11comp_targetILNS1_3genE10ELNS1_11target_archE1201ELNS1_3gpuE5ELNS1_3repE0EEENS1_30default_config_static_selectorELNS0_4arch9wavefront6targetE1EEEvT1_.private_seg_size, 0
	.set _ZN7rocprim17ROCPRIM_400000_NS6detail17trampoline_kernelINS0_14default_configENS1_35adjacent_difference_config_selectorILb0ElEEZNS1_24adjacent_difference_implIS3_Lb0ELb0EPlS7_ZN2at6native12_GLOBAL__N_124unique_dim_cuda_templateIhEESt5tupleIJNS8_6TensorESD_SD_EERKSD_lbbbEUlllE1_EE10hipError_tPvRmT2_T3_mT4_P12ihipStream_tbEUlT_E_NS1_11comp_targetILNS1_3genE10ELNS1_11target_archE1201ELNS1_3gpuE5ELNS1_3repE0EEENS1_30default_config_static_selectorELNS0_4arch9wavefront6targetE1EEEvT1_.uses_vcc, 0
	.set _ZN7rocprim17ROCPRIM_400000_NS6detail17trampoline_kernelINS0_14default_configENS1_35adjacent_difference_config_selectorILb0ElEEZNS1_24adjacent_difference_implIS3_Lb0ELb0EPlS7_ZN2at6native12_GLOBAL__N_124unique_dim_cuda_templateIhEESt5tupleIJNS8_6TensorESD_SD_EERKSD_lbbbEUlllE1_EE10hipError_tPvRmT2_T3_mT4_P12ihipStream_tbEUlT_E_NS1_11comp_targetILNS1_3genE10ELNS1_11target_archE1201ELNS1_3gpuE5ELNS1_3repE0EEENS1_30default_config_static_selectorELNS0_4arch9wavefront6targetE1EEEvT1_.uses_flat_scratch, 0
	.set _ZN7rocprim17ROCPRIM_400000_NS6detail17trampoline_kernelINS0_14default_configENS1_35adjacent_difference_config_selectorILb0ElEEZNS1_24adjacent_difference_implIS3_Lb0ELb0EPlS7_ZN2at6native12_GLOBAL__N_124unique_dim_cuda_templateIhEESt5tupleIJNS8_6TensorESD_SD_EERKSD_lbbbEUlllE1_EE10hipError_tPvRmT2_T3_mT4_P12ihipStream_tbEUlT_E_NS1_11comp_targetILNS1_3genE10ELNS1_11target_archE1201ELNS1_3gpuE5ELNS1_3repE0EEENS1_30default_config_static_selectorELNS0_4arch9wavefront6targetE1EEEvT1_.has_dyn_sized_stack, 0
	.set _ZN7rocprim17ROCPRIM_400000_NS6detail17trampoline_kernelINS0_14default_configENS1_35adjacent_difference_config_selectorILb0ElEEZNS1_24adjacent_difference_implIS3_Lb0ELb0EPlS7_ZN2at6native12_GLOBAL__N_124unique_dim_cuda_templateIhEESt5tupleIJNS8_6TensorESD_SD_EERKSD_lbbbEUlllE1_EE10hipError_tPvRmT2_T3_mT4_P12ihipStream_tbEUlT_E_NS1_11comp_targetILNS1_3genE10ELNS1_11target_archE1201ELNS1_3gpuE5ELNS1_3repE0EEENS1_30default_config_static_selectorELNS0_4arch9wavefront6targetE1EEEvT1_.has_recursion, 0
	.set _ZN7rocprim17ROCPRIM_400000_NS6detail17trampoline_kernelINS0_14default_configENS1_35adjacent_difference_config_selectorILb0ElEEZNS1_24adjacent_difference_implIS3_Lb0ELb0EPlS7_ZN2at6native12_GLOBAL__N_124unique_dim_cuda_templateIhEESt5tupleIJNS8_6TensorESD_SD_EERKSD_lbbbEUlllE1_EE10hipError_tPvRmT2_T3_mT4_P12ihipStream_tbEUlT_E_NS1_11comp_targetILNS1_3genE10ELNS1_11target_archE1201ELNS1_3gpuE5ELNS1_3repE0EEENS1_30default_config_static_selectorELNS0_4arch9wavefront6targetE1EEEvT1_.has_indirect_call, 0
	.section	.AMDGPU.csdata,"",@progbits
; Kernel info:
; codeLenInByte = 0
; TotalNumSgprs: 6
; NumVgprs: 0
; NumAgprs: 0
; TotalNumVgprs: 0
; ScratchSize: 0
; MemoryBound: 0
; FloatMode: 240
; IeeeMode: 1
; LDSByteSize: 0 bytes/workgroup (compile time only)
; SGPRBlocks: 0
; VGPRBlocks: 0
; NumSGPRsForWavesPerEU: 6
; NumVGPRsForWavesPerEU: 1
; AccumOffset: 4
; Occupancy: 8
; WaveLimiterHint : 0
; COMPUTE_PGM_RSRC2:SCRATCH_EN: 0
; COMPUTE_PGM_RSRC2:USER_SGPR: 2
; COMPUTE_PGM_RSRC2:TRAP_HANDLER: 0
; COMPUTE_PGM_RSRC2:TGID_X_EN: 1
; COMPUTE_PGM_RSRC2:TGID_Y_EN: 0
; COMPUTE_PGM_RSRC2:TGID_Z_EN: 0
; COMPUTE_PGM_RSRC2:TIDIG_COMP_CNT: 0
; COMPUTE_PGM_RSRC3_GFX90A:ACCUM_OFFSET: 0
; COMPUTE_PGM_RSRC3_GFX90A:TG_SPLIT: 0
	.section	.text._ZN7rocprim17ROCPRIM_400000_NS6detail17trampoline_kernelINS0_14default_configENS1_35adjacent_difference_config_selectorILb0ElEEZNS1_24adjacent_difference_implIS3_Lb0ELb0EPlS7_ZN2at6native12_GLOBAL__N_124unique_dim_cuda_templateIhEESt5tupleIJNS8_6TensorESD_SD_EERKSD_lbbbEUlllE1_EE10hipError_tPvRmT2_T3_mT4_P12ihipStream_tbEUlT_E_NS1_11comp_targetILNS1_3genE5ELNS1_11target_archE942ELNS1_3gpuE9ELNS1_3repE0EEENS1_30default_config_static_selectorELNS0_4arch9wavefront6targetE1EEEvT1_,"axG",@progbits,_ZN7rocprim17ROCPRIM_400000_NS6detail17trampoline_kernelINS0_14default_configENS1_35adjacent_difference_config_selectorILb0ElEEZNS1_24adjacent_difference_implIS3_Lb0ELb0EPlS7_ZN2at6native12_GLOBAL__N_124unique_dim_cuda_templateIhEESt5tupleIJNS8_6TensorESD_SD_EERKSD_lbbbEUlllE1_EE10hipError_tPvRmT2_T3_mT4_P12ihipStream_tbEUlT_E_NS1_11comp_targetILNS1_3genE5ELNS1_11target_archE942ELNS1_3gpuE9ELNS1_3repE0EEENS1_30default_config_static_selectorELNS0_4arch9wavefront6targetE1EEEvT1_,comdat
	.globl	_ZN7rocprim17ROCPRIM_400000_NS6detail17trampoline_kernelINS0_14default_configENS1_35adjacent_difference_config_selectorILb0ElEEZNS1_24adjacent_difference_implIS3_Lb0ELb0EPlS7_ZN2at6native12_GLOBAL__N_124unique_dim_cuda_templateIhEESt5tupleIJNS8_6TensorESD_SD_EERKSD_lbbbEUlllE1_EE10hipError_tPvRmT2_T3_mT4_P12ihipStream_tbEUlT_E_NS1_11comp_targetILNS1_3genE5ELNS1_11target_archE942ELNS1_3gpuE9ELNS1_3repE0EEENS1_30default_config_static_selectorELNS0_4arch9wavefront6targetE1EEEvT1_ ; -- Begin function _ZN7rocprim17ROCPRIM_400000_NS6detail17trampoline_kernelINS0_14default_configENS1_35adjacent_difference_config_selectorILb0ElEEZNS1_24adjacent_difference_implIS3_Lb0ELb0EPlS7_ZN2at6native12_GLOBAL__N_124unique_dim_cuda_templateIhEESt5tupleIJNS8_6TensorESD_SD_EERKSD_lbbbEUlllE1_EE10hipError_tPvRmT2_T3_mT4_P12ihipStream_tbEUlT_E_NS1_11comp_targetILNS1_3genE5ELNS1_11target_archE942ELNS1_3gpuE9ELNS1_3repE0EEENS1_30default_config_static_selectorELNS0_4arch9wavefront6targetE1EEEvT1_
	.p2align	8
	.type	_ZN7rocprim17ROCPRIM_400000_NS6detail17trampoline_kernelINS0_14default_configENS1_35adjacent_difference_config_selectorILb0ElEEZNS1_24adjacent_difference_implIS3_Lb0ELb0EPlS7_ZN2at6native12_GLOBAL__N_124unique_dim_cuda_templateIhEESt5tupleIJNS8_6TensorESD_SD_EERKSD_lbbbEUlllE1_EE10hipError_tPvRmT2_T3_mT4_P12ihipStream_tbEUlT_E_NS1_11comp_targetILNS1_3genE5ELNS1_11target_archE942ELNS1_3gpuE9ELNS1_3repE0EEENS1_30default_config_static_selectorELNS0_4arch9wavefront6targetE1EEEvT1_,@function
_ZN7rocprim17ROCPRIM_400000_NS6detail17trampoline_kernelINS0_14default_configENS1_35adjacent_difference_config_selectorILb0ElEEZNS1_24adjacent_difference_implIS3_Lb0ELb0EPlS7_ZN2at6native12_GLOBAL__N_124unique_dim_cuda_templateIhEESt5tupleIJNS8_6TensorESD_SD_EERKSD_lbbbEUlllE1_EE10hipError_tPvRmT2_T3_mT4_P12ihipStream_tbEUlT_E_NS1_11comp_targetILNS1_3genE5ELNS1_11target_archE942ELNS1_3gpuE9ELNS1_3repE0EEENS1_30default_config_static_selectorELNS0_4arch9wavefront6targetE1EEEvT1_: ; @_ZN7rocprim17ROCPRIM_400000_NS6detail17trampoline_kernelINS0_14default_configENS1_35adjacent_difference_config_selectorILb0ElEEZNS1_24adjacent_difference_implIS3_Lb0ELb0EPlS7_ZN2at6native12_GLOBAL__N_124unique_dim_cuda_templateIhEESt5tupleIJNS8_6TensorESD_SD_EERKSD_lbbbEUlllE1_EE10hipError_tPvRmT2_T3_mT4_P12ihipStream_tbEUlT_E_NS1_11comp_targetILNS1_3genE5ELNS1_11target_archE942ELNS1_3gpuE9ELNS1_3repE0EEENS1_30default_config_static_selectorELNS0_4arch9wavefront6targetE1EEEvT1_
; %bb.0:
	.section	.rodata,"a",@progbits
	.p2align	6, 0x0
	.amdhsa_kernel _ZN7rocprim17ROCPRIM_400000_NS6detail17trampoline_kernelINS0_14default_configENS1_35adjacent_difference_config_selectorILb0ElEEZNS1_24adjacent_difference_implIS3_Lb0ELb0EPlS7_ZN2at6native12_GLOBAL__N_124unique_dim_cuda_templateIhEESt5tupleIJNS8_6TensorESD_SD_EERKSD_lbbbEUlllE1_EE10hipError_tPvRmT2_T3_mT4_P12ihipStream_tbEUlT_E_NS1_11comp_targetILNS1_3genE5ELNS1_11target_archE942ELNS1_3gpuE9ELNS1_3repE0EEENS1_30default_config_static_selectorELNS0_4arch9wavefront6targetE1EEEvT1_
		.amdhsa_group_segment_fixed_size 0
		.amdhsa_private_segment_fixed_size 0
		.amdhsa_kernarg_size 64
		.amdhsa_user_sgpr_count 2
		.amdhsa_user_sgpr_dispatch_ptr 0
		.amdhsa_user_sgpr_queue_ptr 0
		.amdhsa_user_sgpr_kernarg_segment_ptr 1
		.amdhsa_user_sgpr_dispatch_id 0
		.amdhsa_user_sgpr_kernarg_preload_length 0
		.amdhsa_user_sgpr_kernarg_preload_offset 0
		.amdhsa_user_sgpr_private_segment_size 0
		.amdhsa_uses_dynamic_stack 0
		.amdhsa_enable_private_segment 0
		.amdhsa_system_sgpr_workgroup_id_x 1
		.amdhsa_system_sgpr_workgroup_id_y 0
		.amdhsa_system_sgpr_workgroup_id_z 0
		.amdhsa_system_sgpr_workgroup_info 0
		.amdhsa_system_vgpr_workitem_id 0
		.amdhsa_next_free_vgpr 1
		.amdhsa_next_free_sgpr 0
		.amdhsa_accum_offset 4
		.amdhsa_reserve_vcc 0
		.amdhsa_float_round_mode_32 0
		.amdhsa_float_round_mode_16_64 0
		.amdhsa_float_denorm_mode_32 3
		.amdhsa_float_denorm_mode_16_64 3
		.amdhsa_dx10_clamp 1
		.amdhsa_ieee_mode 1
		.amdhsa_fp16_overflow 0
		.amdhsa_tg_split 0
		.amdhsa_exception_fp_ieee_invalid_op 0
		.amdhsa_exception_fp_denorm_src 0
		.amdhsa_exception_fp_ieee_div_zero 0
		.amdhsa_exception_fp_ieee_overflow 0
		.amdhsa_exception_fp_ieee_underflow 0
		.amdhsa_exception_fp_ieee_inexact 0
		.amdhsa_exception_int_div_zero 0
	.end_amdhsa_kernel
	.section	.text._ZN7rocprim17ROCPRIM_400000_NS6detail17trampoline_kernelINS0_14default_configENS1_35adjacent_difference_config_selectorILb0ElEEZNS1_24adjacent_difference_implIS3_Lb0ELb0EPlS7_ZN2at6native12_GLOBAL__N_124unique_dim_cuda_templateIhEESt5tupleIJNS8_6TensorESD_SD_EERKSD_lbbbEUlllE1_EE10hipError_tPvRmT2_T3_mT4_P12ihipStream_tbEUlT_E_NS1_11comp_targetILNS1_3genE5ELNS1_11target_archE942ELNS1_3gpuE9ELNS1_3repE0EEENS1_30default_config_static_selectorELNS0_4arch9wavefront6targetE1EEEvT1_,"axG",@progbits,_ZN7rocprim17ROCPRIM_400000_NS6detail17trampoline_kernelINS0_14default_configENS1_35adjacent_difference_config_selectorILb0ElEEZNS1_24adjacent_difference_implIS3_Lb0ELb0EPlS7_ZN2at6native12_GLOBAL__N_124unique_dim_cuda_templateIhEESt5tupleIJNS8_6TensorESD_SD_EERKSD_lbbbEUlllE1_EE10hipError_tPvRmT2_T3_mT4_P12ihipStream_tbEUlT_E_NS1_11comp_targetILNS1_3genE5ELNS1_11target_archE942ELNS1_3gpuE9ELNS1_3repE0EEENS1_30default_config_static_selectorELNS0_4arch9wavefront6targetE1EEEvT1_,comdat
.Lfunc_end60:
	.size	_ZN7rocprim17ROCPRIM_400000_NS6detail17trampoline_kernelINS0_14default_configENS1_35adjacent_difference_config_selectorILb0ElEEZNS1_24adjacent_difference_implIS3_Lb0ELb0EPlS7_ZN2at6native12_GLOBAL__N_124unique_dim_cuda_templateIhEESt5tupleIJNS8_6TensorESD_SD_EERKSD_lbbbEUlllE1_EE10hipError_tPvRmT2_T3_mT4_P12ihipStream_tbEUlT_E_NS1_11comp_targetILNS1_3genE5ELNS1_11target_archE942ELNS1_3gpuE9ELNS1_3repE0EEENS1_30default_config_static_selectorELNS0_4arch9wavefront6targetE1EEEvT1_, .Lfunc_end60-_ZN7rocprim17ROCPRIM_400000_NS6detail17trampoline_kernelINS0_14default_configENS1_35adjacent_difference_config_selectorILb0ElEEZNS1_24adjacent_difference_implIS3_Lb0ELb0EPlS7_ZN2at6native12_GLOBAL__N_124unique_dim_cuda_templateIhEESt5tupleIJNS8_6TensorESD_SD_EERKSD_lbbbEUlllE1_EE10hipError_tPvRmT2_T3_mT4_P12ihipStream_tbEUlT_E_NS1_11comp_targetILNS1_3genE5ELNS1_11target_archE942ELNS1_3gpuE9ELNS1_3repE0EEENS1_30default_config_static_selectorELNS0_4arch9wavefront6targetE1EEEvT1_
                                        ; -- End function
	.set _ZN7rocprim17ROCPRIM_400000_NS6detail17trampoline_kernelINS0_14default_configENS1_35adjacent_difference_config_selectorILb0ElEEZNS1_24adjacent_difference_implIS3_Lb0ELb0EPlS7_ZN2at6native12_GLOBAL__N_124unique_dim_cuda_templateIhEESt5tupleIJNS8_6TensorESD_SD_EERKSD_lbbbEUlllE1_EE10hipError_tPvRmT2_T3_mT4_P12ihipStream_tbEUlT_E_NS1_11comp_targetILNS1_3genE5ELNS1_11target_archE942ELNS1_3gpuE9ELNS1_3repE0EEENS1_30default_config_static_selectorELNS0_4arch9wavefront6targetE1EEEvT1_.num_vgpr, 0
	.set _ZN7rocprim17ROCPRIM_400000_NS6detail17trampoline_kernelINS0_14default_configENS1_35adjacent_difference_config_selectorILb0ElEEZNS1_24adjacent_difference_implIS3_Lb0ELb0EPlS7_ZN2at6native12_GLOBAL__N_124unique_dim_cuda_templateIhEESt5tupleIJNS8_6TensorESD_SD_EERKSD_lbbbEUlllE1_EE10hipError_tPvRmT2_T3_mT4_P12ihipStream_tbEUlT_E_NS1_11comp_targetILNS1_3genE5ELNS1_11target_archE942ELNS1_3gpuE9ELNS1_3repE0EEENS1_30default_config_static_selectorELNS0_4arch9wavefront6targetE1EEEvT1_.num_agpr, 0
	.set _ZN7rocprim17ROCPRIM_400000_NS6detail17trampoline_kernelINS0_14default_configENS1_35adjacent_difference_config_selectorILb0ElEEZNS1_24adjacent_difference_implIS3_Lb0ELb0EPlS7_ZN2at6native12_GLOBAL__N_124unique_dim_cuda_templateIhEESt5tupleIJNS8_6TensorESD_SD_EERKSD_lbbbEUlllE1_EE10hipError_tPvRmT2_T3_mT4_P12ihipStream_tbEUlT_E_NS1_11comp_targetILNS1_3genE5ELNS1_11target_archE942ELNS1_3gpuE9ELNS1_3repE0EEENS1_30default_config_static_selectorELNS0_4arch9wavefront6targetE1EEEvT1_.numbered_sgpr, 0
	.set _ZN7rocprim17ROCPRIM_400000_NS6detail17trampoline_kernelINS0_14default_configENS1_35adjacent_difference_config_selectorILb0ElEEZNS1_24adjacent_difference_implIS3_Lb0ELb0EPlS7_ZN2at6native12_GLOBAL__N_124unique_dim_cuda_templateIhEESt5tupleIJNS8_6TensorESD_SD_EERKSD_lbbbEUlllE1_EE10hipError_tPvRmT2_T3_mT4_P12ihipStream_tbEUlT_E_NS1_11comp_targetILNS1_3genE5ELNS1_11target_archE942ELNS1_3gpuE9ELNS1_3repE0EEENS1_30default_config_static_selectorELNS0_4arch9wavefront6targetE1EEEvT1_.num_named_barrier, 0
	.set _ZN7rocprim17ROCPRIM_400000_NS6detail17trampoline_kernelINS0_14default_configENS1_35adjacent_difference_config_selectorILb0ElEEZNS1_24adjacent_difference_implIS3_Lb0ELb0EPlS7_ZN2at6native12_GLOBAL__N_124unique_dim_cuda_templateIhEESt5tupleIJNS8_6TensorESD_SD_EERKSD_lbbbEUlllE1_EE10hipError_tPvRmT2_T3_mT4_P12ihipStream_tbEUlT_E_NS1_11comp_targetILNS1_3genE5ELNS1_11target_archE942ELNS1_3gpuE9ELNS1_3repE0EEENS1_30default_config_static_selectorELNS0_4arch9wavefront6targetE1EEEvT1_.private_seg_size, 0
	.set _ZN7rocprim17ROCPRIM_400000_NS6detail17trampoline_kernelINS0_14default_configENS1_35adjacent_difference_config_selectorILb0ElEEZNS1_24adjacent_difference_implIS3_Lb0ELb0EPlS7_ZN2at6native12_GLOBAL__N_124unique_dim_cuda_templateIhEESt5tupleIJNS8_6TensorESD_SD_EERKSD_lbbbEUlllE1_EE10hipError_tPvRmT2_T3_mT4_P12ihipStream_tbEUlT_E_NS1_11comp_targetILNS1_3genE5ELNS1_11target_archE942ELNS1_3gpuE9ELNS1_3repE0EEENS1_30default_config_static_selectorELNS0_4arch9wavefront6targetE1EEEvT1_.uses_vcc, 0
	.set _ZN7rocprim17ROCPRIM_400000_NS6detail17trampoline_kernelINS0_14default_configENS1_35adjacent_difference_config_selectorILb0ElEEZNS1_24adjacent_difference_implIS3_Lb0ELb0EPlS7_ZN2at6native12_GLOBAL__N_124unique_dim_cuda_templateIhEESt5tupleIJNS8_6TensorESD_SD_EERKSD_lbbbEUlllE1_EE10hipError_tPvRmT2_T3_mT4_P12ihipStream_tbEUlT_E_NS1_11comp_targetILNS1_3genE5ELNS1_11target_archE942ELNS1_3gpuE9ELNS1_3repE0EEENS1_30default_config_static_selectorELNS0_4arch9wavefront6targetE1EEEvT1_.uses_flat_scratch, 0
	.set _ZN7rocprim17ROCPRIM_400000_NS6detail17trampoline_kernelINS0_14default_configENS1_35adjacent_difference_config_selectorILb0ElEEZNS1_24adjacent_difference_implIS3_Lb0ELb0EPlS7_ZN2at6native12_GLOBAL__N_124unique_dim_cuda_templateIhEESt5tupleIJNS8_6TensorESD_SD_EERKSD_lbbbEUlllE1_EE10hipError_tPvRmT2_T3_mT4_P12ihipStream_tbEUlT_E_NS1_11comp_targetILNS1_3genE5ELNS1_11target_archE942ELNS1_3gpuE9ELNS1_3repE0EEENS1_30default_config_static_selectorELNS0_4arch9wavefront6targetE1EEEvT1_.has_dyn_sized_stack, 0
	.set _ZN7rocprim17ROCPRIM_400000_NS6detail17trampoline_kernelINS0_14default_configENS1_35adjacent_difference_config_selectorILb0ElEEZNS1_24adjacent_difference_implIS3_Lb0ELb0EPlS7_ZN2at6native12_GLOBAL__N_124unique_dim_cuda_templateIhEESt5tupleIJNS8_6TensorESD_SD_EERKSD_lbbbEUlllE1_EE10hipError_tPvRmT2_T3_mT4_P12ihipStream_tbEUlT_E_NS1_11comp_targetILNS1_3genE5ELNS1_11target_archE942ELNS1_3gpuE9ELNS1_3repE0EEENS1_30default_config_static_selectorELNS0_4arch9wavefront6targetE1EEEvT1_.has_recursion, 0
	.set _ZN7rocprim17ROCPRIM_400000_NS6detail17trampoline_kernelINS0_14default_configENS1_35adjacent_difference_config_selectorILb0ElEEZNS1_24adjacent_difference_implIS3_Lb0ELb0EPlS7_ZN2at6native12_GLOBAL__N_124unique_dim_cuda_templateIhEESt5tupleIJNS8_6TensorESD_SD_EERKSD_lbbbEUlllE1_EE10hipError_tPvRmT2_T3_mT4_P12ihipStream_tbEUlT_E_NS1_11comp_targetILNS1_3genE5ELNS1_11target_archE942ELNS1_3gpuE9ELNS1_3repE0EEENS1_30default_config_static_selectorELNS0_4arch9wavefront6targetE1EEEvT1_.has_indirect_call, 0
	.section	.AMDGPU.csdata,"",@progbits
; Kernel info:
; codeLenInByte = 0
; TotalNumSgprs: 6
; NumVgprs: 0
; NumAgprs: 0
; TotalNumVgprs: 0
; ScratchSize: 0
; MemoryBound: 0
; FloatMode: 240
; IeeeMode: 1
; LDSByteSize: 0 bytes/workgroup (compile time only)
; SGPRBlocks: 0
; VGPRBlocks: 0
; NumSGPRsForWavesPerEU: 6
; NumVGPRsForWavesPerEU: 1
; AccumOffset: 4
; Occupancy: 8
; WaveLimiterHint : 0
; COMPUTE_PGM_RSRC2:SCRATCH_EN: 0
; COMPUTE_PGM_RSRC2:USER_SGPR: 2
; COMPUTE_PGM_RSRC2:TRAP_HANDLER: 0
; COMPUTE_PGM_RSRC2:TGID_X_EN: 1
; COMPUTE_PGM_RSRC2:TGID_Y_EN: 0
; COMPUTE_PGM_RSRC2:TGID_Z_EN: 0
; COMPUTE_PGM_RSRC2:TIDIG_COMP_CNT: 0
; COMPUTE_PGM_RSRC3_GFX90A:ACCUM_OFFSET: 0
; COMPUTE_PGM_RSRC3_GFX90A:TG_SPLIT: 0
	.section	.text._ZN7rocprim17ROCPRIM_400000_NS6detail17trampoline_kernelINS0_14default_configENS1_35adjacent_difference_config_selectorILb0ElEEZNS1_24adjacent_difference_implIS3_Lb0ELb0EPlS7_ZN2at6native12_GLOBAL__N_124unique_dim_cuda_templateIhEESt5tupleIJNS8_6TensorESD_SD_EERKSD_lbbbEUlllE1_EE10hipError_tPvRmT2_T3_mT4_P12ihipStream_tbEUlT_E_NS1_11comp_targetILNS1_3genE4ELNS1_11target_archE910ELNS1_3gpuE8ELNS1_3repE0EEENS1_30default_config_static_selectorELNS0_4arch9wavefront6targetE1EEEvT1_,"axG",@progbits,_ZN7rocprim17ROCPRIM_400000_NS6detail17trampoline_kernelINS0_14default_configENS1_35adjacent_difference_config_selectorILb0ElEEZNS1_24adjacent_difference_implIS3_Lb0ELb0EPlS7_ZN2at6native12_GLOBAL__N_124unique_dim_cuda_templateIhEESt5tupleIJNS8_6TensorESD_SD_EERKSD_lbbbEUlllE1_EE10hipError_tPvRmT2_T3_mT4_P12ihipStream_tbEUlT_E_NS1_11comp_targetILNS1_3genE4ELNS1_11target_archE910ELNS1_3gpuE8ELNS1_3repE0EEENS1_30default_config_static_selectorELNS0_4arch9wavefront6targetE1EEEvT1_,comdat
	.globl	_ZN7rocprim17ROCPRIM_400000_NS6detail17trampoline_kernelINS0_14default_configENS1_35adjacent_difference_config_selectorILb0ElEEZNS1_24adjacent_difference_implIS3_Lb0ELb0EPlS7_ZN2at6native12_GLOBAL__N_124unique_dim_cuda_templateIhEESt5tupleIJNS8_6TensorESD_SD_EERKSD_lbbbEUlllE1_EE10hipError_tPvRmT2_T3_mT4_P12ihipStream_tbEUlT_E_NS1_11comp_targetILNS1_3genE4ELNS1_11target_archE910ELNS1_3gpuE8ELNS1_3repE0EEENS1_30default_config_static_selectorELNS0_4arch9wavefront6targetE1EEEvT1_ ; -- Begin function _ZN7rocprim17ROCPRIM_400000_NS6detail17trampoline_kernelINS0_14default_configENS1_35adjacent_difference_config_selectorILb0ElEEZNS1_24adjacent_difference_implIS3_Lb0ELb0EPlS7_ZN2at6native12_GLOBAL__N_124unique_dim_cuda_templateIhEESt5tupleIJNS8_6TensorESD_SD_EERKSD_lbbbEUlllE1_EE10hipError_tPvRmT2_T3_mT4_P12ihipStream_tbEUlT_E_NS1_11comp_targetILNS1_3genE4ELNS1_11target_archE910ELNS1_3gpuE8ELNS1_3repE0EEENS1_30default_config_static_selectorELNS0_4arch9wavefront6targetE1EEEvT1_
	.p2align	8
	.type	_ZN7rocprim17ROCPRIM_400000_NS6detail17trampoline_kernelINS0_14default_configENS1_35adjacent_difference_config_selectorILb0ElEEZNS1_24adjacent_difference_implIS3_Lb0ELb0EPlS7_ZN2at6native12_GLOBAL__N_124unique_dim_cuda_templateIhEESt5tupleIJNS8_6TensorESD_SD_EERKSD_lbbbEUlllE1_EE10hipError_tPvRmT2_T3_mT4_P12ihipStream_tbEUlT_E_NS1_11comp_targetILNS1_3genE4ELNS1_11target_archE910ELNS1_3gpuE8ELNS1_3repE0EEENS1_30default_config_static_selectorELNS0_4arch9wavefront6targetE1EEEvT1_,@function
_ZN7rocprim17ROCPRIM_400000_NS6detail17trampoline_kernelINS0_14default_configENS1_35adjacent_difference_config_selectorILb0ElEEZNS1_24adjacent_difference_implIS3_Lb0ELb0EPlS7_ZN2at6native12_GLOBAL__N_124unique_dim_cuda_templateIhEESt5tupleIJNS8_6TensorESD_SD_EERKSD_lbbbEUlllE1_EE10hipError_tPvRmT2_T3_mT4_P12ihipStream_tbEUlT_E_NS1_11comp_targetILNS1_3genE4ELNS1_11target_archE910ELNS1_3gpuE8ELNS1_3repE0EEENS1_30default_config_static_selectorELNS0_4arch9wavefront6targetE1EEEvT1_: ; @_ZN7rocprim17ROCPRIM_400000_NS6detail17trampoline_kernelINS0_14default_configENS1_35adjacent_difference_config_selectorILb0ElEEZNS1_24adjacent_difference_implIS3_Lb0ELb0EPlS7_ZN2at6native12_GLOBAL__N_124unique_dim_cuda_templateIhEESt5tupleIJNS8_6TensorESD_SD_EERKSD_lbbbEUlllE1_EE10hipError_tPvRmT2_T3_mT4_P12ihipStream_tbEUlT_E_NS1_11comp_targetILNS1_3genE4ELNS1_11target_archE910ELNS1_3gpuE8ELNS1_3repE0EEENS1_30default_config_static_selectorELNS0_4arch9wavefront6targetE1EEEvT1_
; %bb.0:
	.section	.rodata,"a",@progbits
	.p2align	6, 0x0
	.amdhsa_kernel _ZN7rocprim17ROCPRIM_400000_NS6detail17trampoline_kernelINS0_14default_configENS1_35adjacent_difference_config_selectorILb0ElEEZNS1_24adjacent_difference_implIS3_Lb0ELb0EPlS7_ZN2at6native12_GLOBAL__N_124unique_dim_cuda_templateIhEESt5tupleIJNS8_6TensorESD_SD_EERKSD_lbbbEUlllE1_EE10hipError_tPvRmT2_T3_mT4_P12ihipStream_tbEUlT_E_NS1_11comp_targetILNS1_3genE4ELNS1_11target_archE910ELNS1_3gpuE8ELNS1_3repE0EEENS1_30default_config_static_selectorELNS0_4arch9wavefront6targetE1EEEvT1_
		.amdhsa_group_segment_fixed_size 0
		.amdhsa_private_segment_fixed_size 0
		.amdhsa_kernarg_size 64
		.amdhsa_user_sgpr_count 2
		.amdhsa_user_sgpr_dispatch_ptr 0
		.amdhsa_user_sgpr_queue_ptr 0
		.amdhsa_user_sgpr_kernarg_segment_ptr 1
		.amdhsa_user_sgpr_dispatch_id 0
		.amdhsa_user_sgpr_kernarg_preload_length 0
		.amdhsa_user_sgpr_kernarg_preload_offset 0
		.amdhsa_user_sgpr_private_segment_size 0
		.amdhsa_uses_dynamic_stack 0
		.amdhsa_enable_private_segment 0
		.amdhsa_system_sgpr_workgroup_id_x 1
		.amdhsa_system_sgpr_workgroup_id_y 0
		.amdhsa_system_sgpr_workgroup_id_z 0
		.amdhsa_system_sgpr_workgroup_info 0
		.amdhsa_system_vgpr_workitem_id 0
		.amdhsa_next_free_vgpr 1
		.amdhsa_next_free_sgpr 0
		.amdhsa_accum_offset 4
		.amdhsa_reserve_vcc 0
		.amdhsa_float_round_mode_32 0
		.amdhsa_float_round_mode_16_64 0
		.amdhsa_float_denorm_mode_32 3
		.amdhsa_float_denorm_mode_16_64 3
		.amdhsa_dx10_clamp 1
		.amdhsa_ieee_mode 1
		.amdhsa_fp16_overflow 0
		.amdhsa_tg_split 0
		.amdhsa_exception_fp_ieee_invalid_op 0
		.amdhsa_exception_fp_denorm_src 0
		.amdhsa_exception_fp_ieee_div_zero 0
		.amdhsa_exception_fp_ieee_overflow 0
		.amdhsa_exception_fp_ieee_underflow 0
		.amdhsa_exception_fp_ieee_inexact 0
		.amdhsa_exception_int_div_zero 0
	.end_amdhsa_kernel
	.section	.text._ZN7rocprim17ROCPRIM_400000_NS6detail17trampoline_kernelINS0_14default_configENS1_35adjacent_difference_config_selectorILb0ElEEZNS1_24adjacent_difference_implIS3_Lb0ELb0EPlS7_ZN2at6native12_GLOBAL__N_124unique_dim_cuda_templateIhEESt5tupleIJNS8_6TensorESD_SD_EERKSD_lbbbEUlllE1_EE10hipError_tPvRmT2_T3_mT4_P12ihipStream_tbEUlT_E_NS1_11comp_targetILNS1_3genE4ELNS1_11target_archE910ELNS1_3gpuE8ELNS1_3repE0EEENS1_30default_config_static_selectorELNS0_4arch9wavefront6targetE1EEEvT1_,"axG",@progbits,_ZN7rocprim17ROCPRIM_400000_NS6detail17trampoline_kernelINS0_14default_configENS1_35adjacent_difference_config_selectorILb0ElEEZNS1_24adjacent_difference_implIS3_Lb0ELb0EPlS7_ZN2at6native12_GLOBAL__N_124unique_dim_cuda_templateIhEESt5tupleIJNS8_6TensorESD_SD_EERKSD_lbbbEUlllE1_EE10hipError_tPvRmT2_T3_mT4_P12ihipStream_tbEUlT_E_NS1_11comp_targetILNS1_3genE4ELNS1_11target_archE910ELNS1_3gpuE8ELNS1_3repE0EEENS1_30default_config_static_selectorELNS0_4arch9wavefront6targetE1EEEvT1_,comdat
.Lfunc_end61:
	.size	_ZN7rocprim17ROCPRIM_400000_NS6detail17trampoline_kernelINS0_14default_configENS1_35adjacent_difference_config_selectorILb0ElEEZNS1_24adjacent_difference_implIS3_Lb0ELb0EPlS7_ZN2at6native12_GLOBAL__N_124unique_dim_cuda_templateIhEESt5tupleIJNS8_6TensorESD_SD_EERKSD_lbbbEUlllE1_EE10hipError_tPvRmT2_T3_mT4_P12ihipStream_tbEUlT_E_NS1_11comp_targetILNS1_3genE4ELNS1_11target_archE910ELNS1_3gpuE8ELNS1_3repE0EEENS1_30default_config_static_selectorELNS0_4arch9wavefront6targetE1EEEvT1_, .Lfunc_end61-_ZN7rocprim17ROCPRIM_400000_NS6detail17trampoline_kernelINS0_14default_configENS1_35adjacent_difference_config_selectorILb0ElEEZNS1_24adjacent_difference_implIS3_Lb0ELb0EPlS7_ZN2at6native12_GLOBAL__N_124unique_dim_cuda_templateIhEESt5tupleIJNS8_6TensorESD_SD_EERKSD_lbbbEUlllE1_EE10hipError_tPvRmT2_T3_mT4_P12ihipStream_tbEUlT_E_NS1_11comp_targetILNS1_3genE4ELNS1_11target_archE910ELNS1_3gpuE8ELNS1_3repE0EEENS1_30default_config_static_selectorELNS0_4arch9wavefront6targetE1EEEvT1_
                                        ; -- End function
	.set _ZN7rocprim17ROCPRIM_400000_NS6detail17trampoline_kernelINS0_14default_configENS1_35adjacent_difference_config_selectorILb0ElEEZNS1_24adjacent_difference_implIS3_Lb0ELb0EPlS7_ZN2at6native12_GLOBAL__N_124unique_dim_cuda_templateIhEESt5tupleIJNS8_6TensorESD_SD_EERKSD_lbbbEUlllE1_EE10hipError_tPvRmT2_T3_mT4_P12ihipStream_tbEUlT_E_NS1_11comp_targetILNS1_3genE4ELNS1_11target_archE910ELNS1_3gpuE8ELNS1_3repE0EEENS1_30default_config_static_selectorELNS0_4arch9wavefront6targetE1EEEvT1_.num_vgpr, 0
	.set _ZN7rocprim17ROCPRIM_400000_NS6detail17trampoline_kernelINS0_14default_configENS1_35adjacent_difference_config_selectorILb0ElEEZNS1_24adjacent_difference_implIS3_Lb0ELb0EPlS7_ZN2at6native12_GLOBAL__N_124unique_dim_cuda_templateIhEESt5tupleIJNS8_6TensorESD_SD_EERKSD_lbbbEUlllE1_EE10hipError_tPvRmT2_T3_mT4_P12ihipStream_tbEUlT_E_NS1_11comp_targetILNS1_3genE4ELNS1_11target_archE910ELNS1_3gpuE8ELNS1_3repE0EEENS1_30default_config_static_selectorELNS0_4arch9wavefront6targetE1EEEvT1_.num_agpr, 0
	.set _ZN7rocprim17ROCPRIM_400000_NS6detail17trampoline_kernelINS0_14default_configENS1_35adjacent_difference_config_selectorILb0ElEEZNS1_24adjacent_difference_implIS3_Lb0ELb0EPlS7_ZN2at6native12_GLOBAL__N_124unique_dim_cuda_templateIhEESt5tupleIJNS8_6TensorESD_SD_EERKSD_lbbbEUlllE1_EE10hipError_tPvRmT2_T3_mT4_P12ihipStream_tbEUlT_E_NS1_11comp_targetILNS1_3genE4ELNS1_11target_archE910ELNS1_3gpuE8ELNS1_3repE0EEENS1_30default_config_static_selectorELNS0_4arch9wavefront6targetE1EEEvT1_.numbered_sgpr, 0
	.set _ZN7rocprim17ROCPRIM_400000_NS6detail17trampoline_kernelINS0_14default_configENS1_35adjacent_difference_config_selectorILb0ElEEZNS1_24adjacent_difference_implIS3_Lb0ELb0EPlS7_ZN2at6native12_GLOBAL__N_124unique_dim_cuda_templateIhEESt5tupleIJNS8_6TensorESD_SD_EERKSD_lbbbEUlllE1_EE10hipError_tPvRmT2_T3_mT4_P12ihipStream_tbEUlT_E_NS1_11comp_targetILNS1_3genE4ELNS1_11target_archE910ELNS1_3gpuE8ELNS1_3repE0EEENS1_30default_config_static_selectorELNS0_4arch9wavefront6targetE1EEEvT1_.num_named_barrier, 0
	.set _ZN7rocprim17ROCPRIM_400000_NS6detail17trampoline_kernelINS0_14default_configENS1_35adjacent_difference_config_selectorILb0ElEEZNS1_24adjacent_difference_implIS3_Lb0ELb0EPlS7_ZN2at6native12_GLOBAL__N_124unique_dim_cuda_templateIhEESt5tupleIJNS8_6TensorESD_SD_EERKSD_lbbbEUlllE1_EE10hipError_tPvRmT2_T3_mT4_P12ihipStream_tbEUlT_E_NS1_11comp_targetILNS1_3genE4ELNS1_11target_archE910ELNS1_3gpuE8ELNS1_3repE0EEENS1_30default_config_static_selectorELNS0_4arch9wavefront6targetE1EEEvT1_.private_seg_size, 0
	.set _ZN7rocprim17ROCPRIM_400000_NS6detail17trampoline_kernelINS0_14default_configENS1_35adjacent_difference_config_selectorILb0ElEEZNS1_24adjacent_difference_implIS3_Lb0ELb0EPlS7_ZN2at6native12_GLOBAL__N_124unique_dim_cuda_templateIhEESt5tupleIJNS8_6TensorESD_SD_EERKSD_lbbbEUlllE1_EE10hipError_tPvRmT2_T3_mT4_P12ihipStream_tbEUlT_E_NS1_11comp_targetILNS1_3genE4ELNS1_11target_archE910ELNS1_3gpuE8ELNS1_3repE0EEENS1_30default_config_static_selectorELNS0_4arch9wavefront6targetE1EEEvT1_.uses_vcc, 0
	.set _ZN7rocprim17ROCPRIM_400000_NS6detail17trampoline_kernelINS0_14default_configENS1_35adjacent_difference_config_selectorILb0ElEEZNS1_24adjacent_difference_implIS3_Lb0ELb0EPlS7_ZN2at6native12_GLOBAL__N_124unique_dim_cuda_templateIhEESt5tupleIJNS8_6TensorESD_SD_EERKSD_lbbbEUlllE1_EE10hipError_tPvRmT2_T3_mT4_P12ihipStream_tbEUlT_E_NS1_11comp_targetILNS1_3genE4ELNS1_11target_archE910ELNS1_3gpuE8ELNS1_3repE0EEENS1_30default_config_static_selectorELNS0_4arch9wavefront6targetE1EEEvT1_.uses_flat_scratch, 0
	.set _ZN7rocprim17ROCPRIM_400000_NS6detail17trampoline_kernelINS0_14default_configENS1_35adjacent_difference_config_selectorILb0ElEEZNS1_24adjacent_difference_implIS3_Lb0ELb0EPlS7_ZN2at6native12_GLOBAL__N_124unique_dim_cuda_templateIhEESt5tupleIJNS8_6TensorESD_SD_EERKSD_lbbbEUlllE1_EE10hipError_tPvRmT2_T3_mT4_P12ihipStream_tbEUlT_E_NS1_11comp_targetILNS1_3genE4ELNS1_11target_archE910ELNS1_3gpuE8ELNS1_3repE0EEENS1_30default_config_static_selectorELNS0_4arch9wavefront6targetE1EEEvT1_.has_dyn_sized_stack, 0
	.set _ZN7rocprim17ROCPRIM_400000_NS6detail17trampoline_kernelINS0_14default_configENS1_35adjacent_difference_config_selectorILb0ElEEZNS1_24adjacent_difference_implIS3_Lb0ELb0EPlS7_ZN2at6native12_GLOBAL__N_124unique_dim_cuda_templateIhEESt5tupleIJNS8_6TensorESD_SD_EERKSD_lbbbEUlllE1_EE10hipError_tPvRmT2_T3_mT4_P12ihipStream_tbEUlT_E_NS1_11comp_targetILNS1_3genE4ELNS1_11target_archE910ELNS1_3gpuE8ELNS1_3repE0EEENS1_30default_config_static_selectorELNS0_4arch9wavefront6targetE1EEEvT1_.has_recursion, 0
	.set _ZN7rocprim17ROCPRIM_400000_NS6detail17trampoline_kernelINS0_14default_configENS1_35adjacent_difference_config_selectorILb0ElEEZNS1_24adjacent_difference_implIS3_Lb0ELb0EPlS7_ZN2at6native12_GLOBAL__N_124unique_dim_cuda_templateIhEESt5tupleIJNS8_6TensorESD_SD_EERKSD_lbbbEUlllE1_EE10hipError_tPvRmT2_T3_mT4_P12ihipStream_tbEUlT_E_NS1_11comp_targetILNS1_3genE4ELNS1_11target_archE910ELNS1_3gpuE8ELNS1_3repE0EEENS1_30default_config_static_selectorELNS0_4arch9wavefront6targetE1EEEvT1_.has_indirect_call, 0
	.section	.AMDGPU.csdata,"",@progbits
; Kernel info:
; codeLenInByte = 0
; TotalNumSgprs: 6
; NumVgprs: 0
; NumAgprs: 0
; TotalNumVgprs: 0
; ScratchSize: 0
; MemoryBound: 0
; FloatMode: 240
; IeeeMode: 1
; LDSByteSize: 0 bytes/workgroup (compile time only)
; SGPRBlocks: 0
; VGPRBlocks: 0
; NumSGPRsForWavesPerEU: 6
; NumVGPRsForWavesPerEU: 1
; AccumOffset: 4
; Occupancy: 8
; WaveLimiterHint : 0
; COMPUTE_PGM_RSRC2:SCRATCH_EN: 0
; COMPUTE_PGM_RSRC2:USER_SGPR: 2
; COMPUTE_PGM_RSRC2:TRAP_HANDLER: 0
; COMPUTE_PGM_RSRC2:TGID_X_EN: 1
; COMPUTE_PGM_RSRC2:TGID_Y_EN: 0
; COMPUTE_PGM_RSRC2:TGID_Z_EN: 0
; COMPUTE_PGM_RSRC2:TIDIG_COMP_CNT: 0
; COMPUTE_PGM_RSRC3_GFX90A:ACCUM_OFFSET: 0
; COMPUTE_PGM_RSRC3_GFX90A:TG_SPLIT: 0
	.section	.text._ZN7rocprim17ROCPRIM_400000_NS6detail17trampoline_kernelINS0_14default_configENS1_35adjacent_difference_config_selectorILb0ElEEZNS1_24adjacent_difference_implIS3_Lb0ELb0EPlS7_ZN2at6native12_GLOBAL__N_124unique_dim_cuda_templateIhEESt5tupleIJNS8_6TensorESD_SD_EERKSD_lbbbEUlllE1_EE10hipError_tPvRmT2_T3_mT4_P12ihipStream_tbEUlT_E_NS1_11comp_targetILNS1_3genE3ELNS1_11target_archE908ELNS1_3gpuE7ELNS1_3repE0EEENS1_30default_config_static_selectorELNS0_4arch9wavefront6targetE1EEEvT1_,"axG",@progbits,_ZN7rocprim17ROCPRIM_400000_NS6detail17trampoline_kernelINS0_14default_configENS1_35adjacent_difference_config_selectorILb0ElEEZNS1_24adjacent_difference_implIS3_Lb0ELb0EPlS7_ZN2at6native12_GLOBAL__N_124unique_dim_cuda_templateIhEESt5tupleIJNS8_6TensorESD_SD_EERKSD_lbbbEUlllE1_EE10hipError_tPvRmT2_T3_mT4_P12ihipStream_tbEUlT_E_NS1_11comp_targetILNS1_3genE3ELNS1_11target_archE908ELNS1_3gpuE7ELNS1_3repE0EEENS1_30default_config_static_selectorELNS0_4arch9wavefront6targetE1EEEvT1_,comdat
	.globl	_ZN7rocprim17ROCPRIM_400000_NS6detail17trampoline_kernelINS0_14default_configENS1_35adjacent_difference_config_selectorILb0ElEEZNS1_24adjacent_difference_implIS3_Lb0ELb0EPlS7_ZN2at6native12_GLOBAL__N_124unique_dim_cuda_templateIhEESt5tupleIJNS8_6TensorESD_SD_EERKSD_lbbbEUlllE1_EE10hipError_tPvRmT2_T3_mT4_P12ihipStream_tbEUlT_E_NS1_11comp_targetILNS1_3genE3ELNS1_11target_archE908ELNS1_3gpuE7ELNS1_3repE0EEENS1_30default_config_static_selectorELNS0_4arch9wavefront6targetE1EEEvT1_ ; -- Begin function _ZN7rocprim17ROCPRIM_400000_NS6detail17trampoline_kernelINS0_14default_configENS1_35adjacent_difference_config_selectorILb0ElEEZNS1_24adjacent_difference_implIS3_Lb0ELb0EPlS7_ZN2at6native12_GLOBAL__N_124unique_dim_cuda_templateIhEESt5tupleIJNS8_6TensorESD_SD_EERKSD_lbbbEUlllE1_EE10hipError_tPvRmT2_T3_mT4_P12ihipStream_tbEUlT_E_NS1_11comp_targetILNS1_3genE3ELNS1_11target_archE908ELNS1_3gpuE7ELNS1_3repE0EEENS1_30default_config_static_selectorELNS0_4arch9wavefront6targetE1EEEvT1_
	.p2align	8
	.type	_ZN7rocprim17ROCPRIM_400000_NS6detail17trampoline_kernelINS0_14default_configENS1_35adjacent_difference_config_selectorILb0ElEEZNS1_24adjacent_difference_implIS3_Lb0ELb0EPlS7_ZN2at6native12_GLOBAL__N_124unique_dim_cuda_templateIhEESt5tupleIJNS8_6TensorESD_SD_EERKSD_lbbbEUlllE1_EE10hipError_tPvRmT2_T3_mT4_P12ihipStream_tbEUlT_E_NS1_11comp_targetILNS1_3genE3ELNS1_11target_archE908ELNS1_3gpuE7ELNS1_3repE0EEENS1_30default_config_static_selectorELNS0_4arch9wavefront6targetE1EEEvT1_,@function
_ZN7rocprim17ROCPRIM_400000_NS6detail17trampoline_kernelINS0_14default_configENS1_35adjacent_difference_config_selectorILb0ElEEZNS1_24adjacent_difference_implIS3_Lb0ELb0EPlS7_ZN2at6native12_GLOBAL__N_124unique_dim_cuda_templateIhEESt5tupleIJNS8_6TensorESD_SD_EERKSD_lbbbEUlllE1_EE10hipError_tPvRmT2_T3_mT4_P12ihipStream_tbEUlT_E_NS1_11comp_targetILNS1_3genE3ELNS1_11target_archE908ELNS1_3gpuE7ELNS1_3repE0EEENS1_30default_config_static_selectorELNS0_4arch9wavefront6targetE1EEEvT1_: ; @_ZN7rocprim17ROCPRIM_400000_NS6detail17trampoline_kernelINS0_14default_configENS1_35adjacent_difference_config_selectorILb0ElEEZNS1_24adjacent_difference_implIS3_Lb0ELb0EPlS7_ZN2at6native12_GLOBAL__N_124unique_dim_cuda_templateIhEESt5tupleIJNS8_6TensorESD_SD_EERKSD_lbbbEUlllE1_EE10hipError_tPvRmT2_T3_mT4_P12ihipStream_tbEUlT_E_NS1_11comp_targetILNS1_3genE3ELNS1_11target_archE908ELNS1_3gpuE7ELNS1_3repE0EEENS1_30default_config_static_selectorELNS0_4arch9wavefront6targetE1EEEvT1_
; %bb.0:
	.section	.rodata,"a",@progbits
	.p2align	6, 0x0
	.amdhsa_kernel _ZN7rocprim17ROCPRIM_400000_NS6detail17trampoline_kernelINS0_14default_configENS1_35adjacent_difference_config_selectorILb0ElEEZNS1_24adjacent_difference_implIS3_Lb0ELb0EPlS7_ZN2at6native12_GLOBAL__N_124unique_dim_cuda_templateIhEESt5tupleIJNS8_6TensorESD_SD_EERKSD_lbbbEUlllE1_EE10hipError_tPvRmT2_T3_mT4_P12ihipStream_tbEUlT_E_NS1_11comp_targetILNS1_3genE3ELNS1_11target_archE908ELNS1_3gpuE7ELNS1_3repE0EEENS1_30default_config_static_selectorELNS0_4arch9wavefront6targetE1EEEvT1_
		.amdhsa_group_segment_fixed_size 0
		.amdhsa_private_segment_fixed_size 0
		.amdhsa_kernarg_size 64
		.amdhsa_user_sgpr_count 2
		.amdhsa_user_sgpr_dispatch_ptr 0
		.amdhsa_user_sgpr_queue_ptr 0
		.amdhsa_user_sgpr_kernarg_segment_ptr 1
		.amdhsa_user_sgpr_dispatch_id 0
		.amdhsa_user_sgpr_kernarg_preload_length 0
		.amdhsa_user_sgpr_kernarg_preload_offset 0
		.amdhsa_user_sgpr_private_segment_size 0
		.amdhsa_uses_dynamic_stack 0
		.amdhsa_enable_private_segment 0
		.amdhsa_system_sgpr_workgroup_id_x 1
		.amdhsa_system_sgpr_workgroup_id_y 0
		.amdhsa_system_sgpr_workgroup_id_z 0
		.amdhsa_system_sgpr_workgroup_info 0
		.amdhsa_system_vgpr_workitem_id 0
		.amdhsa_next_free_vgpr 1
		.amdhsa_next_free_sgpr 0
		.amdhsa_accum_offset 4
		.amdhsa_reserve_vcc 0
		.amdhsa_float_round_mode_32 0
		.amdhsa_float_round_mode_16_64 0
		.amdhsa_float_denorm_mode_32 3
		.amdhsa_float_denorm_mode_16_64 3
		.amdhsa_dx10_clamp 1
		.amdhsa_ieee_mode 1
		.amdhsa_fp16_overflow 0
		.amdhsa_tg_split 0
		.amdhsa_exception_fp_ieee_invalid_op 0
		.amdhsa_exception_fp_denorm_src 0
		.amdhsa_exception_fp_ieee_div_zero 0
		.amdhsa_exception_fp_ieee_overflow 0
		.amdhsa_exception_fp_ieee_underflow 0
		.amdhsa_exception_fp_ieee_inexact 0
		.amdhsa_exception_int_div_zero 0
	.end_amdhsa_kernel
	.section	.text._ZN7rocprim17ROCPRIM_400000_NS6detail17trampoline_kernelINS0_14default_configENS1_35adjacent_difference_config_selectorILb0ElEEZNS1_24adjacent_difference_implIS3_Lb0ELb0EPlS7_ZN2at6native12_GLOBAL__N_124unique_dim_cuda_templateIhEESt5tupleIJNS8_6TensorESD_SD_EERKSD_lbbbEUlllE1_EE10hipError_tPvRmT2_T3_mT4_P12ihipStream_tbEUlT_E_NS1_11comp_targetILNS1_3genE3ELNS1_11target_archE908ELNS1_3gpuE7ELNS1_3repE0EEENS1_30default_config_static_selectorELNS0_4arch9wavefront6targetE1EEEvT1_,"axG",@progbits,_ZN7rocprim17ROCPRIM_400000_NS6detail17trampoline_kernelINS0_14default_configENS1_35adjacent_difference_config_selectorILb0ElEEZNS1_24adjacent_difference_implIS3_Lb0ELb0EPlS7_ZN2at6native12_GLOBAL__N_124unique_dim_cuda_templateIhEESt5tupleIJNS8_6TensorESD_SD_EERKSD_lbbbEUlllE1_EE10hipError_tPvRmT2_T3_mT4_P12ihipStream_tbEUlT_E_NS1_11comp_targetILNS1_3genE3ELNS1_11target_archE908ELNS1_3gpuE7ELNS1_3repE0EEENS1_30default_config_static_selectorELNS0_4arch9wavefront6targetE1EEEvT1_,comdat
.Lfunc_end62:
	.size	_ZN7rocprim17ROCPRIM_400000_NS6detail17trampoline_kernelINS0_14default_configENS1_35adjacent_difference_config_selectorILb0ElEEZNS1_24adjacent_difference_implIS3_Lb0ELb0EPlS7_ZN2at6native12_GLOBAL__N_124unique_dim_cuda_templateIhEESt5tupleIJNS8_6TensorESD_SD_EERKSD_lbbbEUlllE1_EE10hipError_tPvRmT2_T3_mT4_P12ihipStream_tbEUlT_E_NS1_11comp_targetILNS1_3genE3ELNS1_11target_archE908ELNS1_3gpuE7ELNS1_3repE0EEENS1_30default_config_static_selectorELNS0_4arch9wavefront6targetE1EEEvT1_, .Lfunc_end62-_ZN7rocprim17ROCPRIM_400000_NS6detail17trampoline_kernelINS0_14default_configENS1_35adjacent_difference_config_selectorILb0ElEEZNS1_24adjacent_difference_implIS3_Lb0ELb0EPlS7_ZN2at6native12_GLOBAL__N_124unique_dim_cuda_templateIhEESt5tupleIJNS8_6TensorESD_SD_EERKSD_lbbbEUlllE1_EE10hipError_tPvRmT2_T3_mT4_P12ihipStream_tbEUlT_E_NS1_11comp_targetILNS1_3genE3ELNS1_11target_archE908ELNS1_3gpuE7ELNS1_3repE0EEENS1_30default_config_static_selectorELNS0_4arch9wavefront6targetE1EEEvT1_
                                        ; -- End function
	.set _ZN7rocprim17ROCPRIM_400000_NS6detail17trampoline_kernelINS0_14default_configENS1_35adjacent_difference_config_selectorILb0ElEEZNS1_24adjacent_difference_implIS3_Lb0ELb0EPlS7_ZN2at6native12_GLOBAL__N_124unique_dim_cuda_templateIhEESt5tupleIJNS8_6TensorESD_SD_EERKSD_lbbbEUlllE1_EE10hipError_tPvRmT2_T3_mT4_P12ihipStream_tbEUlT_E_NS1_11comp_targetILNS1_3genE3ELNS1_11target_archE908ELNS1_3gpuE7ELNS1_3repE0EEENS1_30default_config_static_selectorELNS0_4arch9wavefront6targetE1EEEvT1_.num_vgpr, 0
	.set _ZN7rocprim17ROCPRIM_400000_NS6detail17trampoline_kernelINS0_14default_configENS1_35adjacent_difference_config_selectorILb0ElEEZNS1_24adjacent_difference_implIS3_Lb0ELb0EPlS7_ZN2at6native12_GLOBAL__N_124unique_dim_cuda_templateIhEESt5tupleIJNS8_6TensorESD_SD_EERKSD_lbbbEUlllE1_EE10hipError_tPvRmT2_T3_mT4_P12ihipStream_tbEUlT_E_NS1_11comp_targetILNS1_3genE3ELNS1_11target_archE908ELNS1_3gpuE7ELNS1_3repE0EEENS1_30default_config_static_selectorELNS0_4arch9wavefront6targetE1EEEvT1_.num_agpr, 0
	.set _ZN7rocprim17ROCPRIM_400000_NS6detail17trampoline_kernelINS0_14default_configENS1_35adjacent_difference_config_selectorILb0ElEEZNS1_24adjacent_difference_implIS3_Lb0ELb0EPlS7_ZN2at6native12_GLOBAL__N_124unique_dim_cuda_templateIhEESt5tupleIJNS8_6TensorESD_SD_EERKSD_lbbbEUlllE1_EE10hipError_tPvRmT2_T3_mT4_P12ihipStream_tbEUlT_E_NS1_11comp_targetILNS1_3genE3ELNS1_11target_archE908ELNS1_3gpuE7ELNS1_3repE0EEENS1_30default_config_static_selectorELNS0_4arch9wavefront6targetE1EEEvT1_.numbered_sgpr, 0
	.set _ZN7rocprim17ROCPRIM_400000_NS6detail17trampoline_kernelINS0_14default_configENS1_35adjacent_difference_config_selectorILb0ElEEZNS1_24adjacent_difference_implIS3_Lb0ELb0EPlS7_ZN2at6native12_GLOBAL__N_124unique_dim_cuda_templateIhEESt5tupleIJNS8_6TensorESD_SD_EERKSD_lbbbEUlllE1_EE10hipError_tPvRmT2_T3_mT4_P12ihipStream_tbEUlT_E_NS1_11comp_targetILNS1_3genE3ELNS1_11target_archE908ELNS1_3gpuE7ELNS1_3repE0EEENS1_30default_config_static_selectorELNS0_4arch9wavefront6targetE1EEEvT1_.num_named_barrier, 0
	.set _ZN7rocprim17ROCPRIM_400000_NS6detail17trampoline_kernelINS0_14default_configENS1_35adjacent_difference_config_selectorILb0ElEEZNS1_24adjacent_difference_implIS3_Lb0ELb0EPlS7_ZN2at6native12_GLOBAL__N_124unique_dim_cuda_templateIhEESt5tupleIJNS8_6TensorESD_SD_EERKSD_lbbbEUlllE1_EE10hipError_tPvRmT2_T3_mT4_P12ihipStream_tbEUlT_E_NS1_11comp_targetILNS1_3genE3ELNS1_11target_archE908ELNS1_3gpuE7ELNS1_3repE0EEENS1_30default_config_static_selectorELNS0_4arch9wavefront6targetE1EEEvT1_.private_seg_size, 0
	.set _ZN7rocprim17ROCPRIM_400000_NS6detail17trampoline_kernelINS0_14default_configENS1_35adjacent_difference_config_selectorILb0ElEEZNS1_24adjacent_difference_implIS3_Lb0ELb0EPlS7_ZN2at6native12_GLOBAL__N_124unique_dim_cuda_templateIhEESt5tupleIJNS8_6TensorESD_SD_EERKSD_lbbbEUlllE1_EE10hipError_tPvRmT2_T3_mT4_P12ihipStream_tbEUlT_E_NS1_11comp_targetILNS1_3genE3ELNS1_11target_archE908ELNS1_3gpuE7ELNS1_3repE0EEENS1_30default_config_static_selectorELNS0_4arch9wavefront6targetE1EEEvT1_.uses_vcc, 0
	.set _ZN7rocprim17ROCPRIM_400000_NS6detail17trampoline_kernelINS0_14default_configENS1_35adjacent_difference_config_selectorILb0ElEEZNS1_24adjacent_difference_implIS3_Lb0ELb0EPlS7_ZN2at6native12_GLOBAL__N_124unique_dim_cuda_templateIhEESt5tupleIJNS8_6TensorESD_SD_EERKSD_lbbbEUlllE1_EE10hipError_tPvRmT2_T3_mT4_P12ihipStream_tbEUlT_E_NS1_11comp_targetILNS1_3genE3ELNS1_11target_archE908ELNS1_3gpuE7ELNS1_3repE0EEENS1_30default_config_static_selectorELNS0_4arch9wavefront6targetE1EEEvT1_.uses_flat_scratch, 0
	.set _ZN7rocprim17ROCPRIM_400000_NS6detail17trampoline_kernelINS0_14default_configENS1_35adjacent_difference_config_selectorILb0ElEEZNS1_24adjacent_difference_implIS3_Lb0ELb0EPlS7_ZN2at6native12_GLOBAL__N_124unique_dim_cuda_templateIhEESt5tupleIJNS8_6TensorESD_SD_EERKSD_lbbbEUlllE1_EE10hipError_tPvRmT2_T3_mT4_P12ihipStream_tbEUlT_E_NS1_11comp_targetILNS1_3genE3ELNS1_11target_archE908ELNS1_3gpuE7ELNS1_3repE0EEENS1_30default_config_static_selectorELNS0_4arch9wavefront6targetE1EEEvT1_.has_dyn_sized_stack, 0
	.set _ZN7rocprim17ROCPRIM_400000_NS6detail17trampoline_kernelINS0_14default_configENS1_35adjacent_difference_config_selectorILb0ElEEZNS1_24adjacent_difference_implIS3_Lb0ELb0EPlS7_ZN2at6native12_GLOBAL__N_124unique_dim_cuda_templateIhEESt5tupleIJNS8_6TensorESD_SD_EERKSD_lbbbEUlllE1_EE10hipError_tPvRmT2_T3_mT4_P12ihipStream_tbEUlT_E_NS1_11comp_targetILNS1_3genE3ELNS1_11target_archE908ELNS1_3gpuE7ELNS1_3repE0EEENS1_30default_config_static_selectorELNS0_4arch9wavefront6targetE1EEEvT1_.has_recursion, 0
	.set _ZN7rocprim17ROCPRIM_400000_NS6detail17trampoline_kernelINS0_14default_configENS1_35adjacent_difference_config_selectorILb0ElEEZNS1_24adjacent_difference_implIS3_Lb0ELb0EPlS7_ZN2at6native12_GLOBAL__N_124unique_dim_cuda_templateIhEESt5tupleIJNS8_6TensorESD_SD_EERKSD_lbbbEUlllE1_EE10hipError_tPvRmT2_T3_mT4_P12ihipStream_tbEUlT_E_NS1_11comp_targetILNS1_3genE3ELNS1_11target_archE908ELNS1_3gpuE7ELNS1_3repE0EEENS1_30default_config_static_selectorELNS0_4arch9wavefront6targetE1EEEvT1_.has_indirect_call, 0
	.section	.AMDGPU.csdata,"",@progbits
; Kernel info:
; codeLenInByte = 0
; TotalNumSgprs: 6
; NumVgprs: 0
; NumAgprs: 0
; TotalNumVgprs: 0
; ScratchSize: 0
; MemoryBound: 0
; FloatMode: 240
; IeeeMode: 1
; LDSByteSize: 0 bytes/workgroup (compile time only)
; SGPRBlocks: 0
; VGPRBlocks: 0
; NumSGPRsForWavesPerEU: 6
; NumVGPRsForWavesPerEU: 1
; AccumOffset: 4
; Occupancy: 8
; WaveLimiterHint : 0
; COMPUTE_PGM_RSRC2:SCRATCH_EN: 0
; COMPUTE_PGM_RSRC2:USER_SGPR: 2
; COMPUTE_PGM_RSRC2:TRAP_HANDLER: 0
; COMPUTE_PGM_RSRC2:TGID_X_EN: 1
; COMPUTE_PGM_RSRC2:TGID_Y_EN: 0
; COMPUTE_PGM_RSRC2:TGID_Z_EN: 0
; COMPUTE_PGM_RSRC2:TIDIG_COMP_CNT: 0
; COMPUTE_PGM_RSRC3_GFX90A:ACCUM_OFFSET: 0
; COMPUTE_PGM_RSRC3_GFX90A:TG_SPLIT: 0
	.section	.text._ZN7rocprim17ROCPRIM_400000_NS6detail17trampoline_kernelINS0_14default_configENS1_35adjacent_difference_config_selectorILb0ElEEZNS1_24adjacent_difference_implIS3_Lb0ELb0EPlS7_ZN2at6native12_GLOBAL__N_124unique_dim_cuda_templateIhEESt5tupleIJNS8_6TensorESD_SD_EERKSD_lbbbEUlllE1_EE10hipError_tPvRmT2_T3_mT4_P12ihipStream_tbEUlT_E_NS1_11comp_targetILNS1_3genE2ELNS1_11target_archE906ELNS1_3gpuE6ELNS1_3repE0EEENS1_30default_config_static_selectorELNS0_4arch9wavefront6targetE1EEEvT1_,"axG",@progbits,_ZN7rocprim17ROCPRIM_400000_NS6detail17trampoline_kernelINS0_14default_configENS1_35adjacent_difference_config_selectorILb0ElEEZNS1_24adjacent_difference_implIS3_Lb0ELb0EPlS7_ZN2at6native12_GLOBAL__N_124unique_dim_cuda_templateIhEESt5tupleIJNS8_6TensorESD_SD_EERKSD_lbbbEUlllE1_EE10hipError_tPvRmT2_T3_mT4_P12ihipStream_tbEUlT_E_NS1_11comp_targetILNS1_3genE2ELNS1_11target_archE906ELNS1_3gpuE6ELNS1_3repE0EEENS1_30default_config_static_selectorELNS0_4arch9wavefront6targetE1EEEvT1_,comdat
	.globl	_ZN7rocprim17ROCPRIM_400000_NS6detail17trampoline_kernelINS0_14default_configENS1_35adjacent_difference_config_selectorILb0ElEEZNS1_24adjacent_difference_implIS3_Lb0ELb0EPlS7_ZN2at6native12_GLOBAL__N_124unique_dim_cuda_templateIhEESt5tupleIJNS8_6TensorESD_SD_EERKSD_lbbbEUlllE1_EE10hipError_tPvRmT2_T3_mT4_P12ihipStream_tbEUlT_E_NS1_11comp_targetILNS1_3genE2ELNS1_11target_archE906ELNS1_3gpuE6ELNS1_3repE0EEENS1_30default_config_static_selectorELNS0_4arch9wavefront6targetE1EEEvT1_ ; -- Begin function _ZN7rocprim17ROCPRIM_400000_NS6detail17trampoline_kernelINS0_14default_configENS1_35adjacent_difference_config_selectorILb0ElEEZNS1_24adjacent_difference_implIS3_Lb0ELb0EPlS7_ZN2at6native12_GLOBAL__N_124unique_dim_cuda_templateIhEESt5tupleIJNS8_6TensorESD_SD_EERKSD_lbbbEUlllE1_EE10hipError_tPvRmT2_T3_mT4_P12ihipStream_tbEUlT_E_NS1_11comp_targetILNS1_3genE2ELNS1_11target_archE906ELNS1_3gpuE6ELNS1_3repE0EEENS1_30default_config_static_selectorELNS0_4arch9wavefront6targetE1EEEvT1_
	.p2align	8
	.type	_ZN7rocprim17ROCPRIM_400000_NS6detail17trampoline_kernelINS0_14default_configENS1_35adjacent_difference_config_selectorILb0ElEEZNS1_24adjacent_difference_implIS3_Lb0ELb0EPlS7_ZN2at6native12_GLOBAL__N_124unique_dim_cuda_templateIhEESt5tupleIJNS8_6TensorESD_SD_EERKSD_lbbbEUlllE1_EE10hipError_tPvRmT2_T3_mT4_P12ihipStream_tbEUlT_E_NS1_11comp_targetILNS1_3genE2ELNS1_11target_archE906ELNS1_3gpuE6ELNS1_3repE0EEENS1_30default_config_static_selectorELNS0_4arch9wavefront6targetE1EEEvT1_,@function
_ZN7rocprim17ROCPRIM_400000_NS6detail17trampoline_kernelINS0_14default_configENS1_35adjacent_difference_config_selectorILb0ElEEZNS1_24adjacent_difference_implIS3_Lb0ELb0EPlS7_ZN2at6native12_GLOBAL__N_124unique_dim_cuda_templateIhEESt5tupleIJNS8_6TensorESD_SD_EERKSD_lbbbEUlllE1_EE10hipError_tPvRmT2_T3_mT4_P12ihipStream_tbEUlT_E_NS1_11comp_targetILNS1_3genE2ELNS1_11target_archE906ELNS1_3gpuE6ELNS1_3repE0EEENS1_30default_config_static_selectorELNS0_4arch9wavefront6targetE1EEEvT1_: ; @_ZN7rocprim17ROCPRIM_400000_NS6detail17trampoline_kernelINS0_14default_configENS1_35adjacent_difference_config_selectorILb0ElEEZNS1_24adjacent_difference_implIS3_Lb0ELb0EPlS7_ZN2at6native12_GLOBAL__N_124unique_dim_cuda_templateIhEESt5tupleIJNS8_6TensorESD_SD_EERKSD_lbbbEUlllE1_EE10hipError_tPvRmT2_T3_mT4_P12ihipStream_tbEUlT_E_NS1_11comp_targetILNS1_3genE2ELNS1_11target_archE906ELNS1_3gpuE6ELNS1_3repE0EEENS1_30default_config_static_selectorELNS0_4arch9wavefront6targetE1EEEvT1_
; %bb.0:
	.section	.rodata,"a",@progbits
	.p2align	6, 0x0
	.amdhsa_kernel _ZN7rocprim17ROCPRIM_400000_NS6detail17trampoline_kernelINS0_14default_configENS1_35adjacent_difference_config_selectorILb0ElEEZNS1_24adjacent_difference_implIS3_Lb0ELb0EPlS7_ZN2at6native12_GLOBAL__N_124unique_dim_cuda_templateIhEESt5tupleIJNS8_6TensorESD_SD_EERKSD_lbbbEUlllE1_EE10hipError_tPvRmT2_T3_mT4_P12ihipStream_tbEUlT_E_NS1_11comp_targetILNS1_3genE2ELNS1_11target_archE906ELNS1_3gpuE6ELNS1_3repE0EEENS1_30default_config_static_selectorELNS0_4arch9wavefront6targetE1EEEvT1_
		.amdhsa_group_segment_fixed_size 0
		.amdhsa_private_segment_fixed_size 0
		.amdhsa_kernarg_size 64
		.amdhsa_user_sgpr_count 2
		.amdhsa_user_sgpr_dispatch_ptr 0
		.amdhsa_user_sgpr_queue_ptr 0
		.amdhsa_user_sgpr_kernarg_segment_ptr 1
		.amdhsa_user_sgpr_dispatch_id 0
		.amdhsa_user_sgpr_kernarg_preload_length 0
		.amdhsa_user_sgpr_kernarg_preload_offset 0
		.amdhsa_user_sgpr_private_segment_size 0
		.amdhsa_uses_dynamic_stack 0
		.amdhsa_enable_private_segment 0
		.amdhsa_system_sgpr_workgroup_id_x 1
		.amdhsa_system_sgpr_workgroup_id_y 0
		.amdhsa_system_sgpr_workgroup_id_z 0
		.amdhsa_system_sgpr_workgroup_info 0
		.amdhsa_system_vgpr_workitem_id 0
		.amdhsa_next_free_vgpr 1
		.amdhsa_next_free_sgpr 0
		.amdhsa_accum_offset 4
		.amdhsa_reserve_vcc 0
		.amdhsa_float_round_mode_32 0
		.amdhsa_float_round_mode_16_64 0
		.amdhsa_float_denorm_mode_32 3
		.amdhsa_float_denorm_mode_16_64 3
		.amdhsa_dx10_clamp 1
		.amdhsa_ieee_mode 1
		.amdhsa_fp16_overflow 0
		.amdhsa_tg_split 0
		.amdhsa_exception_fp_ieee_invalid_op 0
		.amdhsa_exception_fp_denorm_src 0
		.amdhsa_exception_fp_ieee_div_zero 0
		.amdhsa_exception_fp_ieee_overflow 0
		.amdhsa_exception_fp_ieee_underflow 0
		.amdhsa_exception_fp_ieee_inexact 0
		.amdhsa_exception_int_div_zero 0
	.end_amdhsa_kernel
	.section	.text._ZN7rocprim17ROCPRIM_400000_NS6detail17trampoline_kernelINS0_14default_configENS1_35adjacent_difference_config_selectorILb0ElEEZNS1_24adjacent_difference_implIS3_Lb0ELb0EPlS7_ZN2at6native12_GLOBAL__N_124unique_dim_cuda_templateIhEESt5tupleIJNS8_6TensorESD_SD_EERKSD_lbbbEUlllE1_EE10hipError_tPvRmT2_T3_mT4_P12ihipStream_tbEUlT_E_NS1_11comp_targetILNS1_3genE2ELNS1_11target_archE906ELNS1_3gpuE6ELNS1_3repE0EEENS1_30default_config_static_selectorELNS0_4arch9wavefront6targetE1EEEvT1_,"axG",@progbits,_ZN7rocprim17ROCPRIM_400000_NS6detail17trampoline_kernelINS0_14default_configENS1_35adjacent_difference_config_selectorILb0ElEEZNS1_24adjacent_difference_implIS3_Lb0ELb0EPlS7_ZN2at6native12_GLOBAL__N_124unique_dim_cuda_templateIhEESt5tupleIJNS8_6TensorESD_SD_EERKSD_lbbbEUlllE1_EE10hipError_tPvRmT2_T3_mT4_P12ihipStream_tbEUlT_E_NS1_11comp_targetILNS1_3genE2ELNS1_11target_archE906ELNS1_3gpuE6ELNS1_3repE0EEENS1_30default_config_static_selectorELNS0_4arch9wavefront6targetE1EEEvT1_,comdat
.Lfunc_end63:
	.size	_ZN7rocprim17ROCPRIM_400000_NS6detail17trampoline_kernelINS0_14default_configENS1_35adjacent_difference_config_selectorILb0ElEEZNS1_24adjacent_difference_implIS3_Lb0ELb0EPlS7_ZN2at6native12_GLOBAL__N_124unique_dim_cuda_templateIhEESt5tupleIJNS8_6TensorESD_SD_EERKSD_lbbbEUlllE1_EE10hipError_tPvRmT2_T3_mT4_P12ihipStream_tbEUlT_E_NS1_11comp_targetILNS1_3genE2ELNS1_11target_archE906ELNS1_3gpuE6ELNS1_3repE0EEENS1_30default_config_static_selectorELNS0_4arch9wavefront6targetE1EEEvT1_, .Lfunc_end63-_ZN7rocprim17ROCPRIM_400000_NS6detail17trampoline_kernelINS0_14default_configENS1_35adjacent_difference_config_selectorILb0ElEEZNS1_24adjacent_difference_implIS3_Lb0ELb0EPlS7_ZN2at6native12_GLOBAL__N_124unique_dim_cuda_templateIhEESt5tupleIJNS8_6TensorESD_SD_EERKSD_lbbbEUlllE1_EE10hipError_tPvRmT2_T3_mT4_P12ihipStream_tbEUlT_E_NS1_11comp_targetILNS1_3genE2ELNS1_11target_archE906ELNS1_3gpuE6ELNS1_3repE0EEENS1_30default_config_static_selectorELNS0_4arch9wavefront6targetE1EEEvT1_
                                        ; -- End function
	.set _ZN7rocprim17ROCPRIM_400000_NS6detail17trampoline_kernelINS0_14default_configENS1_35adjacent_difference_config_selectorILb0ElEEZNS1_24adjacent_difference_implIS3_Lb0ELb0EPlS7_ZN2at6native12_GLOBAL__N_124unique_dim_cuda_templateIhEESt5tupleIJNS8_6TensorESD_SD_EERKSD_lbbbEUlllE1_EE10hipError_tPvRmT2_T3_mT4_P12ihipStream_tbEUlT_E_NS1_11comp_targetILNS1_3genE2ELNS1_11target_archE906ELNS1_3gpuE6ELNS1_3repE0EEENS1_30default_config_static_selectorELNS0_4arch9wavefront6targetE1EEEvT1_.num_vgpr, 0
	.set _ZN7rocprim17ROCPRIM_400000_NS6detail17trampoline_kernelINS0_14default_configENS1_35adjacent_difference_config_selectorILb0ElEEZNS1_24adjacent_difference_implIS3_Lb0ELb0EPlS7_ZN2at6native12_GLOBAL__N_124unique_dim_cuda_templateIhEESt5tupleIJNS8_6TensorESD_SD_EERKSD_lbbbEUlllE1_EE10hipError_tPvRmT2_T3_mT4_P12ihipStream_tbEUlT_E_NS1_11comp_targetILNS1_3genE2ELNS1_11target_archE906ELNS1_3gpuE6ELNS1_3repE0EEENS1_30default_config_static_selectorELNS0_4arch9wavefront6targetE1EEEvT1_.num_agpr, 0
	.set _ZN7rocprim17ROCPRIM_400000_NS6detail17trampoline_kernelINS0_14default_configENS1_35adjacent_difference_config_selectorILb0ElEEZNS1_24adjacent_difference_implIS3_Lb0ELb0EPlS7_ZN2at6native12_GLOBAL__N_124unique_dim_cuda_templateIhEESt5tupleIJNS8_6TensorESD_SD_EERKSD_lbbbEUlllE1_EE10hipError_tPvRmT2_T3_mT4_P12ihipStream_tbEUlT_E_NS1_11comp_targetILNS1_3genE2ELNS1_11target_archE906ELNS1_3gpuE6ELNS1_3repE0EEENS1_30default_config_static_selectorELNS0_4arch9wavefront6targetE1EEEvT1_.numbered_sgpr, 0
	.set _ZN7rocprim17ROCPRIM_400000_NS6detail17trampoline_kernelINS0_14default_configENS1_35adjacent_difference_config_selectorILb0ElEEZNS1_24adjacent_difference_implIS3_Lb0ELb0EPlS7_ZN2at6native12_GLOBAL__N_124unique_dim_cuda_templateIhEESt5tupleIJNS8_6TensorESD_SD_EERKSD_lbbbEUlllE1_EE10hipError_tPvRmT2_T3_mT4_P12ihipStream_tbEUlT_E_NS1_11comp_targetILNS1_3genE2ELNS1_11target_archE906ELNS1_3gpuE6ELNS1_3repE0EEENS1_30default_config_static_selectorELNS0_4arch9wavefront6targetE1EEEvT1_.num_named_barrier, 0
	.set _ZN7rocprim17ROCPRIM_400000_NS6detail17trampoline_kernelINS0_14default_configENS1_35adjacent_difference_config_selectorILb0ElEEZNS1_24adjacent_difference_implIS3_Lb0ELb0EPlS7_ZN2at6native12_GLOBAL__N_124unique_dim_cuda_templateIhEESt5tupleIJNS8_6TensorESD_SD_EERKSD_lbbbEUlllE1_EE10hipError_tPvRmT2_T3_mT4_P12ihipStream_tbEUlT_E_NS1_11comp_targetILNS1_3genE2ELNS1_11target_archE906ELNS1_3gpuE6ELNS1_3repE0EEENS1_30default_config_static_selectorELNS0_4arch9wavefront6targetE1EEEvT1_.private_seg_size, 0
	.set _ZN7rocprim17ROCPRIM_400000_NS6detail17trampoline_kernelINS0_14default_configENS1_35adjacent_difference_config_selectorILb0ElEEZNS1_24adjacent_difference_implIS3_Lb0ELb0EPlS7_ZN2at6native12_GLOBAL__N_124unique_dim_cuda_templateIhEESt5tupleIJNS8_6TensorESD_SD_EERKSD_lbbbEUlllE1_EE10hipError_tPvRmT2_T3_mT4_P12ihipStream_tbEUlT_E_NS1_11comp_targetILNS1_3genE2ELNS1_11target_archE906ELNS1_3gpuE6ELNS1_3repE0EEENS1_30default_config_static_selectorELNS0_4arch9wavefront6targetE1EEEvT1_.uses_vcc, 0
	.set _ZN7rocprim17ROCPRIM_400000_NS6detail17trampoline_kernelINS0_14default_configENS1_35adjacent_difference_config_selectorILb0ElEEZNS1_24adjacent_difference_implIS3_Lb0ELb0EPlS7_ZN2at6native12_GLOBAL__N_124unique_dim_cuda_templateIhEESt5tupleIJNS8_6TensorESD_SD_EERKSD_lbbbEUlllE1_EE10hipError_tPvRmT2_T3_mT4_P12ihipStream_tbEUlT_E_NS1_11comp_targetILNS1_3genE2ELNS1_11target_archE906ELNS1_3gpuE6ELNS1_3repE0EEENS1_30default_config_static_selectorELNS0_4arch9wavefront6targetE1EEEvT1_.uses_flat_scratch, 0
	.set _ZN7rocprim17ROCPRIM_400000_NS6detail17trampoline_kernelINS0_14default_configENS1_35adjacent_difference_config_selectorILb0ElEEZNS1_24adjacent_difference_implIS3_Lb0ELb0EPlS7_ZN2at6native12_GLOBAL__N_124unique_dim_cuda_templateIhEESt5tupleIJNS8_6TensorESD_SD_EERKSD_lbbbEUlllE1_EE10hipError_tPvRmT2_T3_mT4_P12ihipStream_tbEUlT_E_NS1_11comp_targetILNS1_3genE2ELNS1_11target_archE906ELNS1_3gpuE6ELNS1_3repE0EEENS1_30default_config_static_selectorELNS0_4arch9wavefront6targetE1EEEvT1_.has_dyn_sized_stack, 0
	.set _ZN7rocprim17ROCPRIM_400000_NS6detail17trampoline_kernelINS0_14default_configENS1_35adjacent_difference_config_selectorILb0ElEEZNS1_24adjacent_difference_implIS3_Lb0ELb0EPlS7_ZN2at6native12_GLOBAL__N_124unique_dim_cuda_templateIhEESt5tupleIJNS8_6TensorESD_SD_EERKSD_lbbbEUlllE1_EE10hipError_tPvRmT2_T3_mT4_P12ihipStream_tbEUlT_E_NS1_11comp_targetILNS1_3genE2ELNS1_11target_archE906ELNS1_3gpuE6ELNS1_3repE0EEENS1_30default_config_static_selectorELNS0_4arch9wavefront6targetE1EEEvT1_.has_recursion, 0
	.set _ZN7rocprim17ROCPRIM_400000_NS6detail17trampoline_kernelINS0_14default_configENS1_35adjacent_difference_config_selectorILb0ElEEZNS1_24adjacent_difference_implIS3_Lb0ELb0EPlS7_ZN2at6native12_GLOBAL__N_124unique_dim_cuda_templateIhEESt5tupleIJNS8_6TensorESD_SD_EERKSD_lbbbEUlllE1_EE10hipError_tPvRmT2_T3_mT4_P12ihipStream_tbEUlT_E_NS1_11comp_targetILNS1_3genE2ELNS1_11target_archE906ELNS1_3gpuE6ELNS1_3repE0EEENS1_30default_config_static_selectorELNS0_4arch9wavefront6targetE1EEEvT1_.has_indirect_call, 0
	.section	.AMDGPU.csdata,"",@progbits
; Kernel info:
; codeLenInByte = 0
; TotalNumSgprs: 6
; NumVgprs: 0
; NumAgprs: 0
; TotalNumVgprs: 0
; ScratchSize: 0
; MemoryBound: 0
; FloatMode: 240
; IeeeMode: 1
; LDSByteSize: 0 bytes/workgroup (compile time only)
; SGPRBlocks: 0
; VGPRBlocks: 0
; NumSGPRsForWavesPerEU: 6
; NumVGPRsForWavesPerEU: 1
; AccumOffset: 4
; Occupancy: 8
; WaveLimiterHint : 0
; COMPUTE_PGM_RSRC2:SCRATCH_EN: 0
; COMPUTE_PGM_RSRC2:USER_SGPR: 2
; COMPUTE_PGM_RSRC2:TRAP_HANDLER: 0
; COMPUTE_PGM_RSRC2:TGID_X_EN: 1
; COMPUTE_PGM_RSRC2:TGID_Y_EN: 0
; COMPUTE_PGM_RSRC2:TGID_Z_EN: 0
; COMPUTE_PGM_RSRC2:TIDIG_COMP_CNT: 0
; COMPUTE_PGM_RSRC3_GFX90A:ACCUM_OFFSET: 0
; COMPUTE_PGM_RSRC3_GFX90A:TG_SPLIT: 0
	.section	.text._ZN7rocprim17ROCPRIM_400000_NS6detail17trampoline_kernelINS0_14default_configENS1_35adjacent_difference_config_selectorILb0ElEEZNS1_24adjacent_difference_implIS3_Lb0ELb0EPlS7_ZN2at6native12_GLOBAL__N_124unique_dim_cuda_templateIhEESt5tupleIJNS8_6TensorESD_SD_EERKSD_lbbbEUlllE1_EE10hipError_tPvRmT2_T3_mT4_P12ihipStream_tbEUlT_E_NS1_11comp_targetILNS1_3genE9ELNS1_11target_archE1100ELNS1_3gpuE3ELNS1_3repE0EEENS1_30default_config_static_selectorELNS0_4arch9wavefront6targetE1EEEvT1_,"axG",@progbits,_ZN7rocprim17ROCPRIM_400000_NS6detail17trampoline_kernelINS0_14default_configENS1_35adjacent_difference_config_selectorILb0ElEEZNS1_24adjacent_difference_implIS3_Lb0ELb0EPlS7_ZN2at6native12_GLOBAL__N_124unique_dim_cuda_templateIhEESt5tupleIJNS8_6TensorESD_SD_EERKSD_lbbbEUlllE1_EE10hipError_tPvRmT2_T3_mT4_P12ihipStream_tbEUlT_E_NS1_11comp_targetILNS1_3genE9ELNS1_11target_archE1100ELNS1_3gpuE3ELNS1_3repE0EEENS1_30default_config_static_selectorELNS0_4arch9wavefront6targetE1EEEvT1_,comdat
	.globl	_ZN7rocprim17ROCPRIM_400000_NS6detail17trampoline_kernelINS0_14default_configENS1_35adjacent_difference_config_selectorILb0ElEEZNS1_24adjacent_difference_implIS3_Lb0ELb0EPlS7_ZN2at6native12_GLOBAL__N_124unique_dim_cuda_templateIhEESt5tupleIJNS8_6TensorESD_SD_EERKSD_lbbbEUlllE1_EE10hipError_tPvRmT2_T3_mT4_P12ihipStream_tbEUlT_E_NS1_11comp_targetILNS1_3genE9ELNS1_11target_archE1100ELNS1_3gpuE3ELNS1_3repE0EEENS1_30default_config_static_selectorELNS0_4arch9wavefront6targetE1EEEvT1_ ; -- Begin function _ZN7rocprim17ROCPRIM_400000_NS6detail17trampoline_kernelINS0_14default_configENS1_35adjacent_difference_config_selectorILb0ElEEZNS1_24adjacent_difference_implIS3_Lb0ELb0EPlS7_ZN2at6native12_GLOBAL__N_124unique_dim_cuda_templateIhEESt5tupleIJNS8_6TensorESD_SD_EERKSD_lbbbEUlllE1_EE10hipError_tPvRmT2_T3_mT4_P12ihipStream_tbEUlT_E_NS1_11comp_targetILNS1_3genE9ELNS1_11target_archE1100ELNS1_3gpuE3ELNS1_3repE0EEENS1_30default_config_static_selectorELNS0_4arch9wavefront6targetE1EEEvT1_
	.p2align	8
	.type	_ZN7rocprim17ROCPRIM_400000_NS6detail17trampoline_kernelINS0_14default_configENS1_35adjacent_difference_config_selectorILb0ElEEZNS1_24adjacent_difference_implIS3_Lb0ELb0EPlS7_ZN2at6native12_GLOBAL__N_124unique_dim_cuda_templateIhEESt5tupleIJNS8_6TensorESD_SD_EERKSD_lbbbEUlllE1_EE10hipError_tPvRmT2_T3_mT4_P12ihipStream_tbEUlT_E_NS1_11comp_targetILNS1_3genE9ELNS1_11target_archE1100ELNS1_3gpuE3ELNS1_3repE0EEENS1_30default_config_static_selectorELNS0_4arch9wavefront6targetE1EEEvT1_,@function
_ZN7rocprim17ROCPRIM_400000_NS6detail17trampoline_kernelINS0_14default_configENS1_35adjacent_difference_config_selectorILb0ElEEZNS1_24adjacent_difference_implIS3_Lb0ELb0EPlS7_ZN2at6native12_GLOBAL__N_124unique_dim_cuda_templateIhEESt5tupleIJNS8_6TensorESD_SD_EERKSD_lbbbEUlllE1_EE10hipError_tPvRmT2_T3_mT4_P12ihipStream_tbEUlT_E_NS1_11comp_targetILNS1_3genE9ELNS1_11target_archE1100ELNS1_3gpuE3ELNS1_3repE0EEENS1_30default_config_static_selectorELNS0_4arch9wavefront6targetE1EEEvT1_: ; @_ZN7rocprim17ROCPRIM_400000_NS6detail17trampoline_kernelINS0_14default_configENS1_35adjacent_difference_config_selectorILb0ElEEZNS1_24adjacent_difference_implIS3_Lb0ELb0EPlS7_ZN2at6native12_GLOBAL__N_124unique_dim_cuda_templateIhEESt5tupleIJNS8_6TensorESD_SD_EERKSD_lbbbEUlllE1_EE10hipError_tPvRmT2_T3_mT4_P12ihipStream_tbEUlT_E_NS1_11comp_targetILNS1_3genE9ELNS1_11target_archE1100ELNS1_3gpuE3ELNS1_3repE0EEENS1_30default_config_static_selectorELNS0_4arch9wavefront6targetE1EEEvT1_
; %bb.0:
	.section	.rodata,"a",@progbits
	.p2align	6, 0x0
	.amdhsa_kernel _ZN7rocprim17ROCPRIM_400000_NS6detail17trampoline_kernelINS0_14default_configENS1_35adjacent_difference_config_selectorILb0ElEEZNS1_24adjacent_difference_implIS3_Lb0ELb0EPlS7_ZN2at6native12_GLOBAL__N_124unique_dim_cuda_templateIhEESt5tupleIJNS8_6TensorESD_SD_EERKSD_lbbbEUlllE1_EE10hipError_tPvRmT2_T3_mT4_P12ihipStream_tbEUlT_E_NS1_11comp_targetILNS1_3genE9ELNS1_11target_archE1100ELNS1_3gpuE3ELNS1_3repE0EEENS1_30default_config_static_selectorELNS0_4arch9wavefront6targetE1EEEvT1_
		.amdhsa_group_segment_fixed_size 0
		.amdhsa_private_segment_fixed_size 0
		.amdhsa_kernarg_size 64
		.amdhsa_user_sgpr_count 2
		.amdhsa_user_sgpr_dispatch_ptr 0
		.amdhsa_user_sgpr_queue_ptr 0
		.amdhsa_user_sgpr_kernarg_segment_ptr 1
		.amdhsa_user_sgpr_dispatch_id 0
		.amdhsa_user_sgpr_kernarg_preload_length 0
		.amdhsa_user_sgpr_kernarg_preload_offset 0
		.amdhsa_user_sgpr_private_segment_size 0
		.amdhsa_uses_dynamic_stack 0
		.amdhsa_enable_private_segment 0
		.amdhsa_system_sgpr_workgroup_id_x 1
		.amdhsa_system_sgpr_workgroup_id_y 0
		.amdhsa_system_sgpr_workgroup_id_z 0
		.amdhsa_system_sgpr_workgroup_info 0
		.amdhsa_system_vgpr_workitem_id 0
		.amdhsa_next_free_vgpr 1
		.amdhsa_next_free_sgpr 0
		.amdhsa_accum_offset 4
		.amdhsa_reserve_vcc 0
		.amdhsa_float_round_mode_32 0
		.amdhsa_float_round_mode_16_64 0
		.amdhsa_float_denorm_mode_32 3
		.amdhsa_float_denorm_mode_16_64 3
		.amdhsa_dx10_clamp 1
		.amdhsa_ieee_mode 1
		.amdhsa_fp16_overflow 0
		.amdhsa_tg_split 0
		.amdhsa_exception_fp_ieee_invalid_op 0
		.amdhsa_exception_fp_denorm_src 0
		.amdhsa_exception_fp_ieee_div_zero 0
		.amdhsa_exception_fp_ieee_overflow 0
		.amdhsa_exception_fp_ieee_underflow 0
		.amdhsa_exception_fp_ieee_inexact 0
		.amdhsa_exception_int_div_zero 0
	.end_amdhsa_kernel
	.section	.text._ZN7rocprim17ROCPRIM_400000_NS6detail17trampoline_kernelINS0_14default_configENS1_35adjacent_difference_config_selectorILb0ElEEZNS1_24adjacent_difference_implIS3_Lb0ELb0EPlS7_ZN2at6native12_GLOBAL__N_124unique_dim_cuda_templateIhEESt5tupleIJNS8_6TensorESD_SD_EERKSD_lbbbEUlllE1_EE10hipError_tPvRmT2_T3_mT4_P12ihipStream_tbEUlT_E_NS1_11comp_targetILNS1_3genE9ELNS1_11target_archE1100ELNS1_3gpuE3ELNS1_3repE0EEENS1_30default_config_static_selectorELNS0_4arch9wavefront6targetE1EEEvT1_,"axG",@progbits,_ZN7rocprim17ROCPRIM_400000_NS6detail17trampoline_kernelINS0_14default_configENS1_35adjacent_difference_config_selectorILb0ElEEZNS1_24adjacent_difference_implIS3_Lb0ELb0EPlS7_ZN2at6native12_GLOBAL__N_124unique_dim_cuda_templateIhEESt5tupleIJNS8_6TensorESD_SD_EERKSD_lbbbEUlllE1_EE10hipError_tPvRmT2_T3_mT4_P12ihipStream_tbEUlT_E_NS1_11comp_targetILNS1_3genE9ELNS1_11target_archE1100ELNS1_3gpuE3ELNS1_3repE0EEENS1_30default_config_static_selectorELNS0_4arch9wavefront6targetE1EEEvT1_,comdat
.Lfunc_end64:
	.size	_ZN7rocprim17ROCPRIM_400000_NS6detail17trampoline_kernelINS0_14default_configENS1_35adjacent_difference_config_selectorILb0ElEEZNS1_24adjacent_difference_implIS3_Lb0ELb0EPlS7_ZN2at6native12_GLOBAL__N_124unique_dim_cuda_templateIhEESt5tupleIJNS8_6TensorESD_SD_EERKSD_lbbbEUlllE1_EE10hipError_tPvRmT2_T3_mT4_P12ihipStream_tbEUlT_E_NS1_11comp_targetILNS1_3genE9ELNS1_11target_archE1100ELNS1_3gpuE3ELNS1_3repE0EEENS1_30default_config_static_selectorELNS0_4arch9wavefront6targetE1EEEvT1_, .Lfunc_end64-_ZN7rocprim17ROCPRIM_400000_NS6detail17trampoline_kernelINS0_14default_configENS1_35adjacent_difference_config_selectorILb0ElEEZNS1_24adjacent_difference_implIS3_Lb0ELb0EPlS7_ZN2at6native12_GLOBAL__N_124unique_dim_cuda_templateIhEESt5tupleIJNS8_6TensorESD_SD_EERKSD_lbbbEUlllE1_EE10hipError_tPvRmT2_T3_mT4_P12ihipStream_tbEUlT_E_NS1_11comp_targetILNS1_3genE9ELNS1_11target_archE1100ELNS1_3gpuE3ELNS1_3repE0EEENS1_30default_config_static_selectorELNS0_4arch9wavefront6targetE1EEEvT1_
                                        ; -- End function
	.set _ZN7rocprim17ROCPRIM_400000_NS6detail17trampoline_kernelINS0_14default_configENS1_35adjacent_difference_config_selectorILb0ElEEZNS1_24adjacent_difference_implIS3_Lb0ELb0EPlS7_ZN2at6native12_GLOBAL__N_124unique_dim_cuda_templateIhEESt5tupleIJNS8_6TensorESD_SD_EERKSD_lbbbEUlllE1_EE10hipError_tPvRmT2_T3_mT4_P12ihipStream_tbEUlT_E_NS1_11comp_targetILNS1_3genE9ELNS1_11target_archE1100ELNS1_3gpuE3ELNS1_3repE0EEENS1_30default_config_static_selectorELNS0_4arch9wavefront6targetE1EEEvT1_.num_vgpr, 0
	.set _ZN7rocprim17ROCPRIM_400000_NS6detail17trampoline_kernelINS0_14default_configENS1_35adjacent_difference_config_selectorILb0ElEEZNS1_24adjacent_difference_implIS3_Lb0ELb0EPlS7_ZN2at6native12_GLOBAL__N_124unique_dim_cuda_templateIhEESt5tupleIJNS8_6TensorESD_SD_EERKSD_lbbbEUlllE1_EE10hipError_tPvRmT2_T3_mT4_P12ihipStream_tbEUlT_E_NS1_11comp_targetILNS1_3genE9ELNS1_11target_archE1100ELNS1_3gpuE3ELNS1_3repE0EEENS1_30default_config_static_selectorELNS0_4arch9wavefront6targetE1EEEvT1_.num_agpr, 0
	.set _ZN7rocprim17ROCPRIM_400000_NS6detail17trampoline_kernelINS0_14default_configENS1_35adjacent_difference_config_selectorILb0ElEEZNS1_24adjacent_difference_implIS3_Lb0ELb0EPlS7_ZN2at6native12_GLOBAL__N_124unique_dim_cuda_templateIhEESt5tupleIJNS8_6TensorESD_SD_EERKSD_lbbbEUlllE1_EE10hipError_tPvRmT2_T3_mT4_P12ihipStream_tbEUlT_E_NS1_11comp_targetILNS1_3genE9ELNS1_11target_archE1100ELNS1_3gpuE3ELNS1_3repE0EEENS1_30default_config_static_selectorELNS0_4arch9wavefront6targetE1EEEvT1_.numbered_sgpr, 0
	.set _ZN7rocprim17ROCPRIM_400000_NS6detail17trampoline_kernelINS0_14default_configENS1_35adjacent_difference_config_selectorILb0ElEEZNS1_24adjacent_difference_implIS3_Lb0ELb0EPlS7_ZN2at6native12_GLOBAL__N_124unique_dim_cuda_templateIhEESt5tupleIJNS8_6TensorESD_SD_EERKSD_lbbbEUlllE1_EE10hipError_tPvRmT2_T3_mT4_P12ihipStream_tbEUlT_E_NS1_11comp_targetILNS1_3genE9ELNS1_11target_archE1100ELNS1_3gpuE3ELNS1_3repE0EEENS1_30default_config_static_selectorELNS0_4arch9wavefront6targetE1EEEvT1_.num_named_barrier, 0
	.set _ZN7rocprim17ROCPRIM_400000_NS6detail17trampoline_kernelINS0_14default_configENS1_35adjacent_difference_config_selectorILb0ElEEZNS1_24adjacent_difference_implIS3_Lb0ELb0EPlS7_ZN2at6native12_GLOBAL__N_124unique_dim_cuda_templateIhEESt5tupleIJNS8_6TensorESD_SD_EERKSD_lbbbEUlllE1_EE10hipError_tPvRmT2_T3_mT4_P12ihipStream_tbEUlT_E_NS1_11comp_targetILNS1_3genE9ELNS1_11target_archE1100ELNS1_3gpuE3ELNS1_3repE0EEENS1_30default_config_static_selectorELNS0_4arch9wavefront6targetE1EEEvT1_.private_seg_size, 0
	.set _ZN7rocprim17ROCPRIM_400000_NS6detail17trampoline_kernelINS0_14default_configENS1_35adjacent_difference_config_selectorILb0ElEEZNS1_24adjacent_difference_implIS3_Lb0ELb0EPlS7_ZN2at6native12_GLOBAL__N_124unique_dim_cuda_templateIhEESt5tupleIJNS8_6TensorESD_SD_EERKSD_lbbbEUlllE1_EE10hipError_tPvRmT2_T3_mT4_P12ihipStream_tbEUlT_E_NS1_11comp_targetILNS1_3genE9ELNS1_11target_archE1100ELNS1_3gpuE3ELNS1_3repE0EEENS1_30default_config_static_selectorELNS0_4arch9wavefront6targetE1EEEvT1_.uses_vcc, 0
	.set _ZN7rocprim17ROCPRIM_400000_NS6detail17trampoline_kernelINS0_14default_configENS1_35adjacent_difference_config_selectorILb0ElEEZNS1_24adjacent_difference_implIS3_Lb0ELb0EPlS7_ZN2at6native12_GLOBAL__N_124unique_dim_cuda_templateIhEESt5tupleIJNS8_6TensorESD_SD_EERKSD_lbbbEUlllE1_EE10hipError_tPvRmT2_T3_mT4_P12ihipStream_tbEUlT_E_NS1_11comp_targetILNS1_3genE9ELNS1_11target_archE1100ELNS1_3gpuE3ELNS1_3repE0EEENS1_30default_config_static_selectorELNS0_4arch9wavefront6targetE1EEEvT1_.uses_flat_scratch, 0
	.set _ZN7rocprim17ROCPRIM_400000_NS6detail17trampoline_kernelINS0_14default_configENS1_35adjacent_difference_config_selectorILb0ElEEZNS1_24adjacent_difference_implIS3_Lb0ELb0EPlS7_ZN2at6native12_GLOBAL__N_124unique_dim_cuda_templateIhEESt5tupleIJNS8_6TensorESD_SD_EERKSD_lbbbEUlllE1_EE10hipError_tPvRmT2_T3_mT4_P12ihipStream_tbEUlT_E_NS1_11comp_targetILNS1_3genE9ELNS1_11target_archE1100ELNS1_3gpuE3ELNS1_3repE0EEENS1_30default_config_static_selectorELNS0_4arch9wavefront6targetE1EEEvT1_.has_dyn_sized_stack, 0
	.set _ZN7rocprim17ROCPRIM_400000_NS6detail17trampoline_kernelINS0_14default_configENS1_35adjacent_difference_config_selectorILb0ElEEZNS1_24adjacent_difference_implIS3_Lb0ELb0EPlS7_ZN2at6native12_GLOBAL__N_124unique_dim_cuda_templateIhEESt5tupleIJNS8_6TensorESD_SD_EERKSD_lbbbEUlllE1_EE10hipError_tPvRmT2_T3_mT4_P12ihipStream_tbEUlT_E_NS1_11comp_targetILNS1_3genE9ELNS1_11target_archE1100ELNS1_3gpuE3ELNS1_3repE0EEENS1_30default_config_static_selectorELNS0_4arch9wavefront6targetE1EEEvT1_.has_recursion, 0
	.set _ZN7rocprim17ROCPRIM_400000_NS6detail17trampoline_kernelINS0_14default_configENS1_35adjacent_difference_config_selectorILb0ElEEZNS1_24adjacent_difference_implIS3_Lb0ELb0EPlS7_ZN2at6native12_GLOBAL__N_124unique_dim_cuda_templateIhEESt5tupleIJNS8_6TensorESD_SD_EERKSD_lbbbEUlllE1_EE10hipError_tPvRmT2_T3_mT4_P12ihipStream_tbEUlT_E_NS1_11comp_targetILNS1_3genE9ELNS1_11target_archE1100ELNS1_3gpuE3ELNS1_3repE0EEENS1_30default_config_static_selectorELNS0_4arch9wavefront6targetE1EEEvT1_.has_indirect_call, 0
	.section	.AMDGPU.csdata,"",@progbits
; Kernel info:
; codeLenInByte = 0
; TotalNumSgprs: 6
; NumVgprs: 0
; NumAgprs: 0
; TotalNumVgprs: 0
; ScratchSize: 0
; MemoryBound: 0
; FloatMode: 240
; IeeeMode: 1
; LDSByteSize: 0 bytes/workgroup (compile time only)
; SGPRBlocks: 0
; VGPRBlocks: 0
; NumSGPRsForWavesPerEU: 6
; NumVGPRsForWavesPerEU: 1
; AccumOffset: 4
; Occupancy: 8
; WaveLimiterHint : 0
; COMPUTE_PGM_RSRC2:SCRATCH_EN: 0
; COMPUTE_PGM_RSRC2:USER_SGPR: 2
; COMPUTE_PGM_RSRC2:TRAP_HANDLER: 0
; COMPUTE_PGM_RSRC2:TGID_X_EN: 1
; COMPUTE_PGM_RSRC2:TGID_Y_EN: 0
; COMPUTE_PGM_RSRC2:TGID_Z_EN: 0
; COMPUTE_PGM_RSRC2:TIDIG_COMP_CNT: 0
; COMPUTE_PGM_RSRC3_GFX90A:ACCUM_OFFSET: 0
; COMPUTE_PGM_RSRC3_GFX90A:TG_SPLIT: 0
	.section	.text._ZN7rocprim17ROCPRIM_400000_NS6detail17trampoline_kernelINS0_14default_configENS1_35adjacent_difference_config_selectorILb0ElEEZNS1_24adjacent_difference_implIS3_Lb0ELb0EPlS7_ZN2at6native12_GLOBAL__N_124unique_dim_cuda_templateIhEESt5tupleIJNS8_6TensorESD_SD_EERKSD_lbbbEUlllE1_EE10hipError_tPvRmT2_T3_mT4_P12ihipStream_tbEUlT_E_NS1_11comp_targetILNS1_3genE8ELNS1_11target_archE1030ELNS1_3gpuE2ELNS1_3repE0EEENS1_30default_config_static_selectorELNS0_4arch9wavefront6targetE1EEEvT1_,"axG",@progbits,_ZN7rocprim17ROCPRIM_400000_NS6detail17trampoline_kernelINS0_14default_configENS1_35adjacent_difference_config_selectorILb0ElEEZNS1_24adjacent_difference_implIS3_Lb0ELb0EPlS7_ZN2at6native12_GLOBAL__N_124unique_dim_cuda_templateIhEESt5tupleIJNS8_6TensorESD_SD_EERKSD_lbbbEUlllE1_EE10hipError_tPvRmT2_T3_mT4_P12ihipStream_tbEUlT_E_NS1_11comp_targetILNS1_3genE8ELNS1_11target_archE1030ELNS1_3gpuE2ELNS1_3repE0EEENS1_30default_config_static_selectorELNS0_4arch9wavefront6targetE1EEEvT1_,comdat
	.globl	_ZN7rocprim17ROCPRIM_400000_NS6detail17trampoline_kernelINS0_14default_configENS1_35adjacent_difference_config_selectorILb0ElEEZNS1_24adjacent_difference_implIS3_Lb0ELb0EPlS7_ZN2at6native12_GLOBAL__N_124unique_dim_cuda_templateIhEESt5tupleIJNS8_6TensorESD_SD_EERKSD_lbbbEUlllE1_EE10hipError_tPvRmT2_T3_mT4_P12ihipStream_tbEUlT_E_NS1_11comp_targetILNS1_3genE8ELNS1_11target_archE1030ELNS1_3gpuE2ELNS1_3repE0EEENS1_30default_config_static_selectorELNS0_4arch9wavefront6targetE1EEEvT1_ ; -- Begin function _ZN7rocprim17ROCPRIM_400000_NS6detail17trampoline_kernelINS0_14default_configENS1_35adjacent_difference_config_selectorILb0ElEEZNS1_24adjacent_difference_implIS3_Lb0ELb0EPlS7_ZN2at6native12_GLOBAL__N_124unique_dim_cuda_templateIhEESt5tupleIJNS8_6TensorESD_SD_EERKSD_lbbbEUlllE1_EE10hipError_tPvRmT2_T3_mT4_P12ihipStream_tbEUlT_E_NS1_11comp_targetILNS1_3genE8ELNS1_11target_archE1030ELNS1_3gpuE2ELNS1_3repE0EEENS1_30default_config_static_selectorELNS0_4arch9wavefront6targetE1EEEvT1_
	.p2align	8
	.type	_ZN7rocprim17ROCPRIM_400000_NS6detail17trampoline_kernelINS0_14default_configENS1_35adjacent_difference_config_selectorILb0ElEEZNS1_24adjacent_difference_implIS3_Lb0ELb0EPlS7_ZN2at6native12_GLOBAL__N_124unique_dim_cuda_templateIhEESt5tupleIJNS8_6TensorESD_SD_EERKSD_lbbbEUlllE1_EE10hipError_tPvRmT2_T3_mT4_P12ihipStream_tbEUlT_E_NS1_11comp_targetILNS1_3genE8ELNS1_11target_archE1030ELNS1_3gpuE2ELNS1_3repE0EEENS1_30default_config_static_selectorELNS0_4arch9wavefront6targetE1EEEvT1_,@function
_ZN7rocprim17ROCPRIM_400000_NS6detail17trampoline_kernelINS0_14default_configENS1_35adjacent_difference_config_selectorILb0ElEEZNS1_24adjacent_difference_implIS3_Lb0ELb0EPlS7_ZN2at6native12_GLOBAL__N_124unique_dim_cuda_templateIhEESt5tupleIJNS8_6TensorESD_SD_EERKSD_lbbbEUlllE1_EE10hipError_tPvRmT2_T3_mT4_P12ihipStream_tbEUlT_E_NS1_11comp_targetILNS1_3genE8ELNS1_11target_archE1030ELNS1_3gpuE2ELNS1_3repE0EEENS1_30default_config_static_selectorELNS0_4arch9wavefront6targetE1EEEvT1_: ; @_ZN7rocprim17ROCPRIM_400000_NS6detail17trampoline_kernelINS0_14default_configENS1_35adjacent_difference_config_selectorILb0ElEEZNS1_24adjacent_difference_implIS3_Lb0ELb0EPlS7_ZN2at6native12_GLOBAL__N_124unique_dim_cuda_templateIhEESt5tupleIJNS8_6TensorESD_SD_EERKSD_lbbbEUlllE1_EE10hipError_tPvRmT2_T3_mT4_P12ihipStream_tbEUlT_E_NS1_11comp_targetILNS1_3genE8ELNS1_11target_archE1030ELNS1_3gpuE2ELNS1_3repE0EEENS1_30default_config_static_selectorELNS0_4arch9wavefront6targetE1EEEvT1_
; %bb.0:
	.section	.rodata,"a",@progbits
	.p2align	6, 0x0
	.amdhsa_kernel _ZN7rocprim17ROCPRIM_400000_NS6detail17trampoline_kernelINS0_14default_configENS1_35adjacent_difference_config_selectorILb0ElEEZNS1_24adjacent_difference_implIS3_Lb0ELb0EPlS7_ZN2at6native12_GLOBAL__N_124unique_dim_cuda_templateIhEESt5tupleIJNS8_6TensorESD_SD_EERKSD_lbbbEUlllE1_EE10hipError_tPvRmT2_T3_mT4_P12ihipStream_tbEUlT_E_NS1_11comp_targetILNS1_3genE8ELNS1_11target_archE1030ELNS1_3gpuE2ELNS1_3repE0EEENS1_30default_config_static_selectorELNS0_4arch9wavefront6targetE1EEEvT1_
		.amdhsa_group_segment_fixed_size 0
		.amdhsa_private_segment_fixed_size 0
		.amdhsa_kernarg_size 64
		.amdhsa_user_sgpr_count 2
		.amdhsa_user_sgpr_dispatch_ptr 0
		.amdhsa_user_sgpr_queue_ptr 0
		.amdhsa_user_sgpr_kernarg_segment_ptr 1
		.amdhsa_user_sgpr_dispatch_id 0
		.amdhsa_user_sgpr_kernarg_preload_length 0
		.amdhsa_user_sgpr_kernarg_preload_offset 0
		.amdhsa_user_sgpr_private_segment_size 0
		.amdhsa_uses_dynamic_stack 0
		.amdhsa_enable_private_segment 0
		.amdhsa_system_sgpr_workgroup_id_x 1
		.amdhsa_system_sgpr_workgroup_id_y 0
		.amdhsa_system_sgpr_workgroup_id_z 0
		.amdhsa_system_sgpr_workgroup_info 0
		.amdhsa_system_vgpr_workitem_id 0
		.amdhsa_next_free_vgpr 1
		.amdhsa_next_free_sgpr 0
		.amdhsa_accum_offset 4
		.amdhsa_reserve_vcc 0
		.amdhsa_float_round_mode_32 0
		.amdhsa_float_round_mode_16_64 0
		.amdhsa_float_denorm_mode_32 3
		.amdhsa_float_denorm_mode_16_64 3
		.amdhsa_dx10_clamp 1
		.amdhsa_ieee_mode 1
		.amdhsa_fp16_overflow 0
		.amdhsa_tg_split 0
		.amdhsa_exception_fp_ieee_invalid_op 0
		.amdhsa_exception_fp_denorm_src 0
		.amdhsa_exception_fp_ieee_div_zero 0
		.amdhsa_exception_fp_ieee_overflow 0
		.amdhsa_exception_fp_ieee_underflow 0
		.amdhsa_exception_fp_ieee_inexact 0
		.amdhsa_exception_int_div_zero 0
	.end_amdhsa_kernel
	.section	.text._ZN7rocprim17ROCPRIM_400000_NS6detail17trampoline_kernelINS0_14default_configENS1_35adjacent_difference_config_selectorILb0ElEEZNS1_24adjacent_difference_implIS3_Lb0ELb0EPlS7_ZN2at6native12_GLOBAL__N_124unique_dim_cuda_templateIhEESt5tupleIJNS8_6TensorESD_SD_EERKSD_lbbbEUlllE1_EE10hipError_tPvRmT2_T3_mT4_P12ihipStream_tbEUlT_E_NS1_11comp_targetILNS1_3genE8ELNS1_11target_archE1030ELNS1_3gpuE2ELNS1_3repE0EEENS1_30default_config_static_selectorELNS0_4arch9wavefront6targetE1EEEvT1_,"axG",@progbits,_ZN7rocprim17ROCPRIM_400000_NS6detail17trampoline_kernelINS0_14default_configENS1_35adjacent_difference_config_selectorILb0ElEEZNS1_24adjacent_difference_implIS3_Lb0ELb0EPlS7_ZN2at6native12_GLOBAL__N_124unique_dim_cuda_templateIhEESt5tupleIJNS8_6TensorESD_SD_EERKSD_lbbbEUlllE1_EE10hipError_tPvRmT2_T3_mT4_P12ihipStream_tbEUlT_E_NS1_11comp_targetILNS1_3genE8ELNS1_11target_archE1030ELNS1_3gpuE2ELNS1_3repE0EEENS1_30default_config_static_selectorELNS0_4arch9wavefront6targetE1EEEvT1_,comdat
.Lfunc_end65:
	.size	_ZN7rocprim17ROCPRIM_400000_NS6detail17trampoline_kernelINS0_14default_configENS1_35adjacent_difference_config_selectorILb0ElEEZNS1_24adjacent_difference_implIS3_Lb0ELb0EPlS7_ZN2at6native12_GLOBAL__N_124unique_dim_cuda_templateIhEESt5tupleIJNS8_6TensorESD_SD_EERKSD_lbbbEUlllE1_EE10hipError_tPvRmT2_T3_mT4_P12ihipStream_tbEUlT_E_NS1_11comp_targetILNS1_3genE8ELNS1_11target_archE1030ELNS1_3gpuE2ELNS1_3repE0EEENS1_30default_config_static_selectorELNS0_4arch9wavefront6targetE1EEEvT1_, .Lfunc_end65-_ZN7rocprim17ROCPRIM_400000_NS6detail17trampoline_kernelINS0_14default_configENS1_35adjacent_difference_config_selectorILb0ElEEZNS1_24adjacent_difference_implIS3_Lb0ELb0EPlS7_ZN2at6native12_GLOBAL__N_124unique_dim_cuda_templateIhEESt5tupleIJNS8_6TensorESD_SD_EERKSD_lbbbEUlllE1_EE10hipError_tPvRmT2_T3_mT4_P12ihipStream_tbEUlT_E_NS1_11comp_targetILNS1_3genE8ELNS1_11target_archE1030ELNS1_3gpuE2ELNS1_3repE0EEENS1_30default_config_static_selectorELNS0_4arch9wavefront6targetE1EEEvT1_
                                        ; -- End function
	.set _ZN7rocprim17ROCPRIM_400000_NS6detail17trampoline_kernelINS0_14default_configENS1_35adjacent_difference_config_selectorILb0ElEEZNS1_24adjacent_difference_implIS3_Lb0ELb0EPlS7_ZN2at6native12_GLOBAL__N_124unique_dim_cuda_templateIhEESt5tupleIJNS8_6TensorESD_SD_EERKSD_lbbbEUlllE1_EE10hipError_tPvRmT2_T3_mT4_P12ihipStream_tbEUlT_E_NS1_11comp_targetILNS1_3genE8ELNS1_11target_archE1030ELNS1_3gpuE2ELNS1_3repE0EEENS1_30default_config_static_selectorELNS0_4arch9wavefront6targetE1EEEvT1_.num_vgpr, 0
	.set _ZN7rocprim17ROCPRIM_400000_NS6detail17trampoline_kernelINS0_14default_configENS1_35adjacent_difference_config_selectorILb0ElEEZNS1_24adjacent_difference_implIS3_Lb0ELb0EPlS7_ZN2at6native12_GLOBAL__N_124unique_dim_cuda_templateIhEESt5tupleIJNS8_6TensorESD_SD_EERKSD_lbbbEUlllE1_EE10hipError_tPvRmT2_T3_mT4_P12ihipStream_tbEUlT_E_NS1_11comp_targetILNS1_3genE8ELNS1_11target_archE1030ELNS1_3gpuE2ELNS1_3repE0EEENS1_30default_config_static_selectorELNS0_4arch9wavefront6targetE1EEEvT1_.num_agpr, 0
	.set _ZN7rocprim17ROCPRIM_400000_NS6detail17trampoline_kernelINS0_14default_configENS1_35adjacent_difference_config_selectorILb0ElEEZNS1_24adjacent_difference_implIS3_Lb0ELb0EPlS7_ZN2at6native12_GLOBAL__N_124unique_dim_cuda_templateIhEESt5tupleIJNS8_6TensorESD_SD_EERKSD_lbbbEUlllE1_EE10hipError_tPvRmT2_T3_mT4_P12ihipStream_tbEUlT_E_NS1_11comp_targetILNS1_3genE8ELNS1_11target_archE1030ELNS1_3gpuE2ELNS1_3repE0EEENS1_30default_config_static_selectorELNS0_4arch9wavefront6targetE1EEEvT1_.numbered_sgpr, 0
	.set _ZN7rocprim17ROCPRIM_400000_NS6detail17trampoline_kernelINS0_14default_configENS1_35adjacent_difference_config_selectorILb0ElEEZNS1_24adjacent_difference_implIS3_Lb0ELb0EPlS7_ZN2at6native12_GLOBAL__N_124unique_dim_cuda_templateIhEESt5tupleIJNS8_6TensorESD_SD_EERKSD_lbbbEUlllE1_EE10hipError_tPvRmT2_T3_mT4_P12ihipStream_tbEUlT_E_NS1_11comp_targetILNS1_3genE8ELNS1_11target_archE1030ELNS1_3gpuE2ELNS1_3repE0EEENS1_30default_config_static_selectorELNS0_4arch9wavefront6targetE1EEEvT1_.num_named_barrier, 0
	.set _ZN7rocprim17ROCPRIM_400000_NS6detail17trampoline_kernelINS0_14default_configENS1_35adjacent_difference_config_selectorILb0ElEEZNS1_24adjacent_difference_implIS3_Lb0ELb0EPlS7_ZN2at6native12_GLOBAL__N_124unique_dim_cuda_templateIhEESt5tupleIJNS8_6TensorESD_SD_EERKSD_lbbbEUlllE1_EE10hipError_tPvRmT2_T3_mT4_P12ihipStream_tbEUlT_E_NS1_11comp_targetILNS1_3genE8ELNS1_11target_archE1030ELNS1_3gpuE2ELNS1_3repE0EEENS1_30default_config_static_selectorELNS0_4arch9wavefront6targetE1EEEvT1_.private_seg_size, 0
	.set _ZN7rocprim17ROCPRIM_400000_NS6detail17trampoline_kernelINS0_14default_configENS1_35adjacent_difference_config_selectorILb0ElEEZNS1_24adjacent_difference_implIS3_Lb0ELb0EPlS7_ZN2at6native12_GLOBAL__N_124unique_dim_cuda_templateIhEESt5tupleIJNS8_6TensorESD_SD_EERKSD_lbbbEUlllE1_EE10hipError_tPvRmT2_T3_mT4_P12ihipStream_tbEUlT_E_NS1_11comp_targetILNS1_3genE8ELNS1_11target_archE1030ELNS1_3gpuE2ELNS1_3repE0EEENS1_30default_config_static_selectorELNS0_4arch9wavefront6targetE1EEEvT1_.uses_vcc, 0
	.set _ZN7rocprim17ROCPRIM_400000_NS6detail17trampoline_kernelINS0_14default_configENS1_35adjacent_difference_config_selectorILb0ElEEZNS1_24adjacent_difference_implIS3_Lb0ELb0EPlS7_ZN2at6native12_GLOBAL__N_124unique_dim_cuda_templateIhEESt5tupleIJNS8_6TensorESD_SD_EERKSD_lbbbEUlllE1_EE10hipError_tPvRmT2_T3_mT4_P12ihipStream_tbEUlT_E_NS1_11comp_targetILNS1_3genE8ELNS1_11target_archE1030ELNS1_3gpuE2ELNS1_3repE0EEENS1_30default_config_static_selectorELNS0_4arch9wavefront6targetE1EEEvT1_.uses_flat_scratch, 0
	.set _ZN7rocprim17ROCPRIM_400000_NS6detail17trampoline_kernelINS0_14default_configENS1_35adjacent_difference_config_selectorILb0ElEEZNS1_24adjacent_difference_implIS3_Lb0ELb0EPlS7_ZN2at6native12_GLOBAL__N_124unique_dim_cuda_templateIhEESt5tupleIJNS8_6TensorESD_SD_EERKSD_lbbbEUlllE1_EE10hipError_tPvRmT2_T3_mT4_P12ihipStream_tbEUlT_E_NS1_11comp_targetILNS1_3genE8ELNS1_11target_archE1030ELNS1_3gpuE2ELNS1_3repE0EEENS1_30default_config_static_selectorELNS0_4arch9wavefront6targetE1EEEvT1_.has_dyn_sized_stack, 0
	.set _ZN7rocprim17ROCPRIM_400000_NS6detail17trampoline_kernelINS0_14default_configENS1_35adjacent_difference_config_selectorILb0ElEEZNS1_24adjacent_difference_implIS3_Lb0ELb0EPlS7_ZN2at6native12_GLOBAL__N_124unique_dim_cuda_templateIhEESt5tupleIJNS8_6TensorESD_SD_EERKSD_lbbbEUlllE1_EE10hipError_tPvRmT2_T3_mT4_P12ihipStream_tbEUlT_E_NS1_11comp_targetILNS1_3genE8ELNS1_11target_archE1030ELNS1_3gpuE2ELNS1_3repE0EEENS1_30default_config_static_selectorELNS0_4arch9wavefront6targetE1EEEvT1_.has_recursion, 0
	.set _ZN7rocprim17ROCPRIM_400000_NS6detail17trampoline_kernelINS0_14default_configENS1_35adjacent_difference_config_selectorILb0ElEEZNS1_24adjacent_difference_implIS3_Lb0ELb0EPlS7_ZN2at6native12_GLOBAL__N_124unique_dim_cuda_templateIhEESt5tupleIJNS8_6TensorESD_SD_EERKSD_lbbbEUlllE1_EE10hipError_tPvRmT2_T3_mT4_P12ihipStream_tbEUlT_E_NS1_11comp_targetILNS1_3genE8ELNS1_11target_archE1030ELNS1_3gpuE2ELNS1_3repE0EEENS1_30default_config_static_selectorELNS0_4arch9wavefront6targetE1EEEvT1_.has_indirect_call, 0
	.section	.AMDGPU.csdata,"",@progbits
; Kernel info:
; codeLenInByte = 0
; TotalNumSgprs: 6
; NumVgprs: 0
; NumAgprs: 0
; TotalNumVgprs: 0
; ScratchSize: 0
; MemoryBound: 0
; FloatMode: 240
; IeeeMode: 1
; LDSByteSize: 0 bytes/workgroup (compile time only)
; SGPRBlocks: 0
; VGPRBlocks: 0
; NumSGPRsForWavesPerEU: 6
; NumVGPRsForWavesPerEU: 1
; AccumOffset: 4
; Occupancy: 8
; WaveLimiterHint : 0
; COMPUTE_PGM_RSRC2:SCRATCH_EN: 0
; COMPUTE_PGM_RSRC2:USER_SGPR: 2
; COMPUTE_PGM_RSRC2:TRAP_HANDLER: 0
; COMPUTE_PGM_RSRC2:TGID_X_EN: 1
; COMPUTE_PGM_RSRC2:TGID_Y_EN: 0
; COMPUTE_PGM_RSRC2:TGID_Z_EN: 0
; COMPUTE_PGM_RSRC2:TIDIG_COMP_CNT: 0
; COMPUTE_PGM_RSRC3_GFX90A:ACCUM_OFFSET: 0
; COMPUTE_PGM_RSRC3_GFX90A:TG_SPLIT: 0
	.section	.text._ZN7rocprim17ROCPRIM_400000_NS6detail17trampoline_kernelINS0_14default_configENS1_25transform_config_selectorIlLb0EEEZNS1_14transform_implILb0ES3_S5_NS0_18transform_iteratorINS0_17counting_iteratorImlEEZNS1_24adjacent_difference_implIS3_Lb1ELb0EPlSB_ZN2at6native12_GLOBAL__N_124unique_dim_cuda_templateIhEESt5tupleIJNSC_6TensorESH_SH_EERKSH_lbbbEUlllE1_EE10hipError_tPvRmT2_T3_mT4_P12ihipStream_tbEUlmE_lEESB_NS0_8identityIvEEEESM_SP_SQ_mSR_ST_bEUlT_E_NS1_11comp_targetILNS1_3genE0ELNS1_11target_archE4294967295ELNS1_3gpuE0ELNS1_3repE0EEENS1_30default_config_static_selectorELNS0_4arch9wavefront6targetE1EEEvT1_,"axG",@progbits,_ZN7rocprim17ROCPRIM_400000_NS6detail17trampoline_kernelINS0_14default_configENS1_25transform_config_selectorIlLb0EEEZNS1_14transform_implILb0ES3_S5_NS0_18transform_iteratorINS0_17counting_iteratorImlEEZNS1_24adjacent_difference_implIS3_Lb1ELb0EPlSB_ZN2at6native12_GLOBAL__N_124unique_dim_cuda_templateIhEESt5tupleIJNSC_6TensorESH_SH_EERKSH_lbbbEUlllE1_EE10hipError_tPvRmT2_T3_mT4_P12ihipStream_tbEUlmE_lEESB_NS0_8identityIvEEEESM_SP_SQ_mSR_ST_bEUlT_E_NS1_11comp_targetILNS1_3genE0ELNS1_11target_archE4294967295ELNS1_3gpuE0ELNS1_3repE0EEENS1_30default_config_static_selectorELNS0_4arch9wavefront6targetE1EEEvT1_,comdat
	.globl	_ZN7rocprim17ROCPRIM_400000_NS6detail17trampoline_kernelINS0_14default_configENS1_25transform_config_selectorIlLb0EEEZNS1_14transform_implILb0ES3_S5_NS0_18transform_iteratorINS0_17counting_iteratorImlEEZNS1_24adjacent_difference_implIS3_Lb1ELb0EPlSB_ZN2at6native12_GLOBAL__N_124unique_dim_cuda_templateIhEESt5tupleIJNSC_6TensorESH_SH_EERKSH_lbbbEUlllE1_EE10hipError_tPvRmT2_T3_mT4_P12ihipStream_tbEUlmE_lEESB_NS0_8identityIvEEEESM_SP_SQ_mSR_ST_bEUlT_E_NS1_11comp_targetILNS1_3genE0ELNS1_11target_archE4294967295ELNS1_3gpuE0ELNS1_3repE0EEENS1_30default_config_static_selectorELNS0_4arch9wavefront6targetE1EEEvT1_ ; -- Begin function _ZN7rocprim17ROCPRIM_400000_NS6detail17trampoline_kernelINS0_14default_configENS1_25transform_config_selectorIlLb0EEEZNS1_14transform_implILb0ES3_S5_NS0_18transform_iteratorINS0_17counting_iteratorImlEEZNS1_24adjacent_difference_implIS3_Lb1ELb0EPlSB_ZN2at6native12_GLOBAL__N_124unique_dim_cuda_templateIhEESt5tupleIJNSC_6TensorESH_SH_EERKSH_lbbbEUlllE1_EE10hipError_tPvRmT2_T3_mT4_P12ihipStream_tbEUlmE_lEESB_NS0_8identityIvEEEESM_SP_SQ_mSR_ST_bEUlT_E_NS1_11comp_targetILNS1_3genE0ELNS1_11target_archE4294967295ELNS1_3gpuE0ELNS1_3repE0EEENS1_30default_config_static_selectorELNS0_4arch9wavefront6targetE1EEEvT1_
	.p2align	8
	.type	_ZN7rocprim17ROCPRIM_400000_NS6detail17trampoline_kernelINS0_14default_configENS1_25transform_config_selectorIlLb0EEEZNS1_14transform_implILb0ES3_S5_NS0_18transform_iteratorINS0_17counting_iteratorImlEEZNS1_24adjacent_difference_implIS3_Lb1ELb0EPlSB_ZN2at6native12_GLOBAL__N_124unique_dim_cuda_templateIhEESt5tupleIJNSC_6TensorESH_SH_EERKSH_lbbbEUlllE1_EE10hipError_tPvRmT2_T3_mT4_P12ihipStream_tbEUlmE_lEESB_NS0_8identityIvEEEESM_SP_SQ_mSR_ST_bEUlT_E_NS1_11comp_targetILNS1_3genE0ELNS1_11target_archE4294967295ELNS1_3gpuE0ELNS1_3repE0EEENS1_30default_config_static_selectorELNS0_4arch9wavefront6targetE1EEEvT1_,@function
_ZN7rocprim17ROCPRIM_400000_NS6detail17trampoline_kernelINS0_14default_configENS1_25transform_config_selectorIlLb0EEEZNS1_14transform_implILb0ES3_S5_NS0_18transform_iteratorINS0_17counting_iteratorImlEEZNS1_24adjacent_difference_implIS3_Lb1ELb0EPlSB_ZN2at6native12_GLOBAL__N_124unique_dim_cuda_templateIhEESt5tupleIJNSC_6TensorESH_SH_EERKSH_lbbbEUlllE1_EE10hipError_tPvRmT2_T3_mT4_P12ihipStream_tbEUlmE_lEESB_NS0_8identityIvEEEESM_SP_SQ_mSR_ST_bEUlT_E_NS1_11comp_targetILNS1_3genE0ELNS1_11target_archE4294967295ELNS1_3gpuE0ELNS1_3repE0EEENS1_30default_config_static_selectorELNS0_4arch9wavefront6targetE1EEEvT1_: ; @_ZN7rocprim17ROCPRIM_400000_NS6detail17trampoline_kernelINS0_14default_configENS1_25transform_config_selectorIlLb0EEEZNS1_14transform_implILb0ES3_S5_NS0_18transform_iteratorINS0_17counting_iteratorImlEEZNS1_24adjacent_difference_implIS3_Lb1ELb0EPlSB_ZN2at6native12_GLOBAL__N_124unique_dim_cuda_templateIhEESt5tupleIJNSC_6TensorESH_SH_EERKSH_lbbbEUlllE1_EE10hipError_tPvRmT2_T3_mT4_P12ihipStream_tbEUlmE_lEESB_NS0_8identityIvEEEESM_SP_SQ_mSR_ST_bEUlT_E_NS1_11comp_targetILNS1_3genE0ELNS1_11target_archE4294967295ELNS1_3gpuE0ELNS1_3repE0EEENS1_30default_config_static_selectorELNS0_4arch9wavefront6targetE1EEEvT1_
; %bb.0:
	s_load_dword s3, s[0:1], 0x38
	s_load_dword s5, s[0:1], 0x20
	s_lshl_b32 s4, s2, 7
	s_waitcnt lgkmcnt(0)
	s_add_i32 s3, s3, -1
	s_cmp_lg_u32 s2, s3
	s_cselect_b64 s[2:3], -1, 0
	s_sub_i32 s5, s5, s4
	v_cmp_gt_u32_e32 vcc, s5, v0
	s_or_b64 s[2:3], s[2:3], vcc
	s_and_saveexec_b64 s[6:7], s[2:3]
	s_cbranch_execz .LBB66_2
; %bb.1:
	s_load_dwordx2 s[2:3], s[0:1], 0x18
	s_load_dwordx4 s[8:11], s[0:1], 0x0
	s_load_dwordx2 s[6:7], s[0:1], 0x28
	s_load_dword s5, s[0:1], 0x10
	v_mov_b32_e32 v1, 0
	s_waitcnt lgkmcnt(0)
	s_lshl_b64 s[0:1], s[2:3], 3
	v_mov_b32_e32 v2, s10
	s_add_u32 s6, s6, s0
	s_addc_u32 s7, s7, s1
	s_add_u32 s0, s8, s2
	s_addc_u32 s1, s9, s3
	;; [unrolled: 2-line block ×3, first 2 shown]
	v_lshl_add_u64 v[4:5], s[0:1], 0, v[0:1]
	v_mad_u64_u32 v[6:7], s[0:1], v4, s5, 0
	v_mov_b32_e32 v4, v7
	v_mad_u64_u32 v[4:5], s[0:1], v5, s5, v[4:5]
	v_mov_b32_e32 v3, s11
	v_mov_b32_e32 v7, v4
	v_lshl_add_u64 v[2:3], v[6:7], 3, v[2:3]
	global_load_dwordx2 v[2:3], v[2:3], off
	s_mov_b32 s5, 0
	s_lshl_b64 s[0:1], s[4:5], 3
	s_add_u32 s0, s6, s0
	s_addc_u32 s1, s7, s1
	v_lshl_add_u64 v[0:1], v[0:1], 3, s[0:1]
	s_waitcnt vmcnt(0)
	global_store_dwordx2 v[0:1], v[2:3], off
.LBB66_2:
	s_endpgm
	.section	.rodata,"a",@progbits
	.p2align	6, 0x0
	.amdhsa_kernel _ZN7rocprim17ROCPRIM_400000_NS6detail17trampoline_kernelINS0_14default_configENS1_25transform_config_selectorIlLb0EEEZNS1_14transform_implILb0ES3_S5_NS0_18transform_iteratorINS0_17counting_iteratorImlEEZNS1_24adjacent_difference_implIS3_Lb1ELb0EPlSB_ZN2at6native12_GLOBAL__N_124unique_dim_cuda_templateIhEESt5tupleIJNSC_6TensorESH_SH_EERKSH_lbbbEUlllE1_EE10hipError_tPvRmT2_T3_mT4_P12ihipStream_tbEUlmE_lEESB_NS0_8identityIvEEEESM_SP_SQ_mSR_ST_bEUlT_E_NS1_11comp_targetILNS1_3genE0ELNS1_11target_archE4294967295ELNS1_3gpuE0ELNS1_3repE0EEENS1_30default_config_static_selectorELNS0_4arch9wavefront6targetE1EEEvT1_
		.amdhsa_group_segment_fixed_size 0
		.amdhsa_private_segment_fixed_size 0
		.amdhsa_kernarg_size 312
		.amdhsa_user_sgpr_count 2
		.amdhsa_user_sgpr_dispatch_ptr 0
		.amdhsa_user_sgpr_queue_ptr 0
		.amdhsa_user_sgpr_kernarg_segment_ptr 1
		.amdhsa_user_sgpr_dispatch_id 0
		.amdhsa_user_sgpr_kernarg_preload_length 0
		.amdhsa_user_sgpr_kernarg_preload_offset 0
		.amdhsa_user_sgpr_private_segment_size 0
		.amdhsa_uses_dynamic_stack 0
		.amdhsa_enable_private_segment 0
		.amdhsa_system_sgpr_workgroup_id_x 1
		.amdhsa_system_sgpr_workgroup_id_y 0
		.amdhsa_system_sgpr_workgroup_id_z 0
		.amdhsa_system_sgpr_workgroup_info 0
		.amdhsa_system_vgpr_workitem_id 0
		.amdhsa_next_free_vgpr 8
		.amdhsa_next_free_sgpr 12
		.amdhsa_accum_offset 8
		.amdhsa_reserve_vcc 1
		.amdhsa_float_round_mode_32 0
		.amdhsa_float_round_mode_16_64 0
		.amdhsa_float_denorm_mode_32 3
		.amdhsa_float_denorm_mode_16_64 3
		.amdhsa_dx10_clamp 1
		.amdhsa_ieee_mode 1
		.amdhsa_fp16_overflow 0
		.amdhsa_tg_split 0
		.amdhsa_exception_fp_ieee_invalid_op 0
		.amdhsa_exception_fp_denorm_src 0
		.amdhsa_exception_fp_ieee_div_zero 0
		.amdhsa_exception_fp_ieee_overflow 0
		.amdhsa_exception_fp_ieee_underflow 0
		.amdhsa_exception_fp_ieee_inexact 0
		.amdhsa_exception_int_div_zero 0
	.end_amdhsa_kernel
	.section	.text._ZN7rocprim17ROCPRIM_400000_NS6detail17trampoline_kernelINS0_14default_configENS1_25transform_config_selectorIlLb0EEEZNS1_14transform_implILb0ES3_S5_NS0_18transform_iteratorINS0_17counting_iteratorImlEEZNS1_24adjacent_difference_implIS3_Lb1ELb0EPlSB_ZN2at6native12_GLOBAL__N_124unique_dim_cuda_templateIhEESt5tupleIJNSC_6TensorESH_SH_EERKSH_lbbbEUlllE1_EE10hipError_tPvRmT2_T3_mT4_P12ihipStream_tbEUlmE_lEESB_NS0_8identityIvEEEESM_SP_SQ_mSR_ST_bEUlT_E_NS1_11comp_targetILNS1_3genE0ELNS1_11target_archE4294967295ELNS1_3gpuE0ELNS1_3repE0EEENS1_30default_config_static_selectorELNS0_4arch9wavefront6targetE1EEEvT1_,"axG",@progbits,_ZN7rocprim17ROCPRIM_400000_NS6detail17trampoline_kernelINS0_14default_configENS1_25transform_config_selectorIlLb0EEEZNS1_14transform_implILb0ES3_S5_NS0_18transform_iteratorINS0_17counting_iteratorImlEEZNS1_24adjacent_difference_implIS3_Lb1ELb0EPlSB_ZN2at6native12_GLOBAL__N_124unique_dim_cuda_templateIhEESt5tupleIJNSC_6TensorESH_SH_EERKSH_lbbbEUlllE1_EE10hipError_tPvRmT2_T3_mT4_P12ihipStream_tbEUlmE_lEESB_NS0_8identityIvEEEESM_SP_SQ_mSR_ST_bEUlT_E_NS1_11comp_targetILNS1_3genE0ELNS1_11target_archE4294967295ELNS1_3gpuE0ELNS1_3repE0EEENS1_30default_config_static_selectorELNS0_4arch9wavefront6targetE1EEEvT1_,comdat
.Lfunc_end66:
	.size	_ZN7rocprim17ROCPRIM_400000_NS6detail17trampoline_kernelINS0_14default_configENS1_25transform_config_selectorIlLb0EEEZNS1_14transform_implILb0ES3_S5_NS0_18transform_iteratorINS0_17counting_iteratorImlEEZNS1_24adjacent_difference_implIS3_Lb1ELb0EPlSB_ZN2at6native12_GLOBAL__N_124unique_dim_cuda_templateIhEESt5tupleIJNSC_6TensorESH_SH_EERKSH_lbbbEUlllE1_EE10hipError_tPvRmT2_T3_mT4_P12ihipStream_tbEUlmE_lEESB_NS0_8identityIvEEEESM_SP_SQ_mSR_ST_bEUlT_E_NS1_11comp_targetILNS1_3genE0ELNS1_11target_archE4294967295ELNS1_3gpuE0ELNS1_3repE0EEENS1_30default_config_static_selectorELNS0_4arch9wavefront6targetE1EEEvT1_, .Lfunc_end66-_ZN7rocprim17ROCPRIM_400000_NS6detail17trampoline_kernelINS0_14default_configENS1_25transform_config_selectorIlLb0EEEZNS1_14transform_implILb0ES3_S5_NS0_18transform_iteratorINS0_17counting_iteratorImlEEZNS1_24adjacent_difference_implIS3_Lb1ELb0EPlSB_ZN2at6native12_GLOBAL__N_124unique_dim_cuda_templateIhEESt5tupleIJNSC_6TensorESH_SH_EERKSH_lbbbEUlllE1_EE10hipError_tPvRmT2_T3_mT4_P12ihipStream_tbEUlmE_lEESB_NS0_8identityIvEEEESM_SP_SQ_mSR_ST_bEUlT_E_NS1_11comp_targetILNS1_3genE0ELNS1_11target_archE4294967295ELNS1_3gpuE0ELNS1_3repE0EEENS1_30default_config_static_selectorELNS0_4arch9wavefront6targetE1EEEvT1_
                                        ; -- End function
	.set _ZN7rocprim17ROCPRIM_400000_NS6detail17trampoline_kernelINS0_14default_configENS1_25transform_config_selectorIlLb0EEEZNS1_14transform_implILb0ES3_S5_NS0_18transform_iteratorINS0_17counting_iteratorImlEEZNS1_24adjacent_difference_implIS3_Lb1ELb0EPlSB_ZN2at6native12_GLOBAL__N_124unique_dim_cuda_templateIhEESt5tupleIJNSC_6TensorESH_SH_EERKSH_lbbbEUlllE1_EE10hipError_tPvRmT2_T3_mT4_P12ihipStream_tbEUlmE_lEESB_NS0_8identityIvEEEESM_SP_SQ_mSR_ST_bEUlT_E_NS1_11comp_targetILNS1_3genE0ELNS1_11target_archE4294967295ELNS1_3gpuE0ELNS1_3repE0EEENS1_30default_config_static_selectorELNS0_4arch9wavefront6targetE1EEEvT1_.num_vgpr, 8
	.set _ZN7rocprim17ROCPRIM_400000_NS6detail17trampoline_kernelINS0_14default_configENS1_25transform_config_selectorIlLb0EEEZNS1_14transform_implILb0ES3_S5_NS0_18transform_iteratorINS0_17counting_iteratorImlEEZNS1_24adjacent_difference_implIS3_Lb1ELb0EPlSB_ZN2at6native12_GLOBAL__N_124unique_dim_cuda_templateIhEESt5tupleIJNSC_6TensorESH_SH_EERKSH_lbbbEUlllE1_EE10hipError_tPvRmT2_T3_mT4_P12ihipStream_tbEUlmE_lEESB_NS0_8identityIvEEEESM_SP_SQ_mSR_ST_bEUlT_E_NS1_11comp_targetILNS1_3genE0ELNS1_11target_archE4294967295ELNS1_3gpuE0ELNS1_3repE0EEENS1_30default_config_static_selectorELNS0_4arch9wavefront6targetE1EEEvT1_.num_agpr, 0
	.set _ZN7rocprim17ROCPRIM_400000_NS6detail17trampoline_kernelINS0_14default_configENS1_25transform_config_selectorIlLb0EEEZNS1_14transform_implILb0ES3_S5_NS0_18transform_iteratorINS0_17counting_iteratorImlEEZNS1_24adjacent_difference_implIS3_Lb1ELb0EPlSB_ZN2at6native12_GLOBAL__N_124unique_dim_cuda_templateIhEESt5tupleIJNSC_6TensorESH_SH_EERKSH_lbbbEUlllE1_EE10hipError_tPvRmT2_T3_mT4_P12ihipStream_tbEUlmE_lEESB_NS0_8identityIvEEEESM_SP_SQ_mSR_ST_bEUlT_E_NS1_11comp_targetILNS1_3genE0ELNS1_11target_archE4294967295ELNS1_3gpuE0ELNS1_3repE0EEENS1_30default_config_static_selectorELNS0_4arch9wavefront6targetE1EEEvT1_.numbered_sgpr, 12
	.set _ZN7rocprim17ROCPRIM_400000_NS6detail17trampoline_kernelINS0_14default_configENS1_25transform_config_selectorIlLb0EEEZNS1_14transform_implILb0ES3_S5_NS0_18transform_iteratorINS0_17counting_iteratorImlEEZNS1_24adjacent_difference_implIS3_Lb1ELb0EPlSB_ZN2at6native12_GLOBAL__N_124unique_dim_cuda_templateIhEESt5tupleIJNSC_6TensorESH_SH_EERKSH_lbbbEUlllE1_EE10hipError_tPvRmT2_T3_mT4_P12ihipStream_tbEUlmE_lEESB_NS0_8identityIvEEEESM_SP_SQ_mSR_ST_bEUlT_E_NS1_11comp_targetILNS1_3genE0ELNS1_11target_archE4294967295ELNS1_3gpuE0ELNS1_3repE0EEENS1_30default_config_static_selectorELNS0_4arch9wavefront6targetE1EEEvT1_.num_named_barrier, 0
	.set _ZN7rocprim17ROCPRIM_400000_NS6detail17trampoline_kernelINS0_14default_configENS1_25transform_config_selectorIlLb0EEEZNS1_14transform_implILb0ES3_S5_NS0_18transform_iteratorINS0_17counting_iteratorImlEEZNS1_24adjacent_difference_implIS3_Lb1ELb0EPlSB_ZN2at6native12_GLOBAL__N_124unique_dim_cuda_templateIhEESt5tupleIJNSC_6TensorESH_SH_EERKSH_lbbbEUlllE1_EE10hipError_tPvRmT2_T3_mT4_P12ihipStream_tbEUlmE_lEESB_NS0_8identityIvEEEESM_SP_SQ_mSR_ST_bEUlT_E_NS1_11comp_targetILNS1_3genE0ELNS1_11target_archE4294967295ELNS1_3gpuE0ELNS1_3repE0EEENS1_30default_config_static_selectorELNS0_4arch9wavefront6targetE1EEEvT1_.private_seg_size, 0
	.set _ZN7rocprim17ROCPRIM_400000_NS6detail17trampoline_kernelINS0_14default_configENS1_25transform_config_selectorIlLb0EEEZNS1_14transform_implILb0ES3_S5_NS0_18transform_iteratorINS0_17counting_iteratorImlEEZNS1_24adjacent_difference_implIS3_Lb1ELb0EPlSB_ZN2at6native12_GLOBAL__N_124unique_dim_cuda_templateIhEESt5tupleIJNSC_6TensorESH_SH_EERKSH_lbbbEUlllE1_EE10hipError_tPvRmT2_T3_mT4_P12ihipStream_tbEUlmE_lEESB_NS0_8identityIvEEEESM_SP_SQ_mSR_ST_bEUlT_E_NS1_11comp_targetILNS1_3genE0ELNS1_11target_archE4294967295ELNS1_3gpuE0ELNS1_3repE0EEENS1_30default_config_static_selectorELNS0_4arch9wavefront6targetE1EEEvT1_.uses_vcc, 1
	.set _ZN7rocprim17ROCPRIM_400000_NS6detail17trampoline_kernelINS0_14default_configENS1_25transform_config_selectorIlLb0EEEZNS1_14transform_implILb0ES3_S5_NS0_18transform_iteratorINS0_17counting_iteratorImlEEZNS1_24adjacent_difference_implIS3_Lb1ELb0EPlSB_ZN2at6native12_GLOBAL__N_124unique_dim_cuda_templateIhEESt5tupleIJNSC_6TensorESH_SH_EERKSH_lbbbEUlllE1_EE10hipError_tPvRmT2_T3_mT4_P12ihipStream_tbEUlmE_lEESB_NS0_8identityIvEEEESM_SP_SQ_mSR_ST_bEUlT_E_NS1_11comp_targetILNS1_3genE0ELNS1_11target_archE4294967295ELNS1_3gpuE0ELNS1_3repE0EEENS1_30default_config_static_selectorELNS0_4arch9wavefront6targetE1EEEvT1_.uses_flat_scratch, 0
	.set _ZN7rocprim17ROCPRIM_400000_NS6detail17trampoline_kernelINS0_14default_configENS1_25transform_config_selectorIlLb0EEEZNS1_14transform_implILb0ES3_S5_NS0_18transform_iteratorINS0_17counting_iteratorImlEEZNS1_24adjacent_difference_implIS3_Lb1ELb0EPlSB_ZN2at6native12_GLOBAL__N_124unique_dim_cuda_templateIhEESt5tupleIJNSC_6TensorESH_SH_EERKSH_lbbbEUlllE1_EE10hipError_tPvRmT2_T3_mT4_P12ihipStream_tbEUlmE_lEESB_NS0_8identityIvEEEESM_SP_SQ_mSR_ST_bEUlT_E_NS1_11comp_targetILNS1_3genE0ELNS1_11target_archE4294967295ELNS1_3gpuE0ELNS1_3repE0EEENS1_30default_config_static_selectorELNS0_4arch9wavefront6targetE1EEEvT1_.has_dyn_sized_stack, 0
	.set _ZN7rocprim17ROCPRIM_400000_NS6detail17trampoline_kernelINS0_14default_configENS1_25transform_config_selectorIlLb0EEEZNS1_14transform_implILb0ES3_S5_NS0_18transform_iteratorINS0_17counting_iteratorImlEEZNS1_24adjacent_difference_implIS3_Lb1ELb0EPlSB_ZN2at6native12_GLOBAL__N_124unique_dim_cuda_templateIhEESt5tupleIJNSC_6TensorESH_SH_EERKSH_lbbbEUlllE1_EE10hipError_tPvRmT2_T3_mT4_P12ihipStream_tbEUlmE_lEESB_NS0_8identityIvEEEESM_SP_SQ_mSR_ST_bEUlT_E_NS1_11comp_targetILNS1_3genE0ELNS1_11target_archE4294967295ELNS1_3gpuE0ELNS1_3repE0EEENS1_30default_config_static_selectorELNS0_4arch9wavefront6targetE1EEEvT1_.has_recursion, 0
	.set _ZN7rocprim17ROCPRIM_400000_NS6detail17trampoline_kernelINS0_14default_configENS1_25transform_config_selectorIlLb0EEEZNS1_14transform_implILb0ES3_S5_NS0_18transform_iteratorINS0_17counting_iteratorImlEEZNS1_24adjacent_difference_implIS3_Lb1ELb0EPlSB_ZN2at6native12_GLOBAL__N_124unique_dim_cuda_templateIhEESt5tupleIJNSC_6TensorESH_SH_EERKSH_lbbbEUlllE1_EE10hipError_tPvRmT2_T3_mT4_P12ihipStream_tbEUlmE_lEESB_NS0_8identityIvEEEESM_SP_SQ_mSR_ST_bEUlT_E_NS1_11comp_targetILNS1_3genE0ELNS1_11target_archE4294967295ELNS1_3gpuE0ELNS1_3repE0EEENS1_30default_config_static_selectorELNS0_4arch9wavefront6targetE1EEEvT1_.has_indirect_call, 0
	.section	.AMDGPU.csdata,"",@progbits
; Kernel info:
; codeLenInByte = 220
; TotalNumSgprs: 18
; NumVgprs: 8
; NumAgprs: 0
; TotalNumVgprs: 8
; ScratchSize: 0
; MemoryBound: 0
; FloatMode: 240
; IeeeMode: 1
; LDSByteSize: 0 bytes/workgroup (compile time only)
; SGPRBlocks: 2
; VGPRBlocks: 0
; NumSGPRsForWavesPerEU: 18
; NumVGPRsForWavesPerEU: 8
; AccumOffset: 8
; Occupancy: 8
; WaveLimiterHint : 0
; COMPUTE_PGM_RSRC2:SCRATCH_EN: 0
; COMPUTE_PGM_RSRC2:USER_SGPR: 2
; COMPUTE_PGM_RSRC2:TRAP_HANDLER: 0
; COMPUTE_PGM_RSRC2:TGID_X_EN: 1
; COMPUTE_PGM_RSRC2:TGID_Y_EN: 0
; COMPUTE_PGM_RSRC2:TGID_Z_EN: 0
; COMPUTE_PGM_RSRC2:TIDIG_COMP_CNT: 0
; COMPUTE_PGM_RSRC3_GFX90A:ACCUM_OFFSET: 1
; COMPUTE_PGM_RSRC3_GFX90A:TG_SPLIT: 0
	.section	.text._ZN7rocprim17ROCPRIM_400000_NS6detail17trampoline_kernelINS0_14default_configENS1_25transform_config_selectorIlLb0EEEZNS1_14transform_implILb0ES3_S5_NS0_18transform_iteratorINS0_17counting_iteratorImlEEZNS1_24adjacent_difference_implIS3_Lb1ELb0EPlSB_ZN2at6native12_GLOBAL__N_124unique_dim_cuda_templateIhEESt5tupleIJNSC_6TensorESH_SH_EERKSH_lbbbEUlllE1_EE10hipError_tPvRmT2_T3_mT4_P12ihipStream_tbEUlmE_lEESB_NS0_8identityIvEEEESM_SP_SQ_mSR_ST_bEUlT_E_NS1_11comp_targetILNS1_3genE5ELNS1_11target_archE942ELNS1_3gpuE9ELNS1_3repE0EEENS1_30default_config_static_selectorELNS0_4arch9wavefront6targetE1EEEvT1_,"axG",@progbits,_ZN7rocprim17ROCPRIM_400000_NS6detail17trampoline_kernelINS0_14default_configENS1_25transform_config_selectorIlLb0EEEZNS1_14transform_implILb0ES3_S5_NS0_18transform_iteratorINS0_17counting_iteratorImlEEZNS1_24adjacent_difference_implIS3_Lb1ELb0EPlSB_ZN2at6native12_GLOBAL__N_124unique_dim_cuda_templateIhEESt5tupleIJNSC_6TensorESH_SH_EERKSH_lbbbEUlllE1_EE10hipError_tPvRmT2_T3_mT4_P12ihipStream_tbEUlmE_lEESB_NS0_8identityIvEEEESM_SP_SQ_mSR_ST_bEUlT_E_NS1_11comp_targetILNS1_3genE5ELNS1_11target_archE942ELNS1_3gpuE9ELNS1_3repE0EEENS1_30default_config_static_selectorELNS0_4arch9wavefront6targetE1EEEvT1_,comdat
	.globl	_ZN7rocprim17ROCPRIM_400000_NS6detail17trampoline_kernelINS0_14default_configENS1_25transform_config_selectorIlLb0EEEZNS1_14transform_implILb0ES3_S5_NS0_18transform_iteratorINS0_17counting_iteratorImlEEZNS1_24adjacent_difference_implIS3_Lb1ELb0EPlSB_ZN2at6native12_GLOBAL__N_124unique_dim_cuda_templateIhEESt5tupleIJNSC_6TensorESH_SH_EERKSH_lbbbEUlllE1_EE10hipError_tPvRmT2_T3_mT4_P12ihipStream_tbEUlmE_lEESB_NS0_8identityIvEEEESM_SP_SQ_mSR_ST_bEUlT_E_NS1_11comp_targetILNS1_3genE5ELNS1_11target_archE942ELNS1_3gpuE9ELNS1_3repE0EEENS1_30default_config_static_selectorELNS0_4arch9wavefront6targetE1EEEvT1_ ; -- Begin function _ZN7rocprim17ROCPRIM_400000_NS6detail17trampoline_kernelINS0_14default_configENS1_25transform_config_selectorIlLb0EEEZNS1_14transform_implILb0ES3_S5_NS0_18transform_iteratorINS0_17counting_iteratorImlEEZNS1_24adjacent_difference_implIS3_Lb1ELb0EPlSB_ZN2at6native12_GLOBAL__N_124unique_dim_cuda_templateIhEESt5tupleIJNSC_6TensorESH_SH_EERKSH_lbbbEUlllE1_EE10hipError_tPvRmT2_T3_mT4_P12ihipStream_tbEUlmE_lEESB_NS0_8identityIvEEEESM_SP_SQ_mSR_ST_bEUlT_E_NS1_11comp_targetILNS1_3genE5ELNS1_11target_archE942ELNS1_3gpuE9ELNS1_3repE0EEENS1_30default_config_static_selectorELNS0_4arch9wavefront6targetE1EEEvT1_
	.p2align	8
	.type	_ZN7rocprim17ROCPRIM_400000_NS6detail17trampoline_kernelINS0_14default_configENS1_25transform_config_selectorIlLb0EEEZNS1_14transform_implILb0ES3_S5_NS0_18transform_iteratorINS0_17counting_iteratorImlEEZNS1_24adjacent_difference_implIS3_Lb1ELb0EPlSB_ZN2at6native12_GLOBAL__N_124unique_dim_cuda_templateIhEESt5tupleIJNSC_6TensorESH_SH_EERKSH_lbbbEUlllE1_EE10hipError_tPvRmT2_T3_mT4_P12ihipStream_tbEUlmE_lEESB_NS0_8identityIvEEEESM_SP_SQ_mSR_ST_bEUlT_E_NS1_11comp_targetILNS1_3genE5ELNS1_11target_archE942ELNS1_3gpuE9ELNS1_3repE0EEENS1_30default_config_static_selectorELNS0_4arch9wavefront6targetE1EEEvT1_,@function
_ZN7rocprim17ROCPRIM_400000_NS6detail17trampoline_kernelINS0_14default_configENS1_25transform_config_selectorIlLb0EEEZNS1_14transform_implILb0ES3_S5_NS0_18transform_iteratorINS0_17counting_iteratorImlEEZNS1_24adjacent_difference_implIS3_Lb1ELb0EPlSB_ZN2at6native12_GLOBAL__N_124unique_dim_cuda_templateIhEESt5tupleIJNSC_6TensorESH_SH_EERKSH_lbbbEUlllE1_EE10hipError_tPvRmT2_T3_mT4_P12ihipStream_tbEUlmE_lEESB_NS0_8identityIvEEEESM_SP_SQ_mSR_ST_bEUlT_E_NS1_11comp_targetILNS1_3genE5ELNS1_11target_archE942ELNS1_3gpuE9ELNS1_3repE0EEENS1_30default_config_static_selectorELNS0_4arch9wavefront6targetE1EEEvT1_: ; @_ZN7rocprim17ROCPRIM_400000_NS6detail17trampoline_kernelINS0_14default_configENS1_25transform_config_selectorIlLb0EEEZNS1_14transform_implILb0ES3_S5_NS0_18transform_iteratorINS0_17counting_iteratorImlEEZNS1_24adjacent_difference_implIS3_Lb1ELb0EPlSB_ZN2at6native12_GLOBAL__N_124unique_dim_cuda_templateIhEESt5tupleIJNSC_6TensorESH_SH_EERKSH_lbbbEUlllE1_EE10hipError_tPvRmT2_T3_mT4_P12ihipStream_tbEUlmE_lEESB_NS0_8identityIvEEEESM_SP_SQ_mSR_ST_bEUlT_E_NS1_11comp_targetILNS1_3genE5ELNS1_11target_archE942ELNS1_3gpuE9ELNS1_3repE0EEENS1_30default_config_static_selectorELNS0_4arch9wavefront6targetE1EEEvT1_
; %bb.0:
	.section	.rodata,"a",@progbits
	.p2align	6, 0x0
	.amdhsa_kernel _ZN7rocprim17ROCPRIM_400000_NS6detail17trampoline_kernelINS0_14default_configENS1_25transform_config_selectorIlLb0EEEZNS1_14transform_implILb0ES3_S5_NS0_18transform_iteratorINS0_17counting_iteratorImlEEZNS1_24adjacent_difference_implIS3_Lb1ELb0EPlSB_ZN2at6native12_GLOBAL__N_124unique_dim_cuda_templateIhEESt5tupleIJNSC_6TensorESH_SH_EERKSH_lbbbEUlllE1_EE10hipError_tPvRmT2_T3_mT4_P12ihipStream_tbEUlmE_lEESB_NS0_8identityIvEEEESM_SP_SQ_mSR_ST_bEUlT_E_NS1_11comp_targetILNS1_3genE5ELNS1_11target_archE942ELNS1_3gpuE9ELNS1_3repE0EEENS1_30default_config_static_selectorELNS0_4arch9wavefront6targetE1EEEvT1_
		.amdhsa_group_segment_fixed_size 0
		.amdhsa_private_segment_fixed_size 0
		.amdhsa_kernarg_size 56
		.amdhsa_user_sgpr_count 2
		.amdhsa_user_sgpr_dispatch_ptr 0
		.amdhsa_user_sgpr_queue_ptr 0
		.amdhsa_user_sgpr_kernarg_segment_ptr 1
		.amdhsa_user_sgpr_dispatch_id 0
		.amdhsa_user_sgpr_kernarg_preload_length 0
		.amdhsa_user_sgpr_kernarg_preload_offset 0
		.amdhsa_user_sgpr_private_segment_size 0
		.amdhsa_uses_dynamic_stack 0
		.amdhsa_enable_private_segment 0
		.amdhsa_system_sgpr_workgroup_id_x 1
		.amdhsa_system_sgpr_workgroup_id_y 0
		.amdhsa_system_sgpr_workgroup_id_z 0
		.amdhsa_system_sgpr_workgroup_info 0
		.amdhsa_system_vgpr_workitem_id 0
		.amdhsa_next_free_vgpr 1
		.amdhsa_next_free_sgpr 0
		.amdhsa_accum_offset 4
		.amdhsa_reserve_vcc 0
		.amdhsa_float_round_mode_32 0
		.amdhsa_float_round_mode_16_64 0
		.amdhsa_float_denorm_mode_32 3
		.amdhsa_float_denorm_mode_16_64 3
		.amdhsa_dx10_clamp 1
		.amdhsa_ieee_mode 1
		.amdhsa_fp16_overflow 0
		.amdhsa_tg_split 0
		.amdhsa_exception_fp_ieee_invalid_op 0
		.amdhsa_exception_fp_denorm_src 0
		.amdhsa_exception_fp_ieee_div_zero 0
		.amdhsa_exception_fp_ieee_overflow 0
		.amdhsa_exception_fp_ieee_underflow 0
		.amdhsa_exception_fp_ieee_inexact 0
		.amdhsa_exception_int_div_zero 0
	.end_amdhsa_kernel
	.section	.text._ZN7rocprim17ROCPRIM_400000_NS6detail17trampoline_kernelINS0_14default_configENS1_25transform_config_selectorIlLb0EEEZNS1_14transform_implILb0ES3_S5_NS0_18transform_iteratorINS0_17counting_iteratorImlEEZNS1_24adjacent_difference_implIS3_Lb1ELb0EPlSB_ZN2at6native12_GLOBAL__N_124unique_dim_cuda_templateIhEESt5tupleIJNSC_6TensorESH_SH_EERKSH_lbbbEUlllE1_EE10hipError_tPvRmT2_T3_mT4_P12ihipStream_tbEUlmE_lEESB_NS0_8identityIvEEEESM_SP_SQ_mSR_ST_bEUlT_E_NS1_11comp_targetILNS1_3genE5ELNS1_11target_archE942ELNS1_3gpuE9ELNS1_3repE0EEENS1_30default_config_static_selectorELNS0_4arch9wavefront6targetE1EEEvT1_,"axG",@progbits,_ZN7rocprim17ROCPRIM_400000_NS6detail17trampoline_kernelINS0_14default_configENS1_25transform_config_selectorIlLb0EEEZNS1_14transform_implILb0ES3_S5_NS0_18transform_iteratorINS0_17counting_iteratorImlEEZNS1_24adjacent_difference_implIS3_Lb1ELb0EPlSB_ZN2at6native12_GLOBAL__N_124unique_dim_cuda_templateIhEESt5tupleIJNSC_6TensorESH_SH_EERKSH_lbbbEUlllE1_EE10hipError_tPvRmT2_T3_mT4_P12ihipStream_tbEUlmE_lEESB_NS0_8identityIvEEEESM_SP_SQ_mSR_ST_bEUlT_E_NS1_11comp_targetILNS1_3genE5ELNS1_11target_archE942ELNS1_3gpuE9ELNS1_3repE0EEENS1_30default_config_static_selectorELNS0_4arch9wavefront6targetE1EEEvT1_,comdat
.Lfunc_end67:
	.size	_ZN7rocprim17ROCPRIM_400000_NS6detail17trampoline_kernelINS0_14default_configENS1_25transform_config_selectorIlLb0EEEZNS1_14transform_implILb0ES3_S5_NS0_18transform_iteratorINS0_17counting_iteratorImlEEZNS1_24adjacent_difference_implIS3_Lb1ELb0EPlSB_ZN2at6native12_GLOBAL__N_124unique_dim_cuda_templateIhEESt5tupleIJNSC_6TensorESH_SH_EERKSH_lbbbEUlllE1_EE10hipError_tPvRmT2_T3_mT4_P12ihipStream_tbEUlmE_lEESB_NS0_8identityIvEEEESM_SP_SQ_mSR_ST_bEUlT_E_NS1_11comp_targetILNS1_3genE5ELNS1_11target_archE942ELNS1_3gpuE9ELNS1_3repE0EEENS1_30default_config_static_selectorELNS0_4arch9wavefront6targetE1EEEvT1_, .Lfunc_end67-_ZN7rocprim17ROCPRIM_400000_NS6detail17trampoline_kernelINS0_14default_configENS1_25transform_config_selectorIlLb0EEEZNS1_14transform_implILb0ES3_S5_NS0_18transform_iteratorINS0_17counting_iteratorImlEEZNS1_24adjacent_difference_implIS3_Lb1ELb0EPlSB_ZN2at6native12_GLOBAL__N_124unique_dim_cuda_templateIhEESt5tupleIJNSC_6TensorESH_SH_EERKSH_lbbbEUlllE1_EE10hipError_tPvRmT2_T3_mT4_P12ihipStream_tbEUlmE_lEESB_NS0_8identityIvEEEESM_SP_SQ_mSR_ST_bEUlT_E_NS1_11comp_targetILNS1_3genE5ELNS1_11target_archE942ELNS1_3gpuE9ELNS1_3repE0EEENS1_30default_config_static_selectorELNS0_4arch9wavefront6targetE1EEEvT1_
                                        ; -- End function
	.set _ZN7rocprim17ROCPRIM_400000_NS6detail17trampoline_kernelINS0_14default_configENS1_25transform_config_selectorIlLb0EEEZNS1_14transform_implILb0ES3_S5_NS0_18transform_iteratorINS0_17counting_iteratorImlEEZNS1_24adjacent_difference_implIS3_Lb1ELb0EPlSB_ZN2at6native12_GLOBAL__N_124unique_dim_cuda_templateIhEESt5tupleIJNSC_6TensorESH_SH_EERKSH_lbbbEUlllE1_EE10hipError_tPvRmT2_T3_mT4_P12ihipStream_tbEUlmE_lEESB_NS0_8identityIvEEEESM_SP_SQ_mSR_ST_bEUlT_E_NS1_11comp_targetILNS1_3genE5ELNS1_11target_archE942ELNS1_3gpuE9ELNS1_3repE0EEENS1_30default_config_static_selectorELNS0_4arch9wavefront6targetE1EEEvT1_.num_vgpr, 0
	.set _ZN7rocprim17ROCPRIM_400000_NS6detail17trampoline_kernelINS0_14default_configENS1_25transform_config_selectorIlLb0EEEZNS1_14transform_implILb0ES3_S5_NS0_18transform_iteratorINS0_17counting_iteratorImlEEZNS1_24adjacent_difference_implIS3_Lb1ELb0EPlSB_ZN2at6native12_GLOBAL__N_124unique_dim_cuda_templateIhEESt5tupleIJNSC_6TensorESH_SH_EERKSH_lbbbEUlllE1_EE10hipError_tPvRmT2_T3_mT4_P12ihipStream_tbEUlmE_lEESB_NS0_8identityIvEEEESM_SP_SQ_mSR_ST_bEUlT_E_NS1_11comp_targetILNS1_3genE5ELNS1_11target_archE942ELNS1_3gpuE9ELNS1_3repE0EEENS1_30default_config_static_selectorELNS0_4arch9wavefront6targetE1EEEvT1_.num_agpr, 0
	.set _ZN7rocprim17ROCPRIM_400000_NS6detail17trampoline_kernelINS0_14default_configENS1_25transform_config_selectorIlLb0EEEZNS1_14transform_implILb0ES3_S5_NS0_18transform_iteratorINS0_17counting_iteratorImlEEZNS1_24adjacent_difference_implIS3_Lb1ELb0EPlSB_ZN2at6native12_GLOBAL__N_124unique_dim_cuda_templateIhEESt5tupleIJNSC_6TensorESH_SH_EERKSH_lbbbEUlllE1_EE10hipError_tPvRmT2_T3_mT4_P12ihipStream_tbEUlmE_lEESB_NS0_8identityIvEEEESM_SP_SQ_mSR_ST_bEUlT_E_NS1_11comp_targetILNS1_3genE5ELNS1_11target_archE942ELNS1_3gpuE9ELNS1_3repE0EEENS1_30default_config_static_selectorELNS0_4arch9wavefront6targetE1EEEvT1_.numbered_sgpr, 0
	.set _ZN7rocprim17ROCPRIM_400000_NS6detail17trampoline_kernelINS0_14default_configENS1_25transform_config_selectorIlLb0EEEZNS1_14transform_implILb0ES3_S5_NS0_18transform_iteratorINS0_17counting_iteratorImlEEZNS1_24adjacent_difference_implIS3_Lb1ELb0EPlSB_ZN2at6native12_GLOBAL__N_124unique_dim_cuda_templateIhEESt5tupleIJNSC_6TensorESH_SH_EERKSH_lbbbEUlllE1_EE10hipError_tPvRmT2_T3_mT4_P12ihipStream_tbEUlmE_lEESB_NS0_8identityIvEEEESM_SP_SQ_mSR_ST_bEUlT_E_NS1_11comp_targetILNS1_3genE5ELNS1_11target_archE942ELNS1_3gpuE9ELNS1_3repE0EEENS1_30default_config_static_selectorELNS0_4arch9wavefront6targetE1EEEvT1_.num_named_barrier, 0
	.set _ZN7rocprim17ROCPRIM_400000_NS6detail17trampoline_kernelINS0_14default_configENS1_25transform_config_selectorIlLb0EEEZNS1_14transform_implILb0ES3_S5_NS0_18transform_iteratorINS0_17counting_iteratorImlEEZNS1_24adjacent_difference_implIS3_Lb1ELb0EPlSB_ZN2at6native12_GLOBAL__N_124unique_dim_cuda_templateIhEESt5tupleIJNSC_6TensorESH_SH_EERKSH_lbbbEUlllE1_EE10hipError_tPvRmT2_T3_mT4_P12ihipStream_tbEUlmE_lEESB_NS0_8identityIvEEEESM_SP_SQ_mSR_ST_bEUlT_E_NS1_11comp_targetILNS1_3genE5ELNS1_11target_archE942ELNS1_3gpuE9ELNS1_3repE0EEENS1_30default_config_static_selectorELNS0_4arch9wavefront6targetE1EEEvT1_.private_seg_size, 0
	.set _ZN7rocprim17ROCPRIM_400000_NS6detail17trampoline_kernelINS0_14default_configENS1_25transform_config_selectorIlLb0EEEZNS1_14transform_implILb0ES3_S5_NS0_18transform_iteratorINS0_17counting_iteratorImlEEZNS1_24adjacent_difference_implIS3_Lb1ELb0EPlSB_ZN2at6native12_GLOBAL__N_124unique_dim_cuda_templateIhEESt5tupleIJNSC_6TensorESH_SH_EERKSH_lbbbEUlllE1_EE10hipError_tPvRmT2_T3_mT4_P12ihipStream_tbEUlmE_lEESB_NS0_8identityIvEEEESM_SP_SQ_mSR_ST_bEUlT_E_NS1_11comp_targetILNS1_3genE5ELNS1_11target_archE942ELNS1_3gpuE9ELNS1_3repE0EEENS1_30default_config_static_selectorELNS0_4arch9wavefront6targetE1EEEvT1_.uses_vcc, 0
	.set _ZN7rocprim17ROCPRIM_400000_NS6detail17trampoline_kernelINS0_14default_configENS1_25transform_config_selectorIlLb0EEEZNS1_14transform_implILb0ES3_S5_NS0_18transform_iteratorINS0_17counting_iteratorImlEEZNS1_24adjacent_difference_implIS3_Lb1ELb0EPlSB_ZN2at6native12_GLOBAL__N_124unique_dim_cuda_templateIhEESt5tupleIJNSC_6TensorESH_SH_EERKSH_lbbbEUlllE1_EE10hipError_tPvRmT2_T3_mT4_P12ihipStream_tbEUlmE_lEESB_NS0_8identityIvEEEESM_SP_SQ_mSR_ST_bEUlT_E_NS1_11comp_targetILNS1_3genE5ELNS1_11target_archE942ELNS1_3gpuE9ELNS1_3repE0EEENS1_30default_config_static_selectorELNS0_4arch9wavefront6targetE1EEEvT1_.uses_flat_scratch, 0
	.set _ZN7rocprim17ROCPRIM_400000_NS6detail17trampoline_kernelINS0_14default_configENS1_25transform_config_selectorIlLb0EEEZNS1_14transform_implILb0ES3_S5_NS0_18transform_iteratorINS0_17counting_iteratorImlEEZNS1_24adjacent_difference_implIS3_Lb1ELb0EPlSB_ZN2at6native12_GLOBAL__N_124unique_dim_cuda_templateIhEESt5tupleIJNSC_6TensorESH_SH_EERKSH_lbbbEUlllE1_EE10hipError_tPvRmT2_T3_mT4_P12ihipStream_tbEUlmE_lEESB_NS0_8identityIvEEEESM_SP_SQ_mSR_ST_bEUlT_E_NS1_11comp_targetILNS1_3genE5ELNS1_11target_archE942ELNS1_3gpuE9ELNS1_3repE0EEENS1_30default_config_static_selectorELNS0_4arch9wavefront6targetE1EEEvT1_.has_dyn_sized_stack, 0
	.set _ZN7rocprim17ROCPRIM_400000_NS6detail17trampoline_kernelINS0_14default_configENS1_25transform_config_selectorIlLb0EEEZNS1_14transform_implILb0ES3_S5_NS0_18transform_iteratorINS0_17counting_iteratorImlEEZNS1_24adjacent_difference_implIS3_Lb1ELb0EPlSB_ZN2at6native12_GLOBAL__N_124unique_dim_cuda_templateIhEESt5tupleIJNSC_6TensorESH_SH_EERKSH_lbbbEUlllE1_EE10hipError_tPvRmT2_T3_mT4_P12ihipStream_tbEUlmE_lEESB_NS0_8identityIvEEEESM_SP_SQ_mSR_ST_bEUlT_E_NS1_11comp_targetILNS1_3genE5ELNS1_11target_archE942ELNS1_3gpuE9ELNS1_3repE0EEENS1_30default_config_static_selectorELNS0_4arch9wavefront6targetE1EEEvT1_.has_recursion, 0
	.set _ZN7rocprim17ROCPRIM_400000_NS6detail17trampoline_kernelINS0_14default_configENS1_25transform_config_selectorIlLb0EEEZNS1_14transform_implILb0ES3_S5_NS0_18transform_iteratorINS0_17counting_iteratorImlEEZNS1_24adjacent_difference_implIS3_Lb1ELb0EPlSB_ZN2at6native12_GLOBAL__N_124unique_dim_cuda_templateIhEESt5tupleIJNSC_6TensorESH_SH_EERKSH_lbbbEUlllE1_EE10hipError_tPvRmT2_T3_mT4_P12ihipStream_tbEUlmE_lEESB_NS0_8identityIvEEEESM_SP_SQ_mSR_ST_bEUlT_E_NS1_11comp_targetILNS1_3genE5ELNS1_11target_archE942ELNS1_3gpuE9ELNS1_3repE0EEENS1_30default_config_static_selectorELNS0_4arch9wavefront6targetE1EEEvT1_.has_indirect_call, 0
	.section	.AMDGPU.csdata,"",@progbits
; Kernel info:
; codeLenInByte = 0
; TotalNumSgprs: 6
; NumVgprs: 0
; NumAgprs: 0
; TotalNumVgprs: 0
; ScratchSize: 0
; MemoryBound: 0
; FloatMode: 240
; IeeeMode: 1
; LDSByteSize: 0 bytes/workgroup (compile time only)
; SGPRBlocks: 0
; VGPRBlocks: 0
; NumSGPRsForWavesPerEU: 6
; NumVGPRsForWavesPerEU: 1
; AccumOffset: 4
; Occupancy: 8
; WaveLimiterHint : 0
; COMPUTE_PGM_RSRC2:SCRATCH_EN: 0
; COMPUTE_PGM_RSRC2:USER_SGPR: 2
; COMPUTE_PGM_RSRC2:TRAP_HANDLER: 0
; COMPUTE_PGM_RSRC2:TGID_X_EN: 1
; COMPUTE_PGM_RSRC2:TGID_Y_EN: 0
; COMPUTE_PGM_RSRC2:TGID_Z_EN: 0
; COMPUTE_PGM_RSRC2:TIDIG_COMP_CNT: 0
; COMPUTE_PGM_RSRC3_GFX90A:ACCUM_OFFSET: 0
; COMPUTE_PGM_RSRC3_GFX90A:TG_SPLIT: 0
	.section	.text._ZN7rocprim17ROCPRIM_400000_NS6detail17trampoline_kernelINS0_14default_configENS1_25transform_config_selectorIlLb0EEEZNS1_14transform_implILb0ES3_S5_NS0_18transform_iteratorINS0_17counting_iteratorImlEEZNS1_24adjacent_difference_implIS3_Lb1ELb0EPlSB_ZN2at6native12_GLOBAL__N_124unique_dim_cuda_templateIhEESt5tupleIJNSC_6TensorESH_SH_EERKSH_lbbbEUlllE1_EE10hipError_tPvRmT2_T3_mT4_P12ihipStream_tbEUlmE_lEESB_NS0_8identityIvEEEESM_SP_SQ_mSR_ST_bEUlT_E_NS1_11comp_targetILNS1_3genE4ELNS1_11target_archE910ELNS1_3gpuE8ELNS1_3repE0EEENS1_30default_config_static_selectorELNS0_4arch9wavefront6targetE1EEEvT1_,"axG",@progbits,_ZN7rocprim17ROCPRIM_400000_NS6detail17trampoline_kernelINS0_14default_configENS1_25transform_config_selectorIlLb0EEEZNS1_14transform_implILb0ES3_S5_NS0_18transform_iteratorINS0_17counting_iteratorImlEEZNS1_24adjacent_difference_implIS3_Lb1ELb0EPlSB_ZN2at6native12_GLOBAL__N_124unique_dim_cuda_templateIhEESt5tupleIJNSC_6TensorESH_SH_EERKSH_lbbbEUlllE1_EE10hipError_tPvRmT2_T3_mT4_P12ihipStream_tbEUlmE_lEESB_NS0_8identityIvEEEESM_SP_SQ_mSR_ST_bEUlT_E_NS1_11comp_targetILNS1_3genE4ELNS1_11target_archE910ELNS1_3gpuE8ELNS1_3repE0EEENS1_30default_config_static_selectorELNS0_4arch9wavefront6targetE1EEEvT1_,comdat
	.globl	_ZN7rocprim17ROCPRIM_400000_NS6detail17trampoline_kernelINS0_14default_configENS1_25transform_config_selectorIlLb0EEEZNS1_14transform_implILb0ES3_S5_NS0_18transform_iteratorINS0_17counting_iteratorImlEEZNS1_24adjacent_difference_implIS3_Lb1ELb0EPlSB_ZN2at6native12_GLOBAL__N_124unique_dim_cuda_templateIhEESt5tupleIJNSC_6TensorESH_SH_EERKSH_lbbbEUlllE1_EE10hipError_tPvRmT2_T3_mT4_P12ihipStream_tbEUlmE_lEESB_NS0_8identityIvEEEESM_SP_SQ_mSR_ST_bEUlT_E_NS1_11comp_targetILNS1_3genE4ELNS1_11target_archE910ELNS1_3gpuE8ELNS1_3repE0EEENS1_30default_config_static_selectorELNS0_4arch9wavefront6targetE1EEEvT1_ ; -- Begin function _ZN7rocprim17ROCPRIM_400000_NS6detail17trampoline_kernelINS0_14default_configENS1_25transform_config_selectorIlLb0EEEZNS1_14transform_implILb0ES3_S5_NS0_18transform_iteratorINS0_17counting_iteratorImlEEZNS1_24adjacent_difference_implIS3_Lb1ELb0EPlSB_ZN2at6native12_GLOBAL__N_124unique_dim_cuda_templateIhEESt5tupleIJNSC_6TensorESH_SH_EERKSH_lbbbEUlllE1_EE10hipError_tPvRmT2_T3_mT4_P12ihipStream_tbEUlmE_lEESB_NS0_8identityIvEEEESM_SP_SQ_mSR_ST_bEUlT_E_NS1_11comp_targetILNS1_3genE4ELNS1_11target_archE910ELNS1_3gpuE8ELNS1_3repE0EEENS1_30default_config_static_selectorELNS0_4arch9wavefront6targetE1EEEvT1_
	.p2align	8
	.type	_ZN7rocprim17ROCPRIM_400000_NS6detail17trampoline_kernelINS0_14default_configENS1_25transform_config_selectorIlLb0EEEZNS1_14transform_implILb0ES3_S5_NS0_18transform_iteratorINS0_17counting_iteratorImlEEZNS1_24adjacent_difference_implIS3_Lb1ELb0EPlSB_ZN2at6native12_GLOBAL__N_124unique_dim_cuda_templateIhEESt5tupleIJNSC_6TensorESH_SH_EERKSH_lbbbEUlllE1_EE10hipError_tPvRmT2_T3_mT4_P12ihipStream_tbEUlmE_lEESB_NS0_8identityIvEEEESM_SP_SQ_mSR_ST_bEUlT_E_NS1_11comp_targetILNS1_3genE4ELNS1_11target_archE910ELNS1_3gpuE8ELNS1_3repE0EEENS1_30default_config_static_selectorELNS0_4arch9wavefront6targetE1EEEvT1_,@function
_ZN7rocprim17ROCPRIM_400000_NS6detail17trampoline_kernelINS0_14default_configENS1_25transform_config_selectorIlLb0EEEZNS1_14transform_implILb0ES3_S5_NS0_18transform_iteratorINS0_17counting_iteratorImlEEZNS1_24adjacent_difference_implIS3_Lb1ELb0EPlSB_ZN2at6native12_GLOBAL__N_124unique_dim_cuda_templateIhEESt5tupleIJNSC_6TensorESH_SH_EERKSH_lbbbEUlllE1_EE10hipError_tPvRmT2_T3_mT4_P12ihipStream_tbEUlmE_lEESB_NS0_8identityIvEEEESM_SP_SQ_mSR_ST_bEUlT_E_NS1_11comp_targetILNS1_3genE4ELNS1_11target_archE910ELNS1_3gpuE8ELNS1_3repE0EEENS1_30default_config_static_selectorELNS0_4arch9wavefront6targetE1EEEvT1_: ; @_ZN7rocprim17ROCPRIM_400000_NS6detail17trampoline_kernelINS0_14default_configENS1_25transform_config_selectorIlLb0EEEZNS1_14transform_implILb0ES3_S5_NS0_18transform_iteratorINS0_17counting_iteratorImlEEZNS1_24adjacent_difference_implIS3_Lb1ELb0EPlSB_ZN2at6native12_GLOBAL__N_124unique_dim_cuda_templateIhEESt5tupleIJNSC_6TensorESH_SH_EERKSH_lbbbEUlllE1_EE10hipError_tPvRmT2_T3_mT4_P12ihipStream_tbEUlmE_lEESB_NS0_8identityIvEEEESM_SP_SQ_mSR_ST_bEUlT_E_NS1_11comp_targetILNS1_3genE4ELNS1_11target_archE910ELNS1_3gpuE8ELNS1_3repE0EEENS1_30default_config_static_selectorELNS0_4arch9wavefront6targetE1EEEvT1_
; %bb.0:
	.section	.rodata,"a",@progbits
	.p2align	6, 0x0
	.amdhsa_kernel _ZN7rocprim17ROCPRIM_400000_NS6detail17trampoline_kernelINS0_14default_configENS1_25transform_config_selectorIlLb0EEEZNS1_14transform_implILb0ES3_S5_NS0_18transform_iteratorINS0_17counting_iteratorImlEEZNS1_24adjacent_difference_implIS3_Lb1ELb0EPlSB_ZN2at6native12_GLOBAL__N_124unique_dim_cuda_templateIhEESt5tupleIJNSC_6TensorESH_SH_EERKSH_lbbbEUlllE1_EE10hipError_tPvRmT2_T3_mT4_P12ihipStream_tbEUlmE_lEESB_NS0_8identityIvEEEESM_SP_SQ_mSR_ST_bEUlT_E_NS1_11comp_targetILNS1_3genE4ELNS1_11target_archE910ELNS1_3gpuE8ELNS1_3repE0EEENS1_30default_config_static_selectorELNS0_4arch9wavefront6targetE1EEEvT1_
		.amdhsa_group_segment_fixed_size 0
		.amdhsa_private_segment_fixed_size 0
		.amdhsa_kernarg_size 56
		.amdhsa_user_sgpr_count 2
		.amdhsa_user_sgpr_dispatch_ptr 0
		.amdhsa_user_sgpr_queue_ptr 0
		.amdhsa_user_sgpr_kernarg_segment_ptr 1
		.amdhsa_user_sgpr_dispatch_id 0
		.amdhsa_user_sgpr_kernarg_preload_length 0
		.amdhsa_user_sgpr_kernarg_preload_offset 0
		.amdhsa_user_sgpr_private_segment_size 0
		.amdhsa_uses_dynamic_stack 0
		.amdhsa_enable_private_segment 0
		.amdhsa_system_sgpr_workgroup_id_x 1
		.amdhsa_system_sgpr_workgroup_id_y 0
		.amdhsa_system_sgpr_workgroup_id_z 0
		.amdhsa_system_sgpr_workgroup_info 0
		.amdhsa_system_vgpr_workitem_id 0
		.amdhsa_next_free_vgpr 1
		.amdhsa_next_free_sgpr 0
		.amdhsa_accum_offset 4
		.amdhsa_reserve_vcc 0
		.amdhsa_float_round_mode_32 0
		.amdhsa_float_round_mode_16_64 0
		.amdhsa_float_denorm_mode_32 3
		.amdhsa_float_denorm_mode_16_64 3
		.amdhsa_dx10_clamp 1
		.amdhsa_ieee_mode 1
		.amdhsa_fp16_overflow 0
		.amdhsa_tg_split 0
		.amdhsa_exception_fp_ieee_invalid_op 0
		.amdhsa_exception_fp_denorm_src 0
		.amdhsa_exception_fp_ieee_div_zero 0
		.amdhsa_exception_fp_ieee_overflow 0
		.amdhsa_exception_fp_ieee_underflow 0
		.amdhsa_exception_fp_ieee_inexact 0
		.amdhsa_exception_int_div_zero 0
	.end_amdhsa_kernel
	.section	.text._ZN7rocprim17ROCPRIM_400000_NS6detail17trampoline_kernelINS0_14default_configENS1_25transform_config_selectorIlLb0EEEZNS1_14transform_implILb0ES3_S5_NS0_18transform_iteratorINS0_17counting_iteratorImlEEZNS1_24adjacent_difference_implIS3_Lb1ELb0EPlSB_ZN2at6native12_GLOBAL__N_124unique_dim_cuda_templateIhEESt5tupleIJNSC_6TensorESH_SH_EERKSH_lbbbEUlllE1_EE10hipError_tPvRmT2_T3_mT4_P12ihipStream_tbEUlmE_lEESB_NS0_8identityIvEEEESM_SP_SQ_mSR_ST_bEUlT_E_NS1_11comp_targetILNS1_3genE4ELNS1_11target_archE910ELNS1_3gpuE8ELNS1_3repE0EEENS1_30default_config_static_selectorELNS0_4arch9wavefront6targetE1EEEvT1_,"axG",@progbits,_ZN7rocprim17ROCPRIM_400000_NS6detail17trampoline_kernelINS0_14default_configENS1_25transform_config_selectorIlLb0EEEZNS1_14transform_implILb0ES3_S5_NS0_18transform_iteratorINS0_17counting_iteratorImlEEZNS1_24adjacent_difference_implIS3_Lb1ELb0EPlSB_ZN2at6native12_GLOBAL__N_124unique_dim_cuda_templateIhEESt5tupleIJNSC_6TensorESH_SH_EERKSH_lbbbEUlllE1_EE10hipError_tPvRmT2_T3_mT4_P12ihipStream_tbEUlmE_lEESB_NS0_8identityIvEEEESM_SP_SQ_mSR_ST_bEUlT_E_NS1_11comp_targetILNS1_3genE4ELNS1_11target_archE910ELNS1_3gpuE8ELNS1_3repE0EEENS1_30default_config_static_selectorELNS0_4arch9wavefront6targetE1EEEvT1_,comdat
.Lfunc_end68:
	.size	_ZN7rocprim17ROCPRIM_400000_NS6detail17trampoline_kernelINS0_14default_configENS1_25transform_config_selectorIlLb0EEEZNS1_14transform_implILb0ES3_S5_NS0_18transform_iteratorINS0_17counting_iteratorImlEEZNS1_24adjacent_difference_implIS3_Lb1ELb0EPlSB_ZN2at6native12_GLOBAL__N_124unique_dim_cuda_templateIhEESt5tupleIJNSC_6TensorESH_SH_EERKSH_lbbbEUlllE1_EE10hipError_tPvRmT2_T3_mT4_P12ihipStream_tbEUlmE_lEESB_NS0_8identityIvEEEESM_SP_SQ_mSR_ST_bEUlT_E_NS1_11comp_targetILNS1_3genE4ELNS1_11target_archE910ELNS1_3gpuE8ELNS1_3repE0EEENS1_30default_config_static_selectorELNS0_4arch9wavefront6targetE1EEEvT1_, .Lfunc_end68-_ZN7rocprim17ROCPRIM_400000_NS6detail17trampoline_kernelINS0_14default_configENS1_25transform_config_selectorIlLb0EEEZNS1_14transform_implILb0ES3_S5_NS0_18transform_iteratorINS0_17counting_iteratorImlEEZNS1_24adjacent_difference_implIS3_Lb1ELb0EPlSB_ZN2at6native12_GLOBAL__N_124unique_dim_cuda_templateIhEESt5tupleIJNSC_6TensorESH_SH_EERKSH_lbbbEUlllE1_EE10hipError_tPvRmT2_T3_mT4_P12ihipStream_tbEUlmE_lEESB_NS0_8identityIvEEEESM_SP_SQ_mSR_ST_bEUlT_E_NS1_11comp_targetILNS1_3genE4ELNS1_11target_archE910ELNS1_3gpuE8ELNS1_3repE0EEENS1_30default_config_static_selectorELNS0_4arch9wavefront6targetE1EEEvT1_
                                        ; -- End function
	.set _ZN7rocprim17ROCPRIM_400000_NS6detail17trampoline_kernelINS0_14default_configENS1_25transform_config_selectorIlLb0EEEZNS1_14transform_implILb0ES3_S5_NS0_18transform_iteratorINS0_17counting_iteratorImlEEZNS1_24adjacent_difference_implIS3_Lb1ELb0EPlSB_ZN2at6native12_GLOBAL__N_124unique_dim_cuda_templateIhEESt5tupleIJNSC_6TensorESH_SH_EERKSH_lbbbEUlllE1_EE10hipError_tPvRmT2_T3_mT4_P12ihipStream_tbEUlmE_lEESB_NS0_8identityIvEEEESM_SP_SQ_mSR_ST_bEUlT_E_NS1_11comp_targetILNS1_3genE4ELNS1_11target_archE910ELNS1_3gpuE8ELNS1_3repE0EEENS1_30default_config_static_selectorELNS0_4arch9wavefront6targetE1EEEvT1_.num_vgpr, 0
	.set _ZN7rocprim17ROCPRIM_400000_NS6detail17trampoline_kernelINS0_14default_configENS1_25transform_config_selectorIlLb0EEEZNS1_14transform_implILb0ES3_S5_NS0_18transform_iteratorINS0_17counting_iteratorImlEEZNS1_24adjacent_difference_implIS3_Lb1ELb0EPlSB_ZN2at6native12_GLOBAL__N_124unique_dim_cuda_templateIhEESt5tupleIJNSC_6TensorESH_SH_EERKSH_lbbbEUlllE1_EE10hipError_tPvRmT2_T3_mT4_P12ihipStream_tbEUlmE_lEESB_NS0_8identityIvEEEESM_SP_SQ_mSR_ST_bEUlT_E_NS1_11comp_targetILNS1_3genE4ELNS1_11target_archE910ELNS1_3gpuE8ELNS1_3repE0EEENS1_30default_config_static_selectorELNS0_4arch9wavefront6targetE1EEEvT1_.num_agpr, 0
	.set _ZN7rocprim17ROCPRIM_400000_NS6detail17trampoline_kernelINS0_14default_configENS1_25transform_config_selectorIlLb0EEEZNS1_14transform_implILb0ES3_S5_NS0_18transform_iteratorINS0_17counting_iteratorImlEEZNS1_24adjacent_difference_implIS3_Lb1ELb0EPlSB_ZN2at6native12_GLOBAL__N_124unique_dim_cuda_templateIhEESt5tupleIJNSC_6TensorESH_SH_EERKSH_lbbbEUlllE1_EE10hipError_tPvRmT2_T3_mT4_P12ihipStream_tbEUlmE_lEESB_NS0_8identityIvEEEESM_SP_SQ_mSR_ST_bEUlT_E_NS1_11comp_targetILNS1_3genE4ELNS1_11target_archE910ELNS1_3gpuE8ELNS1_3repE0EEENS1_30default_config_static_selectorELNS0_4arch9wavefront6targetE1EEEvT1_.numbered_sgpr, 0
	.set _ZN7rocprim17ROCPRIM_400000_NS6detail17trampoline_kernelINS0_14default_configENS1_25transform_config_selectorIlLb0EEEZNS1_14transform_implILb0ES3_S5_NS0_18transform_iteratorINS0_17counting_iteratorImlEEZNS1_24adjacent_difference_implIS3_Lb1ELb0EPlSB_ZN2at6native12_GLOBAL__N_124unique_dim_cuda_templateIhEESt5tupleIJNSC_6TensorESH_SH_EERKSH_lbbbEUlllE1_EE10hipError_tPvRmT2_T3_mT4_P12ihipStream_tbEUlmE_lEESB_NS0_8identityIvEEEESM_SP_SQ_mSR_ST_bEUlT_E_NS1_11comp_targetILNS1_3genE4ELNS1_11target_archE910ELNS1_3gpuE8ELNS1_3repE0EEENS1_30default_config_static_selectorELNS0_4arch9wavefront6targetE1EEEvT1_.num_named_barrier, 0
	.set _ZN7rocprim17ROCPRIM_400000_NS6detail17trampoline_kernelINS0_14default_configENS1_25transform_config_selectorIlLb0EEEZNS1_14transform_implILb0ES3_S5_NS0_18transform_iteratorINS0_17counting_iteratorImlEEZNS1_24adjacent_difference_implIS3_Lb1ELb0EPlSB_ZN2at6native12_GLOBAL__N_124unique_dim_cuda_templateIhEESt5tupleIJNSC_6TensorESH_SH_EERKSH_lbbbEUlllE1_EE10hipError_tPvRmT2_T3_mT4_P12ihipStream_tbEUlmE_lEESB_NS0_8identityIvEEEESM_SP_SQ_mSR_ST_bEUlT_E_NS1_11comp_targetILNS1_3genE4ELNS1_11target_archE910ELNS1_3gpuE8ELNS1_3repE0EEENS1_30default_config_static_selectorELNS0_4arch9wavefront6targetE1EEEvT1_.private_seg_size, 0
	.set _ZN7rocprim17ROCPRIM_400000_NS6detail17trampoline_kernelINS0_14default_configENS1_25transform_config_selectorIlLb0EEEZNS1_14transform_implILb0ES3_S5_NS0_18transform_iteratorINS0_17counting_iteratorImlEEZNS1_24adjacent_difference_implIS3_Lb1ELb0EPlSB_ZN2at6native12_GLOBAL__N_124unique_dim_cuda_templateIhEESt5tupleIJNSC_6TensorESH_SH_EERKSH_lbbbEUlllE1_EE10hipError_tPvRmT2_T3_mT4_P12ihipStream_tbEUlmE_lEESB_NS0_8identityIvEEEESM_SP_SQ_mSR_ST_bEUlT_E_NS1_11comp_targetILNS1_3genE4ELNS1_11target_archE910ELNS1_3gpuE8ELNS1_3repE0EEENS1_30default_config_static_selectorELNS0_4arch9wavefront6targetE1EEEvT1_.uses_vcc, 0
	.set _ZN7rocprim17ROCPRIM_400000_NS6detail17trampoline_kernelINS0_14default_configENS1_25transform_config_selectorIlLb0EEEZNS1_14transform_implILb0ES3_S5_NS0_18transform_iteratorINS0_17counting_iteratorImlEEZNS1_24adjacent_difference_implIS3_Lb1ELb0EPlSB_ZN2at6native12_GLOBAL__N_124unique_dim_cuda_templateIhEESt5tupleIJNSC_6TensorESH_SH_EERKSH_lbbbEUlllE1_EE10hipError_tPvRmT2_T3_mT4_P12ihipStream_tbEUlmE_lEESB_NS0_8identityIvEEEESM_SP_SQ_mSR_ST_bEUlT_E_NS1_11comp_targetILNS1_3genE4ELNS1_11target_archE910ELNS1_3gpuE8ELNS1_3repE0EEENS1_30default_config_static_selectorELNS0_4arch9wavefront6targetE1EEEvT1_.uses_flat_scratch, 0
	.set _ZN7rocprim17ROCPRIM_400000_NS6detail17trampoline_kernelINS0_14default_configENS1_25transform_config_selectorIlLb0EEEZNS1_14transform_implILb0ES3_S5_NS0_18transform_iteratorINS0_17counting_iteratorImlEEZNS1_24adjacent_difference_implIS3_Lb1ELb0EPlSB_ZN2at6native12_GLOBAL__N_124unique_dim_cuda_templateIhEESt5tupleIJNSC_6TensorESH_SH_EERKSH_lbbbEUlllE1_EE10hipError_tPvRmT2_T3_mT4_P12ihipStream_tbEUlmE_lEESB_NS0_8identityIvEEEESM_SP_SQ_mSR_ST_bEUlT_E_NS1_11comp_targetILNS1_3genE4ELNS1_11target_archE910ELNS1_3gpuE8ELNS1_3repE0EEENS1_30default_config_static_selectorELNS0_4arch9wavefront6targetE1EEEvT1_.has_dyn_sized_stack, 0
	.set _ZN7rocprim17ROCPRIM_400000_NS6detail17trampoline_kernelINS0_14default_configENS1_25transform_config_selectorIlLb0EEEZNS1_14transform_implILb0ES3_S5_NS0_18transform_iteratorINS0_17counting_iteratorImlEEZNS1_24adjacent_difference_implIS3_Lb1ELb0EPlSB_ZN2at6native12_GLOBAL__N_124unique_dim_cuda_templateIhEESt5tupleIJNSC_6TensorESH_SH_EERKSH_lbbbEUlllE1_EE10hipError_tPvRmT2_T3_mT4_P12ihipStream_tbEUlmE_lEESB_NS0_8identityIvEEEESM_SP_SQ_mSR_ST_bEUlT_E_NS1_11comp_targetILNS1_3genE4ELNS1_11target_archE910ELNS1_3gpuE8ELNS1_3repE0EEENS1_30default_config_static_selectorELNS0_4arch9wavefront6targetE1EEEvT1_.has_recursion, 0
	.set _ZN7rocprim17ROCPRIM_400000_NS6detail17trampoline_kernelINS0_14default_configENS1_25transform_config_selectorIlLb0EEEZNS1_14transform_implILb0ES3_S5_NS0_18transform_iteratorINS0_17counting_iteratorImlEEZNS1_24adjacent_difference_implIS3_Lb1ELb0EPlSB_ZN2at6native12_GLOBAL__N_124unique_dim_cuda_templateIhEESt5tupleIJNSC_6TensorESH_SH_EERKSH_lbbbEUlllE1_EE10hipError_tPvRmT2_T3_mT4_P12ihipStream_tbEUlmE_lEESB_NS0_8identityIvEEEESM_SP_SQ_mSR_ST_bEUlT_E_NS1_11comp_targetILNS1_3genE4ELNS1_11target_archE910ELNS1_3gpuE8ELNS1_3repE0EEENS1_30default_config_static_selectorELNS0_4arch9wavefront6targetE1EEEvT1_.has_indirect_call, 0
	.section	.AMDGPU.csdata,"",@progbits
; Kernel info:
; codeLenInByte = 0
; TotalNumSgprs: 6
; NumVgprs: 0
; NumAgprs: 0
; TotalNumVgprs: 0
; ScratchSize: 0
; MemoryBound: 0
; FloatMode: 240
; IeeeMode: 1
; LDSByteSize: 0 bytes/workgroup (compile time only)
; SGPRBlocks: 0
; VGPRBlocks: 0
; NumSGPRsForWavesPerEU: 6
; NumVGPRsForWavesPerEU: 1
; AccumOffset: 4
; Occupancy: 8
; WaveLimiterHint : 0
; COMPUTE_PGM_RSRC2:SCRATCH_EN: 0
; COMPUTE_PGM_RSRC2:USER_SGPR: 2
; COMPUTE_PGM_RSRC2:TRAP_HANDLER: 0
; COMPUTE_PGM_RSRC2:TGID_X_EN: 1
; COMPUTE_PGM_RSRC2:TGID_Y_EN: 0
; COMPUTE_PGM_RSRC2:TGID_Z_EN: 0
; COMPUTE_PGM_RSRC2:TIDIG_COMP_CNT: 0
; COMPUTE_PGM_RSRC3_GFX90A:ACCUM_OFFSET: 0
; COMPUTE_PGM_RSRC3_GFX90A:TG_SPLIT: 0
	.section	.text._ZN7rocprim17ROCPRIM_400000_NS6detail17trampoline_kernelINS0_14default_configENS1_25transform_config_selectorIlLb0EEEZNS1_14transform_implILb0ES3_S5_NS0_18transform_iteratorINS0_17counting_iteratorImlEEZNS1_24adjacent_difference_implIS3_Lb1ELb0EPlSB_ZN2at6native12_GLOBAL__N_124unique_dim_cuda_templateIhEESt5tupleIJNSC_6TensorESH_SH_EERKSH_lbbbEUlllE1_EE10hipError_tPvRmT2_T3_mT4_P12ihipStream_tbEUlmE_lEESB_NS0_8identityIvEEEESM_SP_SQ_mSR_ST_bEUlT_E_NS1_11comp_targetILNS1_3genE3ELNS1_11target_archE908ELNS1_3gpuE7ELNS1_3repE0EEENS1_30default_config_static_selectorELNS0_4arch9wavefront6targetE1EEEvT1_,"axG",@progbits,_ZN7rocprim17ROCPRIM_400000_NS6detail17trampoline_kernelINS0_14default_configENS1_25transform_config_selectorIlLb0EEEZNS1_14transform_implILb0ES3_S5_NS0_18transform_iteratorINS0_17counting_iteratorImlEEZNS1_24adjacent_difference_implIS3_Lb1ELb0EPlSB_ZN2at6native12_GLOBAL__N_124unique_dim_cuda_templateIhEESt5tupleIJNSC_6TensorESH_SH_EERKSH_lbbbEUlllE1_EE10hipError_tPvRmT2_T3_mT4_P12ihipStream_tbEUlmE_lEESB_NS0_8identityIvEEEESM_SP_SQ_mSR_ST_bEUlT_E_NS1_11comp_targetILNS1_3genE3ELNS1_11target_archE908ELNS1_3gpuE7ELNS1_3repE0EEENS1_30default_config_static_selectorELNS0_4arch9wavefront6targetE1EEEvT1_,comdat
	.globl	_ZN7rocprim17ROCPRIM_400000_NS6detail17trampoline_kernelINS0_14default_configENS1_25transform_config_selectorIlLb0EEEZNS1_14transform_implILb0ES3_S5_NS0_18transform_iteratorINS0_17counting_iteratorImlEEZNS1_24adjacent_difference_implIS3_Lb1ELb0EPlSB_ZN2at6native12_GLOBAL__N_124unique_dim_cuda_templateIhEESt5tupleIJNSC_6TensorESH_SH_EERKSH_lbbbEUlllE1_EE10hipError_tPvRmT2_T3_mT4_P12ihipStream_tbEUlmE_lEESB_NS0_8identityIvEEEESM_SP_SQ_mSR_ST_bEUlT_E_NS1_11comp_targetILNS1_3genE3ELNS1_11target_archE908ELNS1_3gpuE7ELNS1_3repE0EEENS1_30default_config_static_selectorELNS0_4arch9wavefront6targetE1EEEvT1_ ; -- Begin function _ZN7rocprim17ROCPRIM_400000_NS6detail17trampoline_kernelINS0_14default_configENS1_25transform_config_selectorIlLb0EEEZNS1_14transform_implILb0ES3_S5_NS0_18transform_iteratorINS0_17counting_iteratorImlEEZNS1_24adjacent_difference_implIS3_Lb1ELb0EPlSB_ZN2at6native12_GLOBAL__N_124unique_dim_cuda_templateIhEESt5tupleIJNSC_6TensorESH_SH_EERKSH_lbbbEUlllE1_EE10hipError_tPvRmT2_T3_mT4_P12ihipStream_tbEUlmE_lEESB_NS0_8identityIvEEEESM_SP_SQ_mSR_ST_bEUlT_E_NS1_11comp_targetILNS1_3genE3ELNS1_11target_archE908ELNS1_3gpuE7ELNS1_3repE0EEENS1_30default_config_static_selectorELNS0_4arch9wavefront6targetE1EEEvT1_
	.p2align	8
	.type	_ZN7rocprim17ROCPRIM_400000_NS6detail17trampoline_kernelINS0_14default_configENS1_25transform_config_selectorIlLb0EEEZNS1_14transform_implILb0ES3_S5_NS0_18transform_iteratorINS0_17counting_iteratorImlEEZNS1_24adjacent_difference_implIS3_Lb1ELb0EPlSB_ZN2at6native12_GLOBAL__N_124unique_dim_cuda_templateIhEESt5tupleIJNSC_6TensorESH_SH_EERKSH_lbbbEUlllE1_EE10hipError_tPvRmT2_T3_mT4_P12ihipStream_tbEUlmE_lEESB_NS0_8identityIvEEEESM_SP_SQ_mSR_ST_bEUlT_E_NS1_11comp_targetILNS1_3genE3ELNS1_11target_archE908ELNS1_3gpuE7ELNS1_3repE0EEENS1_30default_config_static_selectorELNS0_4arch9wavefront6targetE1EEEvT1_,@function
_ZN7rocprim17ROCPRIM_400000_NS6detail17trampoline_kernelINS0_14default_configENS1_25transform_config_selectorIlLb0EEEZNS1_14transform_implILb0ES3_S5_NS0_18transform_iteratorINS0_17counting_iteratorImlEEZNS1_24adjacent_difference_implIS3_Lb1ELb0EPlSB_ZN2at6native12_GLOBAL__N_124unique_dim_cuda_templateIhEESt5tupleIJNSC_6TensorESH_SH_EERKSH_lbbbEUlllE1_EE10hipError_tPvRmT2_T3_mT4_P12ihipStream_tbEUlmE_lEESB_NS0_8identityIvEEEESM_SP_SQ_mSR_ST_bEUlT_E_NS1_11comp_targetILNS1_3genE3ELNS1_11target_archE908ELNS1_3gpuE7ELNS1_3repE0EEENS1_30default_config_static_selectorELNS0_4arch9wavefront6targetE1EEEvT1_: ; @_ZN7rocprim17ROCPRIM_400000_NS6detail17trampoline_kernelINS0_14default_configENS1_25transform_config_selectorIlLb0EEEZNS1_14transform_implILb0ES3_S5_NS0_18transform_iteratorINS0_17counting_iteratorImlEEZNS1_24adjacent_difference_implIS3_Lb1ELb0EPlSB_ZN2at6native12_GLOBAL__N_124unique_dim_cuda_templateIhEESt5tupleIJNSC_6TensorESH_SH_EERKSH_lbbbEUlllE1_EE10hipError_tPvRmT2_T3_mT4_P12ihipStream_tbEUlmE_lEESB_NS0_8identityIvEEEESM_SP_SQ_mSR_ST_bEUlT_E_NS1_11comp_targetILNS1_3genE3ELNS1_11target_archE908ELNS1_3gpuE7ELNS1_3repE0EEENS1_30default_config_static_selectorELNS0_4arch9wavefront6targetE1EEEvT1_
; %bb.0:
	.section	.rodata,"a",@progbits
	.p2align	6, 0x0
	.amdhsa_kernel _ZN7rocprim17ROCPRIM_400000_NS6detail17trampoline_kernelINS0_14default_configENS1_25transform_config_selectorIlLb0EEEZNS1_14transform_implILb0ES3_S5_NS0_18transform_iteratorINS0_17counting_iteratorImlEEZNS1_24adjacent_difference_implIS3_Lb1ELb0EPlSB_ZN2at6native12_GLOBAL__N_124unique_dim_cuda_templateIhEESt5tupleIJNSC_6TensorESH_SH_EERKSH_lbbbEUlllE1_EE10hipError_tPvRmT2_T3_mT4_P12ihipStream_tbEUlmE_lEESB_NS0_8identityIvEEEESM_SP_SQ_mSR_ST_bEUlT_E_NS1_11comp_targetILNS1_3genE3ELNS1_11target_archE908ELNS1_3gpuE7ELNS1_3repE0EEENS1_30default_config_static_selectorELNS0_4arch9wavefront6targetE1EEEvT1_
		.amdhsa_group_segment_fixed_size 0
		.amdhsa_private_segment_fixed_size 0
		.amdhsa_kernarg_size 56
		.amdhsa_user_sgpr_count 2
		.amdhsa_user_sgpr_dispatch_ptr 0
		.amdhsa_user_sgpr_queue_ptr 0
		.amdhsa_user_sgpr_kernarg_segment_ptr 1
		.amdhsa_user_sgpr_dispatch_id 0
		.amdhsa_user_sgpr_kernarg_preload_length 0
		.amdhsa_user_sgpr_kernarg_preload_offset 0
		.amdhsa_user_sgpr_private_segment_size 0
		.amdhsa_uses_dynamic_stack 0
		.amdhsa_enable_private_segment 0
		.amdhsa_system_sgpr_workgroup_id_x 1
		.amdhsa_system_sgpr_workgroup_id_y 0
		.amdhsa_system_sgpr_workgroup_id_z 0
		.amdhsa_system_sgpr_workgroup_info 0
		.amdhsa_system_vgpr_workitem_id 0
		.amdhsa_next_free_vgpr 1
		.amdhsa_next_free_sgpr 0
		.amdhsa_accum_offset 4
		.amdhsa_reserve_vcc 0
		.amdhsa_float_round_mode_32 0
		.amdhsa_float_round_mode_16_64 0
		.amdhsa_float_denorm_mode_32 3
		.amdhsa_float_denorm_mode_16_64 3
		.amdhsa_dx10_clamp 1
		.amdhsa_ieee_mode 1
		.amdhsa_fp16_overflow 0
		.amdhsa_tg_split 0
		.amdhsa_exception_fp_ieee_invalid_op 0
		.amdhsa_exception_fp_denorm_src 0
		.amdhsa_exception_fp_ieee_div_zero 0
		.amdhsa_exception_fp_ieee_overflow 0
		.amdhsa_exception_fp_ieee_underflow 0
		.amdhsa_exception_fp_ieee_inexact 0
		.amdhsa_exception_int_div_zero 0
	.end_amdhsa_kernel
	.section	.text._ZN7rocprim17ROCPRIM_400000_NS6detail17trampoline_kernelINS0_14default_configENS1_25transform_config_selectorIlLb0EEEZNS1_14transform_implILb0ES3_S5_NS0_18transform_iteratorINS0_17counting_iteratorImlEEZNS1_24adjacent_difference_implIS3_Lb1ELb0EPlSB_ZN2at6native12_GLOBAL__N_124unique_dim_cuda_templateIhEESt5tupleIJNSC_6TensorESH_SH_EERKSH_lbbbEUlllE1_EE10hipError_tPvRmT2_T3_mT4_P12ihipStream_tbEUlmE_lEESB_NS0_8identityIvEEEESM_SP_SQ_mSR_ST_bEUlT_E_NS1_11comp_targetILNS1_3genE3ELNS1_11target_archE908ELNS1_3gpuE7ELNS1_3repE0EEENS1_30default_config_static_selectorELNS0_4arch9wavefront6targetE1EEEvT1_,"axG",@progbits,_ZN7rocprim17ROCPRIM_400000_NS6detail17trampoline_kernelINS0_14default_configENS1_25transform_config_selectorIlLb0EEEZNS1_14transform_implILb0ES3_S5_NS0_18transform_iteratorINS0_17counting_iteratorImlEEZNS1_24adjacent_difference_implIS3_Lb1ELb0EPlSB_ZN2at6native12_GLOBAL__N_124unique_dim_cuda_templateIhEESt5tupleIJNSC_6TensorESH_SH_EERKSH_lbbbEUlllE1_EE10hipError_tPvRmT2_T3_mT4_P12ihipStream_tbEUlmE_lEESB_NS0_8identityIvEEEESM_SP_SQ_mSR_ST_bEUlT_E_NS1_11comp_targetILNS1_3genE3ELNS1_11target_archE908ELNS1_3gpuE7ELNS1_3repE0EEENS1_30default_config_static_selectorELNS0_4arch9wavefront6targetE1EEEvT1_,comdat
.Lfunc_end69:
	.size	_ZN7rocprim17ROCPRIM_400000_NS6detail17trampoline_kernelINS0_14default_configENS1_25transform_config_selectorIlLb0EEEZNS1_14transform_implILb0ES3_S5_NS0_18transform_iteratorINS0_17counting_iteratorImlEEZNS1_24adjacent_difference_implIS3_Lb1ELb0EPlSB_ZN2at6native12_GLOBAL__N_124unique_dim_cuda_templateIhEESt5tupleIJNSC_6TensorESH_SH_EERKSH_lbbbEUlllE1_EE10hipError_tPvRmT2_T3_mT4_P12ihipStream_tbEUlmE_lEESB_NS0_8identityIvEEEESM_SP_SQ_mSR_ST_bEUlT_E_NS1_11comp_targetILNS1_3genE3ELNS1_11target_archE908ELNS1_3gpuE7ELNS1_3repE0EEENS1_30default_config_static_selectorELNS0_4arch9wavefront6targetE1EEEvT1_, .Lfunc_end69-_ZN7rocprim17ROCPRIM_400000_NS6detail17trampoline_kernelINS0_14default_configENS1_25transform_config_selectorIlLb0EEEZNS1_14transform_implILb0ES3_S5_NS0_18transform_iteratorINS0_17counting_iteratorImlEEZNS1_24adjacent_difference_implIS3_Lb1ELb0EPlSB_ZN2at6native12_GLOBAL__N_124unique_dim_cuda_templateIhEESt5tupleIJNSC_6TensorESH_SH_EERKSH_lbbbEUlllE1_EE10hipError_tPvRmT2_T3_mT4_P12ihipStream_tbEUlmE_lEESB_NS0_8identityIvEEEESM_SP_SQ_mSR_ST_bEUlT_E_NS1_11comp_targetILNS1_3genE3ELNS1_11target_archE908ELNS1_3gpuE7ELNS1_3repE0EEENS1_30default_config_static_selectorELNS0_4arch9wavefront6targetE1EEEvT1_
                                        ; -- End function
	.set _ZN7rocprim17ROCPRIM_400000_NS6detail17trampoline_kernelINS0_14default_configENS1_25transform_config_selectorIlLb0EEEZNS1_14transform_implILb0ES3_S5_NS0_18transform_iteratorINS0_17counting_iteratorImlEEZNS1_24adjacent_difference_implIS3_Lb1ELb0EPlSB_ZN2at6native12_GLOBAL__N_124unique_dim_cuda_templateIhEESt5tupleIJNSC_6TensorESH_SH_EERKSH_lbbbEUlllE1_EE10hipError_tPvRmT2_T3_mT4_P12ihipStream_tbEUlmE_lEESB_NS0_8identityIvEEEESM_SP_SQ_mSR_ST_bEUlT_E_NS1_11comp_targetILNS1_3genE3ELNS1_11target_archE908ELNS1_3gpuE7ELNS1_3repE0EEENS1_30default_config_static_selectorELNS0_4arch9wavefront6targetE1EEEvT1_.num_vgpr, 0
	.set _ZN7rocprim17ROCPRIM_400000_NS6detail17trampoline_kernelINS0_14default_configENS1_25transform_config_selectorIlLb0EEEZNS1_14transform_implILb0ES3_S5_NS0_18transform_iteratorINS0_17counting_iteratorImlEEZNS1_24adjacent_difference_implIS3_Lb1ELb0EPlSB_ZN2at6native12_GLOBAL__N_124unique_dim_cuda_templateIhEESt5tupleIJNSC_6TensorESH_SH_EERKSH_lbbbEUlllE1_EE10hipError_tPvRmT2_T3_mT4_P12ihipStream_tbEUlmE_lEESB_NS0_8identityIvEEEESM_SP_SQ_mSR_ST_bEUlT_E_NS1_11comp_targetILNS1_3genE3ELNS1_11target_archE908ELNS1_3gpuE7ELNS1_3repE0EEENS1_30default_config_static_selectorELNS0_4arch9wavefront6targetE1EEEvT1_.num_agpr, 0
	.set _ZN7rocprim17ROCPRIM_400000_NS6detail17trampoline_kernelINS0_14default_configENS1_25transform_config_selectorIlLb0EEEZNS1_14transform_implILb0ES3_S5_NS0_18transform_iteratorINS0_17counting_iteratorImlEEZNS1_24adjacent_difference_implIS3_Lb1ELb0EPlSB_ZN2at6native12_GLOBAL__N_124unique_dim_cuda_templateIhEESt5tupleIJNSC_6TensorESH_SH_EERKSH_lbbbEUlllE1_EE10hipError_tPvRmT2_T3_mT4_P12ihipStream_tbEUlmE_lEESB_NS0_8identityIvEEEESM_SP_SQ_mSR_ST_bEUlT_E_NS1_11comp_targetILNS1_3genE3ELNS1_11target_archE908ELNS1_3gpuE7ELNS1_3repE0EEENS1_30default_config_static_selectorELNS0_4arch9wavefront6targetE1EEEvT1_.numbered_sgpr, 0
	.set _ZN7rocprim17ROCPRIM_400000_NS6detail17trampoline_kernelINS0_14default_configENS1_25transform_config_selectorIlLb0EEEZNS1_14transform_implILb0ES3_S5_NS0_18transform_iteratorINS0_17counting_iteratorImlEEZNS1_24adjacent_difference_implIS3_Lb1ELb0EPlSB_ZN2at6native12_GLOBAL__N_124unique_dim_cuda_templateIhEESt5tupleIJNSC_6TensorESH_SH_EERKSH_lbbbEUlllE1_EE10hipError_tPvRmT2_T3_mT4_P12ihipStream_tbEUlmE_lEESB_NS0_8identityIvEEEESM_SP_SQ_mSR_ST_bEUlT_E_NS1_11comp_targetILNS1_3genE3ELNS1_11target_archE908ELNS1_3gpuE7ELNS1_3repE0EEENS1_30default_config_static_selectorELNS0_4arch9wavefront6targetE1EEEvT1_.num_named_barrier, 0
	.set _ZN7rocprim17ROCPRIM_400000_NS6detail17trampoline_kernelINS0_14default_configENS1_25transform_config_selectorIlLb0EEEZNS1_14transform_implILb0ES3_S5_NS0_18transform_iteratorINS0_17counting_iteratorImlEEZNS1_24adjacent_difference_implIS3_Lb1ELb0EPlSB_ZN2at6native12_GLOBAL__N_124unique_dim_cuda_templateIhEESt5tupleIJNSC_6TensorESH_SH_EERKSH_lbbbEUlllE1_EE10hipError_tPvRmT2_T3_mT4_P12ihipStream_tbEUlmE_lEESB_NS0_8identityIvEEEESM_SP_SQ_mSR_ST_bEUlT_E_NS1_11comp_targetILNS1_3genE3ELNS1_11target_archE908ELNS1_3gpuE7ELNS1_3repE0EEENS1_30default_config_static_selectorELNS0_4arch9wavefront6targetE1EEEvT1_.private_seg_size, 0
	.set _ZN7rocprim17ROCPRIM_400000_NS6detail17trampoline_kernelINS0_14default_configENS1_25transform_config_selectorIlLb0EEEZNS1_14transform_implILb0ES3_S5_NS0_18transform_iteratorINS0_17counting_iteratorImlEEZNS1_24adjacent_difference_implIS3_Lb1ELb0EPlSB_ZN2at6native12_GLOBAL__N_124unique_dim_cuda_templateIhEESt5tupleIJNSC_6TensorESH_SH_EERKSH_lbbbEUlllE1_EE10hipError_tPvRmT2_T3_mT4_P12ihipStream_tbEUlmE_lEESB_NS0_8identityIvEEEESM_SP_SQ_mSR_ST_bEUlT_E_NS1_11comp_targetILNS1_3genE3ELNS1_11target_archE908ELNS1_3gpuE7ELNS1_3repE0EEENS1_30default_config_static_selectorELNS0_4arch9wavefront6targetE1EEEvT1_.uses_vcc, 0
	.set _ZN7rocprim17ROCPRIM_400000_NS6detail17trampoline_kernelINS0_14default_configENS1_25transform_config_selectorIlLb0EEEZNS1_14transform_implILb0ES3_S5_NS0_18transform_iteratorINS0_17counting_iteratorImlEEZNS1_24adjacent_difference_implIS3_Lb1ELb0EPlSB_ZN2at6native12_GLOBAL__N_124unique_dim_cuda_templateIhEESt5tupleIJNSC_6TensorESH_SH_EERKSH_lbbbEUlllE1_EE10hipError_tPvRmT2_T3_mT4_P12ihipStream_tbEUlmE_lEESB_NS0_8identityIvEEEESM_SP_SQ_mSR_ST_bEUlT_E_NS1_11comp_targetILNS1_3genE3ELNS1_11target_archE908ELNS1_3gpuE7ELNS1_3repE0EEENS1_30default_config_static_selectorELNS0_4arch9wavefront6targetE1EEEvT1_.uses_flat_scratch, 0
	.set _ZN7rocprim17ROCPRIM_400000_NS6detail17trampoline_kernelINS0_14default_configENS1_25transform_config_selectorIlLb0EEEZNS1_14transform_implILb0ES3_S5_NS0_18transform_iteratorINS0_17counting_iteratorImlEEZNS1_24adjacent_difference_implIS3_Lb1ELb0EPlSB_ZN2at6native12_GLOBAL__N_124unique_dim_cuda_templateIhEESt5tupleIJNSC_6TensorESH_SH_EERKSH_lbbbEUlllE1_EE10hipError_tPvRmT2_T3_mT4_P12ihipStream_tbEUlmE_lEESB_NS0_8identityIvEEEESM_SP_SQ_mSR_ST_bEUlT_E_NS1_11comp_targetILNS1_3genE3ELNS1_11target_archE908ELNS1_3gpuE7ELNS1_3repE0EEENS1_30default_config_static_selectorELNS0_4arch9wavefront6targetE1EEEvT1_.has_dyn_sized_stack, 0
	.set _ZN7rocprim17ROCPRIM_400000_NS6detail17trampoline_kernelINS0_14default_configENS1_25transform_config_selectorIlLb0EEEZNS1_14transform_implILb0ES3_S5_NS0_18transform_iteratorINS0_17counting_iteratorImlEEZNS1_24adjacent_difference_implIS3_Lb1ELb0EPlSB_ZN2at6native12_GLOBAL__N_124unique_dim_cuda_templateIhEESt5tupleIJNSC_6TensorESH_SH_EERKSH_lbbbEUlllE1_EE10hipError_tPvRmT2_T3_mT4_P12ihipStream_tbEUlmE_lEESB_NS0_8identityIvEEEESM_SP_SQ_mSR_ST_bEUlT_E_NS1_11comp_targetILNS1_3genE3ELNS1_11target_archE908ELNS1_3gpuE7ELNS1_3repE0EEENS1_30default_config_static_selectorELNS0_4arch9wavefront6targetE1EEEvT1_.has_recursion, 0
	.set _ZN7rocprim17ROCPRIM_400000_NS6detail17trampoline_kernelINS0_14default_configENS1_25transform_config_selectorIlLb0EEEZNS1_14transform_implILb0ES3_S5_NS0_18transform_iteratorINS0_17counting_iteratorImlEEZNS1_24adjacent_difference_implIS3_Lb1ELb0EPlSB_ZN2at6native12_GLOBAL__N_124unique_dim_cuda_templateIhEESt5tupleIJNSC_6TensorESH_SH_EERKSH_lbbbEUlllE1_EE10hipError_tPvRmT2_T3_mT4_P12ihipStream_tbEUlmE_lEESB_NS0_8identityIvEEEESM_SP_SQ_mSR_ST_bEUlT_E_NS1_11comp_targetILNS1_3genE3ELNS1_11target_archE908ELNS1_3gpuE7ELNS1_3repE0EEENS1_30default_config_static_selectorELNS0_4arch9wavefront6targetE1EEEvT1_.has_indirect_call, 0
	.section	.AMDGPU.csdata,"",@progbits
; Kernel info:
; codeLenInByte = 0
; TotalNumSgprs: 6
; NumVgprs: 0
; NumAgprs: 0
; TotalNumVgprs: 0
; ScratchSize: 0
; MemoryBound: 0
; FloatMode: 240
; IeeeMode: 1
; LDSByteSize: 0 bytes/workgroup (compile time only)
; SGPRBlocks: 0
; VGPRBlocks: 0
; NumSGPRsForWavesPerEU: 6
; NumVGPRsForWavesPerEU: 1
; AccumOffset: 4
; Occupancy: 8
; WaveLimiterHint : 0
; COMPUTE_PGM_RSRC2:SCRATCH_EN: 0
; COMPUTE_PGM_RSRC2:USER_SGPR: 2
; COMPUTE_PGM_RSRC2:TRAP_HANDLER: 0
; COMPUTE_PGM_RSRC2:TGID_X_EN: 1
; COMPUTE_PGM_RSRC2:TGID_Y_EN: 0
; COMPUTE_PGM_RSRC2:TGID_Z_EN: 0
; COMPUTE_PGM_RSRC2:TIDIG_COMP_CNT: 0
; COMPUTE_PGM_RSRC3_GFX90A:ACCUM_OFFSET: 0
; COMPUTE_PGM_RSRC3_GFX90A:TG_SPLIT: 0
	.section	.text._ZN7rocprim17ROCPRIM_400000_NS6detail17trampoline_kernelINS0_14default_configENS1_25transform_config_selectorIlLb0EEEZNS1_14transform_implILb0ES3_S5_NS0_18transform_iteratorINS0_17counting_iteratorImlEEZNS1_24adjacent_difference_implIS3_Lb1ELb0EPlSB_ZN2at6native12_GLOBAL__N_124unique_dim_cuda_templateIhEESt5tupleIJNSC_6TensorESH_SH_EERKSH_lbbbEUlllE1_EE10hipError_tPvRmT2_T3_mT4_P12ihipStream_tbEUlmE_lEESB_NS0_8identityIvEEEESM_SP_SQ_mSR_ST_bEUlT_E_NS1_11comp_targetILNS1_3genE2ELNS1_11target_archE906ELNS1_3gpuE6ELNS1_3repE0EEENS1_30default_config_static_selectorELNS0_4arch9wavefront6targetE1EEEvT1_,"axG",@progbits,_ZN7rocprim17ROCPRIM_400000_NS6detail17trampoline_kernelINS0_14default_configENS1_25transform_config_selectorIlLb0EEEZNS1_14transform_implILb0ES3_S5_NS0_18transform_iteratorINS0_17counting_iteratorImlEEZNS1_24adjacent_difference_implIS3_Lb1ELb0EPlSB_ZN2at6native12_GLOBAL__N_124unique_dim_cuda_templateIhEESt5tupleIJNSC_6TensorESH_SH_EERKSH_lbbbEUlllE1_EE10hipError_tPvRmT2_T3_mT4_P12ihipStream_tbEUlmE_lEESB_NS0_8identityIvEEEESM_SP_SQ_mSR_ST_bEUlT_E_NS1_11comp_targetILNS1_3genE2ELNS1_11target_archE906ELNS1_3gpuE6ELNS1_3repE0EEENS1_30default_config_static_selectorELNS0_4arch9wavefront6targetE1EEEvT1_,comdat
	.globl	_ZN7rocprim17ROCPRIM_400000_NS6detail17trampoline_kernelINS0_14default_configENS1_25transform_config_selectorIlLb0EEEZNS1_14transform_implILb0ES3_S5_NS0_18transform_iteratorINS0_17counting_iteratorImlEEZNS1_24adjacent_difference_implIS3_Lb1ELb0EPlSB_ZN2at6native12_GLOBAL__N_124unique_dim_cuda_templateIhEESt5tupleIJNSC_6TensorESH_SH_EERKSH_lbbbEUlllE1_EE10hipError_tPvRmT2_T3_mT4_P12ihipStream_tbEUlmE_lEESB_NS0_8identityIvEEEESM_SP_SQ_mSR_ST_bEUlT_E_NS1_11comp_targetILNS1_3genE2ELNS1_11target_archE906ELNS1_3gpuE6ELNS1_3repE0EEENS1_30default_config_static_selectorELNS0_4arch9wavefront6targetE1EEEvT1_ ; -- Begin function _ZN7rocprim17ROCPRIM_400000_NS6detail17trampoline_kernelINS0_14default_configENS1_25transform_config_selectorIlLb0EEEZNS1_14transform_implILb0ES3_S5_NS0_18transform_iteratorINS0_17counting_iteratorImlEEZNS1_24adjacent_difference_implIS3_Lb1ELb0EPlSB_ZN2at6native12_GLOBAL__N_124unique_dim_cuda_templateIhEESt5tupleIJNSC_6TensorESH_SH_EERKSH_lbbbEUlllE1_EE10hipError_tPvRmT2_T3_mT4_P12ihipStream_tbEUlmE_lEESB_NS0_8identityIvEEEESM_SP_SQ_mSR_ST_bEUlT_E_NS1_11comp_targetILNS1_3genE2ELNS1_11target_archE906ELNS1_3gpuE6ELNS1_3repE0EEENS1_30default_config_static_selectorELNS0_4arch9wavefront6targetE1EEEvT1_
	.p2align	8
	.type	_ZN7rocprim17ROCPRIM_400000_NS6detail17trampoline_kernelINS0_14default_configENS1_25transform_config_selectorIlLb0EEEZNS1_14transform_implILb0ES3_S5_NS0_18transform_iteratorINS0_17counting_iteratorImlEEZNS1_24adjacent_difference_implIS3_Lb1ELb0EPlSB_ZN2at6native12_GLOBAL__N_124unique_dim_cuda_templateIhEESt5tupleIJNSC_6TensorESH_SH_EERKSH_lbbbEUlllE1_EE10hipError_tPvRmT2_T3_mT4_P12ihipStream_tbEUlmE_lEESB_NS0_8identityIvEEEESM_SP_SQ_mSR_ST_bEUlT_E_NS1_11comp_targetILNS1_3genE2ELNS1_11target_archE906ELNS1_3gpuE6ELNS1_3repE0EEENS1_30default_config_static_selectorELNS0_4arch9wavefront6targetE1EEEvT1_,@function
_ZN7rocprim17ROCPRIM_400000_NS6detail17trampoline_kernelINS0_14default_configENS1_25transform_config_selectorIlLb0EEEZNS1_14transform_implILb0ES3_S5_NS0_18transform_iteratorINS0_17counting_iteratorImlEEZNS1_24adjacent_difference_implIS3_Lb1ELb0EPlSB_ZN2at6native12_GLOBAL__N_124unique_dim_cuda_templateIhEESt5tupleIJNSC_6TensorESH_SH_EERKSH_lbbbEUlllE1_EE10hipError_tPvRmT2_T3_mT4_P12ihipStream_tbEUlmE_lEESB_NS0_8identityIvEEEESM_SP_SQ_mSR_ST_bEUlT_E_NS1_11comp_targetILNS1_3genE2ELNS1_11target_archE906ELNS1_3gpuE6ELNS1_3repE0EEENS1_30default_config_static_selectorELNS0_4arch9wavefront6targetE1EEEvT1_: ; @_ZN7rocprim17ROCPRIM_400000_NS6detail17trampoline_kernelINS0_14default_configENS1_25transform_config_selectorIlLb0EEEZNS1_14transform_implILb0ES3_S5_NS0_18transform_iteratorINS0_17counting_iteratorImlEEZNS1_24adjacent_difference_implIS3_Lb1ELb0EPlSB_ZN2at6native12_GLOBAL__N_124unique_dim_cuda_templateIhEESt5tupleIJNSC_6TensorESH_SH_EERKSH_lbbbEUlllE1_EE10hipError_tPvRmT2_T3_mT4_P12ihipStream_tbEUlmE_lEESB_NS0_8identityIvEEEESM_SP_SQ_mSR_ST_bEUlT_E_NS1_11comp_targetILNS1_3genE2ELNS1_11target_archE906ELNS1_3gpuE6ELNS1_3repE0EEENS1_30default_config_static_selectorELNS0_4arch9wavefront6targetE1EEEvT1_
; %bb.0:
	.section	.rodata,"a",@progbits
	.p2align	6, 0x0
	.amdhsa_kernel _ZN7rocprim17ROCPRIM_400000_NS6detail17trampoline_kernelINS0_14default_configENS1_25transform_config_selectorIlLb0EEEZNS1_14transform_implILb0ES3_S5_NS0_18transform_iteratorINS0_17counting_iteratorImlEEZNS1_24adjacent_difference_implIS3_Lb1ELb0EPlSB_ZN2at6native12_GLOBAL__N_124unique_dim_cuda_templateIhEESt5tupleIJNSC_6TensorESH_SH_EERKSH_lbbbEUlllE1_EE10hipError_tPvRmT2_T3_mT4_P12ihipStream_tbEUlmE_lEESB_NS0_8identityIvEEEESM_SP_SQ_mSR_ST_bEUlT_E_NS1_11comp_targetILNS1_3genE2ELNS1_11target_archE906ELNS1_3gpuE6ELNS1_3repE0EEENS1_30default_config_static_selectorELNS0_4arch9wavefront6targetE1EEEvT1_
		.amdhsa_group_segment_fixed_size 0
		.amdhsa_private_segment_fixed_size 0
		.amdhsa_kernarg_size 56
		.amdhsa_user_sgpr_count 2
		.amdhsa_user_sgpr_dispatch_ptr 0
		.amdhsa_user_sgpr_queue_ptr 0
		.amdhsa_user_sgpr_kernarg_segment_ptr 1
		.amdhsa_user_sgpr_dispatch_id 0
		.amdhsa_user_sgpr_kernarg_preload_length 0
		.amdhsa_user_sgpr_kernarg_preload_offset 0
		.amdhsa_user_sgpr_private_segment_size 0
		.amdhsa_uses_dynamic_stack 0
		.amdhsa_enable_private_segment 0
		.amdhsa_system_sgpr_workgroup_id_x 1
		.amdhsa_system_sgpr_workgroup_id_y 0
		.amdhsa_system_sgpr_workgroup_id_z 0
		.amdhsa_system_sgpr_workgroup_info 0
		.amdhsa_system_vgpr_workitem_id 0
		.amdhsa_next_free_vgpr 1
		.amdhsa_next_free_sgpr 0
		.amdhsa_accum_offset 4
		.amdhsa_reserve_vcc 0
		.amdhsa_float_round_mode_32 0
		.amdhsa_float_round_mode_16_64 0
		.amdhsa_float_denorm_mode_32 3
		.amdhsa_float_denorm_mode_16_64 3
		.amdhsa_dx10_clamp 1
		.amdhsa_ieee_mode 1
		.amdhsa_fp16_overflow 0
		.amdhsa_tg_split 0
		.amdhsa_exception_fp_ieee_invalid_op 0
		.amdhsa_exception_fp_denorm_src 0
		.amdhsa_exception_fp_ieee_div_zero 0
		.amdhsa_exception_fp_ieee_overflow 0
		.amdhsa_exception_fp_ieee_underflow 0
		.amdhsa_exception_fp_ieee_inexact 0
		.amdhsa_exception_int_div_zero 0
	.end_amdhsa_kernel
	.section	.text._ZN7rocprim17ROCPRIM_400000_NS6detail17trampoline_kernelINS0_14default_configENS1_25transform_config_selectorIlLb0EEEZNS1_14transform_implILb0ES3_S5_NS0_18transform_iteratorINS0_17counting_iteratorImlEEZNS1_24adjacent_difference_implIS3_Lb1ELb0EPlSB_ZN2at6native12_GLOBAL__N_124unique_dim_cuda_templateIhEESt5tupleIJNSC_6TensorESH_SH_EERKSH_lbbbEUlllE1_EE10hipError_tPvRmT2_T3_mT4_P12ihipStream_tbEUlmE_lEESB_NS0_8identityIvEEEESM_SP_SQ_mSR_ST_bEUlT_E_NS1_11comp_targetILNS1_3genE2ELNS1_11target_archE906ELNS1_3gpuE6ELNS1_3repE0EEENS1_30default_config_static_selectorELNS0_4arch9wavefront6targetE1EEEvT1_,"axG",@progbits,_ZN7rocprim17ROCPRIM_400000_NS6detail17trampoline_kernelINS0_14default_configENS1_25transform_config_selectorIlLb0EEEZNS1_14transform_implILb0ES3_S5_NS0_18transform_iteratorINS0_17counting_iteratorImlEEZNS1_24adjacent_difference_implIS3_Lb1ELb0EPlSB_ZN2at6native12_GLOBAL__N_124unique_dim_cuda_templateIhEESt5tupleIJNSC_6TensorESH_SH_EERKSH_lbbbEUlllE1_EE10hipError_tPvRmT2_T3_mT4_P12ihipStream_tbEUlmE_lEESB_NS0_8identityIvEEEESM_SP_SQ_mSR_ST_bEUlT_E_NS1_11comp_targetILNS1_3genE2ELNS1_11target_archE906ELNS1_3gpuE6ELNS1_3repE0EEENS1_30default_config_static_selectorELNS0_4arch9wavefront6targetE1EEEvT1_,comdat
.Lfunc_end70:
	.size	_ZN7rocprim17ROCPRIM_400000_NS6detail17trampoline_kernelINS0_14default_configENS1_25transform_config_selectorIlLb0EEEZNS1_14transform_implILb0ES3_S5_NS0_18transform_iteratorINS0_17counting_iteratorImlEEZNS1_24adjacent_difference_implIS3_Lb1ELb0EPlSB_ZN2at6native12_GLOBAL__N_124unique_dim_cuda_templateIhEESt5tupleIJNSC_6TensorESH_SH_EERKSH_lbbbEUlllE1_EE10hipError_tPvRmT2_T3_mT4_P12ihipStream_tbEUlmE_lEESB_NS0_8identityIvEEEESM_SP_SQ_mSR_ST_bEUlT_E_NS1_11comp_targetILNS1_3genE2ELNS1_11target_archE906ELNS1_3gpuE6ELNS1_3repE0EEENS1_30default_config_static_selectorELNS0_4arch9wavefront6targetE1EEEvT1_, .Lfunc_end70-_ZN7rocprim17ROCPRIM_400000_NS6detail17trampoline_kernelINS0_14default_configENS1_25transform_config_selectorIlLb0EEEZNS1_14transform_implILb0ES3_S5_NS0_18transform_iteratorINS0_17counting_iteratorImlEEZNS1_24adjacent_difference_implIS3_Lb1ELb0EPlSB_ZN2at6native12_GLOBAL__N_124unique_dim_cuda_templateIhEESt5tupleIJNSC_6TensorESH_SH_EERKSH_lbbbEUlllE1_EE10hipError_tPvRmT2_T3_mT4_P12ihipStream_tbEUlmE_lEESB_NS0_8identityIvEEEESM_SP_SQ_mSR_ST_bEUlT_E_NS1_11comp_targetILNS1_3genE2ELNS1_11target_archE906ELNS1_3gpuE6ELNS1_3repE0EEENS1_30default_config_static_selectorELNS0_4arch9wavefront6targetE1EEEvT1_
                                        ; -- End function
	.set _ZN7rocprim17ROCPRIM_400000_NS6detail17trampoline_kernelINS0_14default_configENS1_25transform_config_selectorIlLb0EEEZNS1_14transform_implILb0ES3_S5_NS0_18transform_iteratorINS0_17counting_iteratorImlEEZNS1_24adjacent_difference_implIS3_Lb1ELb0EPlSB_ZN2at6native12_GLOBAL__N_124unique_dim_cuda_templateIhEESt5tupleIJNSC_6TensorESH_SH_EERKSH_lbbbEUlllE1_EE10hipError_tPvRmT2_T3_mT4_P12ihipStream_tbEUlmE_lEESB_NS0_8identityIvEEEESM_SP_SQ_mSR_ST_bEUlT_E_NS1_11comp_targetILNS1_3genE2ELNS1_11target_archE906ELNS1_3gpuE6ELNS1_3repE0EEENS1_30default_config_static_selectorELNS0_4arch9wavefront6targetE1EEEvT1_.num_vgpr, 0
	.set _ZN7rocprim17ROCPRIM_400000_NS6detail17trampoline_kernelINS0_14default_configENS1_25transform_config_selectorIlLb0EEEZNS1_14transform_implILb0ES3_S5_NS0_18transform_iteratorINS0_17counting_iteratorImlEEZNS1_24adjacent_difference_implIS3_Lb1ELb0EPlSB_ZN2at6native12_GLOBAL__N_124unique_dim_cuda_templateIhEESt5tupleIJNSC_6TensorESH_SH_EERKSH_lbbbEUlllE1_EE10hipError_tPvRmT2_T3_mT4_P12ihipStream_tbEUlmE_lEESB_NS0_8identityIvEEEESM_SP_SQ_mSR_ST_bEUlT_E_NS1_11comp_targetILNS1_3genE2ELNS1_11target_archE906ELNS1_3gpuE6ELNS1_3repE0EEENS1_30default_config_static_selectorELNS0_4arch9wavefront6targetE1EEEvT1_.num_agpr, 0
	.set _ZN7rocprim17ROCPRIM_400000_NS6detail17trampoline_kernelINS0_14default_configENS1_25transform_config_selectorIlLb0EEEZNS1_14transform_implILb0ES3_S5_NS0_18transform_iteratorINS0_17counting_iteratorImlEEZNS1_24adjacent_difference_implIS3_Lb1ELb0EPlSB_ZN2at6native12_GLOBAL__N_124unique_dim_cuda_templateIhEESt5tupleIJNSC_6TensorESH_SH_EERKSH_lbbbEUlllE1_EE10hipError_tPvRmT2_T3_mT4_P12ihipStream_tbEUlmE_lEESB_NS0_8identityIvEEEESM_SP_SQ_mSR_ST_bEUlT_E_NS1_11comp_targetILNS1_3genE2ELNS1_11target_archE906ELNS1_3gpuE6ELNS1_3repE0EEENS1_30default_config_static_selectorELNS0_4arch9wavefront6targetE1EEEvT1_.numbered_sgpr, 0
	.set _ZN7rocprim17ROCPRIM_400000_NS6detail17trampoline_kernelINS0_14default_configENS1_25transform_config_selectorIlLb0EEEZNS1_14transform_implILb0ES3_S5_NS0_18transform_iteratorINS0_17counting_iteratorImlEEZNS1_24adjacent_difference_implIS3_Lb1ELb0EPlSB_ZN2at6native12_GLOBAL__N_124unique_dim_cuda_templateIhEESt5tupleIJNSC_6TensorESH_SH_EERKSH_lbbbEUlllE1_EE10hipError_tPvRmT2_T3_mT4_P12ihipStream_tbEUlmE_lEESB_NS0_8identityIvEEEESM_SP_SQ_mSR_ST_bEUlT_E_NS1_11comp_targetILNS1_3genE2ELNS1_11target_archE906ELNS1_3gpuE6ELNS1_3repE0EEENS1_30default_config_static_selectorELNS0_4arch9wavefront6targetE1EEEvT1_.num_named_barrier, 0
	.set _ZN7rocprim17ROCPRIM_400000_NS6detail17trampoline_kernelINS0_14default_configENS1_25transform_config_selectorIlLb0EEEZNS1_14transform_implILb0ES3_S5_NS0_18transform_iteratorINS0_17counting_iteratorImlEEZNS1_24adjacent_difference_implIS3_Lb1ELb0EPlSB_ZN2at6native12_GLOBAL__N_124unique_dim_cuda_templateIhEESt5tupleIJNSC_6TensorESH_SH_EERKSH_lbbbEUlllE1_EE10hipError_tPvRmT2_T3_mT4_P12ihipStream_tbEUlmE_lEESB_NS0_8identityIvEEEESM_SP_SQ_mSR_ST_bEUlT_E_NS1_11comp_targetILNS1_3genE2ELNS1_11target_archE906ELNS1_3gpuE6ELNS1_3repE0EEENS1_30default_config_static_selectorELNS0_4arch9wavefront6targetE1EEEvT1_.private_seg_size, 0
	.set _ZN7rocprim17ROCPRIM_400000_NS6detail17trampoline_kernelINS0_14default_configENS1_25transform_config_selectorIlLb0EEEZNS1_14transform_implILb0ES3_S5_NS0_18transform_iteratorINS0_17counting_iteratorImlEEZNS1_24adjacent_difference_implIS3_Lb1ELb0EPlSB_ZN2at6native12_GLOBAL__N_124unique_dim_cuda_templateIhEESt5tupleIJNSC_6TensorESH_SH_EERKSH_lbbbEUlllE1_EE10hipError_tPvRmT2_T3_mT4_P12ihipStream_tbEUlmE_lEESB_NS0_8identityIvEEEESM_SP_SQ_mSR_ST_bEUlT_E_NS1_11comp_targetILNS1_3genE2ELNS1_11target_archE906ELNS1_3gpuE6ELNS1_3repE0EEENS1_30default_config_static_selectorELNS0_4arch9wavefront6targetE1EEEvT1_.uses_vcc, 0
	.set _ZN7rocprim17ROCPRIM_400000_NS6detail17trampoline_kernelINS0_14default_configENS1_25transform_config_selectorIlLb0EEEZNS1_14transform_implILb0ES3_S5_NS0_18transform_iteratorINS0_17counting_iteratorImlEEZNS1_24adjacent_difference_implIS3_Lb1ELb0EPlSB_ZN2at6native12_GLOBAL__N_124unique_dim_cuda_templateIhEESt5tupleIJNSC_6TensorESH_SH_EERKSH_lbbbEUlllE1_EE10hipError_tPvRmT2_T3_mT4_P12ihipStream_tbEUlmE_lEESB_NS0_8identityIvEEEESM_SP_SQ_mSR_ST_bEUlT_E_NS1_11comp_targetILNS1_3genE2ELNS1_11target_archE906ELNS1_3gpuE6ELNS1_3repE0EEENS1_30default_config_static_selectorELNS0_4arch9wavefront6targetE1EEEvT1_.uses_flat_scratch, 0
	.set _ZN7rocprim17ROCPRIM_400000_NS6detail17trampoline_kernelINS0_14default_configENS1_25transform_config_selectorIlLb0EEEZNS1_14transform_implILb0ES3_S5_NS0_18transform_iteratorINS0_17counting_iteratorImlEEZNS1_24adjacent_difference_implIS3_Lb1ELb0EPlSB_ZN2at6native12_GLOBAL__N_124unique_dim_cuda_templateIhEESt5tupleIJNSC_6TensorESH_SH_EERKSH_lbbbEUlllE1_EE10hipError_tPvRmT2_T3_mT4_P12ihipStream_tbEUlmE_lEESB_NS0_8identityIvEEEESM_SP_SQ_mSR_ST_bEUlT_E_NS1_11comp_targetILNS1_3genE2ELNS1_11target_archE906ELNS1_3gpuE6ELNS1_3repE0EEENS1_30default_config_static_selectorELNS0_4arch9wavefront6targetE1EEEvT1_.has_dyn_sized_stack, 0
	.set _ZN7rocprim17ROCPRIM_400000_NS6detail17trampoline_kernelINS0_14default_configENS1_25transform_config_selectorIlLb0EEEZNS1_14transform_implILb0ES3_S5_NS0_18transform_iteratorINS0_17counting_iteratorImlEEZNS1_24adjacent_difference_implIS3_Lb1ELb0EPlSB_ZN2at6native12_GLOBAL__N_124unique_dim_cuda_templateIhEESt5tupleIJNSC_6TensorESH_SH_EERKSH_lbbbEUlllE1_EE10hipError_tPvRmT2_T3_mT4_P12ihipStream_tbEUlmE_lEESB_NS0_8identityIvEEEESM_SP_SQ_mSR_ST_bEUlT_E_NS1_11comp_targetILNS1_3genE2ELNS1_11target_archE906ELNS1_3gpuE6ELNS1_3repE0EEENS1_30default_config_static_selectorELNS0_4arch9wavefront6targetE1EEEvT1_.has_recursion, 0
	.set _ZN7rocprim17ROCPRIM_400000_NS6detail17trampoline_kernelINS0_14default_configENS1_25transform_config_selectorIlLb0EEEZNS1_14transform_implILb0ES3_S5_NS0_18transform_iteratorINS0_17counting_iteratorImlEEZNS1_24adjacent_difference_implIS3_Lb1ELb0EPlSB_ZN2at6native12_GLOBAL__N_124unique_dim_cuda_templateIhEESt5tupleIJNSC_6TensorESH_SH_EERKSH_lbbbEUlllE1_EE10hipError_tPvRmT2_T3_mT4_P12ihipStream_tbEUlmE_lEESB_NS0_8identityIvEEEESM_SP_SQ_mSR_ST_bEUlT_E_NS1_11comp_targetILNS1_3genE2ELNS1_11target_archE906ELNS1_3gpuE6ELNS1_3repE0EEENS1_30default_config_static_selectorELNS0_4arch9wavefront6targetE1EEEvT1_.has_indirect_call, 0
	.section	.AMDGPU.csdata,"",@progbits
; Kernel info:
; codeLenInByte = 0
; TotalNumSgprs: 6
; NumVgprs: 0
; NumAgprs: 0
; TotalNumVgprs: 0
; ScratchSize: 0
; MemoryBound: 0
; FloatMode: 240
; IeeeMode: 1
; LDSByteSize: 0 bytes/workgroup (compile time only)
; SGPRBlocks: 0
; VGPRBlocks: 0
; NumSGPRsForWavesPerEU: 6
; NumVGPRsForWavesPerEU: 1
; AccumOffset: 4
; Occupancy: 8
; WaveLimiterHint : 0
; COMPUTE_PGM_RSRC2:SCRATCH_EN: 0
; COMPUTE_PGM_RSRC2:USER_SGPR: 2
; COMPUTE_PGM_RSRC2:TRAP_HANDLER: 0
; COMPUTE_PGM_RSRC2:TGID_X_EN: 1
; COMPUTE_PGM_RSRC2:TGID_Y_EN: 0
; COMPUTE_PGM_RSRC2:TGID_Z_EN: 0
; COMPUTE_PGM_RSRC2:TIDIG_COMP_CNT: 0
; COMPUTE_PGM_RSRC3_GFX90A:ACCUM_OFFSET: 0
; COMPUTE_PGM_RSRC3_GFX90A:TG_SPLIT: 0
	.section	.text._ZN7rocprim17ROCPRIM_400000_NS6detail17trampoline_kernelINS0_14default_configENS1_25transform_config_selectorIlLb0EEEZNS1_14transform_implILb0ES3_S5_NS0_18transform_iteratorINS0_17counting_iteratorImlEEZNS1_24adjacent_difference_implIS3_Lb1ELb0EPlSB_ZN2at6native12_GLOBAL__N_124unique_dim_cuda_templateIhEESt5tupleIJNSC_6TensorESH_SH_EERKSH_lbbbEUlllE1_EE10hipError_tPvRmT2_T3_mT4_P12ihipStream_tbEUlmE_lEESB_NS0_8identityIvEEEESM_SP_SQ_mSR_ST_bEUlT_E_NS1_11comp_targetILNS1_3genE10ELNS1_11target_archE1201ELNS1_3gpuE5ELNS1_3repE0EEENS1_30default_config_static_selectorELNS0_4arch9wavefront6targetE1EEEvT1_,"axG",@progbits,_ZN7rocprim17ROCPRIM_400000_NS6detail17trampoline_kernelINS0_14default_configENS1_25transform_config_selectorIlLb0EEEZNS1_14transform_implILb0ES3_S5_NS0_18transform_iteratorINS0_17counting_iteratorImlEEZNS1_24adjacent_difference_implIS3_Lb1ELb0EPlSB_ZN2at6native12_GLOBAL__N_124unique_dim_cuda_templateIhEESt5tupleIJNSC_6TensorESH_SH_EERKSH_lbbbEUlllE1_EE10hipError_tPvRmT2_T3_mT4_P12ihipStream_tbEUlmE_lEESB_NS0_8identityIvEEEESM_SP_SQ_mSR_ST_bEUlT_E_NS1_11comp_targetILNS1_3genE10ELNS1_11target_archE1201ELNS1_3gpuE5ELNS1_3repE0EEENS1_30default_config_static_selectorELNS0_4arch9wavefront6targetE1EEEvT1_,comdat
	.globl	_ZN7rocprim17ROCPRIM_400000_NS6detail17trampoline_kernelINS0_14default_configENS1_25transform_config_selectorIlLb0EEEZNS1_14transform_implILb0ES3_S5_NS0_18transform_iteratorINS0_17counting_iteratorImlEEZNS1_24adjacent_difference_implIS3_Lb1ELb0EPlSB_ZN2at6native12_GLOBAL__N_124unique_dim_cuda_templateIhEESt5tupleIJNSC_6TensorESH_SH_EERKSH_lbbbEUlllE1_EE10hipError_tPvRmT2_T3_mT4_P12ihipStream_tbEUlmE_lEESB_NS0_8identityIvEEEESM_SP_SQ_mSR_ST_bEUlT_E_NS1_11comp_targetILNS1_3genE10ELNS1_11target_archE1201ELNS1_3gpuE5ELNS1_3repE0EEENS1_30default_config_static_selectorELNS0_4arch9wavefront6targetE1EEEvT1_ ; -- Begin function _ZN7rocprim17ROCPRIM_400000_NS6detail17trampoline_kernelINS0_14default_configENS1_25transform_config_selectorIlLb0EEEZNS1_14transform_implILb0ES3_S5_NS0_18transform_iteratorINS0_17counting_iteratorImlEEZNS1_24adjacent_difference_implIS3_Lb1ELb0EPlSB_ZN2at6native12_GLOBAL__N_124unique_dim_cuda_templateIhEESt5tupleIJNSC_6TensorESH_SH_EERKSH_lbbbEUlllE1_EE10hipError_tPvRmT2_T3_mT4_P12ihipStream_tbEUlmE_lEESB_NS0_8identityIvEEEESM_SP_SQ_mSR_ST_bEUlT_E_NS1_11comp_targetILNS1_3genE10ELNS1_11target_archE1201ELNS1_3gpuE5ELNS1_3repE0EEENS1_30default_config_static_selectorELNS0_4arch9wavefront6targetE1EEEvT1_
	.p2align	8
	.type	_ZN7rocprim17ROCPRIM_400000_NS6detail17trampoline_kernelINS0_14default_configENS1_25transform_config_selectorIlLb0EEEZNS1_14transform_implILb0ES3_S5_NS0_18transform_iteratorINS0_17counting_iteratorImlEEZNS1_24adjacent_difference_implIS3_Lb1ELb0EPlSB_ZN2at6native12_GLOBAL__N_124unique_dim_cuda_templateIhEESt5tupleIJNSC_6TensorESH_SH_EERKSH_lbbbEUlllE1_EE10hipError_tPvRmT2_T3_mT4_P12ihipStream_tbEUlmE_lEESB_NS0_8identityIvEEEESM_SP_SQ_mSR_ST_bEUlT_E_NS1_11comp_targetILNS1_3genE10ELNS1_11target_archE1201ELNS1_3gpuE5ELNS1_3repE0EEENS1_30default_config_static_selectorELNS0_4arch9wavefront6targetE1EEEvT1_,@function
_ZN7rocprim17ROCPRIM_400000_NS6detail17trampoline_kernelINS0_14default_configENS1_25transform_config_selectorIlLb0EEEZNS1_14transform_implILb0ES3_S5_NS0_18transform_iteratorINS0_17counting_iteratorImlEEZNS1_24adjacent_difference_implIS3_Lb1ELb0EPlSB_ZN2at6native12_GLOBAL__N_124unique_dim_cuda_templateIhEESt5tupleIJNSC_6TensorESH_SH_EERKSH_lbbbEUlllE1_EE10hipError_tPvRmT2_T3_mT4_P12ihipStream_tbEUlmE_lEESB_NS0_8identityIvEEEESM_SP_SQ_mSR_ST_bEUlT_E_NS1_11comp_targetILNS1_3genE10ELNS1_11target_archE1201ELNS1_3gpuE5ELNS1_3repE0EEENS1_30default_config_static_selectorELNS0_4arch9wavefront6targetE1EEEvT1_: ; @_ZN7rocprim17ROCPRIM_400000_NS6detail17trampoline_kernelINS0_14default_configENS1_25transform_config_selectorIlLb0EEEZNS1_14transform_implILb0ES3_S5_NS0_18transform_iteratorINS0_17counting_iteratorImlEEZNS1_24adjacent_difference_implIS3_Lb1ELb0EPlSB_ZN2at6native12_GLOBAL__N_124unique_dim_cuda_templateIhEESt5tupleIJNSC_6TensorESH_SH_EERKSH_lbbbEUlllE1_EE10hipError_tPvRmT2_T3_mT4_P12ihipStream_tbEUlmE_lEESB_NS0_8identityIvEEEESM_SP_SQ_mSR_ST_bEUlT_E_NS1_11comp_targetILNS1_3genE10ELNS1_11target_archE1201ELNS1_3gpuE5ELNS1_3repE0EEENS1_30default_config_static_selectorELNS0_4arch9wavefront6targetE1EEEvT1_
; %bb.0:
	.section	.rodata,"a",@progbits
	.p2align	6, 0x0
	.amdhsa_kernel _ZN7rocprim17ROCPRIM_400000_NS6detail17trampoline_kernelINS0_14default_configENS1_25transform_config_selectorIlLb0EEEZNS1_14transform_implILb0ES3_S5_NS0_18transform_iteratorINS0_17counting_iteratorImlEEZNS1_24adjacent_difference_implIS3_Lb1ELb0EPlSB_ZN2at6native12_GLOBAL__N_124unique_dim_cuda_templateIhEESt5tupleIJNSC_6TensorESH_SH_EERKSH_lbbbEUlllE1_EE10hipError_tPvRmT2_T3_mT4_P12ihipStream_tbEUlmE_lEESB_NS0_8identityIvEEEESM_SP_SQ_mSR_ST_bEUlT_E_NS1_11comp_targetILNS1_3genE10ELNS1_11target_archE1201ELNS1_3gpuE5ELNS1_3repE0EEENS1_30default_config_static_selectorELNS0_4arch9wavefront6targetE1EEEvT1_
		.amdhsa_group_segment_fixed_size 0
		.amdhsa_private_segment_fixed_size 0
		.amdhsa_kernarg_size 56
		.amdhsa_user_sgpr_count 2
		.amdhsa_user_sgpr_dispatch_ptr 0
		.amdhsa_user_sgpr_queue_ptr 0
		.amdhsa_user_sgpr_kernarg_segment_ptr 1
		.amdhsa_user_sgpr_dispatch_id 0
		.amdhsa_user_sgpr_kernarg_preload_length 0
		.amdhsa_user_sgpr_kernarg_preload_offset 0
		.amdhsa_user_sgpr_private_segment_size 0
		.amdhsa_uses_dynamic_stack 0
		.amdhsa_enable_private_segment 0
		.amdhsa_system_sgpr_workgroup_id_x 1
		.amdhsa_system_sgpr_workgroup_id_y 0
		.amdhsa_system_sgpr_workgroup_id_z 0
		.amdhsa_system_sgpr_workgroup_info 0
		.amdhsa_system_vgpr_workitem_id 0
		.amdhsa_next_free_vgpr 1
		.amdhsa_next_free_sgpr 0
		.amdhsa_accum_offset 4
		.amdhsa_reserve_vcc 0
		.amdhsa_float_round_mode_32 0
		.amdhsa_float_round_mode_16_64 0
		.amdhsa_float_denorm_mode_32 3
		.amdhsa_float_denorm_mode_16_64 3
		.amdhsa_dx10_clamp 1
		.amdhsa_ieee_mode 1
		.amdhsa_fp16_overflow 0
		.amdhsa_tg_split 0
		.amdhsa_exception_fp_ieee_invalid_op 0
		.amdhsa_exception_fp_denorm_src 0
		.amdhsa_exception_fp_ieee_div_zero 0
		.amdhsa_exception_fp_ieee_overflow 0
		.amdhsa_exception_fp_ieee_underflow 0
		.amdhsa_exception_fp_ieee_inexact 0
		.amdhsa_exception_int_div_zero 0
	.end_amdhsa_kernel
	.section	.text._ZN7rocprim17ROCPRIM_400000_NS6detail17trampoline_kernelINS0_14default_configENS1_25transform_config_selectorIlLb0EEEZNS1_14transform_implILb0ES3_S5_NS0_18transform_iteratorINS0_17counting_iteratorImlEEZNS1_24adjacent_difference_implIS3_Lb1ELb0EPlSB_ZN2at6native12_GLOBAL__N_124unique_dim_cuda_templateIhEESt5tupleIJNSC_6TensorESH_SH_EERKSH_lbbbEUlllE1_EE10hipError_tPvRmT2_T3_mT4_P12ihipStream_tbEUlmE_lEESB_NS0_8identityIvEEEESM_SP_SQ_mSR_ST_bEUlT_E_NS1_11comp_targetILNS1_3genE10ELNS1_11target_archE1201ELNS1_3gpuE5ELNS1_3repE0EEENS1_30default_config_static_selectorELNS0_4arch9wavefront6targetE1EEEvT1_,"axG",@progbits,_ZN7rocprim17ROCPRIM_400000_NS6detail17trampoline_kernelINS0_14default_configENS1_25transform_config_selectorIlLb0EEEZNS1_14transform_implILb0ES3_S5_NS0_18transform_iteratorINS0_17counting_iteratorImlEEZNS1_24adjacent_difference_implIS3_Lb1ELb0EPlSB_ZN2at6native12_GLOBAL__N_124unique_dim_cuda_templateIhEESt5tupleIJNSC_6TensorESH_SH_EERKSH_lbbbEUlllE1_EE10hipError_tPvRmT2_T3_mT4_P12ihipStream_tbEUlmE_lEESB_NS0_8identityIvEEEESM_SP_SQ_mSR_ST_bEUlT_E_NS1_11comp_targetILNS1_3genE10ELNS1_11target_archE1201ELNS1_3gpuE5ELNS1_3repE0EEENS1_30default_config_static_selectorELNS0_4arch9wavefront6targetE1EEEvT1_,comdat
.Lfunc_end71:
	.size	_ZN7rocprim17ROCPRIM_400000_NS6detail17trampoline_kernelINS0_14default_configENS1_25transform_config_selectorIlLb0EEEZNS1_14transform_implILb0ES3_S5_NS0_18transform_iteratorINS0_17counting_iteratorImlEEZNS1_24adjacent_difference_implIS3_Lb1ELb0EPlSB_ZN2at6native12_GLOBAL__N_124unique_dim_cuda_templateIhEESt5tupleIJNSC_6TensorESH_SH_EERKSH_lbbbEUlllE1_EE10hipError_tPvRmT2_T3_mT4_P12ihipStream_tbEUlmE_lEESB_NS0_8identityIvEEEESM_SP_SQ_mSR_ST_bEUlT_E_NS1_11comp_targetILNS1_3genE10ELNS1_11target_archE1201ELNS1_3gpuE5ELNS1_3repE0EEENS1_30default_config_static_selectorELNS0_4arch9wavefront6targetE1EEEvT1_, .Lfunc_end71-_ZN7rocprim17ROCPRIM_400000_NS6detail17trampoline_kernelINS0_14default_configENS1_25transform_config_selectorIlLb0EEEZNS1_14transform_implILb0ES3_S5_NS0_18transform_iteratorINS0_17counting_iteratorImlEEZNS1_24adjacent_difference_implIS3_Lb1ELb0EPlSB_ZN2at6native12_GLOBAL__N_124unique_dim_cuda_templateIhEESt5tupleIJNSC_6TensorESH_SH_EERKSH_lbbbEUlllE1_EE10hipError_tPvRmT2_T3_mT4_P12ihipStream_tbEUlmE_lEESB_NS0_8identityIvEEEESM_SP_SQ_mSR_ST_bEUlT_E_NS1_11comp_targetILNS1_3genE10ELNS1_11target_archE1201ELNS1_3gpuE5ELNS1_3repE0EEENS1_30default_config_static_selectorELNS0_4arch9wavefront6targetE1EEEvT1_
                                        ; -- End function
	.set _ZN7rocprim17ROCPRIM_400000_NS6detail17trampoline_kernelINS0_14default_configENS1_25transform_config_selectorIlLb0EEEZNS1_14transform_implILb0ES3_S5_NS0_18transform_iteratorINS0_17counting_iteratorImlEEZNS1_24adjacent_difference_implIS3_Lb1ELb0EPlSB_ZN2at6native12_GLOBAL__N_124unique_dim_cuda_templateIhEESt5tupleIJNSC_6TensorESH_SH_EERKSH_lbbbEUlllE1_EE10hipError_tPvRmT2_T3_mT4_P12ihipStream_tbEUlmE_lEESB_NS0_8identityIvEEEESM_SP_SQ_mSR_ST_bEUlT_E_NS1_11comp_targetILNS1_3genE10ELNS1_11target_archE1201ELNS1_3gpuE5ELNS1_3repE0EEENS1_30default_config_static_selectorELNS0_4arch9wavefront6targetE1EEEvT1_.num_vgpr, 0
	.set _ZN7rocprim17ROCPRIM_400000_NS6detail17trampoline_kernelINS0_14default_configENS1_25transform_config_selectorIlLb0EEEZNS1_14transform_implILb0ES3_S5_NS0_18transform_iteratorINS0_17counting_iteratorImlEEZNS1_24adjacent_difference_implIS3_Lb1ELb0EPlSB_ZN2at6native12_GLOBAL__N_124unique_dim_cuda_templateIhEESt5tupleIJNSC_6TensorESH_SH_EERKSH_lbbbEUlllE1_EE10hipError_tPvRmT2_T3_mT4_P12ihipStream_tbEUlmE_lEESB_NS0_8identityIvEEEESM_SP_SQ_mSR_ST_bEUlT_E_NS1_11comp_targetILNS1_3genE10ELNS1_11target_archE1201ELNS1_3gpuE5ELNS1_3repE0EEENS1_30default_config_static_selectorELNS0_4arch9wavefront6targetE1EEEvT1_.num_agpr, 0
	.set _ZN7rocprim17ROCPRIM_400000_NS6detail17trampoline_kernelINS0_14default_configENS1_25transform_config_selectorIlLb0EEEZNS1_14transform_implILb0ES3_S5_NS0_18transform_iteratorINS0_17counting_iteratorImlEEZNS1_24adjacent_difference_implIS3_Lb1ELb0EPlSB_ZN2at6native12_GLOBAL__N_124unique_dim_cuda_templateIhEESt5tupleIJNSC_6TensorESH_SH_EERKSH_lbbbEUlllE1_EE10hipError_tPvRmT2_T3_mT4_P12ihipStream_tbEUlmE_lEESB_NS0_8identityIvEEEESM_SP_SQ_mSR_ST_bEUlT_E_NS1_11comp_targetILNS1_3genE10ELNS1_11target_archE1201ELNS1_3gpuE5ELNS1_3repE0EEENS1_30default_config_static_selectorELNS0_4arch9wavefront6targetE1EEEvT1_.numbered_sgpr, 0
	.set _ZN7rocprim17ROCPRIM_400000_NS6detail17trampoline_kernelINS0_14default_configENS1_25transform_config_selectorIlLb0EEEZNS1_14transform_implILb0ES3_S5_NS0_18transform_iteratorINS0_17counting_iteratorImlEEZNS1_24adjacent_difference_implIS3_Lb1ELb0EPlSB_ZN2at6native12_GLOBAL__N_124unique_dim_cuda_templateIhEESt5tupleIJNSC_6TensorESH_SH_EERKSH_lbbbEUlllE1_EE10hipError_tPvRmT2_T3_mT4_P12ihipStream_tbEUlmE_lEESB_NS0_8identityIvEEEESM_SP_SQ_mSR_ST_bEUlT_E_NS1_11comp_targetILNS1_3genE10ELNS1_11target_archE1201ELNS1_3gpuE5ELNS1_3repE0EEENS1_30default_config_static_selectorELNS0_4arch9wavefront6targetE1EEEvT1_.num_named_barrier, 0
	.set _ZN7rocprim17ROCPRIM_400000_NS6detail17trampoline_kernelINS0_14default_configENS1_25transform_config_selectorIlLb0EEEZNS1_14transform_implILb0ES3_S5_NS0_18transform_iteratorINS0_17counting_iteratorImlEEZNS1_24adjacent_difference_implIS3_Lb1ELb0EPlSB_ZN2at6native12_GLOBAL__N_124unique_dim_cuda_templateIhEESt5tupleIJNSC_6TensorESH_SH_EERKSH_lbbbEUlllE1_EE10hipError_tPvRmT2_T3_mT4_P12ihipStream_tbEUlmE_lEESB_NS0_8identityIvEEEESM_SP_SQ_mSR_ST_bEUlT_E_NS1_11comp_targetILNS1_3genE10ELNS1_11target_archE1201ELNS1_3gpuE5ELNS1_3repE0EEENS1_30default_config_static_selectorELNS0_4arch9wavefront6targetE1EEEvT1_.private_seg_size, 0
	.set _ZN7rocprim17ROCPRIM_400000_NS6detail17trampoline_kernelINS0_14default_configENS1_25transform_config_selectorIlLb0EEEZNS1_14transform_implILb0ES3_S5_NS0_18transform_iteratorINS0_17counting_iteratorImlEEZNS1_24adjacent_difference_implIS3_Lb1ELb0EPlSB_ZN2at6native12_GLOBAL__N_124unique_dim_cuda_templateIhEESt5tupleIJNSC_6TensorESH_SH_EERKSH_lbbbEUlllE1_EE10hipError_tPvRmT2_T3_mT4_P12ihipStream_tbEUlmE_lEESB_NS0_8identityIvEEEESM_SP_SQ_mSR_ST_bEUlT_E_NS1_11comp_targetILNS1_3genE10ELNS1_11target_archE1201ELNS1_3gpuE5ELNS1_3repE0EEENS1_30default_config_static_selectorELNS0_4arch9wavefront6targetE1EEEvT1_.uses_vcc, 0
	.set _ZN7rocprim17ROCPRIM_400000_NS6detail17trampoline_kernelINS0_14default_configENS1_25transform_config_selectorIlLb0EEEZNS1_14transform_implILb0ES3_S5_NS0_18transform_iteratorINS0_17counting_iteratorImlEEZNS1_24adjacent_difference_implIS3_Lb1ELb0EPlSB_ZN2at6native12_GLOBAL__N_124unique_dim_cuda_templateIhEESt5tupleIJNSC_6TensorESH_SH_EERKSH_lbbbEUlllE1_EE10hipError_tPvRmT2_T3_mT4_P12ihipStream_tbEUlmE_lEESB_NS0_8identityIvEEEESM_SP_SQ_mSR_ST_bEUlT_E_NS1_11comp_targetILNS1_3genE10ELNS1_11target_archE1201ELNS1_3gpuE5ELNS1_3repE0EEENS1_30default_config_static_selectorELNS0_4arch9wavefront6targetE1EEEvT1_.uses_flat_scratch, 0
	.set _ZN7rocprim17ROCPRIM_400000_NS6detail17trampoline_kernelINS0_14default_configENS1_25transform_config_selectorIlLb0EEEZNS1_14transform_implILb0ES3_S5_NS0_18transform_iteratorINS0_17counting_iteratorImlEEZNS1_24adjacent_difference_implIS3_Lb1ELb0EPlSB_ZN2at6native12_GLOBAL__N_124unique_dim_cuda_templateIhEESt5tupleIJNSC_6TensorESH_SH_EERKSH_lbbbEUlllE1_EE10hipError_tPvRmT2_T3_mT4_P12ihipStream_tbEUlmE_lEESB_NS0_8identityIvEEEESM_SP_SQ_mSR_ST_bEUlT_E_NS1_11comp_targetILNS1_3genE10ELNS1_11target_archE1201ELNS1_3gpuE5ELNS1_3repE0EEENS1_30default_config_static_selectorELNS0_4arch9wavefront6targetE1EEEvT1_.has_dyn_sized_stack, 0
	.set _ZN7rocprim17ROCPRIM_400000_NS6detail17trampoline_kernelINS0_14default_configENS1_25transform_config_selectorIlLb0EEEZNS1_14transform_implILb0ES3_S5_NS0_18transform_iteratorINS0_17counting_iteratorImlEEZNS1_24adjacent_difference_implIS3_Lb1ELb0EPlSB_ZN2at6native12_GLOBAL__N_124unique_dim_cuda_templateIhEESt5tupleIJNSC_6TensorESH_SH_EERKSH_lbbbEUlllE1_EE10hipError_tPvRmT2_T3_mT4_P12ihipStream_tbEUlmE_lEESB_NS0_8identityIvEEEESM_SP_SQ_mSR_ST_bEUlT_E_NS1_11comp_targetILNS1_3genE10ELNS1_11target_archE1201ELNS1_3gpuE5ELNS1_3repE0EEENS1_30default_config_static_selectorELNS0_4arch9wavefront6targetE1EEEvT1_.has_recursion, 0
	.set _ZN7rocprim17ROCPRIM_400000_NS6detail17trampoline_kernelINS0_14default_configENS1_25transform_config_selectorIlLb0EEEZNS1_14transform_implILb0ES3_S5_NS0_18transform_iteratorINS0_17counting_iteratorImlEEZNS1_24adjacent_difference_implIS3_Lb1ELb0EPlSB_ZN2at6native12_GLOBAL__N_124unique_dim_cuda_templateIhEESt5tupleIJNSC_6TensorESH_SH_EERKSH_lbbbEUlllE1_EE10hipError_tPvRmT2_T3_mT4_P12ihipStream_tbEUlmE_lEESB_NS0_8identityIvEEEESM_SP_SQ_mSR_ST_bEUlT_E_NS1_11comp_targetILNS1_3genE10ELNS1_11target_archE1201ELNS1_3gpuE5ELNS1_3repE0EEENS1_30default_config_static_selectorELNS0_4arch9wavefront6targetE1EEEvT1_.has_indirect_call, 0
	.section	.AMDGPU.csdata,"",@progbits
; Kernel info:
; codeLenInByte = 0
; TotalNumSgprs: 6
; NumVgprs: 0
; NumAgprs: 0
; TotalNumVgprs: 0
; ScratchSize: 0
; MemoryBound: 0
; FloatMode: 240
; IeeeMode: 1
; LDSByteSize: 0 bytes/workgroup (compile time only)
; SGPRBlocks: 0
; VGPRBlocks: 0
; NumSGPRsForWavesPerEU: 6
; NumVGPRsForWavesPerEU: 1
; AccumOffset: 4
; Occupancy: 8
; WaveLimiterHint : 0
; COMPUTE_PGM_RSRC2:SCRATCH_EN: 0
; COMPUTE_PGM_RSRC2:USER_SGPR: 2
; COMPUTE_PGM_RSRC2:TRAP_HANDLER: 0
; COMPUTE_PGM_RSRC2:TGID_X_EN: 1
; COMPUTE_PGM_RSRC2:TGID_Y_EN: 0
; COMPUTE_PGM_RSRC2:TGID_Z_EN: 0
; COMPUTE_PGM_RSRC2:TIDIG_COMP_CNT: 0
; COMPUTE_PGM_RSRC3_GFX90A:ACCUM_OFFSET: 0
; COMPUTE_PGM_RSRC3_GFX90A:TG_SPLIT: 0
	.section	.text._ZN7rocprim17ROCPRIM_400000_NS6detail17trampoline_kernelINS0_14default_configENS1_25transform_config_selectorIlLb0EEEZNS1_14transform_implILb0ES3_S5_NS0_18transform_iteratorINS0_17counting_iteratorImlEEZNS1_24adjacent_difference_implIS3_Lb1ELb0EPlSB_ZN2at6native12_GLOBAL__N_124unique_dim_cuda_templateIhEESt5tupleIJNSC_6TensorESH_SH_EERKSH_lbbbEUlllE1_EE10hipError_tPvRmT2_T3_mT4_P12ihipStream_tbEUlmE_lEESB_NS0_8identityIvEEEESM_SP_SQ_mSR_ST_bEUlT_E_NS1_11comp_targetILNS1_3genE10ELNS1_11target_archE1200ELNS1_3gpuE4ELNS1_3repE0EEENS1_30default_config_static_selectorELNS0_4arch9wavefront6targetE1EEEvT1_,"axG",@progbits,_ZN7rocprim17ROCPRIM_400000_NS6detail17trampoline_kernelINS0_14default_configENS1_25transform_config_selectorIlLb0EEEZNS1_14transform_implILb0ES3_S5_NS0_18transform_iteratorINS0_17counting_iteratorImlEEZNS1_24adjacent_difference_implIS3_Lb1ELb0EPlSB_ZN2at6native12_GLOBAL__N_124unique_dim_cuda_templateIhEESt5tupleIJNSC_6TensorESH_SH_EERKSH_lbbbEUlllE1_EE10hipError_tPvRmT2_T3_mT4_P12ihipStream_tbEUlmE_lEESB_NS0_8identityIvEEEESM_SP_SQ_mSR_ST_bEUlT_E_NS1_11comp_targetILNS1_3genE10ELNS1_11target_archE1200ELNS1_3gpuE4ELNS1_3repE0EEENS1_30default_config_static_selectorELNS0_4arch9wavefront6targetE1EEEvT1_,comdat
	.globl	_ZN7rocprim17ROCPRIM_400000_NS6detail17trampoline_kernelINS0_14default_configENS1_25transform_config_selectorIlLb0EEEZNS1_14transform_implILb0ES3_S5_NS0_18transform_iteratorINS0_17counting_iteratorImlEEZNS1_24adjacent_difference_implIS3_Lb1ELb0EPlSB_ZN2at6native12_GLOBAL__N_124unique_dim_cuda_templateIhEESt5tupleIJNSC_6TensorESH_SH_EERKSH_lbbbEUlllE1_EE10hipError_tPvRmT2_T3_mT4_P12ihipStream_tbEUlmE_lEESB_NS0_8identityIvEEEESM_SP_SQ_mSR_ST_bEUlT_E_NS1_11comp_targetILNS1_3genE10ELNS1_11target_archE1200ELNS1_3gpuE4ELNS1_3repE0EEENS1_30default_config_static_selectorELNS0_4arch9wavefront6targetE1EEEvT1_ ; -- Begin function _ZN7rocprim17ROCPRIM_400000_NS6detail17trampoline_kernelINS0_14default_configENS1_25transform_config_selectorIlLb0EEEZNS1_14transform_implILb0ES3_S5_NS0_18transform_iteratorINS0_17counting_iteratorImlEEZNS1_24adjacent_difference_implIS3_Lb1ELb0EPlSB_ZN2at6native12_GLOBAL__N_124unique_dim_cuda_templateIhEESt5tupleIJNSC_6TensorESH_SH_EERKSH_lbbbEUlllE1_EE10hipError_tPvRmT2_T3_mT4_P12ihipStream_tbEUlmE_lEESB_NS0_8identityIvEEEESM_SP_SQ_mSR_ST_bEUlT_E_NS1_11comp_targetILNS1_3genE10ELNS1_11target_archE1200ELNS1_3gpuE4ELNS1_3repE0EEENS1_30default_config_static_selectorELNS0_4arch9wavefront6targetE1EEEvT1_
	.p2align	8
	.type	_ZN7rocprim17ROCPRIM_400000_NS6detail17trampoline_kernelINS0_14default_configENS1_25transform_config_selectorIlLb0EEEZNS1_14transform_implILb0ES3_S5_NS0_18transform_iteratorINS0_17counting_iteratorImlEEZNS1_24adjacent_difference_implIS3_Lb1ELb0EPlSB_ZN2at6native12_GLOBAL__N_124unique_dim_cuda_templateIhEESt5tupleIJNSC_6TensorESH_SH_EERKSH_lbbbEUlllE1_EE10hipError_tPvRmT2_T3_mT4_P12ihipStream_tbEUlmE_lEESB_NS0_8identityIvEEEESM_SP_SQ_mSR_ST_bEUlT_E_NS1_11comp_targetILNS1_3genE10ELNS1_11target_archE1200ELNS1_3gpuE4ELNS1_3repE0EEENS1_30default_config_static_selectorELNS0_4arch9wavefront6targetE1EEEvT1_,@function
_ZN7rocprim17ROCPRIM_400000_NS6detail17trampoline_kernelINS0_14default_configENS1_25transform_config_selectorIlLb0EEEZNS1_14transform_implILb0ES3_S5_NS0_18transform_iteratorINS0_17counting_iteratorImlEEZNS1_24adjacent_difference_implIS3_Lb1ELb0EPlSB_ZN2at6native12_GLOBAL__N_124unique_dim_cuda_templateIhEESt5tupleIJNSC_6TensorESH_SH_EERKSH_lbbbEUlllE1_EE10hipError_tPvRmT2_T3_mT4_P12ihipStream_tbEUlmE_lEESB_NS0_8identityIvEEEESM_SP_SQ_mSR_ST_bEUlT_E_NS1_11comp_targetILNS1_3genE10ELNS1_11target_archE1200ELNS1_3gpuE4ELNS1_3repE0EEENS1_30default_config_static_selectorELNS0_4arch9wavefront6targetE1EEEvT1_: ; @_ZN7rocprim17ROCPRIM_400000_NS6detail17trampoline_kernelINS0_14default_configENS1_25transform_config_selectorIlLb0EEEZNS1_14transform_implILb0ES3_S5_NS0_18transform_iteratorINS0_17counting_iteratorImlEEZNS1_24adjacent_difference_implIS3_Lb1ELb0EPlSB_ZN2at6native12_GLOBAL__N_124unique_dim_cuda_templateIhEESt5tupleIJNSC_6TensorESH_SH_EERKSH_lbbbEUlllE1_EE10hipError_tPvRmT2_T3_mT4_P12ihipStream_tbEUlmE_lEESB_NS0_8identityIvEEEESM_SP_SQ_mSR_ST_bEUlT_E_NS1_11comp_targetILNS1_3genE10ELNS1_11target_archE1200ELNS1_3gpuE4ELNS1_3repE0EEENS1_30default_config_static_selectorELNS0_4arch9wavefront6targetE1EEEvT1_
; %bb.0:
	.section	.rodata,"a",@progbits
	.p2align	6, 0x0
	.amdhsa_kernel _ZN7rocprim17ROCPRIM_400000_NS6detail17trampoline_kernelINS0_14default_configENS1_25transform_config_selectorIlLb0EEEZNS1_14transform_implILb0ES3_S5_NS0_18transform_iteratorINS0_17counting_iteratorImlEEZNS1_24adjacent_difference_implIS3_Lb1ELb0EPlSB_ZN2at6native12_GLOBAL__N_124unique_dim_cuda_templateIhEESt5tupleIJNSC_6TensorESH_SH_EERKSH_lbbbEUlllE1_EE10hipError_tPvRmT2_T3_mT4_P12ihipStream_tbEUlmE_lEESB_NS0_8identityIvEEEESM_SP_SQ_mSR_ST_bEUlT_E_NS1_11comp_targetILNS1_3genE10ELNS1_11target_archE1200ELNS1_3gpuE4ELNS1_3repE0EEENS1_30default_config_static_selectorELNS0_4arch9wavefront6targetE1EEEvT1_
		.amdhsa_group_segment_fixed_size 0
		.amdhsa_private_segment_fixed_size 0
		.amdhsa_kernarg_size 56
		.amdhsa_user_sgpr_count 2
		.amdhsa_user_sgpr_dispatch_ptr 0
		.amdhsa_user_sgpr_queue_ptr 0
		.amdhsa_user_sgpr_kernarg_segment_ptr 1
		.amdhsa_user_sgpr_dispatch_id 0
		.amdhsa_user_sgpr_kernarg_preload_length 0
		.amdhsa_user_sgpr_kernarg_preload_offset 0
		.amdhsa_user_sgpr_private_segment_size 0
		.amdhsa_uses_dynamic_stack 0
		.amdhsa_enable_private_segment 0
		.amdhsa_system_sgpr_workgroup_id_x 1
		.amdhsa_system_sgpr_workgroup_id_y 0
		.amdhsa_system_sgpr_workgroup_id_z 0
		.amdhsa_system_sgpr_workgroup_info 0
		.amdhsa_system_vgpr_workitem_id 0
		.amdhsa_next_free_vgpr 1
		.amdhsa_next_free_sgpr 0
		.amdhsa_accum_offset 4
		.amdhsa_reserve_vcc 0
		.amdhsa_float_round_mode_32 0
		.amdhsa_float_round_mode_16_64 0
		.amdhsa_float_denorm_mode_32 3
		.amdhsa_float_denorm_mode_16_64 3
		.amdhsa_dx10_clamp 1
		.amdhsa_ieee_mode 1
		.amdhsa_fp16_overflow 0
		.amdhsa_tg_split 0
		.amdhsa_exception_fp_ieee_invalid_op 0
		.amdhsa_exception_fp_denorm_src 0
		.amdhsa_exception_fp_ieee_div_zero 0
		.amdhsa_exception_fp_ieee_overflow 0
		.amdhsa_exception_fp_ieee_underflow 0
		.amdhsa_exception_fp_ieee_inexact 0
		.amdhsa_exception_int_div_zero 0
	.end_amdhsa_kernel
	.section	.text._ZN7rocprim17ROCPRIM_400000_NS6detail17trampoline_kernelINS0_14default_configENS1_25transform_config_selectorIlLb0EEEZNS1_14transform_implILb0ES3_S5_NS0_18transform_iteratorINS0_17counting_iteratorImlEEZNS1_24adjacent_difference_implIS3_Lb1ELb0EPlSB_ZN2at6native12_GLOBAL__N_124unique_dim_cuda_templateIhEESt5tupleIJNSC_6TensorESH_SH_EERKSH_lbbbEUlllE1_EE10hipError_tPvRmT2_T3_mT4_P12ihipStream_tbEUlmE_lEESB_NS0_8identityIvEEEESM_SP_SQ_mSR_ST_bEUlT_E_NS1_11comp_targetILNS1_3genE10ELNS1_11target_archE1200ELNS1_3gpuE4ELNS1_3repE0EEENS1_30default_config_static_selectorELNS0_4arch9wavefront6targetE1EEEvT1_,"axG",@progbits,_ZN7rocprim17ROCPRIM_400000_NS6detail17trampoline_kernelINS0_14default_configENS1_25transform_config_selectorIlLb0EEEZNS1_14transform_implILb0ES3_S5_NS0_18transform_iteratorINS0_17counting_iteratorImlEEZNS1_24adjacent_difference_implIS3_Lb1ELb0EPlSB_ZN2at6native12_GLOBAL__N_124unique_dim_cuda_templateIhEESt5tupleIJNSC_6TensorESH_SH_EERKSH_lbbbEUlllE1_EE10hipError_tPvRmT2_T3_mT4_P12ihipStream_tbEUlmE_lEESB_NS0_8identityIvEEEESM_SP_SQ_mSR_ST_bEUlT_E_NS1_11comp_targetILNS1_3genE10ELNS1_11target_archE1200ELNS1_3gpuE4ELNS1_3repE0EEENS1_30default_config_static_selectorELNS0_4arch9wavefront6targetE1EEEvT1_,comdat
.Lfunc_end72:
	.size	_ZN7rocprim17ROCPRIM_400000_NS6detail17trampoline_kernelINS0_14default_configENS1_25transform_config_selectorIlLb0EEEZNS1_14transform_implILb0ES3_S5_NS0_18transform_iteratorINS0_17counting_iteratorImlEEZNS1_24adjacent_difference_implIS3_Lb1ELb0EPlSB_ZN2at6native12_GLOBAL__N_124unique_dim_cuda_templateIhEESt5tupleIJNSC_6TensorESH_SH_EERKSH_lbbbEUlllE1_EE10hipError_tPvRmT2_T3_mT4_P12ihipStream_tbEUlmE_lEESB_NS0_8identityIvEEEESM_SP_SQ_mSR_ST_bEUlT_E_NS1_11comp_targetILNS1_3genE10ELNS1_11target_archE1200ELNS1_3gpuE4ELNS1_3repE0EEENS1_30default_config_static_selectorELNS0_4arch9wavefront6targetE1EEEvT1_, .Lfunc_end72-_ZN7rocprim17ROCPRIM_400000_NS6detail17trampoline_kernelINS0_14default_configENS1_25transform_config_selectorIlLb0EEEZNS1_14transform_implILb0ES3_S5_NS0_18transform_iteratorINS0_17counting_iteratorImlEEZNS1_24adjacent_difference_implIS3_Lb1ELb0EPlSB_ZN2at6native12_GLOBAL__N_124unique_dim_cuda_templateIhEESt5tupleIJNSC_6TensorESH_SH_EERKSH_lbbbEUlllE1_EE10hipError_tPvRmT2_T3_mT4_P12ihipStream_tbEUlmE_lEESB_NS0_8identityIvEEEESM_SP_SQ_mSR_ST_bEUlT_E_NS1_11comp_targetILNS1_3genE10ELNS1_11target_archE1200ELNS1_3gpuE4ELNS1_3repE0EEENS1_30default_config_static_selectorELNS0_4arch9wavefront6targetE1EEEvT1_
                                        ; -- End function
	.set _ZN7rocprim17ROCPRIM_400000_NS6detail17trampoline_kernelINS0_14default_configENS1_25transform_config_selectorIlLb0EEEZNS1_14transform_implILb0ES3_S5_NS0_18transform_iteratorINS0_17counting_iteratorImlEEZNS1_24adjacent_difference_implIS3_Lb1ELb0EPlSB_ZN2at6native12_GLOBAL__N_124unique_dim_cuda_templateIhEESt5tupleIJNSC_6TensorESH_SH_EERKSH_lbbbEUlllE1_EE10hipError_tPvRmT2_T3_mT4_P12ihipStream_tbEUlmE_lEESB_NS0_8identityIvEEEESM_SP_SQ_mSR_ST_bEUlT_E_NS1_11comp_targetILNS1_3genE10ELNS1_11target_archE1200ELNS1_3gpuE4ELNS1_3repE0EEENS1_30default_config_static_selectorELNS0_4arch9wavefront6targetE1EEEvT1_.num_vgpr, 0
	.set _ZN7rocprim17ROCPRIM_400000_NS6detail17trampoline_kernelINS0_14default_configENS1_25transform_config_selectorIlLb0EEEZNS1_14transform_implILb0ES3_S5_NS0_18transform_iteratorINS0_17counting_iteratorImlEEZNS1_24adjacent_difference_implIS3_Lb1ELb0EPlSB_ZN2at6native12_GLOBAL__N_124unique_dim_cuda_templateIhEESt5tupleIJNSC_6TensorESH_SH_EERKSH_lbbbEUlllE1_EE10hipError_tPvRmT2_T3_mT4_P12ihipStream_tbEUlmE_lEESB_NS0_8identityIvEEEESM_SP_SQ_mSR_ST_bEUlT_E_NS1_11comp_targetILNS1_3genE10ELNS1_11target_archE1200ELNS1_3gpuE4ELNS1_3repE0EEENS1_30default_config_static_selectorELNS0_4arch9wavefront6targetE1EEEvT1_.num_agpr, 0
	.set _ZN7rocprim17ROCPRIM_400000_NS6detail17trampoline_kernelINS0_14default_configENS1_25transform_config_selectorIlLb0EEEZNS1_14transform_implILb0ES3_S5_NS0_18transform_iteratorINS0_17counting_iteratorImlEEZNS1_24adjacent_difference_implIS3_Lb1ELb0EPlSB_ZN2at6native12_GLOBAL__N_124unique_dim_cuda_templateIhEESt5tupleIJNSC_6TensorESH_SH_EERKSH_lbbbEUlllE1_EE10hipError_tPvRmT2_T3_mT4_P12ihipStream_tbEUlmE_lEESB_NS0_8identityIvEEEESM_SP_SQ_mSR_ST_bEUlT_E_NS1_11comp_targetILNS1_3genE10ELNS1_11target_archE1200ELNS1_3gpuE4ELNS1_3repE0EEENS1_30default_config_static_selectorELNS0_4arch9wavefront6targetE1EEEvT1_.numbered_sgpr, 0
	.set _ZN7rocprim17ROCPRIM_400000_NS6detail17trampoline_kernelINS0_14default_configENS1_25transform_config_selectorIlLb0EEEZNS1_14transform_implILb0ES3_S5_NS0_18transform_iteratorINS0_17counting_iteratorImlEEZNS1_24adjacent_difference_implIS3_Lb1ELb0EPlSB_ZN2at6native12_GLOBAL__N_124unique_dim_cuda_templateIhEESt5tupleIJNSC_6TensorESH_SH_EERKSH_lbbbEUlllE1_EE10hipError_tPvRmT2_T3_mT4_P12ihipStream_tbEUlmE_lEESB_NS0_8identityIvEEEESM_SP_SQ_mSR_ST_bEUlT_E_NS1_11comp_targetILNS1_3genE10ELNS1_11target_archE1200ELNS1_3gpuE4ELNS1_3repE0EEENS1_30default_config_static_selectorELNS0_4arch9wavefront6targetE1EEEvT1_.num_named_barrier, 0
	.set _ZN7rocprim17ROCPRIM_400000_NS6detail17trampoline_kernelINS0_14default_configENS1_25transform_config_selectorIlLb0EEEZNS1_14transform_implILb0ES3_S5_NS0_18transform_iteratorINS0_17counting_iteratorImlEEZNS1_24adjacent_difference_implIS3_Lb1ELb0EPlSB_ZN2at6native12_GLOBAL__N_124unique_dim_cuda_templateIhEESt5tupleIJNSC_6TensorESH_SH_EERKSH_lbbbEUlllE1_EE10hipError_tPvRmT2_T3_mT4_P12ihipStream_tbEUlmE_lEESB_NS0_8identityIvEEEESM_SP_SQ_mSR_ST_bEUlT_E_NS1_11comp_targetILNS1_3genE10ELNS1_11target_archE1200ELNS1_3gpuE4ELNS1_3repE0EEENS1_30default_config_static_selectorELNS0_4arch9wavefront6targetE1EEEvT1_.private_seg_size, 0
	.set _ZN7rocprim17ROCPRIM_400000_NS6detail17trampoline_kernelINS0_14default_configENS1_25transform_config_selectorIlLb0EEEZNS1_14transform_implILb0ES3_S5_NS0_18transform_iteratorINS0_17counting_iteratorImlEEZNS1_24adjacent_difference_implIS3_Lb1ELb0EPlSB_ZN2at6native12_GLOBAL__N_124unique_dim_cuda_templateIhEESt5tupleIJNSC_6TensorESH_SH_EERKSH_lbbbEUlllE1_EE10hipError_tPvRmT2_T3_mT4_P12ihipStream_tbEUlmE_lEESB_NS0_8identityIvEEEESM_SP_SQ_mSR_ST_bEUlT_E_NS1_11comp_targetILNS1_3genE10ELNS1_11target_archE1200ELNS1_3gpuE4ELNS1_3repE0EEENS1_30default_config_static_selectorELNS0_4arch9wavefront6targetE1EEEvT1_.uses_vcc, 0
	.set _ZN7rocprim17ROCPRIM_400000_NS6detail17trampoline_kernelINS0_14default_configENS1_25transform_config_selectorIlLb0EEEZNS1_14transform_implILb0ES3_S5_NS0_18transform_iteratorINS0_17counting_iteratorImlEEZNS1_24adjacent_difference_implIS3_Lb1ELb0EPlSB_ZN2at6native12_GLOBAL__N_124unique_dim_cuda_templateIhEESt5tupleIJNSC_6TensorESH_SH_EERKSH_lbbbEUlllE1_EE10hipError_tPvRmT2_T3_mT4_P12ihipStream_tbEUlmE_lEESB_NS0_8identityIvEEEESM_SP_SQ_mSR_ST_bEUlT_E_NS1_11comp_targetILNS1_3genE10ELNS1_11target_archE1200ELNS1_3gpuE4ELNS1_3repE0EEENS1_30default_config_static_selectorELNS0_4arch9wavefront6targetE1EEEvT1_.uses_flat_scratch, 0
	.set _ZN7rocprim17ROCPRIM_400000_NS6detail17trampoline_kernelINS0_14default_configENS1_25transform_config_selectorIlLb0EEEZNS1_14transform_implILb0ES3_S5_NS0_18transform_iteratorINS0_17counting_iteratorImlEEZNS1_24adjacent_difference_implIS3_Lb1ELb0EPlSB_ZN2at6native12_GLOBAL__N_124unique_dim_cuda_templateIhEESt5tupleIJNSC_6TensorESH_SH_EERKSH_lbbbEUlllE1_EE10hipError_tPvRmT2_T3_mT4_P12ihipStream_tbEUlmE_lEESB_NS0_8identityIvEEEESM_SP_SQ_mSR_ST_bEUlT_E_NS1_11comp_targetILNS1_3genE10ELNS1_11target_archE1200ELNS1_3gpuE4ELNS1_3repE0EEENS1_30default_config_static_selectorELNS0_4arch9wavefront6targetE1EEEvT1_.has_dyn_sized_stack, 0
	.set _ZN7rocprim17ROCPRIM_400000_NS6detail17trampoline_kernelINS0_14default_configENS1_25transform_config_selectorIlLb0EEEZNS1_14transform_implILb0ES3_S5_NS0_18transform_iteratorINS0_17counting_iteratorImlEEZNS1_24adjacent_difference_implIS3_Lb1ELb0EPlSB_ZN2at6native12_GLOBAL__N_124unique_dim_cuda_templateIhEESt5tupleIJNSC_6TensorESH_SH_EERKSH_lbbbEUlllE1_EE10hipError_tPvRmT2_T3_mT4_P12ihipStream_tbEUlmE_lEESB_NS0_8identityIvEEEESM_SP_SQ_mSR_ST_bEUlT_E_NS1_11comp_targetILNS1_3genE10ELNS1_11target_archE1200ELNS1_3gpuE4ELNS1_3repE0EEENS1_30default_config_static_selectorELNS0_4arch9wavefront6targetE1EEEvT1_.has_recursion, 0
	.set _ZN7rocprim17ROCPRIM_400000_NS6detail17trampoline_kernelINS0_14default_configENS1_25transform_config_selectorIlLb0EEEZNS1_14transform_implILb0ES3_S5_NS0_18transform_iteratorINS0_17counting_iteratorImlEEZNS1_24adjacent_difference_implIS3_Lb1ELb0EPlSB_ZN2at6native12_GLOBAL__N_124unique_dim_cuda_templateIhEESt5tupleIJNSC_6TensorESH_SH_EERKSH_lbbbEUlllE1_EE10hipError_tPvRmT2_T3_mT4_P12ihipStream_tbEUlmE_lEESB_NS0_8identityIvEEEESM_SP_SQ_mSR_ST_bEUlT_E_NS1_11comp_targetILNS1_3genE10ELNS1_11target_archE1200ELNS1_3gpuE4ELNS1_3repE0EEENS1_30default_config_static_selectorELNS0_4arch9wavefront6targetE1EEEvT1_.has_indirect_call, 0
	.section	.AMDGPU.csdata,"",@progbits
; Kernel info:
; codeLenInByte = 0
; TotalNumSgprs: 6
; NumVgprs: 0
; NumAgprs: 0
; TotalNumVgprs: 0
; ScratchSize: 0
; MemoryBound: 0
; FloatMode: 240
; IeeeMode: 1
; LDSByteSize: 0 bytes/workgroup (compile time only)
; SGPRBlocks: 0
; VGPRBlocks: 0
; NumSGPRsForWavesPerEU: 6
; NumVGPRsForWavesPerEU: 1
; AccumOffset: 4
; Occupancy: 8
; WaveLimiterHint : 0
; COMPUTE_PGM_RSRC2:SCRATCH_EN: 0
; COMPUTE_PGM_RSRC2:USER_SGPR: 2
; COMPUTE_PGM_RSRC2:TRAP_HANDLER: 0
; COMPUTE_PGM_RSRC2:TGID_X_EN: 1
; COMPUTE_PGM_RSRC2:TGID_Y_EN: 0
; COMPUTE_PGM_RSRC2:TGID_Z_EN: 0
; COMPUTE_PGM_RSRC2:TIDIG_COMP_CNT: 0
; COMPUTE_PGM_RSRC3_GFX90A:ACCUM_OFFSET: 0
; COMPUTE_PGM_RSRC3_GFX90A:TG_SPLIT: 0
	.section	.text._ZN7rocprim17ROCPRIM_400000_NS6detail17trampoline_kernelINS0_14default_configENS1_25transform_config_selectorIlLb0EEEZNS1_14transform_implILb0ES3_S5_NS0_18transform_iteratorINS0_17counting_iteratorImlEEZNS1_24adjacent_difference_implIS3_Lb1ELb0EPlSB_ZN2at6native12_GLOBAL__N_124unique_dim_cuda_templateIhEESt5tupleIJNSC_6TensorESH_SH_EERKSH_lbbbEUlllE1_EE10hipError_tPvRmT2_T3_mT4_P12ihipStream_tbEUlmE_lEESB_NS0_8identityIvEEEESM_SP_SQ_mSR_ST_bEUlT_E_NS1_11comp_targetILNS1_3genE9ELNS1_11target_archE1100ELNS1_3gpuE3ELNS1_3repE0EEENS1_30default_config_static_selectorELNS0_4arch9wavefront6targetE1EEEvT1_,"axG",@progbits,_ZN7rocprim17ROCPRIM_400000_NS6detail17trampoline_kernelINS0_14default_configENS1_25transform_config_selectorIlLb0EEEZNS1_14transform_implILb0ES3_S5_NS0_18transform_iteratorINS0_17counting_iteratorImlEEZNS1_24adjacent_difference_implIS3_Lb1ELb0EPlSB_ZN2at6native12_GLOBAL__N_124unique_dim_cuda_templateIhEESt5tupleIJNSC_6TensorESH_SH_EERKSH_lbbbEUlllE1_EE10hipError_tPvRmT2_T3_mT4_P12ihipStream_tbEUlmE_lEESB_NS0_8identityIvEEEESM_SP_SQ_mSR_ST_bEUlT_E_NS1_11comp_targetILNS1_3genE9ELNS1_11target_archE1100ELNS1_3gpuE3ELNS1_3repE0EEENS1_30default_config_static_selectorELNS0_4arch9wavefront6targetE1EEEvT1_,comdat
	.globl	_ZN7rocprim17ROCPRIM_400000_NS6detail17trampoline_kernelINS0_14default_configENS1_25transform_config_selectorIlLb0EEEZNS1_14transform_implILb0ES3_S5_NS0_18transform_iteratorINS0_17counting_iteratorImlEEZNS1_24adjacent_difference_implIS3_Lb1ELb0EPlSB_ZN2at6native12_GLOBAL__N_124unique_dim_cuda_templateIhEESt5tupleIJNSC_6TensorESH_SH_EERKSH_lbbbEUlllE1_EE10hipError_tPvRmT2_T3_mT4_P12ihipStream_tbEUlmE_lEESB_NS0_8identityIvEEEESM_SP_SQ_mSR_ST_bEUlT_E_NS1_11comp_targetILNS1_3genE9ELNS1_11target_archE1100ELNS1_3gpuE3ELNS1_3repE0EEENS1_30default_config_static_selectorELNS0_4arch9wavefront6targetE1EEEvT1_ ; -- Begin function _ZN7rocprim17ROCPRIM_400000_NS6detail17trampoline_kernelINS0_14default_configENS1_25transform_config_selectorIlLb0EEEZNS1_14transform_implILb0ES3_S5_NS0_18transform_iteratorINS0_17counting_iteratorImlEEZNS1_24adjacent_difference_implIS3_Lb1ELb0EPlSB_ZN2at6native12_GLOBAL__N_124unique_dim_cuda_templateIhEESt5tupleIJNSC_6TensorESH_SH_EERKSH_lbbbEUlllE1_EE10hipError_tPvRmT2_T3_mT4_P12ihipStream_tbEUlmE_lEESB_NS0_8identityIvEEEESM_SP_SQ_mSR_ST_bEUlT_E_NS1_11comp_targetILNS1_3genE9ELNS1_11target_archE1100ELNS1_3gpuE3ELNS1_3repE0EEENS1_30default_config_static_selectorELNS0_4arch9wavefront6targetE1EEEvT1_
	.p2align	8
	.type	_ZN7rocprim17ROCPRIM_400000_NS6detail17trampoline_kernelINS0_14default_configENS1_25transform_config_selectorIlLb0EEEZNS1_14transform_implILb0ES3_S5_NS0_18transform_iteratorINS0_17counting_iteratorImlEEZNS1_24adjacent_difference_implIS3_Lb1ELb0EPlSB_ZN2at6native12_GLOBAL__N_124unique_dim_cuda_templateIhEESt5tupleIJNSC_6TensorESH_SH_EERKSH_lbbbEUlllE1_EE10hipError_tPvRmT2_T3_mT4_P12ihipStream_tbEUlmE_lEESB_NS0_8identityIvEEEESM_SP_SQ_mSR_ST_bEUlT_E_NS1_11comp_targetILNS1_3genE9ELNS1_11target_archE1100ELNS1_3gpuE3ELNS1_3repE0EEENS1_30default_config_static_selectorELNS0_4arch9wavefront6targetE1EEEvT1_,@function
_ZN7rocprim17ROCPRIM_400000_NS6detail17trampoline_kernelINS0_14default_configENS1_25transform_config_selectorIlLb0EEEZNS1_14transform_implILb0ES3_S5_NS0_18transform_iteratorINS0_17counting_iteratorImlEEZNS1_24adjacent_difference_implIS3_Lb1ELb0EPlSB_ZN2at6native12_GLOBAL__N_124unique_dim_cuda_templateIhEESt5tupleIJNSC_6TensorESH_SH_EERKSH_lbbbEUlllE1_EE10hipError_tPvRmT2_T3_mT4_P12ihipStream_tbEUlmE_lEESB_NS0_8identityIvEEEESM_SP_SQ_mSR_ST_bEUlT_E_NS1_11comp_targetILNS1_3genE9ELNS1_11target_archE1100ELNS1_3gpuE3ELNS1_3repE0EEENS1_30default_config_static_selectorELNS0_4arch9wavefront6targetE1EEEvT1_: ; @_ZN7rocprim17ROCPRIM_400000_NS6detail17trampoline_kernelINS0_14default_configENS1_25transform_config_selectorIlLb0EEEZNS1_14transform_implILb0ES3_S5_NS0_18transform_iteratorINS0_17counting_iteratorImlEEZNS1_24adjacent_difference_implIS3_Lb1ELb0EPlSB_ZN2at6native12_GLOBAL__N_124unique_dim_cuda_templateIhEESt5tupleIJNSC_6TensorESH_SH_EERKSH_lbbbEUlllE1_EE10hipError_tPvRmT2_T3_mT4_P12ihipStream_tbEUlmE_lEESB_NS0_8identityIvEEEESM_SP_SQ_mSR_ST_bEUlT_E_NS1_11comp_targetILNS1_3genE9ELNS1_11target_archE1100ELNS1_3gpuE3ELNS1_3repE0EEENS1_30default_config_static_selectorELNS0_4arch9wavefront6targetE1EEEvT1_
; %bb.0:
	.section	.rodata,"a",@progbits
	.p2align	6, 0x0
	.amdhsa_kernel _ZN7rocprim17ROCPRIM_400000_NS6detail17trampoline_kernelINS0_14default_configENS1_25transform_config_selectorIlLb0EEEZNS1_14transform_implILb0ES3_S5_NS0_18transform_iteratorINS0_17counting_iteratorImlEEZNS1_24adjacent_difference_implIS3_Lb1ELb0EPlSB_ZN2at6native12_GLOBAL__N_124unique_dim_cuda_templateIhEESt5tupleIJNSC_6TensorESH_SH_EERKSH_lbbbEUlllE1_EE10hipError_tPvRmT2_T3_mT4_P12ihipStream_tbEUlmE_lEESB_NS0_8identityIvEEEESM_SP_SQ_mSR_ST_bEUlT_E_NS1_11comp_targetILNS1_3genE9ELNS1_11target_archE1100ELNS1_3gpuE3ELNS1_3repE0EEENS1_30default_config_static_selectorELNS0_4arch9wavefront6targetE1EEEvT1_
		.amdhsa_group_segment_fixed_size 0
		.amdhsa_private_segment_fixed_size 0
		.amdhsa_kernarg_size 56
		.amdhsa_user_sgpr_count 2
		.amdhsa_user_sgpr_dispatch_ptr 0
		.amdhsa_user_sgpr_queue_ptr 0
		.amdhsa_user_sgpr_kernarg_segment_ptr 1
		.amdhsa_user_sgpr_dispatch_id 0
		.amdhsa_user_sgpr_kernarg_preload_length 0
		.amdhsa_user_sgpr_kernarg_preload_offset 0
		.amdhsa_user_sgpr_private_segment_size 0
		.amdhsa_uses_dynamic_stack 0
		.amdhsa_enable_private_segment 0
		.amdhsa_system_sgpr_workgroup_id_x 1
		.amdhsa_system_sgpr_workgroup_id_y 0
		.amdhsa_system_sgpr_workgroup_id_z 0
		.amdhsa_system_sgpr_workgroup_info 0
		.amdhsa_system_vgpr_workitem_id 0
		.amdhsa_next_free_vgpr 1
		.amdhsa_next_free_sgpr 0
		.amdhsa_accum_offset 4
		.amdhsa_reserve_vcc 0
		.amdhsa_float_round_mode_32 0
		.amdhsa_float_round_mode_16_64 0
		.amdhsa_float_denorm_mode_32 3
		.amdhsa_float_denorm_mode_16_64 3
		.amdhsa_dx10_clamp 1
		.amdhsa_ieee_mode 1
		.amdhsa_fp16_overflow 0
		.amdhsa_tg_split 0
		.amdhsa_exception_fp_ieee_invalid_op 0
		.amdhsa_exception_fp_denorm_src 0
		.amdhsa_exception_fp_ieee_div_zero 0
		.amdhsa_exception_fp_ieee_overflow 0
		.amdhsa_exception_fp_ieee_underflow 0
		.amdhsa_exception_fp_ieee_inexact 0
		.amdhsa_exception_int_div_zero 0
	.end_amdhsa_kernel
	.section	.text._ZN7rocprim17ROCPRIM_400000_NS6detail17trampoline_kernelINS0_14default_configENS1_25transform_config_selectorIlLb0EEEZNS1_14transform_implILb0ES3_S5_NS0_18transform_iteratorINS0_17counting_iteratorImlEEZNS1_24adjacent_difference_implIS3_Lb1ELb0EPlSB_ZN2at6native12_GLOBAL__N_124unique_dim_cuda_templateIhEESt5tupleIJNSC_6TensorESH_SH_EERKSH_lbbbEUlllE1_EE10hipError_tPvRmT2_T3_mT4_P12ihipStream_tbEUlmE_lEESB_NS0_8identityIvEEEESM_SP_SQ_mSR_ST_bEUlT_E_NS1_11comp_targetILNS1_3genE9ELNS1_11target_archE1100ELNS1_3gpuE3ELNS1_3repE0EEENS1_30default_config_static_selectorELNS0_4arch9wavefront6targetE1EEEvT1_,"axG",@progbits,_ZN7rocprim17ROCPRIM_400000_NS6detail17trampoline_kernelINS0_14default_configENS1_25transform_config_selectorIlLb0EEEZNS1_14transform_implILb0ES3_S5_NS0_18transform_iteratorINS0_17counting_iteratorImlEEZNS1_24adjacent_difference_implIS3_Lb1ELb0EPlSB_ZN2at6native12_GLOBAL__N_124unique_dim_cuda_templateIhEESt5tupleIJNSC_6TensorESH_SH_EERKSH_lbbbEUlllE1_EE10hipError_tPvRmT2_T3_mT4_P12ihipStream_tbEUlmE_lEESB_NS0_8identityIvEEEESM_SP_SQ_mSR_ST_bEUlT_E_NS1_11comp_targetILNS1_3genE9ELNS1_11target_archE1100ELNS1_3gpuE3ELNS1_3repE0EEENS1_30default_config_static_selectorELNS0_4arch9wavefront6targetE1EEEvT1_,comdat
.Lfunc_end73:
	.size	_ZN7rocprim17ROCPRIM_400000_NS6detail17trampoline_kernelINS0_14default_configENS1_25transform_config_selectorIlLb0EEEZNS1_14transform_implILb0ES3_S5_NS0_18transform_iteratorINS0_17counting_iteratorImlEEZNS1_24adjacent_difference_implIS3_Lb1ELb0EPlSB_ZN2at6native12_GLOBAL__N_124unique_dim_cuda_templateIhEESt5tupleIJNSC_6TensorESH_SH_EERKSH_lbbbEUlllE1_EE10hipError_tPvRmT2_T3_mT4_P12ihipStream_tbEUlmE_lEESB_NS0_8identityIvEEEESM_SP_SQ_mSR_ST_bEUlT_E_NS1_11comp_targetILNS1_3genE9ELNS1_11target_archE1100ELNS1_3gpuE3ELNS1_3repE0EEENS1_30default_config_static_selectorELNS0_4arch9wavefront6targetE1EEEvT1_, .Lfunc_end73-_ZN7rocprim17ROCPRIM_400000_NS6detail17trampoline_kernelINS0_14default_configENS1_25transform_config_selectorIlLb0EEEZNS1_14transform_implILb0ES3_S5_NS0_18transform_iteratorINS0_17counting_iteratorImlEEZNS1_24adjacent_difference_implIS3_Lb1ELb0EPlSB_ZN2at6native12_GLOBAL__N_124unique_dim_cuda_templateIhEESt5tupleIJNSC_6TensorESH_SH_EERKSH_lbbbEUlllE1_EE10hipError_tPvRmT2_T3_mT4_P12ihipStream_tbEUlmE_lEESB_NS0_8identityIvEEEESM_SP_SQ_mSR_ST_bEUlT_E_NS1_11comp_targetILNS1_3genE9ELNS1_11target_archE1100ELNS1_3gpuE3ELNS1_3repE0EEENS1_30default_config_static_selectorELNS0_4arch9wavefront6targetE1EEEvT1_
                                        ; -- End function
	.set _ZN7rocprim17ROCPRIM_400000_NS6detail17trampoline_kernelINS0_14default_configENS1_25transform_config_selectorIlLb0EEEZNS1_14transform_implILb0ES3_S5_NS0_18transform_iteratorINS0_17counting_iteratorImlEEZNS1_24adjacent_difference_implIS3_Lb1ELb0EPlSB_ZN2at6native12_GLOBAL__N_124unique_dim_cuda_templateIhEESt5tupleIJNSC_6TensorESH_SH_EERKSH_lbbbEUlllE1_EE10hipError_tPvRmT2_T3_mT4_P12ihipStream_tbEUlmE_lEESB_NS0_8identityIvEEEESM_SP_SQ_mSR_ST_bEUlT_E_NS1_11comp_targetILNS1_3genE9ELNS1_11target_archE1100ELNS1_3gpuE3ELNS1_3repE0EEENS1_30default_config_static_selectorELNS0_4arch9wavefront6targetE1EEEvT1_.num_vgpr, 0
	.set _ZN7rocprim17ROCPRIM_400000_NS6detail17trampoline_kernelINS0_14default_configENS1_25transform_config_selectorIlLb0EEEZNS1_14transform_implILb0ES3_S5_NS0_18transform_iteratorINS0_17counting_iteratorImlEEZNS1_24adjacent_difference_implIS3_Lb1ELb0EPlSB_ZN2at6native12_GLOBAL__N_124unique_dim_cuda_templateIhEESt5tupleIJNSC_6TensorESH_SH_EERKSH_lbbbEUlllE1_EE10hipError_tPvRmT2_T3_mT4_P12ihipStream_tbEUlmE_lEESB_NS0_8identityIvEEEESM_SP_SQ_mSR_ST_bEUlT_E_NS1_11comp_targetILNS1_3genE9ELNS1_11target_archE1100ELNS1_3gpuE3ELNS1_3repE0EEENS1_30default_config_static_selectorELNS0_4arch9wavefront6targetE1EEEvT1_.num_agpr, 0
	.set _ZN7rocprim17ROCPRIM_400000_NS6detail17trampoline_kernelINS0_14default_configENS1_25transform_config_selectorIlLb0EEEZNS1_14transform_implILb0ES3_S5_NS0_18transform_iteratorINS0_17counting_iteratorImlEEZNS1_24adjacent_difference_implIS3_Lb1ELb0EPlSB_ZN2at6native12_GLOBAL__N_124unique_dim_cuda_templateIhEESt5tupleIJNSC_6TensorESH_SH_EERKSH_lbbbEUlllE1_EE10hipError_tPvRmT2_T3_mT4_P12ihipStream_tbEUlmE_lEESB_NS0_8identityIvEEEESM_SP_SQ_mSR_ST_bEUlT_E_NS1_11comp_targetILNS1_3genE9ELNS1_11target_archE1100ELNS1_3gpuE3ELNS1_3repE0EEENS1_30default_config_static_selectorELNS0_4arch9wavefront6targetE1EEEvT1_.numbered_sgpr, 0
	.set _ZN7rocprim17ROCPRIM_400000_NS6detail17trampoline_kernelINS0_14default_configENS1_25transform_config_selectorIlLb0EEEZNS1_14transform_implILb0ES3_S5_NS0_18transform_iteratorINS0_17counting_iteratorImlEEZNS1_24adjacent_difference_implIS3_Lb1ELb0EPlSB_ZN2at6native12_GLOBAL__N_124unique_dim_cuda_templateIhEESt5tupleIJNSC_6TensorESH_SH_EERKSH_lbbbEUlllE1_EE10hipError_tPvRmT2_T3_mT4_P12ihipStream_tbEUlmE_lEESB_NS0_8identityIvEEEESM_SP_SQ_mSR_ST_bEUlT_E_NS1_11comp_targetILNS1_3genE9ELNS1_11target_archE1100ELNS1_3gpuE3ELNS1_3repE0EEENS1_30default_config_static_selectorELNS0_4arch9wavefront6targetE1EEEvT1_.num_named_barrier, 0
	.set _ZN7rocprim17ROCPRIM_400000_NS6detail17trampoline_kernelINS0_14default_configENS1_25transform_config_selectorIlLb0EEEZNS1_14transform_implILb0ES3_S5_NS0_18transform_iteratorINS0_17counting_iteratorImlEEZNS1_24adjacent_difference_implIS3_Lb1ELb0EPlSB_ZN2at6native12_GLOBAL__N_124unique_dim_cuda_templateIhEESt5tupleIJNSC_6TensorESH_SH_EERKSH_lbbbEUlllE1_EE10hipError_tPvRmT2_T3_mT4_P12ihipStream_tbEUlmE_lEESB_NS0_8identityIvEEEESM_SP_SQ_mSR_ST_bEUlT_E_NS1_11comp_targetILNS1_3genE9ELNS1_11target_archE1100ELNS1_3gpuE3ELNS1_3repE0EEENS1_30default_config_static_selectorELNS0_4arch9wavefront6targetE1EEEvT1_.private_seg_size, 0
	.set _ZN7rocprim17ROCPRIM_400000_NS6detail17trampoline_kernelINS0_14default_configENS1_25transform_config_selectorIlLb0EEEZNS1_14transform_implILb0ES3_S5_NS0_18transform_iteratorINS0_17counting_iteratorImlEEZNS1_24adjacent_difference_implIS3_Lb1ELb0EPlSB_ZN2at6native12_GLOBAL__N_124unique_dim_cuda_templateIhEESt5tupleIJNSC_6TensorESH_SH_EERKSH_lbbbEUlllE1_EE10hipError_tPvRmT2_T3_mT4_P12ihipStream_tbEUlmE_lEESB_NS0_8identityIvEEEESM_SP_SQ_mSR_ST_bEUlT_E_NS1_11comp_targetILNS1_3genE9ELNS1_11target_archE1100ELNS1_3gpuE3ELNS1_3repE0EEENS1_30default_config_static_selectorELNS0_4arch9wavefront6targetE1EEEvT1_.uses_vcc, 0
	.set _ZN7rocprim17ROCPRIM_400000_NS6detail17trampoline_kernelINS0_14default_configENS1_25transform_config_selectorIlLb0EEEZNS1_14transform_implILb0ES3_S5_NS0_18transform_iteratorINS0_17counting_iteratorImlEEZNS1_24adjacent_difference_implIS3_Lb1ELb0EPlSB_ZN2at6native12_GLOBAL__N_124unique_dim_cuda_templateIhEESt5tupleIJNSC_6TensorESH_SH_EERKSH_lbbbEUlllE1_EE10hipError_tPvRmT2_T3_mT4_P12ihipStream_tbEUlmE_lEESB_NS0_8identityIvEEEESM_SP_SQ_mSR_ST_bEUlT_E_NS1_11comp_targetILNS1_3genE9ELNS1_11target_archE1100ELNS1_3gpuE3ELNS1_3repE0EEENS1_30default_config_static_selectorELNS0_4arch9wavefront6targetE1EEEvT1_.uses_flat_scratch, 0
	.set _ZN7rocprim17ROCPRIM_400000_NS6detail17trampoline_kernelINS0_14default_configENS1_25transform_config_selectorIlLb0EEEZNS1_14transform_implILb0ES3_S5_NS0_18transform_iteratorINS0_17counting_iteratorImlEEZNS1_24adjacent_difference_implIS3_Lb1ELb0EPlSB_ZN2at6native12_GLOBAL__N_124unique_dim_cuda_templateIhEESt5tupleIJNSC_6TensorESH_SH_EERKSH_lbbbEUlllE1_EE10hipError_tPvRmT2_T3_mT4_P12ihipStream_tbEUlmE_lEESB_NS0_8identityIvEEEESM_SP_SQ_mSR_ST_bEUlT_E_NS1_11comp_targetILNS1_3genE9ELNS1_11target_archE1100ELNS1_3gpuE3ELNS1_3repE0EEENS1_30default_config_static_selectorELNS0_4arch9wavefront6targetE1EEEvT1_.has_dyn_sized_stack, 0
	.set _ZN7rocprim17ROCPRIM_400000_NS6detail17trampoline_kernelINS0_14default_configENS1_25transform_config_selectorIlLb0EEEZNS1_14transform_implILb0ES3_S5_NS0_18transform_iteratorINS0_17counting_iteratorImlEEZNS1_24adjacent_difference_implIS3_Lb1ELb0EPlSB_ZN2at6native12_GLOBAL__N_124unique_dim_cuda_templateIhEESt5tupleIJNSC_6TensorESH_SH_EERKSH_lbbbEUlllE1_EE10hipError_tPvRmT2_T3_mT4_P12ihipStream_tbEUlmE_lEESB_NS0_8identityIvEEEESM_SP_SQ_mSR_ST_bEUlT_E_NS1_11comp_targetILNS1_3genE9ELNS1_11target_archE1100ELNS1_3gpuE3ELNS1_3repE0EEENS1_30default_config_static_selectorELNS0_4arch9wavefront6targetE1EEEvT1_.has_recursion, 0
	.set _ZN7rocprim17ROCPRIM_400000_NS6detail17trampoline_kernelINS0_14default_configENS1_25transform_config_selectorIlLb0EEEZNS1_14transform_implILb0ES3_S5_NS0_18transform_iteratorINS0_17counting_iteratorImlEEZNS1_24adjacent_difference_implIS3_Lb1ELb0EPlSB_ZN2at6native12_GLOBAL__N_124unique_dim_cuda_templateIhEESt5tupleIJNSC_6TensorESH_SH_EERKSH_lbbbEUlllE1_EE10hipError_tPvRmT2_T3_mT4_P12ihipStream_tbEUlmE_lEESB_NS0_8identityIvEEEESM_SP_SQ_mSR_ST_bEUlT_E_NS1_11comp_targetILNS1_3genE9ELNS1_11target_archE1100ELNS1_3gpuE3ELNS1_3repE0EEENS1_30default_config_static_selectorELNS0_4arch9wavefront6targetE1EEEvT1_.has_indirect_call, 0
	.section	.AMDGPU.csdata,"",@progbits
; Kernel info:
; codeLenInByte = 0
; TotalNumSgprs: 6
; NumVgprs: 0
; NumAgprs: 0
; TotalNumVgprs: 0
; ScratchSize: 0
; MemoryBound: 0
; FloatMode: 240
; IeeeMode: 1
; LDSByteSize: 0 bytes/workgroup (compile time only)
; SGPRBlocks: 0
; VGPRBlocks: 0
; NumSGPRsForWavesPerEU: 6
; NumVGPRsForWavesPerEU: 1
; AccumOffset: 4
; Occupancy: 8
; WaveLimiterHint : 0
; COMPUTE_PGM_RSRC2:SCRATCH_EN: 0
; COMPUTE_PGM_RSRC2:USER_SGPR: 2
; COMPUTE_PGM_RSRC2:TRAP_HANDLER: 0
; COMPUTE_PGM_RSRC2:TGID_X_EN: 1
; COMPUTE_PGM_RSRC2:TGID_Y_EN: 0
; COMPUTE_PGM_RSRC2:TGID_Z_EN: 0
; COMPUTE_PGM_RSRC2:TIDIG_COMP_CNT: 0
; COMPUTE_PGM_RSRC3_GFX90A:ACCUM_OFFSET: 0
; COMPUTE_PGM_RSRC3_GFX90A:TG_SPLIT: 0
	.section	.text._ZN7rocprim17ROCPRIM_400000_NS6detail17trampoline_kernelINS0_14default_configENS1_25transform_config_selectorIlLb0EEEZNS1_14transform_implILb0ES3_S5_NS0_18transform_iteratorINS0_17counting_iteratorImlEEZNS1_24adjacent_difference_implIS3_Lb1ELb0EPlSB_ZN2at6native12_GLOBAL__N_124unique_dim_cuda_templateIhEESt5tupleIJNSC_6TensorESH_SH_EERKSH_lbbbEUlllE1_EE10hipError_tPvRmT2_T3_mT4_P12ihipStream_tbEUlmE_lEESB_NS0_8identityIvEEEESM_SP_SQ_mSR_ST_bEUlT_E_NS1_11comp_targetILNS1_3genE8ELNS1_11target_archE1030ELNS1_3gpuE2ELNS1_3repE0EEENS1_30default_config_static_selectorELNS0_4arch9wavefront6targetE1EEEvT1_,"axG",@progbits,_ZN7rocprim17ROCPRIM_400000_NS6detail17trampoline_kernelINS0_14default_configENS1_25transform_config_selectorIlLb0EEEZNS1_14transform_implILb0ES3_S5_NS0_18transform_iteratorINS0_17counting_iteratorImlEEZNS1_24adjacent_difference_implIS3_Lb1ELb0EPlSB_ZN2at6native12_GLOBAL__N_124unique_dim_cuda_templateIhEESt5tupleIJNSC_6TensorESH_SH_EERKSH_lbbbEUlllE1_EE10hipError_tPvRmT2_T3_mT4_P12ihipStream_tbEUlmE_lEESB_NS0_8identityIvEEEESM_SP_SQ_mSR_ST_bEUlT_E_NS1_11comp_targetILNS1_3genE8ELNS1_11target_archE1030ELNS1_3gpuE2ELNS1_3repE0EEENS1_30default_config_static_selectorELNS0_4arch9wavefront6targetE1EEEvT1_,comdat
	.globl	_ZN7rocprim17ROCPRIM_400000_NS6detail17trampoline_kernelINS0_14default_configENS1_25transform_config_selectorIlLb0EEEZNS1_14transform_implILb0ES3_S5_NS0_18transform_iteratorINS0_17counting_iteratorImlEEZNS1_24adjacent_difference_implIS3_Lb1ELb0EPlSB_ZN2at6native12_GLOBAL__N_124unique_dim_cuda_templateIhEESt5tupleIJNSC_6TensorESH_SH_EERKSH_lbbbEUlllE1_EE10hipError_tPvRmT2_T3_mT4_P12ihipStream_tbEUlmE_lEESB_NS0_8identityIvEEEESM_SP_SQ_mSR_ST_bEUlT_E_NS1_11comp_targetILNS1_3genE8ELNS1_11target_archE1030ELNS1_3gpuE2ELNS1_3repE0EEENS1_30default_config_static_selectorELNS0_4arch9wavefront6targetE1EEEvT1_ ; -- Begin function _ZN7rocprim17ROCPRIM_400000_NS6detail17trampoline_kernelINS0_14default_configENS1_25transform_config_selectorIlLb0EEEZNS1_14transform_implILb0ES3_S5_NS0_18transform_iteratorINS0_17counting_iteratorImlEEZNS1_24adjacent_difference_implIS3_Lb1ELb0EPlSB_ZN2at6native12_GLOBAL__N_124unique_dim_cuda_templateIhEESt5tupleIJNSC_6TensorESH_SH_EERKSH_lbbbEUlllE1_EE10hipError_tPvRmT2_T3_mT4_P12ihipStream_tbEUlmE_lEESB_NS0_8identityIvEEEESM_SP_SQ_mSR_ST_bEUlT_E_NS1_11comp_targetILNS1_3genE8ELNS1_11target_archE1030ELNS1_3gpuE2ELNS1_3repE0EEENS1_30default_config_static_selectorELNS0_4arch9wavefront6targetE1EEEvT1_
	.p2align	8
	.type	_ZN7rocprim17ROCPRIM_400000_NS6detail17trampoline_kernelINS0_14default_configENS1_25transform_config_selectorIlLb0EEEZNS1_14transform_implILb0ES3_S5_NS0_18transform_iteratorINS0_17counting_iteratorImlEEZNS1_24adjacent_difference_implIS3_Lb1ELb0EPlSB_ZN2at6native12_GLOBAL__N_124unique_dim_cuda_templateIhEESt5tupleIJNSC_6TensorESH_SH_EERKSH_lbbbEUlllE1_EE10hipError_tPvRmT2_T3_mT4_P12ihipStream_tbEUlmE_lEESB_NS0_8identityIvEEEESM_SP_SQ_mSR_ST_bEUlT_E_NS1_11comp_targetILNS1_3genE8ELNS1_11target_archE1030ELNS1_3gpuE2ELNS1_3repE0EEENS1_30default_config_static_selectorELNS0_4arch9wavefront6targetE1EEEvT1_,@function
_ZN7rocprim17ROCPRIM_400000_NS6detail17trampoline_kernelINS0_14default_configENS1_25transform_config_selectorIlLb0EEEZNS1_14transform_implILb0ES3_S5_NS0_18transform_iteratorINS0_17counting_iteratorImlEEZNS1_24adjacent_difference_implIS3_Lb1ELb0EPlSB_ZN2at6native12_GLOBAL__N_124unique_dim_cuda_templateIhEESt5tupleIJNSC_6TensorESH_SH_EERKSH_lbbbEUlllE1_EE10hipError_tPvRmT2_T3_mT4_P12ihipStream_tbEUlmE_lEESB_NS0_8identityIvEEEESM_SP_SQ_mSR_ST_bEUlT_E_NS1_11comp_targetILNS1_3genE8ELNS1_11target_archE1030ELNS1_3gpuE2ELNS1_3repE0EEENS1_30default_config_static_selectorELNS0_4arch9wavefront6targetE1EEEvT1_: ; @_ZN7rocprim17ROCPRIM_400000_NS6detail17trampoline_kernelINS0_14default_configENS1_25transform_config_selectorIlLb0EEEZNS1_14transform_implILb0ES3_S5_NS0_18transform_iteratorINS0_17counting_iteratorImlEEZNS1_24adjacent_difference_implIS3_Lb1ELb0EPlSB_ZN2at6native12_GLOBAL__N_124unique_dim_cuda_templateIhEESt5tupleIJNSC_6TensorESH_SH_EERKSH_lbbbEUlllE1_EE10hipError_tPvRmT2_T3_mT4_P12ihipStream_tbEUlmE_lEESB_NS0_8identityIvEEEESM_SP_SQ_mSR_ST_bEUlT_E_NS1_11comp_targetILNS1_3genE8ELNS1_11target_archE1030ELNS1_3gpuE2ELNS1_3repE0EEENS1_30default_config_static_selectorELNS0_4arch9wavefront6targetE1EEEvT1_
; %bb.0:
	.section	.rodata,"a",@progbits
	.p2align	6, 0x0
	.amdhsa_kernel _ZN7rocprim17ROCPRIM_400000_NS6detail17trampoline_kernelINS0_14default_configENS1_25transform_config_selectorIlLb0EEEZNS1_14transform_implILb0ES3_S5_NS0_18transform_iteratorINS0_17counting_iteratorImlEEZNS1_24adjacent_difference_implIS3_Lb1ELb0EPlSB_ZN2at6native12_GLOBAL__N_124unique_dim_cuda_templateIhEESt5tupleIJNSC_6TensorESH_SH_EERKSH_lbbbEUlllE1_EE10hipError_tPvRmT2_T3_mT4_P12ihipStream_tbEUlmE_lEESB_NS0_8identityIvEEEESM_SP_SQ_mSR_ST_bEUlT_E_NS1_11comp_targetILNS1_3genE8ELNS1_11target_archE1030ELNS1_3gpuE2ELNS1_3repE0EEENS1_30default_config_static_selectorELNS0_4arch9wavefront6targetE1EEEvT1_
		.amdhsa_group_segment_fixed_size 0
		.amdhsa_private_segment_fixed_size 0
		.amdhsa_kernarg_size 56
		.amdhsa_user_sgpr_count 2
		.amdhsa_user_sgpr_dispatch_ptr 0
		.amdhsa_user_sgpr_queue_ptr 0
		.amdhsa_user_sgpr_kernarg_segment_ptr 1
		.amdhsa_user_sgpr_dispatch_id 0
		.amdhsa_user_sgpr_kernarg_preload_length 0
		.amdhsa_user_sgpr_kernarg_preload_offset 0
		.amdhsa_user_sgpr_private_segment_size 0
		.amdhsa_uses_dynamic_stack 0
		.amdhsa_enable_private_segment 0
		.amdhsa_system_sgpr_workgroup_id_x 1
		.amdhsa_system_sgpr_workgroup_id_y 0
		.amdhsa_system_sgpr_workgroup_id_z 0
		.amdhsa_system_sgpr_workgroup_info 0
		.amdhsa_system_vgpr_workitem_id 0
		.amdhsa_next_free_vgpr 1
		.amdhsa_next_free_sgpr 0
		.amdhsa_accum_offset 4
		.amdhsa_reserve_vcc 0
		.amdhsa_float_round_mode_32 0
		.amdhsa_float_round_mode_16_64 0
		.amdhsa_float_denorm_mode_32 3
		.amdhsa_float_denorm_mode_16_64 3
		.amdhsa_dx10_clamp 1
		.amdhsa_ieee_mode 1
		.amdhsa_fp16_overflow 0
		.amdhsa_tg_split 0
		.amdhsa_exception_fp_ieee_invalid_op 0
		.amdhsa_exception_fp_denorm_src 0
		.amdhsa_exception_fp_ieee_div_zero 0
		.amdhsa_exception_fp_ieee_overflow 0
		.amdhsa_exception_fp_ieee_underflow 0
		.amdhsa_exception_fp_ieee_inexact 0
		.amdhsa_exception_int_div_zero 0
	.end_amdhsa_kernel
	.section	.text._ZN7rocprim17ROCPRIM_400000_NS6detail17trampoline_kernelINS0_14default_configENS1_25transform_config_selectorIlLb0EEEZNS1_14transform_implILb0ES3_S5_NS0_18transform_iteratorINS0_17counting_iteratorImlEEZNS1_24adjacent_difference_implIS3_Lb1ELb0EPlSB_ZN2at6native12_GLOBAL__N_124unique_dim_cuda_templateIhEESt5tupleIJNSC_6TensorESH_SH_EERKSH_lbbbEUlllE1_EE10hipError_tPvRmT2_T3_mT4_P12ihipStream_tbEUlmE_lEESB_NS0_8identityIvEEEESM_SP_SQ_mSR_ST_bEUlT_E_NS1_11comp_targetILNS1_3genE8ELNS1_11target_archE1030ELNS1_3gpuE2ELNS1_3repE0EEENS1_30default_config_static_selectorELNS0_4arch9wavefront6targetE1EEEvT1_,"axG",@progbits,_ZN7rocprim17ROCPRIM_400000_NS6detail17trampoline_kernelINS0_14default_configENS1_25transform_config_selectorIlLb0EEEZNS1_14transform_implILb0ES3_S5_NS0_18transform_iteratorINS0_17counting_iteratorImlEEZNS1_24adjacent_difference_implIS3_Lb1ELb0EPlSB_ZN2at6native12_GLOBAL__N_124unique_dim_cuda_templateIhEESt5tupleIJNSC_6TensorESH_SH_EERKSH_lbbbEUlllE1_EE10hipError_tPvRmT2_T3_mT4_P12ihipStream_tbEUlmE_lEESB_NS0_8identityIvEEEESM_SP_SQ_mSR_ST_bEUlT_E_NS1_11comp_targetILNS1_3genE8ELNS1_11target_archE1030ELNS1_3gpuE2ELNS1_3repE0EEENS1_30default_config_static_selectorELNS0_4arch9wavefront6targetE1EEEvT1_,comdat
.Lfunc_end74:
	.size	_ZN7rocprim17ROCPRIM_400000_NS6detail17trampoline_kernelINS0_14default_configENS1_25transform_config_selectorIlLb0EEEZNS1_14transform_implILb0ES3_S5_NS0_18transform_iteratorINS0_17counting_iteratorImlEEZNS1_24adjacent_difference_implIS3_Lb1ELb0EPlSB_ZN2at6native12_GLOBAL__N_124unique_dim_cuda_templateIhEESt5tupleIJNSC_6TensorESH_SH_EERKSH_lbbbEUlllE1_EE10hipError_tPvRmT2_T3_mT4_P12ihipStream_tbEUlmE_lEESB_NS0_8identityIvEEEESM_SP_SQ_mSR_ST_bEUlT_E_NS1_11comp_targetILNS1_3genE8ELNS1_11target_archE1030ELNS1_3gpuE2ELNS1_3repE0EEENS1_30default_config_static_selectorELNS0_4arch9wavefront6targetE1EEEvT1_, .Lfunc_end74-_ZN7rocprim17ROCPRIM_400000_NS6detail17trampoline_kernelINS0_14default_configENS1_25transform_config_selectorIlLb0EEEZNS1_14transform_implILb0ES3_S5_NS0_18transform_iteratorINS0_17counting_iteratorImlEEZNS1_24adjacent_difference_implIS3_Lb1ELb0EPlSB_ZN2at6native12_GLOBAL__N_124unique_dim_cuda_templateIhEESt5tupleIJNSC_6TensorESH_SH_EERKSH_lbbbEUlllE1_EE10hipError_tPvRmT2_T3_mT4_P12ihipStream_tbEUlmE_lEESB_NS0_8identityIvEEEESM_SP_SQ_mSR_ST_bEUlT_E_NS1_11comp_targetILNS1_3genE8ELNS1_11target_archE1030ELNS1_3gpuE2ELNS1_3repE0EEENS1_30default_config_static_selectorELNS0_4arch9wavefront6targetE1EEEvT1_
                                        ; -- End function
	.set _ZN7rocprim17ROCPRIM_400000_NS6detail17trampoline_kernelINS0_14default_configENS1_25transform_config_selectorIlLb0EEEZNS1_14transform_implILb0ES3_S5_NS0_18transform_iteratorINS0_17counting_iteratorImlEEZNS1_24adjacent_difference_implIS3_Lb1ELb0EPlSB_ZN2at6native12_GLOBAL__N_124unique_dim_cuda_templateIhEESt5tupleIJNSC_6TensorESH_SH_EERKSH_lbbbEUlllE1_EE10hipError_tPvRmT2_T3_mT4_P12ihipStream_tbEUlmE_lEESB_NS0_8identityIvEEEESM_SP_SQ_mSR_ST_bEUlT_E_NS1_11comp_targetILNS1_3genE8ELNS1_11target_archE1030ELNS1_3gpuE2ELNS1_3repE0EEENS1_30default_config_static_selectorELNS0_4arch9wavefront6targetE1EEEvT1_.num_vgpr, 0
	.set _ZN7rocprim17ROCPRIM_400000_NS6detail17trampoline_kernelINS0_14default_configENS1_25transform_config_selectorIlLb0EEEZNS1_14transform_implILb0ES3_S5_NS0_18transform_iteratorINS0_17counting_iteratorImlEEZNS1_24adjacent_difference_implIS3_Lb1ELb0EPlSB_ZN2at6native12_GLOBAL__N_124unique_dim_cuda_templateIhEESt5tupleIJNSC_6TensorESH_SH_EERKSH_lbbbEUlllE1_EE10hipError_tPvRmT2_T3_mT4_P12ihipStream_tbEUlmE_lEESB_NS0_8identityIvEEEESM_SP_SQ_mSR_ST_bEUlT_E_NS1_11comp_targetILNS1_3genE8ELNS1_11target_archE1030ELNS1_3gpuE2ELNS1_3repE0EEENS1_30default_config_static_selectorELNS0_4arch9wavefront6targetE1EEEvT1_.num_agpr, 0
	.set _ZN7rocprim17ROCPRIM_400000_NS6detail17trampoline_kernelINS0_14default_configENS1_25transform_config_selectorIlLb0EEEZNS1_14transform_implILb0ES3_S5_NS0_18transform_iteratorINS0_17counting_iteratorImlEEZNS1_24adjacent_difference_implIS3_Lb1ELb0EPlSB_ZN2at6native12_GLOBAL__N_124unique_dim_cuda_templateIhEESt5tupleIJNSC_6TensorESH_SH_EERKSH_lbbbEUlllE1_EE10hipError_tPvRmT2_T3_mT4_P12ihipStream_tbEUlmE_lEESB_NS0_8identityIvEEEESM_SP_SQ_mSR_ST_bEUlT_E_NS1_11comp_targetILNS1_3genE8ELNS1_11target_archE1030ELNS1_3gpuE2ELNS1_3repE0EEENS1_30default_config_static_selectorELNS0_4arch9wavefront6targetE1EEEvT1_.numbered_sgpr, 0
	.set _ZN7rocprim17ROCPRIM_400000_NS6detail17trampoline_kernelINS0_14default_configENS1_25transform_config_selectorIlLb0EEEZNS1_14transform_implILb0ES3_S5_NS0_18transform_iteratorINS0_17counting_iteratorImlEEZNS1_24adjacent_difference_implIS3_Lb1ELb0EPlSB_ZN2at6native12_GLOBAL__N_124unique_dim_cuda_templateIhEESt5tupleIJNSC_6TensorESH_SH_EERKSH_lbbbEUlllE1_EE10hipError_tPvRmT2_T3_mT4_P12ihipStream_tbEUlmE_lEESB_NS0_8identityIvEEEESM_SP_SQ_mSR_ST_bEUlT_E_NS1_11comp_targetILNS1_3genE8ELNS1_11target_archE1030ELNS1_3gpuE2ELNS1_3repE0EEENS1_30default_config_static_selectorELNS0_4arch9wavefront6targetE1EEEvT1_.num_named_barrier, 0
	.set _ZN7rocprim17ROCPRIM_400000_NS6detail17trampoline_kernelINS0_14default_configENS1_25transform_config_selectorIlLb0EEEZNS1_14transform_implILb0ES3_S5_NS0_18transform_iteratorINS0_17counting_iteratorImlEEZNS1_24adjacent_difference_implIS3_Lb1ELb0EPlSB_ZN2at6native12_GLOBAL__N_124unique_dim_cuda_templateIhEESt5tupleIJNSC_6TensorESH_SH_EERKSH_lbbbEUlllE1_EE10hipError_tPvRmT2_T3_mT4_P12ihipStream_tbEUlmE_lEESB_NS0_8identityIvEEEESM_SP_SQ_mSR_ST_bEUlT_E_NS1_11comp_targetILNS1_3genE8ELNS1_11target_archE1030ELNS1_3gpuE2ELNS1_3repE0EEENS1_30default_config_static_selectorELNS0_4arch9wavefront6targetE1EEEvT1_.private_seg_size, 0
	.set _ZN7rocprim17ROCPRIM_400000_NS6detail17trampoline_kernelINS0_14default_configENS1_25transform_config_selectorIlLb0EEEZNS1_14transform_implILb0ES3_S5_NS0_18transform_iteratorINS0_17counting_iteratorImlEEZNS1_24adjacent_difference_implIS3_Lb1ELb0EPlSB_ZN2at6native12_GLOBAL__N_124unique_dim_cuda_templateIhEESt5tupleIJNSC_6TensorESH_SH_EERKSH_lbbbEUlllE1_EE10hipError_tPvRmT2_T3_mT4_P12ihipStream_tbEUlmE_lEESB_NS0_8identityIvEEEESM_SP_SQ_mSR_ST_bEUlT_E_NS1_11comp_targetILNS1_3genE8ELNS1_11target_archE1030ELNS1_3gpuE2ELNS1_3repE0EEENS1_30default_config_static_selectorELNS0_4arch9wavefront6targetE1EEEvT1_.uses_vcc, 0
	.set _ZN7rocprim17ROCPRIM_400000_NS6detail17trampoline_kernelINS0_14default_configENS1_25transform_config_selectorIlLb0EEEZNS1_14transform_implILb0ES3_S5_NS0_18transform_iteratorINS0_17counting_iteratorImlEEZNS1_24adjacent_difference_implIS3_Lb1ELb0EPlSB_ZN2at6native12_GLOBAL__N_124unique_dim_cuda_templateIhEESt5tupleIJNSC_6TensorESH_SH_EERKSH_lbbbEUlllE1_EE10hipError_tPvRmT2_T3_mT4_P12ihipStream_tbEUlmE_lEESB_NS0_8identityIvEEEESM_SP_SQ_mSR_ST_bEUlT_E_NS1_11comp_targetILNS1_3genE8ELNS1_11target_archE1030ELNS1_3gpuE2ELNS1_3repE0EEENS1_30default_config_static_selectorELNS0_4arch9wavefront6targetE1EEEvT1_.uses_flat_scratch, 0
	.set _ZN7rocprim17ROCPRIM_400000_NS6detail17trampoline_kernelINS0_14default_configENS1_25transform_config_selectorIlLb0EEEZNS1_14transform_implILb0ES3_S5_NS0_18transform_iteratorINS0_17counting_iteratorImlEEZNS1_24adjacent_difference_implIS3_Lb1ELb0EPlSB_ZN2at6native12_GLOBAL__N_124unique_dim_cuda_templateIhEESt5tupleIJNSC_6TensorESH_SH_EERKSH_lbbbEUlllE1_EE10hipError_tPvRmT2_T3_mT4_P12ihipStream_tbEUlmE_lEESB_NS0_8identityIvEEEESM_SP_SQ_mSR_ST_bEUlT_E_NS1_11comp_targetILNS1_3genE8ELNS1_11target_archE1030ELNS1_3gpuE2ELNS1_3repE0EEENS1_30default_config_static_selectorELNS0_4arch9wavefront6targetE1EEEvT1_.has_dyn_sized_stack, 0
	.set _ZN7rocprim17ROCPRIM_400000_NS6detail17trampoline_kernelINS0_14default_configENS1_25transform_config_selectorIlLb0EEEZNS1_14transform_implILb0ES3_S5_NS0_18transform_iteratorINS0_17counting_iteratorImlEEZNS1_24adjacent_difference_implIS3_Lb1ELb0EPlSB_ZN2at6native12_GLOBAL__N_124unique_dim_cuda_templateIhEESt5tupleIJNSC_6TensorESH_SH_EERKSH_lbbbEUlllE1_EE10hipError_tPvRmT2_T3_mT4_P12ihipStream_tbEUlmE_lEESB_NS0_8identityIvEEEESM_SP_SQ_mSR_ST_bEUlT_E_NS1_11comp_targetILNS1_3genE8ELNS1_11target_archE1030ELNS1_3gpuE2ELNS1_3repE0EEENS1_30default_config_static_selectorELNS0_4arch9wavefront6targetE1EEEvT1_.has_recursion, 0
	.set _ZN7rocprim17ROCPRIM_400000_NS6detail17trampoline_kernelINS0_14default_configENS1_25transform_config_selectorIlLb0EEEZNS1_14transform_implILb0ES3_S5_NS0_18transform_iteratorINS0_17counting_iteratorImlEEZNS1_24adjacent_difference_implIS3_Lb1ELb0EPlSB_ZN2at6native12_GLOBAL__N_124unique_dim_cuda_templateIhEESt5tupleIJNSC_6TensorESH_SH_EERKSH_lbbbEUlllE1_EE10hipError_tPvRmT2_T3_mT4_P12ihipStream_tbEUlmE_lEESB_NS0_8identityIvEEEESM_SP_SQ_mSR_ST_bEUlT_E_NS1_11comp_targetILNS1_3genE8ELNS1_11target_archE1030ELNS1_3gpuE2ELNS1_3repE0EEENS1_30default_config_static_selectorELNS0_4arch9wavefront6targetE1EEEvT1_.has_indirect_call, 0
	.section	.AMDGPU.csdata,"",@progbits
; Kernel info:
; codeLenInByte = 0
; TotalNumSgprs: 6
; NumVgprs: 0
; NumAgprs: 0
; TotalNumVgprs: 0
; ScratchSize: 0
; MemoryBound: 0
; FloatMode: 240
; IeeeMode: 1
; LDSByteSize: 0 bytes/workgroup (compile time only)
; SGPRBlocks: 0
; VGPRBlocks: 0
; NumSGPRsForWavesPerEU: 6
; NumVGPRsForWavesPerEU: 1
; AccumOffset: 4
; Occupancy: 8
; WaveLimiterHint : 0
; COMPUTE_PGM_RSRC2:SCRATCH_EN: 0
; COMPUTE_PGM_RSRC2:USER_SGPR: 2
; COMPUTE_PGM_RSRC2:TRAP_HANDLER: 0
; COMPUTE_PGM_RSRC2:TGID_X_EN: 1
; COMPUTE_PGM_RSRC2:TGID_Y_EN: 0
; COMPUTE_PGM_RSRC2:TGID_Z_EN: 0
; COMPUTE_PGM_RSRC2:TIDIG_COMP_CNT: 0
; COMPUTE_PGM_RSRC3_GFX90A:ACCUM_OFFSET: 0
; COMPUTE_PGM_RSRC3_GFX90A:TG_SPLIT: 0
	.section	.text._ZN7rocprim17ROCPRIM_400000_NS6detail17trampoline_kernelINS0_14default_configENS1_35adjacent_difference_config_selectorILb1ElEEZNS1_24adjacent_difference_implIS3_Lb1ELb0EPlS7_ZN2at6native12_GLOBAL__N_124unique_dim_cuda_templateIhEESt5tupleIJNS8_6TensorESD_SD_EERKSD_lbbbEUlllE1_EE10hipError_tPvRmT2_T3_mT4_P12ihipStream_tbEUlT_E_NS1_11comp_targetILNS1_3genE0ELNS1_11target_archE4294967295ELNS1_3gpuE0ELNS1_3repE0EEENS1_30default_config_static_selectorELNS0_4arch9wavefront6targetE1EEEvT1_,"axG",@progbits,_ZN7rocprim17ROCPRIM_400000_NS6detail17trampoline_kernelINS0_14default_configENS1_35adjacent_difference_config_selectorILb1ElEEZNS1_24adjacent_difference_implIS3_Lb1ELb0EPlS7_ZN2at6native12_GLOBAL__N_124unique_dim_cuda_templateIhEESt5tupleIJNS8_6TensorESD_SD_EERKSD_lbbbEUlllE1_EE10hipError_tPvRmT2_T3_mT4_P12ihipStream_tbEUlT_E_NS1_11comp_targetILNS1_3genE0ELNS1_11target_archE4294967295ELNS1_3gpuE0ELNS1_3repE0EEENS1_30default_config_static_selectorELNS0_4arch9wavefront6targetE1EEEvT1_,comdat
	.globl	_ZN7rocprim17ROCPRIM_400000_NS6detail17trampoline_kernelINS0_14default_configENS1_35adjacent_difference_config_selectorILb1ElEEZNS1_24adjacent_difference_implIS3_Lb1ELb0EPlS7_ZN2at6native12_GLOBAL__N_124unique_dim_cuda_templateIhEESt5tupleIJNS8_6TensorESD_SD_EERKSD_lbbbEUlllE1_EE10hipError_tPvRmT2_T3_mT4_P12ihipStream_tbEUlT_E_NS1_11comp_targetILNS1_3genE0ELNS1_11target_archE4294967295ELNS1_3gpuE0ELNS1_3repE0EEENS1_30default_config_static_selectorELNS0_4arch9wavefront6targetE1EEEvT1_ ; -- Begin function _ZN7rocprim17ROCPRIM_400000_NS6detail17trampoline_kernelINS0_14default_configENS1_35adjacent_difference_config_selectorILb1ElEEZNS1_24adjacent_difference_implIS3_Lb1ELb0EPlS7_ZN2at6native12_GLOBAL__N_124unique_dim_cuda_templateIhEESt5tupleIJNS8_6TensorESD_SD_EERKSD_lbbbEUlllE1_EE10hipError_tPvRmT2_T3_mT4_P12ihipStream_tbEUlT_E_NS1_11comp_targetILNS1_3genE0ELNS1_11target_archE4294967295ELNS1_3gpuE0ELNS1_3repE0EEENS1_30default_config_static_selectorELNS0_4arch9wavefront6targetE1EEEvT1_
	.p2align	8
	.type	_ZN7rocprim17ROCPRIM_400000_NS6detail17trampoline_kernelINS0_14default_configENS1_35adjacent_difference_config_selectorILb1ElEEZNS1_24adjacent_difference_implIS3_Lb1ELb0EPlS7_ZN2at6native12_GLOBAL__N_124unique_dim_cuda_templateIhEESt5tupleIJNS8_6TensorESD_SD_EERKSD_lbbbEUlllE1_EE10hipError_tPvRmT2_T3_mT4_P12ihipStream_tbEUlT_E_NS1_11comp_targetILNS1_3genE0ELNS1_11target_archE4294967295ELNS1_3gpuE0ELNS1_3repE0EEENS1_30default_config_static_selectorELNS0_4arch9wavefront6targetE1EEEvT1_,@function
_ZN7rocprim17ROCPRIM_400000_NS6detail17trampoline_kernelINS0_14default_configENS1_35adjacent_difference_config_selectorILb1ElEEZNS1_24adjacent_difference_implIS3_Lb1ELb0EPlS7_ZN2at6native12_GLOBAL__N_124unique_dim_cuda_templateIhEESt5tupleIJNS8_6TensorESD_SD_EERKSD_lbbbEUlllE1_EE10hipError_tPvRmT2_T3_mT4_P12ihipStream_tbEUlT_E_NS1_11comp_targetILNS1_3genE0ELNS1_11target_archE4294967295ELNS1_3gpuE0ELNS1_3repE0EEENS1_30default_config_static_selectorELNS0_4arch9wavefront6targetE1EEEvT1_: ; @_ZN7rocprim17ROCPRIM_400000_NS6detail17trampoline_kernelINS0_14default_configENS1_35adjacent_difference_config_selectorILb1ElEEZNS1_24adjacent_difference_implIS3_Lb1ELb0EPlS7_ZN2at6native12_GLOBAL__N_124unique_dim_cuda_templateIhEESt5tupleIJNS8_6TensorESD_SD_EERKSD_lbbbEUlllE1_EE10hipError_tPvRmT2_T3_mT4_P12ihipStream_tbEUlT_E_NS1_11comp_targetILNS1_3genE0ELNS1_11target_archE4294967295ELNS1_3gpuE0ELNS1_3repE0EEENS1_30default_config_static_selectorELNS0_4arch9wavefront6targetE1EEEvT1_
; %bb.0:
	s_load_dwordx16 s[4:19], s[0:1], 0x0
	s_mov_b32 s25, 0
	s_mov_b64 s[26:27], -1
	s_waitcnt lgkmcnt(0)
	s_lshl_b64 s[6:7], s[6:7], 3
	s_add_u32 s30, s4, s6
	s_addc_u32 s31, s5, s7
	s_lshl_b32 s4, s2, 10
	s_lshr_b64 s[0:1], s[10:11], 10
	s_and_b32 s24, s10, 0x3ff
	s_cmp_lg_u64 s[24:25], 0
	s_cselect_b64 s[20:21], -1, 0
	v_cndmask_b32_e64 v1, 0, 1, s[20:21]
	s_mov_b32 s24, s2
	v_readfirstlane_b32 s3, v1
	s_add_u32 s22, s0, s3
	s_addc_u32 s23, s1, 0
	s_add_u32 s2, s18, s2
	s_addc_u32 s3, s19, 0
	s_add_u32 s20, s22, -1
	s_addc_u32 s21, s23, -1
	v_mov_b64_e32 v[2:3], s[20:21]
	v_cmp_ge_u64_e64 s[0:1], s[2:3], v[2:3]
	s_and_b64 vcc, exec, s[0:1]
	s_cbranch_vccz .LBB75_6
; %bb.1:
	s_lshl_b32 s5, s20, 10
	s_sub_i32 s11, s10, s5
	s_mov_b32 s5, s25
	s_lshl_b64 s[26:27], s[4:5], 3
	s_add_u32 s26, s30, s26
	v_mov_b32_e32 v2, 0
	s_addc_u32 s27, s31, s27
	v_cmp_gt_u32_e32 vcc, s11, v0
	v_mov_b32_e32 v3, v2
	v_mov_b32_e32 v4, v2
	;; [unrolled: 1-line block ×3, first 2 shown]
	s_and_saveexec_b64 s[28:29], vcc
	s_cbranch_execz .LBB75_3
; %bb.2:
	v_lshlrev_b32_e32 v1, 3, v0
	global_load_dwordx2 v[4:5], v1, s[26:27]
	v_mov_b32_e32 v6, v2
	v_mov_b32_e32 v7, v2
	s_waitcnt vmcnt(0)
	v_mov_b64_e32 v[2:3], v[4:5]
	v_mov_b64_e32 v[4:5], v[6:7]
.LBB75_3:
	s_or_b64 exec, exec, s[28:29]
	v_or_b32_e32 v1, 0x200, v0
	v_cmp_gt_u32_e32 vcc, s11, v1
	s_and_saveexec_b64 s[28:29], vcc
	s_cbranch_execz .LBB75_5
; %bb.4:
	v_lshlrev_b32_e32 v4, 3, v1
	global_load_dwordx2 v[4:5], v4, s[26:27]
.LBB75_5:
	s_or_b64 exec, exec, s[28:29]
	v_lshrrev_b32_e32 v6, 2, v0
	v_lshrrev_b32_e32 v1, 2, v1
	v_and_b32_e32 v6, 0x78, v6
	v_lshlrev_b32_e32 v7, 3, v0
	v_and_b32_e32 v1, 0xf8, v1
	v_add_u32_e32 v6, v6, v7
	v_add_u32_e32 v1, v1, v7
	s_mov_b64 s[26:27], 0
	ds_write_b64 v6, v[2:3]
	s_waitcnt vmcnt(0)
	ds_write_b64 v1, v[4:5] offset:4096
	s_waitcnt lgkmcnt(0)
	s_barrier
.LBB75_6:
	s_and_b64 vcc, exec, s[26:27]
	s_cbranch_vccz .LBB75_8
; %bb.7:
	s_mov_b32 s5, 0
	s_lshl_b64 s[26:27], s[4:5], 3
	s_add_u32 s26, s30, s26
	s_addc_u32 s27, s31, s27
	v_lshlrev_b32_e32 v2, 3, v0
	v_mov_b32_e32 v3, 0
	v_lshl_add_u64 v[4:5], s[26:27], 0, v[2:3]
	v_add_co_u32_e32 v4, vcc, 0x1000, v4
	v_lshrrev_b32_e32 v1, 2, v0
	s_nop 0
	v_addc_co_u32_e32 v5, vcc, 0, v5, vcc
	global_load_dwordx2 v[6:7], v2, s[26:27]
	global_load_dwordx2 v[8:9], v[4:5], off
	v_or_b32_e32 v3, 0x200, v0
	v_and_b32_e32 v1, 0x78, v1
	v_lshrrev_b32_e32 v3, 2, v3
	v_add_u32_e32 v1, v1, v2
	v_and_b32_e32 v3, 0xf8, v3
	v_add_u32_e32 v2, v3, v2
	s_waitcnt vmcnt(1)
	ds_write_b64 v1, v[6:7]
	s_waitcnt vmcnt(0)
	ds_write_b64 v2, v[8:9] offset:4096
	s_waitcnt lgkmcnt(0)
	s_barrier
.LBB75_8:
	v_lshrrev_b32_e32 v1, 1, v0
	v_and_b32_e32 v2, 0xf8, v1
	v_lshl_add_u32 v2, v0, 4, v2
	ds_read2_b64 v[2:5], v2 offset1:1
	s_cmp_eq_u64 s[2:3], 0
	s_waitcnt lgkmcnt(0)
	s_barrier
	s_cbranch_scc1 .LBB75_15
; %bb.9:
	s_lshl_b64 s[18:19], s[18:19], 3
	s_add_u32 s5, s16, s18
	s_addc_u32 s11, s17, s19
	s_lshl_b64 s[16:17], s[24:25], 3
	s_add_u32 s5, s5, s16
	s_addc_u32 s11, s11, s17
	s_add_u32 s16, s5, -8
	s_addc_u32 s17, s11, -1
	s_load_dwordx2 s[16:17], s[16:17], 0x0
	s_cmp_eq_u64 s[2:3], s[20:21]
	s_cbranch_scc1 .LBB75_16
; %bb.10:
	v_cmp_lt_i64_e64 s[24:25], s[12:13], 1
	v_lshlrev_b32_e32 v12, 3, v0
	v_mov_b64_e32 v[8:9], 0
	v_cmp_gt_i64_e64 s[18:19], s[12:13], 0
	s_and_b64 vcc, exec, s[24:25]
	ds_write_b64 v12, v[4:5]
	s_cbranch_vccnz .LBB75_18
; %bb.11:
	v_mov_b64_e32 v[8:9], s[14:15]
	v_mad_u64_u32 v[6:7], s[24:25], v4, s12, v[8:9]
	v_mul_lo_u32 v10, v4, s13
	v_mul_lo_u32 v11, v5, s12
	v_add3_u32 v7, v11, v7, v10
	v_mad_u64_u32 v[10:11], s[24:25], v2, s12, v[8:9]
	v_mul_lo_u32 v8, v2, s13
	v_mul_lo_u32 v9, v3, s12
	v_add3_u32 v11, v9, v11, v8
	s_mov_b64 s[24:25], 0
	s_mov_b64 s[26:27], s[12:13]
                                        ; implicit-def: $sgpr28_sgpr29
	s_branch .LBB75_13
.LBB75_12:                              ;   in Loop: Header=BB75_13 Depth=1
	s_or_b64 exec, exec, s[30:31]
	s_and_b64 s[30:31], exec, s[28:29]
	s_or_b64 s[24:25], s[30:31], s[24:25]
	s_andn2_b64 exec, exec, s[24:25]
	s_cbranch_execz .LBB75_17
.LBB75_13:                              ; =>This Inner Loop Header: Depth=1
	global_load_ubyte v13, v[6:7], off
	global_load_ubyte v14, v[10:11], off
	v_mov_b64_e32 v[8:9], 1
	s_or_b64 s[28:29], s[28:29], exec
	s_waitcnt vmcnt(0)
	v_cmp_eq_u16_e32 vcc, v13, v14
	s_and_saveexec_b64 s[30:31], vcc
	s_cbranch_execz .LBB75_12
; %bb.14:                               ;   in Loop: Header=BB75_13 Depth=1
	s_add_u32 s26, s26, -1
	s_addc_u32 s27, s27, -1
	s_cmp_eq_u64 s[26:27], 0
	s_cselect_b64 s[34:35], -1, 0
	s_andn2_b64 s[28:29], s[28:29], exec
	s_and_b64 s[34:35], s[34:35], exec
	v_lshl_add_u64 v[6:7], v[6:7], 0, 1
	v_lshl_add_u64 v[10:11], v[10:11], 0, 1
	v_mov_b64_e32 v[8:9], 0
	s_or_b64 s[28:29], s[28:29], s[34:35]
	s_branch .LBB75_12
.LBB75_15:
                                        ; implicit-def: $vgpr8_vgpr9
                                        ; implicit-def: $vgpr6_vgpr7
	s_branch .LBB75_47
.LBB75_16:
                                        ; implicit-def: $vgpr8_vgpr9
                                        ; implicit-def: $vgpr6_vgpr7
	s_cbranch_execnz .LBB75_27
	s_branch .LBB75_46
.LBB75_17:
	s_or_b64 exec, exec, s[24:25]
.LBB75_18:
	v_cmp_ne_u32_e32 vcc, 0, v0
	s_waitcnt lgkmcnt(0)
	v_mov_b64_e32 v[6:7], s[16:17]
	s_barrier
	s_and_saveexec_b64 s[24:25], vcc
; %bb.19:
	v_add_u32_e32 v6, -8, v12
	ds_read_b64 v[6:7], v6
; %bb.20:
	s_or_b64 exec, exec, s[24:25]
	s_andn2_b64 vcc, exec, s[18:19]
	s_cbranch_vccnz .LBB75_26
; %bb.21:
	v_mov_b64_e32 v[12:13], s[14:15]
	v_mad_u64_u32 v[10:11], s[18:19], v2, s12, v[12:13]
	v_mul_lo_u32 v14, v2, s13
	v_mul_lo_u32 v15, v3, s12
	s_waitcnt lgkmcnt(0)
	v_mad_u64_u32 v[12:13], s[18:19], v6, s12, v[12:13]
	v_mul_lo_u32 v6, v6, s13
	v_mul_lo_u32 v7, v7, s12
	v_add3_u32 v11, v15, v11, v14
	v_add3_u32 v13, v7, v13, v6
	s_mov_b64 s[18:19], 0
	s_mov_b64 s[24:25], s[12:13]
                                        ; implicit-def: $sgpr26_sgpr27
	s_branch .LBB75_23
.LBB75_22:                              ;   in Loop: Header=BB75_23 Depth=1
	s_or_b64 exec, exec, s[28:29]
	s_and_b64 s[28:29], exec, s[26:27]
	s_or_b64 s[18:19], s[28:29], s[18:19]
	s_andn2_b64 exec, exec, s[18:19]
	s_cbranch_execz .LBB75_25
.LBB75_23:                              ; =>This Inner Loop Header: Depth=1
	global_load_ubyte v14, v[10:11], off
	global_load_ubyte v15, v[12:13], off
	v_mov_b64_e32 v[6:7], 1
	s_or_b64 s[26:27], s[26:27], exec
	s_waitcnt vmcnt(0)
	v_cmp_eq_u16_e32 vcc, v14, v15
	s_and_saveexec_b64 s[28:29], vcc
	s_cbranch_execz .LBB75_22
; %bb.24:                               ;   in Loop: Header=BB75_23 Depth=1
	s_add_u32 s24, s24, -1
	s_addc_u32 s25, s25, -1
	s_cmp_eq_u64 s[24:25], 0
	s_cselect_b64 s[30:31], -1, 0
	s_andn2_b64 s[26:27], s[26:27], exec
	s_and_b64 s[30:31], s[30:31], exec
	v_lshl_add_u64 v[10:11], v[10:11], 0, 1
	v_lshl_add_u64 v[12:13], v[12:13], 0, 1
	v_mov_b64_e32 v[6:7], 0
	s_or_b64 s[26:27], s[26:27], s[30:31]
	s_branch .LBB75_22
.LBB75_25:
	s_or_b64 exec, exec, s[18:19]
	s_branch .LBB75_46
.LBB75_26:
	s_waitcnt lgkmcnt(0)
	v_mov_b64_e32 v[6:7], 0
	s_branch .LBB75_46
.LBB75_27:
	s_lshl_b32 s2, s2, 10
	v_lshlrev_b32_e32 v12, 1, v0
	s_sub_i32 s5, s10, s2
	v_or_b32_e32 v6, 1, v12
	v_lshlrev_b32_e32 v13, 3, v0
	v_cmp_gt_u32_e32 vcc, s5, v6
	v_mov_b64_e32 v[8:9], v[4:5]
	ds_write_b64 v13, v[4:5]
	v_mov_b64_e32 v[6:7], v[2:3]
	s_and_saveexec_b64 s[2:3], vcc
	s_cbranch_execz .LBB75_35
; %bb.28:
	v_cmp_lt_i64_e64 s[18:19], s[12:13], 1
	s_and_b64 vcc, exec, s[18:19]
	s_cbranch_vccnz .LBB75_34
; %bb.29:
	v_mov_b64_e32 v[8:9], s[14:15]
	v_mad_u64_u32 v[6:7], s[18:19], v4, s12, v[8:9]
	v_mul_lo_u32 v10, v4, s13
	v_mul_lo_u32 v11, v5, s12
	v_add3_u32 v7, v11, v7, v10
	v_mad_u64_u32 v[10:11], s[18:19], v2, s12, v[8:9]
	v_mul_lo_u32 v8, v2, s13
	v_mul_lo_u32 v9, v3, s12
	v_add3_u32 v11, v9, v11, v8
	s_mov_b64 s[18:19], 0
	s_mov_b64 s[24:25], s[12:13]
                                        ; implicit-def: $sgpr26_sgpr27
	s_branch .LBB75_31
.LBB75_30:                              ;   in Loop: Header=BB75_31 Depth=1
	s_or_b64 exec, exec, s[28:29]
	s_and_b64 s[28:29], exec, s[26:27]
	s_or_b64 s[18:19], s[28:29], s[18:19]
	s_andn2_b64 exec, exec, s[18:19]
	s_cbranch_execz .LBB75_33
.LBB75_31:                              ; =>This Inner Loop Header: Depth=1
	global_load_ubyte v14, v[6:7], off
	global_load_ubyte v15, v[10:11], off
	v_mov_b64_e32 v[8:9], 1
	s_or_b64 s[26:27], s[26:27], exec
	s_waitcnt vmcnt(0)
	v_cmp_eq_u16_e32 vcc, v14, v15
	s_and_saveexec_b64 s[28:29], vcc
	s_cbranch_execz .LBB75_30
; %bb.32:                               ;   in Loop: Header=BB75_31 Depth=1
	s_add_u32 s24, s24, -1
	s_addc_u32 s25, s25, -1
	s_cmp_eq_u64 s[24:25], 0
	s_cselect_b64 s[30:31], -1, 0
	s_andn2_b64 s[26:27], s[26:27], exec
	s_and_b64 s[30:31], s[30:31], exec
	v_lshl_add_u64 v[6:7], v[6:7], 0, 1
	v_lshl_add_u64 v[10:11], v[10:11], 0, 1
	v_mov_b64_e32 v[8:9], 0
	s_or_b64 s[26:27], s[26:27], s[30:31]
	s_branch .LBB75_30
.LBB75_33:
	s_or_b64 exec, exec, s[18:19]
	s_branch .LBB75_35
.LBB75_34:
	v_mov_b64_e32 v[8:9], 0
.LBB75_35:
	s_or_b64 exec, exec, s[2:3]
	v_cmp_ne_u32_e32 vcc, 0, v0
	s_waitcnt lgkmcnt(0)
	v_mov_b64_e32 v[14:15], s[16:17]
	s_barrier
	s_and_saveexec_b64 s[2:3], vcc
; %bb.36:
	v_add_u32_e32 v6, -8, v13
	ds_read_b64 v[14:15], v6
; %bb.37:
	s_or_b64 exec, exec, s[2:3]
	v_cmp_gt_u32_e32 vcc, s5, v12
	v_mov_b64_e32 v[6:7], v[2:3]
	s_and_saveexec_b64 s[2:3], vcc
	s_cbranch_execz .LBB75_45
; %bb.38:
	v_cmp_lt_i64_e64 s[16:17], s[12:13], 1
	s_and_b64 vcc, exec, s[16:17]
	s_cbranch_vccnz .LBB75_44
; %bb.39:
	v_mov_b64_e32 v[6:7], s[14:15]
	v_mad_u64_u32 v[10:11], s[16:17], v2, s12, v[6:7]
	v_mul_lo_u32 v12, v2, s13
	v_mul_lo_u32 v13, v3, s12
	v_add3_u32 v11, v13, v11, v12
	s_waitcnt lgkmcnt(0)
	v_mad_u64_u32 v[12:13], s[16:17], v14, s12, v[6:7]
	v_mul_lo_u32 v6, v14, s13
	v_mul_lo_u32 v7, v15, s12
	v_add3_u32 v13, v7, v13, v6
	s_mov_b64 s[16:17], 0
	s_mov_b64 s[18:19], s[12:13]
                                        ; implicit-def: $sgpr24_sgpr25
	s_branch .LBB75_41
.LBB75_40:                              ;   in Loop: Header=BB75_41 Depth=1
	s_or_b64 exec, exec, s[26:27]
	s_and_b64 s[26:27], exec, s[24:25]
	s_or_b64 s[16:17], s[26:27], s[16:17]
	s_andn2_b64 exec, exec, s[16:17]
	s_cbranch_execz .LBB75_43
.LBB75_41:                              ; =>This Inner Loop Header: Depth=1
	global_load_ubyte v14, v[10:11], off
	global_load_ubyte v15, v[12:13], off
	v_mov_b64_e32 v[6:7], 1
	s_or_b64 s[24:25], s[24:25], exec
	s_waitcnt vmcnt(0)
	v_cmp_eq_u16_e32 vcc, v14, v15
	s_and_saveexec_b64 s[26:27], vcc
	s_cbranch_execz .LBB75_40
; %bb.42:                               ;   in Loop: Header=BB75_41 Depth=1
	s_add_u32 s18, s18, -1
	s_addc_u32 s19, s19, -1
	s_cmp_eq_u64 s[18:19], 0
	s_cselect_b64 s[28:29], -1, 0
	s_andn2_b64 s[24:25], s[24:25], exec
	s_and_b64 s[28:29], s[28:29], exec
	v_lshl_add_u64 v[10:11], v[10:11], 0, 1
	v_lshl_add_u64 v[12:13], v[12:13], 0, 1
	v_mov_b64_e32 v[6:7], 0
	s_or_b64 s[24:25], s[24:25], s[28:29]
	s_branch .LBB75_40
.LBB75_43:
	s_or_b64 exec, exec, s[16:17]
	s_branch .LBB75_45
.LBB75_44:
	v_mov_b64_e32 v[6:7], 0
.LBB75_45:
	s_or_b64 exec, exec, s[2:3]
.LBB75_46:
	s_cbranch_execnz .LBB75_81
.LBB75_47:
	s_cmp_eq_u64 s[22:23], 1
	s_cbranch_scc1 .LBB75_53
; %bb.48:
	s_waitcnt lgkmcnt(0)
	v_cmp_lt_i64_e64 s[16:17], s[12:13], 1
	v_lshlrev_b32_e32 v12, 3, v0
	v_mov_b64_e32 v[8:9], 0
	v_cmp_gt_i64_e64 s[2:3], s[12:13], 0
	s_and_b64 vcc, exec, s[16:17]
	ds_write_b64 v12, v[4:5]
	s_cbranch_vccnz .LBB75_55
; %bb.49:
	v_mov_b64_e32 v[8:9], s[14:15]
	v_mad_u64_u32 v[6:7], s[16:17], v4, s12, v[8:9]
	v_mul_lo_u32 v10, v4, s13
	v_mul_lo_u32 v11, v5, s12
	v_add3_u32 v7, v11, v7, v10
	v_mad_u64_u32 v[10:11], s[16:17], v2, s12, v[8:9]
	v_mul_lo_u32 v8, v2, s13
	v_mul_lo_u32 v9, v3, s12
	v_add3_u32 v11, v9, v11, v8
	s_mov_b64 s[16:17], 0
	s_mov_b64 s[18:19], s[12:13]
                                        ; implicit-def: $sgpr22_sgpr23
	s_branch .LBB75_51
.LBB75_50:                              ;   in Loop: Header=BB75_51 Depth=1
	s_or_b64 exec, exec, s[24:25]
	s_and_b64 s[24:25], exec, s[22:23]
	s_or_b64 s[16:17], s[24:25], s[16:17]
	s_andn2_b64 exec, exec, s[16:17]
	s_cbranch_execz .LBB75_54
.LBB75_51:                              ; =>This Inner Loop Header: Depth=1
	global_load_ubyte v13, v[6:7], off
	global_load_ubyte v14, v[10:11], off
	v_mov_b64_e32 v[8:9], 1
	s_or_b64 s[22:23], s[22:23], exec
	s_waitcnt vmcnt(0)
	v_cmp_eq_u16_e32 vcc, v13, v14
	s_and_saveexec_b64 s[24:25], vcc
	s_cbranch_execz .LBB75_50
; %bb.52:                               ;   in Loop: Header=BB75_51 Depth=1
	s_add_u32 s18, s18, -1
	s_addc_u32 s19, s19, -1
	s_cmp_eq_u64 s[18:19], 0
	s_cselect_b64 s[26:27], -1, 0
	s_andn2_b64 s[22:23], s[22:23], exec
	s_and_b64 s[26:27], s[26:27], exec
	v_lshl_add_u64 v[6:7], v[6:7], 0, 1
	v_lshl_add_u64 v[10:11], v[10:11], 0, 1
	v_mov_b64_e32 v[8:9], 0
	s_or_b64 s[22:23], s[22:23], s[26:27]
	s_branch .LBB75_50
.LBB75_53:
                                        ; implicit-def: $vgpr8_vgpr9
                                        ; implicit-def: $vgpr6_vgpr7
	s_cbranch_execnz .LBB75_64
	s_branch .LBB75_81
.LBB75_54:
	s_or_b64 exec, exec, s[16:17]
.LBB75_55:
	v_cmp_ne_u32_e32 vcc, 0, v0
	v_mov_b64_e32 v[6:7], v[2:3]
	s_waitcnt lgkmcnt(0)
	s_barrier
	s_and_saveexec_b64 s[16:17], vcc
	s_cbranch_execz .LBB75_63
; %bb.56:
	s_andn2_b64 vcc, exec, s[2:3]
	s_cbranch_vccnz .LBB75_62
; %bb.57:
	v_add_u32_e32 v6, -8, v12
	ds_read_b64 v[6:7], v6
	v_mov_b64_e32 v[12:13], s[14:15]
	v_mad_u64_u32 v[10:11], s[2:3], v2, s12, v[12:13]
	v_mul_lo_u32 v14, v2, s13
	v_mul_lo_u32 v15, v3, s12
	v_add3_u32 v11, v15, v11, v14
	s_waitcnt lgkmcnt(0)
	v_mul_lo_u32 v14, v6, s13
	v_mul_lo_u32 v7, v7, s12
	v_mad_u64_u32 v[12:13], s[2:3], v6, s12, v[12:13]
	v_add3_u32 v13, v7, v13, v14
	s_mov_b64 s[2:3], 0
	s_mov_b64 s[18:19], s[12:13]
                                        ; implicit-def: $sgpr22_sgpr23
	s_branch .LBB75_59
.LBB75_58:                              ;   in Loop: Header=BB75_59 Depth=1
	s_or_b64 exec, exec, s[24:25]
	s_and_b64 s[24:25], exec, s[22:23]
	s_or_b64 s[2:3], s[24:25], s[2:3]
	s_andn2_b64 exec, exec, s[2:3]
	s_cbranch_execz .LBB75_61
.LBB75_59:                              ; =>This Inner Loop Header: Depth=1
	global_load_ubyte v14, v[10:11], off
	global_load_ubyte v15, v[12:13], off
	v_mov_b64_e32 v[6:7], 1
	s_or_b64 s[22:23], s[22:23], exec
	s_waitcnt vmcnt(0)
	v_cmp_eq_u16_e32 vcc, v14, v15
	s_and_saveexec_b64 s[24:25], vcc
	s_cbranch_execz .LBB75_58
; %bb.60:                               ;   in Loop: Header=BB75_59 Depth=1
	s_add_u32 s18, s18, -1
	s_addc_u32 s19, s19, -1
	s_cmp_eq_u64 s[18:19], 0
	s_cselect_b64 s[26:27], -1, 0
	s_andn2_b64 s[22:23], s[22:23], exec
	s_and_b64 s[26:27], s[26:27], exec
	v_lshl_add_u64 v[10:11], v[10:11], 0, 1
	v_lshl_add_u64 v[12:13], v[12:13], 0, 1
	v_mov_b64_e32 v[6:7], 0
	s_or_b64 s[22:23], s[22:23], s[26:27]
	s_branch .LBB75_58
.LBB75_61:
	s_or_b64 exec, exec, s[2:3]
	s_branch .LBB75_63
.LBB75_62:
	v_mov_b64_e32 v[6:7], 0
.LBB75_63:
	s_or_b64 exec, exec, s[16:17]
	s_branch .LBB75_81
.LBB75_64:
	v_lshlrev_b32_e32 v11, 1, v0
	v_or_b32_e32 v6, 1, v11
	v_lshlrev_b32_e32 v10, 3, v0
	v_cmp_gt_u32_e32 vcc, s10, v6
	v_mov_b64_e32 v[8:9], v[4:5]
	ds_write_b64 v10, v[4:5]
	v_mov_b64_e32 v[6:7], v[2:3]
	s_and_saveexec_b64 s[2:3], vcc
	s_cbranch_execz .LBB75_72
; %bb.65:
	s_waitcnt lgkmcnt(0)
	v_cmp_lt_i64_e64 s[16:17], s[12:13], 1
	s_and_b64 vcc, exec, s[16:17]
	s_cbranch_vccnz .LBB75_71
; %bb.66:
	v_mov_b64_e32 v[8:9], s[14:15]
	v_mad_u64_u32 v[6:7], s[16:17], v4, s12, v[8:9]
	v_mul_lo_u32 v4, v4, s13
	v_mul_lo_u32 v5, v5, s12
	v_add3_u32 v7, v5, v7, v4
	v_mad_u64_u32 v[4:5], s[16:17], v2, s12, v[8:9]
	v_mul_lo_u32 v8, v2, s13
	v_mul_lo_u32 v9, v3, s12
	v_add3_u32 v5, v9, v5, v8
	s_mov_b64 s[16:17], 0
	s_mov_b64 s[18:19], s[12:13]
                                        ; implicit-def: $sgpr22_sgpr23
	s_branch .LBB75_68
.LBB75_67:                              ;   in Loop: Header=BB75_68 Depth=1
	s_or_b64 exec, exec, s[24:25]
	s_and_b64 s[24:25], exec, s[22:23]
	s_or_b64 s[16:17], s[24:25], s[16:17]
	s_andn2_b64 exec, exec, s[16:17]
	s_cbranch_execz .LBB75_70
.LBB75_68:                              ; =>This Inner Loop Header: Depth=1
	global_load_ubyte v12, v[6:7], off
	global_load_ubyte v13, v[4:5], off
	v_mov_b64_e32 v[8:9], 1
	s_or_b64 s[22:23], s[22:23], exec
	s_waitcnt vmcnt(0)
	v_cmp_eq_u16_e32 vcc, v12, v13
	s_and_saveexec_b64 s[24:25], vcc
	s_cbranch_execz .LBB75_67
; %bb.69:                               ;   in Loop: Header=BB75_68 Depth=1
	s_add_u32 s18, s18, -1
	s_addc_u32 s19, s19, -1
	s_cmp_eq_u64 s[18:19], 0
	s_cselect_b64 s[26:27], -1, 0
	s_andn2_b64 s[22:23], s[22:23], exec
	s_and_b64 s[26:27], s[26:27], exec
	v_lshl_add_u64 v[6:7], v[6:7], 0, 1
	v_lshl_add_u64 v[4:5], v[4:5], 0, 1
	v_mov_b64_e32 v[8:9], 0
	s_or_b64 s[22:23], s[22:23], s[26:27]
	s_branch .LBB75_67
.LBB75_70:
	s_or_b64 exec, exec, s[16:17]
	s_branch .LBB75_72
.LBB75_71:
	v_mov_b64_e32 v[8:9], 0
.LBB75_72:
	s_or_b64 exec, exec, s[2:3]
	v_cmp_ne_u32_e32 vcc, 0, v0
	v_cmp_gt_u32_e64 s[2:3], s10, v11
	s_waitcnt lgkmcnt(0)
	s_and_b64 s[16:17], vcc, s[2:3]
	s_barrier
	s_and_saveexec_b64 s[2:3], s[16:17]
	s_cbranch_execz .LBB75_80
; %bb.73:
	v_cmp_lt_i64_e64 s[16:17], s[12:13], 1
	s_and_b64 vcc, exec, s[16:17]
	s_cbranch_vccnz .LBB75_79
; %bb.74:
	v_add_u32_e32 v4, -8, v10
	ds_read_b64 v[6:7], v4
	v_mov_b64_e32 v[10:11], s[14:15]
	v_mad_u64_u32 v[4:5], s[14:15], v2, s12, v[10:11]
	v_mul_lo_u32 v2, v2, s13
	v_mul_lo_u32 v3, v3, s12
	v_add3_u32 v5, v3, v5, v2
	s_waitcnt lgkmcnt(0)
	v_mul_lo_u32 v2, v6, s13
	v_mul_lo_u32 v3, v7, s12
	v_mad_u64_u32 v[6:7], s[14:15], v6, s12, v[10:11]
	v_add3_u32 v7, v3, v7, v2
	s_mov_b64 s[14:15], 0
                                        ; implicit-def: $sgpr16_sgpr17
	s_branch .LBB75_76
.LBB75_75:                              ;   in Loop: Header=BB75_76 Depth=1
	s_or_b64 exec, exec, s[18:19]
	s_and_b64 s[18:19], exec, s[16:17]
	s_or_b64 s[14:15], s[18:19], s[14:15]
	s_andn2_b64 exec, exec, s[14:15]
	s_cbranch_execz .LBB75_78
.LBB75_76:                              ; =>This Inner Loop Header: Depth=1
	global_load_ubyte v10, v[4:5], off
	global_load_ubyte v11, v[6:7], off
	v_mov_b64_e32 v[2:3], 1
	s_or_b64 s[16:17], s[16:17], exec
	s_waitcnt vmcnt(0)
	v_cmp_eq_u16_e32 vcc, v10, v11
	s_and_saveexec_b64 s[18:19], vcc
	s_cbranch_execz .LBB75_75
; %bb.77:                               ;   in Loop: Header=BB75_76 Depth=1
	s_add_u32 s12, s12, -1
	s_addc_u32 s13, s13, -1
	s_cmp_eq_u64 s[12:13], 0
	s_cselect_b64 s[22:23], -1, 0
	s_andn2_b64 s[16:17], s[16:17], exec
	s_and_b64 s[22:23], s[22:23], exec
	v_lshl_add_u64 v[4:5], v[4:5], 0, 1
	v_lshl_add_u64 v[6:7], v[6:7], 0, 1
	v_mov_b64_e32 v[2:3], 0
	s_or_b64 s[16:17], s[16:17], s[22:23]
	s_branch .LBB75_75
.LBB75_78:
	s_or_b64 exec, exec, s[14:15]
	s_branch .LBB75_80
.LBB75_79:
	v_mov_b64_e32 v[2:3], 0
.LBB75_80:
	s_or_b64 exec, exec, s[2:3]
	v_mov_b64_e32 v[6:7], v[2:3]
.LBB75_81:
	s_add_u32 s6, s8, s6
	s_addc_u32 s7, s9, s7
	s_and_b64 vcc, exec, s[0:1]
	s_waitcnt lgkmcnt(0)
	s_barrier
	s_cbranch_vccz .LBB75_85
; %bb.82:
	v_and_b32_e32 v2, 0xf8, v1
	v_lshl_add_u32 v2, v0, 4, v2
	v_or_b32_e32 v10, 0x200, v0
	ds_write2_b64 v2, v[6:7], v[8:9] offset1:1
	v_lshrrev_b32_e32 v2, 2, v10
	v_and_b32_e32 v2, 0xf8, v2
	v_lshlrev_b32_e32 v4, 3, v0
	v_add_u32_e32 v2, v2, v4
	s_lshl_b32 s0, s20, 10
	s_mov_b32 s5, 0
	s_waitcnt lgkmcnt(0)
	s_barrier
	ds_read_b64 v[2:3], v2 offset:4096
	s_sub_i32 s2, s10, s0
	s_lshl_b64 s[0:1], s[4:5], 3
	s_add_u32 s0, s6, s0
	s_addc_u32 s1, s7, s1
	v_mov_b32_e32 v5, 0
	v_lshl_add_u64 v[4:5], s[0:1], 0, v[4:5]
	v_cmp_gt_u32_e32 vcc, s2, v0
	s_and_saveexec_b64 s[0:1], vcc
	s_cbranch_execz .LBB75_84
; %bb.83:
	v_lshrrev_b32_e32 v11, 2, v0
	v_and_b32_e32 v11, 0x78, v11
	v_lshl_add_u32 v11, v0, 3, v11
	ds_read_b64 v[12:13], v11
	s_waitcnt lgkmcnt(0)
	global_store_dwordx2 v[4:5], v[12:13], off
.LBB75_84:
	s_or_b64 exec, exec, s[0:1]
	v_cmp_gt_u32_e64 s[0:1], s2, v10
	s_branch .LBB75_87
.LBB75_85:
	s_mov_b64 s[0:1], 0
                                        ; implicit-def: $vgpr2_vgpr3
                                        ; implicit-def: $vgpr4_vgpr5
	s_cbranch_execz .LBB75_87
; %bb.86:
	v_and_b32_e32 v1, 0xf8, v1
	v_lshl_add_u32 v1, v0, 4, v1
	ds_write2_b64 v1, v[6:7], v[8:9] offset1:1
	v_lshrrev_b32_e32 v1, 2, v0
	v_lshlrev_b32_e32 v6, 3, v0
	v_or_b32_e32 v0, 0x200, v0
	v_lshrrev_b32_e32 v0, 2, v0
	v_and_b32_e32 v1, 0x78, v1
	v_and_b32_e32 v0, 0xf8, v0
	v_add_u32_e32 v1, v1, v6
	v_add_u32_e32 v0, v0, v6
	s_mov_b32 s5, 0
	s_waitcnt lgkmcnt(0)
	s_barrier
	ds_read_b64 v[8:9], v1
	ds_read_b64 v[2:3], v0 offset:4096
	s_lshl_b64 s[2:3], s[4:5], 3
	s_add_u32 s2, s6, s2
	s_addc_u32 s3, s7, s3
	v_mov_b32_e32 v7, 0
	v_lshl_add_u64 v[4:5], s[2:3], 0, v[6:7]
	s_or_b64 s[0:1], s[0:1], exec
	s_waitcnt lgkmcnt(1)
	global_store_dwordx2 v6, v[8:9], s[2:3]
.LBB75_87:
	s_and_saveexec_b64 s[2:3], s[0:1]
	s_cbranch_execnz .LBB75_89
; %bb.88:
	s_endpgm
.LBB75_89:
	v_add_co_u32_e32 v0, vcc, 0x1000, v4
	s_nop 1
	v_addc_co_u32_e32 v1, vcc, 0, v5, vcc
	s_waitcnt lgkmcnt(0)
	global_store_dwordx2 v[0:1], v[2:3], off
	s_endpgm
	.section	.rodata,"a",@progbits
	.p2align	6, 0x0
	.amdhsa_kernel _ZN7rocprim17ROCPRIM_400000_NS6detail17trampoline_kernelINS0_14default_configENS1_35adjacent_difference_config_selectorILb1ElEEZNS1_24adjacent_difference_implIS3_Lb1ELb0EPlS7_ZN2at6native12_GLOBAL__N_124unique_dim_cuda_templateIhEESt5tupleIJNS8_6TensorESD_SD_EERKSD_lbbbEUlllE1_EE10hipError_tPvRmT2_T3_mT4_P12ihipStream_tbEUlT_E_NS1_11comp_targetILNS1_3genE0ELNS1_11target_archE4294967295ELNS1_3gpuE0ELNS1_3repE0EEENS1_30default_config_static_selectorELNS0_4arch9wavefront6targetE1EEEvT1_
		.amdhsa_group_segment_fixed_size 8448
		.amdhsa_private_segment_fixed_size 0
		.amdhsa_kernarg_size 64
		.amdhsa_user_sgpr_count 2
		.amdhsa_user_sgpr_dispatch_ptr 0
		.amdhsa_user_sgpr_queue_ptr 0
		.amdhsa_user_sgpr_kernarg_segment_ptr 1
		.amdhsa_user_sgpr_dispatch_id 0
		.amdhsa_user_sgpr_kernarg_preload_length 0
		.amdhsa_user_sgpr_kernarg_preload_offset 0
		.amdhsa_user_sgpr_private_segment_size 0
		.amdhsa_uses_dynamic_stack 0
		.amdhsa_enable_private_segment 0
		.amdhsa_system_sgpr_workgroup_id_x 1
		.amdhsa_system_sgpr_workgroup_id_y 0
		.amdhsa_system_sgpr_workgroup_id_z 0
		.amdhsa_system_sgpr_workgroup_info 0
		.amdhsa_system_vgpr_workitem_id 0
		.amdhsa_next_free_vgpr 16
		.amdhsa_next_free_sgpr 36
		.amdhsa_accum_offset 16
		.amdhsa_reserve_vcc 1
		.amdhsa_float_round_mode_32 0
		.amdhsa_float_round_mode_16_64 0
		.amdhsa_float_denorm_mode_32 3
		.amdhsa_float_denorm_mode_16_64 3
		.amdhsa_dx10_clamp 1
		.amdhsa_ieee_mode 1
		.amdhsa_fp16_overflow 0
		.amdhsa_tg_split 0
		.amdhsa_exception_fp_ieee_invalid_op 0
		.amdhsa_exception_fp_denorm_src 0
		.amdhsa_exception_fp_ieee_div_zero 0
		.amdhsa_exception_fp_ieee_overflow 0
		.amdhsa_exception_fp_ieee_underflow 0
		.amdhsa_exception_fp_ieee_inexact 0
		.amdhsa_exception_int_div_zero 0
	.end_amdhsa_kernel
	.section	.text._ZN7rocprim17ROCPRIM_400000_NS6detail17trampoline_kernelINS0_14default_configENS1_35adjacent_difference_config_selectorILb1ElEEZNS1_24adjacent_difference_implIS3_Lb1ELb0EPlS7_ZN2at6native12_GLOBAL__N_124unique_dim_cuda_templateIhEESt5tupleIJNS8_6TensorESD_SD_EERKSD_lbbbEUlllE1_EE10hipError_tPvRmT2_T3_mT4_P12ihipStream_tbEUlT_E_NS1_11comp_targetILNS1_3genE0ELNS1_11target_archE4294967295ELNS1_3gpuE0ELNS1_3repE0EEENS1_30default_config_static_selectorELNS0_4arch9wavefront6targetE1EEEvT1_,"axG",@progbits,_ZN7rocprim17ROCPRIM_400000_NS6detail17trampoline_kernelINS0_14default_configENS1_35adjacent_difference_config_selectorILb1ElEEZNS1_24adjacent_difference_implIS3_Lb1ELb0EPlS7_ZN2at6native12_GLOBAL__N_124unique_dim_cuda_templateIhEESt5tupleIJNS8_6TensorESD_SD_EERKSD_lbbbEUlllE1_EE10hipError_tPvRmT2_T3_mT4_P12ihipStream_tbEUlT_E_NS1_11comp_targetILNS1_3genE0ELNS1_11target_archE4294967295ELNS1_3gpuE0ELNS1_3repE0EEENS1_30default_config_static_selectorELNS0_4arch9wavefront6targetE1EEEvT1_,comdat
.Lfunc_end75:
	.size	_ZN7rocprim17ROCPRIM_400000_NS6detail17trampoline_kernelINS0_14default_configENS1_35adjacent_difference_config_selectorILb1ElEEZNS1_24adjacent_difference_implIS3_Lb1ELb0EPlS7_ZN2at6native12_GLOBAL__N_124unique_dim_cuda_templateIhEESt5tupleIJNS8_6TensorESD_SD_EERKSD_lbbbEUlllE1_EE10hipError_tPvRmT2_T3_mT4_P12ihipStream_tbEUlT_E_NS1_11comp_targetILNS1_3genE0ELNS1_11target_archE4294967295ELNS1_3gpuE0ELNS1_3repE0EEENS1_30default_config_static_selectorELNS0_4arch9wavefront6targetE1EEEvT1_, .Lfunc_end75-_ZN7rocprim17ROCPRIM_400000_NS6detail17trampoline_kernelINS0_14default_configENS1_35adjacent_difference_config_selectorILb1ElEEZNS1_24adjacent_difference_implIS3_Lb1ELb0EPlS7_ZN2at6native12_GLOBAL__N_124unique_dim_cuda_templateIhEESt5tupleIJNS8_6TensorESD_SD_EERKSD_lbbbEUlllE1_EE10hipError_tPvRmT2_T3_mT4_P12ihipStream_tbEUlT_E_NS1_11comp_targetILNS1_3genE0ELNS1_11target_archE4294967295ELNS1_3gpuE0ELNS1_3repE0EEENS1_30default_config_static_selectorELNS0_4arch9wavefront6targetE1EEEvT1_
                                        ; -- End function
	.set _ZN7rocprim17ROCPRIM_400000_NS6detail17trampoline_kernelINS0_14default_configENS1_35adjacent_difference_config_selectorILb1ElEEZNS1_24adjacent_difference_implIS3_Lb1ELb0EPlS7_ZN2at6native12_GLOBAL__N_124unique_dim_cuda_templateIhEESt5tupleIJNS8_6TensorESD_SD_EERKSD_lbbbEUlllE1_EE10hipError_tPvRmT2_T3_mT4_P12ihipStream_tbEUlT_E_NS1_11comp_targetILNS1_3genE0ELNS1_11target_archE4294967295ELNS1_3gpuE0ELNS1_3repE0EEENS1_30default_config_static_selectorELNS0_4arch9wavefront6targetE1EEEvT1_.num_vgpr, 16
	.set _ZN7rocprim17ROCPRIM_400000_NS6detail17trampoline_kernelINS0_14default_configENS1_35adjacent_difference_config_selectorILb1ElEEZNS1_24adjacent_difference_implIS3_Lb1ELb0EPlS7_ZN2at6native12_GLOBAL__N_124unique_dim_cuda_templateIhEESt5tupleIJNS8_6TensorESD_SD_EERKSD_lbbbEUlllE1_EE10hipError_tPvRmT2_T3_mT4_P12ihipStream_tbEUlT_E_NS1_11comp_targetILNS1_3genE0ELNS1_11target_archE4294967295ELNS1_3gpuE0ELNS1_3repE0EEENS1_30default_config_static_selectorELNS0_4arch9wavefront6targetE1EEEvT1_.num_agpr, 0
	.set _ZN7rocprim17ROCPRIM_400000_NS6detail17trampoline_kernelINS0_14default_configENS1_35adjacent_difference_config_selectorILb1ElEEZNS1_24adjacent_difference_implIS3_Lb1ELb0EPlS7_ZN2at6native12_GLOBAL__N_124unique_dim_cuda_templateIhEESt5tupleIJNS8_6TensorESD_SD_EERKSD_lbbbEUlllE1_EE10hipError_tPvRmT2_T3_mT4_P12ihipStream_tbEUlT_E_NS1_11comp_targetILNS1_3genE0ELNS1_11target_archE4294967295ELNS1_3gpuE0ELNS1_3repE0EEENS1_30default_config_static_selectorELNS0_4arch9wavefront6targetE1EEEvT1_.numbered_sgpr, 36
	.set _ZN7rocprim17ROCPRIM_400000_NS6detail17trampoline_kernelINS0_14default_configENS1_35adjacent_difference_config_selectorILb1ElEEZNS1_24adjacent_difference_implIS3_Lb1ELb0EPlS7_ZN2at6native12_GLOBAL__N_124unique_dim_cuda_templateIhEESt5tupleIJNS8_6TensorESD_SD_EERKSD_lbbbEUlllE1_EE10hipError_tPvRmT2_T3_mT4_P12ihipStream_tbEUlT_E_NS1_11comp_targetILNS1_3genE0ELNS1_11target_archE4294967295ELNS1_3gpuE0ELNS1_3repE0EEENS1_30default_config_static_selectorELNS0_4arch9wavefront6targetE1EEEvT1_.num_named_barrier, 0
	.set _ZN7rocprim17ROCPRIM_400000_NS6detail17trampoline_kernelINS0_14default_configENS1_35adjacent_difference_config_selectorILb1ElEEZNS1_24adjacent_difference_implIS3_Lb1ELb0EPlS7_ZN2at6native12_GLOBAL__N_124unique_dim_cuda_templateIhEESt5tupleIJNS8_6TensorESD_SD_EERKSD_lbbbEUlllE1_EE10hipError_tPvRmT2_T3_mT4_P12ihipStream_tbEUlT_E_NS1_11comp_targetILNS1_3genE0ELNS1_11target_archE4294967295ELNS1_3gpuE0ELNS1_3repE0EEENS1_30default_config_static_selectorELNS0_4arch9wavefront6targetE1EEEvT1_.private_seg_size, 0
	.set _ZN7rocprim17ROCPRIM_400000_NS6detail17trampoline_kernelINS0_14default_configENS1_35adjacent_difference_config_selectorILb1ElEEZNS1_24adjacent_difference_implIS3_Lb1ELb0EPlS7_ZN2at6native12_GLOBAL__N_124unique_dim_cuda_templateIhEESt5tupleIJNS8_6TensorESD_SD_EERKSD_lbbbEUlllE1_EE10hipError_tPvRmT2_T3_mT4_P12ihipStream_tbEUlT_E_NS1_11comp_targetILNS1_3genE0ELNS1_11target_archE4294967295ELNS1_3gpuE0ELNS1_3repE0EEENS1_30default_config_static_selectorELNS0_4arch9wavefront6targetE1EEEvT1_.uses_vcc, 1
	.set _ZN7rocprim17ROCPRIM_400000_NS6detail17trampoline_kernelINS0_14default_configENS1_35adjacent_difference_config_selectorILb1ElEEZNS1_24adjacent_difference_implIS3_Lb1ELb0EPlS7_ZN2at6native12_GLOBAL__N_124unique_dim_cuda_templateIhEESt5tupleIJNS8_6TensorESD_SD_EERKSD_lbbbEUlllE1_EE10hipError_tPvRmT2_T3_mT4_P12ihipStream_tbEUlT_E_NS1_11comp_targetILNS1_3genE0ELNS1_11target_archE4294967295ELNS1_3gpuE0ELNS1_3repE0EEENS1_30default_config_static_selectorELNS0_4arch9wavefront6targetE1EEEvT1_.uses_flat_scratch, 0
	.set _ZN7rocprim17ROCPRIM_400000_NS6detail17trampoline_kernelINS0_14default_configENS1_35adjacent_difference_config_selectorILb1ElEEZNS1_24adjacent_difference_implIS3_Lb1ELb0EPlS7_ZN2at6native12_GLOBAL__N_124unique_dim_cuda_templateIhEESt5tupleIJNS8_6TensorESD_SD_EERKSD_lbbbEUlllE1_EE10hipError_tPvRmT2_T3_mT4_P12ihipStream_tbEUlT_E_NS1_11comp_targetILNS1_3genE0ELNS1_11target_archE4294967295ELNS1_3gpuE0ELNS1_3repE0EEENS1_30default_config_static_selectorELNS0_4arch9wavefront6targetE1EEEvT1_.has_dyn_sized_stack, 0
	.set _ZN7rocprim17ROCPRIM_400000_NS6detail17trampoline_kernelINS0_14default_configENS1_35adjacent_difference_config_selectorILb1ElEEZNS1_24adjacent_difference_implIS3_Lb1ELb0EPlS7_ZN2at6native12_GLOBAL__N_124unique_dim_cuda_templateIhEESt5tupleIJNS8_6TensorESD_SD_EERKSD_lbbbEUlllE1_EE10hipError_tPvRmT2_T3_mT4_P12ihipStream_tbEUlT_E_NS1_11comp_targetILNS1_3genE0ELNS1_11target_archE4294967295ELNS1_3gpuE0ELNS1_3repE0EEENS1_30default_config_static_selectorELNS0_4arch9wavefront6targetE1EEEvT1_.has_recursion, 0
	.set _ZN7rocprim17ROCPRIM_400000_NS6detail17trampoline_kernelINS0_14default_configENS1_35adjacent_difference_config_selectorILb1ElEEZNS1_24adjacent_difference_implIS3_Lb1ELb0EPlS7_ZN2at6native12_GLOBAL__N_124unique_dim_cuda_templateIhEESt5tupleIJNS8_6TensorESD_SD_EERKSD_lbbbEUlllE1_EE10hipError_tPvRmT2_T3_mT4_P12ihipStream_tbEUlT_E_NS1_11comp_targetILNS1_3genE0ELNS1_11target_archE4294967295ELNS1_3gpuE0ELNS1_3repE0EEENS1_30default_config_static_selectorELNS0_4arch9wavefront6targetE1EEEvT1_.has_indirect_call, 0
	.section	.AMDGPU.csdata,"",@progbits
; Kernel info:
; codeLenInByte = 3048
; TotalNumSgprs: 42
; NumVgprs: 16
; NumAgprs: 0
; TotalNumVgprs: 16
; ScratchSize: 0
; MemoryBound: 0
; FloatMode: 240
; IeeeMode: 1
; LDSByteSize: 8448 bytes/workgroup (compile time only)
; SGPRBlocks: 5
; VGPRBlocks: 1
; NumSGPRsForWavesPerEU: 42
; NumVGPRsForWavesPerEU: 16
; AccumOffset: 16
; Occupancy: 8
; WaveLimiterHint : 1
; COMPUTE_PGM_RSRC2:SCRATCH_EN: 0
; COMPUTE_PGM_RSRC2:USER_SGPR: 2
; COMPUTE_PGM_RSRC2:TRAP_HANDLER: 0
; COMPUTE_PGM_RSRC2:TGID_X_EN: 1
; COMPUTE_PGM_RSRC2:TGID_Y_EN: 0
; COMPUTE_PGM_RSRC2:TGID_Z_EN: 0
; COMPUTE_PGM_RSRC2:TIDIG_COMP_CNT: 0
; COMPUTE_PGM_RSRC3_GFX90A:ACCUM_OFFSET: 3
; COMPUTE_PGM_RSRC3_GFX90A:TG_SPLIT: 0
	.section	.text._ZN7rocprim17ROCPRIM_400000_NS6detail17trampoline_kernelINS0_14default_configENS1_35adjacent_difference_config_selectorILb1ElEEZNS1_24adjacent_difference_implIS3_Lb1ELb0EPlS7_ZN2at6native12_GLOBAL__N_124unique_dim_cuda_templateIhEESt5tupleIJNS8_6TensorESD_SD_EERKSD_lbbbEUlllE1_EE10hipError_tPvRmT2_T3_mT4_P12ihipStream_tbEUlT_E_NS1_11comp_targetILNS1_3genE10ELNS1_11target_archE1201ELNS1_3gpuE5ELNS1_3repE0EEENS1_30default_config_static_selectorELNS0_4arch9wavefront6targetE1EEEvT1_,"axG",@progbits,_ZN7rocprim17ROCPRIM_400000_NS6detail17trampoline_kernelINS0_14default_configENS1_35adjacent_difference_config_selectorILb1ElEEZNS1_24adjacent_difference_implIS3_Lb1ELb0EPlS7_ZN2at6native12_GLOBAL__N_124unique_dim_cuda_templateIhEESt5tupleIJNS8_6TensorESD_SD_EERKSD_lbbbEUlllE1_EE10hipError_tPvRmT2_T3_mT4_P12ihipStream_tbEUlT_E_NS1_11comp_targetILNS1_3genE10ELNS1_11target_archE1201ELNS1_3gpuE5ELNS1_3repE0EEENS1_30default_config_static_selectorELNS0_4arch9wavefront6targetE1EEEvT1_,comdat
	.globl	_ZN7rocprim17ROCPRIM_400000_NS6detail17trampoline_kernelINS0_14default_configENS1_35adjacent_difference_config_selectorILb1ElEEZNS1_24adjacent_difference_implIS3_Lb1ELb0EPlS7_ZN2at6native12_GLOBAL__N_124unique_dim_cuda_templateIhEESt5tupleIJNS8_6TensorESD_SD_EERKSD_lbbbEUlllE1_EE10hipError_tPvRmT2_T3_mT4_P12ihipStream_tbEUlT_E_NS1_11comp_targetILNS1_3genE10ELNS1_11target_archE1201ELNS1_3gpuE5ELNS1_3repE0EEENS1_30default_config_static_selectorELNS0_4arch9wavefront6targetE1EEEvT1_ ; -- Begin function _ZN7rocprim17ROCPRIM_400000_NS6detail17trampoline_kernelINS0_14default_configENS1_35adjacent_difference_config_selectorILb1ElEEZNS1_24adjacent_difference_implIS3_Lb1ELb0EPlS7_ZN2at6native12_GLOBAL__N_124unique_dim_cuda_templateIhEESt5tupleIJNS8_6TensorESD_SD_EERKSD_lbbbEUlllE1_EE10hipError_tPvRmT2_T3_mT4_P12ihipStream_tbEUlT_E_NS1_11comp_targetILNS1_3genE10ELNS1_11target_archE1201ELNS1_3gpuE5ELNS1_3repE0EEENS1_30default_config_static_selectorELNS0_4arch9wavefront6targetE1EEEvT1_
	.p2align	8
	.type	_ZN7rocprim17ROCPRIM_400000_NS6detail17trampoline_kernelINS0_14default_configENS1_35adjacent_difference_config_selectorILb1ElEEZNS1_24adjacent_difference_implIS3_Lb1ELb0EPlS7_ZN2at6native12_GLOBAL__N_124unique_dim_cuda_templateIhEESt5tupleIJNS8_6TensorESD_SD_EERKSD_lbbbEUlllE1_EE10hipError_tPvRmT2_T3_mT4_P12ihipStream_tbEUlT_E_NS1_11comp_targetILNS1_3genE10ELNS1_11target_archE1201ELNS1_3gpuE5ELNS1_3repE0EEENS1_30default_config_static_selectorELNS0_4arch9wavefront6targetE1EEEvT1_,@function
_ZN7rocprim17ROCPRIM_400000_NS6detail17trampoline_kernelINS0_14default_configENS1_35adjacent_difference_config_selectorILb1ElEEZNS1_24adjacent_difference_implIS3_Lb1ELb0EPlS7_ZN2at6native12_GLOBAL__N_124unique_dim_cuda_templateIhEESt5tupleIJNS8_6TensorESD_SD_EERKSD_lbbbEUlllE1_EE10hipError_tPvRmT2_T3_mT4_P12ihipStream_tbEUlT_E_NS1_11comp_targetILNS1_3genE10ELNS1_11target_archE1201ELNS1_3gpuE5ELNS1_3repE0EEENS1_30default_config_static_selectorELNS0_4arch9wavefront6targetE1EEEvT1_: ; @_ZN7rocprim17ROCPRIM_400000_NS6detail17trampoline_kernelINS0_14default_configENS1_35adjacent_difference_config_selectorILb1ElEEZNS1_24adjacent_difference_implIS3_Lb1ELb0EPlS7_ZN2at6native12_GLOBAL__N_124unique_dim_cuda_templateIhEESt5tupleIJNS8_6TensorESD_SD_EERKSD_lbbbEUlllE1_EE10hipError_tPvRmT2_T3_mT4_P12ihipStream_tbEUlT_E_NS1_11comp_targetILNS1_3genE10ELNS1_11target_archE1201ELNS1_3gpuE5ELNS1_3repE0EEENS1_30default_config_static_selectorELNS0_4arch9wavefront6targetE1EEEvT1_
; %bb.0:
	.section	.rodata,"a",@progbits
	.p2align	6, 0x0
	.amdhsa_kernel _ZN7rocprim17ROCPRIM_400000_NS6detail17trampoline_kernelINS0_14default_configENS1_35adjacent_difference_config_selectorILb1ElEEZNS1_24adjacent_difference_implIS3_Lb1ELb0EPlS7_ZN2at6native12_GLOBAL__N_124unique_dim_cuda_templateIhEESt5tupleIJNS8_6TensorESD_SD_EERKSD_lbbbEUlllE1_EE10hipError_tPvRmT2_T3_mT4_P12ihipStream_tbEUlT_E_NS1_11comp_targetILNS1_3genE10ELNS1_11target_archE1201ELNS1_3gpuE5ELNS1_3repE0EEENS1_30default_config_static_selectorELNS0_4arch9wavefront6targetE1EEEvT1_
		.amdhsa_group_segment_fixed_size 0
		.amdhsa_private_segment_fixed_size 0
		.amdhsa_kernarg_size 64
		.amdhsa_user_sgpr_count 2
		.amdhsa_user_sgpr_dispatch_ptr 0
		.amdhsa_user_sgpr_queue_ptr 0
		.amdhsa_user_sgpr_kernarg_segment_ptr 1
		.amdhsa_user_sgpr_dispatch_id 0
		.amdhsa_user_sgpr_kernarg_preload_length 0
		.amdhsa_user_sgpr_kernarg_preload_offset 0
		.amdhsa_user_sgpr_private_segment_size 0
		.amdhsa_uses_dynamic_stack 0
		.amdhsa_enable_private_segment 0
		.amdhsa_system_sgpr_workgroup_id_x 1
		.amdhsa_system_sgpr_workgroup_id_y 0
		.amdhsa_system_sgpr_workgroup_id_z 0
		.amdhsa_system_sgpr_workgroup_info 0
		.amdhsa_system_vgpr_workitem_id 0
		.amdhsa_next_free_vgpr 1
		.amdhsa_next_free_sgpr 0
		.amdhsa_accum_offset 4
		.amdhsa_reserve_vcc 0
		.amdhsa_float_round_mode_32 0
		.amdhsa_float_round_mode_16_64 0
		.amdhsa_float_denorm_mode_32 3
		.amdhsa_float_denorm_mode_16_64 3
		.amdhsa_dx10_clamp 1
		.amdhsa_ieee_mode 1
		.amdhsa_fp16_overflow 0
		.amdhsa_tg_split 0
		.amdhsa_exception_fp_ieee_invalid_op 0
		.amdhsa_exception_fp_denorm_src 0
		.amdhsa_exception_fp_ieee_div_zero 0
		.amdhsa_exception_fp_ieee_overflow 0
		.amdhsa_exception_fp_ieee_underflow 0
		.amdhsa_exception_fp_ieee_inexact 0
		.amdhsa_exception_int_div_zero 0
	.end_amdhsa_kernel
	.section	.text._ZN7rocprim17ROCPRIM_400000_NS6detail17trampoline_kernelINS0_14default_configENS1_35adjacent_difference_config_selectorILb1ElEEZNS1_24adjacent_difference_implIS3_Lb1ELb0EPlS7_ZN2at6native12_GLOBAL__N_124unique_dim_cuda_templateIhEESt5tupleIJNS8_6TensorESD_SD_EERKSD_lbbbEUlllE1_EE10hipError_tPvRmT2_T3_mT4_P12ihipStream_tbEUlT_E_NS1_11comp_targetILNS1_3genE10ELNS1_11target_archE1201ELNS1_3gpuE5ELNS1_3repE0EEENS1_30default_config_static_selectorELNS0_4arch9wavefront6targetE1EEEvT1_,"axG",@progbits,_ZN7rocprim17ROCPRIM_400000_NS6detail17trampoline_kernelINS0_14default_configENS1_35adjacent_difference_config_selectorILb1ElEEZNS1_24adjacent_difference_implIS3_Lb1ELb0EPlS7_ZN2at6native12_GLOBAL__N_124unique_dim_cuda_templateIhEESt5tupleIJNS8_6TensorESD_SD_EERKSD_lbbbEUlllE1_EE10hipError_tPvRmT2_T3_mT4_P12ihipStream_tbEUlT_E_NS1_11comp_targetILNS1_3genE10ELNS1_11target_archE1201ELNS1_3gpuE5ELNS1_3repE0EEENS1_30default_config_static_selectorELNS0_4arch9wavefront6targetE1EEEvT1_,comdat
.Lfunc_end76:
	.size	_ZN7rocprim17ROCPRIM_400000_NS6detail17trampoline_kernelINS0_14default_configENS1_35adjacent_difference_config_selectorILb1ElEEZNS1_24adjacent_difference_implIS3_Lb1ELb0EPlS7_ZN2at6native12_GLOBAL__N_124unique_dim_cuda_templateIhEESt5tupleIJNS8_6TensorESD_SD_EERKSD_lbbbEUlllE1_EE10hipError_tPvRmT2_T3_mT4_P12ihipStream_tbEUlT_E_NS1_11comp_targetILNS1_3genE10ELNS1_11target_archE1201ELNS1_3gpuE5ELNS1_3repE0EEENS1_30default_config_static_selectorELNS0_4arch9wavefront6targetE1EEEvT1_, .Lfunc_end76-_ZN7rocprim17ROCPRIM_400000_NS6detail17trampoline_kernelINS0_14default_configENS1_35adjacent_difference_config_selectorILb1ElEEZNS1_24adjacent_difference_implIS3_Lb1ELb0EPlS7_ZN2at6native12_GLOBAL__N_124unique_dim_cuda_templateIhEESt5tupleIJNS8_6TensorESD_SD_EERKSD_lbbbEUlllE1_EE10hipError_tPvRmT2_T3_mT4_P12ihipStream_tbEUlT_E_NS1_11comp_targetILNS1_3genE10ELNS1_11target_archE1201ELNS1_3gpuE5ELNS1_3repE0EEENS1_30default_config_static_selectorELNS0_4arch9wavefront6targetE1EEEvT1_
                                        ; -- End function
	.set _ZN7rocprim17ROCPRIM_400000_NS6detail17trampoline_kernelINS0_14default_configENS1_35adjacent_difference_config_selectorILb1ElEEZNS1_24adjacent_difference_implIS3_Lb1ELb0EPlS7_ZN2at6native12_GLOBAL__N_124unique_dim_cuda_templateIhEESt5tupleIJNS8_6TensorESD_SD_EERKSD_lbbbEUlllE1_EE10hipError_tPvRmT2_T3_mT4_P12ihipStream_tbEUlT_E_NS1_11comp_targetILNS1_3genE10ELNS1_11target_archE1201ELNS1_3gpuE5ELNS1_3repE0EEENS1_30default_config_static_selectorELNS0_4arch9wavefront6targetE1EEEvT1_.num_vgpr, 0
	.set _ZN7rocprim17ROCPRIM_400000_NS6detail17trampoline_kernelINS0_14default_configENS1_35adjacent_difference_config_selectorILb1ElEEZNS1_24adjacent_difference_implIS3_Lb1ELb0EPlS7_ZN2at6native12_GLOBAL__N_124unique_dim_cuda_templateIhEESt5tupleIJNS8_6TensorESD_SD_EERKSD_lbbbEUlllE1_EE10hipError_tPvRmT2_T3_mT4_P12ihipStream_tbEUlT_E_NS1_11comp_targetILNS1_3genE10ELNS1_11target_archE1201ELNS1_3gpuE5ELNS1_3repE0EEENS1_30default_config_static_selectorELNS0_4arch9wavefront6targetE1EEEvT1_.num_agpr, 0
	.set _ZN7rocprim17ROCPRIM_400000_NS6detail17trampoline_kernelINS0_14default_configENS1_35adjacent_difference_config_selectorILb1ElEEZNS1_24adjacent_difference_implIS3_Lb1ELb0EPlS7_ZN2at6native12_GLOBAL__N_124unique_dim_cuda_templateIhEESt5tupleIJNS8_6TensorESD_SD_EERKSD_lbbbEUlllE1_EE10hipError_tPvRmT2_T3_mT4_P12ihipStream_tbEUlT_E_NS1_11comp_targetILNS1_3genE10ELNS1_11target_archE1201ELNS1_3gpuE5ELNS1_3repE0EEENS1_30default_config_static_selectorELNS0_4arch9wavefront6targetE1EEEvT1_.numbered_sgpr, 0
	.set _ZN7rocprim17ROCPRIM_400000_NS6detail17trampoline_kernelINS0_14default_configENS1_35adjacent_difference_config_selectorILb1ElEEZNS1_24adjacent_difference_implIS3_Lb1ELb0EPlS7_ZN2at6native12_GLOBAL__N_124unique_dim_cuda_templateIhEESt5tupleIJNS8_6TensorESD_SD_EERKSD_lbbbEUlllE1_EE10hipError_tPvRmT2_T3_mT4_P12ihipStream_tbEUlT_E_NS1_11comp_targetILNS1_3genE10ELNS1_11target_archE1201ELNS1_3gpuE5ELNS1_3repE0EEENS1_30default_config_static_selectorELNS0_4arch9wavefront6targetE1EEEvT1_.num_named_barrier, 0
	.set _ZN7rocprim17ROCPRIM_400000_NS6detail17trampoline_kernelINS0_14default_configENS1_35adjacent_difference_config_selectorILb1ElEEZNS1_24adjacent_difference_implIS3_Lb1ELb0EPlS7_ZN2at6native12_GLOBAL__N_124unique_dim_cuda_templateIhEESt5tupleIJNS8_6TensorESD_SD_EERKSD_lbbbEUlllE1_EE10hipError_tPvRmT2_T3_mT4_P12ihipStream_tbEUlT_E_NS1_11comp_targetILNS1_3genE10ELNS1_11target_archE1201ELNS1_3gpuE5ELNS1_3repE0EEENS1_30default_config_static_selectorELNS0_4arch9wavefront6targetE1EEEvT1_.private_seg_size, 0
	.set _ZN7rocprim17ROCPRIM_400000_NS6detail17trampoline_kernelINS0_14default_configENS1_35adjacent_difference_config_selectorILb1ElEEZNS1_24adjacent_difference_implIS3_Lb1ELb0EPlS7_ZN2at6native12_GLOBAL__N_124unique_dim_cuda_templateIhEESt5tupleIJNS8_6TensorESD_SD_EERKSD_lbbbEUlllE1_EE10hipError_tPvRmT2_T3_mT4_P12ihipStream_tbEUlT_E_NS1_11comp_targetILNS1_3genE10ELNS1_11target_archE1201ELNS1_3gpuE5ELNS1_3repE0EEENS1_30default_config_static_selectorELNS0_4arch9wavefront6targetE1EEEvT1_.uses_vcc, 0
	.set _ZN7rocprim17ROCPRIM_400000_NS6detail17trampoline_kernelINS0_14default_configENS1_35adjacent_difference_config_selectorILb1ElEEZNS1_24adjacent_difference_implIS3_Lb1ELb0EPlS7_ZN2at6native12_GLOBAL__N_124unique_dim_cuda_templateIhEESt5tupleIJNS8_6TensorESD_SD_EERKSD_lbbbEUlllE1_EE10hipError_tPvRmT2_T3_mT4_P12ihipStream_tbEUlT_E_NS1_11comp_targetILNS1_3genE10ELNS1_11target_archE1201ELNS1_3gpuE5ELNS1_3repE0EEENS1_30default_config_static_selectorELNS0_4arch9wavefront6targetE1EEEvT1_.uses_flat_scratch, 0
	.set _ZN7rocprim17ROCPRIM_400000_NS6detail17trampoline_kernelINS0_14default_configENS1_35adjacent_difference_config_selectorILb1ElEEZNS1_24adjacent_difference_implIS3_Lb1ELb0EPlS7_ZN2at6native12_GLOBAL__N_124unique_dim_cuda_templateIhEESt5tupleIJNS8_6TensorESD_SD_EERKSD_lbbbEUlllE1_EE10hipError_tPvRmT2_T3_mT4_P12ihipStream_tbEUlT_E_NS1_11comp_targetILNS1_3genE10ELNS1_11target_archE1201ELNS1_3gpuE5ELNS1_3repE0EEENS1_30default_config_static_selectorELNS0_4arch9wavefront6targetE1EEEvT1_.has_dyn_sized_stack, 0
	.set _ZN7rocprim17ROCPRIM_400000_NS6detail17trampoline_kernelINS0_14default_configENS1_35adjacent_difference_config_selectorILb1ElEEZNS1_24adjacent_difference_implIS3_Lb1ELb0EPlS7_ZN2at6native12_GLOBAL__N_124unique_dim_cuda_templateIhEESt5tupleIJNS8_6TensorESD_SD_EERKSD_lbbbEUlllE1_EE10hipError_tPvRmT2_T3_mT4_P12ihipStream_tbEUlT_E_NS1_11comp_targetILNS1_3genE10ELNS1_11target_archE1201ELNS1_3gpuE5ELNS1_3repE0EEENS1_30default_config_static_selectorELNS0_4arch9wavefront6targetE1EEEvT1_.has_recursion, 0
	.set _ZN7rocprim17ROCPRIM_400000_NS6detail17trampoline_kernelINS0_14default_configENS1_35adjacent_difference_config_selectorILb1ElEEZNS1_24adjacent_difference_implIS3_Lb1ELb0EPlS7_ZN2at6native12_GLOBAL__N_124unique_dim_cuda_templateIhEESt5tupleIJNS8_6TensorESD_SD_EERKSD_lbbbEUlllE1_EE10hipError_tPvRmT2_T3_mT4_P12ihipStream_tbEUlT_E_NS1_11comp_targetILNS1_3genE10ELNS1_11target_archE1201ELNS1_3gpuE5ELNS1_3repE0EEENS1_30default_config_static_selectorELNS0_4arch9wavefront6targetE1EEEvT1_.has_indirect_call, 0
	.section	.AMDGPU.csdata,"",@progbits
; Kernel info:
; codeLenInByte = 0
; TotalNumSgprs: 6
; NumVgprs: 0
; NumAgprs: 0
; TotalNumVgprs: 0
; ScratchSize: 0
; MemoryBound: 0
; FloatMode: 240
; IeeeMode: 1
; LDSByteSize: 0 bytes/workgroup (compile time only)
; SGPRBlocks: 0
; VGPRBlocks: 0
; NumSGPRsForWavesPerEU: 6
; NumVGPRsForWavesPerEU: 1
; AccumOffset: 4
; Occupancy: 8
; WaveLimiterHint : 0
; COMPUTE_PGM_RSRC2:SCRATCH_EN: 0
; COMPUTE_PGM_RSRC2:USER_SGPR: 2
; COMPUTE_PGM_RSRC2:TRAP_HANDLER: 0
; COMPUTE_PGM_RSRC2:TGID_X_EN: 1
; COMPUTE_PGM_RSRC2:TGID_Y_EN: 0
; COMPUTE_PGM_RSRC2:TGID_Z_EN: 0
; COMPUTE_PGM_RSRC2:TIDIG_COMP_CNT: 0
; COMPUTE_PGM_RSRC3_GFX90A:ACCUM_OFFSET: 0
; COMPUTE_PGM_RSRC3_GFX90A:TG_SPLIT: 0
	.section	.text._ZN7rocprim17ROCPRIM_400000_NS6detail17trampoline_kernelINS0_14default_configENS1_35adjacent_difference_config_selectorILb1ElEEZNS1_24adjacent_difference_implIS3_Lb1ELb0EPlS7_ZN2at6native12_GLOBAL__N_124unique_dim_cuda_templateIhEESt5tupleIJNS8_6TensorESD_SD_EERKSD_lbbbEUlllE1_EE10hipError_tPvRmT2_T3_mT4_P12ihipStream_tbEUlT_E_NS1_11comp_targetILNS1_3genE5ELNS1_11target_archE942ELNS1_3gpuE9ELNS1_3repE0EEENS1_30default_config_static_selectorELNS0_4arch9wavefront6targetE1EEEvT1_,"axG",@progbits,_ZN7rocprim17ROCPRIM_400000_NS6detail17trampoline_kernelINS0_14default_configENS1_35adjacent_difference_config_selectorILb1ElEEZNS1_24adjacent_difference_implIS3_Lb1ELb0EPlS7_ZN2at6native12_GLOBAL__N_124unique_dim_cuda_templateIhEESt5tupleIJNS8_6TensorESD_SD_EERKSD_lbbbEUlllE1_EE10hipError_tPvRmT2_T3_mT4_P12ihipStream_tbEUlT_E_NS1_11comp_targetILNS1_3genE5ELNS1_11target_archE942ELNS1_3gpuE9ELNS1_3repE0EEENS1_30default_config_static_selectorELNS0_4arch9wavefront6targetE1EEEvT1_,comdat
	.globl	_ZN7rocprim17ROCPRIM_400000_NS6detail17trampoline_kernelINS0_14default_configENS1_35adjacent_difference_config_selectorILb1ElEEZNS1_24adjacent_difference_implIS3_Lb1ELb0EPlS7_ZN2at6native12_GLOBAL__N_124unique_dim_cuda_templateIhEESt5tupleIJNS8_6TensorESD_SD_EERKSD_lbbbEUlllE1_EE10hipError_tPvRmT2_T3_mT4_P12ihipStream_tbEUlT_E_NS1_11comp_targetILNS1_3genE5ELNS1_11target_archE942ELNS1_3gpuE9ELNS1_3repE0EEENS1_30default_config_static_selectorELNS0_4arch9wavefront6targetE1EEEvT1_ ; -- Begin function _ZN7rocprim17ROCPRIM_400000_NS6detail17trampoline_kernelINS0_14default_configENS1_35adjacent_difference_config_selectorILb1ElEEZNS1_24adjacent_difference_implIS3_Lb1ELb0EPlS7_ZN2at6native12_GLOBAL__N_124unique_dim_cuda_templateIhEESt5tupleIJNS8_6TensorESD_SD_EERKSD_lbbbEUlllE1_EE10hipError_tPvRmT2_T3_mT4_P12ihipStream_tbEUlT_E_NS1_11comp_targetILNS1_3genE5ELNS1_11target_archE942ELNS1_3gpuE9ELNS1_3repE0EEENS1_30default_config_static_selectorELNS0_4arch9wavefront6targetE1EEEvT1_
	.p2align	8
	.type	_ZN7rocprim17ROCPRIM_400000_NS6detail17trampoline_kernelINS0_14default_configENS1_35adjacent_difference_config_selectorILb1ElEEZNS1_24adjacent_difference_implIS3_Lb1ELb0EPlS7_ZN2at6native12_GLOBAL__N_124unique_dim_cuda_templateIhEESt5tupleIJNS8_6TensorESD_SD_EERKSD_lbbbEUlllE1_EE10hipError_tPvRmT2_T3_mT4_P12ihipStream_tbEUlT_E_NS1_11comp_targetILNS1_3genE5ELNS1_11target_archE942ELNS1_3gpuE9ELNS1_3repE0EEENS1_30default_config_static_selectorELNS0_4arch9wavefront6targetE1EEEvT1_,@function
_ZN7rocprim17ROCPRIM_400000_NS6detail17trampoline_kernelINS0_14default_configENS1_35adjacent_difference_config_selectorILb1ElEEZNS1_24adjacent_difference_implIS3_Lb1ELb0EPlS7_ZN2at6native12_GLOBAL__N_124unique_dim_cuda_templateIhEESt5tupleIJNS8_6TensorESD_SD_EERKSD_lbbbEUlllE1_EE10hipError_tPvRmT2_T3_mT4_P12ihipStream_tbEUlT_E_NS1_11comp_targetILNS1_3genE5ELNS1_11target_archE942ELNS1_3gpuE9ELNS1_3repE0EEENS1_30default_config_static_selectorELNS0_4arch9wavefront6targetE1EEEvT1_: ; @_ZN7rocprim17ROCPRIM_400000_NS6detail17trampoline_kernelINS0_14default_configENS1_35adjacent_difference_config_selectorILb1ElEEZNS1_24adjacent_difference_implIS3_Lb1ELb0EPlS7_ZN2at6native12_GLOBAL__N_124unique_dim_cuda_templateIhEESt5tupleIJNS8_6TensorESD_SD_EERKSD_lbbbEUlllE1_EE10hipError_tPvRmT2_T3_mT4_P12ihipStream_tbEUlT_E_NS1_11comp_targetILNS1_3genE5ELNS1_11target_archE942ELNS1_3gpuE9ELNS1_3repE0EEENS1_30default_config_static_selectorELNS0_4arch9wavefront6targetE1EEEvT1_
; %bb.0:
	.section	.rodata,"a",@progbits
	.p2align	6, 0x0
	.amdhsa_kernel _ZN7rocprim17ROCPRIM_400000_NS6detail17trampoline_kernelINS0_14default_configENS1_35adjacent_difference_config_selectorILb1ElEEZNS1_24adjacent_difference_implIS3_Lb1ELb0EPlS7_ZN2at6native12_GLOBAL__N_124unique_dim_cuda_templateIhEESt5tupleIJNS8_6TensorESD_SD_EERKSD_lbbbEUlllE1_EE10hipError_tPvRmT2_T3_mT4_P12ihipStream_tbEUlT_E_NS1_11comp_targetILNS1_3genE5ELNS1_11target_archE942ELNS1_3gpuE9ELNS1_3repE0EEENS1_30default_config_static_selectorELNS0_4arch9wavefront6targetE1EEEvT1_
		.amdhsa_group_segment_fixed_size 0
		.amdhsa_private_segment_fixed_size 0
		.amdhsa_kernarg_size 64
		.amdhsa_user_sgpr_count 2
		.amdhsa_user_sgpr_dispatch_ptr 0
		.amdhsa_user_sgpr_queue_ptr 0
		.amdhsa_user_sgpr_kernarg_segment_ptr 1
		.amdhsa_user_sgpr_dispatch_id 0
		.amdhsa_user_sgpr_kernarg_preload_length 0
		.amdhsa_user_sgpr_kernarg_preload_offset 0
		.amdhsa_user_sgpr_private_segment_size 0
		.amdhsa_uses_dynamic_stack 0
		.amdhsa_enable_private_segment 0
		.amdhsa_system_sgpr_workgroup_id_x 1
		.amdhsa_system_sgpr_workgroup_id_y 0
		.amdhsa_system_sgpr_workgroup_id_z 0
		.amdhsa_system_sgpr_workgroup_info 0
		.amdhsa_system_vgpr_workitem_id 0
		.amdhsa_next_free_vgpr 1
		.amdhsa_next_free_sgpr 0
		.amdhsa_accum_offset 4
		.amdhsa_reserve_vcc 0
		.amdhsa_float_round_mode_32 0
		.amdhsa_float_round_mode_16_64 0
		.amdhsa_float_denorm_mode_32 3
		.amdhsa_float_denorm_mode_16_64 3
		.amdhsa_dx10_clamp 1
		.amdhsa_ieee_mode 1
		.amdhsa_fp16_overflow 0
		.amdhsa_tg_split 0
		.amdhsa_exception_fp_ieee_invalid_op 0
		.amdhsa_exception_fp_denorm_src 0
		.amdhsa_exception_fp_ieee_div_zero 0
		.amdhsa_exception_fp_ieee_overflow 0
		.amdhsa_exception_fp_ieee_underflow 0
		.amdhsa_exception_fp_ieee_inexact 0
		.amdhsa_exception_int_div_zero 0
	.end_amdhsa_kernel
	.section	.text._ZN7rocprim17ROCPRIM_400000_NS6detail17trampoline_kernelINS0_14default_configENS1_35adjacent_difference_config_selectorILb1ElEEZNS1_24adjacent_difference_implIS3_Lb1ELb0EPlS7_ZN2at6native12_GLOBAL__N_124unique_dim_cuda_templateIhEESt5tupleIJNS8_6TensorESD_SD_EERKSD_lbbbEUlllE1_EE10hipError_tPvRmT2_T3_mT4_P12ihipStream_tbEUlT_E_NS1_11comp_targetILNS1_3genE5ELNS1_11target_archE942ELNS1_3gpuE9ELNS1_3repE0EEENS1_30default_config_static_selectorELNS0_4arch9wavefront6targetE1EEEvT1_,"axG",@progbits,_ZN7rocprim17ROCPRIM_400000_NS6detail17trampoline_kernelINS0_14default_configENS1_35adjacent_difference_config_selectorILb1ElEEZNS1_24adjacent_difference_implIS3_Lb1ELb0EPlS7_ZN2at6native12_GLOBAL__N_124unique_dim_cuda_templateIhEESt5tupleIJNS8_6TensorESD_SD_EERKSD_lbbbEUlllE1_EE10hipError_tPvRmT2_T3_mT4_P12ihipStream_tbEUlT_E_NS1_11comp_targetILNS1_3genE5ELNS1_11target_archE942ELNS1_3gpuE9ELNS1_3repE0EEENS1_30default_config_static_selectorELNS0_4arch9wavefront6targetE1EEEvT1_,comdat
.Lfunc_end77:
	.size	_ZN7rocprim17ROCPRIM_400000_NS6detail17trampoline_kernelINS0_14default_configENS1_35adjacent_difference_config_selectorILb1ElEEZNS1_24adjacent_difference_implIS3_Lb1ELb0EPlS7_ZN2at6native12_GLOBAL__N_124unique_dim_cuda_templateIhEESt5tupleIJNS8_6TensorESD_SD_EERKSD_lbbbEUlllE1_EE10hipError_tPvRmT2_T3_mT4_P12ihipStream_tbEUlT_E_NS1_11comp_targetILNS1_3genE5ELNS1_11target_archE942ELNS1_3gpuE9ELNS1_3repE0EEENS1_30default_config_static_selectorELNS0_4arch9wavefront6targetE1EEEvT1_, .Lfunc_end77-_ZN7rocprim17ROCPRIM_400000_NS6detail17trampoline_kernelINS0_14default_configENS1_35adjacent_difference_config_selectorILb1ElEEZNS1_24adjacent_difference_implIS3_Lb1ELb0EPlS7_ZN2at6native12_GLOBAL__N_124unique_dim_cuda_templateIhEESt5tupleIJNS8_6TensorESD_SD_EERKSD_lbbbEUlllE1_EE10hipError_tPvRmT2_T3_mT4_P12ihipStream_tbEUlT_E_NS1_11comp_targetILNS1_3genE5ELNS1_11target_archE942ELNS1_3gpuE9ELNS1_3repE0EEENS1_30default_config_static_selectorELNS0_4arch9wavefront6targetE1EEEvT1_
                                        ; -- End function
	.set _ZN7rocprim17ROCPRIM_400000_NS6detail17trampoline_kernelINS0_14default_configENS1_35adjacent_difference_config_selectorILb1ElEEZNS1_24adjacent_difference_implIS3_Lb1ELb0EPlS7_ZN2at6native12_GLOBAL__N_124unique_dim_cuda_templateIhEESt5tupleIJNS8_6TensorESD_SD_EERKSD_lbbbEUlllE1_EE10hipError_tPvRmT2_T3_mT4_P12ihipStream_tbEUlT_E_NS1_11comp_targetILNS1_3genE5ELNS1_11target_archE942ELNS1_3gpuE9ELNS1_3repE0EEENS1_30default_config_static_selectorELNS0_4arch9wavefront6targetE1EEEvT1_.num_vgpr, 0
	.set _ZN7rocprim17ROCPRIM_400000_NS6detail17trampoline_kernelINS0_14default_configENS1_35adjacent_difference_config_selectorILb1ElEEZNS1_24adjacent_difference_implIS3_Lb1ELb0EPlS7_ZN2at6native12_GLOBAL__N_124unique_dim_cuda_templateIhEESt5tupleIJNS8_6TensorESD_SD_EERKSD_lbbbEUlllE1_EE10hipError_tPvRmT2_T3_mT4_P12ihipStream_tbEUlT_E_NS1_11comp_targetILNS1_3genE5ELNS1_11target_archE942ELNS1_3gpuE9ELNS1_3repE0EEENS1_30default_config_static_selectorELNS0_4arch9wavefront6targetE1EEEvT1_.num_agpr, 0
	.set _ZN7rocprim17ROCPRIM_400000_NS6detail17trampoline_kernelINS0_14default_configENS1_35adjacent_difference_config_selectorILb1ElEEZNS1_24adjacent_difference_implIS3_Lb1ELb0EPlS7_ZN2at6native12_GLOBAL__N_124unique_dim_cuda_templateIhEESt5tupleIJNS8_6TensorESD_SD_EERKSD_lbbbEUlllE1_EE10hipError_tPvRmT2_T3_mT4_P12ihipStream_tbEUlT_E_NS1_11comp_targetILNS1_3genE5ELNS1_11target_archE942ELNS1_3gpuE9ELNS1_3repE0EEENS1_30default_config_static_selectorELNS0_4arch9wavefront6targetE1EEEvT1_.numbered_sgpr, 0
	.set _ZN7rocprim17ROCPRIM_400000_NS6detail17trampoline_kernelINS0_14default_configENS1_35adjacent_difference_config_selectorILb1ElEEZNS1_24adjacent_difference_implIS3_Lb1ELb0EPlS7_ZN2at6native12_GLOBAL__N_124unique_dim_cuda_templateIhEESt5tupleIJNS8_6TensorESD_SD_EERKSD_lbbbEUlllE1_EE10hipError_tPvRmT2_T3_mT4_P12ihipStream_tbEUlT_E_NS1_11comp_targetILNS1_3genE5ELNS1_11target_archE942ELNS1_3gpuE9ELNS1_3repE0EEENS1_30default_config_static_selectorELNS0_4arch9wavefront6targetE1EEEvT1_.num_named_barrier, 0
	.set _ZN7rocprim17ROCPRIM_400000_NS6detail17trampoline_kernelINS0_14default_configENS1_35adjacent_difference_config_selectorILb1ElEEZNS1_24adjacent_difference_implIS3_Lb1ELb0EPlS7_ZN2at6native12_GLOBAL__N_124unique_dim_cuda_templateIhEESt5tupleIJNS8_6TensorESD_SD_EERKSD_lbbbEUlllE1_EE10hipError_tPvRmT2_T3_mT4_P12ihipStream_tbEUlT_E_NS1_11comp_targetILNS1_3genE5ELNS1_11target_archE942ELNS1_3gpuE9ELNS1_3repE0EEENS1_30default_config_static_selectorELNS0_4arch9wavefront6targetE1EEEvT1_.private_seg_size, 0
	.set _ZN7rocprim17ROCPRIM_400000_NS6detail17trampoline_kernelINS0_14default_configENS1_35adjacent_difference_config_selectorILb1ElEEZNS1_24adjacent_difference_implIS3_Lb1ELb0EPlS7_ZN2at6native12_GLOBAL__N_124unique_dim_cuda_templateIhEESt5tupleIJNS8_6TensorESD_SD_EERKSD_lbbbEUlllE1_EE10hipError_tPvRmT2_T3_mT4_P12ihipStream_tbEUlT_E_NS1_11comp_targetILNS1_3genE5ELNS1_11target_archE942ELNS1_3gpuE9ELNS1_3repE0EEENS1_30default_config_static_selectorELNS0_4arch9wavefront6targetE1EEEvT1_.uses_vcc, 0
	.set _ZN7rocprim17ROCPRIM_400000_NS6detail17trampoline_kernelINS0_14default_configENS1_35adjacent_difference_config_selectorILb1ElEEZNS1_24adjacent_difference_implIS3_Lb1ELb0EPlS7_ZN2at6native12_GLOBAL__N_124unique_dim_cuda_templateIhEESt5tupleIJNS8_6TensorESD_SD_EERKSD_lbbbEUlllE1_EE10hipError_tPvRmT2_T3_mT4_P12ihipStream_tbEUlT_E_NS1_11comp_targetILNS1_3genE5ELNS1_11target_archE942ELNS1_3gpuE9ELNS1_3repE0EEENS1_30default_config_static_selectorELNS0_4arch9wavefront6targetE1EEEvT1_.uses_flat_scratch, 0
	.set _ZN7rocprim17ROCPRIM_400000_NS6detail17trampoline_kernelINS0_14default_configENS1_35adjacent_difference_config_selectorILb1ElEEZNS1_24adjacent_difference_implIS3_Lb1ELb0EPlS7_ZN2at6native12_GLOBAL__N_124unique_dim_cuda_templateIhEESt5tupleIJNS8_6TensorESD_SD_EERKSD_lbbbEUlllE1_EE10hipError_tPvRmT2_T3_mT4_P12ihipStream_tbEUlT_E_NS1_11comp_targetILNS1_3genE5ELNS1_11target_archE942ELNS1_3gpuE9ELNS1_3repE0EEENS1_30default_config_static_selectorELNS0_4arch9wavefront6targetE1EEEvT1_.has_dyn_sized_stack, 0
	.set _ZN7rocprim17ROCPRIM_400000_NS6detail17trampoline_kernelINS0_14default_configENS1_35adjacent_difference_config_selectorILb1ElEEZNS1_24adjacent_difference_implIS3_Lb1ELb0EPlS7_ZN2at6native12_GLOBAL__N_124unique_dim_cuda_templateIhEESt5tupleIJNS8_6TensorESD_SD_EERKSD_lbbbEUlllE1_EE10hipError_tPvRmT2_T3_mT4_P12ihipStream_tbEUlT_E_NS1_11comp_targetILNS1_3genE5ELNS1_11target_archE942ELNS1_3gpuE9ELNS1_3repE0EEENS1_30default_config_static_selectorELNS0_4arch9wavefront6targetE1EEEvT1_.has_recursion, 0
	.set _ZN7rocprim17ROCPRIM_400000_NS6detail17trampoline_kernelINS0_14default_configENS1_35adjacent_difference_config_selectorILb1ElEEZNS1_24adjacent_difference_implIS3_Lb1ELb0EPlS7_ZN2at6native12_GLOBAL__N_124unique_dim_cuda_templateIhEESt5tupleIJNS8_6TensorESD_SD_EERKSD_lbbbEUlllE1_EE10hipError_tPvRmT2_T3_mT4_P12ihipStream_tbEUlT_E_NS1_11comp_targetILNS1_3genE5ELNS1_11target_archE942ELNS1_3gpuE9ELNS1_3repE0EEENS1_30default_config_static_selectorELNS0_4arch9wavefront6targetE1EEEvT1_.has_indirect_call, 0
	.section	.AMDGPU.csdata,"",@progbits
; Kernel info:
; codeLenInByte = 0
; TotalNumSgprs: 6
; NumVgprs: 0
; NumAgprs: 0
; TotalNumVgprs: 0
; ScratchSize: 0
; MemoryBound: 0
; FloatMode: 240
; IeeeMode: 1
; LDSByteSize: 0 bytes/workgroup (compile time only)
; SGPRBlocks: 0
; VGPRBlocks: 0
; NumSGPRsForWavesPerEU: 6
; NumVGPRsForWavesPerEU: 1
; AccumOffset: 4
; Occupancy: 8
; WaveLimiterHint : 0
; COMPUTE_PGM_RSRC2:SCRATCH_EN: 0
; COMPUTE_PGM_RSRC2:USER_SGPR: 2
; COMPUTE_PGM_RSRC2:TRAP_HANDLER: 0
; COMPUTE_PGM_RSRC2:TGID_X_EN: 1
; COMPUTE_PGM_RSRC2:TGID_Y_EN: 0
; COMPUTE_PGM_RSRC2:TGID_Z_EN: 0
; COMPUTE_PGM_RSRC2:TIDIG_COMP_CNT: 0
; COMPUTE_PGM_RSRC3_GFX90A:ACCUM_OFFSET: 0
; COMPUTE_PGM_RSRC3_GFX90A:TG_SPLIT: 0
	.section	.text._ZN7rocprim17ROCPRIM_400000_NS6detail17trampoline_kernelINS0_14default_configENS1_35adjacent_difference_config_selectorILb1ElEEZNS1_24adjacent_difference_implIS3_Lb1ELb0EPlS7_ZN2at6native12_GLOBAL__N_124unique_dim_cuda_templateIhEESt5tupleIJNS8_6TensorESD_SD_EERKSD_lbbbEUlllE1_EE10hipError_tPvRmT2_T3_mT4_P12ihipStream_tbEUlT_E_NS1_11comp_targetILNS1_3genE4ELNS1_11target_archE910ELNS1_3gpuE8ELNS1_3repE0EEENS1_30default_config_static_selectorELNS0_4arch9wavefront6targetE1EEEvT1_,"axG",@progbits,_ZN7rocprim17ROCPRIM_400000_NS6detail17trampoline_kernelINS0_14default_configENS1_35adjacent_difference_config_selectorILb1ElEEZNS1_24adjacent_difference_implIS3_Lb1ELb0EPlS7_ZN2at6native12_GLOBAL__N_124unique_dim_cuda_templateIhEESt5tupleIJNS8_6TensorESD_SD_EERKSD_lbbbEUlllE1_EE10hipError_tPvRmT2_T3_mT4_P12ihipStream_tbEUlT_E_NS1_11comp_targetILNS1_3genE4ELNS1_11target_archE910ELNS1_3gpuE8ELNS1_3repE0EEENS1_30default_config_static_selectorELNS0_4arch9wavefront6targetE1EEEvT1_,comdat
	.globl	_ZN7rocprim17ROCPRIM_400000_NS6detail17trampoline_kernelINS0_14default_configENS1_35adjacent_difference_config_selectorILb1ElEEZNS1_24adjacent_difference_implIS3_Lb1ELb0EPlS7_ZN2at6native12_GLOBAL__N_124unique_dim_cuda_templateIhEESt5tupleIJNS8_6TensorESD_SD_EERKSD_lbbbEUlllE1_EE10hipError_tPvRmT2_T3_mT4_P12ihipStream_tbEUlT_E_NS1_11comp_targetILNS1_3genE4ELNS1_11target_archE910ELNS1_3gpuE8ELNS1_3repE0EEENS1_30default_config_static_selectorELNS0_4arch9wavefront6targetE1EEEvT1_ ; -- Begin function _ZN7rocprim17ROCPRIM_400000_NS6detail17trampoline_kernelINS0_14default_configENS1_35adjacent_difference_config_selectorILb1ElEEZNS1_24adjacent_difference_implIS3_Lb1ELb0EPlS7_ZN2at6native12_GLOBAL__N_124unique_dim_cuda_templateIhEESt5tupleIJNS8_6TensorESD_SD_EERKSD_lbbbEUlllE1_EE10hipError_tPvRmT2_T3_mT4_P12ihipStream_tbEUlT_E_NS1_11comp_targetILNS1_3genE4ELNS1_11target_archE910ELNS1_3gpuE8ELNS1_3repE0EEENS1_30default_config_static_selectorELNS0_4arch9wavefront6targetE1EEEvT1_
	.p2align	8
	.type	_ZN7rocprim17ROCPRIM_400000_NS6detail17trampoline_kernelINS0_14default_configENS1_35adjacent_difference_config_selectorILb1ElEEZNS1_24adjacent_difference_implIS3_Lb1ELb0EPlS7_ZN2at6native12_GLOBAL__N_124unique_dim_cuda_templateIhEESt5tupleIJNS8_6TensorESD_SD_EERKSD_lbbbEUlllE1_EE10hipError_tPvRmT2_T3_mT4_P12ihipStream_tbEUlT_E_NS1_11comp_targetILNS1_3genE4ELNS1_11target_archE910ELNS1_3gpuE8ELNS1_3repE0EEENS1_30default_config_static_selectorELNS0_4arch9wavefront6targetE1EEEvT1_,@function
_ZN7rocprim17ROCPRIM_400000_NS6detail17trampoline_kernelINS0_14default_configENS1_35adjacent_difference_config_selectorILb1ElEEZNS1_24adjacent_difference_implIS3_Lb1ELb0EPlS7_ZN2at6native12_GLOBAL__N_124unique_dim_cuda_templateIhEESt5tupleIJNS8_6TensorESD_SD_EERKSD_lbbbEUlllE1_EE10hipError_tPvRmT2_T3_mT4_P12ihipStream_tbEUlT_E_NS1_11comp_targetILNS1_3genE4ELNS1_11target_archE910ELNS1_3gpuE8ELNS1_3repE0EEENS1_30default_config_static_selectorELNS0_4arch9wavefront6targetE1EEEvT1_: ; @_ZN7rocprim17ROCPRIM_400000_NS6detail17trampoline_kernelINS0_14default_configENS1_35adjacent_difference_config_selectorILb1ElEEZNS1_24adjacent_difference_implIS3_Lb1ELb0EPlS7_ZN2at6native12_GLOBAL__N_124unique_dim_cuda_templateIhEESt5tupleIJNS8_6TensorESD_SD_EERKSD_lbbbEUlllE1_EE10hipError_tPvRmT2_T3_mT4_P12ihipStream_tbEUlT_E_NS1_11comp_targetILNS1_3genE4ELNS1_11target_archE910ELNS1_3gpuE8ELNS1_3repE0EEENS1_30default_config_static_selectorELNS0_4arch9wavefront6targetE1EEEvT1_
; %bb.0:
	.section	.rodata,"a",@progbits
	.p2align	6, 0x0
	.amdhsa_kernel _ZN7rocprim17ROCPRIM_400000_NS6detail17trampoline_kernelINS0_14default_configENS1_35adjacent_difference_config_selectorILb1ElEEZNS1_24adjacent_difference_implIS3_Lb1ELb0EPlS7_ZN2at6native12_GLOBAL__N_124unique_dim_cuda_templateIhEESt5tupleIJNS8_6TensorESD_SD_EERKSD_lbbbEUlllE1_EE10hipError_tPvRmT2_T3_mT4_P12ihipStream_tbEUlT_E_NS1_11comp_targetILNS1_3genE4ELNS1_11target_archE910ELNS1_3gpuE8ELNS1_3repE0EEENS1_30default_config_static_selectorELNS0_4arch9wavefront6targetE1EEEvT1_
		.amdhsa_group_segment_fixed_size 0
		.amdhsa_private_segment_fixed_size 0
		.amdhsa_kernarg_size 64
		.amdhsa_user_sgpr_count 2
		.amdhsa_user_sgpr_dispatch_ptr 0
		.amdhsa_user_sgpr_queue_ptr 0
		.amdhsa_user_sgpr_kernarg_segment_ptr 1
		.amdhsa_user_sgpr_dispatch_id 0
		.amdhsa_user_sgpr_kernarg_preload_length 0
		.amdhsa_user_sgpr_kernarg_preload_offset 0
		.amdhsa_user_sgpr_private_segment_size 0
		.amdhsa_uses_dynamic_stack 0
		.amdhsa_enable_private_segment 0
		.amdhsa_system_sgpr_workgroup_id_x 1
		.amdhsa_system_sgpr_workgroup_id_y 0
		.amdhsa_system_sgpr_workgroup_id_z 0
		.amdhsa_system_sgpr_workgroup_info 0
		.amdhsa_system_vgpr_workitem_id 0
		.amdhsa_next_free_vgpr 1
		.amdhsa_next_free_sgpr 0
		.amdhsa_accum_offset 4
		.amdhsa_reserve_vcc 0
		.amdhsa_float_round_mode_32 0
		.amdhsa_float_round_mode_16_64 0
		.amdhsa_float_denorm_mode_32 3
		.amdhsa_float_denorm_mode_16_64 3
		.amdhsa_dx10_clamp 1
		.amdhsa_ieee_mode 1
		.amdhsa_fp16_overflow 0
		.amdhsa_tg_split 0
		.amdhsa_exception_fp_ieee_invalid_op 0
		.amdhsa_exception_fp_denorm_src 0
		.amdhsa_exception_fp_ieee_div_zero 0
		.amdhsa_exception_fp_ieee_overflow 0
		.amdhsa_exception_fp_ieee_underflow 0
		.amdhsa_exception_fp_ieee_inexact 0
		.amdhsa_exception_int_div_zero 0
	.end_amdhsa_kernel
	.section	.text._ZN7rocprim17ROCPRIM_400000_NS6detail17trampoline_kernelINS0_14default_configENS1_35adjacent_difference_config_selectorILb1ElEEZNS1_24adjacent_difference_implIS3_Lb1ELb0EPlS7_ZN2at6native12_GLOBAL__N_124unique_dim_cuda_templateIhEESt5tupleIJNS8_6TensorESD_SD_EERKSD_lbbbEUlllE1_EE10hipError_tPvRmT2_T3_mT4_P12ihipStream_tbEUlT_E_NS1_11comp_targetILNS1_3genE4ELNS1_11target_archE910ELNS1_3gpuE8ELNS1_3repE0EEENS1_30default_config_static_selectorELNS0_4arch9wavefront6targetE1EEEvT1_,"axG",@progbits,_ZN7rocprim17ROCPRIM_400000_NS6detail17trampoline_kernelINS0_14default_configENS1_35adjacent_difference_config_selectorILb1ElEEZNS1_24adjacent_difference_implIS3_Lb1ELb0EPlS7_ZN2at6native12_GLOBAL__N_124unique_dim_cuda_templateIhEESt5tupleIJNS8_6TensorESD_SD_EERKSD_lbbbEUlllE1_EE10hipError_tPvRmT2_T3_mT4_P12ihipStream_tbEUlT_E_NS1_11comp_targetILNS1_3genE4ELNS1_11target_archE910ELNS1_3gpuE8ELNS1_3repE0EEENS1_30default_config_static_selectorELNS0_4arch9wavefront6targetE1EEEvT1_,comdat
.Lfunc_end78:
	.size	_ZN7rocprim17ROCPRIM_400000_NS6detail17trampoline_kernelINS0_14default_configENS1_35adjacent_difference_config_selectorILb1ElEEZNS1_24adjacent_difference_implIS3_Lb1ELb0EPlS7_ZN2at6native12_GLOBAL__N_124unique_dim_cuda_templateIhEESt5tupleIJNS8_6TensorESD_SD_EERKSD_lbbbEUlllE1_EE10hipError_tPvRmT2_T3_mT4_P12ihipStream_tbEUlT_E_NS1_11comp_targetILNS1_3genE4ELNS1_11target_archE910ELNS1_3gpuE8ELNS1_3repE0EEENS1_30default_config_static_selectorELNS0_4arch9wavefront6targetE1EEEvT1_, .Lfunc_end78-_ZN7rocprim17ROCPRIM_400000_NS6detail17trampoline_kernelINS0_14default_configENS1_35adjacent_difference_config_selectorILb1ElEEZNS1_24adjacent_difference_implIS3_Lb1ELb0EPlS7_ZN2at6native12_GLOBAL__N_124unique_dim_cuda_templateIhEESt5tupleIJNS8_6TensorESD_SD_EERKSD_lbbbEUlllE1_EE10hipError_tPvRmT2_T3_mT4_P12ihipStream_tbEUlT_E_NS1_11comp_targetILNS1_3genE4ELNS1_11target_archE910ELNS1_3gpuE8ELNS1_3repE0EEENS1_30default_config_static_selectorELNS0_4arch9wavefront6targetE1EEEvT1_
                                        ; -- End function
	.set _ZN7rocprim17ROCPRIM_400000_NS6detail17trampoline_kernelINS0_14default_configENS1_35adjacent_difference_config_selectorILb1ElEEZNS1_24adjacent_difference_implIS3_Lb1ELb0EPlS7_ZN2at6native12_GLOBAL__N_124unique_dim_cuda_templateIhEESt5tupleIJNS8_6TensorESD_SD_EERKSD_lbbbEUlllE1_EE10hipError_tPvRmT2_T3_mT4_P12ihipStream_tbEUlT_E_NS1_11comp_targetILNS1_3genE4ELNS1_11target_archE910ELNS1_3gpuE8ELNS1_3repE0EEENS1_30default_config_static_selectorELNS0_4arch9wavefront6targetE1EEEvT1_.num_vgpr, 0
	.set _ZN7rocprim17ROCPRIM_400000_NS6detail17trampoline_kernelINS0_14default_configENS1_35adjacent_difference_config_selectorILb1ElEEZNS1_24adjacent_difference_implIS3_Lb1ELb0EPlS7_ZN2at6native12_GLOBAL__N_124unique_dim_cuda_templateIhEESt5tupleIJNS8_6TensorESD_SD_EERKSD_lbbbEUlllE1_EE10hipError_tPvRmT2_T3_mT4_P12ihipStream_tbEUlT_E_NS1_11comp_targetILNS1_3genE4ELNS1_11target_archE910ELNS1_3gpuE8ELNS1_3repE0EEENS1_30default_config_static_selectorELNS0_4arch9wavefront6targetE1EEEvT1_.num_agpr, 0
	.set _ZN7rocprim17ROCPRIM_400000_NS6detail17trampoline_kernelINS0_14default_configENS1_35adjacent_difference_config_selectorILb1ElEEZNS1_24adjacent_difference_implIS3_Lb1ELb0EPlS7_ZN2at6native12_GLOBAL__N_124unique_dim_cuda_templateIhEESt5tupleIJNS8_6TensorESD_SD_EERKSD_lbbbEUlllE1_EE10hipError_tPvRmT2_T3_mT4_P12ihipStream_tbEUlT_E_NS1_11comp_targetILNS1_3genE4ELNS1_11target_archE910ELNS1_3gpuE8ELNS1_3repE0EEENS1_30default_config_static_selectorELNS0_4arch9wavefront6targetE1EEEvT1_.numbered_sgpr, 0
	.set _ZN7rocprim17ROCPRIM_400000_NS6detail17trampoline_kernelINS0_14default_configENS1_35adjacent_difference_config_selectorILb1ElEEZNS1_24adjacent_difference_implIS3_Lb1ELb0EPlS7_ZN2at6native12_GLOBAL__N_124unique_dim_cuda_templateIhEESt5tupleIJNS8_6TensorESD_SD_EERKSD_lbbbEUlllE1_EE10hipError_tPvRmT2_T3_mT4_P12ihipStream_tbEUlT_E_NS1_11comp_targetILNS1_3genE4ELNS1_11target_archE910ELNS1_3gpuE8ELNS1_3repE0EEENS1_30default_config_static_selectorELNS0_4arch9wavefront6targetE1EEEvT1_.num_named_barrier, 0
	.set _ZN7rocprim17ROCPRIM_400000_NS6detail17trampoline_kernelINS0_14default_configENS1_35adjacent_difference_config_selectorILb1ElEEZNS1_24adjacent_difference_implIS3_Lb1ELb0EPlS7_ZN2at6native12_GLOBAL__N_124unique_dim_cuda_templateIhEESt5tupleIJNS8_6TensorESD_SD_EERKSD_lbbbEUlllE1_EE10hipError_tPvRmT2_T3_mT4_P12ihipStream_tbEUlT_E_NS1_11comp_targetILNS1_3genE4ELNS1_11target_archE910ELNS1_3gpuE8ELNS1_3repE0EEENS1_30default_config_static_selectorELNS0_4arch9wavefront6targetE1EEEvT1_.private_seg_size, 0
	.set _ZN7rocprim17ROCPRIM_400000_NS6detail17trampoline_kernelINS0_14default_configENS1_35adjacent_difference_config_selectorILb1ElEEZNS1_24adjacent_difference_implIS3_Lb1ELb0EPlS7_ZN2at6native12_GLOBAL__N_124unique_dim_cuda_templateIhEESt5tupleIJNS8_6TensorESD_SD_EERKSD_lbbbEUlllE1_EE10hipError_tPvRmT2_T3_mT4_P12ihipStream_tbEUlT_E_NS1_11comp_targetILNS1_3genE4ELNS1_11target_archE910ELNS1_3gpuE8ELNS1_3repE0EEENS1_30default_config_static_selectorELNS0_4arch9wavefront6targetE1EEEvT1_.uses_vcc, 0
	.set _ZN7rocprim17ROCPRIM_400000_NS6detail17trampoline_kernelINS0_14default_configENS1_35adjacent_difference_config_selectorILb1ElEEZNS1_24adjacent_difference_implIS3_Lb1ELb0EPlS7_ZN2at6native12_GLOBAL__N_124unique_dim_cuda_templateIhEESt5tupleIJNS8_6TensorESD_SD_EERKSD_lbbbEUlllE1_EE10hipError_tPvRmT2_T3_mT4_P12ihipStream_tbEUlT_E_NS1_11comp_targetILNS1_3genE4ELNS1_11target_archE910ELNS1_3gpuE8ELNS1_3repE0EEENS1_30default_config_static_selectorELNS0_4arch9wavefront6targetE1EEEvT1_.uses_flat_scratch, 0
	.set _ZN7rocprim17ROCPRIM_400000_NS6detail17trampoline_kernelINS0_14default_configENS1_35adjacent_difference_config_selectorILb1ElEEZNS1_24adjacent_difference_implIS3_Lb1ELb0EPlS7_ZN2at6native12_GLOBAL__N_124unique_dim_cuda_templateIhEESt5tupleIJNS8_6TensorESD_SD_EERKSD_lbbbEUlllE1_EE10hipError_tPvRmT2_T3_mT4_P12ihipStream_tbEUlT_E_NS1_11comp_targetILNS1_3genE4ELNS1_11target_archE910ELNS1_3gpuE8ELNS1_3repE0EEENS1_30default_config_static_selectorELNS0_4arch9wavefront6targetE1EEEvT1_.has_dyn_sized_stack, 0
	.set _ZN7rocprim17ROCPRIM_400000_NS6detail17trampoline_kernelINS0_14default_configENS1_35adjacent_difference_config_selectorILb1ElEEZNS1_24adjacent_difference_implIS3_Lb1ELb0EPlS7_ZN2at6native12_GLOBAL__N_124unique_dim_cuda_templateIhEESt5tupleIJNS8_6TensorESD_SD_EERKSD_lbbbEUlllE1_EE10hipError_tPvRmT2_T3_mT4_P12ihipStream_tbEUlT_E_NS1_11comp_targetILNS1_3genE4ELNS1_11target_archE910ELNS1_3gpuE8ELNS1_3repE0EEENS1_30default_config_static_selectorELNS0_4arch9wavefront6targetE1EEEvT1_.has_recursion, 0
	.set _ZN7rocprim17ROCPRIM_400000_NS6detail17trampoline_kernelINS0_14default_configENS1_35adjacent_difference_config_selectorILb1ElEEZNS1_24adjacent_difference_implIS3_Lb1ELb0EPlS7_ZN2at6native12_GLOBAL__N_124unique_dim_cuda_templateIhEESt5tupleIJNS8_6TensorESD_SD_EERKSD_lbbbEUlllE1_EE10hipError_tPvRmT2_T3_mT4_P12ihipStream_tbEUlT_E_NS1_11comp_targetILNS1_3genE4ELNS1_11target_archE910ELNS1_3gpuE8ELNS1_3repE0EEENS1_30default_config_static_selectorELNS0_4arch9wavefront6targetE1EEEvT1_.has_indirect_call, 0
	.section	.AMDGPU.csdata,"",@progbits
; Kernel info:
; codeLenInByte = 0
; TotalNumSgprs: 6
; NumVgprs: 0
; NumAgprs: 0
; TotalNumVgprs: 0
; ScratchSize: 0
; MemoryBound: 0
; FloatMode: 240
; IeeeMode: 1
; LDSByteSize: 0 bytes/workgroup (compile time only)
; SGPRBlocks: 0
; VGPRBlocks: 0
; NumSGPRsForWavesPerEU: 6
; NumVGPRsForWavesPerEU: 1
; AccumOffset: 4
; Occupancy: 8
; WaveLimiterHint : 0
; COMPUTE_PGM_RSRC2:SCRATCH_EN: 0
; COMPUTE_PGM_RSRC2:USER_SGPR: 2
; COMPUTE_PGM_RSRC2:TRAP_HANDLER: 0
; COMPUTE_PGM_RSRC2:TGID_X_EN: 1
; COMPUTE_PGM_RSRC2:TGID_Y_EN: 0
; COMPUTE_PGM_RSRC2:TGID_Z_EN: 0
; COMPUTE_PGM_RSRC2:TIDIG_COMP_CNT: 0
; COMPUTE_PGM_RSRC3_GFX90A:ACCUM_OFFSET: 0
; COMPUTE_PGM_RSRC3_GFX90A:TG_SPLIT: 0
	.section	.text._ZN7rocprim17ROCPRIM_400000_NS6detail17trampoline_kernelINS0_14default_configENS1_35adjacent_difference_config_selectorILb1ElEEZNS1_24adjacent_difference_implIS3_Lb1ELb0EPlS7_ZN2at6native12_GLOBAL__N_124unique_dim_cuda_templateIhEESt5tupleIJNS8_6TensorESD_SD_EERKSD_lbbbEUlllE1_EE10hipError_tPvRmT2_T3_mT4_P12ihipStream_tbEUlT_E_NS1_11comp_targetILNS1_3genE3ELNS1_11target_archE908ELNS1_3gpuE7ELNS1_3repE0EEENS1_30default_config_static_selectorELNS0_4arch9wavefront6targetE1EEEvT1_,"axG",@progbits,_ZN7rocprim17ROCPRIM_400000_NS6detail17trampoline_kernelINS0_14default_configENS1_35adjacent_difference_config_selectorILb1ElEEZNS1_24adjacent_difference_implIS3_Lb1ELb0EPlS7_ZN2at6native12_GLOBAL__N_124unique_dim_cuda_templateIhEESt5tupleIJNS8_6TensorESD_SD_EERKSD_lbbbEUlllE1_EE10hipError_tPvRmT2_T3_mT4_P12ihipStream_tbEUlT_E_NS1_11comp_targetILNS1_3genE3ELNS1_11target_archE908ELNS1_3gpuE7ELNS1_3repE0EEENS1_30default_config_static_selectorELNS0_4arch9wavefront6targetE1EEEvT1_,comdat
	.globl	_ZN7rocprim17ROCPRIM_400000_NS6detail17trampoline_kernelINS0_14default_configENS1_35adjacent_difference_config_selectorILb1ElEEZNS1_24adjacent_difference_implIS3_Lb1ELb0EPlS7_ZN2at6native12_GLOBAL__N_124unique_dim_cuda_templateIhEESt5tupleIJNS8_6TensorESD_SD_EERKSD_lbbbEUlllE1_EE10hipError_tPvRmT2_T3_mT4_P12ihipStream_tbEUlT_E_NS1_11comp_targetILNS1_3genE3ELNS1_11target_archE908ELNS1_3gpuE7ELNS1_3repE0EEENS1_30default_config_static_selectorELNS0_4arch9wavefront6targetE1EEEvT1_ ; -- Begin function _ZN7rocprim17ROCPRIM_400000_NS6detail17trampoline_kernelINS0_14default_configENS1_35adjacent_difference_config_selectorILb1ElEEZNS1_24adjacent_difference_implIS3_Lb1ELb0EPlS7_ZN2at6native12_GLOBAL__N_124unique_dim_cuda_templateIhEESt5tupleIJNS8_6TensorESD_SD_EERKSD_lbbbEUlllE1_EE10hipError_tPvRmT2_T3_mT4_P12ihipStream_tbEUlT_E_NS1_11comp_targetILNS1_3genE3ELNS1_11target_archE908ELNS1_3gpuE7ELNS1_3repE0EEENS1_30default_config_static_selectorELNS0_4arch9wavefront6targetE1EEEvT1_
	.p2align	8
	.type	_ZN7rocprim17ROCPRIM_400000_NS6detail17trampoline_kernelINS0_14default_configENS1_35adjacent_difference_config_selectorILb1ElEEZNS1_24adjacent_difference_implIS3_Lb1ELb0EPlS7_ZN2at6native12_GLOBAL__N_124unique_dim_cuda_templateIhEESt5tupleIJNS8_6TensorESD_SD_EERKSD_lbbbEUlllE1_EE10hipError_tPvRmT2_T3_mT4_P12ihipStream_tbEUlT_E_NS1_11comp_targetILNS1_3genE3ELNS1_11target_archE908ELNS1_3gpuE7ELNS1_3repE0EEENS1_30default_config_static_selectorELNS0_4arch9wavefront6targetE1EEEvT1_,@function
_ZN7rocprim17ROCPRIM_400000_NS6detail17trampoline_kernelINS0_14default_configENS1_35adjacent_difference_config_selectorILb1ElEEZNS1_24adjacent_difference_implIS3_Lb1ELb0EPlS7_ZN2at6native12_GLOBAL__N_124unique_dim_cuda_templateIhEESt5tupleIJNS8_6TensorESD_SD_EERKSD_lbbbEUlllE1_EE10hipError_tPvRmT2_T3_mT4_P12ihipStream_tbEUlT_E_NS1_11comp_targetILNS1_3genE3ELNS1_11target_archE908ELNS1_3gpuE7ELNS1_3repE0EEENS1_30default_config_static_selectorELNS0_4arch9wavefront6targetE1EEEvT1_: ; @_ZN7rocprim17ROCPRIM_400000_NS6detail17trampoline_kernelINS0_14default_configENS1_35adjacent_difference_config_selectorILb1ElEEZNS1_24adjacent_difference_implIS3_Lb1ELb0EPlS7_ZN2at6native12_GLOBAL__N_124unique_dim_cuda_templateIhEESt5tupleIJNS8_6TensorESD_SD_EERKSD_lbbbEUlllE1_EE10hipError_tPvRmT2_T3_mT4_P12ihipStream_tbEUlT_E_NS1_11comp_targetILNS1_3genE3ELNS1_11target_archE908ELNS1_3gpuE7ELNS1_3repE0EEENS1_30default_config_static_selectorELNS0_4arch9wavefront6targetE1EEEvT1_
; %bb.0:
	.section	.rodata,"a",@progbits
	.p2align	6, 0x0
	.amdhsa_kernel _ZN7rocprim17ROCPRIM_400000_NS6detail17trampoline_kernelINS0_14default_configENS1_35adjacent_difference_config_selectorILb1ElEEZNS1_24adjacent_difference_implIS3_Lb1ELb0EPlS7_ZN2at6native12_GLOBAL__N_124unique_dim_cuda_templateIhEESt5tupleIJNS8_6TensorESD_SD_EERKSD_lbbbEUlllE1_EE10hipError_tPvRmT2_T3_mT4_P12ihipStream_tbEUlT_E_NS1_11comp_targetILNS1_3genE3ELNS1_11target_archE908ELNS1_3gpuE7ELNS1_3repE0EEENS1_30default_config_static_selectorELNS0_4arch9wavefront6targetE1EEEvT1_
		.amdhsa_group_segment_fixed_size 0
		.amdhsa_private_segment_fixed_size 0
		.amdhsa_kernarg_size 64
		.amdhsa_user_sgpr_count 2
		.amdhsa_user_sgpr_dispatch_ptr 0
		.amdhsa_user_sgpr_queue_ptr 0
		.amdhsa_user_sgpr_kernarg_segment_ptr 1
		.amdhsa_user_sgpr_dispatch_id 0
		.amdhsa_user_sgpr_kernarg_preload_length 0
		.amdhsa_user_sgpr_kernarg_preload_offset 0
		.amdhsa_user_sgpr_private_segment_size 0
		.amdhsa_uses_dynamic_stack 0
		.amdhsa_enable_private_segment 0
		.amdhsa_system_sgpr_workgroup_id_x 1
		.amdhsa_system_sgpr_workgroup_id_y 0
		.amdhsa_system_sgpr_workgroup_id_z 0
		.amdhsa_system_sgpr_workgroup_info 0
		.amdhsa_system_vgpr_workitem_id 0
		.amdhsa_next_free_vgpr 1
		.amdhsa_next_free_sgpr 0
		.amdhsa_accum_offset 4
		.amdhsa_reserve_vcc 0
		.amdhsa_float_round_mode_32 0
		.amdhsa_float_round_mode_16_64 0
		.amdhsa_float_denorm_mode_32 3
		.amdhsa_float_denorm_mode_16_64 3
		.amdhsa_dx10_clamp 1
		.amdhsa_ieee_mode 1
		.amdhsa_fp16_overflow 0
		.amdhsa_tg_split 0
		.amdhsa_exception_fp_ieee_invalid_op 0
		.amdhsa_exception_fp_denorm_src 0
		.amdhsa_exception_fp_ieee_div_zero 0
		.amdhsa_exception_fp_ieee_overflow 0
		.amdhsa_exception_fp_ieee_underflow 0
		.amdhsa_exception_fp_ieee_inexact 0
		.amdhsa_exception_int_div_zero 0
	.end_amdhsa_kernel
	.section	.text._ZN7rocprim17ROCPRIM_400000_NS6detail17trampoline_kernelINS0_14default_configENS1_35adjacent_difference_config_selectorILb1ElEEZNS1_24adjacent_difference_implIS3_Lb1ELb0EPlS7_ZN2at6native12_GLOBAL__N_124unique_dim_cuda_templateIhEESt5tupleIJNS8_6TensorESD_SD_EERKSD_lbbbEUlllE1_EE10hipError_tPvRmT2_T3_mT4_P12ihipStream_tbEUlT_E_NS1_11comp_targetILNS1_3genE3ELNS1_11target_archE908ELNS1_3gpuE7ELNS1_3repE0EEENS1_30default_config_static_selectorELNS0_4arch9wavefront6targetE1EEEvT1_,"axG",@progbits,_ZN7rocprim17ROCPRIM_400000_NS6detail17trampoline_kernelINS0_14default_configENS1_35adjacent_difference_config_selectorILb1ElEEZNS1_24adjacent_difference_implIS3_Lb1ELb0EPlS7_ZN2at6native12_GLOBAL__N_124unique_dim_cuda_templateIhEESt5tupleIJNS8_6TensorESD_SD_EERKSD_lbbbEUlllE1_EE10hipError_tPvRmT2_T3_mT4_P12ihipStream_tbEUlT_E_NS1_11comp_targetILNS1_3genE3ELNS1_11target_archE908ELNS1_3gpuE7ELNS1_3repE0EEENS1_30default_config_static_selectorELNS0_4arch9wavefront6targetE1EEEvT1_,comdat
.Lfunc_end79:
	.size	_ZN7rocprim17ROCPRIM_400000_NS6detail17trampoline_kernelINS0_14default_configENS1_35adjacent_difference_config_selectorILb1ElEEZNS1_24adjacent_difference_implIS3_Lb1ELb0EPlS7_ZN2at6native12_GLOBAL__N_124unique_dim_cuda_templateIhEESt5tupleIJNS8_6TensorESD_SD_EERKSD_lbbbEUlllE1_EE10hipError_tPvRmT2_T3_mT4_P12ihipStream_tbEUlT_E_NS1_11comp_targetILNS1_3genE3ELNS1_11target_archE908ELNS1_3gpuE7ELNS1_3repE0EEENS1_30default_config_static_selectorELNS0_4arch9wavefront6targetE1EEEvT1_, .Lfunc_end79-_ZN7rocprim17ROCPRIM_400000_NS6detail17trampoline_kernelINS0_14default_configENS1_35adjacent_difference_config_selectorILb1ElEEZNS1_24adjacent_difference_implIS3_Lb1ELb0EPlS7_ZN2at6native12_GLOBAL__N_124unique_dim_cuda_templateIhEESt5tupleIJNS8_6TensorESD_SD_EERKSD_lbbbEUlllE1_EE10hipError_tPvRmT2_T3_mT4_P12ihipStream_tbEUlT_E_NS1_11comp_targetILNS1_3genE3ELNS1_11target_archE908ELNS1_3gpuE7ELNS1_3repE0EEENS1_30default_config_static_selectorELNS0_4arch9wavefront6targetE1EEEvT1_
                                        ; -- End function
	.set _ZN7rocprim17ROCPRIM_400000_NS6detail17trampoline_kernelINS0_14default_configENS1_35adjacent_difference_config_selectorILb1ElEEZNS1_24adjacent_difference_implIS3_Lb1ELb0EPlS7_ZN2at6native12_GLOBAL__N_124unique_dim_cuda_templateIhEESt5tupleIJNS8_6TensorESD_SD_EERKSD_lbbbEUlllE1_EE10hipError_tPvRmT2_T3_mT4_P12ihipStream_tbEUlT_E_NS1_11comp_targetILNS1_3genE3ELNS1_11target_archE908ELNS1_3gpuE7ELNS1_3repE0EEENS1_30default_config_static_selectorELNS0_4arch9wavefront6targetE1EEEvT1_.num_vgpr, 0
	.set _ZN7rocprim17ROCPRIM_400000_NS6detail17trampoline_kernelINS0_14default_configENS1_35adjacent_difference_config_selectorILb1ElEEZNS1_24adjacent_difference_implIS3_Lb1ELb0EPlS7_ZN2at6native12_GLOBAL__N_124unique_dim_cuda_templateIhEESt5tupleIJNS8_6TensorESD_SD_EERKSD_lbbbEUlllE1_EE10hipError_tPvRmT2_T3_mT4_P12ihipStream_tbEUlT_E_NS1_11comp_targetILNS1_3genE3ELNS1_11target_archE908ELNS1_3gpuE7ELNS1_3repE0EEENS1_30default_config_static_selectorELNS0_4arch9wavefront6targetE1EEEvT1_.num_agpr, 0
	.set _ZN7rocprim17ROCPRIM_400000_NS6detail17trampoline_kernelINS0_14default_configENS1_35adjacent_difference_config_selectorILb1ElEEZNS1_24adjacent_difference_implIS3_Lb1ELb0EPlS7_ZN2at6native12_GLOBAL__N_124unique_dim_cuda_templateIhEESt5tupleIJNS8_6TensorESD_SD_EERKSD_lbbbEUlllE1_EE10hipError_tPvRmT2_T3_mT4_P12ihipStream_tbEUlT_E_NS1_11comp_targetILNS1_3genE3ELNS1_11target_archE908ELNS1_3gpuE7ELNS1_3repE0EEENS1_30default_config_static_selectorELNS0_4arch9wavefront6targetE1EEEvT1_.numbered_sgpr, 0
	.set _ZN7rocprim17ROCPRIM_400000_NS6detail17trampoline_kernelINS0_14default_configENS1_35adjacent_difference_config_selectorILb1ElEEZNS1_24adjacent_difference_implIS3_Lb1ELb0EPlS7_ZN2at6native12_GLOBAL__N_124unique_dim_cuda_templateIhEESt5tupleIJNS8_6TensorESD_SD_EERKSD_lbbbEUlllE1_EE10hipError_tPvRmT2_T3_mT4_P12ihipStream_tbEUlT_E_NS1_11comp_targetILNS1_3genE3ELNS1_11target_archE908ELNS1_3gpuE7ELNS1_3repE0EEENS1_30default_config_static_selectorELNS0_4arch9wavefront6targetE1EEEvT1_.num_named_barrier, 0
	.set _ZN7rocprim17ROCPRIM_400000_NS6detail17trampoline_kernelINS0_14default_configENS1_35adjacent_difference_config_selectorILb1ElEEZNS1_24adjacent_difference_implIS3_Lb1ELb0EPlS7_ZN2at6native12_GLOBAL__N_124unique_dim_cuda_templateIhEESt5tupleIJNS8_6TensorESD_SD_EERKSD_lbbbEUlllE1_EE10hipError_tPvRmT2_T3_mT4_P12ihipStream_tbEUlT_E_NS1_11comp_targetILNS1_3genE3ELNS1_11target_archE908ELNS1_3gpuE7ELNS1_3repE0EEENS1_30default_config_static_selectorELNS0_4arch9wavefront6targetE1EEEvT1_.private_seg_size, 0
	.set _ZN7rocprim17ROCPRIM_400000_NS6detail17trampoline_kernelINS0_14default_configENS1_35adjacent_difference_config_selectorILb1ElEEZNS1_24adjacent_difference_implIS3_Lb1ELb0EPlS7_ZN2at6native12_GLOBAL__N_124unique_dim_cuda_templateIhEESt5tupleIJNS8_6TensorESD_SD_EERKSD_lbbbEUlllE1_EE10hipError_tPvRmT2_T3_mT4_P12ihipStream_tbEUlT_E_NS1_11comp_targetILNS1_3genE3ELNS1_11target_archE908ELNS1_3gpuE7ELNS1_3repE0EEENS1_30default_config_static_selectorELNS0_4arch9wavefront6targetE1EEEvT1_.uses_vcc, 0
	.set _ZN7rocprim17ROCPRIM_400000_NS6detail17trampoline_kernelINS0_14default_configENS1_35adjacent_difference_config_selectorILb1ElEEZNS1_24adjacent_difference_implIS3_Lb1ELb0EPlS7_ZN2at6native12_GLOBAL__N_124unique_dim_cuda_templateIhEESt5tupleIJNS8_6TensorESD_SD_EERKSD_lbbbEUlllE1_EE10hipError_tPvRmT2_T3_mT4_P12ihipStream_tbEUlT_E_NS1_11comp_targetILNS1_3genE3ELNS1_11target_archE908ELNS1_3gpuE7ELNS1_3repE0EEENS1_30default_config_static_selectorELNS0_4arch9wavefront6targetE1EEEvT1_.uses_flat_scratch, 0
	.set _ZN7rocprim17ROCPRIM_400000_NS6detail17trampoline_kernelINS0_14default_configENS1_35adjacent_difference_config_selectorILb1ElEEZNS1_24adjacent_difference_implIS3_Lb1ELb0EPlS7_ZN2at6native12_GLOBAL__N_124unique_dim_cuda_templateIhEESt5tupleIJNS8_6TensorESD_SD_EERKSD_lbbbEUlllE1_EE10hipError_tPvRmT2_T3_mT4_P12ihipStream_tbEUlT_E_NS1_11comp_targetILNS1_3genE3ELNS1_11target_archE908ELNS1_3gpuE7ELNS1_3repE0EEENS1_30default_config_static_selectorELNS0_4arch9wavefront6targetE1EEEvT1_.has_dyn_sized_stack, 0
	.set _ZN7rocprim17ROCPRIM_400000_NS6detail17trampoline_kernelINS0_14default_configENS1_35adjacent_difference_config_selectorILb1ElEEZNS1_24adjacent_difference_implIS3_Lb1ELb0EPlS7_ZN2at6native12_GLOBAL__N_124unique_dim_cuda_templateIhEESt5tupleIJNS8_6TensorESD_SD_EERKSD_lbbbEUlllE1_EE10hipError_tPvRmT2_T3_mT4_P12ihipStream_tbEUlT_E_NS1_11comp_targetILNS1_3genE3ELNS1_11target_archE908ELNS1_3gpuE7ELNS1_3repE0EEENS1_30default_config_static_selectorELNS0_4arch9wavefront6targetE1EEEvT1_.has_recursion, 0
	.set _ZN7rocprim17ROCPRIM_400000_NS6detail17trampoline_kernelINS0_14default_configENS1_35adjacent_difference_config_selectorILb1ElEEZNS1_24adjacent_difference_implIS3_Lb1ELb0EPlS7_ZN2at6native12_GLOBAL__N_124unique_dim_cuda_templateIhEESt5tupleIJNS8_6TensorESD_SD_EERKSD_lbbbEUlllE1_EE10hipError_tPvRmT2_T3_mT4_P12ihipStream_tbEUlT_E_NS1_11comp_targetILNS1_3genE3ELNS1_11target_archE908ELNS1_3gpuE7ELNS1_3repE0EEENS1_30default_config_static_selectorELNS0_4arch9wavefront6targetE1EEEvT1_.has_indirect_call, 0
	.section	.AMDGPU.csdata,"",@progbits
; Kernel info:
; codeLenInByte = 0
; TotalNumSgprs: 6
; NumVgprs: 0
; NumAgprs: 0
; TotalNumVgprs: 0
; ScratchSize: 0
; MemoryBound: 0
; FloatMode: 240
; IeeeMode: 1
; LDSByteSize: 0 bytes/workgroup (compile time only)
; SGPRBlocks: 0
; VGPRBlocks: 0
; NumSGPRsForWavesPerEU: 6
; NumVGPRsForWavesPerEU: 1
; AccumOffset: 4
; Occupancy: 8
; WaveLimiterHint : 0
; COMPUTE_PGM_RSRC2:SCRATCH_EN: 0
; COMPUTE_PGM_RSRC2:USER_SGPR: 2
; COMPUTE_PGM_RSRC2:TRAP_HANDLER: 0
; COMPUTE_PGM_RSRC2:TGID_X_EN: 1
; COMPUTE_PGM_RSRC2:TGID_Y_EN: 0
; COMPUTE_PGM_RSRC2:TGID_Z_EN: 0
; COMPUTE_PGM_RSRC2:TIDIG_COMP_CNT: 0
; COMPUTE_PGM_RSRC3_GFX90A:ACCUM_OFFSET: 0
; COMPUTE_PGM_RSRC3_GFX90A:TG_SPLIT: 0
	.section	.text._ZN7rocprim17ROCPRIM_400000_NS6detail17trampoline_kernelINS0_14default_configENS1_35adjacent_difference_config_selectorILb1ElEEZNS1_24adjacent_difference_implIS3_Lb1ELb0EPlS7_ZN2at6native12_GLOBAL__N_124unique_dim_cuda_templateIhEESt5tupleIJNS8_6TensorESD_SD_EERKSD_lbbbEUlllE1_EE10hipError_tPvRmT2_T3_mT4_P12ihipStream_tbEUlT_E_NS1_11comp_targetILNS1_3genE2ELNS1_11target_archE906ELNS1_3gpuE6ELNS1_3repE0EEENS1_30default_config_static_selectorELNS0_4arch9wavefront6targetE1EEEvT1_,"axG",@progbits,_ZN7rocprim17ROCPRIM_400000_NS6detail17trampoline_kernelINS0_14default_configENS1_35adjacent_difference_config_selectorILb1ElEEZNS1_24adjacent_difference_implIS3_Lb1ELb0EPlS7_ZN2at6native12_GLOBAL__N_124unique_dim_cuda_templateIhEESt5tupleIJNS8_6TensorESD_SD_EERKSD_lbbbEUlllE1_EE10hipError_tPvRmT2_T3_mT4_P12ihipStream_tbEUlT_E_NS1_11comp_targetILNS1_3genE2ELNS1_11target_archE906ELNS1_3gpuE6ELNS1_3repE0EEENS1_30default_config_static_selectorELNS0_4arch9wavefront6targetE1EEEvT1_,comdat
	.globl	_ZN7rocprim17ROCPRIM_400000_NS6detail17trampoline_kernelINS0_14default_configENS1_35adjacent_difference_config_selectorILb1ElEEZNS1_24adjacent_difference_implIS3_Lb1ELb0EPlS7_ZN2at6native12_GLOBAL__N_124unique_dim_cuda_templateIhEESt5tupleIJNS8_6TensorESD_SD_EERKSD_lbbbEUlllE1_EE10hipError_tPvRmT2_T3_mT4_P12ihipStream_tbEUlT_E_NS1_11comp_targetILNS1_3genE2ELNS1_11target_archE906ELNS1_3gpuE6ELNS1_3repE0EEENS1_30default_config_static_selectorELNS0_4arch9wavefront6targetE1EEEvT1_ ; -- Begin function _ZN7rocprim17ROCPRIM_400000_NS6detail17trampoline_kernelINS0_14default_configENS1_35adjacent_difference_config_selectorILb1ElEEZNS1_24adjacent_difference_implIS3_Lb1ELb0EPlS7_ZN2at6native12_GLOBAL__N_124unique_dim_cuda_templateIhEESt5tupleIJNS8_6TensorESD_SD_EERKSD_lbbbEUlllE1_EE10hipError_tPvRmT2_T3_mT4_P12ihipStream_tbEUlT_E_NS1_11comp_targetILNS1_3genE2ELNS1_11target_archE906ELNS1_3gpuE6ELNS1_3repE0EEENS1_30default_config_static_selectorELNS0_4arch9wavefront6targetE1EEEvT1_
	.p2align	8
	.type	_ZN7rocprim17ROCPRIM_400000_NS6detail17trampoline_kernelINS0_14default_configENS1_35adjacent_difference_config_selectorILb1ElEEZNS1_24adjacent_difference_implIS3_Lb1ELb0EPlS7_ZN2at6native12_GLOBAL__N_124unique_dim_cuda_templateIhEESt5tupleIJNS8_6TensorESD_SD_EERKSD_lbbbEUlllE1_EE10hipError_tPvRmT2_T3_mT4_P12ihipStream_tbEUlT_E_NS1_11comp_targetILNS1_3genE2ELNS1_11target_archE906ELNS1_3gpuE6ELNS1_3repE0EEENS1_30default_config_static_selectorELNS0_4arch9wavefront6targetE1EEEvT1_,@function
_ZN7rocprim17ROCPRIM_400000_NS6detail17trampoline_kernelINS0_14default_configENS1_35adjacent_difference_config_selectorILb1ElEEZNS1_24adjacent_difference_implIS3_Lb1ELb0EPlS7_ZN2at6native12_GLOBAL__N_124unique_dim_cuda_templateIhEESt5tupleIJNS8_6TensorESD_SD_EERKSD_lbbbEUlllE1_EE10hipError_tPvRmT2_T3_mT4_P12ihipStream_tbEUlT_E_NS1_11comp_targetILNS1_3genE2ELNS1_11target_archE906ELNS1_3gpuE6ELNS1_3repE0EEENS1_30default_config_static_selectorELNS0_4arch9wavefront6targetE1EEEvT1_: ; @_ZN7rocprim17ROCPRIM_400000_NS6detail17trampoline_kernelINS0_14default_configENS1_35adjacent_difference_config_selectorILb1ElEEZNS1_24adjacent_difference_implIS3_Lb1ELb0EPlS7_ZN2at6native12_GLOBAL__N_124unique_dim_cuda_templateIhEESt5tupleIJNS8_6TensorESD_SD_EERKSD_lbbbEUlllE1_EE10hipError_tPvRmT2_T3_mT4_P12ihipStream_tbEUlT_E_NS1_11comp_targetILNS1_3genE2ELNS1_11target_archE906ELNS1_3gpuE6ELNS1_3repE0EEENS1_30default_config_static_selectorELNS0_4arch9wavefront6targetE1EEEvT1_
; %bb.0:
	.section	.rodata,"a",@progbits
	.p2align	6, 0x0
	.amdhsa_kernel _ZN7rocprim17ROCPRIM_400000_NS6detail17trampoline_kernelINS0_14default_configENS1_35adjacent_difference_config_selectorILb1ElEEZNS1_24adjacent_difference_implIS3_Lb1ELb0EPlS7_ZN2at6native12_GLOBAL__N_124unique_dim_cuda_templateIhEESt5tupleIJNS8_6TensorESD_SD_EERKSD_lbbbEUlllE1_EE10hipError_tPvRmT2_T3_mT4_P12ihipStream_tbEUlT_E_NS1_11comp_targetILNS1_3genE2ELNS1_11target_archE906ELNS1_3gpuE6ELNS1_3repE0EEENS1_30default_config_static_selectorELNS0_4arch9wavefront6targetE1EEEvT1_
		.amdhsa_group_segment_fixed_size 0
		.amdhsa_private_segment_fixed_size 0
		.amdhsa_kernarg_size 64
		.amdhsa_user_sgpr_count 2
		.amdhsa_user_sgpr_dispatch_ptr 0
		.amdhsa_user_sgpr_queue_ptr 0
		.amdhsa_user_sgpr_kernarg_segment_ptr 1
		.amdhsa_user_sgpr_dispatch_id 0
		.amdhsa_user_sgpr_kernarg_preload_length 0
		.amdhsa_user_sgpr_kernarg_preload_offset 0
		.amdhsa_user_sgpr_private_segment_size 0
		.amdhsa_uses_dynamic_stack 0
		.amdhsa_enable_private_segment 0
		.amdhsa_system_sgpr_workgroup_id_x 1
		.amdhsa_system_sgpr_workgroup_id_y 0
		.amdhsa_system_sgpr_workgroup_id_z 0
		.amdhsa_system_sgpr_workgroup_info 0
		.amdhsa_system_vgpr_workitem_id 0
		.amdhsa_next_free_vgpr 1
		.amdhsa_next_free_sgpr 0
		.amdhsa_accum_offset 4
		.amdhsa_reserve_vcc 0
		.amdhsa_float_round_mode_32 0
		.amdhsa_float_round_mode_16_64 0
		.amdhsa_float_denorm_mode_32 3
		.amdhsa_float_denorm_mode_16_64 3
		.amdhsa_dx10_clamp 1
		.amdhsa_ieee_mode 1
		.amdhsa_fp16_overflow 0
		.amdhsa_tg_split 0
		.amdhsa_exception_fp_ieee_invalid_op 0
		.amdhsa_exception_fp_denorm_src 0
		.amdhsa_exception_fp_ieee_div_zero 0
		.amdhsa_exception_fp_ieee_overflow 0
		.amdhsa_exception_fp_ieee_underflow 0
		.amdhsa_exception_fp_ieee_inexact 0
		.amdhsa_exception_int_div_zero 0
	.end_amdhsa_kernel
	.section	.text._ZN7rocprim17ROCPRIM_400000_NS6detail17trampoline_kernelINS0_14default_configENS1_35adjacent_difference_config_selectorILb1ElEEZNS1_24adjacent_difference_implIS3_Lb1ELb0EPlS7_ZN2at6native12_GLOBAL__N_124unique_dim_cuda_templateIhEESt5tupleIJNS8_6TensorESD_SD_EERKSD_lbbbEUlllE1_EE10hipError_tPvRmT2_T3_mT4_P12ihipStream_tbEUlT_E_NS1_11comp_targetILNS1_3genE2ELNS1_11target_archE906ELNS1_3gpuE6ELNS1_3repE0EEENS1_30default_config_static_selectorELNS0_4arch9wavefront6targetE1EEEvT1_,"axG",@progbits,_ZN7rocprim17ROCPRIM_400000_NS6detail17trampoline_kernelINS0_14default_configENS1_35adjacent_difference_config_selectorILb1ElEEZNS1_24adjacent_difference_implIS3_Lb1ELb0EPlS7_ZN2at6native12_GLOBAL__N_124unique_dim_cuda_templateIhEESt5tupleIJNS8_6TensorESD_SD_EERKSD_lbbbEUlllE1_EE10hipError_tPvRmT2_T3_mT4_P12ihipStream_tbEUlT_E_NS1_11comp_targetILNS1_3genE2ELNS1_11target_archE906ELNS1_3gpuE6ELNS1_3repE0EEENS1_30default_config_static_selectorELNS0_4arch9wavefront6targetE1EEEvT1_,comdat
.Lfunc_end80:
	.size	_ZN7rocprim17ROCPRIM_400000_NS6detail17trampoline_kernelINS0_14default_configENS1_35adjacent_difference_config_selectorILb1ElEEZNS1_24adjacent_difference_implIS3_Lb1ELb0EPlS7_ZN2at6native12_GLOBAL__N_124unique_dim_cuda_templateIhEESt5tupleIJNS8_6TensorESD_SD_EERKSD_lbbbEUlllE1_EE10hipError_tPvRmT2_T3_mT4_P12ihipStream_tbEUlT_E_NS1_11comp_targetILNS1_3genE2ELNS1_11target_archE906ELNS1_3gpuE6ELNS1_3repE0EEENS1_30default_config_static_selectorELNS0_4arch9wavefront6targetE1EEEvT1_, .Lfunc_end80-_ZN7rocprim17ROCPRIM_400000_NS6detail17trampoline_kernelINS0_14default_configENS1_35adjacent_difference_config_selectorILb1ElEEZNS1_24adjacent_difference_implIS3_Lb1ELb0EPlS7_ZN2at6native12_GLOBAL__N_124unique_dim_cuda_templateIhEESt5tupleIJNS8_6TensorESD_SD_EERKSD_lbbbEUlllE1_EE10hipError_tPvRmT2_T3_mT4_P12ihipStream_tbEUlT_E_NS1_11comp_targetILNS1_3genE2ELNS1_11target_archE906ELNS1_3gpuE6ELNS1_3repE0EEENS1_30default_config_static_selectorELNS0_4arch9wavefront6targetE1EEEvT1_
                                        ; -- End function
	.set _ZN7rocprim17ROCPRIM_400000_NS6detail17trampoline_kernelINS0_14default_configENS1_35adjacent_difference_config_selectorILb1ElEEZNS1_24adjacent_difference_implIS3_Lb1ELb0EPlS7_ZN2at6native12_GLOBAL__N_124unique_dim_cuda_templateIhEESt5tupleIJNS8_6TensorESD_SD_EERKSD_lbbbEUlllE1_EE10hipError_tPvRmT2_T3_mT4_P12ihipStream_tbEUlT_E_NS1_11comp_targetILNS1_3genE2ELNS1_11target_archE906ELNS1_3gpuE6ELNS1_3repE0EEENS1_30default_config_static_selectorELNS0_4arch9wavefront6targetE1EEEvT1_.num_vgpr, 0
	.set _ZN7rocprim17ROCPRIM_400000_NS6detail17trampoline_kernelINS0_14default_configENS1_35adjacent_difference_config_selectorILb1ElEEZNS1_24adjacent_difference_implIS3_Lb1ELb0EPlS7_ZN2at6native12_GLOBAL__N_124unique_dim_cuda_templateIhEESt5tupleIJNS8_6TensorESD_SD_EERKSD_lbbbEUlllE1_EE10hipError_tPvRmT2_T3_mT4_P12ihipStream_tbEUlT_E_NS1_11comp_targetILNS1_3genE2ELNS1_11target_archE906ELNS1_3gpuE6ELNS1_3repE0EEENS1_30default_config_static_selectorELNS0_4arch9wavefront6targetE1EEEvT1_.num_agpr, 0
	.set _ZN7rocprim17ROCPRIM_400000_NS6detail17trampoline_kernelINS0_14default_configENS1_35adjacent_difference_config_selectorILb1ElEEZNS1_24adjacent_difference_implIS3_Lb1ELb0EPlS7_ZN2at6native12_GLOBAL__N_124unique_dim_cuda_templateIhEESt5tupleIJNS8_6TensorESD_SD_EERKSD_lbbbEUlllE1_EE10hipError_tPvRmT2_T3_mT4_P12ihipStream_tbEUlT_E_NS1_11comp_targetILNS1_3genE2ELNS1_11target_archE906ELNS1_3gpuE6ELNS1_3repE0EEENS1_30default_config_static_selectorELNS0_4arch9wavefront6targetE1EEEvT1_.numbered_sgpr, 0
	.set _ZN7rocprim17ROCPRIM_400000_NS6detail17trampoline_kernelINS0_14default_configENS1_35adjacent_difference_config_selectorILb1ElEEZNS1_24adjacent_difference_implIS3_Lb1ELb0EPlS7_ZN2at6native12_GLOBAL__N_124unique_dim_cuda_templateIhEESt5tupleIJNS8_6TensorESD_SD_EERKSD_lbbbEUlllE1_EE10hipError_tPvRmT2_T3_mT4_P12ihipStream_tbEUlT_E_NS1_11comp_targetILNS1_3genE2ELNS1_11target_archE906ELNS1_3gpuE6ELNS1_3repE0EEENS1_30default_config_static_selectorELNS0_4arch9wavefront6targetE1EEEvT1_.num_named_barrier, 0
	.set _ZN7rocprim17ROCPRIM_400000_NS6detail17trampoline_kernelINS0_14default_configENS1_35adjacent_difference_config_selectorILb1ElEEZNS1_24adjacent_difference_implIS3_Lb1ELb0EPlS7_ZN2at6native12_GLOBAL__N_124unique_dim_cuda_templateIhEESt5tupleIJNS8_6TensorESD_SD_EERKSD_lbbbEUlllE1_EE10hipError_tPvRmT2_T3_mT4_P12ihipStream_tbEUlT_E_NS1_11comp_targetILNS1_3genE2ELNS1_11target_archE906ELNS1_3gpuE6ELNS1_3repE0EEENS1_30default_config_static_selectorELNS0_4arch9wavefront6targetE1EEEvT1_.private_seg_size, 0
	.set _ZN7rocprim17ROCPRIM_400000_NS6detail17trampoline_kernelINS0_14default_configENS1_35adjacent_difference_config_selectorILb1ElEEZNS1_24adjacent_difference_implIS3_Lb1ELb0EPlS7_ZN2at6native12_GLOBAL__N_124unique_dim_cuda_templateIhEESt5tupleIJNS8_6TensorESD_SD_EERKSD_lbbbEUlllE1_EE10hipError_tPvRmT2_T3_mT4_P12ihipStream_tbEUlT_E_NS1_11comp_targetILNS1_3genE2ELNS1_11target_archE906ELNS1_3gpuE6ELNS1_3repE0EEENS1_30default_config_static_selectorELNS0_4arch9wavefront6targetE1EEEvT1_.uses_vcc, 0
	.set _ZN7rocprim17ROCPRIM_400000_NS6detail17trampoline_kernelINS0_14default_configENS1_35adjacent_difference_config_selectorILb1ElEEZNS1_24adjacent_difference_implIS3_Lb1ELb0EPlS7_ZN2at6native12_GLOBAL__N_124unique_dim_cuda_templateIhEESt5tupleIJNS8_6TensorESD_SD_EERKSD_lbbbEUlllE1_EE10hipError_tPvRmT2_T3_mT4_P12ihipStream_tbEUlT_E_NS1_11comp_targetILNS1_3genE2ELNS1_11target_archE906ELNS1_3gpuE6ELNS1_3repE0EEENS1_30default_config_static_selectorELNS0_4arch9wavefront6targetE1EEEvT1_.uses_flat_scratch, 0
	.set _ZN7rocprim17ROCPRIM_400000_NS6detail17trampoline_kernelINS0_14default_configENS1_35adjacent_difference_config_selectorILb1ElEEZNS1_24adjacent_difference_implIS3_Lb1ELb0EPlS7_ZN2at6native12_GLOBAL__N_124unique_dim_cuda_templateIhEESt5tupleIJNS8_6TensorESD_SD_EERKSD_lbbbEUlllE1_EE10hipError_tPvRmT2_T3_mT4_P12ihipStream_tbEUlT_E_NS1_11comp_targetILNS1_3genE2ELNS1_11target_archE906ELNS1_3gpuE6ELNS1_3repE0EEENS1_30default_config_static_selectorELNS0_4arch9wavefront6targetE1EEEvT1_.has_dyn_sized_stack, 0
	.set _ZN7rocprim17ROCPRIM_400000_NS6detail17trampoline_kernelINS0_14default_configENS1_35adjacent_difference_config_selectorILb1ElEEZNS1_24adjacent_difference_implIS3_Lb1ELb0EPlS7_ZN2at6native12_GLOBAL__N_124unique_dim_cuda_templateIhEESt5tupleIJNS8_6TensorESD_SD_EERKSD_lbbbEUlllE1_EE10hipError_tPvRmT2_T3_mT4_P12ihipStream_tbEUlT_E_NS1_11comp_targetILNS1_3genE2ELNS1_11target_archE906ELNS1_3gpuE6ELNS1_3repE0EEENS1_30default_config_static_selectorELNS0_4arch9wavefront6targetE1EEEvT1_.has_recursion, 0
	.set _ZN7rocprim17ROCPRIM_400000_NS6detail17trampoline_kernelINS0_14default_configENS1_35adjacent_difference_config_selectorILb1ElEEZNS1_24adjacent_difference_implIS3_Lb1ELb0EPlS7_ZN2at6native12_GLOBAL__N_124unique_dim_cuda_templateIhEESt5tupleIJNS8_6TensorESD_SD_EERKSD_lbbbEUlllE1_EE10hipError_tPvRmT2_T3_mT4_P12ihipStream_tbEUlT_E_NS1_11comp_targetILNS1_3genE2ELNS1_11target_archE906ELNS1_3gpuE6ELNS1_3repE0EEENS1_30default_config_static_selectorELNS0_4arch9wavefront6targetE1EEEvT1_.has_indirect_call, 0
	.section	.AMDGPU.csdata,"",@progbits
; Kernel info:
; codeLenInByte = 0
; TotalNumSgprs: 6
; NumVgprs: 0
; NumAgprs: 0
; TotalNumVgprs: 0
; ScratchSize: 0
; MemoryBound: 0
; FloatMode: 240
; IeeeMode: 1
; LDSByteSize: 0 bytes/workgroup (compile time only)
; SGPRBlocks: 0
; VGPRBlocks: 0
; NumSGPRsForWavesPerEU: 6
; NumVGPRsForWavesPerEU: 1
; AccumOffset: 4
; Occupancy: 8
; WaveLimiterHint : 0
; COMPUTE_PGM_RSRC2:SCRATCH_EN: 0
; COMPUTE_PGM_RSRC2:USER_SGPR: 2
; COMPUTE_PGM_RSRC2:TRAP_HANDLER: 0
; COMPUTE_PGM_RSRC2:TGID_X_EN: 1
; COMPUTE_PGM_RSRC2:TGID_Y_EN: 0
; COMPUTE_PGM_RSRC2:TGID_Z_EN: 0
; COMPUTE_PGM_RSRC2:TIDIG_COMP_CNT: 0
; COMPUTE_PGM_RSRC3_GFX90A:ACCUM_OFFSET: 0
; COMPUTE_PGM_RSRC3_GFX90A:TG_SPLIT: 0
	.section	.text._ZN7rocprim17ROCPRIM_400000_NS6detail17trampoline_kernelINS0_14default_configENS1_35adjacent_difference_config_selectorILb1ElEEZNS1_24adjacent_difference_implIS3_Lb1ELb0EPlS7_ZN2at6native12_GLOBAL__N_124unique_dim_cuda_templateIhEESt5tupleIJNS8_6TensorESD_SD_EERKSD_lbbbEUlllE1_EE10hipError_tPvRmT2_T3_mT4_P12ihipStream_tbEUlT_E_NS1_11comp_targetILNS1_3genE9ELNS1_11target_archE1100ELNS1_3gpuE3ELNS1_3repE0EEENS1_30default_config_static_selectorELNS0_4arch9wavefront6targetE1EEEvT1_,"axG",@progbits,_ZN7rocprim17ROCPRIM_400000_NS6detail17trampoline_kernelINS0_14default_configENS1_35adjacent_difference_config_selectorILb1ElEEZNS1_24adjacent_difference_implIS3_Lb1ELb0EPlS7_ZN2at6native12_GLOBAL__N_124unique_dim_cuda_templateIhEESt5tupleIJNS8_6TensorESD_SD_EERKSD_lbbbEUlllE1_EE10hipError_tPvRmT2_T3_mT4_P12ihipStream_tbEUlT_E_NS1_11comp_targetILNS1_3genE9ELNS1_11target_archE1100ELNS1_3gpuE3ELNS1_3repE0EEENS1_30default_config_static_selectorELNS0_4arch9wavefront6targetE1EEEvT1_,comdat
	.globl	_ZN7rocprim17ROCPRIM_400000_NS6detail17trampoline_kernelINS0_14default_configENS1_35adjacent_difference_config_selectorILb1ElEEZNS1_24adjacent_difference_implIS3_Lb1ELb0EPlS7_ZN2at6native12_GLOBAL__N_124unique_dim_cuda_templateIhEESt5tupleIJNS8_6TensorESD_SD_EERKSD_lbbbEUlllE1_EE10hipError_tPvRmT2_T3_mT4_P12ihipStream_tbEUlT_E_NS1_11comp_targetILNS1_3genE9ELNS1_11target_archE1100ELNS1_3gpuE3ELNS1_3repE0EEENS1_30default_config_static_selectorELNS0_4arch9wavefront6targetE1EEEvT1_ ; -- Begin function _ZN7rocprim17ROCPRIM_400000_NS6detail17trampoline_kernelINS0_14default_configENS1_35adjacent_difference_config_selectorILb1ElEEZNS1_24adjacent_difference_implIS3_Lb1ELb0EPlS7_ZN2at6native12_GLOBAL__N_124unique_dim_cuda_templateIhEESt5tupleIJNS8_6TensorESD_SD_EERKSD_lbbbEUlllE1_EE10hipError_tPvRmT2_T3_mT4_P12ihipStream_tbEUlT_E_NS1_11comp_targetILNS1_3genE9ELNS1_11target_archE1100ELNS1_3gpuE3ELNS1_3repE0EEENS1_30default_config_static_selectorELNS0_4arch9wavefront6targetE1EEEvT1_
	.p2align	8
	.type	_ZN7rocprim17ROCPRIM_400000_NS6detail17trampoline_kernelINS0_14default_configENS1_35adjacent_difference_config_selectorILb1ElEEZNS1_24adjacent_difference_implIS3_Lb1ELb0EPlS7_ZN2at6native12_GLOBAL__N_124unique_dim_cuda_templateIhEESt5tupleIJNS8_6TensorESD_SD_EERKSD_lbbbEUlllE1_EE10hipError_tPvRmT2_T3_mT4_P12ihipStream_tbEUlT_E_NS1_11comp_targetILNS1_3genE9ELNS1_11target_archE1100ELNS1_3gpuE3ELNS1_3repE0EEENS1_30default_config_static_selectorELNS0_4arch9wavefront6targetE1EEEvT1_,@function
_ZN7rocprim17ROCPRIM_400000_NS6detail17trampoline_kernelINS0_14default_configENS1_35adjacent_difference_config_selectorILb1ElEEZNS1_24adjacent_difference_implIS3_Lb1ELb0EPlS7_ZN2at6native12_GLOBAL__N_124unique_dim_cuda_templateIhEESt5tupleIJNS8_6TensorESD_SD_EERKSD_lbbbEUlllE1_EE10hipError_tPvRmT2_T3_mT4_P12ihipStream_tbEUlT_E_NS1_11comp_targetILNS1_3genE9ELNS1_11target_archE1100ELNS1_3gpuE3ELNS1_3repE0EEENS1_30default_config_static_selectorELNS0_4arch9wavefront6targetE1EEEvT1_: ; @_ZN7rocprim17ROCPRIM_400000_NS6detail17trampoline_kernelINS0_14default_configENS1_35adjacent_difference_config_selectorILb1ElEEZNS1_24adjacent_difference_implIS3_Lb1ELb0EPlS7_ZN2at6native12_GLOBAL__N_124unique_dim_cuda_templateIhEESt5tupleIJNS8_6TensorESD_SD_EERKSD_lbbbEUlllE1_EE10hipError_tPvRmT2_T3_mT4_P12ihipStream_tbEUlT_E_NS1_11comp_targetILNS1_3genE9ELNS1_11target_archE1100ELNS1_3gpuE3ELNS1_3repE0EEENS1_30default_config_static_selectorELNS0_4arch9wavefront6targetE1EEEvT1_
; %bb.0:
	.section	.rodata,"a",@progbits
	.p2align	6, 0x0
	.amdhsa_kernel _ZN7rocprim17ROCPRIM_400000_NS6detail17trampoline_kernelINS0_14default_configENS1_35adjacent_difference_config_selectorILb1ElEEZNS1_24adjacent_difference_implIS3_Lb1ELb0EPlS7_ZN2at6native12_GLOBAL__N_124unique_dim_cuda_templateIhEESt5tupleIJNS8_6TensorESD_SD_EERKSD_lbbbEUlllE1_EE10hipError_tPvRmT2_T3_mT4_P12ihipStream_tbEUlT_E_NS1_11comp_targetILNS1_3genE9ELNS1_11target_archE1100ELNS1_3gpuE3ELNS1_3repE0EEENS1_30default_config_static_selectorELNS0_4arch9wavefront6targetE1EEEvT1_
		.amdhsa_group_segment_fixed_size 0
		.amdhsa_private_segment_fixed_size 0
		.amdhsa_kernarg_size 64
		.amdhsa_user_sgpr_count 2
		.amdhsa_user_sgpr_dispatch_ptr 0
		.amdhsa_user_sgpr_queue_ptr 0
		.amdhsa_user_sgpr_kernarg_segment_ptr 1
		.amdhsa_user_sgpr_dispatch_id 0
		.amdhsa_user_sgpr_kernarg_preload_length 0
		.amdhsa_user_sgpr_kernarg_preload_offset 0
		.amdhsa_user_sgpr_private_segment_size 0
		.amdhsa_uses_dynamic_stack 0
		.amdhsa_enable_private_segment 0
		.amdhsa_system_sgpr_workgroup_id_x 1
		.amdhsa_system_sgpr_workgroup_id_y 0
		.amdhsa_system_sgpr_workgroup_id_z 0
		.amdhsa_system_sgpr_workgroup_info 0
		.amdhsa_system_vgpr_workitem_id 0
		.amdhsa_next_free_vgpr 1
		.amdhsa_next_free_sgpr 0
		.amdhsa_accum_offset 4
		.amdhsa_reserve_vcc 0
		.amdhsa_float_round_mode_32 0
		.amdhsa_float_round_mode_16_64 0
		.amdhsa_float_denorm_mode_32 3
		.amdhsa_float_denorm_mode_16_64 3
		.amdhsa_dx10_clamp 1
		.amdhsa_ieee_mode 1
		.amdhsa_fp16_overflow 0
		.amdhsa_tg_split 0
		.amdhsa_exception_fp_ieee_invalid_op 0
		.amdhsa_exception_fp_denorm_src 0
		.amdhsa_exception_fp_ieee_div_zero 0
		.amdhsa_exception_fp_ieee_overflow 0
		.amdhsa_exception_fp_ieee_underflow 0
		.amdhsa_exception_fp_ieee_inexact 0
		.amdhsa_exception_int_div_zero 0
	.end_amdhsa_kernel
	.section	.text._ZN7rocprim17ROCPRIM_400000_NS6detail17trampoline_kernelINS0_14default_configENS1_35adjacent_difference_config_selectorILb1ElEEZNS1_24adjacent_difference_implIS3_Lb1ELb0EPlS7_ZN2at6native12_GLOBAL__N_124unique_dim_cuda_templateIhEESt5tupleIJNS8_6TensorESD_SD_EERKSD_lbbbEUlllE1_EE10hipError_tPvRmT2_T3_mT4_P12ihipStream_tbEUlT_E_NS1_11comp_targetILNS1_3genE9ELNS1_11target_archE1100ELNS1_3gpuE3ELNS1_3repE0EEENS1_30default_config_static_selectorELNS0_4arch9wavefront6targetE1EEEvT1_,"axG",@progbits,_ZN7rocprim17ROCPRIM_400000_NS6detail17trampoline_kernelINS0_14default_configENS1_35adjacent_difference_config_selectorILb1ElEEZNS1_24adjacent_difference_implIS3_Lb1ELb0EPlS7_ZN2at6native12_GLOBAL__N_124unique_dim_cuda_templateIhEESt5tupleIJNS8_6TensorESD_SD_EERKSD_lbbbEUlllE1_EE10hipError_tPvRmT2_T3_mT4_P12ihipStream_tbEUlT_E_NS1_11comp_targetILNS1_3genE9ELNS1_11target_archE1100ELNS1_3gpuE3ELNS1_3repE0EEENS1_30default_config_static_selectorELNS0_4arch9wavefront6targetE1EEEvT1_,comdat
.Lfunc_end81:
	.size	_ZN7rocprim17ROCPRIM_400000_NS6detail17trampoline_kernelINS0_14default_configENS1_35adjacent_difference_config_selectorILb1ElEEZNS1_24adjacent_difference_implIS3_Lb1ELb0EPlS7_ZN2at6native12_GLOBAL__N_124unique_dim_cuda_templateIhEESt5tupleIJNS8_6TensorESD_SD_EERKSD_lbbbEUlllE1_EE10hipError_tPvRmT2_T3_mT4_P12ihipStream_tbEUlT_E_NS1_11comp_targetILNS1_3genE9ELNS1_11target_archE1100ELNS1_3gpuE3ELNS1_3repE0EEENS1_30default_config_static_selectorELNS0_4arch9wavefront6targetE1EEEvT1_, .Lfunc_end81-_ZN7rocprim17ROCPRIM_400000_NS6detail17trampoline_kernelINS0_14default_configENS1_35adjacent_difference_config_selectorILb1ElEEZNS1_24adjacent_difference_implIS3_Lb1ELb0EPlS7_ZN2at6native12_GLOBAL__N_124unique_dim_cuda_templateIhEESt5tupleIJNS8_6TensorESD_SD_EERKSD_lbbbEUlllE1_EE10hipError_tPvRmT2_T3_mT4_P12ihipStream_tbEUlT_E_NS1_11comp_targetILNS1_3genE9ELNS1_11target_archE1100ELNS1_3gpuE3ELNS1_3repE0EEENS1_30default_config_static_selectorELNS0_4arch9wavefront6targetE1EEEvT1_
                                        ; -- End function
	.set _ZN7rocprim17ROCPRIM_400000_NS6detail17trampoline_kernelINS0_14default_configENS1_35adjacent_difference_config_selectorILb1ElEEZNS1_24adjacent_difference_implIS3_Lb1ELb0EPlS7_ZN2at6native12_GLOBAL__N_124unique_dim_cuda_templateIhEESt5tupleIJNS8_6TensorESD_SD_EERKSD_lbbbEUlllE1_EE10hipError_tPvRmT2_T3_mT4_P12ihipStream_tbEUlT_E_NS1_11comp_targetILNS1_3genE9ELNS1_11target_archE1100ELNS1_3gpuE3ELNS1_3repE0EEENS1_30default_config_static_selectorELNS0_4arch9wavefront6targetE1EEEvT1_.num_vgpr, 0
	.set _ZN7rocprim17ROCPRIM_400000_NS6detail17trampoline_kernelINS0_14default_configENS1_35adjacent_difference_config_selectorILb1ElEEZNS1_24adjacent_difference_implIS3_Lb1ELb0EPlS7_ZN2at6native12_GLOBAL__N_124unique_dim_cuda_templateIhEESt5tupleIJNS8_6TensorESD_SD_EERKSD_lbbbEUlllE1_EE10hipError_tPvRmT2_T3_mT4_P12ihipStream_tbEUlT_E_NS1_11comp_targetILNS1_3genE9ELNS1_11target_archE1100ELNS1_3gpuE3ELNS1_3repE0EEENS1_30default_config_static_selectorELNS0_4arch9wavefront6targetE1EEEvT1_.num_agpr, 0
	.set _ZN7rocprim17ROCPRIM_400000_NS6detail17trampoline_kernelINS0_14default_configENS1_35adjacent_difference_config_selectorILb1ElEEZNS1_24adjacent_difference_implIS3_Lb1ELb0EPlS7_ZN2at6native12_GLOBAL__N_124unique_dim_cuda_templateIhEESt5tupleIJNS8_6TensorESD_SD_EERKSD_lbbbEUlllE1_EE10hipError_tPvRmT2_T3_mT4_P12ihipStream_tbEUlT_E_NS1_11comp_targetILNS1_3genE9ELNS1_11target_archE1100ELNS1_3gpuE3ELNS1_3repE0EEENS1_30default_config_static_selectorELNS0_4arch9wavefront6targetE1EEEvT1_.numbered_sgpr, 0
	.set _ZN7rocprim17ROCPRIM_400000_NS6detail17trampoline_kernelINS0_14default_configENS1_35adjacent_difference_config_selectorILb1ElEEZNS1_24adjacent_difference_implIS3_Lb1ELb0EPlS7_ZN2at6native12_GLOBAL__N_124unique_dim_cuda_templateIhEESt5tupleIJNS8_6TensorESD_SD_EERKSD_lbbbEUlllE1_EE10hipError_tPvRmT2_T3_mT4_P12ihipStream_tbEUlT_E_NS1_11comp_targetILNS1_3genE9ELNS1_11target_archE1100ELNS1_3gpuE3ELNS1_3repE0EEENS1_30default_config_static_selectorELNS0_4arch9wavefront6targetE1EEEvT1_.num_named_barrier, 0
	.set _ZN7rocprim17ROCPRIM_400000_NS6detail17trampoline_kernelINS0_14default_configENS1_35adjacent_difference_config_selectorILb1ElEEZNS1_24adjacent_difference_implIS3_Lb1ELb0EPlS7_ZN2at6native12_GLOBAL__N_124unique_dim_cuda_templateIhEESt5tupleIJNS8_6TensorESD_SD_EERKSD_lbbbEUlllE1_EE10hipError_tPvRmT2_T3_mT4_P12ihipStream_tbEUlT_E_NS1_11comp_targetILNS1_3genE9ELNS1_11target_archE1100ELNS1_3gpuE3ELNS1_3repE0EEENS1_30default_config_static_selectorELNS0_4arch9wavefront6targetE1EEEvT1_.private_seg_size, 0
	.set _ZN7rocprim17ROCPRIM_400000_NS6detail17trampoline_kernelINS0_14default_configENS1_35adjacent_difference_config_selectorILb1ElEEZNS1_24adjacent_difference_implIS3_Lb1ELb0EPlS7_ZN2at6native12_GLOBAL__N_124unique_dim_cuda_templateIhEESt5tupleIJNS8_6TensorESD_SD_EERKSD_lbbbEUlllE1_EE10hipError_tPvRmT2_T3_mT4_P12ihipStream_tbEUlT_E_NS1_11comp_targetILNS1_3genE9ELNS1_11target_archE1100ELNS1_3gpuE3ELNS1_3repE0EEENS1_30default_config_static_selectorELNS0_4arch9wavefront6targetE1EEEvT1_.uses_vcc, 0
	.set _ZN7rocprim17ROCPRIM_400000_NS6detail17trampoline_kernelINS0_14default_configENS1_35adjacent_difference_config_selectorILb1ElEEZNS1_24adjacent_difference_implIS3_Lb1ELb0EPlS7_ZN2at6native12_GLOBAL__N_124unique_dim_cuda_templateIhEESt5tupleIJNS8_6TensorESD_SD_EERKSD_lbbbEUlllE1_EE10hipError_tPvRmT2_T3_mT4_P12ihipStream_tbEUlT_E_NS1_11comp_targetILNS1_3genE9ELNS1_11target_archE1100ELNS1_3gpuE3ELNS1_3repE0EEENS1_30default_config_static_selectorELNS0_4arch9wavefront6targetE1EEEvT1_.uses_flat_scratch, 0
	.set _ZN7rocprim17ROCPRIM_400000_NS6detail17trampoline_kernelINS0_14default_configENS1_35adjacent_difference_config_selectorILb1ElEEZNS1_24adjacent_difference_implIS3_Lb1ELb0EPlS7_ZN2at6native12_GLOBAL__N_124unique_dim_cuda_templateIhEESt5tupleIJNS8_6TensorESD_SD_EERKSD_lbbbEUlllE1_EE10hipError_tPvRmT2_T3_mT4_P12ihipStream_tbEUlT_E_NS1_11comp_targetILNS1_3genE9ELNS1_11target_archE1100ELNS1_3gpuE3ELNS1_3repE0EEENS1_30default_config_static_selectorELNS0_4arch9wavefront6targetE1EEEvT1_.has_dyn_sized_stack, 0
	.set _ZN7rocprim17ROCPRIM_400000_NS6detail17trampoline_kernelINS0_14default_configENS1_35adjacent_difference_config_selectorILb1ElEEZNS1_24adjacent_difference_implIS3_Lb1ELb0EPlS7_ZN2at6native12_GLOBAL__N_124unique_dim_cuda_templateIhEESt5tupleIJNS8_6TensorESD_SD_EERKSD_lbbbEUlllE1_EE10hipError_tPvRmT2_T3_mT4_P12ihipStream_tbEUlT_E_NS1_11comp_targetILNS1_3genE9ELNS1_11target_archE1100ELNS1_3gpuE3ELNS1_3repE0EEENS1_30default_config_static_selectorELNS0_4arch9wavefront6targetE1EEEvT1_.has_recursion, 0
	.set _ZN7rocprim17ROCPRIM_400000_NS6detail17trampoline_kernelINS0_14default_configENS1_35adjacent_difference_config_selectorILb1ElEEZNS1_24adjacent_difference_implIS3_Lb1ELb0EPlS7_ZN2at6native12_GLOBAL__N_124unique_dim_cuda_templateIhEESt5tupleIJNS8_6TensorESD_SD_EERKSD_lbbbEUlllE1_EE10hipError_tPvRmT2_T3_mT4_P12ihipStream_tbEUlT_E_NS1_11comp_targetILNS1_3genE9ELNS1_11target_archE1100ELNS1_3gpuE3ELNS1_3repE0EEENS1_30default_config_static_selectorELNS0_4arch9wavefront6targetE1EEEvT1_.has_indirect_call, 0
	.section	.AMDGPU.csdata,"",@progbits
; Kernel info:
; codeLenInByte = 0
; TotalNumSgprs: 6
; NumVgprs: 0
; NumAgprs: 0
; TotalNumVgprs: 0
; ScratchSize: 0
; MemoryBound: 0
; FloatMode: 240
; IeeeMode: 1
; LDSByteSize: 0 bytes/workgroup (compile time only)
; SGPRBlocks: 0
; VGPRBlocks: 0
; NumSGPRsForWavesPerEU: 6
; NumVGPRsForWavesPerEU: 1
; AccumOffset: 4
; Occupancy: 8
; WaveLimiterHint : 0
; COMPUTE_PGM_RSRC2:SCRATCH_EN: 0
; COMPUTE_PGM_RSRC2:USER_SGPR: 2
; COMPUTE_PGM_RSRC2:TRAP_HANDLER: 0
; COMPUTE_PGM_RSRC2:TGID_X_EN: 1
; COMPUTE_PGM_RSRC2:TGID_Y_EN: 0
; COMPUTE_PGM_RSRC2:TGID_Z_EN: 0
; COMPUTE_PGM_RSRC2:TIDIG_COMP_CNT: 0
; COMPUTE_PGM_RSRC3_GFX90A:ACCUM_OFFSET: 0
; COMPUTE_PGM_RSRC3_GFX90A:TG_SPLIT: 0
	.section	.text._ZN7rocprim17ROCPRIM_400000_NS6detail17trampoline_kernelINS0_14default_configENS1_35adjacent_difference_config_selectorILb1ElEEZNS1_24adjacent_difference_implIS3_Lb1ELb0EPlS7_ZN2at6native12_GLOBAL__N_124unique_dim_cuda_templateIhEESt5tupleIJNS8_6TensorESD_SD_EERKSD_lbbbEUlllE1_EE10hipError_tPvRmT2_T3_mT4_P12ihipStream_tbEUlT_E_NS1_11comp_targetILNS1_3genE8ELNS1_11target_archE1030ELNS1_3gpuE2ELNS1_3repE0EEENS1_30default_config_static_selectorELNS0_4arch9wavefront6targetE1EEEvT1_,"axG",@progbits,_ZN7rocprim17ROCPRIM_400000_NS6detail17trampoline_kernelINS0_14default_configENS1_35adjacent_difference_config_selectorILb1ElEEZNS1_24adjacent_difference_implIS3_Lb1ELb0EPlS7_ZN2at6native12_GLOBAL__N_124unique_dim_cuda_templateIhEESt5tupleIJNS8_6TensorESD_SD_EERKSD_lbbbEUlllE1_EE10hipError_tPvRmT2_T3_mT4_P12ihipStream_tbEUlT_E_NS1_11comp_targetILNS1_3genE8ELNS1_11target_archE1030ELNS1_3gpuE2ELNS1_3repE0EEENS1_30default_config_static_selectorELNS0_4arch9wavefront6targetE1EEEvT1_,comdat
	.globl	_ZN7rocprim17ROCPRIM_400000_NS6detail17trampoline_kernelINS0_14default_configENS1_35adjacent_difference_config_selectorILb1ElEEZNS1_24adjacent_difference_implIS3_Lb1ELb0EPlS7_ZN2at6native12_GLOBAL__N_124unique_dim_cuda_templateIhEESt5tupleIJNS8_6TensorESD_SD_EERKSD_lbbbEUlllE1_EE10hipError_tPvRmT2_T3_mT4_P12ihipStream_tbEUlT_E_NS1_11comp_targetILNS1_3genE8ELNS1_11target_archE1030ELNS1_3gpuE2ELNS1_3repE0EEENS1_30default_config_static_selectorELNS0_4arch9wavefront6targetE1EEEvT1_ ; -- Begin function _ZN7rocprim17ROCPRIM_400000_NS6detail17trampoline_kernelINS0_14default_configENS1_35adjacent_difference_config_selectorILb1ElEEZNS1_24adjacent_difference_implIS3_Lb1ELb0EPlS7_ZN2at6native12_GLOBAL__N_124unique_dim_cuda_templateIhEESt5tupleIJNS8_6TensorESD_SD_EERKSD_lbbbEUlllE1_EE10hipError_tPvRmT2_T3_mT4_P12ihipStream_tbEUlT_E_NS1_11comp_targetILNS1_3genE8ELNS1_11target_archE1030ELNS1_3gpuE2ELNS1_3repE0EEENS1_30default_config_static_selectorELNS0_4arch9wavefront6targetE1EEEvT1_
	.p2align	8
	.type	_ZN7rocprim17ROCPRIM_400000_NS6detail17trampoline_kernelINS0_14default_configENS1_35adjacent_difference_config_selectorILb1ElEEZNS1_24adjacent_difference_implIS3_Lb1ELb0EPlS7_ZN2at6native12_GLOBAL__N_124unique_dim_cuda_templateIhEESt5tupleIJNS8_6TensorESD_SD_EERKSD_lbbbEUlllE1_EE10hipError_tPvRmT2_T3_mT4_P12ihipStream_tbEUlT_E_NS1_11comp_targetILNS1_3genE8ELNS1_11target_archE1030ELNS1_3gpuE2ELNS1_3repE0EEENS1_30default_config_static_selectorELNS0_4arch9wavefront6targetE1EEEvT1_,@function
_ZN7rocprim17ROCPRIM_400000_NS6detail17trampoline_kernelINS0_14default_configENS1_35adjacent_difference_config_selectorILb1ElEEZNS1_24adjacent_difference_implIS3_Lb1ELb0EPlS7_ZN2at6native12_GLOBAL__N_124unique_dim_cuda_templateIhEESt5tupleIJNS8_6TensorESD_SD_EERKSD_lbbbEUlllE1_EE10hipError_tPvRmT2_T3_mT4_P12ihipStream_tbEUlT_E_NS1_11comp_targetILNS1_3genE8ELNS1_11target_archE1030ELNS1_3gpuE2ELNS1_3repE0EEENS1_30default_config_static_selectorELNS0_4arch9wavefront6targetE1EEEvT1_: ; @_ZN7rocprim17ROCPRIM_400000_NS6detail17trampoline_kernelINS0_14default_configENS1_35adjacent_difference_config_selectorILb1ElEEZNS1_24adjacent_difference_implIS3_Lb1ELb0EPlS7_ZN2at6native12_GLOBAL__N_124unique_dim_cuda_templateIhEESt5tupleIJNS8_6TensorESD_SD_EERKSD_lbbbEUlllE1_EE10hipError_tPvRmT2_T3_mT4_P12ihipStream_tbEUlT_E_NS1_11comp_targetILNS1_3genE8ELNS1_11target_archE1030ELNS1_3gpuE2ELNS1_3repE0EEENS1_30default_config_static_selectorELNS0_4arch9wavefront6targetE1EEEvT1_
; %bb.0:
	.section	.rodata,"a",@progbits
	.p2align	6, 0x0
	.amdhsa_kernel _ZN7rocprim17ROCPRIM_400000_NS6detail17trampoline_kernelINS0_14default_configENS1_35adjacent_difference_config_selectorILb1ElEEZNS1_24adjacent_difference_implIS3_Lb1ELb0EPlS7_ZN2at6native12_GLOBAL__N_124unique_dim_cuda_templateIhEESt5tupleIJNS8_6TensorESD_SD_EERKSD_lbbbEUlllE1_EE10hipError_tPvRmT2_T3_mT4_P12ihipStream_tbEUlT_E_NS1_11comp_targetILNS1_3genE8ELNS1_11target_archE1030ELNS1_3gpuE2ELNS1_3repE0EEENS1_30default_config_static_selectorELNS0_4arch9wavefront6targetE1EEEvT1_
		.amdhsa_group_segment_fixed_size 0
		.amdhsa_private_segment_fixed_size 0
		.amdhsa_kernarg_size 64
		.amdhsa_user_sgpr_count 2
		.amdhsa_user_sgpr_dispatch_ptr 0
		.amdhsa_user_sgpr_queue_ptr 0
		.amdhsa_user_sgpr_kernarg_segment_ptr 1
		.amdhsa_user_sgpr_dispatch_id 0
		.amdhsa_user_sgpr_kernarg_preload_length 0
		.amdhsa_user_sgpr_kernarg_preload_offset 0
		.amdhsa_user_sgpr_private_segment_size 0
		.amdhsa_uses_dynamic_stack 0
		.amdhsa_enable_private_segment 0
		.amdhsa_system_sgpr_workgroup_id_x 1
		.amdhsa_system_sgpr_workgroup_id_y 0
		.amdhsa_system_sgpr_workgroup_id_z 0
		.amdhsa_system_sgpr_workgroup_info 0
		.amdhsa_system_vgpr_workitem_id 0
		.amdhsa_next_free_vgpr 1
		.amdhsa_next_free_sgpr 0
		.amdhsa_accum_offset 4
		.amdhsa_reserve_vcc 0
		.amdhsa_float_round_mode_32 0
		.amdhsa_float_round_mode_16_64 0
		.amdhsa_float_denorm_mode_32 3
		.amdhsa_float_denorm_mode_16_64 3
		.amdhsa_dx10_clamp 1
		.amdhsa_ieee_mode 1
		.amdhsa_fp16_overflow 0
		.amdhsa_tg_split 0
		.amdhsa_exception_fp_ieee_invalid_op 0
		.amdhsa_exception_fp_denorm_src 0
		.amdhsa_exception_fp_ieee_div_zero 0
		.amdhsa_exception_fp_ieee_overflow 0
		.amdhsa_exception_fp_ieee_underflow 0
		.amdhsa_exception_fp_ieee_inexact 0
		.amdhsa_exception_int_div_zero 0
	.end_amdhsa_kernel
	.section	.text._ZN7rocprim17ROCPRIM_400000_NS6detail17trampoline_kernelINS0_14default_configENS1_35adjacent_difference_config_selectorILb1ElEEZNS1_24adjacent_difference_implIS3_Lb1ELb0EPlS7_ZN2at6native12_GLOBAL__N_124unique_dim_cuda_templateIhEESt5tupleIJNS8_6TensorESD_SD_EERKSD_lbbbEUlllE1_EE10hipError_tPvRmT2_T3_mT4_P12ihipStream_tbEUlT_E_NS1_11comp_targetILNS1_3genE8ELNS1_11target_archE1030ELNS1_3gpuE2ELNS1_3repE0EEENS1_30default_config_static_selectorELNS0_4arch9wavefront6targetE1EEEvT1_,"axG",@progbits,_ZN7rocprim17ROCPRIM_400000_NS6detail17trampoline_kernelINS0_14default_configENS1_35adjacent_difference_config_selectorILb1ElEEZNS1_24adjacent_difference_implIS3_Lb1ELb0EPlS7_ZN2at6native12_GLOBAL__N_124unique_dim_cuda_templateIhEESt5tupleIJNS8_6TensorESD_SD_EERKSD_lbbbEUlllE1_EE10hipError_tPvRmT2_T3_mT4_P12ihipStream_tbEUlT_E_NS1_11comp_targetILNS1_3genE8ELNS1_11target_archE1030ELNS1_3gpuE2ELNS1_3repE0EEENS1_30default_config_static_selectorELNS0_4arch9wavefront6targetE1EEEvT1_,comdat
.Lfunc_end82:
	.size	_ZN7rocprim17ROCPRIM_400000_NS6detail17trampoline_kernelINS0_14default_configENS1_35adjacent_difference_config_selectorILb1ElEEZNS1_24adjacent_difference_implIS3_Lb1ELb0EPlS7_ZN2at6native12_GLOBAL__N_124unique_dim_cuda_templateIhEESt5tupleIJNS8_6TensorESD_SD_EERKSD_lbbbEUlllE1_EE10hipError_tPvRmT2_T3_mT4_P12ihipStream_tbEUlT_E_NS1_11comp_targetILNS1_3genE8ELNS1_11target_archE1030ELNS1_3gpuE2ELNS1_3repE0EEENS1_30default_config_static_selectorELNS0_4arch9wavefront6targetE1EEEvT1_, .Lfunc_end82-_ZN7rocprim17ROCPRIM_400000_NS6detail17trampoline_kernelINS0_14default_configENS1_35adjacent_difference_config_selectorILb1ElEEZNS1_24adjacent_difference_implIS3_Lb1ELb0EPlS7_ZN2at6native12_GLOBAL__N_124unique_dim_cuda_templateIhEESt5tupleIJNS8_6TensorESD_SD_EERKSD_lbbbEUlllE1_EE10hipError_tPvRmT2_T3_mT4_P12ihipStream_tbEUlT_E_NS1_11comp_targetILNS1_3genE8ELNS1_11target_archE1030ELNS1_3gpuE2ELNS1_3repE0EEENS1_30default_config_static_selectorELNS0_4arch9wavefront6targetE1EEEvT1_
                                        ; -- End function
	.set _ZN7rocprim17ROCPRIM_400000_NS6detail17trampoline_kernelINS0_14default_configENS1_35adjacent_difference_config_selectorILb1ElEEZNS1_24adjacent_difference_implIS3_Lb1ELb0EPlS7_ZN2at6native12_GLOBAL__N_124unique_dim_cuda_templateIhEESt5tupleIJNS8_6TensorESD_SD_EERKSD_lbbbEUlllE1_EE10hipError_tPvRmT2_T3_mT4_P12ihipStream_tbEUlT_E_NS1_11comp_targetILNS1_3genE8ELNS1_11target_archE1030ELNS1_3gpuE2ELNS1_3repE0EEENS1_30default_config_static_selectorELNS0_4arch9wavefront6targetE1EEEvT1_.num_vgpr, 0
	.set _ZN7rocprim17ROCPRIM_400000_NS6detail17trampoline_kernelINS0_14default_configENS1_35adjacent_difference_config_selectorILb1ElEEZNS1_24adjacent_difference_implIS3_Lb1ELb0EPlS7_ZN2at6native12_GLOBAL__N_124unique_dim_cuda_templateIhEESt5tupleIJNS8_6TensorESD_SD_EERKSD_lbbbEUlllE1_EE10hipError_tPvRmT2_T3_mT4_P12ihipStream_tbEUlT_E_NS1_11comp_targetILNS1_3genE8ELNS1_11target_archE1030ELNS1_3gpuE2ELNS1_3repE0EEENS1_30default_config_static_selectorELNS0_4arch9wavefront6targetE1EEEvT1_.num_agpr, 0
	.set _ZN7rocprim17ROCPRIM_400000_NS6detail17trampoline_kernelINS0_14default_configENS1_35adjacent_difference_config_selectorILb1ElEEZNS1_24adjacent_difference_implIS3_Lb1ELb0EPlS7_ZN2at6native12_GLOBAL__N_124unique_dim_cuda_templateIhEESt5tupleIJNS8_6TensorESD_SD_EERKSD_lbbbEUlllE1_EE10hipError_tPvRmT2_T3_mT4_P12ihipStream_tbEUlT_E_NS1_11comp_targetILNS1_3genE8ELNS1_11target_archE1030ELNS1_3gpuE2ELNS1_3repE0EEENS1_30default_config_static_selectorELNS0_4arch9wavefront6targetE1EEEvT1_.numbered_sgpr, 0
	.set _ZN7rocprim17ROCPRIM_400000_NS6detail17trampoline_kernelINS0_14default_configENS1_35adjacent_difference_config_selectorILb1ElEEZNS1_24adjacent_difference_implIS3_Lb1ELb0EPlS7_ZN2at6native12_GLOBAL__N_124unique_dim_cuda_templateIhEESt5tupleIJNS8_6TensorESD_SD_EERKSD_lbbbEUlllE1_EE10hipError_tPvRmT2_T3_mT4_P12ihipStream_tbEUlT_E_NS1_11comp_targetILNS1_3genE8ELNS1_11target_archE1030ELNS1_3gpuE2ELNS1_3repE0EEENS1_30default_config_static_selectorELNS0_4arch9wavefront6targetE1EEEvT1_.num_named_barrier, 0
	.set _ZN7rocprim17ROCPRIM_400000_NS6detail17trampoline_kernelINS0_14default_configENS1_35adjacent_difference_config_selectorILb1ElEEZNS1_24adjacent_difference_implIS3_Lb1ELb0EPlS7_ZN2at6native12_GLOBAL__N_124unique_dim_cuda_templateIhEESt5tupleIJNS8_6TensorESD_SD_EERKSD_lbbbEUlllE1_EE10hipError_tPvRmT2_T3_mT4_P12ihipStream_tbEUlT_E_NS1_11comp_targetILNS1_3genE8ELNS1_11target_archE1030ELNS1_3gpuE2ELNS1_3repE0EEENS1_30default_config_static_selectorELNS0_4arch9wavefront6targetE1EEEvT1_.private_seg_size, 0
	.set _ZN7rocprim17ROCPRIM_400000_NS6detail17trampoline_kernelINS0_14default_configENS1_35adjacent_difference_config_selectorILb1ElEEZNS1_24adjacent_difference_implIS3_Lb1ELb0EPlS7_ZN2at6native12_GLOBAL__N_124unique_dim_cuda_templateIhEESt5tupleIJNS8_6TensorESD_SD_EERKSD_lbbbEUlllE1_EE10hipError_tPvRmT2_T3_mT4_P12ihipStream_tbEUlT_E_NS1_11comp_targetILNS1_3genE8ELNS1_11target_archE1030ELNS1_3gpuE2ELNS1_3repE0EEENS1_30default_config_static_selectorELNS0_4arch9wavefront6targetE1EEEvT1_.uses_vcc, 0
	.set _ZN7rocprim17ROCPRIM_400000_NS6detail17trampoline_kernelINS0_14default_configENS1_35adjacent_difference_config_selectorILb1ElEEZNS1_24adjacent_difference_implIS3_Lb1ELb0EPlS7_ZN2at6native12_GLOBAL__N_124unique_dim_cuda_templateIhEESt5tupleIJNS8_6TensorESD_SD_EERKSD_lbbbEUlllE1_EE10hipError_tPvRmT2_T3_mT4_P12ihipStream_tbEUlT_E_NS1_11comp_targetILNS1_3genE8ELNS1_11target_archE1030ELNS1_3gpuE2ELNS1_3repE0EEENS1_30default_config_static_selectorELNS0_4arch9wavefront6targetE1EEEvT1_.uses_flat_scratch, 0
	.set _ZN7rocprim17ROCPRIM_400000_NS6detail17trampoline_kernelINS0_14default_configENS1_35adjacent_difference_config_selectorILb1ElEEZNS1_24adjacent_difference_implIS3_Lb1ELb0EPlS7_ZN2at6native12_GLOBAL__N_124unique_dim_cuda_templateIhEESt5tupleIJNS8_6TensorESD_SD_EERKSD_lbbbEUlllE1_EE10hipError_tPvRmT2_T3_mT4_P12ihipStream_tbEUlT_E_NS1_11comp_targetILNS1_3genE8ELNS1_11target_archE1030ELNS1_3gpuE2ELNS1_3repE0EEENS1_30default_config_static_selectorELNS0_4arch9wavefront6targetE1EEEvT1_.has_dyn_sized_stack, 0
	.set _ZN7rocprim17ROCPRIM_400000_NS6detail17trampoline_kernelINS0_14default_configENS1_35adjacent_difference_config_selectorILb1ElEEZNS1_24adjacent_difference_implIS3_Lb1ELb0EPlS7_ZN2at6native12_GLOBAL__N_124unique_dim_cuda_templateIhEESt5tupleIJNS8_6TensorESD_SD_EERKSD_lbbbEUlllE1_EE10hipError_tPvRmT2_T3_mT4_P12ihipStream_tbEUlT_E_NS1_11comp_targetILNS1_3genE8ELNS1_11target_archE1030ELNS1_3gpuE2ELNS1_3repE0EEENS1_30default_config_static_selectorELNS0_4arch9wavefront6targetE1EEEvT1_.has_recursion, 0
	.set _ZN7rocprim17ROCPRIM_400000_NS6detail17trampoline_kernelINS0_14default_configENS1_35adjacent_difference_config_selectorILb1ElEEZNS1_24adjacent_difference_implIS3_Lb1ELb0EPlS7_ZN2at6native12_GLOBAL__N_124unique_dim_cuda_templateIhEESt5tupleIJNS8_6TensorESD_SD_EERKSD_lbbbEUlllE1_EE10hipError_tPvRmT2_T3_mT4_P12ihipStream_tbEUlT_E_NS1_11comp_targetILNS1_3genE8ELNS1_11target_archE1030ELNS1_3gpuE2ELNS1_3repE0EEENS1_30default_config_static_selectorELNS0_4arch9wavefront6targetE1EEEvT1_.has_indirect_call, 0
	.section	.AMDGPU.csdata,"",@progbits
; Kernel info:
; codeLenInByte = 0
; TotalNumSgprs: 6
; NumVgprs: 0
; NumAgprs: 0
; TotalNumVgprs: 0
; ScratchSize: 0
; MemoryBound: 0
; FloatMode: 240
; IeeeMode: 1
; LDSByteSize: 0 bytes/workgroup (compile time only)
; SGPRBlocks: 0
; VGPRBlocks: 0
; NumSGPRsForWavesPerEU: 6
; NumVGPRsForWavesPerEU: 1
; AccumOffset: 4
; Occupancy: 8
; WaveLimiterHint : 0
; COMPUTE_PGM_RSRC2:SCRATCH_EN: 0
; COMPUTE_PGM_RSRC2:USER_SGPR: 2
; COMPUTE_PGM_RSRC2:TRAP_HANDLER: 0
; COMPUTE_PGM_RSRC2:TGID_X_EN: 1
; COMPUTE_PGM_RSRC2:TGID_Y_EN: 0
; COMPUTE_PGM_RSRC2:TGID_Z_EN: 0
; COMPUTE_PGM_RSRC2:TIDIG_COMP_CNT: 0
; COMPUTE_PGM_RSRC3_GFX90A:ACCUM_OFFSET: 0
; COMPUTE_PGM_RSRC3_GFX90A:TG_SPLIT: 0
	.section	.text._ZN7rocprim17ROCPRIM_400000_NS6detail31init_lookback_scan_state_kernelINS1_19lookback_scan_stateIlLb0ELb1EEENS1_16block_id_wrapperIjLb0EEEEEvT_jT0_jPNS7_10value_typeE,"axG",@progbits,_ZN7rocprim17ROCPRIM_400000_NS6detail31init_lookback_scan_state_kernelINS1_19lookback_scan_stateIlLb0ELb1EEENS1_16block_id_wrapperIjLb0EEEEEvT_jT0_jPNS7_10value_typeE,comdat
	.protected	_ZN7rocprim17ROCPRIM_400000_NS6detail31init_lookback_scan_state_kernelINS1_19lookback_scan_stateIlLb0ELb1EEENS1_16block_id_wrapperIjLb0EEEEEvT_jT0_jPNS7_10value_typeE ; -- Begin function _ZN7rocprim17ROCPRIM_400000_NS6detail31init_lookback_scan_state_kernelINS1_19lookback_scan_stateIlLb0ELb1EEENS1_16block_id_wrapperIjLb0EEEEEvT_jT0_jPNS7_10value_typeE
	.globl	_ZN7rocprim17ROCPRIM_400000_NS6detail31init_lookback_scan_state_kernelINS1_19lookback_scan_stateIlLb0ELb1EEENS1_16block_id_wrapperIjLb0EEEEEvT_jT0_jPNS7_10value_typeE
	.p2align	8
	.type	_ZN7rocprim17ROCPRIM_400000_NS6detail31init_lookback_scan_state_kernelINS1_19lookback_scan_stateIlLb0ELb1EEENS1_16block_id_wrapperIjLb0EEEEEvT_jT0_jPNS7_10value_typeE,@function
_ZN7rocprim17ROCPRIM_400000_NS6detail31init_lookback_scan_state_kernelINS1_19lookback_scan_stateIlLb0ELb1EEENS1_16block_id_wrapperIjLb0EEEEEvT_jT0_jPNS7_10value_typeE: ; @_ZN7rocprim17ROCPRIM_400000_NS6detail31init_lookback_scan_state_kernelINS1_19lookback_scan_stateIlLb0ELb1EEENS1_16block_id_wrapperIjLb0EEEEEvT_jT0_jPNS7_10value_typeE
; %bb.0:
	s_load_dword s3, s[0:1], 0x2c
	s_load_dwordx2 s[6:7], s[0:1], 0x18
	s_load_dwordx2 s[4:5], s[0:1], 0x0
	s_load_dword s12, s[0:1], 0x8
	s_waitcnt lgkmcnt(0)
	s_and_b32 s3, s3, 0xffff
	s_mul_i32 s2, s2, s3
	s_cmp_eq_u64 s[6:7], 0
	v_add_u32_e32 v0, s2, v0
	s_cbranch_scc1 .LBB83_8
; %bb.1:
	s_load_dword s2, s[0:1], 0x10
	s_mov_b32 s3, 0
	s_waitcnt lgkmcnt(0)
	s_cmp_lt_u32 s2, s12
	s_cselect_b32 s0, s2, 0
	v_cmp_eq_u32_e32 vcc, s0, v0
	s_and_saveexec_b64 s[0:1], vcc
	s_cbranch_execz .LBB83_7
; %bb.2:
	s_add_i32 s2, s2, 64
	s_lshl_b64 s[2:3], s[2:3], 4
	s_add_u32 s10, s4, s2
	s_addc_u32 s11, s5, s3
	v_mov_b64_e32 v[2:3], s[10:11]
	;;#ASMSTART
	global_load_dwordx4 v[2:5], v[2:3] off sc1	
s_waitcnt vmcnt(0)
	;;#ASMEND
	v_mov_b32_e32 v7, 0
	v_and_b32_e32 v6, 0xff, v4
	s_mov_b64 s[8:9], 0
	v_cmp_eq_u64_e32 vcc, 0, v[6:7]
	s_and_saveexec_b64 s[2:3], vcc
	s_cbranch_execz .LBB83_6
; %bb.3:
	v_mov_b64_e32 v[8:9], s[10:11]
.LBB83_4:                               ; =>This Inner Loop Header: Depth=1
	;;#ASMSTART
	global_load_dwordx4 v[2:5], v[8:9] off sc1	
s_waitcnt vmcnt(0)
	;;#ASMEND
	s_nop 0
	v_and_b32_e32 v6, 0xff, v4
	v_cmp_ne_u64_e32 vcc, 0, v[6:7]
	s_or_b64 s[8:9], vcc, s[8:9]
	s_andn2_b64 exec, exec, s[8:9]
	s_cbranch_execnz .LBB83_4
; %bb.5:
	s_or_b64 exec, exec, s[8:9]
.LBB83_6:
	s_or_b64 exec, exec, s[2:3]
	v_mov_b32_e32 v1, 0
	global_store_dwordx2 v1, v[2:3], s[6:7]
.LBB83_7:
	s_or_b64 exec, exec, s[0:1]
.LBB83_8:
	v_cmp_gt_u32_e32 vcc, s12, v0
	s_and_saveexec_b64 s[0:1], vcc
	s_cbranch_execnz .LBB83_11
; %bb.9:
	s_or_b64 exec, exec, s[0:1]
	v_cmp_gt_u32_e32 vcc, 64, v0
	s_and_saveexec_b64 s[0:1], vcc
	s_cbranch_execnz .LBB83_12
.LBB83_10:
	s_endpgm
.LBB83_11:
	v_add_u32_e32 v2, 64, v0
	v_mov_b32_e32 v3, 0
	v_lshl_add_u64 v[6:7], v[2:3], 4, s[4:5]
	v_mov_b32_e32 v2, v3
	v_mov_b32_e32 v4, v3
	;; [unrolled: 1-line block ×3, first 2 shown]
	global_store_dwordx4 v[6:7], v[2:5], off
	s_or_b64 exec, exec, s[0:1]
	v_cmp_gt_u32_e32 vcc, 64, v0
	s_and_saveexec_b64 s[0:1], vcc
	s_cbranch_execz .LBB83_10
.LBB83_12:
	v_mov_b32_e32 v1, 0
	v_lshl_add_u64 v[4:5], v[0:1], 4, s[4:5]
	v_mov_b32_e32 v2, 0xff
	v_mov_b32_e32 v0, v1
	;; [unrolled: 1-line block ×3, first 2 shown]
	global_store_dwordx4 v[4:5], v[0:3], off
	s_endpgm
	.section	.rodata,"a",@progbits
	.p2align	6, 0x0
	.amdhsa_kernel _ZN7rocprim17ROCPRIM_400000_NS6detail31init_lookback_scan_state_kernelINS1_19lookback_scan_stateIlLb0ELb1EEENS1_16block_id_wrapperIjLb0EEEEEvT_jT0_jPNS7_10value_typeE
		.amdhsa_group_segment_fixed_size 0
		.amdhsa_private_segment_fixed_size 0
		.amdhsa_kernarg_size 288
		.amdhsa_user_sgpr_count 2
		.amdhsa_user_sgpr_dispatch_ptr 0
		.amdhsa_user_sgpr_queue_ptr 0
		.amdhsa_user_sgpr_kernarg_segment_ptr 1
		.amdhsa_user_sgpr_dispatch_id 0
		.amdhsa_user_sgpr_kernarg_preload_length 0
		.amdhsa_user_sgpr_kernarg_preload_offset 0
		.amdhsa_user_sgpr_private_segment_size 0
		.amdhsa_uses_dynamic_stack 0
		.amdhsa_enable_private_segment 0
		.amdhsa_system_sgpr_workgroup_id_x 1
		.amdhsa_system_sgpr_workgroup_id_y 0
		.amdhsa_system_sgpr_workgroup_id_z 0
		.amdhsa_system_sgpr_workgroup_info 0
		.amdhsa_system_vgpr_workitem_id 0
		.amdhsa_next_free_vgpr 10
		.amdhsa_next_free_sgpr 13
		.amdhsa_accum_offset 12
		.amdhsa_reserve_vcc 1
		.amdhsa_float_round_mode_32 0
		.amdhsa_float_round_mode_16_64 0
		.amdhsa_float_denorm_mode_32 3
		.amdhsa_float_denorm_mode_16_64 3
		.amdhsa_dx10_clamp 1
		.amdhsa_ieee_mode 1
		.amdhsa_fp16_overflow 0
		.amdhsa_tg_split 0
		.amdhsa_exception_fp_ieee_invalid_op 0
		.amdhsa_exception_fp_denorm_src 0
		.amdhsa_exception_fp_ieee_div_zero 0
		.amdhsa_exception_fp_ieee_overflow 0
		.amdhsa_exception_fp_ieee_underflow 0
		.amdhsa_exception_fp_ieee_inexact 0
		.amdhsa_exception_int_div_zero 0
	.end_amdhsa_kernel
	.section	.text._ZN7rocprim17ROCPRIM_400000_NS6detail31init_lookback_scan_state_kernelINS1_19lookback_scan_stateIlLb0ELb1EEENS1_16block_id_wrapperIjLb0EEEEEvT_jT0_jPNS7_10value_typeE,"axG",@progbits,_ZN7rocprim17ROCPRIM_400000_NS6detail31init_lookback_scan_state_kernelINS1_19lookback_scan_stateIlLb0ELb1EEENS1_16block_id_wrapperIjLb0EEEEEvT_jT0_jPNS7_10value_typeE,comdat
.Lfunc_end83:
	.size	_ZN7rocprim17ROCPRIM_400000_NS6detail31init_lookback_scan_state_kernelINS1_19lookback_scan_stateIlLb0ELb1EEENS1_16block_id_wrapperIjLb0EEEEEvT_jT0_jPNS7_10value_typeE, .Lfunc_end83-_ZN7rocprim17ROCPRIM_400000_NS6detail31init_lookback_scan_state_kernelINS1_19lookback_scan_stateIlLb0ELb1EEENS1_16block_id_wrapperIjLb0EEEEEvT_jT0_jPNS7_10value_typeE
                                        ; -- End function
	.set _ZN7rocprim17ROCPRIM_400000_NS6detail31init_lookback_scan_state_kernelINS1_19lookback_scan_stateIlLb0ELb1EEENS1_16block_id_wrapperIjLb0EEEEEvT_jT0_jPNS7_10value_typeE.num_vgpr, 10
	.set _ZN7rocprim17ROCPRIM_400000_NS6detail31init_lookback_scan_state_kernelINS1_19lookback_scan_stateIlLb0ELb1EEENS1_16block_id_wrapperIjLb0EEEEEvT_jT0_jPNS7_10value_typeE.num_agpr, 0
	.set _ZN7rocprim17ROCPRIM_400000_NS6detail31init_lookback_scan_state_kernelINS1_19lookback_scan_stateIlLb0ELb1EEENS1_16block_id_wrapperIjLb0EEEEEvT_jT0_jPNS7_10value_typeE.numbered_sgpr, 13
	.set _ZN7rocprim17ROCPRIM_400000_NS6detail31init_lookback_scan_state_kernelINS1_19lookback_scan_stateIlLb0ELb1EEENS1_16block_id_wrapperIjLb0EEEEEvT_jT0_jPNS7_10value_typeE.num_named_barrier, 0
	.set _ZN7rocprim17ROCPRIM_400000_NS6detail31init_lookback_scan_state_kernelINS1_19lookback_scan_stateIlLb0ELb1EEENS1_16block_id_wrapperIjLb0EEEEEvT_jT0_jPNS7_10value_typeE.private_seg_size, 0
	.set _ZN7rocprim17ROCPRIM_400000_NS6detail31init_lookback_scan_state_kernelINS1_19lookback_scan_stateIlLb0ELb1EEENS1_16block_id_wrapperIjLb0EEEEEvT_jT0_jPNS7_10value_typeE.uses_vcc, 1
	.set _ZN7rocprim17ROCPRIM_400000_NS6detail31init_lookback_scan_state_kernelINS1_19lookback_scan_stateIlLb0ELb1EEENS1_16block_id_wrapperIjLb0EEEEEvT_jT0_jPNS7_10value_typeE.uses_flat_scratch, 0
	.set _ZN7rocprim17ROCPRIM_400000_NS6detail31init_lookback_scan_state_kernelINS1_19lookback_scan_stateIlLb0ELb1EEENS1_16block_id_wrapperIjLb0EEEEEvT_jT0_jPNS7_10value_typeE.has_dyn_sized_stack, 0
	.set _ZN7rocprim17ROCPRIM_400000_NS6detail31init_lookback_scan_state_kernelINS1_19lookback_scan_stateIlLb0ELb1EEENS1_16block_id_wrapperIjLb0EEEEEvT_jT0_jPNS7_10value_typeE.has_recursion, 0
	.set _ZN7rocprim17ROCPRIM_400000_NS6detail31init_lookback_scan_state_kernelINS1_19lookback_scan_stateIlLb0ELb1EEENS1_16block_id_wrapperIjLb0EEEEEvT_jT0_jPNS7_10value_typeE.has_indirect_call, 0
	.section	.AMDGPU.csdata,"",@progbits
; Kernel info:
; codeLenInByte = 388
; TotalNumSgprs: 19
; NumVgprs: 10
; NumAgprs: 0
; TotalNumVgprs: 10
; ScratchSize: 0
; MemoryBound: 0
; FloatMode: 240
; IeeeMode: 1
; LDSByteSize: 0 bytes/workgroup (compile time only)
; SGPRBlocks: 2
; VGPRBlocks: 1
; NumSGPRsForWavesPerEU: 19
; NumVGPRsForWavesPerEU: 10
; AccumOffset: 12
; Occupancy: 8
; WaveLimiterHint : 0
; COMPUTE_PGM_RSRC2:SCRATCH_EN: 0
; COMPUTE_PGM_RSRC2:USER_SGPR: 2
; COMPUTE_PGM_RSRC2:TRAP_HANDLER: 0
; COMPUTE_PGM_RSRC2:TGID_X_EN: 1
; COMPUTE_PGM_RSRC2:TGID_Y_EN: 0
; COMPUTE_PGM_RSRC2:TGID_Z_EN: 0
; COMPUTE_PGM_RSRC2:TIDIG_COMP_CNT: 0
; COMPUTE_PGM_RSRC3_GFX90A:ACCUM_OFFSET: 2
; COMPUTE_PGM_RSRC3_GFX90A:TG_SPLIT: 0
	.section	.text._ZN7rocprim17ROCPRIM_400000_NS6detail17trampoline_kernelINS0_14default_configENS1_20scan_config_selectorIlEEZZNS1_9scan_implILNS1_25lookback_scan_determinismE0ELb0ELb0ES3_PlS8_lN6thrust23THRUST_200600_302600_NS4plusIvEElEEDaPvRmT3_T4_T5_mT6_P12ihipStream_tbENKUlT_T0_E_clISt17integral_constantIbLb0EESQ_EEDaSL_SM_EUlSL_E_NS1_11comp_targetILNS1_3genE0ELNS1_11target_archE4294967295ELNS1_3gpuE0ELNS1_3repE0EEENS1_30default_config_static_selectorELNS0_4arch9wavefront6targetE1EEEvT1_,"axG",@progbits,_ZN7rocprim17ROCPRIM_400000_NS6detail17trampoline_kernelINS0_14default_configENS1_20scan_config_selectorIlEEZZNS1_9scan_implILNS1_25lookback_scan_determinismE0ELb0ELb0ES3_PlS8_lN6thrust23THRUST_200600_302600_NS4plusIvEElEEDaPvRmT3_T4_T5_mT6_P12ihipStream_tbENKUlT_T0_E_clISt17integral_constantIbLb0EESQ_EEDaSL_SM_EUlSL_E_NS1_11comp_targetILNS1_3genE0ELNS1_11target_archE4294967295ELNS1_3gpuE0ELNS1_3repE0EEENS1_30default_config_static_selectorELNS0_4arch9wavefront6targetE1EEEvT1_,comdat
	.protected	_ZN7rocprim17ROCPRIM_400000_NS6detail17trampoline_kernelINS0_14default_configENS1_20scan_config_selectorIlEEZZNS1_9scan_implILNS1_25lookback_scan_determinismE0ELb0ELb0ES3_PlS8_lN6thrust23THRUST_200600_302600_NS4plusIvEElEEDaPvRmT3_T4_T5_mT6_P12ihipStream_tbENKUlT_T0_E_clISt17integral_constantIbLb0EESQ_EEDaSL_SM_EUlSL_E_NS1_11comp_targetILNS1_3genE0ELNS1_11target_archE4294967295ELNS1_3gpuE0ELNS1_3repE0EEENS1_30default_config_static_selectorELNS0_4arch9wavefront6targetE1EEEvT1_ ; -- Begin function _ZN7rocprim17ROCPRIM_400000_NS6detail17trampoline_kernelINS0_14default_configENS1_20scan_config_selectorIlEEZZNS1_9scan_implILNS1_25lookback_scan_determinismE0ELb0ELb0ES3_PlS8_lN6thrust23THRUST_200600_302600_NS4plusIvEElEEDaPvRmT3_T4_T5_mT6_P12ihipStream_tbENKUlT_T0_E_clISt17integral_constantIbLb0EESQ_EEDaSL_SM_EUlSL_E_NS1_11comp_targetILNS1_3genE0ELNS1_11target_archE4294967295ELNS1_3gpuE0ELNS1_3repE0EEENS1_30default_config_static_selectorELNS0_4arch9wavefront6targetE1EEEvT1_
	.globl	_ZN7rocprim17ROCPRIM_400000_NS6detail17trampoline_kernelINS0_14default_configENS1_20scan_config_selectorIlEEZZNS1_9scan_implILNS1_25lookback_scan_determinismE0ELb0ELb0ES3_PlS8_lN6thrust23THRUST_200600_302600_NS4plusIvEElEEDaPvRmT3_T4_T5_mT6_P12ihipStream_tbENKUlT_T0_E_clISt17integral_constantIbLb0EESQ_EEDaSL_SM_EUlSL_E_NS1_11comp_targetILNS1_3genE0ELNS1_11target_archE4294967295ELNS1_3gpuE0ELNS1_3repE0EEENS1_30default_config_static_selectorELNS0_4arch9wavefront6targetE1EEEvT1_
	.p2align	8
	.type	_ZN7rocprim17ROCPRIM_400000_NS6detail17trampoline_kernelINS0_14default_configENS1_20scan_config_selectorIlEEZZNS1_9scan_implILNS1_25lookback_scan_determinismE0ELb0ELb0ES3_PlS8_lN6thrust23THRUST_200600_302600_NS4plusIvEElEEDaPvRmT3_T4_T5_mT6_P12ihipStream_tbENKUlT_T0_E_clISt17integral_constantIbLb0EESQ_EEDaSL_SM_EUlSL_E_NS1_11comp_targetILNS1_3genE0ELNS1_11target_archE4294967295ELNS1_3gpuE0ELNS1_3repE0EEENS1_30default_config_static_selectorELNS0_4arch9wavefront6targetE1EEEvT1_,@function
_ZN7rocprim17ROCPRIM_400000_NS6detail17trampoline_kernelINS0_14default_configENS1_20scan_config_selectorIlEEZZNS1_9scan_implILNS1_25lookback_scan_determinismE0ELb0ELb0ES3_PlS8_lN6thrust23THRUST_200600_302600_NS4plusIvEElEEDaPvRmT3_T4_T5_mT6_P12ihipStream_tbENKUlT_T0_E_clISt17integral_constantIbLb0EESQ_EEDaSL_SM_EUlSL_E_NS1_11comp_targetILNS1_3genE0ELNS1_11target_archE4294967295ELNS1_3gpuE0ELNS1_3repE0EEENS1_30default_config_static_selectorELNS0_4arch9wavefront6targetE1EEEvT1_: ; @_ZN7rocprim17ROCPRIM_400000_NS6detail17trampoline_kernelINS0_14default_configENS1_20scan_config_selectorIlEEZZNS1_9scan_implILNS1_25lookback_scan_determinismE0ELb0ELb0ES3_PlS8_lN6thrust23THRUST_200600_302600_NS4plusIvEElEEDaPvRmT3_T4_T5_mT6_P12ihipStream_tbENKUlT_T0_E_clISt17integral_constantIbLb0EESQ_EEDaSL_SM_EUlSL_E_NS1_11comp_targetILNS1_3genE0ELNS1_11target_archE4294967295ELNS1_3gpuE0ELNS1_3repE0EEENS1_30default_config_static_selectorELNS0_4arch9wavefront6targetE1EEEvT1_
; %bb.0:
	s_load_dwordx8 s[16:23], s[0:1], 0x0
	s_load_dword s3, s[0:1], 0x38
	s_mul_i32 s4, s2, 0x600
	s_mov_b32 s5, 0
	v_lshlrev_b32_e32 v26, 3, v0
	s_waitcnt lgkmcnt(0)
	s_lshl_b64 s[24:25], s[18:19], 3
	s_add_u32 s6, s16, s24
	s_addc_u32 s7, s17, s25
	s_add_i32 s3, s3, -1
	s_mul_i32 s8, s3, 0x600
	s_sub_u32 s30, s22, s8
	s_subb_u32 s31, s23, 0
	s_cmp_lg_u32 s2, s3
	s_cselect_b64 s[22:23], -1, 0
	s_lshl_b64 s[26:27], s[4:5], 3
	s_add_u32 s6, s6, s26
	s_addc_u32 s7, s7, s27
	s_mov_b64 s[4:5], -1
	s_and_b64 vcc, exec, s[22:23]
	s_cbranch_vccz .LBB84_2
; %bb.1:
	v_mov_b32_e32 v27, 0
	v_lshl_add_u64 v[2:3], s[6:7], 0, v[26:27]
	v_add_co_u32_e32 v8, vcc, 0x1000, v2
	global_load_dwordx2 v[4:5], v26, s[6:7]
	global_load_dwordx2 v[6:7], v26, s[6:7] offset:2048
	v_addc_co_u32_e32 v9, vcc, 0, v3, vcc
	v_add_co_u32_e32 v2, vcc, 0x2000, v2
	s_mov_b64 s[4:5], 0
	s_nop 0
	v_addc_co_u32_e32 v3, vcc, 0, v3, vcc
	global_load_dwordx2 v[10:11], v[8:9], off
	global_load_dwordx2 v[12:13], v[8:9], off offset:2048
	global_load_dwordx2 v[14:15], v[2:3], off
	global_load_dwordx2 v[16:17], v[2:3], off offset:2048
	s_waitcnt vmcnt(4)
	ds_write2st64_b64 v26, v[4:5], v[6:7] offset1:4
	s_waitcnt vmcnt(2)
	ds_write2st64_b64 v26, v[10:11], v[12:13] offset0:8 offset1:12
	s_waitcnt vmcnt(0)
	ds_write2st64_b64 v26, v[14:15], v[16:17] offset0:16 offset1:20
	s_waitcnt lgkmcnt(0)
	s_barrier
.LBB84_2:
	s_load_dwordx2 s[28:29], s[0:1], 0x30
	s_andn2_b64 vcc, exec, s[4:5]
	v_cmp_gt_u32_e64 s[4:5], s30, v0
	s_cbranch_vccnz .LBB84_16
; %bb.3:
	s_load_dwordx2 s[8:9], s[6:7], 0x0
	s_waitcnt lgkmcnt(0)
	s_mov_b32 s10, s8
	s_mov_b32 s11, s9
	;; [unrolled: 1-line block ×10, first 2 shown]
	v_mov_b64_e32 v[2:3], s[8:9]
	v_mov_b64_e32 v[4:5], s[10:11]
	;; [unrolled: 1-line block ×8, first 2 shown]
	s_and_saveexec_b64 s[10:11], s[4:5]
	s_cbranch_execz .LBB84_5
; %bb.4:
	global_load_dwordx2 v[2:3], v26, s[6:7]
	v_mov_b32_e32 v4, s8
	v_mov_b32_e32 v5, s9
	;; [unrolled: 1-line block ×10, first 2 shown]
.LBB84_5:
	s_or_b64 exec, exec, s[10:11]
	v_or_b32_e32 v1, 0x100, v0
	v_cmp_gt_u32_e32 vcc, s30, v1
	s_and_saveexec_b64 s[4:5], vcc
	s_cbranch_execz .LBB84_7
; %bb.6:
	global_load_dwordx2 v[4:5], v26, s[6:7] offset:2048
.LBB84_7:
	s_or_b64 exec, exec, s[4:5]
	v_or_b32_e32 v1, 0x200, v0
	v_cmp_gt_u32_e32 vcc, s30, v1
	s_and_saveexec_b64 s[4:5], vcc
	s_cbranch_execz .LBB84_9
; %bb.8:
	v_lshlrev_b32_e32 v1, 3, v1
	global_load_dwordx2 v[6:7], v1, s[6:7]
.LBB84_9:
	s_or_b64 exec, exec, s[4:5]
	v_or_b32_e32 v1, 0x300, v0
	v_cmp_gt_u32_e32 vcc, s30, v1
	s_and_saveexec_b64 s[4:5], vcc
	s_cbranch_execz .LBB84_11
; %bb.10:
	v_lshlrev_b32_e32 v1, 3, v1
	global_load_dwordx2 v[8:9], v1, s[6:7]
.LBB84_11:
	;; [unrolled: 9-line block ×4, first 2 shown]
	s_or_b64 exec, exec, s[4:5]
	s_waitcnt vmcnt(0)
	ds_write2st64_b64 v26, v[2:3], v[4:5] offset1:4
	ds_write2st64_b64 v26, v[6:7], v[8:9] offset0:8 offset1:12
	ds_write2st64_b64 v26, v[10:11], v[12:13] offset0:16 offset1:20
	s_waitcnt lgkmcnt(0)
	s_barrier
.LBB84_16:
	v_mul_u32_u24_e32 v1, 48, v0
	s_waitcnt lgkmcnt(0)
	ds_read_b128 v[10:13], v1
	ds_read_b128 v[6:9], v1 offset:16
	ds_read_b128 v[2:5], v1 offset:32
	s_cmp_lg_u32 s2, 0
	v_mbcnt_lo_u32_b32 v27, -1, 0
	s_waitcnt lgkmcnt(0)
	s_barrier
	s_cbranch_scc0 .LBB84_44
; %bb.17:
	v_lshl_add_u64 v[14:15], v[12:13], 0, v[10:11]
	v_lshl_add_u64 v[14:15], v[14:15], 0, v[6:7]
	v_lshl_add_u64 v[14:15], v[14:15], 0, v[8:9]
	v_lshl_add_u64 v[14:15], v[14:15], 0, v[2:3]
	v_lshl_add_u64 v[14:15], v[14:15], 0, v[4:5]
	v_mov_b32_e32 v18, 0
	v_mbcnt_hi_u32_b32 v32, -1, v27
	v_mov_b32_dpp v16, v14 row_shr:1 row_mask:0xf bank_mask:0xf
	v_mov_b32_e32 v17, v18
	v_and_b32_e32 v20, 15, v32
	v_mov_b32_dpp v19, v15 row_shr:1 row_mask:0xf bank_mask:0xf
	v_lshl_add_u64 v[16:17], v[14:15], 0, v[16:17]
	v_lshl_add_u64 v[18:19], v[18:19], 0, v[16:17]
	v_cmp_eq_u32_e32 vcc, 0, v20
	v_cmp_eq_u32_e64 s[4:5], 0, v32
	v_cmp_ne_u32_e64 s[6:7], 0, v32
	v_cndmask_b32_e32 v21, v16, v14, vcc
	v_cndmask_b32_e32 v17, v19, v15, vcc
	v_cndmask_b32_e32 v16, v18, v14, vcc
	v_mov_b32_dpp v18, v21 row_shr:2 row_mask:0xf bank_mask:0xf
	v_mov_b32_dpp v19, v17 row_shr:2 row_mask:0xf bank_mask:0xf
	v_lshl_add_u64 v[18:19], v[18:19], 0, v[16:17]
	v_cmp_lt_u32_e32 vcc, 1, v20
	s_nop 1
	v_cndmask_b32_e32 v21, v21, v18, vcc
	v_cndmask_b32_e32 v17, v17, v19, vcc
	v_cndmask_b32_e32 v16, v16, v18, vcc
	v_mov_b32_dpp v18, v21 row_shr:4 row_mask:0xf bank_mask:0xf
	v_mov_b32_dpp v19, v17 row_shr:4 row_mask:0xf bank_mask:0xf
	v_lshl_add_u64 v[18:19], v[18:19], 0, v[16:17]
	v_cmp_lt_u32_e32 vcc, 3, v20
	s_nop 1
	v_cndmask_b32_e32 v21, v21, v18, vcc
	v_cndmask_b32_e32 v17, v17, v19, vcc
	v_cndmask_b32_e32 v16, v16, v18, vcc
	v_mov_b32_dpp v18, v21 row_shr:8 row_mask:0xf bank_mask:0xf
	v_mov_b32_dpp v19, v17 row_shr:8 row_mask:0xf bank_mask:0xf
	v_lshl_add_u64 v[18:19], v[18:19], 0, v[16:17]
	v_cmp_lt_u32_e32 vcc, 7, v20
	s_nop 1
	v_cndmask_b32_e32 v20, v21, v18, vcc
	v_cndmask_b32_e32 v17, v17, v19, vcc
	;; [unrolled: 1-line block ×3, first 2 shown]
	v_mov_b32_dpp v18, v20 row_bcast:15 row_mask:0xf bank_mask:0xf
	v_mov_b32_dpp v19, v17 row_bcast:15 row_mask:0xf bank_mask:0xf
	v_and_b32_e32 v21, 16, v32
	v_lshl_add_u64 v[18:19], v[18:19], 0, v[16:17]
	v_cmp_eq_u32_e32 vcc, 0, v21
	s_nop 1
	v_cndmask_b32_e32 v21, v19, v17, vcc
	v_cndmask_b32_e32 v20, v18, v20, vcc
	s_nop 0
	v_mov_b32_dpp v21, v21 row_bcast:31 row_mask:0xf bank_mask:0xf
	v_mov_b32_dpp v20, v20 row_bcast:31 row_mask:0xf bank_mask:0xf
	s_and_saveexec_b64 s[8:9], s[6:7]
; %bb.18:
	v_cndmask_b32_e32 v15, v19, v17, vcc
	v_cndmask_b32_e32 v14, v18, v16, vcc
	v_cmp_lt_u32_e32 vcc, 31, v32
	s_nop 1
	v_cndmask_b32_e32 v17, 0, v21, vcc
	v_cndmask_b32_e32 v16, 0, v20, vcc
	v_lshl_add_u64 v[14:15], v[16:17], 0, v[14:15]
; %bb.19:
	s_or_b64 exec, exec, s[8:9]
	v_or_b32_e32 v17, 63, v0
	v_lshrrev_b32_e32 v16, 6, v0
	v_cmp_eq_u32_e32 vcc, v0, v17
	s_and_saveexec_b64 s[6:7], vcc
; %bb.20:
	v_lshlrev_b32_e32 v17, 3, v16
	ds_write_b64 v17, v[14:15]
; %bb.21:
	s_or_b64 exec, exec, s[6:7]
	v_cmp_gt_u32_e32 vcc, 4, v0
	s_waitcnt lgkmcnt(0)
	s_barrier
	s_and_saveexec_b64 s[8:9], vcc
	s_cbranch_execz .LBB84_23
; %bb.22:
	ds_read_b64 v[18:19], v26
	v_mov_b32_e32 v20, 0
	v_mov_b32_e32 v23, v20
	v_and_b32_e32 v17, 3, v32
	v_cmp_eq_u32_e32 vcc, 0, v17
	s_waitcnt lgkmcnt(0)
	v_mov_b32_dpp v22, v18 row_shr:1 row_mask:0xf bank_mask:0xf
	v_mov_b32_dpp v21, v19 row_shr:1 row_mask:0xf bank_mask:0xf
	v_lshl_add_u64 v[22:23], v[18:19], 0, v[22:23]
	v_lshl_add_u64 v[20:21], v[20:21], 0, v[22:23]
	v_cndmask_b32_e32 v23, v21, v19, vcc
	v_cndmask_b32_e32 v22, v22, v18, vcc
	v_cmp_ne_u32_e64 s[6:7], 1, v17
	v_mov_b32_dpp v23, v23 row_shr:2 row_mask:0xf bank_mask:0xf
	v_mov_b32_dpp v22, v22 row_shr:2 row_mask:0xf bank_mask:0xf
	v_cndmask_b32_e64 v22, 0, v22, s[6:7]
	v_cndmask_b32_e64 v23, 0, v23, s[6:7]
	v_lshl_add_u64 v[20:21], v[22:23], 0, v[20:21]
	v_cndmask_b32_e32 v19, v21, v19, vcc
	v_cndmask_b32_e32 v18, v20, v18, vcc
	ds_write_b64 v26, v[18:19]
.LBB84_23:
	s_or_b64 exec, exec, s[8:9]
	v_cmp_gt_u32_e32 vcc, 64, v0
	v_cmp_lt_u32_e64 s[6:7], 63, v0
	s_waitcnt lgkmcnt(0)
	s_barrier
                                        ; implicit-def: $vgpr22_vgpr23
	s_and_saveexec_b64 s[8:9], s[6:7]
	s_cbranch_execz .LBB84_25
; %bb.24:
	v_lshl_add_u32 v16, v16, 3, -8
	ds_read_b64 v[22:23], v16
	s_waitcnt lgkmcnt(0)
	v_lshl_add_u64 v[14:15], v[22:23], 0, v[14:15]
.LBB84_25:
	s_or_b64 exec, exec, s[8:9]
	v_add_u32_e32 v16, -1, v32
	v_and_b32_e32 v17, 64, v32
	v_cmp_lt_i32_e64 s[6:7], v16, v17
	s_nop 1
	v_cndmask_b32_e64 v16, v16, v32, s[6:7]
	v_lshlrev_b32_e32 v16, 2, v16
	ds_bpermute_b32 v34, v16, v14
	ds_bpermute_b32 v35, v16, v15
	s_and_saveexec_b64 s[10:11], vcc
	s_cbranch_execz .LBB84_49
; %bb.26:
	v_mov_b32_e32 v17, 0
	ds_read_b64 v[14:15], v17 offset:24
	s_and_saveexec_b64 s[6:7], s[4:5]
	s_cbranch_execz .LBB84_28
; %bb.27:
	s_add_i32 s8, s2, 64
	s_mov_b32 s9, 0
	s_lshl_b64 s[8:9], s[8:9], 4
	s_add_u32 s8, s28, s8
	s_addc_u32 s9, s29, s9
	v_mov_b32_e32 v16, 1
	v_mov_b64_e32 v[18:19], s[8:9]
	s_waitcnt lgkmcnt(0)
	;;#ASMSTART
	global_store_dwordx4 v[18:19], v[14:17] off sc1	
s_waitcnt vmcnt(0)
	;;#ASMEND
.LBB84_28:
	s_or_b64 exec, exec, s[6:7]
	v_xad_u32 v24, v32, -1, s2
	v_add_u32_e32 v16, 64, v24
	v_lshl_add_u64 v[28:29], v[16:17], 4, s[28:29]
	;;#ASMSTART
	global_load_dwordx4 v[18:21], v[28:29] off sc1	
s_waitcnt vmcnt(0)
	;;#ASMEND
	s_nop 0
	v_cmp_eq_u16_sdwa s[8:9], v20, v17 src0_sel:BYTE_0 src1_sel:DWORD
	s_and_saveexec_b64 s[6:7], s[8:9]
	s_cbranch_execz .LBB84_32
; %bb.29:
	s_mov_b64 s[8:9], 0
	v_mov_b32_e32 v16, 0
.LBB84_30:                              ; =>This Inner Loop Header: Depth=1
	;;#ASMSTART
	global_load_dwordx4 v[18:21], v[28:29] off sc1	
s_waitcnt vmcnt(0)
	;;#ASMEND
	s_nop 0
	v_cmp_ne_u16_sdwa s[12:13], v20, v16 src0_sel:BYTE_0 src1_sel:DWORD
	s_or_b64 s[8:9], s[12:13], s[8:9]
	s_andn2_b64 exec, exec, s[8:9]
	s_cbranch_execnz .LBB84_30
; %bb.31:
	s_or_b64 exec, exec, s[8:9]
.LBB84_32:
	s_or_b64 exec, exec, s[6:7]
	v_mov_b32_e32 v36, 2
	v_cmp_eq_u16_sdwa s[6:7], v20, v36 src0_sel:BYTE_0 src1_sel:DWORD
	v_lshlrev_b64 v[16:17], v32, -1
	v_and_b32_e32 v37, 63, v32
	v_and_b32_e32 v21, s7, v17
	v_or_b32_e32 v21, 0x80000000, v21
	v_and_b32_e32 v25, s6, v16
	v_ffbl_b32_e32 v21, v21
	v_add_u32_e32 v21, 32, v21
	v_ffbl_b32_e32 v25, v25
	v_cmp_ne_u32_e32 vcc, 63, v37
	v_min_u32_e32 v21, v25, v21
	v_cmp_lt_u32_e64 s[6:7], v37, v21
	v_addc_co_u32_e32 v25, vcc, 0, v32, vcc
	v_lshlrev_b32_e32 v38, 2, v25
	ds_bpermute_b32 v28, v38, v18
	ds_bpermute_b32 v31, v38, v19
	v_mov_b32_e32 v25, 0
	v_mov_b32_e32 v29, v25
	;; [unrolled: 1-line block ×3, first 2 shown]
	s_waitcnt lgkmcnt(1)
	v_lshl_add_u64 v[28:29], v[18:19], 0, v[28:29]
	v_cmp_gt_u32_e32 vcc, 62, v37
	s_waitcnt lgkmcnt(0)
	v_lshl_add_u64 v[30:31], v[30:31], 0, v[28:29]
	v_cndmask_b32_e64 v33, v18, v28, s[6:7]
	v_cndmask_b32_e64 v28, 0, 2, vcc
	v_cndmask_b32_e64 v29, v19, v31, s[6:7]
	v_add_lshl_u32 v39, v28, v32, 2
	ds_bpermute_b32 v42, v39, v33
	ds_bpermute_b32 v43, v39, v29
	v_cndmask_b32_e64 v28, v18, v30, s[6:7]
	v_add_u32_e32 v40, 2, v37
	v_cmp_gt_u32_e32 vcc, v40, v21
	v_cmp_gt_u32_e64 s[8:9], 60, v37
	s_waitcnt lgkmcnt(0)
	v_lshl_add_u64 v[30:31], v[42:43], 0, v[28:29]
	v_cndmask_b32_e32 v29, v31, v29, vcc
	v_cndmask_b32_e64 v31, 0, 4, s[8:9]
	v_cndmask_b32_e32 v33, v30, v33, vcc
	v_add_lshl_u32 v41, v31, v32, 2
	ds_bpermute_b32 v44, v41, v33
	ds_bpermute_b32 v45, v41, v29
	v_cndmask_b32_e32 v28, v30, v28, vcc
	v_add_u32_e32 v42, 4, v37
	v_cmp_gt_u32_e32 vcc, v42, v21
	v_cmp_gt_u32_e64 s[8:9], 56, v37
	s_waitcnt lgkmcnt(0)
	v_lshl_add_u64 v[30:31], v[44:45], 0, v[28:29]
	v_cndmask_b32_e32 v29, v31, v29, vcc
	v_cndmask_b32_e64 v31, 0, 8, s[8:9]
	v_cndmask_b32_e32 v33, v30, v33, vcc
	v_add_lshl_u32 v43, v31, v32, 2
	ds_bpermute_b32 v46, v43, v33
	ds_bpermute_b32 v47, v43, v29
	v_cndmask_b32_e32 v28, v30, v28, vcc
	;; [unrolled: 12-line block ×3, first 2 shown]
	v_add_u32_e32 v46, 16, v37
	v_cmp_gt_u32_e32 vcc, v46, v21
	v_mov_b32_e32 v47, 0x80
	s_waitcnt lgkmcnt(0)
	v_lshl_add_u64 v[30:31], v[48:49], 0, v[28:29]
	v_cndmask_b32_e32 v48, v31, v29, vcc
	v_cndmask_b32_e32 v33, v30, v33, vcc
	v_lshl_or_b32 v47, v32, 2, v47
	ds_bpermute_b32 v32, v47, v33
	ds_bpermute_b32 v33, v47, v48
	v_add_u32_e32 v48, 32, v37
	s_and_saveexec_b64 s[8:9], s[6:7]
	s_cbranch_execz .LBB84_34
; %bb.33:
	v_cndmask_b32_e32 v19, v31, v29, vcc
	v_cndmask_b32_e32 v18, v30, v28, vcc
	v_cmp_le_u32_e32 vcc, v48, v21
	s_waitcnt lgkmcnt(0)
	s_nop 0
	v_cndmask_b32_e32 v29, 0, v33, vcc
	v_cndmask_b32_e32 v28, 0, v32, vcc
	v_lshl_add_u64 v[18:19], v[28:29], 0, v[18:19]
.LBB84_34:
	s_or_b64 exec, exec, s[8:9]
	s_branch .LBB84_37
.LBB84_35:                              ;   in Loop: Header=BB84_37 Depth=1
	s_or_b64 exec, exec, s[8:9]
	v_subrev_u32_e32 v24, 64, v24
	v_lshl_add_u64 v[18:19], v[18:19], 0, v[28:29]
	s_mov_b64 s[6:7], 0
.LBB84_36:                              ;   in Loop: Header=BB84_37 Depth=1
	s_and_b64 vcc, exec, s[6:7]
	s_cbranch_vccnz .LBB84_45
.LBB84_37:                              ; =>This Loop Header: Depth=1
                                        ;     Child Loop BB84_40 Depth 2
	v_cmp_ne_u16_sdwa s[6:7], v20, v36 src0_sel:BYTE_0 src1_sel:DWORD
	v_mov_b64_e32 v[28:29], v[18:19]
	s_cmp_lg_u64 s[6:7], exec
	s_mov_b64 s[6:7], -1
                                        ; implicit-def: $vgpr18_vgpr19
	s_cbranch_scc1 .LBB84_36
; %bb.38:                               ;   in Loop: Header=BB84_37 Depth=1
	v_lshl_add_u64 v[30:31], v[24:25], 4, s[28:29]
	;;#ASMSTART
	global_load_dwordx4 v[18:21], v[30:31] off sc1	
s_waitcnt vmcnt(0)
	;;#ASMEND
	s_nop 0
	v_cmp_eq_u16_sdwa s[8:9], v20, v25 src0_sel:BYTE_0 src1_sel:DWORD
	s_and_saveexec_b64 s[6:7], s[8:9]
	s_cbranch_execz .LBB84_42
; %bb.39:                               ;   in Loop: Header=BB84_37 Depth=1
	s_mov_b64 s[8:9], 0
.LBB84_40:                              ;   Parent Loop BB84_37 Depth=1
                                        ; =>  This Inner Loop Header: Depth=2
	;;#ASMSTART
	global_load_dwordx4 v[18:21], v[30:31] off sc1	
s_waitcnt vmcnt(0)
	;;#ASMEND
	s_nop 0
	v_cmp_ne_u16_sdwa s[12:13], v20, v25 src0_sel:BYTE_0 src1_sel:DWORD
	s_or_b64 s[8:9], s[12:13], s[8:9]
	s_andn2_b64 exec, exec, s[8:9]
	s_cbranch_execnz .LBB84_40
; %bb.41:                               ;   in Loop: Header=BB84_37 Depth=1
	s_or_b64 exec, exec, s[8:9]
.LBB84_42:                              ;   in Loop: Header=BB84_37 Depth=1
	s_or_b64 exec, exec, s[6:7]
	v_cmp_eq_u16_sdwa s[6:7], v20, v36 src0_sel:BYTE_0 src1_sel:DWORD
	s_waitcnt lgkmcnt(0)
	ds_bpermute_b32 v33, v38, v19
	v_mov_b32_e32 v32, v25
	v_and_b32_e32 v30, s6, v16
	v_and_b32_e32 v21, s7, v17
	v_ffbl_b32_e32 v31, v30
	ds_bpermute_b32 v30, v38, v18
	v_or_b32_e32 v21, 0x80000000, v21
	v_ffbl_b32_e32 v21, v21
	v_add_u32_e32 v21, 32, v21
	v_min_u32_e32 v21, v31, v21
	v_mov_b32_e32 v31, v25
	s_waitcnt lgkmcnt(0)
	v_lshl_add_u64 v[30:31], v[18:19], 0, v[30:31]
	v_lshl_add_u64 v[32:33], v[32:33], 0, v[30:31]
	v_cmp_lt_u32_e64 s[6:7], v37, v21
	v_cmp_gt_u32_e32 vcc, v40, v21
	s_nop 0
	v_cndmask_b32_e64 v49, v18, v30, s[6:7]
	v_cndmask_b32_e64 v31, v19, v33, s[6:7]
	ds_bpermute_b32 v50, v39, v49
	ds_bpermute_b32 v51, v39, v31
	v_cndmask_b32_e64 v30, v18, v32, s[6:7]
	s_waitcnt lgkmcnt(0)
	v_lshl_add_u64 v[32:33], v[50:51], 0, v[30:31]
	v_cndmask_b32_e32 v49, v32, v49, vcc
	v_cndmask_b32_e32 v31, v33, v31, vcc
	ds_bpermute_b32 v50, v41, v49
	ds_bpermute_b32 v51, v41, v31
	v_cndmask_b32_e32 v30, v32, v30, vcc
	v_cmp_gt_u32_e32 vcc, v42, v21
	s_waitcnt lgkmcnt(0)
	v_lshl_add_u64 v[32:33], v[50:51], 0, v[30:31]
	v_cndmask_b32_e32 v49, v32, v49, vcc
	v_cndmask_b32_e32 v31, v33, v31, vcc
	ds_bpermute_b32 v50, v43, v49
	ds_bpermute_b32 v51, v43, v31
	v_cndmask_b32_e32 v30, v32, v30, vcc
	v_cmp_gt_u32_e32 vcc, v44, v21
	;; [unrolled: 8-line block ×3, first 2 shown]
	s_waitcnt lgkmcnt(0)
	v_lshl_add_u64 v[32:33], v[50:51], 0, v[30:31]
	v_cndmask_b32_e32 v50, v33, v31, vcc
	v_cndmask_b32_e32 v49, v32, v49, vcc
	ds_bpermute_b32 v49, v47, v49
	ds_bpermute_b32 v50, v47, v50
	s_and_saveexec_b64 s[8:9], s[6:7]
	s_cbranch_execz .LBB84_35
; %bb.43:                               ;   in Loop: Header=BB84_37 Depth=1
	v_cndmask_b32_e32 v19, v33, v31, vcc
	v_cndmask_b32_e32 v18, v32, v30, vcc
	v_cmp_le_u32_e32 vcc, v48, v21
	s_waitcnt lgkmcnt(0)
	s_nop 0
	v_cndmask_b32_e32 v31, 0, v50, vcc
	v_cndmask_b32_e32 v30, 0, v49, vcc
	v_lshl_add_u64 v[18:19], v[30:31], 0, v[18:19]
	s_branch .LBB84_35
.LBB84_44:
                                        ; implicit-def: $vgpr20_vgpr21
                                        ; implicit-def: $vgpr24_vgpr25
                                        ; implicit-def: $vgpr16_vgpr17
	s_load_dwordx8 s[4:11], s[0:1], 0x40
	s_cbranch_execnz .LBB84_50
	s_branch .LBB84_65
.LBB84_45:
	s_and_saveexec_b64 s[6:7], s[4:5]
	s_cbranch_execz .LBB84_47
; %bb.46:
	s_add_i32 s2, s2, 64
	s_mov_b32 s3, 0
	s_lshl_b64 s[2:3], s[2:3], 4
	s_add_u32 s2, s28, s2
	s_addc_u32 s3, s29, s3
	v_lshl_add_u64 v[14:15], v[28:29], 0, v[14:15]
	v_mov_b32_e32 v16, 2
	v_mov_b32_e32 v17, 0
	v_mov_b64_e32 v[18:19], s[2:3]
	;;#ASMSTART
	global_store_dwordx4 v[18:19], v[14:17] off sc1	
s_waitcnt vmcnt(0)
	;;#ASMEND
.LBB84_47:
	s_or_b64 exec, exec, s[6:7]
	v_cmp_eq_u32_e32 vcc, 0, v0
	s_and_b64 exec, exec, vcc
; %bb.48:
	v_mov_b32_e32 v14, 0
	ds_write_b64 v14, v[28:29] offset:24
.LBB84_49:
	s_or_b64 exec, exec, s[10:11]
	v_mov_b32_e32 v14, 0
	s_waitcnt lgkmcnt(0)
	s_barrier
	ds_read_b64 v[14:15], v14 offset:24
	v_cndmask_b32_e64 v16, v34, v22, s[4:5]
	v_cndmask_b32_e64 v17, v35, v23, s[4:5]
	v_cmp_ne_u32_e32 vcc, 0, v0
	s_nop 1
	v_cndmask_b32_e32 v17, 0, v17, vcc
	v_cndmask_b32_e32 v16, 0, v16, vcc
	v_lshl_add_u64 v[16:17], v[16:17], 0, v[10:11]
	s_waitcnt lgkmcnt(0)
	v_lshl_add_u64 v[14:15], v[16:17], 0, v[14:15]
	v_lshl_add_u64 v[16:17], v[14:15], 0, v[12:13]
	;; [unrolled: 1-line block ×6, first 2 shown]
	s_load_dwordx8 s[4:11], s[0:1], 0x40
	s_branch .LBB84_65
.LBB84_50:
	s_waitcnt lgkmcnt(0)
	s_cmp_lg_u64 s[8:9], 0
	s_cselect_b64 s[2:3], -1, 0
	v_cmp_eq_u32_e64 s[0:1], 0, v0
	v_cmp_ne_u32_e32 vcc, 0, v0
	s_and_b64 s[2:3], s[0:1], s[2:3]
	v_mov_b64_e32 v[14:15], v[10:11]
	s_and_saveexec_b64 s[0:1], s[2:3]
	s_cbranch_execz .LBB84_52
; %bb.51:
	v_mov_b32_e32 v14, 0
	global_load_dwordx2 v[14:15], v14, s[4:5]
	s_waitcnt vmcnt(0)
	v_lshl_add_u64 v[14:15], v[14:15], 0, v[10:11]
.LBB84_52:
	s_or_b64 exec, exec, s[0:1]
	v_lshl_add_u64 v[16:17], v[12:13], 0, v[14:15]
	v_lshl_add_u64 v[22:23], v[16:17], 0, v[6:7]
	;; [unrolled: 1-line block ×5, first 2 shown]
	v_mov_b32_e32 v28, 0
	v_mbcnt_hi_u32_b32 v27, -1, v27
	v_mov_b32_dpp v10, v20 row_shr:1 row_mask:0xf bank_mask:0xf
	v_mov_b32_e32 v11, v28
	v_and_b32_e32 v30, 15, v27
	v_mov_b32_dpp v29, v21 row_shr:1 row_mask:0xf bank_mask:0xf
	v_lshl_add_u64 v[10:11], v[20:21], 0, v[10:11]
	v_lshl_add_u64 v[28:29], v[10:11], 0, v[28:29]
	v_cmp_eq_u32_e64 s[0:1], 0, v30
	v_and_b32_e32 v33, 16, v27
	v_cmp_eq_u32_e64 s[2:3], 0, v33
	v_cndmask_b32_e64 v31, v10, v20, s[0:1]
	v_cndmask_b32_e64 v11, v29, v21, s[0:1]
	v_cndmask_b32_e64 v10, v28, v20, s[0:1]
	v_mov_b32_dpp v28, v31 row_shr:2 row_mask:0xf bank_mask:0xf
	v_mov_b32_dpp v29, v11 row_shr:2 row_mask:0xf bank_mask:0xf
	v_lshl_add_u64 v[28:29], v[28:29], 0, v[10:11]
	v_cmp_lt_u32_e64 s[0:1], 1, v30
	v_cmp_ne_u32_e64 s[4:5], 0, v27
	s_nop 0
	v_cndmask_b32_e64 v31, v31, v28, s[0:1]
	v_cndmask_b32_e64 v11, v11, v29, s[0:1]
	;; [unrolled: 1-line block ×3, first 2 shown]
	v_mov_b32_dpp v28, v31 row_shr:4 row_mask:0xf bank_mask:0xf
	v_mov_b32_dpp v29, v11 row_shr:4 row_mask:0xf bank_mask:0xf
	v_lshl_add_u64 v[28:29], v[28:29], 0, v[10:11]
	v_cmp_lt_u32_e64 s[0:1], 3, v30
	s_nop 1
	v_cndmask_b32_e64 v31, v31, v28, s[0:1]
	v_cndmask_b32_e64 v11, v11, v29, s[0:1]
	;; [unrolled: 1-line block ×3, first 2 shown]
	v_mov_b32_dpp v28, v31 row_shr:8 row_mask:0xf bank_mask:0xf
	v_mov_b32_dpp v29, v11 row_shr:8 row_mask:0xf bank_mask:0xf
	v_lshl_add_u64 v[28:29], v[28:29], 0, v[10:11]
	v_cmp_lt_u32_e64 s[0:1], 7, v30
	s_nop 1
	v_cndmask_b32_e64 v32, v31, v28, s[0:1]
	v_cndmask_b32_e64 v29, v11, v29, s[0:1]
	;; [unrolled: 1-line block ×3, first 2 shown]
	v_mov_b32_dpp v10, v32 row_bcast:15 row_mask:0xf bank_mask:0xf
	v_mov_b32_dpp v11, v29 row_bcast:15 row_mask:0xf bank_mask:0xf
	v_lshl_add_u64 v[30:31], v[10:11], 0, v[28:29]
	v_cndmask_b32_e64 v10, v31, v29, s[2:3]
	v_cndmask_b32_e64 v11, v30, v32, s[2:3]
	v_cmp_eq_u32_e64 s[0:1], 0, v27
	v_mov_b32_dpp v33, v10 row_bcast:31 row_mask:0xf bank_mask:0xf
	v_mov_b32_dpp v32, v11 row_bcast:31 row_mask:0xf bank_mask:0xf
	v_mov_b64_e32 v[10:11], v[20:21]
	s_and_saveexec_b64 s[8:9], s[4:5]
; %bb.53:
	v_cndmask_b32_e64 v11, v31, v29, s[2:3]
	v_cndmask_b32_e64 v10, v30, v28, s[2:3]
	v_cmp_lt_u32_e64 s[2:3], 31, v27
	s_nop 1
	v_cndmask_b32_e64 v29, 0, v33, s[2:3]
	v_cndmask_b32_e64 v28, 0, v32, s[2:3]
	v_lshl_add_u64 v[10:11], v[28:29], 0, v[10:11]
; %bb.54:
	s_or_b64 exec, exec, s[8:9]
	v_or_b32_e32 v28, 63, v0
	v_lshrrev_b32_e32 v30, 6, v0
	v_cmp_eq_u32_e64 s[2:3], v0, v28
	s_and_saveexec_b64 s[4:5], s[2:3]
; %bb.55:
	v_lshlrev_b32_e32 v28, 3, v30
	ds_write_b64 v28, v[10:11]
; %bb.56:
	s_or_b64 exec, exec, s[4:5]
	v_cmp_gt_u32_e64 s[2:3], 4, v0
	s_waitcnt lgkmcnt(0)
	s_barrier
	s_and_saveexec_b64 s[8:9], s[2:3]
	s_cbranch_execz .LBB84_58
; %bb.57:
	s_movk_i32 s2, 0xffd8
	v_mad_i32_i24 v31, v0, s2, v1
	ds_read_b64 v[28:29], v31
	v_mov_b32_e32 v32, 0
	v_mov_b32_e32 v35, v32
	v_and_b32_e32 v36, 3, v27
	v_cmp_eq_u32_e64 s[2:3], 0, v36
	s_waitcnt lgkmcnt(0)
	v_mov_b32_dpp v34, v28 row_shr:1 row_mask:0xf bank_mask:0xf
	v_mov_b32_dpp v33, v29 row_shr:1 row_mask:0xf bank_mask:0xf
	v_lshl_add_u64 v[34:35], v[28:29], 0, v[34:35]
	v_lshl_add_u64 v[32:33], v[32:33], 0, v[34:35]
	v_cndmask_b32_e64 v35, v33, v29, s[2:3]
	v_cndmask_b32_e64 v34, v34, v28, s[2:3]
	v_cmp_ne_u32_e64 s[4:5], 1, v36
	v_mov_b32_dpp v35, v35 row_shr:2 row_mask:0xf bank_mask:0xf
	v_mov_b32_dpp v34, v34 row_shr:2 row_mask:0xf bank_mask:0xf
	v_cndmask_b32_e64 v34, 0, v34, s[4:5]
	v_cndmask_b32_e64 v35, 0, v35, s[4:5]
	v_lshl_add_u64 v[32:33], v[34:35], 0, v[32:33]
	v_cndmask_b32_e64 v29, v33, v29, s[2:3]
	v_cndmask_b32_e64 v28, v32, v28, s[2:3]
	ds_write_b64 v31, v[28:29]
.LBB84_58:
	s_or_b64 exec, exec, s[8:9]
	v_cmp_lt_u32_e64 s[2:3], 63, v0
	s_waitcnt lgkmcnt(0)
	s_barrier
                                        ; implicit-def: $vgpr28_vgpr29
	s_and_saveexec_b64 s[4:5], s[2:3]
	s_cbranch_execz .LBB84_60
; %bb.59:
	v_lshl_add_u32 v28, v30, 3, -8
	ds_read_b64 v[28:29], v28
	s_waitcnt lgkmcnt(0)
	v_lshl_add_u64 v[10:11], v[28:29], 0, v[10:11]
.LBB84_60:
	s_or_b64 exec, exec, s[4:5]
	v_add_u32_e32 v30, -1, v27
	v_and_b32_e32 v31, 64, v27
	v_cmp_lt_i32_e64 s[2:3], v30, v31
	s_nop 1
	v_cndmask_b32_e64 v27, v30, v27, s[2:3]
	v_lshlrev_b32_e32 v27, 2, v27
	ds_bpermute_b32 v10, v27, v10
	ds_bpermute_b32 v11, v27, v11
	s_and_saveexec_b64 s[2:3], vcc
	s_cbranch_execz .LBB84_62
; %bb.61:
	s_waitcnt lgkmcnt(0)
	v_cndmask_b32_e64 v11, v11, v29, s[0:1]
	v_cndmask_b32_e64 v10, v10, v28, s[0:1]
	v_lshl_add_u64 v[14:15], v[10:11], 0, v[14:15]
	v_lshl_add_u64 v[16:17], v[14:15], 0, v[12:13]
	;; [unrolled: 1-line block ×6, first 2 shown]
	;;#ASMSTART
	;;#ASMEND
.LBB84_62:
	s_or_b64 exec, exec, s[2:3]
	s_movk_i32 s0, 0xff
	v_cmp_eq_u32_e32 vcc, s0, v0
	s_and_saveexec_b64 s[0:1], vcc
	s_cbranch_execz .LBB84_64
; %bb.63:
	s_add_u32 s2, s28, 0x400
	s_addc_u32 s3, s29, 0
	v_mov_b32_e32 v4, 2
	v_mov_b32_e32 v5, 0
	;; [unrolled: 1-line block ×4, first 2 shown]
	v_mov_b64_e32 v[6:7], s[2:3]
	;;#ASMSTART
	global_store_dwordx4 v[6:7], v[2:5] off sc1	
s_waitcnt vmcnt(0)
	;;#ASMEND
.LBB84_64:
	s_or_b64 exec, exec, s[0:1]
.LBB84_65:
	s_add_u32 s0, s20, s24
	s_addc_u32 s1, s21, s25
	s_add_u32 s0, s0, s26
	s_addc_u32 s1, s1, s27
	s_mov_b64 s[2:3], -1
	s_and_b64 vcc, exec, s[22:23]
	s_waitcnt lgkmcnt(0)
	s_barrier
	s_cbranch_vccz .LBB84_67
; %bb.66:
	ds_write_b128 v1, v[14:17]
	ds_write_b128 v1, v[22:25] offset:16
	ds_write_b128 v1, v[18:21] offset:32
	s_waitcnt lgkmcnt(0)
	s_barrier
	ds_read2st64_b64 v[2:5], v26 offset1:4
	ds_read2st64_b64 v[6:9], v26 offset0:8 offset1:12
	ds_read2st64_b64 v[10:13], v26 offset0:16 offset1:20
	v_mov_b32_e32 v27, 0
	v_lshl_add_u64 v[28:29], s[0:1], 0, v[26:27]
	s_waitcnt lgkmcnt(2)
	global_store_dwordx2 v26, v[2:3], s[0:1]
	global_store_dwordx2 v26, v[4:5], s[0:1] offset:2048
	v_add_co_u32_e32 v2, vcc, 0x1000, v28
	s_mov_b64 s[2:3], 0
	s_nop 0
	v_addc_co_u32_e32 v3, vcc, 0, v29, vcc
	s_waitcnt lgkmcnt(1)
	global_store_dwordx2 v[2:3], v[6:7], off
	global_store_dwordx2 v[2:3], v[8:9], off offset:2048
	v_add_co_u32_e32 v2, vcc, 0x2000, v28
	s_nop 1
	v_addc_co_u32_e32 v3, vcc, 0, v29, vcc
	s_waitcnt lgkmcnt(0)
	global_store_dwordx2 v[2:3], v[10:11], off
	global_store_dwordx2 v[2:3], v[12:13], off offset:2048
.LBB84_67:
	s_andn2_b64 vcc, exec, s[2:3]
	s_cbranch_vccnz .LBB84_100
; %bb.68:
	ds_write_b128 v1, v[14:17]
	ds_write_b128 v1, v[22:25] offset:16
	ds_write_b128 v1, v[18:21] offset:32
	s_waitcnt lgkmcnt(0)
	s_barrier
	ds_read2st64_b64 v[4:7], v26 offset1:4
	ds_read2st64_b64 v[8:11], v26 offset0:8 offset1:12
	ds_read2st64_b64 v[12:15], v26 offset0:16 offset1:20
	v_mov_b32_e32 v27, 0
	v_lshl_add_u64 v[2:3], s[0:1], 0, v[26:27]
	v_cmp_gt_u32_e32 vcc, s30, v0
	s_and_saveexec_b64 s[0:1], vcc
	s_cbranch_execz .LBB84_70
; %bb.69:
	s_waitcnt lgkmcnt(2)
	global_store_dwordx2 v[2:3], v[4:5], off
.LBB84_70:
	s_or_b64 exec, exec, s[0:1]
	v_or_b32_e32 v1, 0x100, v0
	v_cmp_gt_u32_e32 vcc, s30, v1
	s_and_saveexec_b64 s[0:1], vcc
	s_cbranch_execz .LBB84_72
; %bb.71:
	s_waitcnt lgkmcnt(2)
	global_store_dwordx2 v[2:3], v[6:7], off offset:2048
.LBB84_72:
	s_or_b64 exec, exec, s[0:1]
	v_or_b32_e32 v1, 0x200, v0
	v_cmp_gt_u32_e32 vcc, s30, v1
	s_and_saveexec_b64 s[0:1], vcc
	s_cbranch_execz .LBB84_74
; %bb.73:
	v_add_co_u32_e32 v16, vcc, 0x1000, v2
	s_nop 1
	v_addc_co_u32_e32 v17, vcc, 0, v3, vcc
	s_waitcnt lgkmcnt(1)
	global_store_dwordx2 v[16:17], v[8:9], off
.LBB84_74:
	s_or_b64 exec, exec, s[0:1]
	v_or_b32_e32 v1, 0x300, v0
	v_cmp_gt_u32_e32 vcc, s30, v1
	s_and_saveexec_b64 s[0:1], vcc
	s_cbranch_execz .LBB84_76
; %bb.75:
	v_add_co_u32_e32 v16, vcc, 0x1000, v2
	s_nop 1
	v_addc_co_u32_e32 v17, vcc, 0, v3, vcc
	s_waitcnt lgkmcnt(1)
	global_store_dwordx2 v[16:17], v[10:11], off offset:2048
.LBB84_76:
	s_or_b64 exec, exec, s[0:1]
	v_or_b32_e32 v1, 0x400, v0
	v_cmp_gt_u32_e32 vcc, s30, v1
	s_and_saveexec_b64 s[0:1], vcc
	s_cbranch_execz .LBB84_78
; %bb.77:
	v_add_co_u32_e32 v16, vcc, 0x2000, v2
	s_nop 1
	v_addc_co_u32_e32 v17, vcc, 0, v3, vcc
	s_waitcnt lgkmcnt(0)
	global_store_dwordx2 v[16:17], v[12:13], off
.LBB84_78:
	s_or_b64 exec, exec, s[0:1]
	v_or_b32_e32 v1, 0x500, v0
	v_cmp_gt_u32_e32 vcc, s30, v1
	s_and_saveexec_b64 s[0:1], vcc
	s_cbranch_execz .LBB84_80
; %bb.79:
	v_add_co_u32_e32 v2, vcc, 0x2000, v2
	s_nop 1
	v_addc_co_u32_e32 v3, vcc, 0, v3, vcc
	s_waitcnt lgkmcnt(0)
	global_store_dwordx2 v[2:3], v[14:15], off offset:2048
.LBB84_80:
	s_or_b64 exec, exec, s[0:1]
	v_cmp_lt_u64_e64 s[0:1], s[10:11], 2
	s_and_b64 vcc, exec, s[0:1]
	s_cbranch_vccnz .LBB84_100
; %bb.81:
	s_add_u32 s0, s30, -1
	s_addc_u32 s1, s31, -1
	s_mul_i32 s5, s1, 0xaaaaaaab
	s_mul_hi_u32 s8, s0, 0xaaaaaaab
	s_mul_hi_u32 s4, s1, 0xaaaaaaab
	s_add_u32 s5, s5, s8
	s_mul_i32 s3, s0, 0xaaaaaaaa
	s_addc_u32 s4, s4, 0
	s_mul_hi_u32 s2, s0, 0xaaaaaaaa
	s_add_u32 s3, s3, s5
	s_addc_u32 s2, s2, 0
	s_add_u32 s2, s4, s2
	s_addc_u32 s3, 0, 0
	s_mul_i32 s5, s1, 0xaaaaaaaa
	s_mul_hi_u32 s4, s1, 0xaaaaaaaa
	s_add_u32 s2, s5, s2
	s_addc_u32 s3, s4, s3
	v_mov_b32_e32 v1, v27
	s_lshr_b64 s[2:3], s[2:3], 2
	v_cmp_eq_u64_e32 vcc, s[2:3], v[0:1]
	s_and_saveexec_b64 s[2:3], vcc
	s_cbranch_execz .LBB84_100
; %bb.82:
	v_mul_hi_u32_u24_e32 v1, 6, v0
	v_mul_u32_u24_e32 v0, 6, v0
	v_mov_b32_e32 v2, s1
	v_sub_co_u32_e32 v0, vcc, s0, v0
	s_nop 1
	v_subb_co_u32_e32 v1, vcc, v2, v1, vcc
	v_cmp_lt_i64_e32 vcc, 2, v[0:1]
	s_and_saveexec_b64 s[0:1], vcc
	s_xor_b64 s[0:1], exec, s[0:1]
	s_cbranch_execz .LBB84_92
; %bb.83:
	v_cmp_lt_i64_e32 vcc, 3, v[0:1]
	s_and_saveexec_b64 s[2:3], vcc
	s_xor_b64 s[2:3], exec, s[2:3]
	s_cbranch_execz .LBB84_89
; %bb.84:
	;; [unrolled: 5-line block ×3, first 2 shown]
	v_mov_b32_e32 v0, 0
	s_waitcnt lgkmcnt(0)
	global_store_dwordx2 v0, v[14:15], s[6:7]
                                        ; implicit-def: $vgpr12_vgpr13_vgpr14_vgpr15
.LBB84_86:
	s_andn2_saveexec_b64 s[4:5], s[4:5]
	s_cbranch_execz .LBB84_88
; %bb.87:
	v_mov_b32_e32 v0, 0
	s_waitcnt lgkmcnt(0)
	global_store_dwordx2 v0, v[12:13], s[6:7]
.LBB84_88:
	s_or_b64 exec, exec, s[4:5]
                                        ; implicit-def: $vgpr8_vgpr9_vgpr10_vgpr11
.LBB84_89:
	s_andn2_saveexec_b64 s[2:3], s[2:3]
	s_cbranch_execz .LBB84_91
; %bb.90:
	v_mov_b32_e32 v0, 0
	s_waitcnt lgkmcnt(1)
	global_store_dwordx2 v0, v[10:11], s[6:7]
.LBB84_91:
	s_or_b64 exec, exec, s[2:3]
                                        ; implicit-def: $vgpr0_vgpr1
                                        ; implicit-def: $vgpr8_vgpr9_vgpr10_vgpr11
                                        ; implicit-def: $vgpr4_vgpr5_vgpr6_vgpr7
.LBB84_92:
	s_andn2_saveexec_b64 s[0:1], s[0:1]
	s_cbranch_execz .LBB84_100
; %bb.93:
	v_cmp_lt_i64_e32 vcc, 1, v[0:1]
	s_and_saveexec_b64 s[0:1], vcc
	s_xor_b64 s[0:1], exec, s[0:1]
	s_cbranch_execz .LBB84_95
; %bb.94:
	v_mov_b32_e32 v0, 0
	s_waitcnt lgkmcnt(1)
	global_store_dwordx2 v0, v[8:9], s[6:7]
                                        ; implicit-def: $vgpr4_vgpr5_vgpr6_vgpr7
                                        ; implicit-def: $vgpr0_vgpr1
.LBB84_95:
	s_andn2_saveexec_b64 s[0:1], s[0:1]
	s_cbranch_execz .LBB84_100
; %bb.96:
	v_cmp_ne_u64_e32 vcc, 1, v[0:1]
	s_and_saveexec_b64 s[0:1], vcc
	s_xor_b64 s[0:1], exec, s[0:1]
	s_cbranch_execz .LBB84_98
; %bb.97:
	v_mov_b32_e32 v0, 0
	s_waitcnt lgkmcnt(2)
	global_store_dwordx2 v0, v[4:5], s[6:7]
                                        ; implicit-def: $vgpr4_vgpr5_vgpr6_vgpr7
.LBB84_98:
	s_andn2_saveexec_b64 s[0:1], s[0:1]
	s_cbranch_execz .LBB84_100
; %bb.99:
	v_mov_b32_e32 v0, 0
	s_waitcnt lgkmcnt(2)
	global_store_dwordx2 v0, v[6:7], s[6:7]
.LBB84_100:
	s_endpgm
	.section	.rodata,"a",@progbits
	.p2align	6, 0x0
	.amdhsa_kernel _ZN7rocprim17ROCPRIM_400000_NS6detail17trampoline_kernelINS0_14default_configENS1_20scan_config_selectorIlEEZZNS1_9scan_implILNS1_25lookback_scan_determinismE0ELb0ELb0ES3_PlS8_lN6thrust23THRUST_200600_302600_NS4plusIvEElEEDaPvRmT3_T4_T5_mT6_P12ihipStream_tbENKUlT_T0_E_clISt17integral_constantIbLb0EESQ_EEDaSL_SM_EUlSL_E_NS1_11comp_targetILNS1_3genE0ELNS1_11target_archE4294967295ELNS1_3gpuE0ELNS1_3repE0EEENS1_30default_config_static_selectorELNS0_4arch9wavefront6targetE1EEEvT1_
		.amdhsa_group_segment_fixed_size 12288
		.amdhsa_private_segment_fixed_size 0
		.amdhsa_kernarg_size 104
		.amdhsa_user_sgpr_count 2
		.amdhsa_user_sgpr_dispatch_ptr 0
		.amdhsa_user_sgpr_queue_ptr 0
		.amdhsa_user_sgpr_kernarg_segment_ptr 1
		.amdhsa_user_sgpr_dispatch_id 0
		.amdhsa_user_sgpr_kernarg_preload_length 0
		.amdhsa_user_sgpr_kernarg_preload_offset 0
		.amdhsa_user_sgpr_private_segment_size 0
		.amdhsa_uses_dynamic_stack 0
		.amdhsa_enable_private_segment 0
		.amdhsa_system_sgpr_workgroup_id_x 1
		.amdhsa_system_sgpr_workgroup_id_y 0
		.amdhsa_system_sgpr_workgroup_id_z 0
		.amdhsa_system_sgpr_workgroup_info 0
		.amdhsa_system_vgpr_workitem_id 0
		.amdhsa_next_free_vgpr 52
		.amdhsa_next_free_sgpr 32
		.amdhsa_accum_offset 52
		.amdhsa_reserve_vcc 1
		.amdhsa_float_round_mode_32 0
		.amdhsa_float_round_mode_16_64 0
		.amdhsa_float_denorm_mode_32 3
		.amdhsa_float_denorm_mode_16_64 3
		.amdhsa_dx10_clamp 1
		.amdhsa_ieee_mode 1
		.amdhsa_fp16_overflow 0
		.amdhsa_tg_split 0
		.amdhsa_exception_fp_ieee_invalid_op 0
		.amdhsa_exception_fp_denorm_src 0
		.amdhsa_exception_fp_ieee_div_zero 0
		.amdhsa_exception_fp_ieee_overflow 0
		.amdhsa_exception_fp_ieee_underflow 0
		.amdhsa_exception_fp_ieee_inexact 0
		.amdhsa_exception_int_div_zero 0
	.end_amdhsa_kernel
	.section	.text._ZN7rocprim17ROCPRIM_400000_NS6detail17trampoline_kernelINS0_14default_configENS1_20scan_config_selectorIlEEZZNS1_9scan_implILNS1_25lookback_scan_determinismE0ELb0ELb0ES3_PlS8_lN6thrust23THRUST_200600_302600_NS4plusIvEElEEDaPvRmT3_T4_T5_mT6_P12ihipStream_tbENKUlT_T0_E_clISt17integral_constantIbLb0EESQ_EEDaSL_SM_EUlSL_E_NS1_11comp_targetILNS1_3genE0ELNS1_11target_archE4294967295ELNS1_3gpuE0ELNS1_3repE0EEENS1_30default_config_static_selectorELNS0_4arch9wavefront6targetE1EEEvT1_,"axG",@progbits,_ZN7rocprim17ROCPRIM_400000_NS6detail17trampoline_kernelINS0_14default_configENS1_20scan_config_selectorIlEEZZNS1_9scan_implILNS1_25lookback_scan_determinismE0ELb0ELb0ES3_PlS8_lN6thrust23THRUST_200600_302600_NS4plusIvEElEEDaPvRmT3_T4_T5_mT6_P12ihipStream_tbENKUlT_T0_E_clISt17integral_constantIbLb0EESQ_EEDaSL_SM_EUlSL_E_NS1_11comp_targetILNS1_3genE0ELNS1_11target_archE4294967295ELNS1_3gpuE0ELNS1_3repE0EEENS1_30default_config_static_selectorELNS0_4arch9wavefront6targetE1EEEvT1_,comdat
.Lfunc_end84:
	.size	_ZN7rocprim17ROCPRIM_400000_NS6detail17trampoline_kernelINS0_14default_configENS1_20scan_config_selectorIlEEZZNS1_9scan_implILNS1_25lookback_scan_determinismE0ELb0ELb0ES3_PlS8_lN6thrust23THRUST_200600_302600_NS4plusIvEElEEDaPvRmT3_T4_T5_mT6_P12ihipStream_tbENKUlT_T0_E_clISt17integral_constantIbLb0EESQ_EEDaSL_SM_EUlSL_E_NS1_11comp_targetILNS1_3genE0ELNS1_11target_archE4294967295ELNS1_3gpuE0ELNS1_3repE0EEENS1_30default_config_static_selectorELNS0_4arch9wavefront6targetE1EEEvT1_, .Lfunc_end84-_ZN7rocprim17ROCPRIM_400000_NS6detail17trampoline_kernelINS0_14default_configENS1_20scan_config_selectorIlEEZZNS1_9scan_implILNS1_25lookback_scan_determinismE0ELb0ELb0ES3_PlS8_lN6thrust23THRUST_200600_302600_NS4plusIvEElEEDaPvRmT3_T4_T5_mT6_P12ihipStream_tbENKUlT_T0_E_clISt17integral_constantIbLb0EESQ_EEDaSL_SM_EUlSL_E_NS1_11comp_targetILNS1_3genE0ELNS1_11target_archE4294967295ELNS1_3gpuE0ELNS1_3repE0EEENS1_30default_config_static_selectorELNS0_4arch9wavefront6targetE1EEEvT1_
                                        ; -- End function
	.set _ZN7rocprim17ROCPRIM_400000_NS6detail17trampoline_kernelINS0_14default_configENS1_20scan_config_selectorIlEEZZNS1_9scan_implILNS1_25lookback_scan_determinismE0ELb0ELb0ES3_PlS8_lN6thrust23THRUST_200600_302600_NS4plusIvEElEEDaPvRmT3_T4_T5_mT6_P12ihipStream_tbENKUlT_T0_E_clISt17integral_constantIbLb0EESQ_EEDaSL_SM_EUlSL_E_NS1_11comp_targetILNS1_3genE0ELNS1_11target_archE4294967295ELNS1_3gpuE0ELNS1_3repE0EEENS1_30default_config_static_selectorELNS0_4arch9wavefront6targetE1EEEvT1_.num_vgpr, 52
	.set _ZN7rocprim17ROCPRIM_400000_NS6detail17trampoline_kernelINS0_14default_configENS1_20scan_config_selectorIlEEZZNS1_9scan_implILNS1_25lookback_scan_determinismE0ELb0ELb0ES3_PlS8_lN6thrust23THRUST_200600_302600_NS4plusIvEElEEDaPvRmT3_T4_T5_mT6_P12ihipStream_tbENKUlT_T0_E_clISt17integral_constantIbLb0EESQ_EEDaSL_SM_EUlSL_E_NS1_11comp_targetILNS1_3genE0ELNS1_11target_archE4294967295ELNS1_3gpuE0ELNS1_3repE0EEENS1_30default_config_static_selectorELNS0_4arch9wavefront6targetE1EEEvT1_.num_agpr, 0
	.set _ZN7rocprim17ROCPRIM_400000_NS6detail17trampoline_kernelINS0_14default_configENS1_20scan_config_selectorIlEEZZNS1_9scan_implILNS1_25lookback_scan_determinismE0ELb0ELb0ES3_PlS8_lN6thrust23THRUST_200600_302600_NS4plusIvEElEEDaPvRmT3_T4_T5_mT6_P12ihipStream_tbENKUlT_T0_E_clISt17integral_constantIbLb0EESQ_EEDaSL_SM_EUlSL_E_NS1_11comp_targetILNS1_3genE0ELNS1_11target_archE4294967295ELNS1_3gpuE0ELNS1_3repE0EEENS1_30default_config_static_selectorELNS0_4arch9wavefront6targetE1EEEvT1_.numbered_sgpr, 32
	.set _ZN7rocprim17ROCPRIM_400000_NS6detail17trampoline_kernelINS0_14default_configENS1_20scan_config_selectorIlEEZZNS1_9scan_implILNS1_25lookback_scan_determinismE0ELb0ELb0ES3_PlS8_lN6thrust23THRUST_200600_302600_NS4plusIvEElEEDaPvRmT3_T4_T5_mT6_P12ihipStream_tbENKUlT_T0_E_clISt17integral_constantIbLb0EESQ_EEDaSL_SM_EUlSL_E_NS1_11comp_targetILNS1_3genE0ELNS1_11target_archE4294967295ELNS1_3gpuE0ELNS1_3repE0EEENS1_30default_config_static_selectorELNS0_4arch9wavefront6targetE1EEEvT1_.num_named_barrier, 0
	.set _ZN7rocprim17ROCPRIM_400000_NS6detail17trampoline_kernelINS0_14default_configENS1_20scan_config_selectorIlEEZZNS1_9scan_implILNS1_25lookback_scan_determinismE0ELb0ELb0ES3_PlS8_lN6thrust23THRUST_200600_302600_NS4plusIvEElEEDaPvRmT3_T4_T5_mT6_P12ihipStream_tbENKUlT_T0_E_clISt17integral_constantIbLb0EESQ_EEDaSL_SM_EUlSL_E_NS1_11comp_targetILNS1_3genE0ELNS1_11target_archE4294967295ELNS1_3gpuE0ELNS1_3repE0EEENS1_30default_config_static_selectorELNS0_4arch9wavefront6targetE1EEEvT1_.private_seg_size, 0
	.set _ZN7rocprim17ROCPRIM_400000_NS6detail17trampoline_kernelINS0_14default_configENS1_20scan_config_selectorIlEEZZNS1_9scan_implILNS1_25lookback_scan_determinismE0ELb0ELb0ES3_PlS8_lN6thrust23THRUST_200600_302600_NS4plusIvEElEEDaPvRmT3_T4_T5_mT6_P12ihipStream_tbENKUlT_T0_E_clISt17integral_constantIbLb0EESQ_EEDaSL_SM_EUlSL_E_NS1_11comp_targetILNS1_3genE0ELNS1_11target_archE4294967295ELNS1_3gpuE0ELNS1_3repE0EEENS1_30default_config_static_selectorELNS0_4arch9wavefront6targetE1EEEvT1_.uses_vcc, 1
	.set _ZN7rocprim17ROCPRIM_400000_NS6detail17trampoline_kernelINS0_14default_configENS1_20scan_config_selectorIlEEZZNS1_9scan_implILNS1_25lookback_scan_determinismE0ELb0ELb0ES3_PlS8_lN6thrust23THRUST_200600_302600_NS4plusIvEElEEDaPvRmT3_T4_T5_mT6_P12ihipStream_tbENKUlT_T0_E_clISt17integral_constantIbLb0EESQ_EEDaSL_SM_EUlSL_E_NS1_11comp_targetILNS1_3genE0ELNS1_11target_archE4294967295ELNS1_3gpuE0ELNS1_3repE0EEENS1_30default_config_static_selectorELNS0_4arch9wavefront6targetE1EEEvT1_.uses_flat_scratch, 0
	.set _ZN7rocprim17ROCPRIM_400000_NS6detail17trampoline_kernelINS0_14default_configENS1_20scan_config_selectorIlEEZZNS1_9scan_implILNS1_25lookback_scan_determinismE0ELb0ELb0ES3_PlS8_lN6thrust23THRUST_200600_302600_NS4plusIvEElEEDaPvRmT3_T4_T5_mT6_P12ihipStream_tbENKUlT_T0_E_clISt17integral_constantIbLb0EESQ_EEDaSL_SM_EUlSL_E_NS1_11comp_targetILNS1_3genE0ELNS1_11target_archE4294967295ELNS1_3gpuE0ELNS1_3repE0EEENS1_30default_config_static_selectorELNS0_4arch9wavefront6targetE1EEEvT1_.has_dyn_sized_stack, 0
	.set _ZN7rocprim17ROCPRIM_400000_NS6detail17trampoline_kernelINS0_14default_configENS1_20scan_config_selectorIlEEZZNS1_9scan_implILNS1_25lookback_scan_determinismE0ELb0ELb0ES3_PlS8_lN6thrust23THRUST_200600_302600_NS4plusIvEElEEDaPvRmT3_T4_T5_mT6_P12ihipStream_tbENKUlT_T0_E_clISt17integral_constantIbLb0EESQ_EEDaSL_SM_EUlSL_E_NS1_11comp_targetILNS1_3genE0ELNS1_11target_archE4294967295ELNS1_3gpuE0ELNS1_3repE0EEENS1_30default_config_static_selectorELNS0_4arch9wavefront6targetE1EEEvT1_.has_recursion, 0
	.set _ZN7rocprim17ROCPRIM_400000_NS6detail17trampoline_kernelINS0_14default_configENS1_20scan_config_selectorIlEEZZNS1_9scan_implILNS1_25lookback_scan_determinismE0ELb0ELb0ES3_PlS8_lN6thrust23THRUST_200600_302600_NS4plusIvEElEEDaPvRmT3_T4_T5_mT6_P12ihipStream_tbENKUlT_T0_E_clISt17integral_constantIbLb0EESQ_EEDaSL_SM_EUlSL_E_NS1_11comp_targetILNS1_3genE0ELNS1_11target_archE4294967295ELNS1_3gpuE0ELNS1_3repE0EEENS1_30default_config_static_selectorELNS0_4arch9wavefront6targetE1EEEvT1_.has_indirect_call, 0
	.section	.AMDGPU.csdata,"",@progbits
; Kernel info:
; codeLenInByte = 4824
; TotalNumSgprs: 38
; NumVgprs: 52
; NumAgprs: 0
; TotalNumVgprs: 52
; ScratchSize: 0
; MemoryBound: 0
; FloatMode: 240
; IeeeMode: 1
; LDSByteSize: 12288 bytes/workgroup (compile time only)
; SGPRBlocks: 4
; VGPRBlocks: 6
; NumSGPRsForWavesPerEU: 38
; NumVGPRsForWavesPerEU: 52
; AccumOffset: 52
; Occupancy: 8
; WaveLimiterHint : 1
; COMPUTE_PGM_RSRC2:SCRATCH_EN: 0
; COMPUTE_PGM_RSRC2:USER_SGPR: 2
; COMPUTE_PGM_RSRC2:TRAP_HANDLER: 0
; COMPUTE_PGM_RSRC2:TGID_X_EN: 1
; COMPUTE_PGM_RSRC2:TGID_Y_EN: 0
; COMPUTE_PGM_RSRC2:TGID_Z_EN: 0
; COMPUTE_PGM_RSRC2:TIDIG_COMP_CNT: 0
; COMPUTE_PGM_RSRC3_GFX90A:ACCUM_OFFSET: 12
; COMPUTE_PGM_RSRC3_GFX90A:TG_SPLIT: 0
	.section	.text._ZN7rocprim17ROCPRIM_400000_NS6detail17trampoline_kernelINS0_14default_configENS1_20scan_config_selectorIlEEZZNS1_9scan_implILNS1_25lookback_scan_determinismE0ELb0ELb0ES3_PlS8_lN6thrust23THRUST_200600_302600_NS4plusIvEElEEDaPvRmT3_T4_T5_mT6_P12ihipStream_tbENKUlT_T0_E_clISt17integral_constantIbLb0EESQ_EEDaSL_SM_EUlSL_E_NS1_11comp_targetILNS1_3genE5ELNS1_11target_archE942ELNS1_3gpuE9ELNS1_3repE0EEENS1_30default_config_static_selectorELNS0_4arch9wavefront6targetE1EEEvT1_,"axG",@progbits,_ZN7rocprim17ROCPRIM_400000_NS6detail17trampoline_kernelINS0_14default_configENS1_20scan_config_selectorIlEEZZNS1_9scan_implILNS1_25lookback_scan_determinismE0ELb0ELb0ES3_PlS8_lN6thrust23THRUST_200600_302600_NS4plusIvEElEEDaPvRmT3_T4_T5_mT6_P12ihipStream_tbENKUlT_T0_E_clISt17integral_constantIbLb0EESQ_EEDaSL_SM_EUlSL_E_NS1_11comp_targetILNS1_3genE5ELNS1_11target_archE942ELNS1_3gpuE9ELNS1_3repE0EEENS1_30default_config_static_selectorELNS0_4arch9wavefront6targetE1EEEvT1_,comdat
	.protected	_ZN7rocprim17ROCPRIM_400000_NS6detail17trampoline_kernelINS0_14default_configENS1_20scan_config_selectorIlEEZZNS1_9scan_implILNS1_25lookback_scan_determinismE0ELb0ELb0ES3_PlS8_lN6thrust23THRUST_200600_302600_NS4plusIvEElEEDaPvRmT3_T4_T5_mT6_P12ihipStream_tbENKUlT_T0_E_clISt17integral_constantIbLb0EESQ_EEDaSL_SM_EUlSL_E_NS1_11comp_targetILNS1_3genE5ELNS1_11target_archE942ELNS1_3gpuE9ELNS1_3repE0EEENS1_30default_config_static_selectorELNS0_4arch9wavefront6targetE1EEEvT1_ ; -- Begin function _ZN7rocprim17ROCPRIM_400000_NS6detail17trampoline_kernelINS0_14default_configENS1_20scan_config_selectorIlEEZZNS1_9scan_implILNS1_25lookback_scan_determinismE0ELb0ELb0ES3_PlS8_lN6thrust23THRUST_200600_302600_NS4plusIvEElEEDaPvRmT3_T4_T5_mT6_P12ihipStream_tbENKUlT_T0_E_clISt17integral_constantIbLb0EESQ_EEDaSL_SM_EUlSL_E_NS1_11comp_targetILNS1_3genE5ELNS1_11target_archE942ELNS1_3gpuE9ELNS1_3repE0EEENS1_30default_config_static_selectorELNS0_4arch9wavefront6targetE1EEEvT1_
	.globl	_ZN7rocprim17ROCPRIM_400000_NS6detail17trampoline_kernelINS0_14default_configENS1_20scan_config_selectorIlEEZZNS1_9scan_implILNS1_25lookback_scan_determinismE0ELb0ELb0ES3_PlS8_lN6thrust23THRUST_200600_302600_NS4plusIvEElEEDaPvRmT3_T4_T5_mT6_P12ihipStream_tbENKUlT_T0_E_clISt17integral_constantIbLb0EESQ_EEDaSL_SM_EUlSL_E_NS1_11comp_targetILNS1_3genE5ELNS1_11target_archE942ELNS1_3gpuE9ELNS1_3repE0EEENS1_30default_config_static_selectorELNS0_4arch9wavefront6targetE1EEEvT1_
	.p2align	8
	.type	_ZN7rocprim17ROCPRIM_400000_NS6detail17trampoline_kernelINS0_14default_configENS1_20scan_config_selectorIlEEZZNS1_9scan_implILNS1_25lookback_scan_determinismE0ELb0ELb0ES3_PlS8_lN6thrust23THRUST_200600_302600_NS4plusIvEElEEDaPvRmT3_T4_T5_mT6_P12ihipStream_tbENKUlT_T0_E_clISt17integral_constantIbLb0EESQ_EEDaSL_SM_EUlSL_E_NS1_11comp_targetILNS1_3genE5ELNS1_11target_archE942ELNS1_3gpuE9ELNS1_3repE0EEENS1_30default_config_static_selectorELNS0_4arch9wavefront6targetE1EEEvT1_,@function
_ZN7rocprim17ROCPRIM_400000_NS6detail17trampoline_kernelINS0_14default_configENS1_20scan_config_selectorIlEEZZNS1_9scan_implILNS1_25lookback_scan_determinismE0ELb0ELb0ES3_PlS8_lN6thrust23THRUST_200600_302600_NS4plusIvEElEEDaPvRmT3_T4_T5_mT6_P12ihipStream_tbENKUlT_T0_E_clISt17integral_constantIbLb0EESQ_EEDaSL_SM_EUlSL_E_NS1_11comp_targetILNS1_3genE5ELNS1_11target_archE942ELNS1_3gpuE9ELNS1_3repE0EEENS1_30default_config_static_selectorELNS0_4arch9wavefront6targetE1EEEvT1_: ; @_ZN7rocprim17ROCPRIM_400000_NS6detail17trampoline_kernelINS0_14default_configENS1_20scan_config_selectorIlEEZZNS1_9scan_implILNS1_25lookback_scan_determinismE0ELb0ELb0ES3_PlS8_lN6thrust23THRUST_200600_302600_NS4plusIvEElEEDaPvRmT3_T4_T5_mT6_P12ihipStream_tbENKUlT_T0_E_clISt17integral_constantIbLb0EESQ_EEDaSL_SM_EUlSL_E_NS1_11comp_targetILNS1_3genE5ELNS1_11target_archE942ELNS1_3gpuE9ELNS1_3repE0EEENS1_30default_config_static_selectorELNS0_4arch9wavefront6targetE1EEEvT1_
; %bb.0:
	.section	.rodata,"a",@progbits
	.p2align	6, 0x0
	.amdhsa_kernel _ZN7rocprim17ROCPRIM_400000_NS6detail17trampoline_kernelINS0_14default_configENS1_20scan_config_selectorIlEEZZNS1_9scan_implILNS1_25lookback_scan_determinismE0ELb0ELb0ES3_PlS8_lN6thrust23THRUST_200600_302600_NS4plusIvEElEEDaPvRmT3_T4_T5_mT6_P12ihipStream_tbENKUlT_T0_E_clISt17integral_constantIbLb0EESQ_EEDaSL_SM_EUlSL_E_NS1_11comp_targetILNS1_3genE5ELNS1_11target_archE942ELNS1_3gpuE9ELNS1_3repE0EEENS1_30default_config_static_selectorELNS0_4arch9wavefront6targetE1EEEvT1_
		.amdhsa_group_segment_fixed_size 0
		.amdhsa_private_segment_fixed_size 0
		.amdhsa_kernarg_size 104
		.amdhsa_user_sgpr_count 2
		.amdhsa_user_sgpr_dispatch_ptr 0
		.amdhsa_user_sgpr_queue_ptr 0
		.amdhsa_user_sgpr_kernarg_segment_ptr 1
		.amdhsa_user_sgpr_dispatch_id 0
		.amdhsa_user_sgpr_kernarg_preload_length 0
		.amdhsa_user_sgpr_kernarg_preload_offset 0
		.amdhsa_user_sgpr_private_segment_size 0
		.amdhsa_uses_dynamic_stack 0
		.amdhsa_enable_private_segment 0
		.amdhsa_system_sgpr_workgroup_id_x 1
		.amdhsa_system_sgpr_workgroup_id_y 0
		.amdhsa_system_sgpr_workgroup_id_z 0
		.amdhsa_system_sgpr_workgroup_info 0
		.amdhsa_system_vgpr_workitem_id 0
		.amdhsa_next_free_vgpr 1
		.amdhsa_next_free_sgpr 0
		.amdhsa_accum_offset 4
		.amdhsa_reserve_vcc 0
		.amdhsa_float_round_mode_32 0
		.amdhsa_float_round_mode_16_64 0
		.amdhsa_float_denorm_mode_32 3
		.amdhsa_float_denorm_mode_16_64 3
		.amdhsa_dx10_clamp 1
		.amdhsa_ieee_mode 1
		.amdhsa_fp16_overflow 0
		.amdhsa_tg_split 0
		.amdhsa_exception_fp_ieee_invalid_op 0
		.amdhsa_exception_fp_denorm_src 0
		.amdhsa_exception_fp_ieee_div_zero 0
		.amdhsa_exception_fp_ieee_overflow 0
		.amdhsa_exception_fp_ieee_underflow 0
		.amdhsa_exception_fp_ieee_inexact 0
		.amdhsa_exception_int_div_zero 0
	.end_amdhsa_kernel
	.section	.text._ZN7rocprim17ROCPRIM_400000_NS6detail17trampoline_kernelINS0_14default_configENS1_20scan_config_selectorIlEEZZNS1_9scan_implILNS1_25lookback_scan_determinismE0ELb0ELb0ES3_PlS8_lN6thrust23THRUST_200600_302600_NS4plusIvEElEEDaPvRmT3_T4_T5_mT6_P12ihipStream_tbENKUlT_T0_E_clISt17integral_constantIbLb0EESQ_EEDaSL_SM_EUlSL_E_NS1_11comp_targetILNS1_3genE5ELNS1_11target_archE942ELNS1_3gpuE9ELNS1_3repE0EEENS1_30default_config_static_selectorELNS0_4arch9wavefront6targetE1EEEvT1_,"axG",@progbits,_ZN7rocprim17ROCPRIM_400000_NS6detail17trampoline_kernelINS0_14default_configENS1_20scan_config_selectorIlEEZZNS1_9scan_implILNS1_25lookback_scan_determinismE0ELb0ELb0ES3_PlS8_lN6thrust23THRUST_200600_302600_NS4plusIvEElEEDaPvRmT3_T4_T5_mT6_P12ihipStream_tbENKUlT_T0_E_clISt17integral_constantIbLb0EESQ_EEDaSL_SM_EUlSL_E_NS1_11comp_targetILNS1_3genE5ELNS1_11target_archE942ELNS1_3gpuE9ELNS1_3repE0EEENS1_30default_config_static_selectorELNS0_4arch9wavefront6targetE1EEEvT1_,comdat
.Lfunc_end85:
	.size	_ZN7rocprim17ROCPRIM_400000_NS6detail17trampoline_kernelINS0_14default_configENS1_20scan_config_selectorIlEEZZNS1_9scan_implILNS1_25lookback_scan_determinismE0ELb0ELb0ES3_PlS8_lN6thrust23THRUST_200600_302600_NS4plusIvEElEEDaPvRmT3_T4_T5_mT6_P12ihipStream_tbENKUlT_T0_E_clISt17integral_constantIbLb0EESQ_EEDaSL_SM_EUlSL_E_NS1_11comp_targetILNS1_3genE5ELNS1_11target_archE942ELNS1_3gpuE9ELNS1_3repE0EEENS1_30default_config_static_selectorELNS0_4arch9wavefront6targetE1EEEvT1_, .Lfunc_end85-_ZN7rocprim17ROCPRIM_400000_NS6detail17trampoline_kernelINS0_14default_configENS1_20scan_config_selectorIlEEZZNS1_9scan_implILNS1_25lookback_scan_determinismE0ELb0ELb0ES3_PlS8_lN6thrust23THRUST_200600_302600_NS4plusIvEElEEDaPvRmT3_T4_T5_mT6_P12ihipStream_tbENKUlT_T0_E_clISt17integral_constantIbLb0EESQ_EEDaSL_SM_EUlSL_E_NS1_11comp_targetILNS1_3genE5ELNS1_11target_archE942ELNS1_3gpuE9ELNS1_3repE0EEENS1_30default_config_static_selectorELNS0_4arch9wavefront6targetE1EEEvT1_
                                        ; -- End function
	.set _ZN7rocprim17ROCPRIM_400000_NS6detail17trampoline_kernelINS0_14default_configENS1_20scan_config_selectorIlEEZZNS1_9scan_implILNS1_25lookback_scan_determinismE0ELb0ELb0ES3_PlS8_lN6thrust23THRUST_200600_302600_NS4plusIvEElEEDaPvRmT3_T4_T5_mT6_P12ihipStream_tbENKUlT_T0_E_clISt17integral_constantIbLb0EESQ_EEDaSL_SM_EUlSL_E_NS1_11comp_targetILNS1_3genE5ELNS1_11target_archE942ELNS1_3gpuE9ELNS1_3repE0EEENS1_30default_config_static_selectorELNS0_4arch9wavefront6targetE1EEEvT1_.num_vgpr, 0
	.set _ZN7rocprim17ROCPRIM_400000_NS6detail17trampoline_kernelINS0_14default_configENS1_20scan_config_selectorIlEEZZNS1_9scan_implILNS1_25lookback_scan_determinismE0ELb0ELb0ES3_PlS8_lN6thrust23THRUST_200600_302600_NS4plusIvEElEEDaPvRmT3_T4_T5_mT6_P12ihipStream_tbENKUlT_T0_E_clISt17integral_constantIbLb0EESQ_EEDaSL_SM_EUlSL_E_NS1_11comp_targetILNS1_3genE5ELNS1_11target_archE942ELNS1_3gpuE9ELNS1_3repE0EEENS1_30default_config_static_selectorELNS0_4arch9wavefront6targetE1EEEvT1_.num_agpr, 0
	.set _ZN7rocprim17ROCPRIM_400000_NS6detail17trampoline_kernelINS0_14default_configENS1_20scan_config_selectorIlEEZZNS1_9scan_implILNS1_25lookback_scan_determinismE0ELb0ELb0ES3_PlS8_lN6thrust23THRUST_200600_302600_NS4plusIvEElEEDaPvRmT3_T4_T5_mT6_P12ihipStream_tbENKUlT_T0_E_clISt17integral_constantIbLb0EESQ_EEDaSL_SM_EUlSL_E_NS1_11comp_targetILNS1_3genE5ELNS1_11target_archE942ELNS1_3gpuE9ELNS1_3repE0EEENS1_30default_config_static_selectorELNS0_4arch9wavefront6targetE1EEEvT1_.numbered_sgpr, 0
	.set _ZN7rocprim17ROCPRIM_400000_NS6detail17trampoline_kernelINS0_14default_configENS1_20scan_config_selectorIlEEZZNS1_9scan_implILNS1_25lookback_scan_determinismE0ELb0ELb0ES3_PlS8_lN6thrust23THRUST_200600_302600_NS4plusIvEElEEDaPvRmT3_T4_T5_mT6_P12ihipStream_tbENKUlT_T0_E_clISt17integral_constantIbLb0EESQ_EEDaSL_SM_EUlSL_E_NS1_11comp_targetILNS1_3genE5ELNS1_11target_archE942ELNS1_3gpuE9ELNS1_3repE0EEENS1_30default_config_static_selectorELNS0_4arch9wavefront6targetE1EEEvT1_.num_named_barrier, 0
	.set _ZN7rocprim17ROCPRIM_400000_NS6detail17trampoline_kernelINS0_14default_configENS1_20scan_config_selectorIlEEZZNS1_9scan_implILNS1_25lookback_scan_determinismE0ELb0ELb0ES3_PlS8_lN6thrust23THRUST_200600_302600_NS4plusIvEElEEDaPvRmT3_T4_T5_mT6_P12ihipStream_tbENKUlT_T0_E_clISt17integral_constantIbLb0EESQ_EEDaSL_SM_EUlSL_E_NS1_11comp_targetILNS1_3genE5ELNS1_11target_archE942ELNS1_3gpuE9ELNS1_3repE0EEENS1_30default_config_static_selectorELNS0_4arch9wavefront6targetE1EEEvT1_.private_seg_size, 0
	.set _ZN7rocprim17ROCPRIM_400000_NS6detail17trampoline_kernelINS0_14default_configENS1_20scan_config_selectorIlEEZZNS1_9scan_implILNS1_25lookback_scan_determinismE0ELb0ELb0ES3_PlS8_lN6thrust23THRUST_200600_302600_NS4plusIvEElEEDaPvRmT3_T4_T5_mT6_P12ihipStream_tbENKUlT_T0_E_clISt17integral_constantIbLb0EESQ_EEDaSL_SM_EUlSL_E_NS1_11comp_targetILNS1_3genE5ELNS1_11target_archE942ELNS1_3gpuE9ELNS1_3repE0EEENS1_30default_config_static_selectorELNS0_4arch9wavefront6targetE1EEEvT1_.uses_vcc, 0
	.set _ZN7rocprim17ROCPRIM_400000_NS6detail17trampoline_kernelINS0_14default_configENS1_20scan_config_selectorIlEEZZNS1_9scan_implILNS1_25lookback_scan_determinismE0ELb0ELb0ES3_PlS8_lN6thrust23THRUST_200600_302600_NS4plusIvEElEEDaPvRmT3_T4_T5_mT6_P12ihipStream_tbENKUlT_T0_E_clISt17integral_constantIbLb0EESQ_EEDaSL_SM_EUlSL_E_NS1_11comp_targetILNS1_3genE5ELNS1_11target_archE942ELNS1_3gpuE9ELNS1_3repE0EEENS1_30default_config_static_selectorELNS0_4arch9wavefront6targetE1EEEvT1_.uses_flat_scratch, 0
	.set _ZN7rocprim17ROCPRIM_400000_NS6detail17trampoline_kernelINS0_14default_configENS1_20scan_config_selectorIlEEZZNS1_9scan_implILNS1_25lookback_scan_determinismE0ELb0ELb0ES3_PlS8_lN6thrust23THRUST_200600_302600_NS4plusIvEElEEDaPvRmT3_T4_T5_mT6_P12ihipStream_tbENKUlT_T0_E_clISt17integral_constantIbLb0EESQ_EEDaSL_SM_EUlSL_E_NS1_11comp_targetILNS1_3genE5ELNS1_11target_archE942ELNS1_3gpuE9ELNS1_3repE0EEENS1_30default_config_static_selectorELNS0_4arch9wavefront6targetE1EEEvT1_.has_dyn_sized_stack, 0
	.set _ZN7rocprim17ROCPRIM_400000_NS6detail17trampoline_kernelINS0_14default_configENS1_20scan_config_selectorIlEEZZNS1_9scan_implILNS1_25lookback_scan_determinismE0ELb0ELb0ES3_PlS8_lN6thrust23THRUST_200600_302600_NS4plusIvEElEEDaPvRmT3_T4_T5_mT6_P12ihipStream_tbENKUlT_T0_E_clISt17integral_constantIbLb0EESQ_EEDaSL_SM_EUlSL_E_NS1_11comp_targetILNS1_3genE5ELNS1_11target_archE942ELNS1_3gpuE9ELNS1_3repE0EEENS1_30default_config_static_selectorELNS0_4arch9wavefront6targetE1EEEvT1_.has_recursion, 0
	.set _ZN7rocprim17ROCPRIM_400000_NS6detail17trampoline_kernelINS0_14default_configENS1_20scan_config_selectorIlEEZZNS1_9scan_implILNS1_25lookback_scan_determinismE0ELb0ELb0ES3_PlS8_lN6thrust23THRUST_200600_302600_NS4plusIvEElEEDaPvRmT3_T4_T5_mT6_P12ihipStream_tbENKUlT_T0_E_clISt17integral_constantIbLb0EESQ_EEDaSL_SM_EUlSL_E_NS1_11comp_targetILNS1_3genE5ELNS1_11target_archE942ELNS1_3gpuE9ELNS1_3repE0EEENS1_30default_config_static_selectorELNS0_4arch9wavefront6targetE1EEEvT1_.has_indirect_call, 0
	.section	.AMDGPU.csdata,"",@progbits
; Kernel info:
; codeLenInByte = 0
; TotalNumSgprs: 6
; NumVgprs: 0
; NumAgprs: 0
; TotalNumVgprs: 0
; ScratchSize: 0
; MemoryBound: 0
; FloatMode: 240
; IeeeMode: 1
; LDSByteSize: 0 bytes/workgroup (compile time only)
; SGPRBlocks: 0
; VGPRBlocks: 0
; NumSGPRsForWavesPerEU: 6
; NumVGPRsForWavesPerEU: 1
; AccumOffset: 4
; Occupancy: 8
; WaveLimiterHint : 0
; COMPUTE_PGM_RSRC2:SCRATCH_EN: 0
; COMPUTE_PGM_RSRC2:USER_SGPR: 2
; COMPUTE_PGM_RSRC2:TRAP_HANDLER: 0
; COMPUTE_PGM_RSRC2:TGID_X_EN: 1
; COMPUTE_PGM_RSRC2:TGID_Y_EN: 0
; COMPUTE_PGM_RSRC2:TGID_Z_EN: 0
; COMPUTE_PGM_RSRC2:TIDIG_COMP_CNT: 0
; COMPUTE_PGM_RSRC3_GFX90A:ACCUM_OFFSET: 0
; COMPUTE_PGM_RSRC3_GFX90A:TG_SPLIT: 0
	.section	.text._ZN7rocprim17ROCPRIM_400000_NS6detail17trampoline_kernelINS0_14default_configENS1_20scan_config_selectorIlEEZZNS1_9scan_implILNS1_25lookback_scan_determinismE0ELb0ELb0ES3_PlS8_lN6thrust23THRUST_200600_302600_NS4plusIvEElEEDaPvRmT3_T4_T5_mT6_P12ihipStream_tbENKUlT_T0_E_clISt17integral_constantIbLb0EESQ_EEDaSL_SM_EUlSL_E_NS1_11comp_targetILNS1_3genE4ELNS1_11target_archE910ELNS1_3gpuE8ELNS1_3repE0EEENS1_30default_config_static_selectorELNS0_4arch9wavefront6targetE1EEEvT1_,"axG",@progbits,_ZN7rocprim17ROCPRIM_400000_NS6detail17trampoline_kernelINS0_14default_configENS1_20scan_config_selectorIlEEZZNS1_9scan_implILNS1_25lookback_scan_determinismE0ELb0ELb0ES3_PlS8_lN6thrust23THRUST_200600_302600_NS4plusIvEElEEDaPvRmT3_T4_T5_mT6_P12ihipStream_tbENKUlT_T0_E_clISt17integral_constantIbLb0EESQ_EEDaSL_SM_EUlSL_E_NS1_11comp_targetILNS1_3genE4ELNS1_11target_archE910ELNS1_3gpuE8ELNS1_3repE0EEENS1_30default_config_static_selectorELNS0_4arch9wavefront6targetE1EEEvT1_,comdat
	.protected	_ZN7rocprim17ROCPRIM_400000_NS6detail17trampoline_kernelINS0_14default_configENS1_20scan_config_selectorIlEEZZNS1_9scan_implILNS1_25lookback_scan_determinismE0ELb0ELb0ES3_PlS8_lN6thrust23THRUST_200600_302600_NS4plusIvEElEEDaPvRmT3_T4_T5_mT6_P12ihipStream_tbENKUlT_T0_E_clISt17integral_constantIbLb0EESQ_EEDaSL_SM_EUlSL_E_NS1_11comp_targetILNS1_3genE4ELNS1_11target_archE910ELNS1_3gpuE8ELNS1_3repE0EEENS1_30default_config_static_selectorELNS0_4arch9wavefront6targetE1EEEvT1_ ; -- Begin function _ZN7rocprim17ROCPRIM_400000_NS6detail17trampoline_kernelINS0_14default_configENS1_20scan_config_selectorIlEEZZNS1_9scan_implILNS1_25lookback_scan_determinismE0ELb0ELb0ES3_PlS8_lN6thrust23THRUST_200600_302600_NS4plusIvEElEEDaPvRmT3_T4_T5_mT6_P12ihipStream_tbENKUlT_T0_E_clISt17integral_constantIbLb0EESQ_EEDaSL_SM_EUlSL_E_NS1_11comp_targetILNS1_3genE4ELNS1_11target_archE910ELNS1_3gpuE8ELNS1_3repE0EEENS1_30default_config_static_selectorELNS0_4arch9wavefront6targetE1EEEvT1_
	.globl	_ZN7rocprim17ROCPRIM_400000_NS6detail17trampoline_kernelINS0_14default_configENS1_20scan_config_selectorIlEEZZNS1_9scan_implILNS1_25lookback_scan_determinismE0ELb0ELb0ES3_PlS8_lN6thrust23THRUST_200600_302600_NS4plusIvEElEEDaPvRmT3_T4_T5_mT6_P12ihipStream_tbENKUlT_T0_E_clISt17integral_constantIbLb0EESQ_EEDaSL_SM_EUlSL_E_NS1_11comp_targetILNS1_3genE4ELNS1_11target_archE910ELNS1_3gpuE8ELNS1_3repE0EEENS1_30default_config_static_selectorELNS0_4arch9wavefront6targetE1EEEvT1_
	.p2align	8
	.type	_ZN7rocprim17ROCPRIM_400000_NS6detail17trampoline_kernelINS0_14default_configENS1_20scan_config_selectorIlEEZZNS1_9scan_implILNS1_25lookback_scan_determinismE0ELb0ELb0ES3_PlS8_lN6thrust23THRUST_200600_302600_NS4plusIvEElEEDaPvRmT3_T4_T5_mT6_P12ihipStream_tbENKUlT_T0_E_clISt17integral_constantIbLb0EESQ_EEDaSL_SM_EUlSL_E_NS1_11comp_targetILNS1_3genE4ELNS1_11target_archE910ELNS1_3gpuE8ELNS1_3repE0EEENS1_30default_config_static_selectorELNS0_4arch9wavefront6targetE1EEEvT1_,@function
_ZN7rocprim17ROCPRIM_400000_NS6detail17trampoline_kernelINS0_14default_configENS1_20scan_config_selectorIlEEZZNS1_9scan_implILNS1_25lookback_scan_determinismE0ELb0ELb0ES3_PlS8_lN6thrust23THRUST_200600_302600_NS4plusIvEElEEDaPvRmT3_T4_T5_mT6_P12ihipStream_tbENKUlT_T0_E_clISt17integral_constantIbLb0EESQ_EEDaSL_SM_EUlSL_E_NS1_11comp_targetILNS1_3genE4ELNS1_11target_archE910ELNS1_3gpuE8ELNS1_3repE0EEENS1_30default_config_static_selectorELNS0_4arch9wavefront6targetE1EEEvT1_: ; @_ZN7rocprim17ROCPRIM_400000_NS6detail17trampoline_kernelINS0_14default_configENS1_20scan_config_selectorIlEEZZNS1_9scan_implILNS1_25lookback_scan_determinismE0ELb0ELb0ES3_PlS8_lN6thrust23THRUST_200600_302600_NS4plusIvEElEEDaPvRmT3_T4_T5_mT6_P12ihipStream_tbENKUlT_T0_E_clISt17integral_constantIbLb0EESQ_EEDaSL_SM_EUlSL_E_NS1_11comp_targetILNS1_3genE4ELNS1_11target_archE910ELNS1_3gpuE8ELNS1_3repE0EEENS1_30default_config_static_selectorELNS0_4arch9wavefront6targetE1EEEvT1_
; %bb.0:
	.section	.rodata,"a",@progbits
	.p2align	6, 0x0
	.amdhsa_kernel _ZN7rocprim17ROCPRIM_400000_NS6detail17trampoline_kernelINS0_14default_configENS1_20scan_config_selectorIlEEZZNS1_9scan_implILNS1_25lookback_scan_determinismE0ELb0ELb0ES3_PlS8_lN6thrust23THRUST_200600_302600_NS4plusIvEElEEDaPvRmT3_T4_T5_mT6_P12ihipStream_tbENKUlT_T0_E_clISt17integral_constantIbLb0EESQ_EEDaSL_SM_EUlSL_E_NS1_11comp_targetILNS1_3genE4ELNS1_11target_archE910ELNS1_3gpuE8ELNS1_3repE0EEENS1_30default_config_static_selectorELNS0_4arch9wavefront6targetE1EEEvT1_
		.amdhsa_group_segment_fixed_size 0
		.amdhsa_private_segment_fixed_size 0
		.amdhsa_kernarg_size 104
		.amdhsa_user_sgpr_count 2
		.amdhsa_user_sgpr_dispatch_ptr 0
		.amdhsa_user_sgpr_queue_ptr 0
		.amdhsa_user_sgpr_kernarg_segment_ptr 1
		.amdhsa_user_sgpr_dispatch_id 0
		.amdhsa_user_sgpr_kernarg_preload_length 0
		.amdhsa_user_sgpr_kernarg_preload_offset 0
		.amdhsa_user_sgpr_private_segment_size 0
		.amdhsa_uses_dynamic_stack 0
		.amdhsa_enable_private_segment 0
		.amdhsa_system_sgpr_workgroup_id_x 1
		.amdhsa_system_sgpr_workgroup_id_y 0
		.amdhsa_system_sgpr_workgroup_id_z 0
		.amdhsa_system_sgpr_workgroup_info 0
		.amdhsa_system_vgpr_workitem_id 0
		.amdhsa_next_free_vgpr 1
		.amdhsa_next_free_sgpr 0
		.amdhsa_accum_offset 4
		.amdhsa_reserve_vcc 0
		.amdhsa_float_round_mode_32 0
		.amdhsa_float_round_mode_16_64 0
		.amdhsa_float_denorm_mode_32 3
		.amdhsa_float_denorm_mode_16_64 3
		.amdhsa_dx10_clamp 1
		.amdhsa_ieee_mode 1
		.amdhsa_fp16_overflow 0
		.amdhsa_tg_split 0
		.amdhsa_exception_fp_ieee_invalid_op 0
		.amdhsa_exception_fp_denorm_src 0
		.amdhsa_exception_fp_ieee_div_zero 0
		.amdhsa_exception_fp_ieee_overflow 0
		.amdhsa_exception_fp_ieee_underflow 0
		.amdhsa_exception_fp_ieee_inexact 0
		.amdhsa_exception_int_div_zero 0
	.end_amdhsa_kernel
	.section	.text._ZN7rocprim17ROCPRIM_400000_NS6detail17trampoline_kernelINS0_14default_configENS1_20scan_config_selectorIlEEZZNS1_9scan_implILNS1_25lookback_scan_determinismE0ELb0ELb0ES3_PlS8_lN6thrust23THRUST_200600_302600_NS4plusIvEElEEDaPvRmT3_T4_T5_mT6_P12ihipStream_tbENKUlT_T0_E_clISt17integral_constantIbLb0EESQ_EEDaSL_SM_EUlSL_E_NS1_11comp_targetILNS1_3genE4ELNS1_11target_archE910ELNS1_3gpuE8ELNS1_3repE0EEENS1_30default_config_static_selectorELNS0_4arch9wavefront6targetE1EEEvT1_,"axG",@progbits,_ZN7rocprim17ROCPRIM_400000_NS6detail17trampoline_kernelINS0_14default_configENS1_20scan_config_selectorIlEEZZNS1_9scan_implILNS1_25lookback_scan_determinismE0ELb0ELb0ES3_PlS8_lN6thrust23THRUST_200600_302600_NS4plusIvEElEEDaPvRmT3_T4_T5_mT6_P12ihipStream_tbENKUlT_T0_E_clISt17integral_constantIbLb0EESQ_EEDaSL_SM_EUlSL_E_NS1_11comp_targetILNS1_3genE4ELNS1_11target_archE910ELNS1_3gpuE8ELNS1_3repE0EEENS1_30default_config_static_selectorELNS0_4arch9wavefront6targetE1EEEvT1_,comdat
.Lfunc_end86:
	.size	_ZN7rocprim17ROCPRIM_400000_NS6detail17trampoline_kernelINS0_14default_configENS1_20scan_config_selectorIlEEZZNS1_9scan_implILNS1_25lookback_scan_determinismE0ELb0ELb0ES3_PlS8_lN6thrust23THRUST_200600_302600_NS4plusIvEElEEDaPvRmT3_T4_T5_mT6_P12ihipStream_tbENKUlT_T0_E_clISt17integral_constantIbLb0EESQ_EEDaSL_SM_EUlSL_E_NS1_11comp_targetILNS1_3genE4ELNS1_11target_archE910ELNS1_3gpuE8ELNS1_3repE0EEENS1_30default_config_static_selectorELNS0_4arch9wavefront6targetE1EEEvT1_, .Lfunc_end86-_ZN7rocprim17ROCPRIM_400000_NS6detail17trampoline_kernelINS0_14default_configENS1_20scan_config_selectorIlEEZZNS1_9scan_implILNS1_25lookback_scan_determinismE0ELb0ELb0ES3_PlS8_lN6thrust23THRUST_200600_302600_NS4plusIvEElEEDaPvRmT3_T4_T5_mT6_P12ihipStream_tbENKUlT_T0_E_clISt17integral_constantIbLb0EESQ_EEDaSL_SM_EUlSL_E_NS1_11comp_targetILNS1_3genE4ELNS1_11target_archE910ELNS1_3gpuE8ELNS1_3repE0EEENS1_30default_config_static_selectorELNS0_4arch9wavefront6targetE1EEEvT1_
                                        ; -- End function
	.set _ZN7rocprim17ROCPRIM_400000_NS6detail17trampoline_kernelINS0_14default_configENS1_20scan_config_selectorIlEEZZNS1_9scan_implILNS1_25lookback_scan_determinismE0ELb0ELb0ES3_PlS8_lN6thrust23THRUST_200600_302600_NS4plusIvEElEEDaPvRmT3_T4_T5_mT6_P12ihipStream_tbENKUlT_T0_E_clISt17integral_constantIbLb0EESQ_EEDaSL_SM_EUlSL_E_NS1_11comp_targetILNS1_3genE4ELNS1_11target_archE910ELNS1_3gpuE8ELNS1_3repE0EEENS1_30default_config_static_selectorELNS0_4arch9wavefront6targetE1EEEvT1_.num_vgpr, 0
	.set _ZN7rocprim17ROCPRIM_400000_NS6detail17trampoline_kernelINS0_14default_configENS1_20scan_config_selectorIlEEZZNS1_9scan_implILNS1_25lookback_scan_determinismE0ELb0ELb0ES3_PlS8_lN6thrust23THRUST_200600_302600_NS4plusIvEElEEDaPvRmT3_T4_T5_mT6_P12ihipStream_tbENKUlT_T0_E_clISt17integral_constantIbLb0EESQ_EEDaSL_SM_EUlSL_E_NS1_11comp_targetILNS1_3genE4ELNS1_11target_archE910ELNS1_3gpuE8ELNS1_3repE0EEENS1_30default_config_static_selectorELNS0_4arch9wavefront6targetE1EEEvT1_.num_agpr, 0
	.set _ZN7rocprim17ROCPRIM_400000_NS6detail17trampoline_kernelINS0_14default_configENS1_20scan_config_selectorIlEEZZNS1_9scan_implILNS1_25lookback_scan_determinismE0ELb0ELb0ES3_PlS8_lN6thrust23THRUST_200600_302600_NS4plusIvEElEEDaPvRmT3_T4_T5_mT6_P12ihipStream_tbENKUlT_T0_E_clISt17integral_constantIbLb0EESQ_EEDaSL_SM_EUlSL_E_NS1_11comp_targetILNS1_3genE4ELNS1_11target_archE910ELNS1_3gpuE8ELNS1_3repE0EEENS1_30default_config_static_selectorELNS0_4arch9wavefront6targetE1EEEvT1_.numbered_sgpr, 0
	.set _ZN7rocprim17ROCPRIM_400000_NS6detail17trampoline_kernelINS0_14default_configENS1_20scan_config_selectorIlEEZZNS1_9scan_implILNS1_25lookback_scan_determinismE0ELb0ELb0ES3_PlS8_lN6thrust23THRUST_200600_302600_NS4plusIvEElEEDaPvRmT3_T4_T5_mT6_P12ihipStream_tbENKUlT_T0_E_clISt17integral_constantIbLb0EESQ_EEDaSL_SM_EUlSL_E_NS1_11comp_targetILNS1_3genE4ELNS1_11target_archE910ELNS1_3gpuE8ELNS1_3repE0EEENS1_30default_config_static_selectorELNS0_4arch9wavefront6targetE1EEEvT1_.num_named_barrier, 0
	.set _ZN7rocprim17ROCPRIM_400000_NS6detail17trampoline_kernelINS0_14default_configENS1_20scan_config_selectorIlEEZZNS1_9scan_implILNS1_25lookback_scan_determinismE0ELb0ELb0ES3_PlS8_lN6thrust23THRUST_200600_302600_NS4plusIvEElEEDaPvRmT3_T4_T5_mT6_P12ihipStream_tbENKUlT_T0_E_clISt17integral_constantIbLb0EESQ_EEDaSL_SM_EUlSL_E_NS1_11comp_targetILNS1_3genE4ELNS1_11target_archE910ELNS1_3gpuE8ELNS1_3repE0EEENS1_30default_config_static_selectorELNS0_4arch9wavefront6targetE1EEEvT1_.private_seg_size, 0
	.set _ZN7rocprim17ROCPRIM_400000_NS6detail17trampoline_kernelINS0_14default_configENS1_20scan_config_selectorIlEEZZNS1_9scan_implILNS1_25lookback_scan_determinismE0ELb0ELb0ES3_PlS8_lN6thrust23THRUST_200600_302600_NS4plusIvEElEEDaPvRmT3_T4_T5_mT6_P12ihipStream_tbENKUlT_T0_E_clISt17integral_constantIbLb0EESQ_EEDaSL_SM_EUlSL_E_NS1_11comp_targetILNS1_3genE4ELNS1_11target_archE910ELNS1_3gpuE8ELNS1_3repE0EEENS1_30default_config_static_selectorELNS0_4arch9wavefront6targetE1EEEvT1_.uses_vcc, 0
	.set _ZN7rocprim17ROCPRIM_400000_NS6detail17trampoline_kernelINS0_14default_configENS1_20scan_config_selectorIlEEZZNS1_9scan_implILNS1_25lookback_scan_determinismE0ELb0ELb0ES3_PlS8_lN6thrust23THRUST_200600_302600_NS4plusIvEElEEDaPvRmT3_T4_T5_mT6_P12ihipStream_tbENKUlT_T0_E_clISt17integral_constantIbLb0EESQ_EEDaSL_SM_EUlSL_E_NS1_11comp_targetILNS1_3genE4ELNS1_11target_archE910ELNS1_3gpuE8ELNS1_3repE0EEENS1_30default_config_static_selectorELNS0_4arch9wavefront6targetE1EEEvT1_.uses_flat_scratch, 0
	.set _ZN7rocprim17ROCPRIM_400000_NS6detail17trampoline_kernelINS0_14default_configENS1_20scan_config_selectorIlEEZZNS1_9scan_implILNS1_25lookback_scan_determinismE0ELb0ELb0ES3_PlS8_lN6thrust23THRUST_200600_302600_NS4plusIvEElEEDaPvRmT3_T4_T5_mT6_P12ihipStream_tbENKUlT_T0_E_clISt17integral_constantIbLb0EESQ_EEDaSL_SM_EUlSL_E_NS1_11comp_targetILNS1_3genE4ELNS1_11target_archE910ELNS1_3gpuE8ELNS1_3repE0EEENS1_30default_config_static_selectorELNS0_4arch9wavefront6targetE1EEEvT1_.has_dyn_sized_stack, 0
	.set _ZN7rocprim17ROCPRIM_400000_NS6detail17trampoline_kernelINS0_14default_configENS1_20scan_config_selectorIlEEZZNS1_9scan_implILNS1_25lookback_scan_determinismE0ELb0ELb0ES3_PlS8_lN6thrust23THRUST_200600_302600_NS4plusIvEElEEDaPvRmT3_T4_T5_mT6_P12ihipStream_tbENKUlT_T0_E_clISt17integral_constantIbLb0EESQ_EEDaSL_SM_EUlSL_E_NS1_11comp_targetILNS1_3genE4ELNS1_11target_archE910ELNS1_3gpuE8ELNS1_3repE0EEENS1_30default_config_static_selectorELNS0_4arch9wavefront6targetE1EEEvT1_.has_recursion, 0
	.set _ZN7rocprim17ROCPRIM_400000_NS6detail17trampoline_kernelINS0_14default_configENS1_20scan_config_selectorIlEEZZNS1_9scan_implILNS1_25lookback_scan_determinismE0ELb0ELb0ES3_PlS8_lN6thrust23THRUST_200600_302600_NS4plusIvEElEEDaPvRmT3_T4_T5_mT6_P12ihipStream_tbENKUlT_T0_E_clISt17integral_constantIbLb0EESQ_EEDaSL_SM_EUlSL_E_NS1_11comp_targetILNS1_3genE4ELNS1_11target_archE910ELNS1_3gpuE8ELNS1_3repE0EEENS1_30default_config_static_selectorELNS0_4arch9wavefront6targetE1EEEvT1_.has_indirect_call, 0
	.section	.AMDGPU.csdata,"",@progbits
; Kernel info:
; codeLenInByte = 0
; TotalNumSgprs: 6
; NumVgprs: 0
; NumAgprs: 0
; TotalNumVgprs: 0
; ScratchSize: 0
; MemoryBound: 0
; FloatMode: 240
; IeeeMode: 1
; LDSByteSize: 0 bytes/workgroup (compile time only)
; SGPRBlocks: 0
; VGPRBlocks: 0
; NumSGPRsForWavesPerEU: 6
; NumVGPRsForWavesPerEU: 1
; AccumOffset: 4
; Occupancy: 8
; WaveLimiterHint : 0
; COMPUTE_PGM_RSRC2:SCRATCH_EN: 0
; COMPUTE_PGM_RSRC2:USER_SGPR: 2
; COMPUTE_PGM_RSRC2:TRAP_HANDLER: 0
; COMPUTE_PGM_RSRC2:TGID_X_EN: 1
; COMPUTE_PGM_RSRC2:TGID_Y_EN: 0
; COMPUTE_PGM_RSRC2:TGID_Z_EN: 0
; COMPUTE_PGM_RSRC2:TIDIG_COMP_CNT: 0
; COMPUTE_PGM_RSRC3_GFX90A:ACCUM_OFFSET: 0
; COMPUTE_PGM_RSRC3_GFX90A:TG_SPLIT: 0
	.section	.text._ZN7rocprim17ROCPRIM_400000_NS6detail17trampoline_kernelINS0_14default_configENS1_20scan_config_selectorIlEEZZNS1_9scan_implILNS1_25lookback_scan_determinismE0ELb0ELb0ES3_PlS8_lN6thrust23THRUST_200600_302600_NS4plusIvEElEEDaPvRmT3_T4_T5_mT6_P12ihipStream_tbENKUlT_T0_E_clISt17integral_constantIbLb0EESQ_EEDaSL_SM_EUlSL_E_NS1_11comp_targetILNS1_3genE3ELNS1_11target_archE908ELNS1_3gpuE7ELNS1_3repE0EEENS1_30default_config_static_selectorELNS0_4arch9wavefront6targetE1EEEvT1_,"axG",@progbits,_ZN7rocprim17ROCPRIM_400000_NS6detail17trampoline_kernelINS0_14default_configENS1_20scan_config_selectorIlEEZZNS1_9scan_implILNS1_25lookback_scan_determinismE0ELb0ELb0ES3_PlS8_lN6thrust23THRUST_200600_302600_NS4plusIvEElEEDaPvRmT3_T4_T5_mT6_P12ihipStream_tbENKUlT_T0_E_clISt17integral_constantIbLb0EESQ_EEDaSL_SM_EUlSL_E_NS1_11comp_targetILNS1_3genE3ELNS1_11target_archE908ELNS1_3gpuE7ELNS1_3repE0EEENS1_30default_config_static_selectorELNS0_4arch9wavefront6targetE1EEEvT1_,comdat
	.protected	_ZN7rocprim17ROCPRIM_400000_NS6detail17trampoline_kernelINS0_14default_configENS1_20scan_config_selectorIlEEZZNS1_9scan_implILNS1_25lookback_scan_determinismE0ELb0ELb0ES3_PlS8_lN6thrust23THRUST_200600_302600_NS4plusIvEElEEDaPvRmT3_T4_T5_mT6_P12ihipStream_tbENKUlT_T0_E_clISt17integral_constantIbLb0EESQ_EEDaSL_SM_EUlSL_E_NS1_11comp_targetILNS1_3genE3ELNS1_11target_archE908ELNS1_3gpuE7ELNS1_3repE0EEENS1_30default_config_static_selectorELNS0_4arch9wavefront6targetE1EEEvT1_ ; -- Begin function _ZN7rocprim17ROCPRIM_400000_NS6detail17trampoline_kernelINS0_14default_configENS1_20scan_config_selectorIlEEZZNS1_9scan_implILNS1_25lookback_scan_determinismE0ELb0ELb0ES3_PlS8_lN6thrust23THRUST_200600_302600_NS4plusIvEElEEDaPvRmT3_T4_T5_mT6_P12ihipStream_tbENKUlT_T0_E_clISt17integral_constantIbLb0EESQ_EEDaSL_SM_EUlSL_E_NS1_11comp_targetILNS1_3genE3ELNS1_11target_archE908ELNS1_3gpuE7ELNS1_3repE0EEENS1_30default_config_static_selectorELNS0_4arch9wavefront6targetE1EEEvT1_
	.globl	_ZN7rocprim17ROCPRIM_400000_NS6detail17trampoline_kernelINS0_14default_configENS1_20scan_config_selectorIlEEZZNS1_9scan_implILNS1_25lookback_scan_determinismE0ELb0ELb0ES3_PlS8_lN6thrust23THRUST_200600_302600_NS4plusIvEElEEDaPvRmT3_T4_T5_mT6_P12ihipStream_tbENKUlT_T0_E_clISt17integral_constantIbLb0EESQ_EEDaSL_SM_EUlSL_E_NS1_11comp_targetILNS1_3genE3ELNS1_11target_archE908ELNS1_3gpuE7ELNS1_3repE0EEENS1_30default_config_static_selectorELNS0_4arch9wavefront6targetE1EEEvT1_
	.p2align	8
	.type	_ZN7rocprim17ROCPRIM_400000_NS6detail17trampoline_kernelINS0_14default_configENS1_20scan_config_selectorIlEEZZNS1_9scan_implILNS1_25lookback_scan_determinismE0ELb0ELb0ES3_PlS8_lN6thrust23THRUST_200600_302600_NS4plusIvEElEEDaPvRmT3_T4_T5_mT6_P12ihipStream_tbENKUlT_T0_E_clISt17integral_constantIbLb0EESQ_EEDaSL_SM_EUlSL_E_NS1_11comp_targetILNS1_3genE3ELNS1_11target_archE908ELNS1_3gpuE7ELNS1_3repE0EEENS1_30default_config_static_selectorELNS0_4arch9wavefront6targetE1EEEvT1_,@function
_ZN7rocprim17ROCPRIM_400000_NS6detail17trampoline_kernelINS0_14default_configENS1_20scan_config_selectorIlEEZZNS1_9scan_implILNS1_25lookback_scan_determinismE0ELb0ELb0ES3_PlS8_lN6thrust23THRUST_200600_302600_NS4plusIvEElEEDaPvRmT3_T4_T5_mT6_P12ihipStream_tbENKUlT_T0_E_clISt17integral_constantIbLb0EESQ_EEDaSL_SM_EUlSL_E_NS1_11comp_targetILNS1_3genE3ELNS1_11target_archE908ELNS1_3gpuE7ELNS1_3repE0EEENS1_30default_config_static_selectorELNS0_4arch9wavefront6targetE1EEEvT1_: ; @_ZN7rocprim17ROCPRIM_400000_NS6detail17trampoline_kernelINS0_14default_configENS1_20scan_config_selectorIlEEZZNS1_9scan_implILNS1_25lookback_scan_determinismE0ELb0ELb0ES3_PlS8_lN6thrust23THRUST_200600_302600_NS4plusIvEElEEDaPvRmT3_T4_T5_mT6_P12ihipStream_tbENKUlT_T0_E_clISt17integral_constantIbLb0EESQ_EEDaSL_SM_EUlSL_E_NS1_11comp_targetILNS1_3genE3ELNS1_11target_archE908ELNS1_3gpuE7ELNS1_3repE0EEENS1_30default_config_static_selectorELNS0_4arch9wavefront6targetE1EEEvT1_
; %bb.0:
	.section	.rodata,"a",@progbits
	.p2align	6, 0x0
	.amdhsa_kernel _ZN7rocprim17ROCPRIM_400000_NS6detail17trampoline_kernelINS0_14default_configENS1_20scan_config_selectorIlEEZZNS1_9scan_implILNS1_25lookback_scan_determinismE0ELb0ELb0ES3_PlS8_lN6thrust23THRUST_200600_302600_NS4plusIvEElEEDaPvRmT3_T4_T5_mT6_P12ihipStream_tbENKUlT_T0_E_clISt17integral_constantIbLb0EESQ_EEDaSL_SM_EUlSL_E_NS1_11comp_targetILNS1_3genE3ELNS1_11target_archE908ELNS1_3gpuE7ELNS1_3repE0EEENS1_30default_config_static_selectorELNS0_4arch9wavefront6targetE1EEEvT1_
		.amdhsa_group_segment_fixed_size 0
		.amdhsa_private_segment_fixed_size 0
		.amdhsa_kernarg_size 104
		.amdhsa_user_sgpr_count 2
		.amdhsa_user_sgpr_dispatch_ptr 0
		.amdhsa_user_sgpr_queue_ptr 0
		.amdhsa_user_sgpr_kernarg_segment_ptr 1
		.amdhsa_user_sgpr_dispatch_id 0
		.amdhsa_user_sgpr_kernarg_preload_length 0
		.amdhsa_user_sgpr_kernarg_preload_offset 0
		.amdhsa_user_sgpr_private_segment_size 0
		.amdhsa_uses_dynamic_stack 0
		.amdhsa_enable_private_segment 0
		.amdhsa_system_sgpr_workgroup_id_x 1
		.amdhsa_system_sgpr_workgroup_id_y 0
		.amdhsa_system_sgpr_workgroup_id_z 0
		.amdhsa_system_sgpr_workgroup_info 0
		.amdhsa_system_vgpr_workitem_id 0
		.amdhsa_next_free_vgpr 1
		.amdhsa_next_free_sgpr 0
		.amdhsa_accum_offset 4
		.amdhsa_reserve_vcc 0
		.amdhsa_float_round_mode_32 0
		.amdhsa_float_round_mode_16_64 0
		.amdhsa_float_denorm_mode_32 3
		.amdhsa_float_denorm_mode_16_64 3
		.amdhsa_dx10_clamp 1
		.amdhsa_ieee_mode 1
		.amdhsa_fp16_overflow 0
		.amdhsa_tg_split 0
		.amdhsa_exception_fp_ieee_invalid_op 0
		.amdhsa_exception_fp_denorm_src 0
		.amdhsa_exception_fp_ieee_div_zero 0
		.amdhsa_exception_fp_ieee_overflow 0
		.amdhsa_exception_fp_ieee_underflow 0
		.amdhsa_exception_fp_ieee_inexact 0
		.amdhsa_exception_int_div_zero 0
	.end_amdhsa_kernel
	.section	.text._ZN7rocprim17ROCPRIM_400000_NS6detail17trampoline_kernelINS0_14default_configENS1_20scan_config_selectorIlEEZZNS1_9scan_implILNS1_25lookback_scan_determinismE0ELb0ELb0ES3_PlS8_lN6thrust23THRUST_200600_302600_NS4plusIvEElEEDaPvRmT3_T4_T5_mT6_P12ihipStream_tbENKUlT_T0_E_clISt17integral_constantIbLb0EESQ_EEDaSL_SM_EUlSL_E_NS1_11comp_targetILNS1_3genE3ELNS1_11target_archE908ELNS1_3gpuE7ELNS1_3repE0EEENS1_30default_config_static_selectorELNS0_4arch9wavefront6targetE1EEEvT1_,"axG",@progbits,_ZN7rocprim17ROCPRIM_400000_NS6detail17trampoline_kernelINS0_14default_configENS1_20scan_config_selectorIlEEZZNS1_9scan_implILNS1_25lookback_scan_determinismE0ELb0ELb0ES3_PlS8_lN6thrust23THRUST_200600_302600_NS4plusIvEElEEDaPvRmT3_T4_T5_mT6_P12ihipStream_tbENKUlT_T0_E_clISt17integral_constantIbLb0EESQ_EEDaSL_SM_EUlSL_E_NS1_11comp_targetILNS1_3genE3ELNS1_11target_archE908ELNS1_3gpuE7ELNS1_3repE0EEENS1_30default_config_static_selectorELNS0_4arch9wavefront6targetE1EEEvT1_,comdat
.Lfunc_end87:
	.size	_ZN7rocprim17ROCPRIM_400000_NS6detail17trampoline_kernelINS0_14default_configENS1_20scan_config_selectorIlEEZZNS1_9scan_implILNS1_25lookback_scan_determinismE0ELb0ELb0ES3_PlS8_lN6thrust23THRUST_200600_302600_NS4plusIvEElEEDaPvRmT3_T4_T5_mT6_P12ihipStream_tbENKUlT_T0_E_clISt17integral_constantIbLb0EESQ_EEDaSL_SM_EUlSL_E_NS1_11comp_targetILNS1_3genE3ELNS1_11target_archE908ELNS1_3gpuE7ELNS1_3repE0EEENS1_30default_config_static_selectorELNS0_4arch9wavefront6targetE1EEEvT1_, .Lfunc_end87-_ZN7rocprim17ROCPRIM_400000_NS6detail17trampoline_kernelINS0_14default_configENS1_20scan_config_selectorIlEEZZNS1_9scan_implILNS1_25lookback_scan_determinismE0ELb0ELb0ES3_PlS8_lN6thrust23THRUST_200600_302600_NS4plusIvEElEEDaPvRmT3_T4_T5_mT6_P12ihipStream_tbENKUlT_T0_E_clISt17integral_constantIbLb0EESQ_EEDaSL_SM_EUlSL_E_NS1_11comp_targetILNS1_3genE3ELNS1_11target_archE908ELNS1_3gpuE7ELNS1_3repE0EEENS1_30default_config_static_selectorELNS0_4arch9wavefront6targetE1EEEvT1_
                                        ; -- End function
	.set _ZN7rocprim17ROCPRIM_400000_NS6detail17trampoline_kernelINS0_14default_configENS1_20scan_config_selectorIlEEZZNS1_9scan_implILNS1_25lookback_scan_determinismE0ELb0ELb0ES3_PlS8_lN6thrust23THRUST_200600_302600_NS4plusIvEElEEDaPvRmT3_T4_T5_mT6_P12ihipStream_tbENKUlT_T0_E_clISt17integral_constantIbLb0EESQ_EEDaSL_SM_EUlSL_E_NS1_11comp_targetILNS1_3genE3ELNS1_11target_archE908ELNS1_3gpuE7ELNS1_3repE0EEENS1_30default_config_static_selectorELNS0_4arch9wavefront6targetE1EEEvT1_.num_vgpr, 0
	.set _ZN7rocprim17ROCPRIM_400000_NS6detail17trampoline_kernelINS0_14default_configENS1_20scan_config_selectorIlEEZZNS1_9scan_implILNS1_25lookback_scan_determinismE0ELb0ELb0ES3_PlS8_lN6thrust23THRUST_200600_302600_NS4plusIvEElEEDaPvRmT3_T4_T5_mT6_P12ihipStream_tbENKUlT_T0_E_clISt17integral_constantIbLb0EESQ_EEDaSL_SM_EUlSL_E_NS1_11comp_targetILNS1_3genE3ELNS1_11target_archE908ELNS1_3gpuE7ELNS1_3repE0EEENS1_30default_config_static_selectorELNS0_4arch9wavefront6targetE1EEEvT1_.num_agpr, 0
	.set _ZN7rocprim17ROCPRIM_400000_NS6detail17trampoline_kernelINS0_14default_configENS1_20scan_config_selectorIlEEZZNS1_9scan_implILNS1_25lookback_scan_determinismE0ELb0ELb0ES3_PlS8_lN6thrust23THRUST_200600_302600_NS4plusIvEElEEDaPvRmT3_T4_T5_mT6_P12ihipStream_tbENKUlT_T0_E_clISt17integral_constantIbLb0EESQ_EEDaSL_SM_EUlSL_E_NS1_11comp_targetILNS1_3genE3ELNS1_11target_archE908ELNS1_3gpuE7ELNS1_3repE0EEENS1_30default_config_static_selectorELNS0_4arch9wavefront6targetE1EEEvT1_.numbered_sgpr, 0
	.set _ZN7rocprim17ROCPRIM_400000_NS6detail17trampoline_kernelINS0_14default_configENS1_20scan_config_selectorIlEEZZNS1_9scan_implILNS1_25lookback_scan_determinismE0ELb0ELb0ES3_PlS8_lN6thrust23THRUST_200600_302600_NS4plusIvEElEEDaPvRmT3_T4_T5_mT6_P12ihipStream_tbENKUlT_T0_E_clISt17integral_constantIbLb0EESQ_EEDaSL_SM_EUlSL_E_NS1_11comp_targetILNS1_3genE3ELNS1_11target_archE908ELNS1_3gpuE7ELNS1_3repE0EEENS1_30default_config_static_selectorELNS0_4arch9wavefront6targetE1EEEvT1_.num_named_barrier, 0
	.set _ZN7rocprim17ROCPRIM_400000_NS6detail17trampoline_kernelINS0_14default_configENS1_20scan_config_selectorIlEEZZNS1_9scan_implILNS1_25lookback_scan_determinismE0ELb0ELb0ES3_PlS8_lN6thrust23THRUST_200600_302600_NS4plusIvEElEEDaPvRmT3_T4_T5_mT6_P12ihipStream_tbENKUlT_T0_E_clISt17integral_constantIbLb0EESQ_EEDaSL_SM_EUlSL_E_NS1_11comp_targetILNS1_3genE3ELNS1_11target_archE908ELNS1_3gpuE7ELNS1_3repE0EEENS1_30default_config_static_selectorELNS0_4arch9wavefront6targetE1EEEvT1_.private_seg_size, 0
	.set _ZN7rocprim17ROCPRIM_400000_NS6detail17trampoline_kernelINS0_14default_configENS1_20scan_config_selectorIlEEZZNS1_9scan_implILNS1_25lookback_scan_determinismE0ELb0ELb0ES3_PlS8_lN6thrust23THRUST_200600_302600_NS4plusIvEElEEDaPvRmT3_T4_T5_mT6_P12ihipStream_tbENKUlT_T0_E_clISt17integral_constantIbLb0EESQ_EEDaSL_SM_EUlSL_E_NS1_11comp_targetILNS1_3genE3ELNS1_11target_archE908ELNS1_3gpuE7ELNS1_3repE0EEENS1_30default_config_static_selectorELNS0_4arch9wavefront6targetE1EEEvT1_.uses_vcc, 0
	.set _ZN7rocprim17ROCPRIM_400000_NS6detail17trampoline_kernelINS0_14default_configENS1_20scan_config_selectorIlEEZZNS1_9scan_implILNS1_25lookback_scan_determinismE0ELb0ELb0ES3_PlS8_lN6thrust23THRUST_200600_302600_NS4plusIvEElEEDaPvRmT3_T4_T5_mT6_P12ihipStream_tbENKUlT_T0_E_clISt17integral_constantIbLb0EESQ_EEDaSL_SM_EUlSL_E_NS1_11comp_targetILNS1_3genE3ELNS1_11target_archE908ELNS1_3gpuE7ELNS1_3repE0EEENS1_30default_config_static_selectorELNS0_4arch9wavefront6targetE1EEEvT1_.uses_flat_scratch, 0
	.set _ZN7rocprim17ROCPRIM_400000_NS6detail17trampoline_kernelINS0_14default_configENS1_20scan_config_selectorIlEEZZNS1_9scan_implILNS1_25lookback_scan_determinismE0ELb0ELb0ES3_PlS8_lN6thrust23THRUST_200600_302600_NS4plusIvEElEEDaPvRmT3_T4_T5_mT6_P12ihipStream_tbENKUlT_T0_E_clISt17integral_constantIbLb0EESQ_EEDaSL_SM_EUlSL_E_NS1_11comp_targetILNS1_3genE3ELNS1_11target_archE908ELNS1_3gpuE7ELNS1_3repE0EEENS1_30default_config_static_selectorELNS0_4arch9wavefront6targetE1EEEvT1_.has_dyn_sized_stack, 0
	.set _ZN7rocprim17ROCPRIM_400000_NS6detail17trampoline_kernelINS0_14default_configENS1_20scan_config_selectorIlEEZZNS1_9scan_implILNS1_25lookback_scan_determinismE0ELb0ELb0ES3_PlS8_lN6thrust23THRUST_200600_302600_NS4plusIvEElEEDaPvRmT3_T4_T5_mT6_P12ihipStream_tbENKUlT_T0_E_clISt17integral_constantIbLb0EESQ_EEDaSL_SM_EUlSL_E_NS1_11comp_targetILNS1_3genE3ELNS1_11target_archE908ELNS1_3gpuE7ELNS1_3repE0EEENS1_30default_config_static_selectorELNS0_4arch9wavefront6targetE1EEEvT1_.has_recursion, 0
	.set _ZN7rocprim17ROCPRIM_400000_NS6detail17trampoline_kernelINS0_14default_configENS1_20scan_config_selectorIlEEZZNS1_9scan_implILNS1_25lookback_scan_determinismE0ELb0ELb0ES3_PlS8_lN6thrust23THRUST_200600_302600_NS4plusIvEElEEDaPvRmT3_T4_T5_mT6_P12ihipStream_tbENKUlT_T0_E_clISt17integral_constantIbLb0EESQ_EEDaSL_SM_EUlSL_E_NS1_11comp_targetILNS1_3genE3ELNS1_11target_archE908ELNS1_3gpuE7ELNS1_3repE0EEENS1_30default_config_static_selectorELNS0_4arch9wavefront6targetE1EEEvT1_.has_indirect_call, 0
	.section	.AMDGPU.csdata,"",@progbits
; Kernel info:
; codeLenInByte = 0
; TotalNumSgprs: 6
; NumVgprs: 0
; NumAgprs: 0
; TotalNumVgprs: 0
; ScratchSize: 0
; MemoryBound: 0
; FloatMode: 240
; IeeeMode: 1
; LDSByteSize: 0 bytes/workgroup (compile time only)
; SGPRBlocks: 0
; VGPRBlocks: 0
; NumSGPRsForWavesPerEU: 6
; NumVGPRsForWavesPerEU: 1
; AccumOffset: 4
; Occupancy: 8
; WaveLimiterHint : 0
; COMPUTE_PGM_RSRC2:SCRATCH_EN: 0
; COMPUTE_PGM_RSRC2:USER_SGPR: 2
; COMPUTE_PGM_RSRC2:TRAP_HANDLER: 0
; COMPUTE_PGM_RSRC2:TGID_X_EN: 1
; COMPUTE_PGM_RSRC2:TGID_Y_EN: 0
; COMPUTE_PGM_RSRC2:TGID_Z_EN: 0
; COMPUTE_PGM_RSRC2:TIDIG_COMP_CNT: 0
; COMPUTE_PGM_RSRC3_GFX90A:ACCUM_OFFSET: 0
; COMPUTE_PGM_RSRC3_GFX90A:TG_SPLIT: 0
	.section	.text._ZN7rocprim17ROCPRIM_400000_NS6detail17trampoline_kernelINS0_14default_configENS1_20scan_config_selectorIlEEZZNS1_9scan_implILNS1_25lookback_scan_determinismE0ELb0ELb0ES3_PlS8_lN6thrust23THRUST_200600_302600_NS4plusIvEElEEDaPvRmT3_T4_T5_mT6_P12ihipStream_tbENKUlT_T0_E_clISt17integral_constantIbLb0EESQ_EEDaSL_SM_EUlSL_E_NS1_11comp_targetILNS1_3genE2ELNS1_11target_archE906ELNS1_3gpuE6ELNS1_3repE0EEENS1_30default_config_static_selectorELNS0_4arch9wavefront6targetE1EEEvT1_,"axG",@progbits,_ZN7rocprim17ROCPRIM_400000_NS6detail17trampoline_kernelINS0_14default_configENS1_20scan_config_selectorIlEEZZNS1_9scan_implILNS1_25lookback_scan_determinismE0ELb0ELb0ES3_PlS8_lN6thrust23THRUST_200600_302600_NS4plusIvEElEEDaPvRmT3_T4_T5_mT6_P12ihipStream_tbENKUlT_T0_E_clISt17integral_constantIbLb0EESQ_EEDaSL_SM_EUlSL_E_NS1_11comp_targetILNS1_3genE2ELNS1_11target_archE906ELNS1_3gpuE6ELNS1_3repE0EEENS1_30default_config_static_selectorELNS0_4arch9wavefront6targetE1EEEvT1_,comdat
	.protected	_ZN7rocprim17ROCPRIM_400000_NS6detail17trampoline_kernelINS0_14default_configENS1_20scan_config_selectorIlEEZZNS1_9scan_implILNS1_25lookback_scan_determinismE0ELb0ELb0ES3_PlS8_lN6thrust23THRUST_200600_302600_NS4plusIvEElEEDaPvRmT3_T4_T5_mT6_P12ihipStream_tbENKUlT_T0_E_clISt17integral_constantIbLb0EESQ_EEDaSL_SM_EUlSL_E_NS1_11comp_targetILNS1_3genE2ELNS1_11target_archE906ELNS1_3gpuE6ELNS1_3repE0EEENS1_30default_config_static_selectorELNS0_4arch9wavefront6targetE1EEEvT1_ ; -- Begin function _ZN7rocprim17ROCPRIM_400000_NS6detail17trampoline_kernelINS0_14default_configENS1_20scan_config_selectorIlEEZZNS1_9scan_implILNS1_25lookback_scan_determinismE0ELb0ELb0ES3_PlS8_lN6thrust23THRUST_200600_302600_NS4plusIvEElEEDaPvRmT3_T4_T5_mT6_P12ihipStream_tbENKUlT_T0_E_clISt17integral_constantIbLb0EESQ_EEDaSL_SM_EUlSL_E_NS1_11comp_targetILNS1_3genE2ELNS1_11target_archE906ELNS1_3gpuE6ELNS1_3repE0EEENS1_30default_config_static_selectorELNS0_4arch9wavefront6targetE1EEEvT1_
	.globl	_ZN7rocprim17ROCPRIM_400000_NS6detail17trampoline_kernelINS0_14default_configENS1_20scan_config_selectorIlEEZZNS1_9scan_implILNS1_25lookback_scan_determinismE0ELb0ELb0ES3_PlS8_lN6thrust23THRUST_200600_302600_NS4plusIvEElEEDaPvRmT3_T4_T5_mT6_P12ihipStream_tbENKUlT_T0_E_clISt17integral_constantIbLb0EESQ_EEDaSL_SM_EUlSL_E_NS1_11comp_targetILNS1_3genE2ELNS1_11target_archE906ELNS1_3gpuE6ELNS1_3repE0EEENS1_30default_config_static_selectorELNS0_4arch9wavefront6targetE1EEEvT1_
	.p2align	8
	.type	_ZN7rocprim17ROCPRIM_400000_NS6detail17trampoline_kernelINS0_14default_configENS1_20scan_config_selectorIlEEZZNS1_9scan_implILNS1_25lookback_scan_determinismE0ELb0ELb0ES3_PlS8_lN6thrust23THRUST_200600_302600_NS4plusIvEElEEDaPvRmT3_T4_T5_mT6_P12ihipStream_tbENKUlT_T0_E_clISt17integral_constantIbLb0EESQ_EEDaSL_SM_EUlSL_E_NS1_11comp_targetILNS1_3genE2ELNS1_11target_archE906ELNS1_3gpuE6ELNS1_3repE0EEENS1_30default_config_static_selectorELNS0_4arch9wavefront6targetE1EEEvT1_,@function
_ZN7rocprim17ROCPRIM_400000_NS6detail17trampoline_kernelINS0_14default_configENS1_20scan_config_selectorIlEEZZNS1_9scan_implILNS1_25lookback_scan_determinismE0ELb0ELb0ES3_PlS8_lN6thrust23THRUST_200600_302600_NS4plusIvEElEEDaPvRmT3_T4_T5_mT6_P12ihipStream_tbENKUlT_T0_E_clISt17integral_constantIbLb0EESQ_EEDaSL_SM_EUlSL_E_NS1_11comp_targetILNS1_3genE2ELNS1_11target_archE906ELNS1_3gpuE6ELNS1_3repE0EEENS1_30default_config_static_selectorELNS0_4arch9wavefront6targetE1EEEvT1_: ; @_ZN7rocprim17ROCPRIM_400000_NS6detail17trampoline_kernelINS0_14default_configENS1_20scan_config_selectorIlEEZZNS1_9scan_implILNS1_25lookback_scan_determinismE0ELb0ELb0ES3_PlS8_lN6thrust23THRUST_200600_302600_NS4plusIvEElEEDaPvRmT3_T4_T5_mT6_P12ihipStream_tbENKUlT_T0_E_clISt17integral_constantIbLb0EESQ_EEDaSL_SM_EUlSL_E_NS1_11comp_targetILNS1_3genE2ELNS1_11target_archE906ELNS1_3gpuE6ELNS1_3repE0EEENS1_30default_config_static_selectorELNS0_4arch9wavefront6targetE1EEEvT1_
; %bb.0:
	.section	.rodata,"a",@progbits
	.p2align	6, 0x0
	.amdhsa_kernel _ZN7rocprim17ROCPRIM_400000_NS6detail17trampoline_kernelINS0_14default_configENS1_20scan_config_selectorIlEEZZNS1_9scan_implILNS1_25lookback_scan_determinismE0ELb0ELb0ES3_PlS8_lN6thrust23THRUST_200600_302600_NS4plusIvEElEEDaPvRmT3_T4_T5_mT6_P12ihipStream_tbENKUlT_T0_E_clISt17integral_constantIbLb0EESQ_EEDaSL_SM_EUlSL_E_NS1_11comp_targetILNS1_3genE2ELNS1_11target_archE906ELNS1_3gpuE6ELNS1_3repE0EEENS1_30default_config_static_selectorELNS0_4arch9wavefront6targetE1EEEvT1_
		.amdhsa_group_segment_fixed_size 0
		.amdhsa_private_segment_fixed_size 0
		.amdhsa_kernarg_size 104
		.amdhsa_user_sgpr_count 2
		.amdhsa_user_sgpr_dispatch_ptr 0
		.amdhsa_user_sgpr_queue_ptr 0
		.amdhsa_user_sgpr_kernarg_segment_ptr 1
		.amdhsa_user_sgpr_dispatch_id 0
		.amdhsa_user_sgpr_kernarg_preload_length 0
		.amdhsa_user_sgpr_kernarg_preload_offset 0
		.amdhsa_user_sgpr_private_segment_size 0
		.amdhsa_uses_dynamic_stack 0
		.amdhsa_enable_private_segment 0
		.amdhsa_system_sgpr_workgroup_id_x 1
		.amdhsa_system_sgpr_workgroup_id_y 0
		.amdhsa_system_sgpr_workgroup_id_z 0
		.amdhsa_system_sgpr_workgroup_info 0
		.amdhsa_system_vgpr_workitem_id 0
		.amdhsa_next_free_vgpr 1
		.amdhsa_next_free_sgpr 0
		.amdhsa_accum_offset 4
		.amdhsa_reserve_vcc 0
		.amdhsa_float_round_mode_32 0
		.amdhsa_float_round_mode_16_64 0
		.amdhsa_float_denorm_mode_32 3
		.amdhsa_float_denorm_mode_16_64 3
		.amdhsa_dx10_clamp 1
		.amdhsa_ieee_mode 1
		.amdhsa_fp16_overflow 0
		.amdhsa_tg_split 0
		.amdhsa_exception_fp_ieee_invalid_op 0
		.amdhsa_exception_fp_denorm_src 0
		.amdhsa_exception_fp_ieee_div_zero 0
		.amdhsa_exception_fp_ieee_overflow 0
		.amdhsa_exception_fp_ieee_underflow 0
		.amdhsa_exception_fp_ieee_inexact 0
		.amdhsa_exception_int_div_zero 0
	.end_amdhsa_kernel
	.section	.text._ZN7rocprim17ROCPRIM_400000_NS6detail17trampoline_kernelINS0_14default_configENS1_20scan_config_selectorIlEEZZNS1_9scan_implILNS1_25lookback_scan_determinismE0ELb0ELb0ES3_PlS8_lN6thrust23THRUST_200600_302600_NS4plusIvEElEEDaPvRmT3_T4_T5_mT6_P12ihipStream_tbENKUlT_T0_E_clISt17integral_constantIbLb0EESQ_EEDaSL_SM_EUlSL_E_NS1_11comp_targetILNS1_3genE2ELNS1_11target_archE906ELNS1_3gpuE6ELNS1_3repE0EEENS1_30default_config_static_selectorELNS0_4arch9wavefront6targetE1EEEvT1_,"axG",@progbits,_ZN7rocprim17ROCPRIM_400000_NS6detail17trampoline_kernelINS0_14default_configENS1_20scan_config_selectorIlEEZZNS1_9scan_implILNS1_25lookback_scan_determinismE0ELb0ELb0ES3_PlS8_lN6thrust23THRUST_200600_302600_NS4plusIvEElEEDaPvRmT3_T4_T5_mT6_P12ihipStream_tbENKUlT_T0_E_clISt17integral_constantIbLb0EESQ_EEDaSL_SM_EUlSL_E_NS1_11comp_targetILNS1_3genE2ELNS1_11target_archE906ELNS1_3gpuE6ELNS1_3repE0EEENS1_30default_config_static_selectorELNS0_4arch9wavefront6targetE1EEEvT1_,comdat
.Lfunc_end88:
	.size	_ZN7rocprim17ROCPRIM_400000_NS6detail17trampoline_kernelINS0_14default_configENS1_20scan_config_selectorIlEEZZNS1_9scan_implILNS1_25lookback_scan_determinismE0ELb0ELb0ES3_PlS8_lN6thrust23THRUST_200600_302600_NS4plusIvEElEEDaPvRmT3_T4_T5_mT6_P12ihipStream_tbENKUlT_T0_E_clISt17integral_constantIbLb0EESQ_EEDaSL_SM_EUlSL_E_NS1_11comp_targetILNS1_3genE2ELNS1_11target_archE906ELNS1_3gpuE6ELNS1_3repE0EEENS1_30default_config_static_selectorELNS0_4arch9wavefront6targetE1EEEvT1_, .Lfunc_end88-_ZN7rocprim17ROCPRIM_400000_NS6detail17trampoline_kernelINS0_14default_configENS1_20scan_config_selectorIlEEZZNS1_9scan_implILNS1_25lookback_scan_determinismE0ELb0ELb0ES3_PlS8_lN6thrust23THRUST_200600_302600_NS4plusIvEElEEDaPvRmT3_T4_T5_mT6_P12ihipStream_tbENKUlT_T0_E_clISt17integral_constantIbLb0EESQ_EEDaSL_SM_EUlSL_E_NS1_11comp_targetILNS1_3genE2ELNS1_11target_archE906ELNS1_3gpuE6ELNS1_3repE0EEENS1_30default_config_static_selectorELNS0_4arch9wavefront6targetE1EEEvT1_
                                        ; -- End function
	.set _ZN7rocprim17ROCPRIM_400000_NS6detail17trampoline_kernelINS0_14default_configENS1_20scan_config_selectorIlEEZZNS1_9scan_implILNS1_25lookback_scan_determinismE0ELb0ELb0ES3_PlS8_lN6thrust23THRUST_200600_302600_NS4plusIvEElEEDaPvRmT3_T4_T5_mT6_P12ihipStream_tbENKUlT_T0_E_clISt17integral_constantIbLb0EESQ_EEDaSL_SM_EUlSL_E_NS1_11comp_targetILNS1_3genE2ELNS1_11target_archE906ELNS1_3gpuE6ELNS1_3repE0EEENS1_30default_config_static_selectorELNS0_4arch9wavefront6targetE1EEEvT1_.num_vgpr, 0
	.set _ZN7rocprim17ROCPRIM_400000_NS6detail17trampoline_kernelINS0_14default_configENS1_20scan_config_selectorIlEEZZNS1_9scan_implILNS1_25lookback_scan_determinismE0ELb0ELb0ES3_PlS8_lN6thrust23THRUST_200600_302600_NS4plusIvEElEEDaPvRmT3_T4_T5_mT6_P12ihipStream_tbENKUlT_T0_E_clISt17integral_constantIbLb0EESQ_EEDaSL_SM_EUlSL_E_NS1_11comp_targetILNS1_3genE2ELNS1_11target_archE906ELNS1_3gpuE6ELNS1_3repE0EEENS1_30default_config_static_selectorELNS0_4arch9wavefront6targetE1EEEvT1_.num_agpr, 0
	.set _ZN7rocprim17ROCPRIM_400000_NS6detail17trampoline_kernelINS0_14default_configENS1_20scan_config_selectorIlEEZZNS1_9scan_implILNS1_25lookback_scan_determinismE0ELb0ELb0ES3_PlS8_lN6thrust23THRUST_200600_302600_NS4plusIvEElEEDaPvRmT3_T4_T5_mT6_P12ihipStream_tbENKUlT_T0_E_clISt17integral_constantIbLb0EESQ_EEDaSL_SM_EUlSL_E_NS1_11comp_targetILNS1_3genE2ELNS1_11target_archE906ELNS1_3gpuE6ELNS1_3repE0EEENS1_30default_config_static_selectorELNS0_4arch9wavefront6targetE1EEEvT1_.numbered_sgpr, 0
	.set _ZN7rocprim17ROCPRIM_400000_NS6detail17trampoline_kernelINS0_14default_configENS1_20scan_config_selectorIlEEZZNS1_9scan_implILNS1_25lookback_scan_determinismE0ELb0ELb0ES3_PlS8_lN6thrust23THRUST_200600_302600_NS4plusIvEElEEDaPvRmT3_T4_T5_mT6_P12ihipStream_tbENKUlT_T0_E_clISt17integral_constantIbLb0EESQ_EEDaSL_SM_EUlSL_E_NS1_11comp_targetILNS1_3genE2ELNS1_11target_archE906ELNS1_3gpuE6ELNS1_3repE0EEENS1_30default_config_static_selectorELNS0_4arch9wavefront6targetE1EEEvT1_.num_named_barrier, 0
	.set _ZN7rocprim17ROCPRIM_400000_NS6detail17trampoline_kernelINS0_14default_configENS1_20scan_config_selectorIlEEZZNS1_9scan_implILNS1_25lookback_scan_determinismE0ELb0ELb0ES3_PlS8_lN6thrust23THRUST_200600_302600_NS4plusIvEElEEDaPvRmT3_T4_T5_mT6_P12ihipStream_tbENKUlT_T0_E_clISt17integral_constantIbLb0EESQ_EEDaSL_SM_EUlSL_E_NS1_11comp_targetILNS1_3genE2ELNS1_11target_archE906ELNS1_3gpuE6ELNS1_3repE0EEENS1_30default_config_static_selectorELNS0_4arch9wavefront6targetE1EEEvT1_.private_seg_size, 0
	.set _ZN7rocprim17ROCPRIM_400000_NS6detail17trampoline_kernelINS0_14default_configENS1_20scan_config_selectorIlEEZZNS1_9scan_implILNS1_25lookback_scan_determinismE0ELb0ELb0ES3_PlS8_lN6thrust23THRUST_200600_302600_NS4plusIvEElEEDaPvRmT3_T4_T5_mT6_P12ihipStream_tbENKUlT_T0_E_clISt17integral_constantIbLb0EESQ_EEDaSL_SM_EUlSL_E_NS1_11comp_targetILNS1_3genE2ELNS1_11target_archE906ELNS1_3gpuE6ELNS1_3repE0EEENS1_30default_config_static_selectorELNS0_4arch9wavefront6targetE1EEEvT1_.uses_vcc, 0
	.set _ZN7rocprim17ROCPRIM_400000_NS6detail17trampoline_kernelINS0_14default_configENS1_20scan_config_selectorIlEEZZNS1_9scan_implILNS1_25lookback_scan_determinismE0ELb0ELb0ES3_PlS8_lN6thrust23THRUST_200600_302600_NS4plusIvEElEEDaPvRmT3_T4_T5_mT6_P12ihipStream_tbENKUlT_T0_E_clISt17integral_constantIbLb0EESQ_EEDaSL_SM_EUlSL_E_NS1_11comp_targetILNS1_3genE2ELNS1_11target_archE906ELNS1_3gpuE6ELNS1_3repE0EEENS1_30default_config_static_selectorELNS0_4arch9wavefront6targetE1EEEvT1_.uses_flat_scratch, 0
	.set _ZN7rocprim17ROCPRIM_400000_NS6detail17trampoline_kernelINS0_14default_configENS1_20scan_config_selectorIlEEZZNS1_9scan_implILNS1_25lookback_scan_determinismE0ELb0ELb0ES3_PlS8_lN6thrust23THRUST_200600_302600_NS4plusIvEElEEDaPvRmT3_T4_T5_mT6_P12ihipStream_tbENKUlT_T0_E_clISt17integral_constantIbLb0EESQ_EEDaSL_SM_EUlSL_E_NS1_11comp_targetILNS1_3genE2ELNS1_11target_archE906ELNS1_3gpuE6ELNS1_3repE0EEENS1_30default_config_static_selectorELNS0_4arch9wavefront6targetE1EEEvT1_.has_dyn_sized_stack, 0
	.set _ZN7rocprim17ROCPRIM_400000_NS6detail17trampoline_kernelINS0_14default_configENS1_20scan_config_selectorIlEEZZNS1_9scan_implILNS1_25lookback_scan_determinismE0ELb0ELb0ES3_PlS8_lN6thrust23THRUST_200600_302600_NS4plusIvEElEEDaPvRmT3_T4_T5_mT6_P12ihipStream_tbENKUlT_T0_E_clISt17integral_constantIbLb0EESQ_EEDaSL_SM_EUlSL_E_NS1_11comp_targetILNS1_3genE2ELNS1_11target_archE906ELNS1_3gpuE6ELNS1_3repE0EEENS1_30default_config_static_selectorELNS0_4arch9wavefront6targetE1EEEvT1_.has_recursion, 0
	.set _ZN7rocprim17ROCPRIM_400000_NS6detail17trampoline_kernelINS0_14default_configENS1_20scan_config_selectorIlEEZZNS1_9scan_implILNS1_25lookback_scan_determinismE0ELb0ELb0ES3_PlS8_lN6thrust23THRUST_200600_302600_NS4plusIvEElEEDaPvRmT3_T4_T5_mT6_P12ihipStream_tbENKUlT_T0_E_clISt17integral_constantIbLb0EESQ_EEDaSL_SM_EUlSL_E_NS1_11comp_targetILNS1_3genE2ELNS1_11target_archE906ELNS1_3gpuE6ELNS1_3repE0EEENS1_30default_config_static_selectorELNS0_4arch9wavefront6targetE1EEEvT1_.has_indirect_call, 0
	.section	.AMDGPU.csdata,"",@progbits
; Kernel info:
; codeLenInByte = 0
; TotalNumSgprs: 6
; NumVgprs: 0
; NumAgprs: 0
; TotalNumVgprs: 0
; ScratchSize: 0
; MemoryBound: 0
; FloatMode: 240
; IeeeMode: 1
; LDSByteSize: 0 bytes/workgroup (compile time only)
; SGPRBlocks: 0
; VGPRBlocks: 0
; NumSGPRsForWavesPerEU: 6
; NumVGPRsForWavesPerEU: 1
; AccumOffset: 4
; Occupancy: 8
; WaveLimiterHint : 0
; COMPUTE_PGM_RSRC2:SCRATCH_EN: 0
; COMPUTE_PGM_RSRC2:USER_SGPR: 2
; COMPUTE_PGM_RSRC2:TRAP_HANDLER: 0
; COMPUTE_PGM_RSRC2:TGID_X_EN: 1
; COMPUTE_PGM_RSRC2:TGID_Y_EN: 0
; COMPUTE_PGM_RSRC2:TGID_Z_EN: 0
; COMPUTE_PGM_RSRC2:TIDIG_COMP_CNT: 0
; COMPUTE_PGM_RSRC3_GFX90A:ACCUM_OFFSET: 0
; COMPUTE_PGM_RSRC3_GFX90A:TG_SPLIT: 0
	.section	.text._ZN7rocprim17ROCPRIM_400000_NS6detail17trampoline_kernelINS0_14default_configENS1_20scan_config_selectorIlEEZZNS1_9scan_implILNS1_25lookback_scan_determinismE0ELb0ELb0ES3_PlS8_lN6thrust23THRUST_200600_302600_NS4plusIvEElEEDaPvRmT3_T4_T5_mT6_P12ihipStream_tbENKUlT_T0_E_clISt17integral_constantIbLb0EESQ_EEDaSL_SM_EUlSL_E_NS1_11comp_targetILNS1_3genE10ELNS1_11target_archE1201ELNS1_3gpuE5ELNS1_3repE0EEENS1_30default_config_static_selectorELNS0_4arch9wavefront6targetE1EEEvT1_,"axG",@progbits,_ZN7rocprim17ROCPRIM_400000_NS6detail17trampoline_kernelINS0_14default_configENS1_20scan_config_selectorIlEEZZNS1_9scan_implILNS1_25lookback_scan_determinismE0ELb0ELb0ES3_PlS8_lN6thrust23THRUST_200600_302600_NS4plusIvEElEEDaPvRmT3_T4_T5_mT6_P12ihipStream_tbENKUlT_T0_E_clISt17integral_constantIbLb0EESQ_EEDaSL_SM_EUlSL_E_NS1_11comp_targetILNS1_3genE10ELNS1_11target_archE1201ELNS1_3gpuE5ELNS1_3repE0EEENS1_30default_config_static_selectorELNS0_4arch9wavefront6targetE1EEEvT1_,comdat
	.protected	_ZN7rocprim17ROCPRIM_400000_NS6detail17trampoline_kernelINS0_14default_configENS1_20scan_config_selectorIlEEZZNS1_9scan_implILNS1_25lookback_scan_determinismE0ELb0ELb0ES3_PlS8_lN6thrust23THRUST_200600_302600_NS4plusIvEElEEDaPvRmT3_T4_T5_mT6_P12ihipStream_tbENKUlT_T0_E_clISt17integral_constantIbLb0EESQ_EEDaSL_SM_EUlSL_E_NS1_11comp_targetILNS1_3genE10ELNS1_11target_archE1201ELNS1_3gpuE5ELNS1_3repE0EEENS1_30default_config_static_selectorELNS0_4arch9wavefront6targetE1EEEvT1_ ; -- Begin function _ZN7rocprim17ROCPRIM_400000_NS6detail17trampoline_kernelINS0_14default_configENS1_20scan_config_selectorIlEEZZNS1_9scan_implILNS1_25lookback_scan_determinismE0ELb0ELb0ES3_PlS8_lN6thrust23THRUST_200600_302600_NS4plusIvEElEEDaPvRmT3_T4_T5_mT6_P12ihipStream_tbENKUlT_T0_E_clISt17integral_constantIbLb0EESQ_EEDaSL_SM_EUlSL_E_NS1_11comp_targetILNS1_3genE10ELNS1_11target_archE1201ELNS1_3gpuE5ELNS1_3repE0EEENS1_30default_config_static_selectorELNS0_4arch9wavefront6targetE1EEEvT1_
	.globl	_ZN7rocprim17ROCPRIM_400000_NS6detail17trampoline_kernelINS0_14default_configENS1_20scan_config_selectorIlEEZZNS1_9scan_implILNS1_25lookback_scan_determinismE0ELb0ELb0ES3_PlS8_lN6thrust23THRUST_200600_302600_NS4plusIvEElEEDaPvRmT3_T4_T5_mT6_P12ihipStream_tbENKUlT_T0_E_clISt17integral_constantIbLb0EESQ_EEDaSL_SM_EUlSL_E_NS1_11comp_targetILNS1_3genE10ELNS1_11target_archE1201ELNS1_3gpuE5ELNS1_3repE0EEENS1_30default_config_static_selectorELNS0_4arch9wavefront6targetE1EEEvT1_
	.p2align	8
	.type	_ZN7rocprim17ROCPRIM_400000_NS6detail17trampoline_kernelINS0_14default_configENS1_20scan_config_selectorIlEEZZNS1_9scan_implILNS1_25lookback_scan_determinismE0ELb0ELb0ES3_PlS8_lN6thrust23THRUST_200600_302600_NS4plusIvEElEEDaPvRmT3_T4_T5_mT6_P12ihipStream_tbENKUlT_T0_E_clISt17integral_constantIbLb0EESQ_EEDaSL_SM_EUlSL_E_NS1_11comp_targetILNS1_3genE10ELNS1_11target_archE1201ELNS1_3gpuE5ELNS1_3repE0EEENS1_30default_config_static_selectorELNS0_4arch9wavefront6targetE1EEEvT1_,@function
_ZN7rocprim17ROCPRIM_400000_NS6detail17trampoline_kernelINS0_14default_configENS1_20scan_config_selectorIlEEZZNS1_9scan_implILNS1_25lookback_scan_determinismE0ELb0ELb0ES3_PlS8_lN6thrust23THRUST_200600_302600_NS4plusIvEElEEDaPvRmT3_T4_T5_mT6_P12ihipStream_tbENKUlT_T0_E_clISt17integral_constantIbLb0EESQ_EEDaSL_SM_EUlSL_E_NS1_11comp_targetILNS1_3genE10ELNS1_11target_archE1201ELNS1_3gpuE5ELNS1_3repE0EEENS1_30default_config_static_selectorELNS0_4arch9wavefront6targetE1EEEvT1_: ; @_ZN7rocprim17ROCPRIM_400000_NS6detail17trampoline_kernelINS0_14default_configENS1_20scan_config_selectorIlEEZZNS1_9scan_implILNS1_25lookback_scan_determinismE0ELb0ELb0ES3_PlS8_lN6thrust23THRUST_200600_302600_NS4plusIvEElEEDaPvRmT3_T4_T5_mT6_P12ihipStream_tbENKUlT_T0_E_clISt17integral_constantIbLb0EESQ_EEDaSL_SM_EUlSL_E_NS1_11comp_targetILNS1_3genE10ELNS1_11target_archE1201ELNS1_3gpuE5ELNS1_3repE0EEENS1_30default_config_static_selectorELNS0_4arch9wavefront6targetE1EEEvT1_
; %bb.0:
	.section	.rodata,"a",@progbits
	.p2align	6, 0x0
	.amdhsa_kernel _ZN7rocprim17ROCPRIM_400000_NS6detail17trampoline_kernelINS0_14default_configENS1_20scan_config_selectorIlEEZZNS1_9scan_implILNS1_25lookback_scan_determinismE0ELb0ELb0ES3_PlS8_lN6thrust23THRUST_200600_302600_NS4plusIvEElEEDaPvRmT3_T4_T5_mT6_P12ihipStream_tbENKUlT_T0_E_clISt17integral_constantIbLb0EESQ_EEDaSL_SM_EUlSL_E_NS1_11comp_targetILNS1_3genE10ELNS1_11target_archE1201ELNS1_3gpuE5ELNS1_3repE0EEENS1_30default_config_static_selectorELNS0_4arch9wavefront6targetE1EEEvT1_
		.amdhsa_group_segment_fixed_size 0
		.amdhsa_private_segment_fixed_size 0
		.amdhsa_kernarg_size 104
		.amdhsa_user_sgpr_count 2
		.amdhsa_user_sgpr_dispatch_ptr 0
		.amdhsa_user_sgpr_queue_ptr 0
		.amdhsa_user_sgpr_kernarg_segment_ptr 1
		.amdhsa_user_sgpr_dispatch_id 0
		.amdhsa_user_sgpr_kernarg_preload_length 0
		.amdhsa_user_sgpr_kernarg_preload_offset 0
		.amdhsa_user_sgpr_private_segment_size 0
		.amdhsa_uses_dynamic_stack 0
		.amdhsa_enable_private_segment 0
		.amdhsa_system_sgpr_workgroup_id_x 1
		.amdhsa_system_sgpr_workgroup_id_y 0
		.amdhsa_system_sgpr_workgroup_id_z 0
		.amdhsa_system_sgpr_workgroup_info 0
		.amdhsa_system_vgpr_workitem_id 0
		.amdhsa_next_free_vgpr 1
		.amdhsa_next_free_sgpr 0
		.amdhsa_accum_offset 4
		.amdhsa_reserve_vcc 0
		.amdhsa_float_round_mode_32 0
		.amdhsa_float_round_mode_16_64 0
		.amdhsa_float_denorm_mode_32 3
		.amdhsa_float_denorm_mode_16_64 3
		.amdhsa_dx10_clamp 1
		.amdhsa_ieee_mode 1
		.amdhsa_fp16_overflow 0
		.amdhsa_tg_split 0
		.amdhsa_exception_fp_ieee_invalid_op 0
		.amdhsa_exception_fp_denorm_src 0
		.amdhsa_exception_fp_ieee_div_zero 0
		.amdhsa_exception_fp_ieee_overflow 0
		.amdhsa_exception_fp_ieee_underflow 0
		.amdhsa_exception_fp_ieee_inexact 0
		.amdhsa_exception_int_div_zero 0
	.end_amdhsa_kernel
	.section	.text._ZN7rocprim17ROCPRIM_400000_NS6detail17trampoline_kernelINS0_14default_configENS1_20scan_config_selectorIlEEZZNS1_9scan_implILNS1_25lookback_scan_determinismE0ELb0ELb0ES3_PlS8_lN6thrust23THRUST_200600_302600_NS4plusIvEElEEDaPvRmT3_T4_T5_mT6_P12ihipStream_tbENKUlT_T0_E_clISt17integral_constantIbLb0EESQ_EEDaSL_SM_EUlSL_E_NS1_11comp_targetILNS1_3genE10ELNS1_11target_archE1201ELNS1_3gpuE5ELNS1_3repE0EEENS1_30default_config_static_selectorELNS0_4arch9wavefront6targetE1EEEvT1_,"axG",@progbits,_ZN7rocprim17ROCPRIM_400000_NS6detail17trampoline_kernelINS0_14default_configENS1_20scan_config_selectorIlEEZZNS1_9scan_implILNS1_25lookback_scan_determinismE0ELb0ELb0ES3_PlS8_lN6thrust23THRUST_200600_302600_NS4plusIvEElEEDaPvRmT3_T4_T5_mT6_P12ihipStream_tbENKUlT_T0_E_clISt17integral_constantIbLb0EESQ_EEDaSL_SM_EUlSL_E_NS1_11comp_targetILNS1_3genE10ELNS1_11target_archE1201ELNS1_3gpuE5ELNS1_3repE0EEENS1_30default_config_static_selectorELNS0_4arch9wavefront6targetE1EEEvT1_,comdat
.Lfunc_end89:
	.size	_ZN7rocprim17ROCPRIM_400000_NS6detail17trampoline_kernelINS0_14default_configENS1_20scan_config_selectorIlEEZZNS1_9scan_implILNS1_25lookback_scan_determinismE0ELb0ELb0ES3_PlS8_lN6thrust23THRUST_200600_302600_NS4plusIvEElEEDaPvRmT3_T4_T5_mT6_P12ihipStream_tbENKUlT_T0_E_clISt17integral_constantIbLb0EESQ_EEDaSL_SM_EUlSL_E_NS1_11comp_targetILNS1_3genE10ELNS1_11target_archE1201ELNS1_3gpuE5ELNS1_3repE0EEENS1_30default_config_static_selectorELNS0_4arch9wavefront6targetE1EEEvT1_, .Lfunc_end89-_ZN7rocprim17ROCPRIM_400000_NS6detail17trampoline_kernelINS0_14default_configENS1_20scan_config_selectorIlEEZZNS1_9scan_implILNS1_25lookback_scan_determinismE0ELb0ELb0ES3_PlS8_lN6thrust23THRUST_200600_302600_NS4plusIvEElEEDaPvRmT3_T4_T5_mT6_P12ihipStream_tbENKUlT_T0_E_clISt17integral_constantIbLb0EESQ_EEDaSL_SM_EUlSL_E_NS1_11comp_targetILNS1_3genE10ELNS1_11target_archE1201ELNS1_3gpuE5ELNS1_3repE0EEENS1_30default_config_static_selectorELNS0_4arch9wavefront6targetE1EEEvT1_
                                        ; -- End function
	.set _ZN7rocprim17ROCPRIM_400000_NS6detail17trampoline_kernelINS0_14default_configENS1_20scan_config_selectorIlEEZZNS1_9scan_implILNS1_25lookback_scan_determinismE0ELb0ELb0ES3_PlS8_lN6thrust23THRUST_200600_302600_NS4plusIvEElEEDaPvRmT3_T4_T5_mT6_P12ihipStream_tbENKUlT_T0_E_clISt17integral_constantIbLb0EESQ_EEDaSL_SM_EUlSL_E_NS1_11comp_targetILNS1_3genE10ELNS1_11target_archE1201ELNS1_3gpuE5ELNS1_3repE0EEENS1_30default_config_static_selectorELNS0_4arch9wavefront6targetE1EEEvT1_.num_vgpr, 0
	.set _ZN7rocprim17ROCPRIM_400000_NS6detail17trampoline_kernelINS0_14default_configENS1_20scan_config_selectorIlEEZZNS1_9scan_implILNS1_25lookback_scan_determinismE0ELb0ELb0ES3_PlS8_lN6thrust23THRUST_200600_302600_NS4plusIvEElEEDaPvRmT3_T4_T5_mT6_P12ihipStream_tbENKUlT_T0_E_clISt17integral_constantIbLb0EESQ_EEDaSL_SM_EUlSL_E_NS1_11comp_targetILNS1_3genE10ELNS1_11target_archE1201ELNS1_3gpuE5ELNS1_3repE0EEENS1_30default_config_static_selectorELNS0_4arch9wavefront6targetE1EEEvT1_.num_agpr, 0
	.set _ZN7rocprim17ROCPRIM_400000_NS6detail17trampoline_kernelINS0_14default_configENS1_20scan_config_selectorIlEEZZNS1_9scan_implILNS1_25lookback_scan_determinismE0ELb0ELb0ES3_PlS8_lN6thrust23THRUST_200600_302600_NS4plusIvEElEEDaPvRmT3_T4_T5_mT6_P12ihipStream_tbENKUlT_T0_E_clISt17integral_constantIbLb0EESQ_EEDaSL_SM_EUlSL_E_NS1_11comp_targetILNS1_3genE10ELNS1_11target_archE1201ELNS1_3gpuE5ELNS1_3repE0EEENS1_30default_config_static_selectorELNS0_4arch9wavefront6targetE1EEEvT1_.numbered_sgpr, 0
	.set _ZN7rocprim17ROCPRIM_400000_NS6detail17trampoline_kernelINS0_14default_configENS1_20scan_config_selectorIlEEZZNS1_9scan_implILNS1_25lookback_scan_determinismE0ELb0ELb0ES3_PlS8_lN6thrust23THRUST_200600_302600_NS4plusIvEElEEDaPvRmT3_T4_T5_mT6_P12ihipStream_tbENKUlT_T0_E_clISt17integral_constantIbLb0EESQ_EEDaSL_SM_EUlSL_E_NS1_11comp_targetILNS1_3genE10ELNS1_11target_archE1201ELNS1_3gpuE5ELNS1_3repE0EEENS1_30default_config_static_selectorELNS0_4arch9wavefront6targetE1EEEvT1_.num_named_barrier, 0
	.set _ZN7rocprim17ROCPRIM_400000_NS6detail17trampoline_kernelINS0_14default_configENS1_20scan_config_selectorIlEEZZNS1_9scan_implILNS1_25lookback_scan_determinismE0ELb0ELb0ES3_PlS8_lN6thrust23THRUST_200600_302600_NS4plusIvEElEEDaPvRmT3_T4_T5_mT6_P12ihipStream_tbENKUlT_T0_E_clISt17integral_constantIbLb0EESQ_EEDaSL_SM_EUlSL_E_NS1_11comp_targetILNS1_3genE10ELNS1_11target_archE1201ELNS1_3gpuE5ELNS1_3repE0EEENS1_30default_config_static_selectorELNS0_4arch9wavefront6targetE1EEEvT1_.private_seg_size, 0
	.set _ZN7rocprim17ROCPRIM_400000_NS6detail17trampoline_kernelINS0_14default_configENS1_20scan_config_selectorIlEEZZNS1_9scan_implILNS1_25lookback_scan_determinismE0ELb0ELb0ES3_PlS8_lN6thrust23THRUST_200600_302600_NS4plusIvEElEEDaPvRmT3_T4_T5_mT6_P12ihipStream_tbENKUlT_T0_E_clISt17integral_constantIbLb0EESQ_EEDaSL_SM_EUlSL_E_NS1_11comp_targetILNS1_3genE10ELNS1_11target_archE1201ELNS1_3gpuE5ELNS1_3repE0EEENS1_30default_config_static_selectorELNS0_4arch9wavefront6targetE1EEEvT1_.uses_vcc, 0
	.set _ZN7rocprim17ROCPRIM_400000_NS6detail17trampoline_kernelINS0_14default_configENS1_20scan_config_selectorIlEEZZNS1_9scan_implILNS1_25lookback_scan_determinismE0ELb0ELb0ES3_PlS8_lN6thrust23THRUST_200600_302600_NS4plusIvEElEEDaPvRmT3_T4_T5_mT6_P12ihipStream_tbENKUlT_T0_E_clISt17integral_constantIbLb0EESQ_EEDaSL_SM_EUlSL_E_NS1_11comp_targetILNS1_3genE10ELNS1_11target_archE1201ELNS1_3gpuE5ELNS1_3repE0EEENS1_30default_config_static_selectorELNS0_4arch9wavefront6targetE1EEEvT1_.uses_flat_scratch, 0
	.set _ZN7rocprim17ROCPRIM_400000_NS6detail17trampoline_kernelINS0_14default_configENS1_20scan_config_selectorIlEEZZNS1_9scan_implILNS1_25lookback_scan_determinismE0ELb0ELb0ES3_PlS8_lN6thrust23THRUST_200600_302600_NS4plusIvEElEEDaPvRmT3_T4_T5_mT6_P12ihipStream_tbENKUlT_T0_E_clISt17integral_constantIbLb0EESQ_EEDaSL_SM_EUlSL_E_NS1_11comp_targetILNS1_3genE10ELNS1_11target_archE1201ELNS1_3gpuE5ELNS1_3repE0EEENS1_30default_config_static_selectorELNS0_4arch9wavefront6targetE1EEEvT1_.has_dyn_sized_stack, 0
	.set _ZN7rocprim17ROCPRIM_400000_NS6detail17trampoline_kernelINS0_14default_configENS1_20scan_config_selectorIlEEZZNS1_9scan_implILNS1_25lookback_scan_determinismE0ELb0ELb0ES3_PlS8_lN6thrust23THRUST_200600_302600_NS4plusIvEElEEDaPvRmT3_T4_T5_mT6_P12ihipStream_tbENKUlT_T0_E_clISt17integral_constantIbLb0EESQ_EEDaSL_SM_EUlSL_E_NS1_11comp_targetILNS1_3genE10ELNS1_11target_archE1201ELNS1_3gpuE5ELNS1_3repE0EEENS1_30default_config_static_selectorELNS0_4arch9wavefront6targetE1EEEvT1_.has_recursion, 0
	.set _ZN7rocprim17ROCPRIM_400000_NS6detail17trampoline_kernelINS0_14default_configENS1_20scan_config_selectorIlEEZZNS1_9scan_implILNS1_25lookback_scan_determinismE0ELb0ELb0ES3_PlS8_lN6thrust23THRUST_200600_302600_NS4plusIvEElEEDaPvRmT3_T4_T5_mT6_P12ihipStream_tbENKUlT_T0_E_clISt17integral_constantIbLb0EESQ_EEDaSL_SM_EUlSL_E_NS1_11comp_targetILNS1_3genE10ELNS1_11target_archE1201ELNS1_3gpuE5ELNS1_3repE0EEENS1_30default_config_static_selectorELNS0_4arch9wavefront6targetE1EEEvT1_.has_indirect_call, 0
	.section	.AMDGPU.csdata,"",@progbits
; Kernel info:
; codeLenInByte = 0
; TotalNumSgprs: 6
; NumVgprs: 0
; NumAgprs: 0
; TotalNumVgprs: 0
; ScratchSize: 0
; MemoryBound: 0
; FloatMode: 240
; IeeeMode: 1
; LDSByteSize: 0 bytes/workgroup (compile time only)
; SGPRBlocks: 0
; VGPRBlocks: 0
; NumSGPRsForWavesPerEU: 6
; NumVGPRsForWavesPerEU: 1
; AccumOffset: 4
; Occupancy: 8
; WaveLimiterHint : 0
; COMPUTE_PGM_RSRC2:SCRATCH_EN: 0
; COMPUTE_PGM_RSRC2:USER_SGPR: 2
; COMPUTE_PGM_RSRC2:TRAP_HANDLER: 0
; COMPUTE_PGM_RSRC2:TGID_X_EN: 1
; COMPUTE_PGM_RSRC2:TGID_Y_EN: 0
; COMPUTE_PGM_RSRC2:TGID_Z_EN: 0
; COMPUTE_PGM_RSRC2:TIDIG_COMP_CNT: 0
; COMPUTE_PGM_RSRC3_GFX90A:ACCUM_OFFSET: 0
; COMPUTE_PGM_RSRC3_GFX90A:TG_SPLIT: 0
	.section	.text._ZN7rocprim17ROCPRIM_400000_NS6detail17trampoline_kernelINS0_14default_configENS1_20scan_config_selectorIlEEZZNS1_9scan_implILNS1_25lookback_scan_determinismE0ELb0ELb0ES3_PlS8_lN6thrust23THRUST_200600_302600_NS4plusIvEElEEDaPvRmT3_T4_T5_mT6_P12ihipStream_tbENKUlT_T0_E_clISt17integral_constantIbLb0EESQ_EEDaSL_SM_EUlSL_E_NS1_11comp_targetILNS1_3genE10ELNS1_11target_archE1200ELNS1_3gpuE4ELNS1_3repE0EEENS1_30default_config_static_selectorELNS0_4arch9wavefront6targetE1EEEvT1_,"axG",@progbits,_ZN7rocprim17ROCPRIM_400000_NS6detail17trampoline_kernelINS0_14default_configENS1_20scan_config_selectorIlEEZZNS1_9scan_implILNS1_25lookback_scan_determinismE0ELb0ELb0ES3_PlS8_lN6thrust23THRUST_200600_302600_NS4plusIvEElEEDaPvRmT3_T4_T5_mT6_P12ihipStream_tbENKUlT_T0_E_clISt17integral_constantIbLb0EESQ_EEDaSL_SM_EUlSL_E_NS1_11comp_targetILNS1_3genE10ELNS1_11target_archE1200ELNS1_3gpuE4ELNS1_3repE0EEENS1_30default_config_static_selectorELNS0_4arch9wavefront6targetE1EEEvT1_,comdat
	.protected	_ZN7rocprim17ROCPRIM_400000_NS6detail17trampoline_kernelINS0_14default_configENS1_20scan_config_selectorIlEEZZNS1_9scan_implILNS1_25lookback_scan_determinismE0ELb0ELb0ES3_PlS8_lN6thrust23THRUST_200600_302600_NS4plusIvEElEEDaPvRmT3_T4_T5_mT6_P12ihipStream_tbENKUlT_T0_E_clISt17integral_constantIbLb0EESQ_EEDaSL_SM_EUlSL_E_NS1_11comp_targetILNS1_3genE10ELNS1_11target_archE1200ELNS1_3gpuE4ELNS1_3repE0EEENS1_30default_config_static_selectorELNS0_4arch9wavefront6targetE1EEEvT1_ ; -- Begin function _ZN7rocprim17ROCPRIM_400000_NS6detail17trampoline_kernelINS0_14default_configENS1_20scan_config_selectorIlEEZZNS1_9scan_implILNS1_25lookback_scan_determinismE0ELb0ELb0ES3_PlS8_lN6thrust23THRUST_200600_302600_NS4plusIvEElEEDaPvRmT3_T4_T5_mT6_P12ihipStream_tbENKUlT_T0_E_clISt17integral_constantIbLb0EESQ_EEDaSL_SM_EUlSL_E_NS1_11comp_targetILNS1_3genE10ELNS1_11target_archE1200ELNS1_3gpuE4ELNS1_3repE0EEENS1_30default_config_static_selectorELNS0_4arch9wavefront6targetE1EEEvT1_
	.globl	_ZN7rocprim17ROCPRIM_400000_NS6detail17trampoline_kernelINS0_14default_configENS1_20scan_config_selectorIlEEZZNS1_9scan_implILNS1_25lookback_scan_determinismE0ELb0ELb0ES3_PlS8_lN6thrust23THRUST_200600_302600_NS4plusIvEElEEDaPvRmT3_T4_T5_mT6_P12ihipStream_tbENKUlT_T0_E_clISt17integral_constantIbLb0EESQ_EEDaSL_SM_EUlSL_E_NS1_11comp_targetILNS1_3genE10ELNS1_11target_archE1200ELNS1_3gpuE4ELNS1_3repE0EEENS1_30default_config_static_selectorELNS0_4arch9wavefront6targetE1EEEvT1_
	.p2align	8
	.type	_ZN7rocprim17ROCPRIM_400000_NS6detail17trampoline_kernelINS0_14default_configENS1_20scan_config_selectorIlEEZZNS1_9scan_implILNS1_25lookback_scan_determinismE0ELb0ELb0ES3_PlS8_lN6thrust23THRUST_200600_302600_NS4plusIvEElEEDaPvRmT3_T4_T5_mT6_P12ihipStream_tbENKUlT_T0_E_clISt17integral_constantIbLb0EESQ_EEDaSL_SM_EUlSL_E_NS1_11comp_targetILNS1_3genE10ELNS1_11target_archE1200ELNS1_3gpuE4ELNS1_3repE0EEENS1_30default_config_static_selectorELNS0_4arch9wavefront6targetE1EEEvT1_,@function
_ZN7rocprim17ROCPRIM_400000_NS6detail17trampoline_kernelINS0_14default_configENS1_20scan_config_selectorIlEEZZNS1_9scan_implILNS1_25lookback_scan_determinismE0ELb0ELb0ES3_PlS8_lN6thrust23THRUST_200600_302600_NS4plusIvEElEEDaPvRmT3_T4_T5_mT6_P12ihipStream_tbENKUlT_T0_E_clISt17integral_constantIbLb0EESQ_EEDaSL_SM_EUlSL_E_NS1_11comp_targetILNS1_3genE10ELNS1_11target_archE1200ELNS1_3gpuE4ELNS1_3repE0EEENS1_30default_config_static_selectorELNS0_4arch9wavefront6targetE1EEEvT1_: ; @_ZN7rocprim17ROCPRIM_400000_NS6detail17trampoline_kernelINS0_14default_configENS1_20scan_config_selectorIlEEZZNS1_9scan_implILNS1_25lookback_scan_determinismE0ELb0ELb0ES3_PlS8_lN6thrust23THRUST_200600_302600_NS4plusIvEElEEDaPvRmT3_T4_T5_mT6_P12ihipStream_tbENKUlT_T0_E_clISt17integral_constantIbLb0EESQ_EEDaSL_SM_EUlSL_E_NS1_11comp_targetILNS1_3genE10ELNS1_11target_archE1200ELNS1_3gpuE4ELNS1_3repE0EEENS1_30default_config_static_selectorELNS0_4arch9wavefront6targetE1EEEvT1_
; %bb.0:
	.section	.rodata,"a",@progbits
	.p2align	6, 0x0
	.amdhsa_kernel _ZN7rocprim17ROCPRIM_400000_NS6detail17trampoline_kernelINS0_14default_configENS1_20scan_config_selectorIlEEZZNS1_9scan_implILNS1_25lookback_scan_determinismE0ELb0ELb0ES3_PlS8_lN6thrust23THRUST_200600_302600_NS4plusIvEElEEDaPvRmT3_T4_T5_mT6_P12ihipStream_tbENKUlT_T0_E_clISt17integral_constantIbLb0EESQ_EEDaSL_SM_EUlSL_E_NS1_11comp_targetILNS1_3genE10ELNS1_11target_archE1200ELNS1_3gpuE4ELNS1_3repE0EEENS1_30default_config_static_selectorELNS0_4arch9wavefront6targetE1EEEvT1_
		.amdhsa_group_segment_fixed_size 0
		.amdhsa_private_segment_fixed_size 0
		.amdhsa_kernarg_size 104
		.amdhsa_user_sgpr_count 2
		.amdhsa_user_sgpr_dispatch_ptr 0
		.amdhsa_user_sgpr_queue_ptr 0
		.amdhsa_user_sgpr_kernarg_segment_ptr 1
		.amdhsa_user_sgpr_dispatch_id 0
		.amdhsa_user_sgpr_kernarg_preload_length 0
		.amdhsa_user_sgpr_kernarg_preload_offset 0
		.amdhsa_user_sgpr_private_segment_size 0
		.amdhsa_uses_dynamic_stack 0
		.amdhsa_enable_private_segment 0
		.amdhsa_system_sgpr_workgroup_id_x 1
		.amdhsa_system_sgpr_workgroup_id_y 0
		.amdhsa_system_sgpr_workgroup_id_z 0
		.amdhsa_system_sgpr_workgroup_info 0
		.amdhsa_system_vgpr_workitem_id 0
		.amdhsa_next_free_vgpr 1
		.amdhsa_next_free_sgpr 0
		.amdhsa_accum_offset 4
		.amdhsa_reserve_vcc 0
		.amdhsa_float_round_mode_32 0
		.amdhsa_float_round_mode_16_64 0
		.amdhsa_float_denorm_mode_32 3
		.amdhsa_float_denorm_mode_16_64 3
		.amdhsa_dx10_clamp 1
		.amdhsa_ieee_mode 1
		.amdhsa_fp16_overflow 0
		.amdhsa_tg_split 0
		.amdhsa_exception_fp_ieee_invalid_op 0
		.amdhsa_exception_fp_denorm_src 0
		.amdhsa_exception_fp_ieee_div_zero 0
		.amdhsa_exception_fp_ieee_overflow 0
		.amdhsa_exception_fp_ieee_underflow 0
		.amdhsa_exception_fp_ieee_inexact 0
		.amdhsa_exception_int_div_zero 0
	.end_amdhsa_kernel
	.section	.text._ZN7rocprim17ROCPRIM_400000_NS6detail17trampoline_kernelINS0_14default_configENS1_20scan_config_selectorIlEEZZNS1_9scan_implILNS1_25lookback_scan_determinismE0ELb0ELb0ES3_PlS8_lN6thrust23THRUST_200600_302600_NS4plusIvEElEEDaPvRmT3_T4_T5_mT6_P12ihipStream_tbENKUlT_T0_E_clISt17integral_constantIbLb0EESQ_EEDaSL_SM_EUlSL_E_NS1_11comp_targetILNS1_3genE10ELNS1_11target_archE1200ELNS1_3gpuE4ELNS1_3repE0EEENS1_30default_config_static_selectorELNS0_4arch9wavefront6targetE1EEEvT1_,"axG",@progbits,_ZN7rocprim17ROCPRIM_400000_NS6detail17trampoline_kernelINS0_14default_configENS1_20scan_config_selectorIlEEZZNS1_9scan_implILNS1_25lookback_scan_determinismE0ELb0ELb0ES3_PlS8_lN6thrust23THRUST_200600_302600_NS4plusIvEElEEDaPvRmT3_T4_T5_mT6_P12ihipStream_tbENKUlT_T0_E_clISt17integral_constantIbLb0EESQ_EEDaSL_SM_EUlSL_E_NS1_11comp_targetILNS1_3genE10ELNS1_11target_archE1200ELNS1_3gpuE4ELNS1_3repE0EEENS1_30default_config_static_selectorELNS0_4arch9wavefront6targetE1EEEvT1_,comdat
.Lfunc_end90:
	.size	_ZN7rocprim17ROCPRIM_400000_NS6detail17trampoline_kernelINS0_14default_configENS1_20scan_config_selectorIlEEZZNS1_9scan_implILNS1_25lookback_scan_determinismE0ELb0ELb0ES3_PlS8_lN6thrust23THRUST_200600_302600_NS4plusIvEElEEDaPvRmT3_T4_T5_mT6_P12ihipStream_tbENKUlT_T0_E_clISt17integral_constantIbLb0EESQ_EEDaSL_SM_EUlSL_E_NS1_11comp_targetILNS1_3genE10ELNS1_11target_archE1200ELNS1_3gpuE4ELNS1_3repE0EEENS1_30default_config_static_selectorELNS0_4arch9wavefront6targetE1EEEvT1_, .Lfunc_end90-_ZN7rocprim17ROCPRIM_400000_NS6detail17trampoline_kernelINS0_14default_configENS1_20scan_config_selectorIlEEZZNS1_9scan_implILNS1_25lookback_scan_determinismE0ELb0ELb0ES3_PlS8_lN6thrust23THRUST_200600_302600_NS4plusIvEElEEDaPvRmT3_T4_T5_mT6_P12ihipStream_tbENKUlT_T0_E_clISt17integral_constantIbLb0EESQ_EEDaSL_SM_EUlSL_E_NS1_11comp_targetILNS1_3genE10ELNS1_11target_archE1200ELNS1_3gpuE4ELNS1_3repE0EEENS1_30default_config_static_selectorELNS0_4arch9wavefront6targetE1EEEvT1_
                                        ; -- End function
	.set _ZN7rocprim17ROCPRIM_400000_NS6detail17trampoline_kernelINS0_14default_configENS1_20scan_config_selectorIlEEZZNS1_9scan_implILNS1_25lookback_scan_determinismE0ELb0ELb0ES3_PlS8_lN6thrust23THRUST_200600_302600_NS4plusIvEElEEDaPvRmT3_T4_T5_mT6_P12ihipStream_tbENKUlT_T0_E_clISt17integral_constantIbLb0EESQ_EEDaSL_SM_EUlSL_E_NS1_11comp_targetILNS1_3genE10ELNS1_11target_archE1200ELNS1_3gpuE4ELNS1_3repE0EEENS1_30default_config_static_selectorELNS0_4arch9wavefront6targetE1EEEvT1_.num_vgpr, 0
	.set _ZN7rocprim17ROCPRIM_400000_NS6detail17trampoline_kernelINS0_14default_configENS1_20scan_config_selectorIlEEZZNS1_9scan_implILNS1_25lookback_scan_determinismE0ELb0ELb0ES3_PlS8_lN6thrust23THRUST_200600_302600_NS4plusIvEElEEDaPvRmT3_T4_T5_mT6_P12ihipStream_tbENKUlT_T0_E_clISt17integral_constantIbLb0EESQ_EEDaSL_SM_EUlSL_E_NS1_11comp_targetILNS1_3genE10ELNS1_11target_archE1200ELNS1_3gpuE4ELNS1_3repE0EEENS1_30default_config_static_selectorELNS0_4arch9wavefront6targetE1EEEvT1_.num_agpr, 0
	.set _ZN7rocprim17ROCPRIM_400000_NS6detail17trampoline_kernelINS0_14default_configENS1_20scan_config_selectorIlEEZZNS1_9scan_implILNS1_25lookback_scan_determinismE0ELb0ELb0ES3_PlS8_lN6thrust23THRUST_200600_302600_NS4plusIvEElEEDaPvRmT3_T4_T5_mT6_P12ihipStream_tbENKUlT_T0_E_clISt17integral_constantIbLb0EESQ_EEDaSL_SM_EUlSL_E_NS1_11comp_targetILNS1_3genE10ELNS1_11target_archE1200ELNS1_3gpuE4ELNS1_3repE0EEENS1_30default_config_static_selectorELNS0_4arch9wavefront6targetE1EEEvT1_.numbered_sgpr, 0
	.set _ZN7rocprim17ROCPRIM_400000_NS6detail17trampoline_kernelINS0_14default_configENS1_20scan_config_selectorIlEEZZNS1_9scan_implILNS1_25lookback_scan_determinismE0ELb0ELb0ES3_PlS8_lN6thrust23THRUST_200600_302600_NS4plusIvEElEEDaPvRmT3_T4_T5_mT6_P12ihipStream_tbENKUlT_T0_E_clISt17integral_constantIbLb0EESQ_EEDaSL_SM_EUlSL_E_NS1_11comp_targetILNS1_3genE10ELNS1_11target_archE1200ELNS1_3gpuE4ELNS1_3repE0EEENS1_30default_config_static_selectorELNS0_4arch9wavefront6targetE1EEEvT1_.num_named_barrier, 0
	.set _ZN7rocprim17ROCPRIM_400000_NS6detail17trampoline_kernelINS0_14default_configENS1_20scan_config_selectorIlEEZZNS1_9scan_implILNS1_25lookback_scan_determinismE0ELb0ELb0ES3_PlS8_lN6thrust23THRUST_200600_302600_NS4plusIvEElEEDaPvRmT3_T4_T5_mT6_P12ihipStream_tbENKUlT_T0_E_clISt17integral_constantIbLb0EESQ_EEDaSL_SM_EUlSL_E_NS1_11comp_targetILNS1_3genE10ELNS1_11target_archE1200ELNS1_3gpuE4ELNS1_3repE0EEENS1_30default_config_static_selectorELNS0_4arch9wavefront6targetE1EEEvT1_.private_seg_size, 0
	.set _ZN7rocprim17ROCPRIM_400000_NS6detail17trampoline_kernelINS0_14default_configENS1_20scan_config_selectorIlEEZZNS1_9scan_implILNS1_25lookback_scan_determinismE0ELb0ELb0ES3_PlS8_lN6thrust23THRUST_200600_302600_NS4plusIvEElEEDaPvRmT3_T4_T5_mT6_P12ihipStream_tbENKUlT_T0_E_clISt17integral_constantIbLb0EESQ_EEDaSL_SM_EUlSL_E_NS1_11comp_targetILNS1_3genE10ELNS1_11target_archE1200ELNS1_3gpuE4ELNS1_3repE0EEENS1_30default_config_static_selectorELNS0_4arch9wavefront6targetE1EEEvT1_.uses_vcc, 0
	.set _ZN7rocprim17ROCPRIM_400000_NS6detail17trampoline_kernelINS0_14default_configENS1_20scan_config_selectorIlEEZZNS1_9scan_implILNS1_25lookback_scan_determinismE0ELb0ELb0ES3_PlS8_lN6thrust23THRUST_200600_302600_NS4plusIvEElEEDaPvRmT3_T4_T5_mT6_P12ihipStream_tbENKUlT_T0_E_clISt17integral_constantIbLb0EESQ_EEDaSL_SM_EUlSL_E_NS1_11comp_targetILNS1_3genE10ELNS1_11target_archE1200ELNS1_3gpuE4ELNS1_3repE0EEENS1_30default_config_static_selectorELNS0_4arch9wavefront6targetE1EEEvT1_.uses_flat_scratch, 0
	.set _ZN7rocprim17ROCPRIM_400000_NS6detail17trampoline_kernelINS0_14default_configENS1_20scan_config_selectorIlEEZZNS1_9scan_implILNS1_25lookback_scan_determinismE0ELb0ELb0ES3_PlS8_lN6thrust23THRUST_200600_302600_NS4plusIvEElEEDaPvRmT3_T4_T5_mT6_P12ihipStream_tbENKUlT_T0_E_clISt17integral_constantIbLb0EESQ_EEDaSL_SM_EUlSL_E_NS1_11comp_targetILNS1_3genE10ELNS1_11target_archE1200ELNS1_3gpuE4ELNS1_3repE0EEENS1_30default_config_static_selectorELNS0_4arch9wavefront6targetE1EEEvT1_.has_dyn_sized_stack, 0
	.set _ZN7rocprim17ROCPRIM_400000_NS6detail17trampoline_kernelINS0_14default_configENS1_20scan_config_selectorIlEEZZNS1_9scan_implILNS1_25lookback_scan_determinismE0ELb0ELb0ES3_PlS8_lN6thrust23THRUST_200600_302600_NS4plusIvEElEEDaPvRmT3_T4_T5_mT6_P12ihipStream_tbENKUlT_T0_E_clISt17integral_constantIbLb0EESQ_EEDaSL_SM_EUlSL_E_NS1_11comp_targetILNS1_3genE10ELNS1_11target_archE1200ELNS1_3gpuE4ELNS1_3repE0EEENS1_30default_config_static_selectorELNS0_4arch9wavefront6targetE1EEEvT1_.has_recursion, 0
	.set _ZN7rocprim17ROCPRIM_400000_NS6detail17trampoline_kernelINS0_14default_configENS1_20scan_config_selectorIlEEZZNS1_9scan_implILNS1_25lookback_scan_determinismE0ELb0ELb0ES3_PlS8_lN6thrust23THRUST_200600_302600_NS4plusIvEElEEDaPvRmT3_T4_T5_mT6_P12ihipStream_tbENKUlT_T0_E_clISt17integral_constantIbLb0EESQ_EEDaSL_SM_EUlSL_E_NS1_11comp_targetILNS1_3genE10ELNS1_11target_archE1200ELNS1_3gpuE4ELNS1_3repE0EEENS1_30default_config_static_selectorELNS0_4arch9wavefront6targetE1EEEvT1_.has_indirect_call, 0
	.section	.AMDGPU.csdata,"",@progbits
; Kernel info:
; codeLenInByte = 0
; TotalNumSgprs: 6
; NumVgprs: 0
; NumAgprs: 0
; TotalNumVgprs: 0
; ScratchSize: 0
; MemoryBound: 0
; FloatMode: 240
; IeeeMode: 1
; LDSByteSize: 0 bytes/workgroup (compile time only)
; SGPRBlocks: 0
; VGPRBlocks: 0
; NumSGPRsForWavesPerEU: 6
; NumVGPRsForWavesPerEU: 1
; AccumOffset: 4
; Occupancy: 8
; WaveLimiterHint : 0
; COMPUTE_PGM_RSRC2:SCRATCH_EN: 0
; COMPUTE_PGM_RSRC2:USER_SGPR: 2
; COMPUTE_PGM_RSRC2:TRAP_HANDLER: 0
; COMPUTE_PGM_RSRC2:TGID_X_EN: 1
; COMPUTE_PGM_RSRC2:TGID_Y_EN: 0
; COMPUTE_PGM_RSRC2:TGID_Z_EN: 0
; COMPUTE_PGM_RSRC2:TIDIG_COMP_CNT: 0
; COMPUTE_PGM_RSRC3_GFX90A:ACCUM_OFFSET: 0
; COMPUTE_PGM_RSRC3_GFX90A:TG_SPLIT: 0
	.section	.text._ZN7rocprim17ROCPRIM_400000_NS6detail17trampoline_kernelINS0_14default_configENS1_20scan_config_selectorIlEEZZNS1_9scan_implILNS1_25lookback_scan_determinismE0ELb0ELb0ES3_PlS8_lN6thrust23THRUST_200600_302600_NS4plusIvEElEEDaPvRmT3_T4_T5_mT6_P12ihipStream_tbENKUlT_T0_E_clISt17integral_constantIbLb0EESQ_EEDaSL_SM_EUlSL_E_NS1_11comp_targetILNS1_3genE9ELNS1_11target_archE1100ELNS1_3gpuE3ELNS1_3repE0EEENS1_30default_config_static_selectorELNS0_4arch9wavefront6targetE1EEEvT1_,"axG",@progbits,_ZN7rocprim17ROCPRIM_400000_NS6detail17trampoline_kernelINS0_14default_configENS1_20scan_config_selectorIlEEZZNS1_9scan_implILNS1_25lookback_scan_determinismE0ELb0ELb0ES3_PlS8_lN6thrust23THRUST_200600_302600_NS4plusIvEElEEDaPvRmT3_T4_T5_mT6_P12ihipStream_tbENKUlT_T0_E_clISt17integral_constantIbLb0EESQ_EEDaSL_SM_EUlSL_E_NS1_11comp_targetILNS1_3genE9ELNS1_11target_archE1100ELNS1_3gpuE3ELNS1_3repE0EEENS1_30default_config_static_selectorELNS0_4arch9wavefront6targetE1EEEvT1_,comdat
	.protected	_ZN7rocprim17ROCPRIM_400000_NS6detail17trampoline_kernelINS0_14default_configENS1_20scan_config_selectorIlEEZZNS1_9scan_implILNS1_25lookback_scan_determinismE0ELb0ELb0ES3_PlS8_lN6thrust23THRUST_200600_302600_NS4plusIvEElEEDaPvRmT3_T4_T5_mT6_P12ihipStream_tbENKUlT_T0_E_clISt17integral_constantIbLb0EESQ_EEDaSL_SM_EUlSL_E_NS1_11comp_targetILNS1_3genE9ELNS1_11target_archE1100ELNS1_3gpuE3ELNS1_3repE0EEENS1_30default_config_static_selectorELNS0_4arch9wavefront6targetE1EEEvT1_ ; -- Begin function _ZN7rocprim17ROCPRIM_400000_NS6detail17trampoline_kernelINS0_14default_configENS1_20scan_config_selectorIlEEZZNS1_9scan_implILNS1_25lookback_scan_determinismE0ELb0ELb0ES3_PlS8_lN6thrust23THRUST_200600_302600_NS4plusIvEElEEDaPvRmT3_T4_T5_mT6_P12ihipStream_tbENKUlT_T0_E_clISt17integral_constantIbLb0EESQ_EEDaSL_SM_EUlSL_E_NS1_11comp_targetILNS1_3genE9ELNS1_11target_archE1100ELNS1_3gpuE3ELNS1_3repE0EEENS1_30default_config_static_selectorELNS0_4arch9wavefront6targetE1EEEvT1_
	.globl	_ZN7rocprim17ROCPRIM_400000_NS6detail17trampoline_kernelINS0_14default_configENS1_20scan_config_selectorIlEEZZNS1_9scan_implILNS1_25lookback_scan_determinismE0ELb0ELb0ES3_PlS8_lN6thrust23THRUST_200600_302600_NS4plusIvEElEEDaPvRmT3_T4_T5_mT6_P12ihipStream_tbENKUlT_T0_E_clISt17integral_constantIbLb0EESQ_EEDaSL_SM_EUlSL_E_NS1_11comp_targetILNS1_3genE9ELNS1_11target_archE1100ELNS1_3gpuE3ELNS1_3repE0EEENS1_30default_config_static_selectorELNS0_4arch9wavefront6targetE1EEEvT1_
	.p2align	8
	.type	_ZN7rocprim17ROCPRIM_400000_NS6detail17trampoline_kernelINS0_14default_configENS1_20scan_config_selectorIlEEZZNS1_9scan_implILNS1_25lookback_scan_determinismE0ELb0ELb0ES3_PlS8_lN6thrust23THRUST_200600_302600_NS4plusIvEElEEDaPvRmT3_T4_T5_mT6_P12ihipStream_tbENKUlT_T0_E_clISt17integral_constantIbLb0EESQ_EEDaSL_SM_EUlSL_E_NS1_11comp_targetILNS1_3genE9ELNS1_11target_archE1100ELNS1_3gpuE3ELNS1_3repE0EEENS1_30default_config_static_selectorELNS0_4arch9wavefront6targetE1EEEvT1_,@function
_ZN7rocprim17ROCPRIM_400000_NS6detail17trampoline_kernelINS0_14default_configENS1_20scan_config_selectorIlEEZZNS1_9scan_implILNS1_25lookback_scan_determinismE0ELb0ELb0ES3_PlS8_lN6thrust23THRUST_200600_302600_NS4plusIvEElEEDaPvRmT3_T4_T5_mT6_P12ihipStream_tbENKUlT_T0_E_clISt17integral_constantIbLb0EESQ_EEDaSL_SM_EUlSL_E_NS1_11comp_targetILNS1_3genE9ELNS1_11target_archE1100ELNS1_3gpuE3ELNS1_3repE0EEENS1_30default_config_static_selectorELNS0_4arch9wavefront6targetE1EEEvT1_: ; @_ZN7rocprim17ROCPRIM_400000_NS6detail17trampoline_kernelINS0_14default_configENS1_20scan_config_selectorIlEEZZNS1_9scan_implILNS1_25lookback_scan_determinismE0ELb0ELb0ES3_PlS8_lN6thrust23THRUST_200600_302600_NS4plusIvEElEEDaPvRmT3_T4_T5_mT6_P12ihipStream_tbENKUlT_T0_E_clISt17integral_constantIbLb0EESQ_EEDaSL_SM_EUlSL_E_NS1_11comp_targetILNS1_3genE9ELNS1_11target_archE1100ELNS1_3gpuE3ELNS1_3repE0EEENS1_30default_config_static_selectorELNS0_4arch9wavefront6targetE1EEEvT1_
; %bb.0:
	.section	.rodata,"a",@progbits
	.p2align	6, 0x0
	.amdhsa_kernel _ZN7rocprim17ROCPRIM_400000_NS6detail17trampoline_kernelINS0_14default_configENS1_20scan_config_selectorIlEEZZNS1_9scan_implILNS1_25lookback_scan_determinismE0ELb0ELb0ES3_PlS8_lN6thrust23THRUST_200600_302600_NS4plusIvEElEEDaPvRmT3_T4_T5_mT6_P12ihipStream_tbENKUlT_T0_E_clISt17integral_constantIbLb0EESQ_EEDaSL_SM_EUlSL_E_NS1_11comp_targetILNS1_3genE9ELNS1_11target_archE1100ELNS1_3gpuE3ELNS1_3repE0EEENS1_30default_config_static_selectorELNS0_4arch9wavefront6targetE1EEEvT1_
		.amdhsa_group_segment_fixed_size 0
		.amdhsa_private_segment_fixed_size 0
		.amdhsa_kernarg_size 104
		.amdhsa_user_sgpr_count 2
		.amdhsa_user_sgpr_dispatch_ptr 0
		.amdhsa_user_sgpr_queue_ptr 0
		.amdhsa_user_sgpr_kernarg_segment_ptr 1
		.amdhsa_user_sgpr_dispatch_id 0
		.amdhsa_user_sgpr_kernarg_preload_length 0
		.amdhsa_user_sgpr_kernarg_preload_offset 0
		.amdhsa_user_sgpr_private_segment_size 0
		.amdhsa_uses_dynamic_stack 0
		.amdhsa_enable_private_segment 0
		.amdhsa_system_sgpr_workgroup_id_x 1
		.amdhsa_system_sgpr_workgroup_id_y 0
		.amdhsa_system_sgpr_workgroup_id_z 0
		.amdhsa_system_sgpr_workgroup_info 0
		.amdhsa_system_vgpr_workitem_id 0
		.amdhsa_next_free_vgpr 1
		.amdhsa_next_free_sgpr 0
		.amdhsa_accum_offset 4
		.amdhsa_reserve_vcc 0
		.amdhsa_float_round_mode_32 0
		.amdhsa_float_round_mode_16_64 0
		.amdhsa_float_denorm_mode_32 3
		.amdhsa_float_denorm_mode_16_64 3
		.amdhsa_dx10_clamp 1
		.amdhsa_ieee_mode 1
		.amdhsa_fp16_overflow 0
		.amdhsa_tg_split 0
		.amdhsa_exception_fp_ieee_invalid_op 0
		.amdhsa_exception_fp_denorm_src 0
		.amdhsa_exception_fp_ieee_div_zero 0
		.amdhsa_exception_fp_ieee_overflow 0
		.amdhsa_exception_fp_ieee_underflow 0
		.amdhsa_exception_fp_ieee_inexact 0
		.amdhsa_exception_int_div_zero 0
	.end_amdhsa_kernel
	.section	.text._ZN7rocprim17ROCPRIM_400000_NS6detail17trampoline_kernelINS0_14default_configENS1_20scan_config_selectorIlEEZZNS1_9scan_implILNS1_25lookback_scan_determinismE0ELb0ELb0ES3_PlS8_lN6thrust23THRUST_200600_302600_NS4plusIvEElEEDaPvRmT3_T4_T5_mT6_P12ihipStream_tbENKUlT_T0_E_clISt17integral_constantIbLb0EESQ_EEDaSL_SM_EUlSL_E_NS1_11comp_targetILNS1_3genE9ELNS1_11target_archE1100ELNS1_3gpuE3ELNS1_3repE0EEENS1_30default_config_static_selectorELNS0_4arch9wavefront6targetE1EEEvT1_,"axG",@progbits,_ZN7rocprim17ROCPRIM_400000_NS6detail17trampoline_kernelINS0_14default_configENS1_20scan_config_selectorIlEEZZNS1_9scan_implILNS1_25lookback_scan_determinismE0ELb0ELb0ES3_PlS8_lN6thrust23THRUST_200600_302600_NS4plusIvEElEEDaPvRmT3_T4_T5_mT6_P12ihipStream_tbENKUlT_T0_E_clISt17integral_constantIbLb0EESQ_EEDaSL_SM_EUlSL_E_NS1_11comp_targetILNS1_3genE9ELNS1_11target_archE1100ELNS1_3gpuE3ELNS1_3repE0EEENS1_30default_config_static_selectorELNS0_4arch9wavefront6targetE1EEEvT1_,comdat
.Lfunc_end91:
	.size	_ZN7rocprim17ROCPRIM_400000_NS6detail17trampoline_kernelINS0_14default_configENS1_20scan_config_selectorIlEEZZNS1_9scan_implILNS1_25lookback_scan_determinismE0ELb0ELb0ES3_PlS8_lN6thrust23THRUST_200600_302600_NS4plusIvEElEEDaPvRmT3_T4_T5_mT6_P12ihipStream_tbENKUlT_T0_E_clISt17integral_constantIbLb0EESQ_EEDaSL_SM_EUlSL_E_NS1_11comp_targetILNS1_3genE9ELNS1_11target_archE1100ELNS1_3gpuE3ELNS1_3repE0EEENS1_30default_config_static_selectorELNS0_4arch9wavefront6targetE1EEEvT1_, .Lfunc_end91-_ZN7rocprim17ROCPRIM_400000_NS6detail17trampoline_kernelINS0_14default_configENS1_20scan_config_selectorIlEEZZNS1_9scan_implILNS1_25lookback_scan_determinismE0ELb0ELb0ES3_PlS8_lN6thrust23THRUST_200600_302600_NS4plusIvEElEEDaPvRmT3_T4_T5_mT6_P12ihipStream_tbENKUlT_T0_E_clISt17integral_constantIbLb0EESQ_EEDaSL_SM_EUlSL_E_NS1_11comp_targetILNS1_3genE9ELNS1_11target_archE1100ELNS1_3gpuE3ELNS1_3repE0EEENS1_30default_config_static_selectorELNS0_4arch9wavefront6targetE1EEEvT1_
                                        ; -- End function
	.set _ZN7rocprim17ROCPRIM_400000_NS6detail17trampoline_kernelINS0_14default_configENS1_20scan_config_selectorIlEEZZNS1_9scan_implILNS1_25lookback_scan_determinismE0ELb0ELb0ES3_PlS8_lN6thrust23THRUST_200600_302600_NS4plusIvEElEEDaPvRmT3_T4_T5_mT6_P12ihipStream_tbENKUlT_T0_E_clISt17integral_constantIbLb0EESQ_EEDaSL_SM_EUlSL_E_NS1_11comp_targetILNS1_3genE9ELNS1_11target_archE1100ELNS1_3gpuE3ELNS1_3repE0EEENS1_30default_config_static_selectorELNS0_4arch9wavefront6targetE1EEEvT1_.num_vgpr, 0
	.set _ZN7rocprim17ROCPRIM_400000_NS6detail17trampoline_kernelINS0_14default_configENS1_20scan_config_selectorIlEEZZNS1_9scan_implILNS1_25lookback_scan_determinismE0ELb0ELb0ES3_PlS8_lN6thrust23THRUST_200600_302600_NS4plusIvEElEEDaPvRmT3_T4_T5_mT6_P12ihipStream_tbENKUlT_T0_E_clISt17integral_constantIbLb0EESQ_EEDaSL_SM_EUlSL_E_NS1_11comp_targetILNS1_3genE9ELNS1_11target_archE1100ELNS1_3gpuE3ELNS1_3repE0EEENS1_30default_config_static_selectorELNS0_4arch9wavefront6targetE1EEEvT1_.num_agpr, 0
	.set _ZN7rocprim17ROCPRIM_400000_NS6detail17trampoline_kernelINS0_14default_configENS1_20scan_config_selectorIlEEZZNS1_9scan_implILNS1_25lookback_scan_determinismE0ELb0ELb0ES3_PlS8_lN6thrust23THRUST_200600_302600_NS4plusIvEElEEDaPvRmT3_T4_T5_mT6_P12ihipStream_tbENKUlT_T0_E_clISt17integral_constantIbLb0EESQ_EEDaSL_SM_EUlSL_E_NS1_11comp_targetILNS1_3genE9ELNS1_11target_archE1100ELNS1_3gpuE3ELNS1_3repE0EEENS1_30default_config_static_selectorELNS0_4arch9wavefront6targetE1EEEvT1_.numbered_sgpr, 0
	.set _ZN7rocprim17ROCPRIM_400000_NS6detail17trampoline_kernelINS0_14default_configENS1_20scan_config_selectorIlEEZZNS1_9scan_implILNS1_25lookback_scan_determinismE0ELb0ELb0ES3_PlS8_lN6thrust23THRUST_200600_302600_NS4plusIvEElEEDaPvRmT3_T4_T5_mT6_P12ihipStream_tbENKUlT_T0_E_clISt17integral_constantIbLb0EESQ_EEDaSL_SM_EUlSL_E_NS1_11comp_targetILNS1_3genE9ELNS1_11target_archE1100ELNS1_3gpuE3ELNS1_3repE0EEENS1_30default_config_static_selectorELNS0_4arch9wavefront6targetE1EEEvT1_.num_named_barrier, 0
	.set _ZN7rocprim17ROCPRIM_400000_NS6detail17trampoline_kernelINS0_14default_configENS1_20scan_config_selectorIlEEZZNS1_9scan_implILNS1_25lookback_scan_determinismE0ELb0ELb0ES3_PlS8_lN6thrust23THRUST_200600_302600_NS4plusIvEElEEDaPvRmT3_T4_T5_mT6_P12ihipStream_tbENKUlT_T0_E_clISt17integral_constantIbLb0EESQ_EEDaSL_SM_EUlSL_E_NS1_11comp_targetILNS1_3genE9ELNS1_11target_archE1100ELNS1_3gpuE3ELNS1_3repE0EEENS1_30default_config_static_selectorELNS0_4arch9wavefront6targetE1EEEvT1_.private_seg_size, 0
	.set _ZN7rocprim17ROCPRIM_400000_NS6detail17trampoline_kernelINS0_14default_configENS1_20scan_config_selectorIlEEZZNS1_9scan_implILNS1_25lookback_scan_determinismE0ELb0ELb0ES3_PlS8_lN6thrust23THRUST_200600_302600_NS4plusIvEElEEDaPvRmT3_T4_T5_mT6_P12ihipStream_tbENKUlT_T0_E_clISt17integral_constantIbLb0EESQ_EEDaSL_SM_EUlSL_E_NS1_11comp_targetILNS1_3genE9ELNS1_11target_archE1100ELNS1_3gpuE3ELNS1_3repE0EEENS1_30default_config_static_selectorELNS0_4arch9wavefront6targetE1EEEvT1_.uses_vcc, 0
	.set _ZN7rocprim17ROCPRIM_400000_NS6detail17trampoline_kernelINS0_14default_configENS1_20scan_config_selectorIlEEZZNS1_9scan_implILNS1_25lookback_scan_determinismE0ELb0ELb0ES3_PlS8_lN6thrust23THRUST_200600_302600_NS4plusIvEElEEDaPvRmT3_T4_T5_mT6_P12ihipStream_tbENKUlT_T0_E_clISt17integral_constantIbLb0EESQ_EEDaSL_SM_EUlSL_E_NS1_11comp_targetILNS1_3genE9ELNS1_11target_archE1100ELNS1_3gpuE3ELNS1_3repE0EEENS1_30default_config_static_selectorELNS0_4arch9wavefront6targetE1EEEvT1_.uses_flat_scratch, 0
	.set _ZN7rocprim17ROCPRIM_400000_NS6detail17trampoline_kernelINS0_14default_configENS1_20scan_config_selectorIlEEZZNS1_9scan_implILNS1_25lookback_scan_determinismE0ELb0ELb0ES3_PlS8_lN6thrust23THRUST_200600_302600_NS4plusIvEElEEDaPvRmT3_T4_T5_mT6_P12ihipStream_tbENKUlT_T0_E_clISt17integral_constantIbLb0EESQ_EEDaSL_SM_EUlSL_E_NS1_11comp_targetILNS1_3genE9ELNS1_11target_archE1100ELNS1_3gpuE3ELNS1_3repE0EEENS1_30default_config_static_selectorELNS0_4arch9wavefront6targetE1EEEvT1_.has_dyn_sized_stack, 0
	.set _ZN7rocprim17ROCPRIM_400000_NS6detail17trampoline_kernelINS0_14default_configENS1_20scan_config_selectorIlEEZZNS1_9scan_implILNS1_25lookback_scan_determinismE0ELb0ELb0ES3_PlS8_lN6thrust23THRUST_200600_302600_NS4plusIvEElEEDaPvRmT3_T4_T5_mT6_P12ihipStream_tbENKUlT_T0_E_clISt17integral_constantIbLb0EESQ_EEDaSL_SM_EUlSL_E_NS1_11comp_targetILNS1_3genE9ELNS1_11target_archE1100ELNS1_3gpuE3ELNS1_3repE0EEENS1_30default_config_static_selectorELNS0_4arch9wavefront6targetE1EEEvT1_.has_recursion, 0
	.set _ZN7rocprim17ROCPRIM_400000_NS6detail17trampoline_kernelINS0_14default_configENS1_20scan_config_selectorIlEEZZNS1_9scan_implILNS1_25lookback_scan_determinismE0ELb0ELb0ES3_PlS8_lN6thrust23THRUST_200600_302600_NS4plusIvEElEEDaPvRmT3_T4_T5_mT6_P12ihipStream_tbENKUlT_T0_E_clISt17integral_constantIbLb0EESQ_EEDaSL_SM_EUlSL_E_NS1_11comp_targetILNS1_3genE9ELNS1_11target_archE1100ELNS1_3gpuE3ELNS1_3repE0EEENS1_30default_config_static_selectorELNS0_4arch9wavefront6targetE1EEEvT1_.has_indirect_call, 0
	.section	.AMDGPU.csdata,"",@progbits
; Kernel info:
; codeLenInByte = 0
; TotalNumSgprs: 6
; NumVgprs: 0
; NumAgprs: 0
; TotalNumVgprs: 0
; ScratchSize: 0
; MemoryBound: 0
; FloatMode: 240
; IeeeMode: 1
; LDSByteSize: 0 bytes/workgroup (compile time only)
; SGPRBlocks: 0
; VGPRBlocks: 0
; NumSGPRsForWavesPerEU: 6
; NumVGPRsForWavesPerEU: 1
; AccumOffset: 4
; Occupancy: 8
; WaveLimiterHint : 0
; COMPUTE_PGM_RSRC2:SCRATCH_EN: 0
; COMPUTE_PGM_RSRC2:USER_SGPR: 2
; COMPUTE_PGM_RSRC2:TRAP_HANDLER: 0
; COMPUTE_PGM_RSRC2:TGID_X_EN: 1
; COMPUTE_PGM_RSRC2:TGID_Y_EN: 0
; COMPUTE_PGM_RSRC2:TGID_Z_EN: 0
; COMPUTE_PGM_RSRC2:TIDIG_COMP_CNT: 0
; COMPUTE_PGM_RSRC3_GFX90A:ACCUM_OFFSET: 0
; COMPUTE_PGM_RSRC3_GFX90A:TG_SPLIT: 0
	.section	.text._ZN7rocprim17ROCPRIM_400000_NS6detail17trampoline_kernelINS0_14default_configENS1_20scan_config_selectorIlEEZZNS1_9scan_implILNS1_25lookback_scan_determinismE0ELb0ELb0ES3_PlS8_lN6thrust23THRUST_200600_302600_NS4plusIvEElEEDaPvRmT3_T4_T5_mT6_P12ihipStream_tbENKUlT_T0_E_clISt17integral_constantIbLb0EESQ_EEDaSL_SM_EUlSL_E_NS1_11comp_targetILNS1_3genE8ELNS1_11target_archE1030ELNS1_3gpuE2ELNS1_3repE0EEENS1_30default_config_static_selectorELNS0_4arch9wavefront6targetE1EEEvT1_,"axG",@progbits,_ZN7rocprim17ROCPRIM_400000_NS6detail17trampoline_kernelINS0_14default_configENS1_20scan_config_selectorIlEEZZNS1_9scan_implILNS1_25lookback_scan_determinismE0ELb0ELb0ES3_PlS8_lN6thrust23THRUST_200600_302600_NS4plusIvEElEEDaPvRmT3_T4_T5_mT6_P12ihipStream_tbENKUlT_T0_E_clISt17integral_constantIbLb0EESQ_EEDaSL_SM_EUlSL_E_NS1_11comp_targetILNS1_3genE8ELNS1_11target_archE1030ELNS1_3gpuE2ELNS1_3repE0EEENS1_30default_config_static_selectorELNS0_4arch9wavefront6targetE1EEEvT1_,comdat
	.protected	_ZN7rocprim17ROCPRIM_400000_NS6detail17trampoline_kernelINS0_14default_configENS1_20scan_config_selectorIlEEZZNS1_9scan_implILNS1_25lookback_scan_determinismE0ELb0ELb0ES3_PlS8_lN6thrust23THRUST_200600_302600_NS4plusIvEElEEDaPvRmT3_T4_T5_mT6_P12ihipStream_tbENKUlT_T0_E_clISt17integral_constantIbLb0EESQ_EEDaSL_SM_EUlSL_E_NS1_11comp_targetILNS1_3genE8ELNS1_11target_archE1030ELNS1_3gpuE2ELNS1_3repE0EEENS1_30default_config_static_selectorELNS0_4arch9wavefront6targetE1EEEvT1_ ; -- Begin function _ZN7rocprim17ROCPRIM_400000_NS6detail17trampoline_kernelINS0_14default_configENS1_20scan_config_selectorIlEEZZNS1_9scan_implILNS1_25lookback_scan_determinismE0ELb0ELb0ES3_PlS8_lN6thrust23THRUST_200600_302600_NS4plusIvEElEEDaPvRmT3_T4_T5_mT6_P12ihipStream_tbENKUlT_T0_E_clISt17integral_constantIbLb0EESQ_EEDaSL_SM_EUlSL_E_NS1_11comp_targetILNS1_3genE8ELNS1_11target_archE1030ELNS1_3gpuE2ELNS1_3repE0EEENS1_30default_config_static_selectorELNS0_4arch9wavefront6targetE1EEEvT1_
	.globl	_ZN7rocprim17ROCPRIM_400000_NS6detail17trampoline_kernelINS0_14default_configENS1_20scan_config_selectorIlEEZZNS1_9scan_implILNS1_25lookback_scan_determinismE0ELb0ELb0ES3_PlS8_lN6thrust23THRUST_200600_302600_NS4plusIvEElEEDaPvRmT3_T4_T5_mT6_P12ihipStream_tbENKUlT_T0_E_clISt17integral_constantIbLb0EESQ_EEDaSL_SM_EUlSL_E_NS1_11comp_targetILNS1_3genE8ELNS1_11target_archE1030ELNS1_3gpuE2ELNS1_3repE0EEENS1_30default_config_static_selectorELNS0_4arch9wavefront6targetE1EEEvT1_
	.p2align	8
	.type	_ZN7rocprim17ROCPRIM_400000_NS6detail17trampoline_kernelINS0_14default_configENS1_20scan_config_selectorIlEEZZNS1_9scan_implILNS1_25lookback_scan_determinismE0ELb0ELb0ES3_PlS8_lN6thrust23THRUST_200600_302600_NS4plusIvEElEEDaPvRmT3_T4_T5_mT6_P12ihipStream_tbENKUlT_T0_E_clISt17integral_constantIbLb0EESQ_EEDaSL_SM_EUlSL_E_NS1_11comp_targetILNS1_3genE8ELNS1_11target_archE1030ELNS1_3gpuE2ELNS1_3repE0EEENS1_30default_config_static_selectorELNS0_4arch9wavefront6targetE1EEEvT1_,@function
_ZN7rocprim17ROCPRIM_400000_NS6detail17trampoline_kernelINS0_14default_configENS1_20scan_config_selectorIlEEZZNS1_9scan_implILNS1_25lookback_scan_determinismE0ELb0ELb0ES3_PlS8_lN6thrust23THRUST_200600_302600_NS4plusIvEElEEDaPvRmT3_T4_T5_mT6_P12ihipStream_tbENKUlT_T0_E_clISt17integral_constantIbLb0EESQ_EEDaSL_SM_EUlSL_E_NS1_11comp_targetILNS1_3genE8ELNS1_11target_archE1030ELNS1_3gpuE2ELNS1_3repE0EEENS1_30default_config_static_selectorELNS0_4arch9wavefront6targetE1EEEvT1_: ; @_ZN7rocprim17ROCPRIM_400000_NS6detail17trampoline_kernelINS0_14default_configENS1_20scan_config_selectorIlEEZZNS1_9scan_implILNS1_25lookback_scan_determinismE0ELb0ELb0ES3_PlS8_lN6thrust23THRUST_200600_302600_NS4plusIvEElEEDaPvRmT3_T4_T5_mT6_P12ihipStream_tbENKUlT_T0_E_clISt17integral_constantIbLb0EESQ_EEDaSL_SM_EUlSL_E_NS1_11comp_targetILNS1_3genE8ELNS1_11target_archE1030ELNS1_3gpuE2ELNS1_3repE0EEENS1_30default_config_static_selectorELNS0_4arch9wavefront6targetE1EEEvT1_
; %bb.0:
	.section	.rodata,"a",@progbits
	.p2align	6, 0x0
	.amdhsa_kernel _ZN7rocprim17ROCPRIM_400000_NS6detail17trampoline_kernelINS0_14default_configENS1_20scan_config_selectorIlEEZZNS1_9scan_implILNS1_25lookback_scan_determinismE0ELb0ELb0ES3_PlS8_lN6thrust23THRUST_200600_302600_NS4plusIvEElEEDaPvRmT3_T4_T5_mT6_P12ihipStream_tbENKUlT_T0_E_clISt17integral_constantIbLb0EESQ_EEDaSL_SM_EUlSL_E_NS1_11comp_targetILNS1_3genE8ELNS1_11target_archE1030ELNS1_3gpuE2ELNS1_3repE0EEENS1_30default_config_static_selectorELNS0_4arch9wavefront6targetE1EEEvT1_
		.amdhsa_group_segment_fixed_size 0
		.amdhsa_private_segment_fixed_size 0
		.amdhsa_kernarg_size 104
		.amdhsa_user_sgpr_count 2
		.amdhsa_user_sgpr_dispatch_ptr 0
		.amdhsa_user_sgpr_queue_ptr 0
		.amdhsa_user_sgpr_kernarg_segment_ptr 1
		.amdhsa_user_sgpr_dispatch_id 0
		.amdhsa_user_sgpr_kernarg_preload_length 0
		.amdhsa_user_sgpr_kernarg_preload_offset 0
		.amdhsa_user_sgpr_private_segment_size 0
		.amdhsa_uses_dynamic_stack 0
		.amdhsa_enable_private_segment 0
		.amdhsa_system_sgpr_workgroup_id_x 1
		.amdhsa_system_sgpr_workgroup_id_y 0
		.amdhsa_system_sgpr_workgroup_id_z 0
		.amdhsa_system_sgpr_workgroup_info 0
		.amdhsa_system_vgpr_workitem_id 0
		.amdhsa_next_free_vgpr 1
		.amdhsa_next_free_sgpr 0
		.amdhsa_accum_offset 4
		.amdhsa_reserve_vcc 0
		.amdhsa_float_round_mode_32 0
		.amdhsa_float_round_mode_16_64 0
		.amdhsa_float_denorm_mode_32 3
		.amdhsa_float_denorm_mode_16_64 3
		.amdhsa_dx10_clamp 1
		.amdhsa_ieee_mode 1
		.amdhsa_fp16_overflow 0
		.amdhsa_tg_split 0
		.amdhsa_exception_fp_ieee_invalid_op 0
		.amdhsa_exception_fp_denorm_src 0
		.amdhsa_exception_fp_ieee_div_zero 0
		.amdhsa_exception_fp_ieee_overflow 0
		.amdhsa_exception_fp_ieee_underflow 0
		.amdhsa_exception_fp_ieee_inexact 0
		.amdhsa_exception_int_div_zero 0
	.end_amdhsa_kernel
	.section	.text._ZN7rocprim17ROCPRIM_400000_NS6detail17trampoline_kernelINS0_14default_configENS1_20scan_config_selectorIlEEZZNS1_9scan_implILNS1_25lookback_scan_determinismE0ELb0ELb0ES3_PlS8_lN6thrust23THRUST_200600_302600_NS4plusIvEElEEDaPvRmT3_T4_T5_mT6_P12ihipStream_tbENKUlT_T0_E_clISt17integral_constantIbLb0EESQ_EEDaSL_SM_EUlSL_E_NS1_11comp_targetILNS1_3genE8ELNS1_11target_archE1030ELNS1_3gpuE2ELNS1_3repE0EEENS1_30default_config_static_selectorELNS0_4arch9wavefront6targetE1EEEvT1_,"axG",@progbits,_ZN7rocprim17ROCPRIM_400000_NS6detail17trampoline_kernelINS0_14default_configENS1_20scan_config_selectorIlEEZZNS1_9scan_implILNS1_25lookback_scan_determinismE0ELb0ELb0ES3_PlS8_lN6thrust23THRUST_200600_302600_NS4plusIvEElEEDaPvRmT3_T4_T5_mT6_P12ihipStream_tbENKUlT_T0_E_clISt17integral_constantIbLb0EESQ_EEDaSL_SM_EUlSL_E_NS1_11comp_targetILNS1_3genE8ELNS1_11target_archE1030ELNS1_3gpuE2ELNS1_3repE0EEENS1_30default_config_static_selectorELNS0_4arch9wavefront6targetE1EEEvT1_,comdat
.Lfunc_end92:
	.size	_ZN7rocprim17ROCPRIM_400000_NS6detail17trampoline_kernelINS0_14default_configENS1_20scan_config_selectorIlEEZZNS1_9scan_implILNS1_25lookback_scan_determinismE0ELb0ELb0ES3_PlS8_lN6thrust23THRUST_200600_302600_NS4plusIvEElEEDaPvRmT3_T4_T5_mT6_P12ihipStream_tbENKUlT_T0_E_clISt17integral_constantIbLb0EESQ_EEDaSL_SM_EUlSL_E_NS1_11comp_targetILNS1_3genE8ELNS1_11target_archE1030ELNS1_3gpuE2ELNS1_3repE0EEENS1_30default_config_static_selectorELNS0_4arch9wavefront6targetE1EEEvT1_, .Lfunc_end92-_ZN7rocprim17ROCPRIM_400000_NS6detail17trampoline_kernelINS0_14default_configENS1_20scan_config_selectorIlEEZZNS1_9scan_implILNS1_25lookback_scan_determinismE0ELb0ELb0ES3_PlS8_lN6thrust23THRUST_200600_302600_NS4plusIvEElEEDaPvRmT3_T4_T5_mT6_P12ihipStream_tbENKUlT_T0_E_clISt17integral_constantIbLb0EESQ_EEDaSL_SM_EUlSL_E_NS1_11comp_targetILNS1_3genE8ELNS1_11target_archE1030ELNS1_3gpuE2ELNS1_3repE0EEENS1_30default_config_static_selectorELNS0_4arch9wavefront6targetE1EEEvT1_
                                        ; -- End function
	.set _ZN7rocprim17ROCPRIM_400000_NS6detail17trampoline_kernelINS0_14default_configENS1_20scan_config_selectorIlEEZZNS1_9scan_implILNS1_25lookback_scan_determinismE0ELb0ELb0ES3_PlS8_lN6thrust23THRUST_200600_302600_NS4plusIvEElEEDaPvRmT3_T4_T5_mT6_P12ihipStream_tbENKUlT_T0_E_clISt17integral_constantIbLb0EESQ_EEDaSL_SM_EUlSL_E_NS1_11comp_targetILNS1_3genE8ELNS1_11target_archE1030ELNS1_3gpuE2ELNS1_3repE0EEENS1_30default_config_static_selectorELNS0_4arch9wavefront6targetE1EEEvT1_.num_vgpr, 0
	.set _ZN7rocprim17ROCPRIM_400000_NS6detail17trampoline_kernelINS0_14default_configENS1_20scan_config_selectorIlEEZZNS1_9scan_implILNS1_25lookback_scan_determinismE0ELb0ELb0ES3_PlS8_lN6thrust23THRUST_200600_302600_NS4plusIvEElEEDaPvRmT3_T4_T5_mT6_P12ihipStream_tbENKUlT_T0_E_clISt17integral_constantIbLb0EESQ_EEDaSL_SM_EUlSL_E_NS1_11comp_targetILNS1_3genE8ELNS1_11target_archE1030ELNS1_3gpuE2ELNS1_3repE0EEENS1_30default_config_static_selectorELNS0_4arch9wavefront6targetE1EEEvT1_.num_agpr, 0
	.set _ZN7rocprim17ROCPRIM_400000_NS6detail17trampoline_kernelINS0_14default_configENS1_20scan_config_selectorIlEEZZNS1_9scan_implILNS1_25lookback_scan_determinismE0ELb0ELb0ES3_PlS8_lN6thrust23THRUST_200600_302600_NS4plusIvEElEEDaPvRmT3_T4_T5_mT6_P12ihipStream_tbENKUlT_T0_E_clISt17integral_constantIbLb0EESQ_EEDaSL_SM_EUlSL_E_NS1_11comp_targetILNS1_3genE8ELNS1_11target_archE1030ELNS1_3gpuE2ELNS1_3repE0EEENS1_30default_config_static_selectorELNS0_4arch9wavefront6targetE1EEEvT1_.numbered_sgpr, 0
	.set _ZN7rocprim17ROCPRIM_400000_NS6detail17trampoline_kernelINS0_14default_configENS1_20scan_config_selectorIlEEZZNS1_9scan_implILNS1_25lookback_scan_determinismE0ELb0ELb0ES3_PlS8_lN6thrust23THRUST_200600_302600_NS4plusIvEElEEDaPvRmT3_T4_T5_mT6_P12ihipStream_tbENKUlT_T0_E_clISt17integral_constantIbLb0EESQ_EEDaSL_SM_EUlSL_E_NS1_11comp_targetILNS1_3genE8ELNS1_11target_archE1030ELNS1_3gpuE2ELNS1_3repE0EEENS1_30default_config_static_selectorELNS0_4arch9wavefront6targetE1EEEvT1_.num_named_barrier, 0
	.set _ZN7rocprim17ROCPRIM_400000_NS6detail17trampoline_kernelINS0_14default_configENS1_20scan_config_selectorIlEEZZNS1_9scan_implILNS1_25lookback_scan_determinismE0ELb0ELb0ES3_PlS8_lN6thrust23THRUST_200600_302600_NS4plusIvEElEEDaPvRmT3_T4_T5_mT6_P12ihipStream_tbENKUlT_T0_E_clISt17integral_constantIbLb0EESQ_EEDaSL_SM_EUlSL_E_NS1_11comp_targetILNS1_3genE8ELNS1_11target_archE1030ELNS1_3gpuE2ELNS1_3repE0EEENS1_30default_config_static_selectorELNS0_4arch9wavefront6targetE1EEEvT1_.private_seg_size, 0
	.set _ZN7rocprim17ROCPRIM_400000_NS6detail17trampoline_kernelINS0_14default_configENS1_20scan_config_selectorIlEEZZNS1_9scan_implILNS1_25lookback_scan_determinismE0ELb0ELb0ES3_PlS8_lN6thrust23THRUST_200600_302600_NS4plusIvEElEEDaPvRmT3_T4_T5_mT6_P12ihipStream_tbENKUlT_T0_E_clISt17integral_constantIbLb0EESQ_EEDaSL_SM_EUlSL_E_NS1_11comp_targetILNS1_3genE8ELNS1_11target_archE1030ELNS1_3gpuE2ELNS1_3repE0EEENS1_30default_config_static_selectorELNS0_4arch9wavefront6targetE1EEEvT1_.uses_vcc, 0
	.set _ZN7rocprim17ROCPRIM_400000_NS6detail17trampoline_kernelINS0_14default_configENS1_20scan_config_selectorIlEEZZNS1_9scan_implILNS1_25lookback_scan_determinismE0ELb0ELb0ES3_PlS8_lN6thrust23THRUST_200600_302600_NS4plusIvEElEEDaPvRmT3_T4_T5_mT6_P12ihipStream_tbENKUlT_T0_E_clISt17integral_constantIbLb0EESQ_EEDaSL_SM_EUlSL_E_NS1_11comp_targetILNS1_3genE8ELNS1_11target_archE1030ELNS1_3gpuE2ELNS1_3repE0EEENS1_30default_config_static_selectorELNS0_4arch9wavefront6targetE1EEEvT1_.uses_flat_scratch, 0
	.set _ZN7rocprim17ROCPRIM_400000_NS6detail17trampoline_kernelINS0_14default_configENS1_20scan_config_selectorIlEEZZNS1_9scan_implILNS1_25lookback_scan_determinismE0ELb0ELb0ES3_PlS8_lN6thrust23THRUST_200600_302600_NS4plusIvEElEEDaPvRmT3_T4_T5_mT6_P12ihipStream_tbENKUlT_T0_E_clISt17integral_constantIbLb0EESQ_EEDaSL_SM_EUlSL_E_NS1_11comp_targetILNS1_3genE8ELNS1_11target_archE1030ELNS1_3gpuE2ELNS1_3repE0EEENS1_30default_config_static_selectorELNS0_4arch9wavefront6targetE1EEEvT1_.has_dyn_sized_stack, 0
	.set _ZN7rocprim17ROCPRIM_400000_NS6detail17trampoline_kernelINS0_14default_configENS1_20scan_config_selectorIlEEZZNS1_9scan_implILNS1_25lookback_scan_determinismE0ELb0ELb0ES3_PlS8_lN6thrust23THRUST_200600_302600_NS4plusIvEElEEDaPvRmT3_T4_T5_mT6_P12ihipStream_tbENKUlT_T0_E_clISt17integral_constantIbLb0EESQ_EEDaSL_SM_EUlSL_E_NS1_11comp_targetILNS1_3genE8ELNS1_11target_archE1030ELNS1_3gpuE2ELNS1_3repE0EEENS1_30default_config_static_selectorELNS0_4arch9wavefront6targetE1EEEvT1_.has_recursion, 0
	.set _ZN7rocprim17ROCPRIM_400000_NS6detail17trampoline_kernelINS0_14default_configENS1_20scan_config_selectorIlEEZZNS1_9scan_implILNS1_25lookback_scan_determinismE0ELb0ELb0ES3_PlS8_lN6thrust23THRUST_200600_302600_NS4plusIvEElEEDaPvRmT3_T4_T5_mT6_P12ihipStream_tbENKUlT_T0_E_clISt17integral_constantIbLb0EESQ_EEDaSL_SM_EUlSL_E_NS1_11comp_targetILNS1_3genE8ELNS1_11target_archE1030ELNS1_3gpuE2ELNS1_3repE0EEENS1_30default_config_static_selectorELNS0_4arch9wavefront6targetE1EEEvT1_.has_indirect_call, 0
	.section	.AMDGPU.csdata,"",@progbits
; Kernel info:
; codeLenInByte = 0
; TotalNumSgprs: 6
; NumVgprs: 0
; NumAgprs: 0
; TotalNumVgprs: 0
; ScratchSize: 0
; MemoryBound: 0
; FloatMode: 240
; IeeeMode: 1
; LDSByteSize: 0 bytes/workgroup (compile time only)
; SGPRBlocks: 0
; VGPRBlocks: 0
; NumSGPRsForWavesPerEU: 6
; NumVGPRsForWavesPerEU: 1
; AccumOffset: 4
; Occupancy: 8
; WaveLimiterHint : 0
; COMPUTE_PGM_RSRC2:SCRATCH_EN: 0
; COMPUTE_PGM_RSRC2:USER_SGPR: 2
; COMPUTE_PGM_RSRC2:TRAP_HANDLER: 0
; COMPUTE_PGM_RSRC2:TGID_X_EN: 1
; COMPUTE_PGM_RSRC2:TGID_Y_EN: 0
; COMPUTE_PGM_RSRC2:TGID_Z_EN: 0
; COMPUTE_PGM_RSRC2:TIDIG_COMP_CNT: 0
; COMPUTE_PGM_RSRC3_GFX90A:ACCUM_OFFSET: 0
; COMPUTE_PGM_RSRC3_GFX90A:TG_SPLIT: 0
	.section	.text._ZN7rocprim17ROCPRIM_400000_NS6detail17trampoline_kernelINS0_14default_configENS1_20scan_config_selectorIlEEZZNS1_9scan_implILNS1_25lookback_scan_determinismE0ELb0ELb0ES3_PlS8_lN6thrust23THRUST_200600_302600_NS4plusIvEElEEDaPvRmT3_T4_T5_mT6_P12ihipStream_tbENKUlT_T0_E_clISt17integral_constantIbLb0EESQ_EEDaSL_SM_EUlSL_E0_NS1_11comp_targetILNS1_3genE0ELNS1_11target_archE4294967295ELNS1_3gpuE0ELNS1_3repE0EEENS1_30default_config_static_selectorELNS0_4arch9wavefront6targetE1EEEvT1_,"axG",@progbits,_ZN7rocprim17ROCPRIM_400000_NS6detail17trampoline_kernelINS0_14default_configENS1_20scan_config_selectorIlEEZZNS1_9scan_implILNS1_25lookback_scan_determinismE0ELb0ELb0ES3_PlS8_lN6thrust23THRUST_200600_302600_NS4plusIvEElEEDaPvRmT3_T4_T5_mT6_P12ihipStream_tbENKUlT_T0_E_clISt17integral_constantIbLb0EESQ_EEDaSL_SM_EUlSL_E0_NS1_11comp_targetILNS1_3genE0ELNS1_11target_archE4294967295ELNS1_3gpuE0ELNS1_3repE0EEENS1_30default_config_static_selectorELNS0_4arch9wavefront6targetE1EEEvT1_,comdat
	.protected	_ZN7rocprim17ROCPRIM_400000_NS6detail17trampoline_kernelINS0_14default_configENS1_20scan_config_selectorIlEEZZNS1_9scan_implILNS1_25lookback_scan_determinismE0ELb0ELb0ES3_PlS8_lN6thrust23THRUST_200600_302600_NS4plusIvEElEEDaPvRmT3_T4_T5_mT6_P12ihipStream_tbENKUlT_T0_E_clISt17integral_constantIbLb0EESQ_EEDaSL_SM_EUlSL_E0_NS1_11comp_targetILNS1_3genE0ELNS1_11target_archE4294967295ELNS1_3gpuE0ELNS1_3repE0EEENS1_30default_config_static_selectorELNS0_4arch9wavefront6targetE1EEEvT1_ ; -- Begin function _ZN7rocprim17ROCPRIM_400000_NS6detail17trampoline_kernelINS0_14default_configENS1_20scan_config_selectorIlEEZZNS1_9scan_implILNS1_25lookback_scan_determinismE0ELb0ELb0ES3_PlS8_lN6thrust23THRUST_200600_302600_NS4plusIvEElEEDaPvRmT3_T4_T5_mT6_P12ihipStream_tbENKUlT_T0_E_clISt17integral_constantIbLb0EESQ_EEDaSL_SM_EUlSL_E0_NS1_11comp_targetILNS1_3genE0ELNS1_11target_archE4294967295ELNS1_3gpuE0ELNS1_3repE0EEENS1_30default_config_static_selectorELNS0_4arch9wavefront6targetE1EEEvT1_
	.globl	_ZN7rocprim17ROCPRIM_400000_NS6detail17trampoline_kernelINS0_14default_configENS1_20scan_config_selectorIlEEZZNS1_9scan_implILNS1_25lookback_scan_determinismE0ELb0ELb0ES3_PlS8_lN6thrust23THRUST_200600_302600_NS4plusIvEElEEDaPvRmT3_T4_T5_mT6_P12ihipStream_tbENKUlT_T0_E_clISt17integral_constantIbLb0EESQ_EEDaSL_SM_EUlSL_E0_NS1_11comp_targetILNS1_3genE0ELNS1_11target_archE4294967295ELNS1_3gpuE0ELNS1_3repE0EEENS1_30default_config_static_selectorELNS0_4arch9wavefront6targetE1EEEvT1_
	.p2align	8
	.type	_ZN7rocprim17ROCPRIM_400000_NS6detail17trampoline_kernelINS0_14default_configENS1_20scan_config_selectorIlEEZZNS1_9scan_implILNS1_25lookback_scan_determinismE0ELb0ELb0ES3_PlS8_lN6thrust23THRUST_200600_302600_NS4plusIvEElEEDaPvRmT3_T4_T5_mT6_P12ihipStream_tbENKUlT_T0_E_clISt17integral_constantIbLb0EESQ_EEDaSL_SM_EUlSL_E0_NS1_11comp_targetILNS1_3genE0ELNS1_11target_archE4294967295ELNS1_3gpuE0ELNS1_3repE0EEENS1_30default_config_static_selectorELNS0_4arch9wavefront6targetE1EEEvT1_,@function
_ZN7rocprim17ROCPRIM_400000_NS6detail17trampoline_kernelINS0_14default_configENS1_20scan_config_selectorIlEEZZNS1_9scan_implILNS1_25lookback_scan_determinismE0ELb0ELb0ES3_PlS8_lN6thrust23THRUST_200600_302600_NS4plusIvEElEEDaPvRmT3_T4_T5_mT6_P12ihipStream_tbENKUlT_T0_E_clISt17integral_constantIbLb0EESQ_EEDaSL_SM_EUlSL_E0_NS1_11comp_targetILNS1_3genE0ELNS1_11target_archE4294967295ELNS1_3gpuE0ELNS1_3repE0EEENS1_30default_config_static_selectorELNS0_4arch9wavefront6targetE1EEEvT1_: ; @_ZN7rocprim17ROCPRIM_400000_NS6detail17trampoline_kernelINS0_14default_configENS1_20scan_config_selectorIlEEZZNS1_9scan_implILNS1_25lookback_scan_determinismE0ELb0ELb0ES3_PlS8_lN6thrust23THRUST_200600_302600_NS4plusIvEElEEDaPvRmT3_T4_T5_mT6_P12ihipStream_tbENKUlT_T0_E_clISt17integral_constantIbLb0EESQ_EEDaSL_SM_EUlSL_E0_NS1_11comp_targetILNS1_3genE0ELNS1_11target_archE4294967295ELNS1_3gpuE0ELNS1_3repE0EEENS1_30default_config_static_selectorELNS0_4arch9wavefront6targetE1EEEvT1_
; %bb.0:
	s_load_dwordx4 s[12:15], s[0:1], 0x0
	v_lshlrev_b32_e32 v22, 3, v0
	s_waitcnt lgkmcnt(0)
	s_load_dwordx2 s[16:17], s[12:13], 0x0
	v_cmp_gt_u32_e32 vcc, s14, v0
	s_waitcnt lgkmcnt(0)
	v_mov_b64_e32 v[2:3], s[16:17]
	s_and_saveexec_b64 s[2:3], vcc
	s_cbranch_execz .LBB93_2
; %bb.1:
	global_load_dwordx2 v[2:3], v22, s[12:13]
.LBB93_2:
	s_or_b64 exec, exec, s[2:3]
	v_or_b32_e32 v1, 0x100, v0
	v_cmp_gt_u32_e64 s[10:11], s14, v1
	v_mov_b64_e32 v[4:5], s[16:17]
	s_and_saveexec_b64 s[2:3], s[10:11]
	s_cbranch_execz .LBB93_4
; %bb.3:
	global_load_dwordx2 v[4:5], v22, s[12:13] offset:2048
.LBB93_4:
	s_or_b64 exec, exec, s[2:3]
	v_or_b32_e32 v1, 0x200, v0
	v_cmp_gt_u32_e64 s[2:3], s14, v1
	v_mov_b64_e32 v[6:7], s[16:17]
	s_and_saveexec_b64 s[4:5], s[2:3]
	s_cbranch_execz .LBB93_6
; %bb.5:
	v_lshlrev_b32_e32 v1, 3, v1
	global_load_dwordx2 v[6:7], v1, s[12:13]
.LBB93_6:
	s_or_b64 exec, exec, s[4:5]
	v_or_b32_e32 v1, 0x300, v0
	v_cmp_gt_u32_e64 s[4:5], s14, v1
	v_mov_b64_e32 v[8:9], s[16:17]
	s_and_saveexec_b64 s[6:7], s[4:5]
	s_cbranch_execz .LBB93_8
; %bb.7:
	v_lshlrev_b32_e32 v1, 3, v1
	global_load_dwordx2 v[8:9], v1, s[12:13]
.LBB93_8:
	;; [unrolled: 10-line block ×4, first 2 shown]
	s_or_b64 exec, exec, s[14:15]
	v_mad_u32_u24 v1, v0, 40, v22
	s_waitcnt vmcnt(0)
	ds_write2st64_b64 v22, v[2:3], v[4:5] offset1:4
	ds_write2st64_b64 v22, v[6:7], v[8:9] offset0:8 offset1:12
	ds_write2st64_b64 v22, v[10:11], v[12:13] offset0:16 offset1:20
	s_waitcnt lgkmcnt(0)
	s_barrier
	ds_read_b128 v[2:5], v1
	ds_read_b128 v[18:21], v1 offset:16
	ds_read_b128 v[14:17], v1 offset:32
	v_mbcnt_lo_u32_b32 v1, -1, 0
	v_mov_b32_e32 v28, 0
	s_waitcnt lgkmcnt(2)
	v_lshl_add_u64 v[24:25], v[4:5], 0, v[2:3]
	s_waitcnt lgkmcnt(1)
	v_lshl_add_u64 v[10:11], v[24:25], 0, v[18:19]
	v_lshl_add_u64 v[12:13], v[10:11], 0, v[20:21]
	s_waitcnt lgkmcnt(0)
	v_lshl_add_u64 v[6:7], v[12:13], 0, v[14:15]
	v_lshl_add_u64 v[8:9], v[6:7], 0, v[16:17]
	v_mbcnt_hi_u32_b32 v1, -1, v1
	v_mov_b32_e32 v27, v28
	v_mov_b32_dpp v26, v8 row_shr:1 row_mask:0xf bank_mask:0xf
	v_and_b32_e32 v23, 15, v1
	v_mov_b32_dpp v29, v9 row_shr:1 row_mask:0xf bank_mask:0xf
	v_lshl_add_u64 v[26:27], v[8:9], 0, v[26:27]
	v_lshl_add_u64 v[28:29], v[28:29], 0, v[26:27]
	v_cmp_eq_u32_e64 s[12:13], 0, v23
	v_and_b32_e32 v32, 16, v1
	v_cmp_eq_u32_e64 s[14:15], 0, v32
	v_cndmask_b32_e64 v30, v26, v8, s[12:13]
	v_cndmask_b32_e64 v27, v29, v9, s[12:13]
	;; [unrolled: 1-line block ×3, first 2 shown]
	v_mov_b32_dpp v28, v30 row_shr:2 row_mask:0xf bank_mask:0xf
	v_mov_b32_dpp v29, v27 row_shr:2 row_mask:0xf bank_mask:0xf
	v_lshl_add_u64 v[28:29], v[28:29], 0, v[26:27]
	v_cmp_lt_u32_e64 s[12:13], 1, v23
	v_cmp_ne_u32_e64 s[16:17], 0, v1
	s_nop 0
	v_cndmask_b32_e64 v30, v30, v28, s[12:13]
	v_cndmask_b32_e64 v27, v27, v29, s[12:13]
	;; [unrolled: 1-line block ×3, first 2 shown]
	v_mov_b32_dpp v28, v30 row_shr:4 row_mask:0xf bank_mask:0xf
	v_mov_b32_dpp v29, v27 row_shr:4 row_mask:0xf bank_mask:0xf
	v_lshl_add_u64 v[28:29], v[28:29], 0, v[26:27]
	v_cmp_lt_u32_e64 s[12:13], 3, v23
	s_barrier
	s_nop 0
	v_cndmask_b32_e64 v30, v30, v28, s[12:13]
	v_cndmask_b32_e64 v27, v27, v29, s[12:13]
	;; [unrolled: 1-line block ×3, first 2 shown]
	v_mov_b32_dpp v28, v30 row_shr:8 row_mask:0xf bank_mask:0xf
	v_mov_b32_dpp v29, v27 row_shr:8 row_mask:0xf bank_mask:0xf
	v_lshl_add_u64 v[28:29], v[28:29], 0, v[26:27]
	v_cmp_lt_u32_e64 s[12:13], 7, v23
	s_nop 1
	v_cndmask_b32_e64 v23, v30, v28, s[12:13]
	v_cndmask_b32_e64 v29, v27, v29, s[12:13]
	;; [unrolled: 1-line block ×3, first 2 shown]
	v_mov_b32_dpp v26, v23 row_bcast:15 row_mask:0xf bank_mask:0xf
	v_mov_b32_dpp v27, v29 row_bcast:15 row_mask:0xf bank_mask:0xf
	v_lshl_add_u64 v[30:31], v[26:27], 0, v[28:29]
	v_cndmask_b32_e64 v26, v31, v29, s[14:15]
	v_cndmask_b32_e64 v23, v30, v23, s[14:15]
	v_cmp_eq_u32_e64 s[12:13], 0, v1
	v_mov_b32_dpp v32, v26 row_bcast:31 row_mask:0xf bank_mask:0xf
	v_mov_b32_dpp v23, v23 row_bcast:31 row_mask:0xf bank_mask:0xf
	v_mov_b64_e32 v[26:27], v[8:9]
	s_and_saveexec_b64 s[18:19], s[16:17]
; %bb.13:
	v_cndmask_b32_e64 v27, v31, v29, s[14:15]
	v_cndmask_b32_e64 v26, v30, v28, s[14:15]
	v_cmp_lt_u32_e64 s[14:15], 31, v1
	s_nop 1
	v_cndmask_b32_e64 v29, 0, v32, s[14:15]
	v_cndmask_b32_e64 v28, 0, v23, s[14:15]
	v_lshl_add_u64 v[26:27], v[28:29], 0, v[26:27]
; %bb.14:
	s_or_b64 exec, exec, s[18:19]
	v_or_b32_e32 v28, 63, v0
	v_lshrrev_b32_e32 v23, 6, v0
	v_cmp_eq_u32_e64 s[14:15], v0, v28
	s_and_saveexec_b64 s[16:17], s[14:15]
; %bb.15:
	v_lshlrev_b32_e32 v28, 3, v23
	ds_write_b64 v28, v[26:27]
; %bb.16:
	s_or_b64 exec, exec, s[16:17]
	v_cmp_gt_u32_e64 s[14:15], 4, v0
	s_waitcnt lgkmcnt(0)
	s_barrier
	s_and_saveexec_b64 s[18:19], s[14:15]
	s_cbranch_execz .LBB93_18
; %bb.17:
	ds_read_b64 v[28:29], v22
	v_mov_b32_e32 v30, 0
	v_mov_b32_e32 v33, v30
	v_and_b32_e32 v34, 3, v1
	v_cmp_eq_u32_e64 s[14:15], 0, v34
	s_waitcnt lgkmcnt(0)
	v_mov_b32_dpp v32, v28 row_shr:1 row_mask:0xf bank_mask:0xf
	v_mov_b32_dpp v31, v29 row_shr:1 row_mask:0xf bank_mask:0xf
	v_lshl_add_u64 v[32:33], v[28:29], 0, v[32:33]
	v_lshl_add_u64 v[30:31], v[30:31], 0, v[32:33]
	v_cndmask_b32_e64 v33, v31, v29, s[14:15]
	v_cndmask_b32_e64 v32, v32, v28, s[14:15]
	v_cmp_ne_u32_e64 s[16:17], 1, v34
	v_mov_b32_dpp v33, v33 row_shr:2 row_mask:0xf bank_mask:0xf
	v_mov_b32_dpp v32, v32 row_shr:2 row_mask:0xf bank_mask:0xf
	v_cndmask_b32_e64 v32, 0, v32, s[16:17]
	v_cndmask_b32_e64 v33, 0, v33, s[16:17]
	v_lshl_add_u64 v[30:31], v[32:33], 0, v[30:31]
	v_cndmask_b32_e64 v29, v31, v29, s[14:15]
	v_cndmask_b32_e64 v28, v30, v28, s[14:15]
	ds_write_b64 v22, v[28:29]
.LBB93_18:
	s_or_b64 exec, exec, s[18:19]
	v_cmp_lt_u32_e64 s[14:15], 63, v0
	s_waitcnt lgkmcnt(0)
	s_barrier
                                        ; implicit-def: $vgpr28_vgpr29
	s_and_saveexec_b64 s[16:17], s[14:15]
	s_cbranch_execz .LBB93_20
; %bb.19:
	v_lshl_add_u32 v23, v23, 3, -8
	ds_read_b64 v[28:29], v23
	s_waitcnt lgkmcnt(0)
	v_lshl_add_u64 v[26:27], v[28:29], 0, v[26:27]
.LBB93_20:
	s_or_b64 exec, exec, s[16:17]
	v_add_u32_e32 v23, -1, v1
	v_and_b32_e32 v30, 64, v1
	s_load_dwordx2 s[14:15], s[0:1], 0x20
	v_cmp_lt_i32_e64 s[0:1], v23, v30
	s_nop 1
	v_cndmask_b32_e64 v1, v23, v1, s[0:1]
	v_lshlrev_b32_e32 v1, 2, v1
	ds_bpermute_b32 v23, v1, v26
	ds_bpermute_b32 v26, v1, v27
	v_mul_u32_u24_e32 v1, 40, v0
	v_cmp_ne_u32_e64 s[0:1], 0, v0
	s_and_saveexec_b64 s[16:17], s[0:1]
	s_cbranch_execz .LBB93_22
; %bb.21:
	s_waitcnt lgkmcnt(0)
	v_cndmask_b32_e64 v7, v26, v29, s[12:13]
	v_cndmask_b32_e64 v6, v23, v28, s[12:13]
	v_lshl_add_u64 v[2:3], v[6:7], 0, v[2:3]
	v_lshl_add_u64 v[24:25], v[2:3], 0, v[4:5]
	;; [unrolled: 1-line block ×6, first 2 shown]
	;;#ASMSTART
	;;#ASMEND
.LBB93_22:
	s_or_b64 exec, exec, s[16:17]
	v_add_u32_e32 v0, v22, v1
	v_mov_b32_e32 v4, v24
	v_mov_b32_e32 v5, v25
	s_waitcnt lgkmcnt(0)
	s_barrier
	ds_write_b128 v0, v[2:5]
	ds_write_b128 v0, v[10:13] offset:16
	ds_write_b128 v0, v[6:9] offset:32
	s_waitcnt lgkmcnt(0)
	s_barrier
	ds_read2st64_b64 v[4:7], v22 offset0:4 offset1:8
	ds_read2st64_b64 v[0:3], v22 offset0:12 offset1:16
	ds_read_b64 v[8:9], v22 offset:10240
	v_mov_b32_e32 v23, 0
	v_lshl_add_u64 v[10:11], s[14:15], 0, v[22:23]
	s_and_saveexec_b64 s[0:1], vcc
	s_cbranch_execnz .LBB93_29
; %bb.23:
	s_or_b64 exec, exec, s[0:1]
	s_and_saveexec_b64 s[0:1], s[10:11]
	s_cbranch_execnz .LBB93_30
.LBB93_24:
	s_or_b64 exec, exec, s[0:1]
	s_and_saveexec_b64 s[0:1], s[2:3]
	s_cbranch_execnz .LBB93_31
.LBB93_25:
	s_or_b64 exec, exec, s[0:1]
	s_and_saveexec_b64 s[0:1], s[4:5]
	s_cbranch_execnz .LBB93_32
.LBB93_26:
	s_or_b64 exec, exec, s[0:1]
	s_and_saveexec_b64 s[0:1], s[6:7]
	s_cbranch_execnz .LBB93_33
.LBB93_27:
	s_or_b64 exec, exec, s[0:1]
	s_and_saveexec_b64 s[0:1], s[8:9]
	s_cbranch_execnz .LBB93_34
.LBB93_28:
	s_endpgm
.LBB93_29:
	ds_read_b64 v[12:13], v22
	s_waitcnt lgkmcnt(0)
	global_store_dwordx2 v[10:11], v[12:13], off
	s_or_b64 exec, exec, s[0:1]
	s_and_saveexec_b64 s[0:1], s[10:11]
	s_cbranch_execz .LBB93_24
.LBB93_30:
	s_waitcnt lgkmcnt(2)
	global_store_dwordx2 v[10:11], v[4:5], off offset:2048
	s_or_b64 exec, exec, s[0:1]
	s_and_saveexec_b64 s[0:1], s[2:3]
	s_cbranch_execz .LBB93_25
.LBB93_31:
	s_waitcnt lgkmcnt(2)
	v_add_co_u32_e32 v4, vcc, 0x1000, v10
	s_nop 1
	v_addc_co_u32_e32 v5, vcc, 0, v11, vcc
	global_store_dwordx2 v[4:5], v[6:7], off
	s_or_b64 exec, exec, s[0:1]
	s_and_saveexec_b64 s[0:1], s[4:5]
	s_cbranch_execz .LBB93_26
.LBB93_32:
	s_waitcnt lgkmcnt(2)
	v_add_co_u32_e32 v4, vcc, 0x1000, v10
	s_nop 1
	v_addc_co_u32_e32 v5, vcc, 0, v11, vcc
	s_waitcnt lgkmcnt(1)
	global_store_dwordx2 v[4:5], v[0:1], off offset:2048
	s_or_b64 exec, exec, s[0:1]
	s_and_saveexec_b64 s[0:1], s[6:7]
	s_cbranch_execz .LBB93_27
.LBB93_33:
	s_waitcnt lgkmcnt(1)
	v_add_co_u32_e32 v0, vcc, 0x2000, v10
	s_nop 1
	v_addc_co_u32_e32 v1, vcc, 0, v11, vcc
	global_store_dwordx2 v[0:1], v[2:3], off
	s_or_b64 exec, exec, s[0:1]
	s_and_saveexec_b64 s[0:1], s[8:9]
	s_cbranch_execz .LBB93_28
.LBB93_34:
	s_waitcnt lgkmcnt(1)
	v_add_co_u32_e32 v0, vcc, 0x2000, v10
	s_nop 1
	v_addc_co_u32_e32 v1, vcc, 0, v11, vcc
	s_waitcnt lgkmcnt(0)
	global_store_dwordx2 v[0:1], v[8:9], off offset:2048
	s_endpgm
	.section	.rodata,"a",@progbits
	.p2align	6, 0x0
	.amdhsa_kernel _ZN7rocprim17ROCPRIM_400000_NS6detail17trampoline_kernelINS0_14default_configENS1_20scan_config_selectorIlEEZZNS1_9scan_implILNS1_25lookback_scan_determinismE0ELb0ELb0ES3_PlS8_lN6thrust23THRUST_200600_302600_NS4plusIvEElEEDaPvRmT3_T4_T5_mT6_P12ihipStream_tbENKUlT_T0_E_clISt17integral_constantIbLb0EESQ_EEDaSL_SM_EUlSL_E0_NS1_11comp_targetILNS1_3genE0ELNS1_11target_archE4294967295ELNS1_3gpuE0ELNS1_3repE0EEENS1_30default_config_static_selectorELNS0_4arch9wavefront6targetE1EEEvT1_
		.amdhsa_group_segment_fixed_size 12288
		.amdhsa_private_segment_fixed_size 0
		.amdhsa_kernarg_size 40
		.amdhsa_user_sgpr_count 2
		.amdhsa_user_sgpr_dispatch_ptr 0
		.amdhsa_user_sgpr_queue_ptr 0
		.amdhsa_user_sgpr_kernarg_segment_ptr 1
		.amdhsa_user_sgpr_dispatch_id 0
		.amdhsa_user_sgpr_kernarg_preload_length 0
		.amdhsa_user_sgpr_kernarg_preload_offset 0
		.amdhsa_user_sgpr_private_segment_size 0
		.amdhsa_uses_dynamic_stack 0
		.amdhsa_enable_private_segment 0
		.amdhsa_system_sgpr_workgroup_id_x 1
		.amdhsa_system_sgpr_workgroup_id_y 0
		.amdhsa_system_sgpr_workgroup_id_z 0
		.amdhsa_system_sgpr_workgroup_info 0
		.amdhsa_system_vgpr_workitem_id 0
		.amdhsa_next_free_vgpr 35
		.amdhsa_next_free_sgpr 20
		.amdhsa_accum_offset 36
		.amdhsa_reserve_vcc 1
		.amdhsa_float_round_mode_32 0
		.amdhsa_float_round_mode_16_64 0
		.amdhsa_float_denorm_mode_32 3
		.amdhsa_float_denorm_mode_16_64 3
		.amdhsa_dx10_clamp 1
		.amdhsa_ieee_mode 1
		.amdhsa_fp16_overflow 0
		.amdhsa_tg_split 0
		.amdhsa_exception_fp_ieee_invalid_op 0
		.amdhsa_exception_fp_denorm_src 0
		.amdhsa_exception_fp_ieee_div_zero 0
		.amdhsa_exception_fp_ieee_overflow 0
		.amdhsa_exception_fp_ieee_underflow 0
		.amdhsa_exception_fp_ieee_inexact 0
		.amdhsa_exception_int_div_zero 0
	.end_amdhsa_kernel
	.section	.text._ZN7rocprim17ROCPRIM_400000_NS6detail17trampoline_kernelINS0_14default_configENS1_20scan_config_selectorIlEEZZNS1_9scan_implILNS1_25lookback_scan_determinismE0ELb0ELb0ES3_PlS8_lN6thrust23THRUST_200600_302600_NS4plusIvEElEEDaPvRmT3_T4_T5_mT6_P12ihipStream_tbENKUlT_T0_E_clISt17integral_constantIbLb0EESQ_EEDaSL_SM_EUlSL_E0_NS1_11comp_targetILNS1_3genE0ELNS1_11target_archE4294967295ELNS1_3gpuE0ELNS1_3repE0EEENS1_30default_config_static_selectorELNS0_4arch9wavefront6targetE1EEEvT1_,"axG",@progbits,_ZN7rocprim17ROCPRIM_400000_NS6detail17trampoline_kernelINS0_14default_configENS1_20scan_config_selectorIlEEZZNS1_9scan_implILNS1_25lookback_scan_determinismE0ELb0ELb0ES3_PlS8_lN6thrust23THRUST_200600_302600_NS4plusIvEElEEDaPvRmT3_T4_T5_mT6_P12ihipStream_tbENKUlT_T0_E_clISt17integral_constantIbLb0EESQ_EEDaSL_SM_EUlSL_E0_NS1_11comp_targetILNS1_3genE0ELNS1_11target_archE4294967295ELNS1_3gpuE0ELNS1_3repE0EEENS1_30default_config_static_selectorELNS0_4arch9wavefront6targetE1EEEvT1_,comdat
.Lfunc_end93:
	.size	_ZN7rocprim17ROCPRIM_400000_NS6detail17trampoline_kernelINS0_14default_configENS1_20scan_config_selectorIlEEZZNS1_9scan_implILNS1_25lookback_scan_determinismE0ELb0ELb0ES3_PlS8_lN6thrust23THRUST_200600_302600_NS4plusIvEElEEDaPvRmT3_T4_T5_mT6_P12ihipStream_tbENKUlT_T0_E_clISt17integral_constantIbLb0EESQ_EEDaSL_SM_EUlSL_E0_NS1_11comp_targetILNS1_3genE0ELNS1_11target_archE4294967295ELNS1_3gpuE0ELNS1_3repE0EEENS1_30default_config_static_selectorELNS0_4arch9wavefront6targetE1EEEvT1_, .Lfunc_end93-_ZN7rocprim17ROCPRIM_400000_NS6detail17trampoline_kernelINS0_14default_configENS1_20scan_config_selectorIlEEZZNS1_9scan_implILNS1_25lookback_scan_determinismE0ELb0ELb0ES3_PlS8_lN6thrust23THRUST_200600_302600_NS4plusIvEElEEDaPvRmT3_T4_T5_mT6_P12ihipStream_tbENKUlT_T0_E_clISt17integral_constantIbLb0EESQ_EEDaSL_SM_EUlSL_E0_NS1_11comp_targetILNS1_3genE0ELNS1_11target_archE4294967295ELNS1_3gpuE0ELNS1_3repE0EEENS1_30default_config_static_selectorELNS0_4arch9wavefront6targetE1EEEvT1_
                                        ; -- End function
	.set _ZN7rocprim17ROCPRIM_400000_NS6detail17trampoline_kernelINS0_14default_configENS1_20scan_config_selectorIlEEZZNS1_9scan_implILNS1_25lookback_scan_determinismE0ELb0ELb0ES3_PlS8_lN6thrust23THRUST_200600_302600_NS4plusIvEElEEDaPvRmT3_T4_T5_mT6_P12ihipStream_tbENKUlT_T0_E_clISt17integral_constantIbLb0EESQ_EEDaSL_SM_EUlSL_E0_NS1_11comp_targetILNS1_3genE0ELNS1_11target_archE4294967295ELNS1_3gpuE0ELNS1_3repE0EEENS1_30default_config_static_selectorELNS0_4arch9wavefront6targetE1EEEvT1_.num_vgpr, 35
	.set _ZN7rocprim17ROCPRIM_400000_NS6detail17trampoline_kernelINS0_14default_configENS1_20scan_config_selectorIlEEZZNS1_9scan_implILNS1_25lookback_scan_determinismE0ELb0ELb0ES3_PlS8_lN6thrust23THRUST_200600_302600_NS4plusIvEElEEDaPvRmT3_T4_T5_mT6_P12ihipStream_tbENKUlT_T0_E_clISt17integral_constantIbLb0EESQ_EEDaSL_SM_EUlSL_E0_NS1_11comp_targetILNS1_3genE0ELNS1_11target_archE4294967295ELNS1_3gpuE0ELNS1_3repE0EEENS1_30default_config_static_selectorELNS0_4arch9wavefront6targetE1EEEvT1_.num_agpr, 0
	.set _ZN7rocprim17ROCPRIM_400000_NS6detail17trampoline_kernelINS0_14default_configENS1_20scan_config_selectorIlEEZZNS1_9scan_implILNS1_25lookback_scan_determinismE0ELb0ELb0ES3_PlS8_lN6thrust23THRUST_200600_302600_NS4plusIvEElEEDaPvRmT3_T4_T5_mT6_P12ihipStream_tbENKUlT_T0_E_clISt17integral_constantIbLb0EESQ_EEDaSL_SM_EUlSL_E0_NS1_11comp_targetILNS1_3genE0ELNS1_11target_archE4294967295ELNS1_3gpuE0ELNS1_3repE0EEENS1_30default_config_static_selectorELNS0_4arch9wavefront6targetE1EEEvT1_.numbered_sgpr, 20
	.set _ZN7rocprim17ROCPRIM_400000_NS6detail17trampoline_kernelINS0_14default_configENS1_20scan_config_selectorIlEEZZNS1_9scan_implILNS1_25lookback_scan_determinismE0ELb0ELb0ES3_PlS8_lN6thrust23THRUST_200600_302600_NS4plusIvEElEEDaPvRmT3_T4_T5_mT6_P12ihipStream_tbENKUlT_T0_E_clISt17integral_constantIbLb0EESQ_EEDaSL_SM_EUlSL_E0_NS1_11comp_targetILNS1_3genE0ELNS1_11target_archE4294967295ELNS1_3gpuE0ELNS1_3repE0EEENS1_30default_config_static_selectorELNS0_4arch9wavefront6targetE1EEEvT1_.num_named_barrier, 0
	.set _ZN7rocprim17ROCPRIM_400000_NS6detail17trampoline_kernelINS0_14default_configENS1_20scan_config_selectorIlEEZZNS1_9scan_implILNS1_25lookback_scan_determinismE0ELb0ELb0ES3_PlS8_lN6thrust23THRUST_200600_302600_NS4plusIvEElEEDaPvRmT3_T4_T5_mT6_P12ihipStream_tbENKUlT_T0_E_clISt17integral_constantIbLb0EESQ_EEDaSL_SM_EUlSL_E0_NS1_11comp_targetILNS1_3genE0ELNS1_11target_archE4294967295ELNS1_3gpuE0ELNS1_3repE0EEENS1_30default_config_static_selectorELNS0_4arch9wavefront6targetE1EEEvT1_.private_seg_size, 0
	.set _ZN7rocprim17ROCPRIM_400000_NS6detail17trampoline_kernelINS0_14default_configENS1_20scan_config_selectorIlEEZZNS1_9scan_implILNS1_25lookback_scan_determinismE0ELb0ELb0ES3_PlS8_lN6thrust23THRUST_200600_302600_NS4plusIvEElEEDaPvRmT3_T4_T5_mT6_P12ihipStream_tbENKUlT_T0_E_clISt17integral_constantIbLb0EESQ_EEDaSL_SM_EUlSL_E0_NS1_11comp_targetILNS1_3genE0ELNS1_11target_archE4294967295ELNS1_3gpuE0ELNS1_3repE0EEENS1_30default_config_static_selectorELNS0_4arch9wavefront6targetE1EEEvT1_.uses_vcc, 1
	.set _ZN7rocprim17ROCPRIM_400000_NS6detail17trampoline_kernelINS0_14default_configENS1_20scan_config_selectorIlEEZZNS1_9scan_implILNS1_25lookback_scan_determinismE0ELb0ELb0ES3_PlS8_lN6thrust23THRUST_200600_302600_NS4plusIvEElEEDaPvRmT3_T4_T5_mT6_P12ihipStream_tbENKUlT_T0_E_clISt17integral_constantIbLb0EESQ_EEDaSL_SM_EUlSL_E0_NS1_11comp_targetILNS1_3genE0ELNS1_11target_archE4294967295ELNS1_3gpuE0ELNS1_3repE0EEENS1_30default_config_static_selectorELNS0_4arch9wavefront6targetE1EEEvT1_.uses_flat_scratch, 0
	.set _ZN7rocprim17ROCPRIM_400000_NS6detail17trampoline_kernelINS0_14default_configENS1_20scan_config_selectorIlEEZZNS1_9scan_implILNS1_25lookback_scan_determinismE0ELb0ELb0ES3_PlS8_lN6thrust23THRUST_200600_302600_NS4plusIvEElEEDaPvRmT3_T4_T5_mT6_P12ihipStream_tbENKUlT_T0_E_clISt17integral_constantIbLb0EESQ_EEDaSL_SM_EUlSL_E0_NS1_11comp_targetILNS1_3genE0ELNS1_11target_archE4294967295ELNS1_3gpuE0ELNS1_3repE0EEENS1_30default_config_static_selectorELNS0_4arch9wavefront6targetE1EEEvT1_.has_dyn_sized_stack, 0
	.set _ZN7rocprim17ROCPRIM_400000_NS6detail17trampoline_kernelINS0_14default_configENS1_20scan_config_selectorIlEEZZNS1_9scan_implILNS1_25lookback_scan_determinismE0ELb0ELb0ES3_PlS8_lN6thrust23THRUST_200600_302600_NS4plusIvEElEEDaPvRmT3_T4_T5_mT6_P12ihipStream_tbENKUlT_T0_E_clISt17integral_constantIbLb0EESQ_EEDaSL_SM_EUlSL_E0_NS1_11comp_targetILNS1_3genE0ELNS1_11target_archE4294967295ELNS1_3gpuE0ELNS1_3repE0EEENS1_30default_config_static_selectorELNS0_4arch9wavefront6targetE1EEEvT1_.has_recursion, 0
	.set _ZN7rocprim17ROCPRIM_400000_NS6detail17trampoline_kernelINS0_14default_configENS1_20scan_config_selectorIlEEZZNS1_9scan_implILNS1_25lookback_scan_determinismE0ELb0ELb0ES3_PlS8_lN6thrust23THRUST_200600_302600_NS4plusIvEElEEDaPvRmT3_T4_T5_mT6_P12ihipStream_tbENKUlT_T0_E_clISt17integral_constantIbLb0EESQ_EEDaSL_SM_EUlSL_E0_NS1_11comp_targetILNS1_3genE0ELNS1_11target_archE4294967295ELNS1_3gpuE0ELNS1_3repE0EEENS1_30default_config_static_selectorELNS0_4arch9wavefront6targetE1EEEvT1_.has_indirect_call, 0
	.section	.AMDGPU.csdata,"",@progbits
; Kernel info:
; codeLenInByte = 1612
; TotalNumSgprs: 26
; NumVgprs: 35
; NumAgprs: 0
; TotalNumVgprs: 35
; ScratchSize: 0
; MemoryBound: 0
; FloatMode: 240
; IeeeMode: 1
; LDSByteSize: 12288 bytes/workgroup (compile time only)
; SGPRBlocks: 3
; VGPRBlocks: 4
; NumSGPRsForWavesPerEU: 26
; NumVGPRsForWavesPerEU: 35
; AccumOffset: 36
; Occupancy: 8
; WaveLimiterHint : 0
; COMPUTE_PGM_RSRC2:SCRATCH_EN: 0
; COMPUTE_PGM_RSRC2:USER_SGPR: 2
; COMPUTE_PGM_RSRC2:TRAP_HANDLER: 0
; COMPUTE_PGM_RSRC2:TGID_X_EN: 1
; COMPUTE_PGM_RSRC2:TGID_Y_EN: 0
; COMPUTE_PGM_RSRC2:TGID_Z_EN: 0
; COMPUTE_PGM_RSRC2:TIDIG_COMP_CNT: 0
; COMPUTE_PGM_RSRC3_GFX90A:ACCUM_OFFSET: 8
; COMPUTE_PGM_RSRC3_GFX90A:TG_SPLIT: 0
	.section	.text._ZN7rocprim17ROCPRIM_400000_NS6detail17trampoline_kernelINS0_14default_configENS1_20scan_config_selectorIlEEZZNS1_9scan_implILNS1_25lookback_scan_determinismE0ELb0ELb0ES3_PlS8_lN6thrust23THRUST_200600_302600_NS4plusIvEElEEDaPvRmT3_T4_T5_mT6_P12ihipStream_tbENKUlT_T0_E_clISt17integral_constantIbLb0EESQ_EEDaSL_SM_EUlSL_E0_NS1_11comp_targetILNS1_3genE5ELNS1_11target_archE942ELNS1_3gpuE9ELNS1_3repE0EEENS1_30default_config_static_selectorELNS0_4arch9wavefront6targetE1EEEvT1_,"axG",@progbits,_ZN7rocprim17ROCPRIM_400000_NS6detail17trampoline_kernelINS0_14default_configENS1_20scan_config_selectorIlEEZZNS1_9scan_implILNS1_25lookback_scan_determinismE0ELb0ELb0ES3_PlS8_lN6thrust23THRUST_200600_302600_NS4plusIvEElEEDaPvRmT3_T4_T5_mT6_P12ihipStream_tbENKUlT_T0_E_clISt17integral_constantIbLb0EESQ_EEDaSL_SM_EUlSL_E0_NS1_11comp_targetILNS1_3genE5ELNS1_11target_archE942ELNS1_3gpuE9ELNS1_3repE0EEENS1_30default_config_static_selectorELNS0_4arch9wavefront6targetE1EEEvT1_,comdat
	.protected	_ZN7rocprim17ROCPRIM_400000_NS6detail17trampoline_kernelINS0_14default_configENS1_20scan_config_selectorIlEEZZNS1_9scan_implILNS1_25lookback_scan_determinismE0ELb0ELb0ES3_PlS8_lN6thrust23THRUST_200600_302600_NS4plusIvEElEEDaPvRmT3_T4_T5_mT6_P12ihipStream_tbENKUlT_T0_E_clISt17integral_constantIbLb0EESQ_EEDaSL_SM_EUlSL_E0_NS1_11comp_targetILNS1_3genE5ELNS1_11target_archE942ELNS1_3gpuE9ELNS1_3repE0EEENS1_30default_config_static_selectorELNS0_4arch9wavefront6targetE1EEEvT1_ ; -- Begin function _ZN7rocprim17ROCPRIM_400000_NS6detail17trampoline_kernelINS0_14default_configENS1_20scan_config_selectorIlEEZZNS1_9scan_implILNS1_25lookback_scan_determinismE0ELb0ELb0ES3_PlS8_lN6thrust23THRUST_200600_302600_NS4plusIvEElEEDaPvRmT3_T4_T5_mT6_P12ihipStream_tbENKUlT_T0_E_clISt17integral_constantIbLb0EESQ_EEDaSL_SM_EUlSL_E0_NS1_11comp_targetILNS1_3genE5ELNS1_11target_archE942ELNS1_3gpuE9ELNS1_3repE0EEENS1_30default_config_static_selectorELNS0_4arch9wavefront6targetE1EEEvT1_
	.globl	_ZN7rocprim17ROCPRIM_400000_NS6detail17trampoline_kernelINS0_14default_configENS1_20scan_config_selectorIlEEZZNS1_9scan_implILNS1_25lookback_scan_determinismE0ELb0ELb0ES3_PlS8_lN6thrust23THRUST_200600_302600_NS4plusIvEElEEDaPvRmT3_T4_T5_mT6_P12ihipStream_tbENKUlT_T0_E_clISt17integral_constantIbLb0EESQ_EEDaSL_SM_EUlSL_E0_NS1_11comp_targetILNS1_3genE5ELNS1_11target_archE942ELNS1_3gpuE9ELNS1_3repE0EEENS1_30default_config_static_selectorELNS0_4arch9wavefront6targetE1EEEvT1_
	.p2align	8
	.type	_ZN7rocprim17ROCPRIM_400000_NS6detail17trampoline_kernelINS0_14default_configENS1_20scan_config_selectorIlEEZZNS1_9scan_implILNS1_25lookback_scan_determinismE0ELb0ELb0ES3_PlS8_lN6thrust23THRUST_200600_302600_NS4plusIvEElEEDaPvRmT3_T4_T5_mT6_P12ihipStream_tbENKUlT_T0_E_clISt17integral_constantIbLb0EESQ_EEDaSL_SM_EUlSL_E0_NS1_11comp_targetILNS1_3genE5ELNS1_11target_archE942ELNS1_3gpuE9ELNS1_3repE0EEENS1_30default_config_static_selectorELNS0_4arch9wavefront6targetE1EEEvT1_,@function
_ZN7rocprim17ROCPRIM_400000_NS6detail17trampoline_kernelINS0_14default_configENS1_20scan_config_selectorIlEEZZNS1_9scan_implILNS1_25lookback_scan_determinismE0ELb0ELb0ES3_PlS8_lN6thrust23THRUST_200600_302600_NS4plusIvEElEEDaPvRmT3_T4_T5_mT6_P12ihipStream_tbENKUlT_T0_E_clISt17integral_constantIbLb0EESQ_EEDaSL_SM_EUlSL_E0_NS1_11comp_targetILNS1_3genE5ELNS1_11target_archE942ELNS1_3gpuE9ELNS1_3repE0EEENS1_30default_config_static_selectorELNS0_4arch9wavefront6targetE1EEEvT1_: ; @_ZN7rocprim17ROCPRIM_400000_NS6detail17trampoline_kernelINS0_14default_configENS1_20scan_config_selectorIlEEZZNS1_9scan_implILNS1_25lookback_scan_determinismE0ELb0ELb0ES3_PlS8_lN6thrust23THRUST_200600_302600_NS4plusIvEElEEDaPvRmT3_T4_T5_mT6_P12ihipStream_tbENKUlT_T0_E_clISt17integral_constantIbLb0EESQ_EEDaSL_SM_EUlSL_E0_NS1_11comp_targetILNS1_3genE5ELNS1_11target_archE942ELNS1_3gpuE9ELNS1_3repE0EEENS1_30default_config_static_selectorELNS0_4arch9wavefront6targetE1EEEvT1_
; %bb.0:
	.section	.rodata,"a",@progbits
	.p2align	6, 0x0
	.amdhsa_kernel _ZN7rocprim17ROCPRIM_400000_NS6detail17trampoline_kernelINS0_14default_configENS1_20scan_config_selectorIlEEZZNS1_9scan_implILNS1_25lookback_scan_determinismE0ELb0ELb0ES3_PlS8_lN6thrust23THRUST_200600_302600_NS4plusIvEElEEDaPvRmT3_T4_T5_mT6_P12ihipStream_tbENKUlT_T0_E_clISt17integral_constantIbLb0EESQ_EEDaSL_SM_EUlSL_E0_NS1_11comp_targetILNS1_3genE5ELNS1_11target_archE942ELNS1_3gpuE9ELNS1_3repE0EEENS1_30default_config_static_selectorELNS0_4arch9wavefront6targetE1EEEvT1_
		.amdhsa_group_segment_fixed_size 0
		.amdhsa_private_segment_fixed_size 0
		.amdhsa_kernarg_size 40
		.amdhsa_user_sgpr_count 2
		.amdhsa_user_sgpr_dispatch_ptr 0
		.amdhsa_user_sgpr_queue_ptr 0
		.amdhsa_user_sgpr_kernarg_segment_ptr 1
		.amdhsa_user_sgpr_dispatch_id 0
		.amdhsa_user_sgpr_kernarg_preload_length 0
		.amdhsa_user_sgpr_kernarg_preload_offset 0
		.amdhsa_user_sgpr_private_segment_size 0
		.amdhsa_uses_dynamic_stack 0
		.amdhsa_enable_private_segment 0
		.amdhsa_system_sgpr_workgroup_id_x 1
		.amdhsa_system_sgpr_workgroup_id_y 0
		.amdhsa_system_sgpr_workgroup_id_z 0
		.amdhsa_system_sgpr_workgroup_info 0
		.amdhsa_system_vgpr_workitem_id 0
		.amdhsa_next_free_vgpr 1
		.amdhsa_next_free_sgpr 0
		.amdhsa_accum_offset 4
		.amdhsa_reserve_vcc 0
		.amdhsa_float_round_mode_32 0
		.amdhsa_float_round_mode_16_64 0
		.amdhsa_float_denorm_mode_32 3
		.amdhsa_float_denorm_mode_16_64 3
		.amdhsa_dx10_clamp 1
		.amdhsa_ieee_mode 1
		.amdhsa_fp16_overflow 0
		.amdhsa_tg_split 0
		.amdhsa_exception_fp_ieee_invalid_op 0
		.amdhsa_exception_fp_denorm_src 0
		.amdhsa_exception_fp_ieee_div_zero 0
		.amdhsa_exception_fp_ieee_overflow 0
		.amdhsa_exception_fp_ieee_underflow 0
		.amdhsa_exception_fp_ieee_inexact 0
		.amdhsa_exception_int_div_zero 0
	.end_amdhsa_kernel
	.section	.text._ZN7rocprim17ROCPRIM_400000_NS6detail17trampoline_kernelINS0_14default_configENS1_20scan_config_selectorIlEEZZNS1_9scan_implILNS1_25lookback_scan_determinismE0ELb0ELb0ES3_PlS8_lN6thrust23THRUST_200600_302600_NS4plusIvEElEEDaPvRmT3_T4_T5_mT6_P12ihipStream_tbENKUlT_T0_E_clISt17integral_constantIbLb0EESQ_EEDaSL_SM_EUlSL_E0_NS1_11comp_targetILNS1_3genE5ELNS1_11target_archE942ELNS1_3gpuE9ELNS1_3repE0EEENS1_30default_config_static_selectorELNS0_4arch9wavefront6targetE1EEEvT1_,"axG",@progbits,_ZN7rocprim17ROCPRIM_400000_NS6detail17trampoline_kernelINS0_14default_configENS1_20scan_config_selectorIlEEZZNS1_9scan_implILNS1_25lookback_scan_determinismE0ELb0ELb0ES3_PlS8_lN6thrust23THRUST_200600_302600_NS4plusIvEElEEDaPvRmT3_T4_T5_mT6_P12ihipStream_tbENKUlT_T0_E_clISt17integral_constantIbLb0EESQ_EEDaSL_SM_EUlSL_E0_NS1_11comp_targetILNS1_3genE5ELNS1_11target_archE942ELNS1_3gpuE9ELNS1_3repE0EEENS1_30default_config_static_selectorELNS0_4arch9wavefront6targetE1EEEvT1_,comdat
.Lfunc_end94:
	.size	_ZN7rocprim17ROCPRIM_400000_NS6detail17trampoline_kernelINS0_14default_configENS1_20scan_config_selectorIlEEZZNS1_9scan_implILNS1_25lookback_scan_determinismE0ELb0ELb0ES3_PlS8_lN6thrust23THRUST_200600_302600_NS4plusIvEElEEDaPvRmT3_T4_T5_mT6_P12ihipStream_tbENKUlT_T0_E_clISt17integral_constantIbLb0EESQ_EEDaSL_SM_EUlSL_E0_NS1_11comp_targetILNS1_3genE5ELNS1_11target_archE942ELNS1_3gpuE9ELNS1_3repE0EEENS1_30default_config_static_selectorELNS0_4arch9wavefront6targetE1EEEvT1_, .Lfunc_end94-_ZN7rocprim17ROCPRIM_400000_NS6detail17trampoline_kernelINS0_14default_configENS1_20scan_config_selectorIlEEZZNS1_9scan_implILNS1_25lookback_scan_determinismE0ELb0ELb0ES3_PlS8_lN6thrust23THRUST_200600_302600_NS4plusIvEElEEDaPvRmT3_T4_T5_mT6_P12ihipStream_tbENKUlT_T0_E_clISt17integral_constantIbLb0EESQ_EEDaSL_SM_EUlSL_E0_NS1_11comp_targetILNS1_3genE5ELNS1_11target_archE942ELNS1_3gpuE9ELNS1_3repE0EEENS1_30default_config_static_selectorELNS0_4arch9wavefront6targetE1EEEvT1_
                                        ; -- End function
	.set _ZN7rocprim17ROCPRIM_400000_NS6detail17trampoline_kernelINS0_14default_configENS1_20scan_config_selectorIlEEZZNS1_9scan_implILNS1_25lookback_scan_determinismE0ELb0ELb0ES3_PlS8_lN6thrust23THRUST_200600_302600_NS4plusIvEElEEDaPvRmT3_T4_T5_mT6_P12ihipStream_tbENKUlT_T0_E_clISt17integral_constantIbLb0EESQ_EEDaSL_SM_EUlSL_E0_NS1_11comp_targetILNS1_3genE5ELNS1_11target_archE942ELNS1_3gpuE9ELNS1_3repE0EEENS1_30default_config_static_selectorELNS0_4arch9wavefront6targetE1EEEvT1_.num_vgpr, 0
	.set _ZN7rocprim17ROCPRIM_400000_NS6detail17trampoline_kernelINS0_14default_configENS1_20scan_config_selectorIlEEZZNS1_9scan_implILNS1_25lookback_scan_determinismE0ELb0ELb0ES3_PlS8_lN6thrust23THRUST_200600_302600_NS4plusIvEElEEDaPvRmT3_T4_T5_mT6_P12ihipStream_tbENKUlT_T0_E_clISt17integral_constantIbLb0EESQ_EEDaSL_SM_EUlSL_E0_NS1_11comp_targetILNS1_3genE5ELNS1_11target_archE942ELNS1_3gpuE9ELNS1_3repE0EEENS1_30default_config_static_selectorELNS0_4arch9wavefront6targetE1EEEvT1_.num_agpr, 0
	.set _ZN7rocprim17ROCPRIM_400000_NS6detail17trampoline_kernelINS0_14default_configENS1_20scan_config_selectorIlEEZZNS1_9scan_implILNS1_25lookback_scan_determinismE0ELb0ELb0ES3_PlS8_lN6thrust23THRUST_200600_302600_NS4plusIvEElEEDaPvRmT3_T4_T5_mT6_P12ihipStream_tbENKUlT_T0_E_clISt17integral_constantIbLb0EESQ_EEDaSL_SM_EUlSL_E0_NS1_11comp_targetILNS1_3genE5ELNS1_11target_archE942ELNS1_3gpuE9ELNS1_3repE0EEENS1_30default_config_static_selectorELNS0_4arch9wavefront6targetE1EEEvT1_.numbered_sgpr, 0
	.set _ZN7rocprim17ROCPRIM_400000_NS6detail17trampoline_kernelINS0_14default_configENS1_20scan_config_selectorIlEEZZNS1_9scan_implILNS1_25lookback_scan_determinismE0ELb0ELb0ES3_PlS8_lN6thrust23THRUST_200600_302600_NS4plusIvEElEEDaPvRmT3_T4_T5_mT6_P12ihipStream_tbENKUlT_T0_E_clISt17integral_constantIbLb0EESQ_EEDaSL_SM_EUlSL_E0_NS1_11comp_targetILNS1_3genE5ELNS1_11target_archE942ELNS1_3gpuE9ELNS1_3repE0EEENS1_30default_config_static_selectorELNS0_4arch9wavefront6targetE1EEEvT1_.num_named_barrier, 0
	.set _ZN7rocprim17ROCPRIM_400000_NS6detail17trampoline_kernelINS0_14default_configENS1_20scan_config_selectorIlEEZZNS1_9scan_implILNS1_25lookback_scan_determinismE0ELb0ELb0ES3_PlS8_lN6thrust23THRUST_200600_302600_NS4plusIvEElEEDaPvRmT3_T4_T5_mT6_P12ihipStream_tbENKUlT_T0_E_clISt17integral_constantIbLb0EESQ_EEDaSL_SM_EUlSL_E0_NS1_11comp_targetILNS1_3genE5ELNS1_11target_archE942ELNS1_3gpuE9ELNS1_3repE0EEENS1_30default_config_static_selectorELNS0_4arch9wavefront6targetE1EEEvT1_.private_seg_size, 0
	.set _ZN7rocprim17ROCPRIM_400000_NS6detail17trampoline_kernelINS0_14default_configENS1_20scan_config_selectorIlEEZZNS1_9scan_implILNS1_25lookback_scan_determinismE0ELb0ELb0ES3_PlS8_lN6thrust23THRUST_200600_302600_NS4plusIvEElEEDaPvRmT3_T4_T5_mT6_P12ihipStream_tbENKUlT_T0_E_clISt17integral_constantIbLb0EESQ_EEDaSL_SM_EUlSL_E0_NS1_11comp_targetILNS1_3genE5ELNS1_11target_archE942ELNS1_3gpuE9ELNS1_3repE0EEENS1_30default_config_static_selectorELNS0_4arch9wavefront6targetE1EEEvT1_.uses_vcc, 0
	.set _ZN7rocprim17ROCPRIM_400000_NS6detail17trampoline_kernelINS0_14default_configENS1_20scan_config_selectorIlEEZZNS1_9scan_implILNS1_25lookback_scan_determinismE0ELb0ELb0ES3_PlS8_lN6thrust23THRUST_200600_302600_NS4plusIvEElEEDaPvRmT3_T4_T5_mT6_P12ihipStream_tbENKUlT_T0_E_clISt17integral_constantIbLb0EESQ_EEDaSL_SM_EUlSL_E0_NS1_11comp_targetILNS1_3genE5ELNS1_11target_archE942ELNS1_3gpuE9ELNS1_3repE0EEENS1_30default_config_static_selectorELNS0_4arch9wavefront6targetE1EEEvT1_.uses_flat_scratch, 0
	.set _ZN7rocprim17ROCPRIM_400000_NS6detail17trampoline_kernelINS0_14default_configENS1_20scan_config_selectorIlEEZZNS1_9scan_implILNS1_25lookback_scan_determinismE0ELb0ELb0ES3_PlS8_lN6thrust23THRUST_200600_302600_NS4plusIvEElEEDaPvRmT3_T4_T5_mT6_P12ihipStream_tbENKUlT_T0_E_clISt17integral_constantIbLb0EESQ_EEDaSL_SM_EUlSL_E0_NS1_11comp_targetILNS1_3genE5ELNS1_11target_archE942ELNS1_3gpuE9ELNS1_3repE0EEENS1_30default_config_static_selectorELNS0_4arch9wavefront6targetE1EEEvT1_.has_dyn_sized_stack, 0
	.set _ZN7rocprim17ROCPRIM_400000_NS6detail17trampoline_kernelINS0_14default_configENS1_20scan_config_selectorIlEEZZNS1_9scan_implILNS1_25lookback_scan_determinismE0ELb0ELb0ES3_PlS8_lN6thrust23THRUST_200600_302600_NS4plusIvEElEEDaPvRmT3_T4_T5_mT6_P12ihipStream_tbENKUlT_T0_E_clISt17integral_constantIbLb0EESQ_EEDaSL_SM_EUlSL_E0_NS1_11comp_targetILNS1_3genE5ELNS1_11target_archE942ELNS1_3gpuE9ELNS1_3repE0EEENS1_30default_config_static_selectorELNS0_4arch9wavefront6targetE1EEEvT1_.has_recursion, 0
	.set _ZN7rocprim17ROCPRIM_400000_NS6detail17trampoline_kernelINS0_14default_configENS1_20scan_config_selectorIlEEZZNS1_9scan_implILNS1_25lookback_scan_determinismE0ELb0ELb0ES3_PlS8_lN6thrust23THRUST_200600_302600_NS4plusIvEElEEDaPvRmT3_T4_T5_mT6_P12ihipStream_tbENKUlT_T0_E_clISt17integral_constantIbLb0EESQ_EEDaSL_SM_EUlSL_E0_NS1_11comp_targetILNS1_3genE5ELNS1_11target_archE942ELNS1_3gpuE9ELNS1_3repE0EEENS1_30default_config_static_selectorELNS0_4arch9wavefront6targetE1EEEvT1_.has_indirect_call, 0
	.section	.AMDGPU.csdata,"",@progbits
; Kernel info:
; codeLenInByte = 0
; TotalNumSgprs: 6
; NumVgprs: 0
; NumAgprs: 0
; TotalNumVgprs: 0
; ScratchSize: 0
; MemoryBound: 0
; FloatMode: 240
; IeeeMode: 1
; LDSByteSize: 0 bytes/workgroup (compile time only)
; SGPRBlocks: 0
; VGPRBlocks: 0
; NumSGPRsForWavesPerEU: 6
; NumVGPRsForWavesPerEU: 1
; AccumOffset: 4
; Occupancy: 8
; WaveLimiterHint : 0
; COMPUTE_PGM_RSRC2:SCRATCH_EN: 0
; COMPUTE_PGM_RSRC2:USER_SGPR: 2
; COMPUTE_PGM_RSRC2:TRAP_HANDLER: 0
; COMPUTE_PGM_RSRC2:TGID_X_EN: 1
; COMPUTE_PGM_RSRC2:TGID_Y_EN: 0
; COMPUTE_PGM_RSRC2:TGID_Z_EN: 0
; COMPUTE_PGM_RSRC2:TIDIG_COMP_CNT: 0
; COMPUTE_PGM_RSRC3_GFX90A:ACCUM_OFFSET: 0
; COMPUTE_PGM_RSRC3_GFX90A:TG_SPLIT: 0
	.section	.text._ZN7rocprim17ROCPRIM_400000_NS6detail17trampoline_kernelINS0_14default_configENS1_20scan_config_selectorIlEEZZNS1_9scan_implILNS1_25lookback_scan_determinismE0ELb0ELb0ES3_PlS8_lN6thrust23THRUST_200600_302600_NS4plusIvEElEEDaPvRmT3_T4_T5_mT6_P12ihipStream_tbENKUlT_T0_E_clISt17integral_constantIbLb0EESQ_EEDaSL_SM_EUlSL_E0_NS1_11comp_targetILNS1_3genE4ELNS1_11target_archE910ELNS1_3gpuE8ELNS1_3repE0EEENS1_30default_config_static_selectorELNS0_4arch9wavefront6targetE1EEEvT1_,"axG",@progbits,_ZN7rocprim17ROCPRIM_400000_NS6detail17trampoline_kernelINS0_14default_configENS1_20scan_config_selectorIlEEZZNS1_9scan_implILNS1_25lookback_scan_determinismE0ELb0ELb0ES3_PlS8_lN6thrust23THRUST_200600_302600_NS4plusIvEElEEDaPvRmT3_T4_T5_mT6_P12ihipStream_tbENKUlT_T0_E_clISt17integral_constantIbLb0EESQ_EEDaSL_SM_EUlSL_E0_NS1_11comp_targetILNS1_3genE4ELNS1_11target_archE910ELNS1_3gpuE8ELNS1_3repE0EEENS1_30default_config_static_selectorELNS0_4arch9wavefront6targetE1EEEvT1_,comdat
	.protected	_ZN7rocprim17ROCPRIM_400000_NS6detail17trampoline_kernelINS0_14default_configENS1_20scan_config_selectorIlEEZZNS1_9scan_implILNS1_25lookback_scan_determinismE0ELb0ELb0ES3_PlS8_lN6thrust23THRUST_200600_302600_NS4plusIvEElEEDaPvRmT3_T4_T5_mT6_P12ihipStream_tbENKUlT_T0_E_clISt17integral_constantIbLb0EESQ_EEDaSL_SM_EUlSL_E0_NS1_11comp_targetILNS1_3genE4ELNS1_11target_archE910ELNS1_3gpuE8ELNS1_3repE0EEENS1_30default_config_static_selectorELNS0_4arch9wavefront6targetE1EEEvT1_ ; -- Begin function _ZN7rocprim17ROCPRIM_400000_NS6detail17trampoline_kernelINS0_14default_configENS1_20scan_config_selectorIlEEZZNS1_9scan_implILNS1_25lookback_scan_determinismE0ELb0ELb0ES3_PlS8_lN6thrust23THRUST_200600_302600_NS4plusIvEElEEDaPvRmT3_T4_T5_mT6_P12ihipStream_tbENKUlT_T0_E_clISt17integral_constantIbLb0EESQ_EEDaSL_SM_EUlSL_E0_NS1_11comp_targetILNS1_3genE4ELNS1_11target_archE910ELNS1_3gpuE8ELNS1_3repE0EEENS1_30default_config_static_selectorELNS0_4arch9wavefront6targetE1EEEvT1_
	.globl	_ZN7rocprim17ROCPRIM_400000_NS6detail17trampoline_kernelINS0_14default_configENS1_20scan_config_selectorIlEEZZNS1_9scan_implILNS1_25lookback_scan_determinismE0ELb0ELb0ES3_PlS8_lN6thrust23THRUST_200600_302600_NS4plusIvEElEEDaPvRmT3_T4_T5_mT6_P12ihipStream_tbENKUlT_T0_E_clISt17integral_constantIbLb0EESQ_EEDaSL_SM_EUlSL_E0_NS1_11comp_targetILNS1_3genE4ELNS1_11target_archE910ELNS1_3gpuE8ELNS1_3repE0EEENS1_30default_config_static_selectorELNS0_4arch9wavefront6targetE1EEEvT1_
	.p2align	8
	.type	_ZN7rocprim17ROCPRIM_400000_NS6detail17trampoline_kernelINS0_14default_configENS1_20scan_config_selectorIlEEZZNS1_9scan_implILNS1_25lookback_scan_determinismE0ELb0ELb0ES3_PlS8_lN6thrust23THRUST_200600_302600_NS4plusIvEElEEDaPvRmT3_T4_T5_mT6_P12ihipStream_tbENKUlT_T0_E_clISt17integral_constantIbLb0EESQ_EEDaSL_SM_EUlSL_E0_NS1_11comp_targetILNS1_3genE4ELNS1_11target_archE910ELNS1_3gpuE8ELNS1_3repE0EEENS1_30default_config_static_selectorELNS0_4arch9wavefront6targetE1EEEvT1_,@function
_ZN7rocprim17ROCPRIM_400000_NS6detail17trampoline_kernelINS0_14default_configENS1_20scan_config_selectorIlEEZZNS1_9scan_implILNS1_25lookback_scan_determinismE0ELb0ELb0ES3_PlS8_lN6thrust23THRUST_200600_302600_NS4plusIvEElEEDaPvRmT3_T4_T5_mT6_P12ihipStream_tbENKUlT_T0_E_clISt17integral_constantIbLb0EESQ_EEDaSL_SM_EUlSL_E0_NS1_11comp_targetILNS1_3genE4ELNS1_11target_archE910ELNS1_3gpuE8ELNS1_3repE0EEENS1_30default_config_static_selectorELNS0_4arch9wavefront6targetE1EEEvT1_: ; @_ZN7rocprim17ROCPRIM_400000_NS6detail17trampoline_kernelINS0_14default_configENS1_20scan_config_selectorIlEEZZNS1_9scan_implILNS1_25lookback_scan_determinismE0ELb0ELb0ES3_PlS8_lN6thrust23THRUST_200600_302600_NS4plusIvEElEEDaPvRmT3_T4_T5_mT6_P12ihipStream_tbENKUlT_T0_E_clISt17integral_constantIbLb0EESQ_EEDaSL_SM_EUlSL_E0_NS1_11comp_targetILNS1_3genE4ELNS1_11target_archE910ELNS1_3gpuE8ELNS1_3repE0EEENS1_30default_config_static_selectorELNS0_4arch9wavefront6targetE1EEEvT1_
; %bb.0:
	.section	.rodata,"a",@progbits
	.p2align	6, 0x0
	.amdhsa_kernel _ZN7rocprim17ROCPRIM_400000_NS6detail17trampoline_kernelINS0_14default_configENS1_20scan_config_selectorIlEEZZNS1_9scan_implILNS1_25lookback_scan_determinismE0ELb0ELb0ES3_PlS8_lN6thrust23THRUST_200600_302600_NS4plusIvEElEEDaPvRmT3_T4_T5_mT6_P12ihipStream_tbENKUlT_T0_E_clISt17integral_constantIbLb0EESQ_EEDaSL_SM_EUlSL_E0_NS1_11comp_targetILNS1_3genE4ELNS1_11target_archE910ELNS1_3gpuE8ELNS1_3repE0EEENS1_30default_config_static_selectorELNS0_4arch9wavefront6targetE1EEEvT1_
		.amdhsa_group_segment_fixed_size 0
		.amdhsa_private_segment_fixed_size 0
		.amdhsa_kernarg_size 40
		.amdhsa_user_sgpr_count 2
		.amdhsa_user_sgpr_dispatch_ptr 0
		.amdhsa_user_sgpr_queue_ptr 0
		.amdhsa_user_sgpr_kernarg_segment_ptr 1
		.amdhsa_user_sgpr_dispatch_id 0
		.amdhsa_user_sgpr_kernarg_preload_length 0
		.amdhsa_user_sgpr_kernarg_preload_offset 0
		.amdhsa_user_sgpr_private_segment_size 0
		.amdhsa_uses_dynamic_stack 0
		.amdhsa_enable_private_segment 0
		.amdhsa_system_sgpr_workgroup_id_x 1
		.amdhsa_system_sgpr_workgroup_id_y 0
		.amdhsa_system_sgpr_workgroup_id_z 0
		.amdhsa_system_sgpr_workgroup_info 0
		.amdhsa_system_vgpr_workitem_id 0
		.amdhsa_next_free_vgpr 1
		.amdhsa_next_free_sgpr 0
		.amdhsa_accum_offset 4
		.amdhsa_reserve_vcc 0
		.amdhsa_float_round_mode_32 0
		.amdhsa_float_round_mode_16_64 0
		.amdhsa_float_denorm_mode_32 3
		.amdhsa_float_denorm_mode_16_64 3
		.amdhsa_dx10_clamp 1
		.amdhsa_ieee_mode 1
		.amdhsa_fp16_overflow 0
		.amdhsa_tg_split 0
		.amdhsa_exception_fp_ieee_invalid_op 0
		.amdhsa_exception_fp_denorm_src 0
		.amdhsa_exception_fp_ieee_div_zero 0
		.amdhsa_exception_fp_ieee_overflow 0
		.amdhsa_exception_fp_ieee_underflow 0
		.amdhsa_exception_fp_ieee_inexact 0
		.amdhsa_exception_int_div_zero 0
	.end_amdhsa_kernel
	.section	.text._ZN7rocprim17ROCPRIM_400000_NS6detail17trampoline_kernelINS0_14default_configENS1_20scan_config_selectorIlEEZZNS1_9scan_implILNS1_25lookback_scan_determinismE0ELb0ELb0ES3_PlS8_lN6thrust23THRUST_200600_302600_NS4plusIvEElEEDaPvRmT3_T4_T5_mT6_P12ihipStream_tbENKUlT_T0_E_clISt17integral_constantIbLb0EESQ_EEDaSL_SM_EUlSL_E0_NS1_11comp_targetILNS1_3genE4ELNS1_11target_archE910ELNS1_3gpuE8ELNS1_3repE0EEENS1_30default_config_static_selectorELNS0_4arch9wavefront6targetE1EEEvT1_,"axG",@progbits,_ZN7rocprim17ROCPRIM_400000_NS6detail17trampoline_kernelINS0_14default_configENS1_20scan_config_selectorIlEEZZNS1_9scan_implILNS1_25lookback_scan_determinismE0ELb0ELb0ES3_PlS8_lN6thrust23THRUST_200600_302600_NS4plusIvEElEEDaPvRmT3_T4_T5_mT6_P12ihipStream_tbENKUlT_T0_E_clISt17integral_constantIbLb0EESQ_EEDaSL_SM_EUlSL_E0_NS1_11comp_targetILNS1_3genE4ELNS1_11target_archE910ELNS1_3gpuE8ELNS1_3repE0EEENS1_30default_config_static_selectorELNS0_4arch9wavefront6targetE1EEEvT1_,comdat
.Lfunc_end95:
	.size	_ZN7rocprim17ROCPRIM_400000_NS6detail17trampoline_kernelINS0_14default_configENS1_20scan_config_selectorIlEEZZNS1_9scan_implILNS1_25lookback_scan_determinismE0ELb0ELb0ES3_PlS8_lN6thrust23THRUST_200600_302600_NS4plusIvEElEEDaPvRmT3_T4_T5_mT6_P12ihipStream_tbENKUlT_T0_E_clISt17integral_constantIbLb0EESQ_EEDaSL_SM_EUlSL_E0_NS1_11comp_targetILNS1_3genE4ELNS1_11target_archE910ELNS1_3gpuE8ELNS1_3repE0EEENS1_30default_config_static_selectorELNS0_4arch9wavefront6targetE1EEEvT1_, .Lfunc_end95-_ZN7rocprim17ROCPRIM_400000_NS6detail17trampoline_kernelINS0_14default_configENS1_20scan_config_selectorIlEEZZNS1_9scan_implILNS1_25lookback_scan_determinismE0ELb0ELb0ES3_PlS8_lN6thrust23THRUST_200600_302600_NS4plusIvEElEEDaPvRmT3_T4_T5_mT6_P12ihipStream_tbENKUlT_T0_E_clISt17integral_constantIbLb0EESQ_EEDaSL_SM_EUlSL_E0_NS1_11comp_targetILNS1_3genE4ELNS1_11target_archE910ELNS1_3gpuE8ELNS1_3repE0EEENS1_30default_config_static_selectorELNS0_4arch9wavefront6targetE1EEEvT1_
                                        ; -- End function
	.set _ZN7rocprim17ROCPRIM_400000_NS6detail17trampoline_kernelINS0_14default_configENS1_20scan_config_selectorIlEEZZNS1_9scan_implILNS1_25lookback_scan_determinismE0ELb0ELb0ES3_PlS8_lN6thrust23THRUST_200600_302600_NS4plusIvEElEEDaPvRmT3_T4_T5_mT6_P12ihipStream_tbENKUlT_T0_E_clISt17integral_constantIbLb0EESQ_EEDaSL_SM_EUlSL_E0_NS1_11comp_targetILNS1_3genE4ELNS1_11target_archE910ELNS1_3gpuE8ELNS1_3repE0EEENS1_30default_config_static_selectorELNS0_4arch9wavefront6targetE1EEEvT1_.num_vgpr, 0
	.set _ZN7rocprim17ROCPRIM_400000_NS6detail17trampoline_kernelINS0_14default_configENS1_20scan_config_selectorIlEEZZNS1_9scan_implILNS1_25lookback_scan_determinismE0ELb0ELb0ES3_PlS8_lN6thrust23THRUST_200600_302600_NS4plusIvEElEEDaPvRmT3_T4_T5_mT6_P12ihipStream_tbENKUlT_T0_E_clISt17integral_constantIbLb0EESQ_EEDaSL_SM_EUlSL_E0_NS1_11comp_targetILNS1_3genE4ELNS1_11target_archE910ELNS1_3gpuE8ELNS1_3repE0EEENS1_30default_config_static_selectorELNS0_4arch9wavefront6targetE1EEEvT1_.num_agpr, 0
	.set _ZN7rocprim17ROCPRIM_400000_NS6detail17trampoline_kernelINS0_14default_configENS1_20scan_config_selectorIlEEZZNS1_9scan_implILNS1_25lookback_scan_determinismE0ELb0ELb0ES3_PlS8_lN6thrust23THRUST_200600_302600_NS4plusIvEElEEDaPvRmT3_T4_T5_mT6_P12ihipStream_tbENKUlT_T0_E_clISt17integral_constantIbLb0EESQ_EEDaSL_SM_EUlSL_E0_NS1_11comp_targetILNS1_3genE4ELNS1_11target_archE910ELNS1_3gpuE8ELNS1_3repE0EEENS1_30default_config_static_selectorELNS0_4arch9wavefront6targetE1EEEvT1_.numbered_sgpr, 0
	.set _ZN7rocprim17ROCPRIM_400000_NS6detail17trampoline_kernelINS0_14default_configENS1_20scan_config_selectorIlEEZZNS1_9scan_implILNS1_25lookback_scan_determinismE0ELb0ELb0ES3_PlS8_lN6thrust23THRUST_200600_302600_NS4plusIvEElEEDaPvRmT3_T4_T5_mT6_P12ihipStream_tbENKUlT_T0_E_clISt17integral_constantIbLb0EESQ_EEDaSL_SM_EUlSL_E0_NS1_11comp_targetILNS1_3genE4ELNS1_11target_archE910ELNS1_3gpuE8ELNS1_3repE0EEENS1_30default_config_static_selectorELNS0_4arch9wavefront6targetE1EEEvT1_.num_named_barrier, 0
	.set _ZN7rocprim17ROCPRIM_400000_NS6detail17trampoline_kernelINS0_14default_configENS1_20scan_config_selectorIlEEZZNS1_9scan_implILNS1_25lookback_scan_determinismE0ELb0ELb0ES3_PlS8_lN6thrust23THRUST_200600_302600_NS4plusIvEElEEDaPvRmT3_T4_T5_mT6_P12ihipStream_tbENKUlT_T0_E_clISt17integral_constantIbLb0EESQ_EEDaSL_SM_EUlSL_E0_NS1_11comp_targetILNS1_3genE4ELNS1_11target_archE910ELNS1_3gpuE8ELNS1_3repE0EEENS1_30default_config_static_selectorELNS0_4arch9wavefront6targetE1EEEvT1_.private_seg_size, 0
	.set _ZN7rocprim17ROCPRIM_400000_NS6detail17trampoline_kernelINS0_14default_configENS1_20scan_config_selectorIlEEZZNS1_9scan_implILNS1_25lookback_scan_determinismE0ELb0ELb0ES3_PlS8_lN6thrust23THRUST_200600_302600_NS4plusIvEElEEDaPvRmT3_T4_T5_mT6_P12ihipStream_tbENKUlT_T0_E_clISt17integral_constantIbLb0EESQ_EEDaSL_SM_EUlSL_E0_NS1_11comp_targetILNS1_3genE4ELNS1_11target_archE910ELNS1_3gpuE8ELNS1_3repE0EEENS1_30default_config_static_selectorELNS0_4arch9wavefront6targetE1EEEvT1_.uses_vcc, 0
	.set _ZN7rocprim17ROCPRIM_400000_NS6detail17trampoline_kernelINS0_14default_configENS1_20scan_config_selectorIlEEZZNS1_9scan_implILNS1_25lookback_scan_determinismE0ELb0ELb0ES3_PlS8_lN6thrust23THRUST_200600_302600_NS4plusIvEElEEDaPvRmT3_T4_T5_mT6_P12ihipStream_tbENKUlT_T0_E_clISt17integral_constantIbLb0EESQ_EEDaSL_SM_EUlSL_E0_NS1_11comp_targetILNS1_3genE4ELNS1_11target_archE910ELNS1_3gpuE8ELNS1_3repE0EEENS1_30default_config_static_selectorELNS0_4arch9wavefront6targetE1EEEvT1_.uses_flat_scratch, 0
	.set _ZN7rocprim17ROCPRIM_400000_NS6detail17trampoline_kernelINS0_14default_configENS1_20scan_config_selectorIlEEZZNS1_9scan_implILNS1_25lookback_scan_determinismE0ELb0ELb0ES3_PlS8_lN6thrust23THRUST_200600_302600_NS4plusIvEElEEDaPvRmT3_T4_T5_mT6_P12ihipStream_tbENKUlT_T0_E_clISt17integral_constantIbLb0EESQ_EEDaSL_SM_EUlSL_E0_NS1_11comp_targetILNS1_3genE4ELNS1_11target_archE910ELNS1_3gpuE8ELNS1_3repE0EEENS1_30default_config_static_selectorELNS0_4arch9wavefront6targetE1EEEvT1_.has_dyn_sized_stack, 0
	.set _ZN7rocprim17ROCPRIM_400000_NS6detail17trampoline_kernelINS0_14default_configENS1_20scan_config_selectorIlEEZZNS1_9scan_implILNS1_25lookback_scan_determinismE0ELb0ELb0ES3_PlS8_lN6thrust23THRUST_200600_302600_NS4plusIvEElEEDaPvRmT3_T4_T5_mT6_P12ihipStream_tbENKUlT_T0_E_clISt17integral_constantIbLb0EESQ_EEDaSL_SM_EUlSL_E0_NS1_11comp_targetILNS1_3genE4ELNS1_11target_archE910ELNS1_3gpuE8ELNS1_3repE0EEENS1_30default_config_static_selectorELNS0_4arch9wavefront6targetE1EEEvT1_.has_recursion, 0
	.set _ZN7rocprim17ROCPRIM_400000_NS6detail17trampoline_kernelINS0_14default_configENS1_20scan_config_selectorIlEEZZNS1_9scan_implILNS1_25lookback_scan_determinismE0ELb0ELb0ES3_PlS8_lN6thrust23THRUST_200600_302600_NS4plusIvEElEEDaPvRmT3_T4_T5_mT6_P12ihipStream_tbENKUlT_T0_E_clISt17integral_constantIbLb0EESQ_EEDaSL_SM_EUlSL_E0_NS1_11comp_targetILNS1_3genE4ELNS1_11target_archE910ELNS1_3gpuE8ELNS1_3repE0EEENS1_30default_config_static_selectorELNS0_4arch9wavefront6targetE1EEEvT1_.has_indirect_call, 0
	.section	.AMDGPU.csdata,"",@progbits
; Kernel info:
; codeLenInByte = 0
; TotalNumSgprs: 6
; NumVgprs: 0
; NumAgprs: 0
; TotalNumVgprs: 0
; ScratchSize: 0
; MemoryBound: 0
; FloatMode: 240
; IeeeMode: 1
; LDSByteSize: 0 bytes/workgroup (compile time only)
; SGPRBlocks: 0
; VGPRBlocks: 0
; NumSGPRsForWavesPerEU: 6
; NumVGPRsForWavesPerEU: 1
; AccumOffset: 4
; Occupancy: 8
; WaveLimiterHint : 0
; COMPUTE_PGM_RSRC2:SCRATCH_EN: 0
; COMPUTE_PGM_RSRC2:USER_SGPR: 2
; COMPUTE_PGM_RSRC2:TRAP_HANDLER: 0
; COMPUTE_PGM_RSRC2:TGID_X_EN: 1
; COMPUTE_PGM_RSRC2:TGID_Y_EN: 0
; COMPUTE_PGM_RSRC2:TGID_Z_EN: 0
; COMPUTE_PGM_RSRC2:TIDIG_COMP_CNT: 0
; COMPUTE_PGM_RSRC3_GFX90A:ACCUM_OFFSET: 0
; COMPUTE_PGM_RSRC3_GFX90A:TG_SPLIT: 0
	.section	.text._ZN7rocprim17ROCPRIM_400000_NS6detail17trampoline_kernelINS0_14default_configENS1_20scan_config_selectorIlEEZZNS1_9scan_implILNS1_25lookback_scan_determinismE0ELb0ELb0ES3_PlS8_lN6thrust23THRUST_200600_302600_NS4plusIvEElEEDaPvRmT3_T4_T5_mT6_P12ihipStream_tbENKUlT_T0_E_clISt17integral_constantIbLb0EESQ_EEDaSL_SM_EUlSL_E0_NS1_11comp_targetILNS1_3genE3ELNS1_11target_archE908ELNS1_3gpuE7ELNS1_3repE0EEENS1_30default_config_static_selectorELNS0_4arch9wavefront6targetE1EEEvT1_,"axG",@progbits,_ZN7rocprim17ROCPRIM_400000_NS6detail17trampoline_kernelINS0_14default_configENS1_20scan_config_selectorIlEEZZNS1_9scan_implILNS1_25lookback_scan_determinismE0ELb0ELb0ES3_PlS8_lN6thrust23THRUST_200600_302600_NS4plusIvEElEEDaPvRmT3_T4_T5_mT6_P12ihipStream_tbENKUlT_T0_E_clISt17integral_constantIbLb0EESQ_EEDaSL_SM_EUlSL_E0_NS1_11comp_targetILNS1_3genE3ELNS1_11target_archE908ELNS1_3gpuE7ELNS1_3repE0EEENS1_30default_config_static_selectorELNS0_4arch9wavefront6targetE1EEEvT1_,comdat
	.protected	_ZN7rocprim17ROCPRIM_400000_NS6detail17trampoline_kernelINS0_14default_configENS1_20scan_config_selectorIlEEZZNS1_9scan_implILNS1_25lookback_scan_determinismE0ELb0ELb0ES3_PlS8_lN6thrust23THRUST_200600_302600_NS4plusIvEElEEDaPvRmT3_T4_T5_mT6_P12ihipStream_tbENKUlT_T0_E_clISt17integral_constantIbLb0EESQ_EEDaSL_SM_EUlSL_E0_NS1_11comp_targetILNS1_3genE3ELNS1_11target_archE908ELNS1_3gpuE7ELNS1_3repE0EEENS1_30default_config_static_selectorELNS0_4arch9wavefront6targetE1EEEvT1_ ; -- Begin function _ZN7rocprim17ROCPRIM_400000_NS6detail17trampoline_kernelINS0_14default_configENS1_20scan_config_selectorIlEEZZNS1_9scan_implILNS1_25lookback_scan_determinismE0ELb0ELb0ES3_PlS8_lN6thrust23THRUST_200600_302600_NS4plusIvEElEEDaPvRmT3_T4_T5_mT6_P12ihipStream_tbENKUlT_T0_E_clISt17integral_constantIbLb0EESQ_EEDaSL_SM_EUlSL_E0_NS1_11comp_targetILNS1_3genE3ELNS1_11target_archE908ELNS1_3gpuE7ELNS1_3repE0EEENS1_30default_config_static_selectorELNS0_4arch9wavefront6targetE1EEEvT1_
	.globl	_ZN7rocprim17ROCPRIM_400000_NS6detail17trampoline_kernelINS0_14default_configENS1_20scan_config_selectorIlEEZZNS1_9scan_implILNS1_25lookback_scan_determinismE0ELb0ELb0ES3_PlS8_lN6thrust23THRUST_200600_302600_NS4plusIvEElEEDaPvRmT3_T4_T5_mT6_P12ihipStream_tbENKUlT_T0_E_clISt17integral_constantIbLb0EESQ_EEDaSL_SM_EUlSL_E0_NS1_11comp_targetILNS1_3genE3ELNS1_11target_archE908ELNS1_3gpuE7ELNS1_3repE0EEENS1_30default_config_static_selectorELNS0_4arch9wavefront6targetE1EEEvT1_
	.p2align	8
	.type	_ZN7rocprim17ROCPRIM_400000_NS6detail17trampoline_kernelINS0_14default_configENS1_20scan_config_selectorIlEEZZNS1_9scan_implILNS1_25lookback_scan_determinismE0ELb0ELb0ES3_PlS8_lN6thrust23THRUST_200600_302600_NS4plusIvEElEEDaPvRmT3_T4_T5_mT6_P12ihipStream_tbENKUlT_T0_E_clISt17integral_constantIbLb0EESQ_EEDaSL_SM_EUlSL_E0_NS1_11comp_targetILNS1_3genE3ELNS1_11target_archE908ELNS1_3gpuE7ELNS1_3repE0EEENS1_30default_config_static_selectorELNS0_4arch9wavefront6targetE1EEEvT1_,@function
_ZN7rocprim17ROCPRIM_400000_NS6detail17trampoline_kernelINS0_14default_configENS1_20scan_config_selectorIlEEZZNS1_9scan_implILNS1_25lookback_scan_determinismE0ELb0ELb0ES3_PlS8_lN6thrust23THRUST_200600_302600_NS4plusIvEElEEDaPvRmT3_T4_T5_mT6_P12ihipStream_tbENKUlT_T0_E_clISt17integral_constantIbLb0EESQ_EEDaSL_SM_EUlSL_E0_NS1_11comp_targetILNS1_3genE3ELNS1_11target_archE908ELNS1_3gpuE7ELNS1_3repE0EEENS1_30default_config_static_selectorELNS0_4arch9wavefront6targetE1EEEvT1_: ; @_ZN7rocprim17ROCPRIM_400000_NS6detail17trampoline_kernelINS0_14default_configENS1_20scan_config_selectorIlEEZZNS1_9scan_implILNS1_25lookback_scan_determinismE0ELb0ELb0ES3_PlS8_lN6thrust23THRUST_200600_302600_NS4plusIvEElEEDaPvRmT3_T4_T5_mT6_P12ihipStream_tbENKUlT_T0_E_clISt17integral_constantIbLb0EESQ_EEDaSL_SM_EUlSL_E0_NS1_11comp_targetILNS1_3genE3ELNS1_11target_archE908ELNS1_3gpuE7ELNS1_3repE0EEENS1_30default_config_static_selectorELNS0_4arch9wavefront6targetE1EEEvT1_
; %bb.0:
	.section	.rodata,"a",@progbits
	.p2align	6, 0x0
	.amdhsa_kernel _ZN7rocprim17ROCPRIM_400000_NS6detail17trampoline_kernelINS0_14default_configENS1_20scan_config_selectorIlEEZZNS1_9scan_implILNS1_25lookback_scan_determinismE0ELb0ELb0ES3_PlS8_lN6thrust23THRUST_200600_302600_NS4plusIvEElEEDaPvRmT3_T4_T5_mT6_P12ihipStream_tbENKUlT_T0_E_clISt17integral_constantIbLb0EESQ_EEDaSL_SM_EUlSL_E0_NS1_11comp_targetILNS1_3genE3ELNS1_11target_archE908ELNS1_3gpuE7ELNS1_3repE0EEENS1_30default_config_static_selectorELNS0_4arch9wavefront6targetE1EEEvT1_
		.amdhsa_group_segment_fixed_size 0
		.amdhsa_private_segment_fixed_size 0
		.amdhsa_kernarg_size 40
		.amdhsa_user_sgpr_count 2
		.amdhsa_user_sgpr_dispatch_ptr 0
		.amdhsa_user_sgpr_queue_ptr 0
		.amdhsa_user_sgpr_kernarg_segment_ptr 1
		.amdhsa_user_sgpr_dispatch_id 0
		.amdhsa_user_sgpr_kernarg_preload_length 0
		.amdhsa_user_sgpr_kernarg_preload_offset 0
		.amdhsa_user_sgpr_private_segment_size 0
		.amdhsa_uses_dynamic_stack 0
		.amdhsa_enable_private_segment 0
		.amdhsa_system_sgpr_workgroup_id_x 1
		.amdhsa_system_sgpr_workgroup_id_y 0
		.amdhsa_system_sgpr_workgroup_id_z 0
		.amdhsa_system_sgpr_workgroup_info 0
		.amdhsa_system_vgpr_workitem_id 0
		.amdhsa_next_free_vgpr 1
		.amdhsa_next_free_sgpr 0
		.amdhsa_accum_offset 4
		.amdhsa_reserve_vcc 0
		.amdhsa_float_round_mode_32 0
		.amdhsa_float_round_mode_16_64 0
		.amdhsa_float_denorm_mode_32 3
		.amdhsa_float_denorm_mode_16_64 3
		.amdhsa_dx10_clamp 1
		.amdhsa_ieee_mode 1
		.amdhsa_fp16_overflow 0
		.amdhsa_tg_split 0
		.amdhsa_exception_fp_ieee_invalid_op 0
		.amdhsa_exception_fp_denorm_src 0
		.amdhsa_exception_fp_ieee_div_zero 0
		.amdhsa_exception_fp_ieee_overflow 0
		.amdhsa_exception_fp_ieee_underflow 0
		.amdhsa_exception_fp_ieee_inexact 0
		.amdhsa_exception_int_div_zero 0
	.end_amdhsa_kernel
	.section	.text._ZN7rocprim17ROCPRIM_400000_NS6detail17trampoline_kernelINS0_14default_configENS1_20scan_config_selectorIlEEZZNS1_9scan_implILNS1_25lookback_scan_determinismE0ELb0ELb0ES3_PlS8_lN6thrust23THRUST_200600_302600_NS4plusIvEElEEDaPvRmT3_T4_T5_mT6_P12ihipStream_tbENKUlT_T0_E_clISt17integral_constantIbLb0EESQ_EEDaSL_SM_EUlSL_E0_NS1_11comp_targetILNS1_3genE3ELNS1_11target_archE908ELNS1_3gpuE7ELNS1_3repE0EEENS1_30default_config_static_selectorELNS0_4arch9wavefront6targetE1EEEvT1_,"axG",@progbits,_ZN7rocprim17ROCPRIM_400000_NS6detail17trampoline_kernelINS0_14default_configENS1_20scan_config_selectorIlEEZZNS1_9scan_implILNS1_25lookback_scan_determinismE0ELb0ELb0ES3_PlS8_lN6thrust23THRUST_200600_302600_NS4plusIvEElEEDaPvRmT3_T4_T5_mT6_P12ihipStream_tbENKUlT_T0_E_clISt17integral_constantIbLb0EESQ_EEDaSL_SM_EUlSL_E0_NS1_11comp_targetILNS1_3genE3ELNS1_11target_archE908ELNS1_3gpuE7ELNS1_3repE0EEENS1_30default_config_static_selectorELNS0_4arch9wavefront6targetE1EEEvT1_,comdat
.Lfunc_end96:
	.size	_ZN7rocprim17ROCPRIM_400000_NS6detail17trampoline_kernelINS0_14default_configENS1_20scan_config_selectorIlEEZZNS1_9scan_implILNS1_25lookback_scan_determinismE0ELb0ELb0ES3_PlS8_lN6thrust23THRUST_200600_302600_NS4plusIvEElEEDaPvRmT3_T4_T5_mT6_P12ihipStream_tbENKUlT_T0_E_clISt17integral_constantIbLb0EESQ_EEDaSL_SM_EUlSL_E0_NS1_11comp_targetILNS1_3genE3ELNS1_11target_archE908ELNS1_3gpuE7ELNS1_3repE0EEENS1_30default_config_static_selectorELNS0_4arch9wavefront6targetE1EEEvT1_, .Lfunc_end96-_ZN7rocprim17ROCPRIM_400000_NS6detail17trampoline_kernelINS0_14default_configENS1_20scan_config_selectorIlEEZZNS1_9scan_implILNS1_25lookback_scan_determinismE0ELb0ELb0ES3_PlS8_lN6thrust23THRUST_200600_302600_NS4plusIvEElEEDaPvRmT3_T4_T5_mT6_P12ihipStream_tbENKUlT_T0_E_clISt17integral_constantIbLb0EESQ_EEDaSL_SM_EUlSL_E0_NS1_11comp_targetILNS1_3genE3ELNS1_11target_archE908ELNS1_3gpuE7ELNS1_3repE0EEENS1_30default_config_static_selectorELNS0_4arch9wavefront6targetE1EEEvT1_
                                        ; -- End function
	.set _ZN7rocprim17ROCPRIM_400000_NS6detail17trampoline_kernelINS0_14default_configENS1_20scan_config_selectorIlEEZZNS1_9scan_implILNS1_25lookback_scan_determinismE0ELb0ELb0ES3_PlS8_lN6thrust23THRUST_200600_302600_NS4plusIvEElEEDaPvRmT3_T4_T5_mT6_P12ihipStream_tbENKUlT_T0_E_clISt17integral_constantIbLb0EESQ_EEDaSL_SM_EUlSL_E0_NS1_11comp_targetILNS1_3genE3ELNS1_11target_archE908ELNS1_3gpuE7ELNS1_3repE0EEENS1_30default_config_static_selectorELNS0_4arch9wavefront6targetE1EEEvT1_.num_vgpr, 0
	.set _ZN7rocprim17ROCPRIM_400000_NS6detail17trampoline_kernelINS0_14default_configENS1_20scan_config_selectorIlEEZZNS1_9scan_implILNS1_25lookback_scan_determinismE0ELb0ELb0ES3_PlS8_lN6thrust23THRUST_200600_302600_NS4plusIvEElEEDaPvRmT3_T4_T5_mT6_P12ihipStream_tbENKUlT_T0_E_clISt17integral_constantIbLb0EESQ_EEDaSL_SM_EUlSL_E0_NS1_11comp_targetILNS1_3genE3ELNS1_11target_archE908ELNS1_3gpuE7ELNS1_3repE0EEENS1_30default_config_static_selectorELNS0_4arch9wavefront6targetE1EEEvT1_.num_agpr, 0
	.set _ZN7rocprim17ROCPRIM_400000_NS6detail17trampoline_kernelINS0_14default_configENS1_20scan_config_selectorIlEEZZNS1_9scan_implILNS1_25lookback_scan_determinismE0ELb0ELb0ES3_PlS8_lN6thrust23THRUST_200600_302600_NS4plusIvEElEEDaPvRmT3_T4_T5_mT6_P12ihipStream_tbENKUlT_T0_E_clISt17integral_constantIbLb0EESQ_EEDaSL_SM_EUlSL_E0_NS1_11comp_targetILNS1_3genE3ELNS1_11target_archE908ELNS1_3gpuE7ELNS1_3repE0EEENS1_30default_config_static_selectorELNS0_4arch9wavefront6targetE1EEEvT1_.numbered_sgpr, 0
	.set _ZN7rocprim17ROCPRIM_400000_NS6detail17trampoline_kernelINS0_14default_configENS1_20scan_config_selectorIlEEZZNS1_9scan_implILNS1_25lookback_scan_determinismE0ELb0ELb0ES3_PlS8_lN6thrust23THRUST_200600_302600_NS4plusIvEElEEDaPvRmT3_T4_T5_mT6_P12ihipStream_tbENKUlT_T0_E_clISt17integral_constantIbLb0EESQ_EEDaSL_SM_EUlSL_E0_NS1_11comp_targetILNS1_3genE3ELNS1_11target_archE908ELNS1_3gpuE7ELNS1_3repE0EEENS1_30default_config_static_selectorELNS0_4arch9wavefront6targetE1EEEvT1_.num_named_barrier, 0
	.set _ZN7rocprim17ROCPRIM_400000_NS6detail17trampoline_kernelINS0_14default_configENS1_20scan_config_selectorIlEEZZNS1_9scan_implILNS1_25lookback_scan_determinismE0ELb0ELb0ES3_PlS8_lN6thrust23THRUST_200600_302600_NS4plusIvEElEEDaPvRmT3_T4_T5_mT6_P12ihipStream_tbENKUlT_T0_E_clISt17integral_constantIbLb0EESQ_EEDaSL_SM_EUlSL_E0_NS1_11comp_targetILNS1_3genE3ELNS1_11target_archE908ELNS1_3gpuE7ELNS1_3repE0EEENS1_30default_config_static_selectorELNS0_4arch9wavefront6targetE1EEEvT1_.private_seg_size, 0
	.set _ZN7rocprim17ROCPRIM_400000_NS6detail17trampoline_kernelINS0_14default_configENS1_20scan_config_selectorIlEEZZNS1_9scan_implILNS1_25lookback_scan_determinismE0ELb0ELb0ES3_PlS8_lN6thrust23THRUST_200600_302600_NS4plusIvEElEEDaPvRmT3_T4_T5_mT6_P12ihipStream_tbENKUlT_T0_E_clISt17integral_constantIbLb0EESQ_EEDaSL_SM_EUlSL_E0_NS1_11comp_targetILNS1_3genE3ELNS1_11target_archE908ELNS1_3gpuE7ELNS1_3repE0EEENS1_30default_config_static_selectorELNS0_4arch9wavefront6targetE1EEEvT1_.uses_vcc, 0
	.set _ZN7rocprim17ROCPRIM_400000_NS6detail17trampoline_kernelINS0_14default_configENS1_20scan_config_selectorIlEEZZNS1_9scan_implILNS1_25lookback_scan_determinismE0ELb0ELb0ES3_PlS8_lN6thrust23THRUST_200600_302600_NS4plusIvEElEEDaPvRmT3_T4_T5_mT6_P12ihipStream_tbENKUlT_T0_E_clISt17integral_constantIbLb0EESQ_EEDaSL_SM_EUlSL_E0_NS1_11comp_targetILNS1_3genE3ELNS1_11target_archE908ELNS1_3gpuE7ELNS1_3repE0EEENS1_30default_config_static_selectorELNS0_4arch9wavefront6targetE1EEEvT1_.uses_flat_scratch, 0
	.set _ZN7rocprim17ROCPRIM_400000_NS6detail17trampoline_kernelINS0_14default_configENS1_20scan_config_selectorIlEEZZNS1_9scan_implILNS1_25lookback_scan_determinismE0ELb0ELb0ES3_PlS8_lN6thrust23THRUST_200600_302600_NS4plusIvEElEEDaPvRmT3_T4_T5_mT6_P12ihipStream_tbENKUlT_T0_E_clISt17integral_constantIbLb0EESQ_EEDaSL_SM_EUlSL_E0_NS1_11comp_targetILNS1_3genE3ELNS1_11target_archE908ELNS1_3gpuE7ELNS1_3repE0EEENS1_30default_config_static_selectorELNS0_4arch9wavefront6targetE1EEEvT1_.has_dyn_sized_stack, 0
	.set _ZN7rocprim17ROCPRIM_400000_NS6detail17trampoline_kernelINS0_14default_configENS1_20scan_config_selectorIlEEZZNS1_9scan_implILNS1_25lookback_scan_determinismE0ELb0ELb0ES3_PlS8_lN6thrust23THRUST_200600_302600_NS4plusIvEElEEDaPvRmT3_T4_T5_mT6_P12ihipStream_tbENKUlT_T0_E_clISt17integral_constantIbLb0EESQ_EEDaSL_SM_EUlSL_E0_NS1_11comp_targetILNS1_3genE3ELNS1_11target_archE908ELNS1_3gpuE7ELNS1_3repE0EEENS1_30default_config_static_selectorELNS0_4arch9wavefront6targetE1EEEvT1_.has_recursion, 0
	.set _ZN7rocprim17ROCPRIM_400000_NS6detail17trampoline_kernelINS0_14default_configENS1_20scan_config_selectorIlEEZZNS1_9scan_implILNS1_25lookback_scan_determinismE0ELb0ELb0ES3_PlS8_lN6thrust23THRUST_200600_302600_NS4plusIvEElEEDaPvRmT3_T4_T5_mT6_P12ihipStream_tbENKUlT_T0_E_clISt17integral_constantIbLb0EESQ_EEDaSL_SM_EUlSL_E0_NS1_11comp_targetILNS1_3genE3ELNS1_11target_archE908ELNS1_3gpuE7ELNS1_3repE0EEENS1_30default_config_static_selectorELNS0_4arch9wavefront6targetE1EEEvT1_.has_indirect_call, 0
	.section	.AMDGPU.csdata,"",@progbits
; Kernel info:
; codeLenInByte = 0
; TotalNumSgprs: 6
; NumVgprs: 0
; NumAgprs: 0
; TotalNumVgprs: 0
; ScratchSize: 0
; MemoryBound: 0
; FloatMode: 240
; IeeeMode: 1
; LDSByteSize: 0 bytes/workgroup (compile time only)
; SGPRBlocks: 0
; VGPRBlocks: 0
; NumSGPRsForWavesPerEU: 6
; NumVGPRsForWavesPerEU: 1
; AccumOffset: 4
; Occupancy: 8
; WaveLimiterHint : 0
; COMPUTE_PGM_RSRC2:SCRATCH_EN: 0
; COMPUTE_PGM_RSRC2:USER_SGPR: 2
; COMPUTE_PGM_RSRC2:TRAP_HANDLER: 0
; COMPUTE_PGM_RSRC2:TGID_X_EN: 1
; COMPUTE_PGM_RSRC2:TGID_Y_EN: 0
; COMPUTE_PGM_RSRC2:TGID_Z_EN: 0
; COMPUTE_PGM_RSRC2:TIDIG_COMP_CNT: 0
; COMPUTE_PGM_RSRC3_GFX90A:ACCUM_OFFSET: 0
; COMPUTE_PGM_RSRC3_GFX90A:TG_SPLIT: 0
	.section	.text._ZN7rocprim17ROCPRIM_400000_NS6detail17trampoline_kernelINS0_14default_configENS1_20scan_config_selectorIlEEZZNS1_9scan_implILNS1_25lookback_scan_determinismE0ELb0ELb0ES3_PlS8_lN6thrust23THRUST_200600_302600_NS4plusIvEElEEDaPvRmT3_T4_T5_mT6_P12ihipStream_tbENKUlT_T0_E_clISt17integral_constantIbLb0EESQ_EEDaSL_SM_EUlSL_E0_NS1_11comp_targetILNS1_3genE2ELNS1_11target_archE906ELNS1_3gpuE6ELNS1_3repE0EEENS1_30default_config_static_selectorELNS0_4arch9wavefront6targetE1EEEvT1_,"axG",@progbits,_ZN7rocprim17ROCPRIM_400000_NS6detail17trampoline_kernelINS0_14default_configENS1_20scan_config_selectorIlEEZZNS1_9scan_implILNS1_25lookback_scan_determinismE0ELb0ELb0ES3_PlS8_lN6thrust23THRUST_200600_302600_NS4plusIvEElEEDaPvRmT3_T4_T5_mT6_P12ihipStream_tbENKUlT_T0_E_clISt17integral_constantIbLb0EESQ_EEDaSL_SM_EUlSL_E0_NS1_11comp_targetILNS1_3genE2ELNS1_11target_archE906ELNS1_3gpuE6ELNS1_3repE0EEENS1_30default_config_static_selectorELNS0_4arch9wavefront6targetE1EEEvT1_,comdat
	.protected	_ZN7rocprim17ROCPRIM_400000_NS6detail17trampoline_kernelINS0_14default_configENS1_20scan_config_selectorIlEEZZNS1_9scan_implILNS1_25lookback_scan_determinismE0ELb0ELb0ES3_PlS8_lN6thrust23THRUST_200600_302600_NS4plusIvEElEEDaPvRmT3_T4_T5_mT6_P12ihipStream_tbENKUlT_T0_E_clISt17integral_constantIbLb0EESQ_EEDaSL_SM_EUlSL_E0_NS1_11comp_targetILNS1_3genE2ELNS1_11target_archE906ELNS1_3gpuE6ELNS1_3repE0EEENS1_30default_config_static_selectorELNS0_4arch9wavefront6targetE1EEEvT1_ ; -- Begin function _ZN7rocprim17ROCPRIM_400000_NS6detail17trampoline_kernelINS0_14default_configENS1_20scan_config_selectorIlEEZZNS1_9scan_implILNS1_25lookback_scan_determinismE0ELb0ELb0ES3_PlS8_lN6thrust23THRUST_200600_302600_NS4plusIvEElEEDaPvRmT3_T4_T5_mT6_P12ihipStream_tbENKUlT_T0_E_clISt17integral_constantIbLb0EESQ_EEDaSL_SM_EUlSL_E0_NS1_11comp_targetILNS1_3genE2ELNS1_11target_archE906ELNS1_3gpuE6ELNS1_3repE0EEENS1_30default_config_static_selectorELNS0_4arch9wavefront6targetE1EEEvT1_
	.globl	_ZN7rocprim17ROCPRIM_400000_NS6detail17trampoline_kernelINS0_14default_configENS1_20scan_config_selectorIlEEZZNS1_9scan_implILNS1_25lookback_scan_determinismE0ELb0ELb0ES3_PlS8_lN6thrust23THRUST_200600_302600_NS4plusIvEElEEDaPvRmT3_T4_T5_mT6_P12ihipStream_tbENKUlT_T0_E_clISt17integral_constantIbLb0EESQ_EEDaSL_SM_EUlSL_E0_NS1_11comp_targetILNS1_3genE2ELNS1_11target_archE906ELNS1_3gpuE6ELNS1_3repE0EEENS1_30default_config_static_selectorELNS0_4arch9wavefront6targetE1EEEvT1_
	.p2align	8
	.type	_ZN7rocprim17ROCPRIM_400000_NS6detail17trampoline_kernelINS0_14default_configENS1_20scan_config_selectorIlEEZZNS1_9scan_implILNS1_25lookback_scan_determinismE0ELb0ELb0ES3_PlS8_lN6thrust23THRUST_200600_302600_NS4plusIvEElEEDaPvRmT3_T4_T5_mT6_P12ihipStream_tbENKUlT_T0_E_clISt17integral_constantIbLb0EESQ_EEDaSL_SM_EUlSL_E0_NS1_11comp_targetILNS1_3genE2ELNS1_11target_archE906ELNS1_3gpuE6ELNS1_3repE0EEENS1_30default_config_static_selectorELNS0_4arch9wavefront6targetE1EEEvT1_,@function
_ZN7rocprim17ROCPRIM_400000_NS6detail17trampoline_kernelINS0_14default_configENS1_20scan_config_selectorIlEEZZNS1_9scan_implILNS1_25lookback_scan_determinismE0ELb0ELb0ES3_PlS8_lN6thrust23THRUST_200600_302600_NS4plusIvEElEEDaPvRmT3_T4_T5_mT6_P12ihipStream_tbENKUlT_T0_E_clISt17integral_constantIbLb0EESQ_EEDaSL_SM_EUlSL_E0_NS1_11comp_targetILNS1_3genE2ELNS1_11target_archE906ELNS1_3gpuE6ELNS1_3repE0EEENS1_30default_config_static_selectorELNS0_4arch9wavefront6targetE1EEEvT1_: ; @_ZN7rocprim17ROCPRIM_400000_NS6detail17trampoline_kernelINS0_14default_configENS1_20scan_config_selectorIlEEZZNS1_9scan_implILNS1_25lookback_scan_determinismE0ELb0ELb0ES3_PlS8_lN6thrust23THRUST_200600_302600_NS4plusIvEElEEDaPvRmT3_T4_T5_mT6_P12ihipStream_tbENKUlT_T0_E_clISt17integral_constantIbLb0EESQ_EEDaSL_SM_EUlSL_E0_NS1_11comp_targetILNS1_3genE2ELNS1_11target_archE906ELNS1_3gpuE6ELNS1_3repE0EEENS1_30default_config_static_selectorELNS0_4arch9wavefront6targetE1EEEvT1_
; %bb.0:
	.section	.rodata,"a",@progbits
	.p2align	6, 0x0
	.amdhsa_kernel _ZN7rocprim17ROCPRIM_400000_NS6detail17trampoline_kernelINS0_14default_configENS1_20scan_config_selectorIlEEZZNS1_9scan_implILNS1_25lookback_scan_determinismE0ELb0ELb0ES3_PlS8_lN6thrust23THRUST_200600_302600_NS4plusIvEElEEDaPvRmT3_T4_T5_mT6_P12ihipStream_tbENKUlT_T0_E_clISt17integral_constantIbLb0EESQ_EEDaSL_SM_EUlSL_E0_NS1_11comp_targetILNS1_3genE2ELNS1_11target_archE906ELNS1_3gpuE6ELNS1_3repE0EEENS1_30default_config_static_selectorELNS0_4arch9wavefront6targetE1EEEvT1_
		.amdhsa_group_segment_fixed_size 0
		.amdhsa_private_segment_fixed_size 0
		.amdhsa_kernarg_size 40
		.amdhsa_user_sgpr_count 2
		.amdhsa_user_sgpr_dispatch_ptr 0
		.amdhsa_user_sgpr_queue_ptr 0
		.amdhsa_user_sgpr_kernarg_segment_ptr 1
		.amdhsa_user_sgpr_dispatch_id 0
		.amdhsa_user_sgpr_kernarg_preload_length 0
		.amdhsa_user_sgpr_kernarg_preload_offset 0
		.amdhsa_user_sgpr_private_segment_size 0
		.amdhsa_uses_dynamic_stack 0
		.amdhsa_enable_private_segment 0
		.amdhsa_system_sgpr_workgroup_id_x 1
		.amdhsa_system_sgpr_workgroup_id_y 0
		.amdhsa_system_sgpr_workgroup_id_z 0
		.amdhsa_system_sgpr_workgroup_info 0
		.amdhsa_system_vgpr_workitem_id 0
		.amdhsa_next_free_vgpr 1
		.amdhsa_next_free_sgpr 0
		.amdhsa_accum_offset 4
		.amdhsa_reserve_vcc 0
		.amdhsa_float_round_mode_32 0
		.amdhsa_float_round_mode_16_64 0
		.amdhsa_float_denorm_mode_32 3
		.amdhsa_float_denorm_mode_16_64 3
		.amdhsa_dx10_clamp 1
		.amdhsa_ieee_mode 1
		.amdhsa_fp16_overflow 0
		.amdhsa_tg_split 0
		.amdhsa_exception_fp_ieee_invalid_op 0
		.amdhsa_exception_fp_denorm_src 0
		.amdhsa_exception_fp_ieee_div_zero 0
		.amdhsa_exception_fp_ieee_overflow 0
		.amdhsa_exception_fp_ieee_underflow 0
		.amdhsa_exception_fp_ieee_inexact 0
		.amdhsa_exception_int_div_zero 0
	.end_amdhsa_kernel
	.section	.text._ZN7rocprim17ROCPRIM_400000_NS6detail17trampoline_kernelINS0_14default_configENS1_20scan_config_selectorIlEEZZNS1_9scan_implILNS1_25lookback_scan_determinismE0ELb0ELb0ES3_PlS8_lN6thrust23THRUST_200600_302600_NS4plusIvEElEEDaPvRmT3_T4_T5_mT6_P12ihipStream_tbENKUlT_T0_E_clISt17integral_constantIbLb0EESQ_EEDaSL_SM_EUlSL_E0_NS1_11comp_targetILNS1_3genE2ELNS1_11target_archE906ELNS1_3gpuE6ELNS1_3repE0EEENS1_30default_config_static_selectorELNS0_4arch9wavefront6targetE1EEEvT1_,"axG",@progbits,_ZN7rocprim17ROCPRIM_400000_NS6detail17trampoline_kernelINS0_14default_configENS1_20scan_config_selectorIlEEZZNS1_9scan_implILNS1_25lookback_scan_determinismE0ELb0ELb0ES3_PlS8_lN6thrust23THRUST_200600_302600_NS4plusIvEElEEDaPvRmT3_T4_T5_mT6_P12ihipStream_tbENKUlT_T0_E_clISt17integral_constantIbLb0EESQ_EEDaSL_SM_EUlSL_E0_NS1_11comp_targetILNS1_3genE2ELNS1_11target_archE906ELNS1_3gpuE6ELNS1_3repE0EEENS1_30default_config_static_selectorELNS0_4arch9wavefront6targetE1EEEvT1_,comdat
.Lfunc_end97:
	.size	_ZN7rocprim17ROCPRIM_400000_NS6detail17trampoline_kernelINS0_14default_configENS1_20scan_config_selectorIlEEZZNS1_9scan_implILNS1_25lookback_scan_determinismE0ELb0ELb0ES3_PlS8_lN6thrust23THRUST_200600_302600_NS4plusIvEElEEDaPvRmT3_T4_T5_mT6_P12ihipStream_tbENKUlT_T0_E_clISt17integral_constantIbLb0EESQ_EEDaSL_SM_EUlSL_E0_NS1_11comp_targetILNS1_3genE2ELNS1_11target_archE906ELNS1_3gpuE6ELNS1_3repE0EEENS1_30default_config_static_selectorELNS0_4arch9wavefront6targetE1EEEvT1_, .Lfunc_end97-_ZN7rocprim17ROCPRIM_400000_NS6detail17trampoline_kernelINS0_14default_configENS1_20scan_config_selectorIlEEZZNS1_9scan_implILNS1_25lookback_scan_determinismE0ELb0ELb0ES3_PlS8_lN6thrust23THRUST_200600_302600_NS4plusIvEElEEDaPvRmT3_T4_T5_mT6_P12ihipStream_tbENKUlT_T0_E_clISt17integral_constantIbLb0EESQ_EEDaSL_SM_EUlSL_E0_NS1_11comp_targetILNS1_3genE2ELNS1_11target_archE906ELNS1_3gpuE6ELNS1_3repE0EEENS1_30default_config_static_selectorELNS0_4arch9wavefront6targetE1EEEvT1_
                                        ; -- End function
	.set _ZN7rocprim17ROCPRIM_400000_NS6detail17trampoline_kernelINS0_14default_configENS1_20scan_config_selectorIlEEZZNS1_9scan_implILNS1_25lookback_scan_determinismE0ELb0ELb0ES3_PlS8_lN6thrust23THRUST_200600_302600_NS4plusIvEElEEDaPvRmT3_T4_T5_mT6_P12ihipStream_tbENKUlT_T0_E_clISt17integral_constantIbLb0EESQ_EEDaSL_SM_EUlSL_E0_NS1_11comp_targetILNS1_3genE2ELNS1_11target_archE906ELNS1_3gpuE6ELNS1_3repE0EEENS1_30default_config_static_selectorELNS0_4arch9wavefront6targetE1EEEvT1_.num_vgpr, 0
	.set _ZN7rocprim17ROCPRIM_400000_NS6detail17trampoline_kernelINS0_14default_configENS1_20scan_config_selectorIlEEZZNS1_9scan_implILNS1_25lookback_scan_determinismE0ELb0ELb0ES3_PlS8_lN6thrust23THRUST_200600_302600_NS4plusIvEElEEDaPvRmT3_T4_T5_mT6_P12ihipStream_tbENKUlT_T0_E_clISt17integral_constantIbLb0EESQ_EEDaSL_SM_EUlSL_E0_NS1_11comp_targetILNS1_3genE2ELNS1_11target_archE906ELNS1_3gpuE6ELNS1_3repE0EEENS1_30default_config_static_selectorELNS0_4arch9wavefront6targetE1EEEvT1_.num_agpr, 0
	.set _ZN7rocprim17ROCPRIM_400000_NS6detail17trampoline_kernelINS0_14default_configENS1_20scan_config_selectorIlEEZZNS1_9scan_implILNS1_25lookback_scan_determinismE0ELb0ELb0ES3_PlS8_lN6thrust23THRUST_200600_302600_NS4plusIvEElEEDaPvRmT3_T4_T5_mT6_P12ihipStream_tbENKUlT_T0_E_clISt17integral_constantIbLb0EESQ_EEDaSL_SM_EUlSL_E0_NS1_11comp_targetILNS1_3genE2ELNS1_11target_archE906ELNS1_3gpuE6ELNS1_3repE0EEENS1_30default_config_static_selectorELNS0_4arch9wavefront6targetE1EEEvT1_.numbered_sgpr, 0
	.set _ZN7rocprim17ROCPRIM_400000_NS6detail17trampoline_kernelINS0_14default_configENS1_20scan_config_selectorIlEEZZNS1_9scan_implILNS1_25lookback_scan_determinismE0ELb0ELb0ES3_PlS8_lN6thrust23THRUST_200600_302600_NS4plusIvEElEEDaPvRmT3_T4_T5_mT6_P12ihipStream_tbENKUlT_T0_E_clISt17integral_constantIbLb0EESQ_EEDaSL_SM_EUlSL_E0_NS1_11comp_targetILNS1_3genE2ELNS1_11target_archE906ELNS1_3gpuE6ELNS1_3repE0EEENS1_30default_config_static_selectorELNS0_4arch9wavefront6targetE1EEEvT1_.num_named_barrier, 0
	.set _ZN7rocprim17ROCPRIM_400000_NS6detail17trampoline_kernelINS0_14default_configENS1_20scan_config_selectorIlEEZZNS1_9scan_implILNS1_25lookback_scan_determinismE0ELb0ELb0ES3_PlS8_lN6thrust23THRUST_200600_302600_NS4plusIvEElEEDaPvRmT3_T4_T5_mT6_P12ihipStream_tbENKUlT_T0_E_clISt17integral_constantIbLb0EESQ_EEDaSL_SM_EUlSL_E0_NS1_11comp_targetILNS1_3genE2ELNS1_11target_archE906ELNS1_3gpuE6ELNS1_3repE0EEENS1_30default_config_static_selectorELNS0_4arch9wavefront6targetE1EEEvT1_.private_seg_size, 0
	.set _ZN7rocprim17ROCPRIM_400000_NS6detail17trampoline_kernelINS0_14default_configENS1_20scan_config_selectorIlEEZZNS1_9scan_implILNS1_25lookback_scan_determinismE0ELb0ELb0ES3_PlS8_lN6thrust23THRUST_200600_302600_NS4plusIvEElEEDaPvRmT3_T4_T5_mT6_P12ihipStream_tbENKUlT_T0_E_clISt17integral_constantIbLb0EESQ_EEDaSL_SM_EUlSL_E0_NS1_11comp_targetILNS1_3genE2ELNS1_11target_archE906ELNS1_3gpuE6ELNS1_3repE0EEENS1_30default_config_static_selectorELNS0_4arch9wavefront6targetE1EEEvT1_.uses_vcc, 0
	.set _ZN7rocprim17ROCPRIM_400000_NS6detail17trampoline_kernelINS0_14default_configENS1_20scan_config_selectorIlEEZZNS1_9scan_implILNS1_25lookback_scan_determinismE0ELb0ELb0ES3_PlS8_lN6thrust23THRUST_200600_302600_NS4plusIvEElEEDaPvRmT3_T4_T5_mT6_P12ihipStream_tbENKUlT_T0_E_clISt17integral_constantIbLb0EESQ_EEDaSL_SM_EUlSL_E0_NS1_11comp_targetILNS1_3genE2ELNS1_11target_archE906ELNS1_3gpuE6ELNS1_3repE0EEENS1_30default_config_static_selectorELNS0_4arch9wavefront6targetE1EEEvT1_.uses_flat_scratch, 0
	.set _ZN7rocprim17ROCPRIM_400000_NS6detail17trampoline_kernelINS0_14default_configENS1_20scan_config_selectorIlEEZZNS1_9scan_implILNS1_25lookback_scan_determinismE0ELb0ELb0ES3_PlS8_lN6thrust23THRUST_200600_302600_NS4plusIvEElEEDaPvRmT3_T4_T5_mT6_P12ihipStream_tbENKUlT_T0_E_clISt17integral_constantIbLb0EESQ_EEDaSL_SM_EUlSL_E0_NS1_11comp_targetILNS1_3genE2ELNS1_11target_archE906ELNS1_3gpuE6ELNS1_3repE0EEENS1_30default_config_static_selectorELNS0_4arch9wavefront6targetE1EEEvT1_.has_dyn_sized_stack, 0
	.set _ZN7rocprim17ROCPRIM_400000_NS6detail17trampoline_kernelINS0_14default_configENS1_20scan_config_selectorIlEEZZNS1_9scan_implILNS1_25lookback_scan_determinismE0ELb0ELb0ES3_PlS8_lN6thrust23THRUST_200600_302600_NS4plusIvEElEEDaPvRmT3_T4_T5_mT6_P12ihipStream_tbENKUlT_T0_E_clISt17integral_constantIbLb0EESQ_EEDaSL_SM_EUlSL_E0_NS1_11comp_targetILNS1_3genE2ELNS1_11target_archE906ELNS1_3gpuE6ELNS1_3repE0EEENS1_30default_config_static_selectorELNS0_4arch9wavefront6targetE1EEEvT1_.has_recursion, 0
	.set _ZN7rocprim17ROCPRIM_400000_NS6detail17trampoline_kernelINS0_14default_configENS1_20scan_config_selectorIlEEZZNS1_9scan_implILNS1_25lookback_scan_determinismE0ELb0ELb0ES3_PlS8_lN6thrust23THRUST_200600_302600_NS4plusIvEElEEDaPvRmT3_T4_T5_mT6_P12ihipStream_tbENKUlT_T0_E_clISt17integral_constantIbLb0EESQ_EEDaSL_SM_EUlSL_E0_NS1_11comp_targetILNS1_3genE2ELNS1_11target_archE906ELNS1_3gpuE6ELNS1_3repE0EEENS1_30default_config_static_selectorELNS0_4arch9wavefront6targetE1EEEvT1_.has_indirect_call, 0
	.section	.AMDGPU.csdata,"",@progbits
; Kernel info:
; codeLenInByte = 0
; TotalNumSgprs: 6
; NumVgprs: 0
; NumAgprs: 0
; TotalNumVgprs: 0
; ScratchSize: 0
; MemoryBound: 0
; FloatMode: 240
; IeeeMode: 1
; LDSByteSize: 0 bytes/workgroup (compile time only)
; SGPRBlocks: 0
; VGPRBlocks: 0
; NumSGPRsForWavesPerEU: 6
; NumVGPRsForWavesPerEU: 1
; AccumOffset: 4
; Occupancy: 8
; WaveLimiterHint : 0
; COMPUTE_PGM_RSRC2:SCRATCH_EN: 0
; COMPUTE_PGM_RSRC2:USER_SGPR: 2
; COMPUTE_PGM_RSRC2:TRAP_HANDLER: 0
; COMPUTE_PGM_RSRC2:TGID_X_EN: 1
; COMPUTE_PGM_RSRC2:TGID_Y_EN: 0
; COMPUTE_PGM_RSRC2:TGID_Z_EN: 0
; COMPUTE_PGM_RSRC2:TIDIG_COMP_CNT: 0
; COMPUTE_PGM_RSRC3_GFX90A:ACCUM_OFFSET: 0
; COMPUTE_PGM_RSRC3_GFX90A:TG_SPLIT: 0
	.section	.text._ZN7rocprim17ROCPRIM_400000_NS6detail17trampoline_kernelINS0_14default_configENS1_20scan_config_selectorIlEEZZNS1_9scan_implILNS1_25lookback_scan_determinismE0ELb0ELb0ES3_PlS8_lN6thrust23THRUST_200600_302600_NS4plusIvEElEEDaPvRmT3_T4_T5_mT6_P12ihipStream_tbENKUlT_T0_E_clISt17integral_constantIbLb0EESQ_EEDaSL_SM_EUlSL_E0_NS1_11comp_targetILNS1_3genE10ELNS1_11target_archE1201ELNS1_3gpuE5ELNS1_3repE0EEENS1_30default_config_static_selectorELNS0_4arch9wavefront6targetE1EEEvT1_,"axG",@progbits,_ZN7rocprim17ROCPRIM_400000_NS6detail17trampoline_kernelINS0_14default_configENS1_20scan_config_selectorIlEEZZNS1_9scan_implILNS1_25lookback_scan_determinismE0ELb0ELb0ES3_PlS8_lN6thrust23THRUST_200600_302600_NS4plusIvEElEEDaPvRmT3_T4_T5_mT6_P12ihipStream_tbENKUlT_T0_E_clISt17integral_constantIbLb0EESQ_EEDaSL_SM_EUlSL_E0_NS1_11comp_targetILNS1_3genE10ELNS1_11target_archE1201ELNS1_3gpuE5ELNS1_3repE0EEENS1_30default_config_static_selectorELNS0_4arch9wavefront6targetE1EEEvT1_,comdat
	.protected	_ZN7rocprim17ROCPRIM_400000_NS6detail17trampoline_kernelINS0_14default_configENS1_20scan_config_selectorIlEEZZNS1_9scan_implILNS1_25lookback_scan_determinismE0ELb0ELb0ES3_PlS8_lN6thrust23THRUST_200600_302600_NS4plusIvEElEEDaPvRmT3_T4_T5_mT6_P12ihipStream_tbENKUlT_T0_E_clISt17integral_constantIbLb0EESQ_EEDaSL_SM_EUlSL_E0_NS1_11comp_targetILNS1_3genE10ELNS1_11target_archE1201ELNS1_3gpuE5ELNS1_3repE0EEENS1_30default_config_static_selectorELNS0_4arch9wavefront6targetE1EEEvT1_ ; -- Begin function _ZN7rocprim17ROCPRIM_400000_NS6detail17trampoline_kernelINS0_14default_configENS1_20scan_config_selectorIlEEZZNS1_9scan_implILNS1_25lookback_scan_determinismE0ELb0ELb0ES3_PlS8_lN6thrust23THRUST_200600_302600_NS4plusIvEElEEDaPvRmT3_T4_T5_mT6_P12ihipStream_tbENKUlT_T0_E_clISt17integral_constantIbLb0EESQ_EEDaSL_SM_EUlSL_E0_NS1_11comp_targetILNS1_3genE10ELNS1_11target_archE1201ELNS1_3gpuE5ELNS1_3repE0EEENS1_30default_config_static_selectorELNS0_4arch9wavefront6targetE1EEEvT1_
	.globl	_ZN7rocprim17ROCPRIM_400000_NS6detail17trampoline_kernelINS0_14default_configENS1_20scan_config_selectorIlEEZZNS1_9scan_implILNS1_25lookback_scan_determinismE0ELb0ELb0ES3_PlS8_lN6thrust23THRUST_200600_302600_NS4plusIvEElEEDaPvRmT3_T4_T5_mT6_P12ihipStream_tbENKUlT_T0_E_clISt17integral_constantIbLb0EESQ_EEDaSL_SM_EUlSL_E0_NS1_11comp_targetILNS1_3genE10ELNS1_11target_archE1201ELNS1_3gpuE5ELNS1_3repE0EEENS1_30default_config_static_selectorELNS0_4arch9wavefront6targetE1EEEvT1_
	.p2align	8
	.type	_ZN7rocprim17ROCPRIM_400000_NS6detail17trampoline_kernelINS0_14default_configENS1_20scan_config_selectorIlEEZZNS1_9scan_implILNS1_25lookback_scan_determinismE0ELb0ELb0ES3_PlS8_lN6thrust23THRUST_200600_302600_NS4plusIvEElEEDaPvRmT3_T4_T5_mT6_P12ihipStream_tbENKUlT_T0_E_clISt17integral_constantIbLb0EESQ_EEDaSL_SM_EUlSL_E0_NS1_11comp_targetILNS1_3genE10ELNS1_11target_archE1201ELNS1_3gpuE5ELNS1_3repE0EEENS1_30default_config_static_selectorELNS0_4arch9wavefront6targetE1EEEvT1_,@function
_ZN7rocprim17ROCPRIM_400000_NS6detail17trampoline_kernelINS0_14default_configENS1_20scan_config_selectorIlEEZZNS1_9scan_implILNS1_25lookback_scan_determinismE0ELb0ELb0ES3_PlS8_lN6thrust23THRUST_200600_302600_NS4plusIvEElEEDaPvRmT3_T4_T5_mT6_P12ihipStream_tbENKUlT_T0_E_clISt17integral_constantIbLb0EESQ_EEDaSL_SM_EUlSL_E0_NS1_11comp_targetILNS1_3genE10ELNS1_11target_archE1201ELNS1_3gpuE5ELNS1_3repE0EEENS1_30default_config_static_selectorELNS0_4arch9wavefront6targetE1EEEvT1_: ; @_ZN7rocprim17ROCPRIM_400000_NS6detail17trampoline_kernelINS0_14default_configENS1_20scan_config_selectorIlEEZZNS1_9scan_implILNS1_25lookback_scan_determinismE0ELb0ELb0ES3_PlS8_lN6thrust23THRUST_200600_302600_NS4plusIvEElEEDaPvRmT3_T4_T5_mT6_P12ihipStream_tbENKUlT_T0_E_clISt17integral_constantIbLb0EESQ_EEDaSL_SM_EUlSL_E0_NS1_11comp_targetILNS1_3genE10ELNS1_11target_archE1201ELNS1_3gpuE5ELNS1_3repE0EEENS1_30default_config_static_selectorELNS0_4arch9wavefront6targetE1EEEvT1_
; %bb.0:
	.section	.rodata,"a",@progbits
	.p2align	6, 0x0
	.amdhsa_kernel _ZN7rocprim17ROCPRIM_400000_NS6detail17trampoline_kernelINS0_14default_configENS1_20scan_config_selectorIlEEZZNS1_9scan_implILNS1_25lookback_scan_determinismE0ELb0ELb0ES3_PlS8_lN6thrust23THRUST_200600_302600_NS4plusIvEElEEDaPvRmT3_T4_T5_mT6_P12ihipStream_tbENKUlT_T0_E_clISt17integral_constantIbLb0EESQ_EEDaSL_SM_EUlSL_E0_NS1_11comp_targetILNS1_3genE10ELNS1_11target_archE1201ELNS1_3gpuE5ELNS1_3repE0EEENS1_30default_config_static_selectorELNS0_4arch9wavefront6targetE1EEEvT1_
		.amdhsa_group_segment_fixed_size 0
		.amdhsa_private_segment_fixed_size 0
		.amdhsa_kernarg_size 40
		.amdhsa_user_sgpr_count 2
		.amdhsa_user_sgpr_dispatch_ptr 0
		.amdhsa_user_sgpr_queue_ptr 0
		.amdhsa_user_sgpr_kernarg_segment_ptr 1
		.amdhsa_user_sgpr_dispatch_id 0
		.amdhsa_user_sgpr_kernarg_preload_length 0
		.amdhsa_user_sgpr_kernarg_preload_offset 0
		.amdhsa_user_sgpr_private_segment_size 0
		.amdhsa_uses_dynamic_stack 0
		.amdhsa_enable_private_segment 0
		.amdhsa_system_sgpr_workgroup_id_x 1
		.amdhsa_system_sgpr_workgroup_id_y 0
		.amdhsa_system_sgpr_workgroup_id_z 0
		.amdhsa_system_sgpr_workgroup_info 0
		.amdhsa_system_vgpr_workitem_id 0
		.amdhsa_next_free_vgpr 1
		.amdhsa_next_free_sgpr 0
		.amdhsa_accum_offset 4
		.amdhsa_reserve_vcc 0
		.amdhsa_float_round_mode_32 0
		.amdhsa_float_round_mode_16_64 0
		.amdhsa_float_denorm_mode_32 3
		.amdhsa_float_denorm_mode_16_64 3
		.amdhsa_dx10_clamp 1
		.amdhsa_ieee_mode 1
		.amdhsa_fp16_overflow 0
		.amdhsa_tg_split 0
		.amdhsa_exception_fp_ieee_invalid_op 0
		.amdhsa_exception_fp_denorm_src 0
		.amdhsa_exception_fp_ieee_div_zero 0
		.amdhsa_exception_fp_ieee_overflow 0
		.amdhsa_exception_fp_ieee_underflow 0
		.amdhsa_exception_fp_ieee_inexact 0
		.amdhsa_exception_int_div_zero 0
	.end_amdhsa_kernel
	.section	.text._ZN7rocprim17ROCPRIM_400000_NS6detail17trampoline_kernelINS0_14default_configENS1_20scan_config_selectorIlEEZZNS1_9scan_implILNS1_25lookback_scan_determinismE0ELb0ELb0ES3_PlS8_lN6thrust23THRUST_200600_302600_NS4plusIvEElEEDaPvRmT3_T4_T5_mT6_P12ihipStream_tbENKUlT_T0_E_clISt17integral_constantIbLb0EESQ_EEDaSL_SM_EUlSL_E0_NS1_11comp_targetILNS1_3genE10ELNS1_11target_archE1201ELNS1_3gpuE5ELNS1_3repE0EEENS1_30default_config_static_selectorELNS0_4arch9wavefront6targetE1EEEvT1_,"axG",@progbits,_ZN7rocprim17ROCPRIM_400000_NS6detail17trampoline_kernelINS0_14default_configENS1_20scan_config_selectorIlEEZZNS1_9scan_implILNS1_25lookback_scan_determinismE0ELb0ELb0ES3_PlS8_lN6thrust23THRUST_200600_302600_NS4plusIvEElEEDaPvRmT3_T4_T5_mT6_P12ihipStream_tbENKUlT_T0_E_clISt17integral_constantIbLb0EESQ_EEDaSL_SM_EUlSL_E0_NS1_11comp_targetILNS1_3genE10ELNS1_11target_archE1201ELNS1_3gpuE5ELNS1_3repE0EEENS1_30default_config_static_selectorELNS0_4arch9wavefront6targetE1EEEvT1_,comdat
.Lfunc_end98:
	.size	_ZN7rocprim17ROCPRIM_400000_NS6detail17trampoline_kernelINS0_14default_configENS1_20scan_config_selectorIlEEZZNS1_9scan_implILNS1_25lookback_scan_determinismE0ELb0ELb0ES3_PlS8_lN6thrust23THRUST_200600_302600_NS4plusIvEElEEDaPvRmT3_T4_T5_mT6_P12ihipStream_tbENKUlT_T0_E_clISt17integral_constantIbLb0EESQ_EEDaSL_SM_EUlSL_E0_NS1_11comp_targetILNS1_3genE10ELNS1_11target_archE1201ELNS1_3gpuE5ELNS1_3repE0EEENS1_30default_config_static_selectorELNS0_4arch9wavefront6targetE1EEEvT1_, .Lfunc_end98-_ZN7rocprim17ROCPRIM_400000_NS6detail17trampoline_kernelINS0_14default_configENS1_20scan_config_selectorIlEEZZNS1_9scan_implILNS1_25lookback_scan_determinismE0ELb0ELb0ES3_PlS8_lN6thrust23THRUST_200600_302600_NS4plusIvEElEEDaPvRmT3_T4_T5_mT6_P12ihipStream_tbENKUlT_T0_E_clISt17integral_constantIbLb0EESQ_EEDaSL_SM_EUlSL_E0_NS1_11comp_targetILNS1_3genE10ELNS1_11target_archE1201ELNS1_3gpuE5ELNS1_3repE0EEENS1_30default_config_static_selectorELNS0_4arch9wavefront6targetE1EEEvT1_
                                        ; -- End function
	.set _ZN7rocprim17ROCPRIM_400000_NS6detail17trampoline_kernelINS0_14default_configENS1_20scan_config_selectorIlEEZZNS1_9scan_implILNS1_25lookback_scan_determinismE0ELb0ELb0ES3_PlS8_lN6thrust23THRUST_200600_302600_NS4plusIvEElEEDaPvRmT3_T4_T5_mT6_P12ihipStream_tbENKUlT_T0_E_clISt17integral_constantIbLb0EESQ_EEDaSL_SM_EUlSL_E0_NS1_11comp_targetILNS1_3genE10ELNS1_11target_archE1201ELNS1_3gpuE5ELNS1_3repE0EEENS1_30default_config_static_selectorELNS0_4arch9wavefront6targetE1EEEvT1_.num_vgpr, 0
	.set _ZN7rocprim17ROCPRIM_400000_NS6detail17trampoline_kernelINS0_14default_configENS1_20scan_config_selectorIlEEZZNS1_9scan_implILNS1_25lookback_scan_determinismE0ELb0ELb0ES3_PlS8_lN6thrust23THRUST_200600_302600_NS4plusIvEElEEDaPvRmT3_T4_T5_mT6_P12ihipStream_tbENKUlT_T0_E_clISt17integral_constantIbLb0EESQ_EEDaSL_SM_EUlSL_E0_NS1_11comp_targetILNS1_3genE10ELNS1_11target_archE1201ELNS1_3gpuE5ELNS1_3repE0EEENS1_30default_config_static_selectorELNS0_4arch9wavefront6targetE1EEEvT1_.num_agpr, 0
	.set _ZN7rocprim17ROCPRIM_400000_NS6detail17trampoline_kernelINS0_14default_configENS1_20scan_config_selectorIlEEZZNS1_9scan_implILNS1_25lookback_scan_determinismE0ELb0ELb0ES3_PlS8_lN6thrust23THRUST_200600_302600_NS4plusIvEElEEDaPvRmT3_T4_T5_mT6_P12ihipStream_tbENKUlT_T0_E_clISt17integral_constantIbLb0EESQ_EEDaSL_SM_EUlSL_E0_NS1_11comp_targetILNS1_3genE10ELNS1_11target_archE1201ELNS1_3gpuE5ELNS1_3repE0EEENS1_30default_config_static_selectorELNS0_4arch9wavefront6targetE1EEEvT1_.numbered_sgpr, 0
	.set _ZN7rocprim17ROCPRIM_400000_NS6detail17trampoline_kernelINS0_14default_configENS1_20scan_config_selectorIlEEZZNS1_9scan_implILNS1_25lookback_scan_determinismE0ELb0ELb0ES3_PlS8_lN6thrust23THRUST_200600_302600_NS4plusIvEElEEDaPvRmT3_T4_T5_mT6_P12ihipStream_tbENKUlT_T0_E_clISt17integral_constantIbLb0EESQ_EEDaSL_SM_EUlSL_E0_NS1_11comp_targetILNS1_3genE10ELNS1_11target_archE1201ELNS1_3gpuE5ELNS1_3repE0EEENS1_30default_config_static_selectorELNS0_4arch9wavefront6targetE1EEEvT1_.num_named_barrier, 0
	.set _ZN7rocprim17ROCPRIM_400000_NS6detail17trampoline_kernelINS0_14default_configENS1_20scan_config_selectorIlEEZZNS1_9scan_implILNS1_25lookback_scan_determinismE0ELb0ELb0ES3_PlS8_lN6thrust23THRUST_200600_302600_NS4plusIvEElEEDaPvRmT3_T4_T5_mT6_P12ihipStream_tbENKUlT_T0_E_clISt17integral_constantIbLb0EESQ_EEDaSL_SM_EUlSL_E0_NS1_11comp_targetILNS1_3genE10ELNS1_11target_archE1201ELNS1_3gpuE5ELNS1_3repE0EEENS1_30default_config_static_selectorELNS0_4arch9wavefront6targetE1EEEvT1_.private_seg_size, 0
	.set _ZN7rocprim17ROCPRIM_400000_NS6detail17trampoline_kernelINS0_14default_configENS1_20scan_config_selectorIlEEZZNS1_9scan_implILNS1_25lookback_scan_determinismE0ELb0ELb0ES3_PlS8_lN6thrust23THRUST_200600_302600_NS4plusIvEElEEDaPvRmT3_T4_T5_mT6_P12ihipStream_tbENKUlT_T0_E_clISt17integral_constantIbLb0EESQ_EEDaSL_SM_EUlSL_E0_NS1_11comp_targetILNS1_3genE10ELNS1_11target_archE1201ELNS1_3gpuE5ELNS1_3repE0EEENS1_30default_config_static_selectorELNS0_4arch9wavefront6targetE1EEEvT1_.uses_vcc, 0
	.set _ZN7rocprim17ROCPRIM_400000_NS6detail17trampoline_kernelINS0_14default_configENS1_20scan_config_selectorIlEEZZNS1_9scan_implILNS1_25lookback_scan_determinismE0ELb0ELb0ES3_PlS8_lN6thrust23THRUST_200600_302600_NS4plusIvEElEEDaPvRmT3_T4_T5_mT6_P12ihipStream_tbENKUlT_T0_E_clISt17integral_constantIbLb0EESQ_EEDaSL_SM_EUlSL_E0_NS1_11comp_targetILNS1_3genE10ELNS1_11target_archE1201ELNS1_3gpuE5ELNS1_3repE0EEENS1_30default_config_static_selectorELNS0_4arch9wavefront6targetE1EEEvT1_.uses_flat_scratch, 0
	.set _ZN7rocprim17ROCPRIM_400000_NS6detail17trampoline_kernelINS0_14default_configENS1_20scan_config_selectorIlEEZZNS1_9scan_implILNS1_25lookback_scan_determinismE0ELb0ELb0ES3_PlS8_lN6thrust23THRUST_200600_302600_NS4plusIvEElEEDaPvRmT3_T4_T5_mT6_P12ihipStream_tbENKUlT_T0_E_clISt17integral_constantIbLb0EESQ_EEDaSL_SM_EUlSL_E0_NS1_11comp_targetILNS1_3genE10ELNS1_11target_archE1201ELNS1_3gpuE5ELNS1_3repE0EEENS1_30default_config_static_selectorELNS0_4arch9wavefront6targetE1EEEvT1_.has_dyn_sized_stack, 0
	.set _ZN7rocprim17ROCPRIM_400000_NS6detail17trampoline_kernelINS0_14default_configENS1_20scan_config_selectorIlEEZZNS1_9scan_implILNS1_25lookback_scan_determinismE0ELb0ELb0ES3_PlS8_lN6thrust23THRUST_200600_302600_NS4plusIvEElEEDaPvRmT3_T4_T5_mT6_P12ihipStream_tbENKUlT_T0_E_clISt17integral_constantIbLb0EESQ_EEDaSL_SM_EUlSL_E0_NS1_11comp_targetILNS1_3genE10ELNS1_11target_archE1201ELNS1_3gpuE5ELNS1_3repE0EEENS1_30default_config_static_selectorELNS0_4arch9wavefront6targetE1EEEvT1_.has_recursion, 0
	.set _ZN7rocprim17ROCPRIM_400000_NS6detail17trampoline_kernelINS0_14default_configENS1_20scan_config_selectorIlEEZZNS1_9scan_implILNS1_25lookback_scan_determinismE0ELb0ELb0ES3_PlS8_lN6thrust23THRUST_200600_302600_NS4plusIvEElEEDaPvRmT3_T4_T5_mT6_P12ihipStream_tbENKUlT_T0_E_clISt17integral_constantIbLb0EESQ_EEDaSL_SM_EUlSL_E0_NS1_11comp_targetILNS1_3genE10ELNS1_11target_archE1201ELNS1_3gpuE5ELNS1_3repE0EEENS1_30default_config_static_selectorELNS0_4arch9wavefront6targetE1EEEvT1_.has_indirect_call, 0
	.section	.AMDGPU.csdata,"",@progbits
; Kernel info:
; codeLenInByte = 0
; TotalNumSgprs: 6
; NumVgprs: 0
; NumAgprs: 0
; TotalNumVgprs: 0
; ScratchSize: 0
; MemoryBound: 0
; FloatMode: 240
; IeeeMode: 1
; LDSByteSize: 0 bytes/workgroup (compile time only)
; SGPRBlocks: 0
; VGPRBlocks: 0
; NumSGPRsForWavesPerEU: 6
; NumVGPRsForWavesPerEU: 1
; AccumOffset: 4
; Occupancy: 8
; WaveLimiterHint : 0
; COMPUTE_PGM_RSRC2:SCRATCH_EN: 0
; COMPUTE_PGM_RSRC2:USER_SGPR: 2
; COMPUTE_PGM_RSRC2:TRAP_HANDLER: 0
; COMPUTE_PGM_RSRC2:TGID_X_EN: 1
; COMPUTE_PGM_RSRC2:TGID_Y_EN: 0
; COMPUTE_PGM_RSRC2:TGID_Z_EN: 0
; COMPUTE_PGM_RSRC2:TIDIG_COMP_CNT: 0
; COMPUTE_PGM_RSRC3_GFX90A:ACCUM_OFFSET: 0
; COMPUTE_PGM_RSRC3_GFX90A:TG_SPLIT: 0
	.section	.text._ZN7rocprim17ROCPRIM_400000_NS6detail17trampoline_kernelINS0_14default_configENS1_20scan_config_selectorIlEEZZNS1_9scan_implILNS1_25lookback_scan_determinismE0ELb0ELb0ES3_PlS8_lN6thrust23THRUST_200600_302600_NS4plusIvEElEEDaPvRmT3_T4_T5_mT6_P12ihipStream_tbENKUlT_T0_E_clISt17integral_constantIbLb0EESQ_EEDaSL_SM_EUlSL_E0_NS1_11comp_targetILNS1_3genE10ELNS1_11target_archE1200ELNS1_3gpuE4ELNS1_3repE0EEENS1_30default_config_static_selectorELNS0_4arch9wavefront6targetE1EEEvT1_,"axG",@progbits,_ZN7rocprim17ROCPRIM_400000_NS6detail17trampoline_kernelINS0_14default_configENS1_20scan_config_selectorIlEEZZNS1_9scan_implILNS1_25lookback_scan_determinismE0ELb0ELb0ES3_PlS8_lN6thrust23THRUST_200600_302600_NS4plusIvEElEEDaPvRmT3_T4_T5_mT6_P12ihipStream_tbENKUlT_T0_E_clISt17integral_constantIbLb0EESQ_EEDaSL_SM_EUlSL_E0_NS1_11comp_targetILNS1_3genE10ELNS1_11target_archE1200ELNS1_3gpuE4ELNS1_3repE0EEENS1_30default_config_static_selectorELNS0_4arch9wavefront6targetE1EEEvT1_,comdat
	.protected	_ZN7rocprim17ROCPRIM_400000_NS6detail17trampoline_kernelINS0_14default_configENS1_20scan_config_selectorIlEEZZNS1_9scan_implILNS1_25lookback_scan_determinismE0ELb0ELb0ES3_PlS8_lN6thrust23THRUST_200600_302600_NS4plusIvEElEEDaPvRmT3_T4_T5_mT6_P12ihipStream_tbENKUlT_T0_E_clISt17integral_constantIbLb0EESQ_EEDaSL_SM_EUlSL_E0_NS1_11comp_targetILNS1_3genE10ELNS1_11target_archE1200ELNS1_3gpuE4ELNS1_3repE0EEENS1_30default_config_static_selectorELNS0_4arch9wavefront6targetE1EEEvT1_ ; -- Begin function _ZN7rocprim17ROCPRIM_400000_NS6detail17trampoline_kernelINS0_14default_configENS1_20scan_config_selectorIlEEZZNS1_9scan_implILNS1_25lookback_scan_determinismE0ELb0ELb0ES3_PlS8_lN6thrust23THRUST_200600_302600_NS4plusIvEElEEDaPvRmT3_T4_T5_mT6_P12ihipStream_tbENKUlT_T0_E_clISt17integral_constantIbLb0EESQ_EEDaSL_SM_EUlSL_E0_NS1_11comp_targetILNS1_3genE10ELNS1_11target_archE1200ELNS1_3gpuE4ELNS1_3repE0EEENS1_30default_config_static_selectorELNS0_4arch9wavefront6targetE1EEEvT1_
	.globl	_ZN7rocprim17ROCPRIM_400000_NS6detail17trampoline_kernelINS0_14default_configENS1_20scan_config_selectorIlEEZZNS1_9scan_implILNS1_25lookback_scan_determinismE0ELb0ELb0ES3_PlS8_lN6thrust23THRUST_200600_302600_NS4plusIvEElEEDaPvRmT3_T4_T5_mT6_P12ihipStream_tbENKUlT_T0_E_clISt17integral_constantIbLb0EESQ_EEDaSL_SM_EUlSL_E0_NS1_11comp_targetILNS1_3genE10ELNS1_11target_archE1200ELNS1_3gpuE4ELNS1_3repE0EEENS1_30default_config_static_selectorELNS0_4arch9wavefront6targetE1EEEvT1_
	.p2align	8
	.type	_ZN7rocprim17ROCPRIM_400000_NS6detail17trampoline_kernelINS0_14default_configENS1_20scan_config_selectorIlEEZZNS1_9scan_implILNS1_25lookback_scan_determinismE0ELb0ELb0ES3_PlS8_lN6thrust23THRUST_200600_302600_NS4plusIvEElEEDaPvRmT3_T4_T5_mT6_P12ihipStream_tbENKUlT_T0_E_clISt17integral_constantIbLb0EESQ_EEDaSL_SM_EUlSL_E0_NS1_11comp_targetILNS1_3genE10ELNS1_11target_archE1200ELNS1_3gpuE4ELNS1_3repE0EEENS1_30default_config_static_selectorELNS0_4arch9wavefront6targetE1EEEvT1_,@function
_ZN7rocprim17ROCPRIM_400000_NS6detail17trampoline_kernelINS0_14default_configENS1_20scan_config_selectorIlEEZZNS1_9scan_implILNS1_25lookback_scan_determinismE0ELb0ELb0ES3_PlS8_lN6thrust23THRUST_200600_302600_NS4plusIvEElEEDaPvRmT3_T4_T5_mT6_P12ihipStream_tbENKUlT_T0_E_clISt17integral_constantIbLb0EESQ_EEDaSL_SM_EUlSL_E0_NS1_11comp_targetILNS1_3genE10ELNS1_11target_archE1200ELNS1_3gpuE4ELNS1_3repE0EEENS1_30default_config_static_selectorELNS0_4arch9wavefront6targetE1EEEvT1_: ; @_ZN7rocprim17ROCPRIM_400000_NS6detail17trampoline_kernelINS0_14default_configENS1_20scan_config_selectorIlEEZZNS1_9scan_implILNS1_25lookback_scan_determinismE0ELb0ELb0ES3_PlS8_lN6thrust23THRUST_200600_302600_NS4plusIvEElEEDaPvRmT3_T4_T5_mT6_P12ihipStream_tbENKUlT_T0_E_clISt17integral_constantIbLb0EESQ_EEDaSL_SM_EUlSL_E0_NS1_11comp_targetILNS1_3genE10ELNS1_11target_archE1200ELNS1_3gpuE4ELNS1_3repE0EEENS1_30default_config_static_selectorELNS0_4arch9wavefront6targetE1EEEvT1_
; %bb.0:
	.section	.rodata,"a",@progbits
	.p2align	6, 0x0
	.amdhsa_kernel _ZN7rocprim17ROCPRIM_400000_NS6detail17trampoline_kernelINS0_14default_configENS1_20scan_config_selectorIlEEZZNS1_9scan_implILNS1_25lookback_scan_determinismE0ELb0ELb0ES3_PlS8_lN6thrust23THRUST_200600_302600_NS4plusIvEElEEDaPvRmT3_T4_T5_mT6_P12ihipStream_tbENKUlT_T0_E_clISt17integral_constantIbLb0EESQ_EEDaSL_SM_EUlSL_E0_NS1_11comp_targetILNS1_3genE10ELNS1_11target_archE1200ELNS1_3gpuE4ELNS1_3repE0EEENS1_30default_config_static_selectorELNS0_4arch9wavefront6targetE1EEEvT1_
		.amdhsa_group_segment_fixed_size 0
		.amdhsa_private_segment_fixed_size 0
		.amdhsa_kernarg_size 40
		.amdhsa_user_sgpr_count 2
		.amdhsa_user_sgpr_dispatch_ptr 0
		.amdhsa_user_sgpr_queue_ptr 0
		.amdhsa_user_sgpr_kernarg_segment_ptr 1
		.amdhsa_user_sgpr_dispatch_id 0
		.amdhsa_user_sgpr_kernarg_preload_length 0
		.amdhsa_user_sgpr_kernarg_preload_offset 0
		.amdhsa_user_sgpr_private_segment_size 0
		.amdhsa_uses_dynamic_stack 0
		.amdhsa_enable_private_segment 0
		.amdhsa_system_sgpr_workgroup_id_x 1
		.amdhsa_system_sgpr_workgroup_id_y 0
		.amdhsa_system_sgpr_workgroup_id_z 0
		.amdhsa_system_sgpr_workgroup_info 0
		.amdhsa_system_vgpr_workitem_id 0
		.amdhsa_next_free_vgpr 1
		.amdhsa_next_free_sgpr 0
		.amdhsa_accum_offset 4
		.amdhsa_reserve_vcc 0
		.amdhsa_float_round_mode_32 0
		.amdhsa_float_round_mode_16_64 0
		.amdhsa_float_denorm_mode_32 3
		.amdhsa_float_denorm_mode_16_64 3
		.amdhsa_dx10_clamp 1
		.amdhsa_ieee_mode 1
		.amdhsa_fp16_overflow 0
		.amdhsa_tg_split 0
		.amdhsa_exception_fp_ieee_invalid_op 0
		.amdhsa_exception_fp_denorm_src 0
		.amdhsa_exception_fp_ieee_div_zero 0
		.amdhsa_exception_fp_ieee_overflow 0
		.amdhsa_exception_fp_ieee_underflow 0
		.amdhsa_exception_fp_ieee_inexact 0
		.amdhsa_exception_int_div_zero 0
	.end_amdhsa_kernel
	.section	.text._ZN7rocprim17ROCPRIM_400000_NS6detail17trampoline_kernelINS0_14default_configENS1_20scan_config_selectorIlEEZZNS1_9scan_implILNS1_25lookback_scan_determinismE0ELb0ELb0ES3_PlS8_lN6thrust23THRUST_200600_302600_NS4plusIvEElEEDaPvRmT3_T4_T5_mT6_P12ihipStream_tbENKUlT_T0_E_clISt17integral_constantIbLb0EESQ_EEDaSL_SM_EUlSL_E0_NS1_11comp_targetILNS1_3genE10ELNS1_11target_archE1200ELNS1_3gpuE4ELNS1_3repE0EEENS1_30default_config_static_selectorELNS0_4arch9wavefront6targetE1EEEvT1_,"axG",@progbits,_ZN7rocprim17ROCPRIM_400000_NS6detail17trampoline_kernelINS0_14default_configENS1_20scan_config_selectorIlEEZZNS1_9scan_implILNS1_25lookback_scan_determinismE0ELb0ELb0ES3_PlS8_lN6thrust23THRUST_200600_302600_NS4plusIvEElEEDaPvRmT3_T4_T5_mT6_P12ihipStream_tbENKUlT_T0_E_clISt17integral_constantIbLb0EESQ_EEDaSL_SM_EUlSL_E0_NS1_11comp_targetILNS1_3genE10ELNS1_11target_archE1200ELNS1_3gpuE4ELNS1_3repE0EEENS1_30default_config_static_selectorELNS0_4arch9wavefront6targetE1EEEvT1_,comdat
.Lfunc_end99:
	.size	_ZN7rocprim17ROCPRIM_400000_NS6detail17trampoline_kernelINS0_14default_configENS1_20scan_config_selectorIlEEZZNS1_9scan_implILNS1_25lookback_scan_determinismE0ELb0ELb0ES3_PlS8_lN6thrust23THRUST_200600_302600_NS4plusIvEElEEDaPvRmT3_T4_T5_mT6_P12ihipStream_tbENKUlT_T0_E_clISt17integral_constantIbLb0EESQ_EEDaSL_SM_EUlSL_E0_NS1_11comp_targetILNS1_3genE10ELNS1_11target_archE1200ELNS1_3gpuE4ELNS1_3repE0EEENS1_30default_config_static_selectorELNS0_4arch9wavefront6targetE1EEEvT1_, .Lfunc_end99-_ZN7rocprim17ROCPRIM_400000_NS6detail17trampoline_kernelINS0_14default_configENS1_20scan_config_selectorIlEEZZNS1_9scan_implILNS1_25lookback_scan_determinismE0ELb0ELb0ES3_PlS8_lN6thrust23THRUST_200600_302600_NS4plusIvEElEEDaPvRmT3_T4_T5_mT6_P12ihipStream_tbENKUlT_T0_E_clISt17integral_constantIbLb0EESQ_EEDaSL_SM_EUlSL_E0_NS1_11comp_targetILNS1_3genE10ELNS1_11target_archE1200ELNS1_3gpuE4ELNS1_3repE0EEENS1_30default_config_static_selectorELNS0_4arch9wavefront6targetE1EEEvT1_
                                        ; -- End function
	.set _ZN7rocprim17ROCPRIM_400000_NS6detail17trampoline_kernelINS0_14default_configENS1_20scan_config_selectorIlEEZZNS1_9scan_implILNS1_25lookback_scan_determinismE0ELb0ELb0ES3_PlS8_lN6thrust23THRUST_200600_302600_NS4plusIvEElEEDaPvRmT3_T4_T5_mT6_P12ihipStream_tbENKUlT_T0_E_clISt17integral_constantIbLb0EESQ_EEDaSL_SM_EUlSL_E0_NS1_11comp_targetILNS1_3genE10ELNS1_11target_archE1200ELNS1_3gpuE4ELNS1_3repE0EEENS1_30default_config_static_selectorELNS0_4arch9wavefront6targetE1EEEvT1_.num_vgpr, 0
	.set _ZN7rocprim17ROCPRIM_400000_NS6detail17trampoline_kernelINS0_14default_configENS1_20scan_config_selectorIlEEZZNS1_9scan_implILNS1_25lookback_scan_determinismE0ELb0ELb0ES3_PlS8_lN6thrust23THRUST_200600_302600_NS4plusIvEElEEDaPvRmT3_T4_T5_mT6_P12ihipStream_tbENKUlT_T0_E_clISt17integral_constantIbLb0EESQ_EEDaSL_SM_EUlSL_E0_NS1_11comp_targetILNS1_3genE10ELNS1_11target_archE1200ELNS1_3gpuE4ELNS1_3repE0EEENS1_30default_config_static_selectorELNS0_4arch9wavefront6targetE1EEEvT1_.num_agpr, 0
	.set _ZN7rocprim17ROCPRIM_400000_NS6detail17trampoline_kernelINS0_14default_configENS1_20scan_config_selectorIlEEZZNS1_9scan_implILNS1_25lookback_scan_determinismE0ELb0ELb0ES3_PlS8_lN6thrust23THRUST_200600_302600_NS4plusIvEElEEDaPvRmT3_T4_T5_mT6_P12ihipStream_tbENKUlT_T0_E_clISt17integral_constantIbLb0EESQ_EEDaSL_SM_EUlSL_E0_NS1_11comp_targetILNS1_3genE10ELNS1_11target_archE1200ELNS1_3gpuE4ELNS1_3repE0EEENS1_30default_config_static_selectorELNS0_4arch9wavefront6targetE1EEEvT1_.numbered_sgpr, 0
	.set _ZN7rocprim17ROCPRIM_400000_NS6detail17trampoline_kernelINS0_14default_configENS1_20scan_config_selectorIlEEZZNS1_9scan_implILNS1_25lookback_scan_determinismE0ELb0ELb0ES3_PlS8_lN6thrust23THRUST_200600_302600_NS4plusIvEElEEDaPvRmT3_T4_T5_mT6_P12ihipStream_tbENKUlT_T0_E_clISt17integral_constantIbLb0EESQ_EEDaSL_SM_EUlSL_E0_NS1_11comp_targetILNS1_3genE10ELNS1_11target_archE1200ELNS1_3gpuE4ELNS1_3repE0EEENS1_30default_config_static_selectorELNS0_4arch9wavefront6targetE1EEEvT1_.num_named_barrier, 0
	.set _ZN7rocprim17ROCPRIM_400000_NS6detail17trampoline_kernelINS0_14default_configENS1_20scan_config_selectorIlEEZZNS1_9scan_implILNS1_25lookback_scan_determinismE0ELb0ELb0ES3_PlS8_lN6thrust23THRUST_200600_302600_NS4plusIvEElEEDaPvRmT3_T4_T5_mT6_P12ihipStream_tbENKUlT_T0_E_clISt17integral_constantIbLb0EESQ_EEDaSL_SM_EUlSL_E0_NS1_11comp_targetILNS1_3genE10ELNS1_11target_archE1200ELNS1_3gpuE4ELNS1_3repE0EEENS1_30default_config_static_selectorELNS0_4arch9wavefront6targetE1EEEvT1_.private_seg_size, 0
	.set _ZN7rocprim17ROCPRIM_400000_NS6detail17trampoline_kernelINS0_14default_configENS1_20scan_config_selectorIlEEZZNS1_9scan_implILNS1_25lookback_scan_determinismE0ELb0ELb0ES3_PlS8_lN6thrust23THRUST_200600_302600_NS4plusIvEElEEDaPvRmT3_T4_T5_mT6_P12ihipStream_tbENKUlT_T0_E_clISt17integral_constantIbLb0EESQ_EEDaSL_SM_EUlSL_E0_NS1_11comp_targetILNS1_3genE10ELNS1_11target_archE1200ELNS1_3gpuE4ELNS1_3repE0EEENS1_30default_config_static_selectorELNS0_4arch9wavefront6targetE1EEEvT1_.uses_vcc, 0
	.set _ZN7rocprim17ROCPRIM_400000_NS6detail17trampoline_kernelINS0_14default_configENS1_20scan_config_selectorIlEEZZNS1_9scan_implILNS1_25lookback_scan_determinismE0ELb0ELb0ES3_PlS8_lN6thrust23THRUST_200600_302600_NS4plusIvEElEEDaPvRmT3_T4_T5_mT6_P12ihipStream_tbENKUlT_T0_E_clISt17integral_constantIbLb0EESQ_EEDaSL_SM_EUlSL_E0_NS1_11comp_targetILNS1_3genE10ELNS1_11target_archE1200ELNS1_3gpuE4ELNS1_3repE0EEENS1_30default_config_static_selectorELNS0_4arch9wavefront6targetE1EEEvT1_.uses_flat_scratch, 0
	.set _ZN7rocprim17ROCPRIM_400000_NS6detail17trampoline_kernelINS0_14default_configENS1_20scan_config_selectorIlEEZZNS1_9scan_implILNS1_25lookback_scan_determinismE0ELb0ELb0ES3_PlS8_lN6thrust23THRUST_200600_302600_NS4plusIvEElEEDaPvRmT3_T4_T5_mT6_P12ihipStream_tbENKUlT_T0_E_clISt17integral_constantIbLb0EESQ_EEDaSL_SM_EUlSL_E0_NS1_11comp_targetILNS1_3genE10ELNS1_11target_archE1200ELNS1_3gpuE4ELNS1_3repE0EEENS1_30default_config_static_selectorELNS0_4arch9wavefront6targetE1EEEvT1_.has_dyn_sized_stack, 0
	.set _ZN7rocprim17ROCPRIM_400000_NS6detail17trampoline_kernelINS0_14default_configENS1_20scan_config_selectorIlEEZZNS1_9scan_implILNS1_25lookback_scan_determinismE0ELb0ELb0ES3_PlS8_lN6thrust23THRUST_200600_302600_NS4plusIvEElEEDaPvRmT3_T4_T5_mT6_P12ihipStream_tbENKUlT_T0_E_clISt17integral_constantIbLb0EESQ_EEDaSL_SM_EUlSL_E0_NS1_11comp_targetILNS1_3genE10ELNS1_11target_archE1200ELNS1_3gpuE4ELNS1_3repE0EEENS1_30default_config_static_selectorELNS0_4arch9wavefront6targetE1EEEvT1_.has_recursion, 0
	.set _ZN7rocprim17ROCPRIM_400000_NS6detail17trampoline_kernelINS0_14default_configENS1_20scan_config_selectorIlEEZZNS1_9scan_implILNS1_25lookback_scan_determinismE0ELb0ELb0ES3_PlS8_lN6thrust23THRUST_200600_302600_NS4plusIvEElEEDaPvRmT3_T4_T5_mT6_P12ihipStream_tbENKUlT_T0_E_clISt17integral_constantIbLb0EESQ_EEDaSL_SM_EUlSL_E0_NS1_11comp_targetILNS1_3genE10ELNS1_11target_archE1200ELNS1_3gpuE4ELNS1_3repE0EEENS1_30default_config_static_selectorELNS0_4arch9wavefront6targetE1EEEvT1_.has_indirect_call, 0
	.section	.AMDGPU.csdata,"",@progbits
; Kernel info:
; codeLenInByte = 0
; TotalNumSgprs: 6
; NumVgprs: 0
; NumAgprs: 0
; TotalNumVgprs: 0
; ScratchSize: 0
; MemoryBound: 0
; FloatMode: 240
; IeeeMode: 1
; LDSByteSize: 0 bytes/workgroup (compile time only)
; SGPRBlocks: 0
; VGPRBlocks: 0
; NumSGPRsForWavesPerEU: 6
; NumVGPRsForWavesPerEU: 1
; AccumOffset: 4
; Occupancy: 8
; WaveLimiterHint : 0
; COMPUTE_PGM_RSRC2:SCRATCH_EN: 0
; COMPUTE_PGM_RSRC2:USER_SGPR: 2
; COMPUTE_PGM_RSRC2:TRAP_HANDLER: 0
; COMPUTE_PGM_RSRC2:TGID_X_EN: 1
; COMPUTE_PGM_RSRC2:TGID_Y_EN: 0
; COMPUTE_PGM_RSRC2:TGID_Z_EN: 0
; COMPUTE_PGM_RSRC2:TIDIG_COMP_CNT: 0
; COMPUTE_PGM_RSRC3_GFX90A:ACCUM_OFFSET: 0
; COMPUTE_PGM_RSRC3_GFX90A:TG_SPLIT: 0
	.section	.text._ZN7rocprim17ROCPRIM_400000_NS6detail17trampoline_kernelINS0_14default_configENS1_20scan_config_selectorIlEEZZNS1_9scan_implILNS1_25lookback_scan_determinismE0ELb0ELb0ES3_PlS8_lN6thrust23THRUST_200600_302600_NS4plusIvEElEEDaPvRmT3_T4_T5_mT6_P12ihipStream_tbENKUlT_T0_E_clISt17integral_constantIbLb0EESQ_EEDaSL_SM_EUlSL_E0_NS1_11comp_targetILNS1_3genE9ELNS1_11target_archE1100ELNS1_3gpuE3ELNS1_3repE0EEENS1_30default_config_static_selectorELNS0_4arch9wavefront6targetE1EEEvT1_,"axG",@progbits,_ZN7rocprim17ROCPRIM_400000_NS6detail17trampoline_kernelINS0_14default_configENS1_20scan_config_selectorIlEEZZNS1_9scan_implILNS1_25lookback_scan_determinismE0ELb0ELb0ES3_PlS8_lN6thrust23THRUST_200600_302600_NS4plusIvEElEEDaPvRmT3_T4_T5_mT6_P12ihipStream_tbENKUlT_T0_E_clISt17integral_constantIbLb0EESQ_EEDaSL_SM_EUlSL_E0_NS1_11comp_targetILNS1_3genE9ELNS1_11target_archE1100ELNS1_3gpuE3ELNS1_3repE0EEENS1_30default_config_static_selectorELNS0_4arch9wavefront6targetE1EEEvT1_,comdat
	.protected	_ZN7rocprim17ROCPRIM_400000_NS6detail17trampoline_kernelINS0_14default_configENS1_20scan_config_selectorIlEEZZNS1_9scan_implILNS1_25lookback_scan_determinismE0ELb0ELb0ES3_PlS8_lN6thrust23THRUST_200600_302600_NS4plusIvEElEEDaPvRmT3_T4_T5_mT6_P12ihipStream_tbENKUlT_T0_E_clISt17integral_constantIbLb0EESQ_EEDaSL_SM_EUlSL_E0_NS1_11comp_targetILNS1_3genE9ELNS1_11target_archE1100ELNS1_3gpuE3ELNS1_3repE0EEENS1_30default_config_static_selectorELNS0_4arch9wavefront6targetE1EEEvT1_ ; -- Begin function _ZN7rocprim17ROCPRIM_400000_NS6detail17trampoline_kernelINS0_14default_configENS1_20scan_config_selectorIlEEZZNS1_9scan_implILNS1_25lookback_scan_determinismE0ELb0ELb0ES3_PlS8_lN6thrust23THRUST_200600_302600_NS4plusIvEElEEDaPvRmT3_T4_T5_mT6_P12ihipStream_tbENKUlT_T0_E_clISt17integral_constantIbLb0EESQ_EEDaSL_SM_EUlSL_E0_NS1_11comp_targetILNS1_3genE9ELNS1_11target_archE1100ELNS1_3gpuE3ELNS1_3repE0EEENS1_30default_config_static_selectorELNS0_4arch9wavefront6targetE1EEEvT1_
	.globl	_ZN7rocprim17ROCPRIM_400000_NS6detail17trampoline_kernelINS0_14default_configENS1_20scan_config_selectorIlEEZZNS1_9scan_implILNS1_25lookback_scan_determinismE0ELb0ELb0ES3_PlS8_lN6thrust23THRUST_200600_302600_NS4plusIvEElEEDaPvRmT3_T4_T5_mT6_P12ihipStream_tbENKUlT_T0_E_clISt17integral_constantIbLb0EESQ_EEDaSL_SM_EUlSL_E0_NS1_11comp_targetILNS1_3genE9ELNS1_11target_archE1100ELNS1_3gpuE3ELNS1_3repE0EEENS1_30default_config_static_selectorELNS0_4arch9wavefront6targetE1EEEvT1_
	.p2align	8
	.type	_ZN7rocprim17ROCPRIM_400000_NS6detail17trampoline_kernelINS0_14default_configENS1_20scan_config_selectorIlEEZZNS1_9scan_implILNS1_25lookback_scan_determinismE0ELb0ELb0ES3_PlS8_lN6thrust23THRUST_200600_302600_NS4plusIvEElEEDaPvRmT3_T4_T5_mT6_P12ihipStream_tbENKUlT_T0_E_clISt17integral_constantIbLb0EESQ_EEDaSL_SM_EUlSL_E0_NS1_11comp_targetILNS1_3genE9ELNS1_11target_archE1100ELNS1_3gpuE3ELNS1_3repE0EEENS1_30default_config_static_selectorELNS0_4arch9wavefront6targetE1EEEvT1_,@function
_ZN7rocprim17ROCPRIM_400000_NS6detail17trampoline_kernelINS0_14default_configENS1_20scan_config_selectorIlEEZZNS1_9scan_implILNS1_25lookback_scan_determinismE0ELb0ELb0ES3_PlS8_lN6thrust23THRUST_200600_302600_NS4plusIvEElEEDaPvRmT3_T4_T5_mT6_P12ihipStream_tbENKUlT_T0_E_clISt17integral_constantIbLb0EESQ_EEDaSL_SM_EUlSL_E0_NS1_11comp_targetILNS1_3genE9ELNS1_11target_archE1100ELNS1_3gpuE3ELNS1_3repE0EEENS1_30default_config_static_selectorELNS0_4arch9wavefront6targetE1EEEvT1_: ; @_ZN7rocprim17ROCPRIM_400000_NS6detail17trampoline_kernelINS0_14default_configENS1_20scan_config_selectorIlEEZZNS1_9scan_implILNS1_25lookback_scan_determinismE0ELb0ELb0ES3_PlS8_lN6thrust23THRUST_200600_302600_NS4plusIvEElEEDaPvRmT3_T4_T5_mT6_P12ihipStream_tbENKUlT_T0_E_clISt17integral_constantIbLb0EESQ_EEDaSL_SM_EUlSL_E0_NS1_11comp_targetILNS1_3genE9ELNS1_11target_archE1100ELNS1_3gpuE3ELNS1_3repE0EEENS1_30default_config_static_selectorELNS0_4arch9wavefront6targetE1EEEvT1_
; %bb.0:
	.section	.rodata,"a",@progbits
	.p2align	6, 0x0
	.amdhsa_kernel _ZN7rocprim17ROCPRIM_400000_NS6detail17trampoline_kernelINS0_14default_configENS1_20scan_config_selectorIlEEZZNS1_9scan_implILNS1_25lookback_scan_determinismE0ELb0ELb0ES3_PlS8_lN6thrust23THRUST_200600_302600_NS4plusIvEElEEDaPvRmT3_T4_T5_mT6_P12ihipStream_tbENKUlT_T0_E_clISt17integral_constantIbLb0EESQ_EEDaSL_SM_EUlSL_E0_NS1_11comp_targetILNS1_3genE9ELNS1_11target_archE1100ELNS1_3gpuE3ELNS1_3repE0EEENS1_30default_config_static_selectorELNS0_4arch9wavefront6targetE1EEEvT1_
		.amdhsa_group_segment_fixed_size 0
		.amdhsa_private_segment_fixed_size 0
		.amdhsa_kernarg_size 40
		.amdhsa_user_sgpr_count 2
		.amdhsa_user_sgpr_dispatch_ptr 0
		.amdhsa_user_sgpr_queue_ptr 0
		.amdhsa_user_sgpr_kernarg_segment_ptr 1
		.amdhsa_user_sgpr_dispatch_id 0
		.amdhsa_user_sgpr_kernarg_preload_length 0
		.amdhsa_user_sgpr_kernarg_preload_offset 0
		.amdhsa_user_sgpr_private_segment_size 0
		.amdhsa_uses_dynamic_stack 0
		.amdhsa_enable_private_segment 0
		.amdhsa_system_sgpr_workgroup_id_x 1
		.amdhsa_system_sgpr_workgroup_id_y 0
		.amdhsa_system_sgpr_workgroup_id_z 0
		.amdhsa_system_sgpr_workgroup_info 0
		.amdhsa_system_vgpr_workitem_id 0
		.amdhsa_next_free_vgpr 1
		.amdhsa_next_free_sgpr 0
		.amdhsa_accum_offset 4
		.amdhsa_reserve_vcc 0
		.amdhsa_float_round_mode_32 0
		.amdhsa_float_round_mode_16_64 0
		.amdhsa_float_denorm_mode_32 3
		.amdhsa_float_denorm_mode_16_64 3
		.amdhsa_dx10_clamp 1
		.amdhsa_ieee_mode 1
		.amdhsa_fp16_overflow 0
		.amdhsa_tg_split 0
		.amdhsa_exception_fp_ieee_invalid_op 0
		.amdhsa_exception_fp_denorm_src 0
		.amdhsa_exception_fp_ieee_div_zero 0
		.amdhsa_exception_fp_ieee_overflow 0
		.amdhsa_exception_fp_ieee_underflow 0
		.amdhsa_exception_fp_ieee_inexact 0
		.amdhsa_exception_int_div_zero 0
	.end_amdhsa_kernel
	.section	.text._ZN7rocprim17ROCPRIM_400000_NS6detail17trampoline_kernelINS0_14default_configENS1_20scan_config_selectorIlEEZZNS1_9scan_implILNS1_25lookback_scan_determinismE0ELb0ELb0ES3_PlS8_lN6thrust23THRUST_200600_302600_NS4plusIvEElEEDaPvRmT3_T4_T5_mT6_P12ihipStream_tbENKUlT_T0_E_clISt17integral_constantIbLb0EESQ_EEDaSL_SM_EUlSL_E0_NS1_11comp_targetILNS1_3genE9ELNS1_11target_archE1100ELNS1_3gpuE3ELNS1_3repE0EEENS1_30default_config_static_selectorELNS0_4arch9wavefront6targetE1EEEvT1_,"axG",@progbits,_ZN7rocprim17ROCPRIM_400000_NS6detail17trampoline_kernelINS0_14default_configENS1_20scan_config_selectorIlEEZZNS1_9scan_implILNS1_25lookback_scan_determinismE0ELb0ELb0ES3_PlS8_lN6thrust23THRUST_200600_302600_NS4plusIvEElEEDaPvRmT3_T4_T5_mT6_P12ihipStream_tbENKUlT_T0_E_clISt17integral_constantIbLb0EESQ_EEDaSL_SM_EUlSL_E0_NS1_11comp_targetILNS1_3genE9ELNS1_11target_archE1100ELNS1_3gpuE3ELNS1_3repE0EEENS1_30default_config_static_selectorELNS0_4arch9wavefront6targetE1EEEvT1_,comdat
.Lfunc_end100:
	.size	_ZN7rocprim17ROCPRIM_400000_NS6detail17trampoline_kernelINS0_14default_configENS1_20scan_config_selectorIlEEZZNS1_9scan_implILNS1_25lookback_scan_determinismE0ELb0ELb0ES3_PlS8_lN6thrust23THRUST_200600_302600_NS4plusIvEElEEDaPvRmT3_T4_T5_mT6_P12ihipStream_tbENKUlT_T0_E_clISt17integral_constantIbLb0EESQ_EEDaSL_SM_EUlSL_E0_NS1_11comp_targetILNS1_3genE9ELNS1_11target_archE1100ELNS1_3gpuE3ELNS1_3repE0EEENS1_30default_config_static_selectorELNS0_4arch9wavefront6targetE1EEEvT1_, .Lfunc_end100-_ZN7rocprim17ROCPRIM_400000_NS6detail17trampoline_kernelINS0_14default_configENS1_20scan_config_selectorIlEEZZNS1_9scan_implILNS1_25lookback_scan_determinismE0ELb0ELb0ES3_PlS8_lN6thrust23THRUST_200600_302600_NS4plusIvEElEEDaPvRmT3_T4_T5_mT6_P12ihipStream_tbENKUlT_T0_E_clISt17integral_constantIbLb0EESQ_EEDaSL_SM_EUlSL_E0_NS1_11comp_targetILNS1_3genE9ELNS1_11target_archE1100ELNS1_3gpuE3ELNS1_3repE0EEENS1_30default_config_static_selectorELNS0_4arch9wavefront6targetE1EEEvT1_
                                        ; -- End function
	.set _ZN7rocprim17ROCPRIM_400000_NS6detail17trampoline_kernelINS0_14default_configENS1_20scan_config_selectorIlEEZZNS1_9scan_implILNS1_25lookback_scan_determinismE0ELb0ELb0ES3_PlS8_lN6thrust23THRUST_200600_302600_NS4plusIvEElEEDaPvRmT3_T4_T5_mT6_P12ihipStream_tbENKUlT_T0_E_clISt17integral_constantIbLb0EESQ_EEDaSL_SM_EUlSL_E0_NS1_11comp_targetILNS1_3genE9ELNS1_11target_archE1100ELNS1_3gpuE3ELNS1_3repE0EEENS1_30default_config_static_selectorELNS0_4arch9wavefront6targetE1EEEvT1_.num_vgpr, 0
	.set _ZN7rocprim17ROCPRIM_400000_NS6detail17trampoline_kernelINS0_14default_configENS1_20scan_config_selectorIlEEZZNS1_9scan_implILNS1_25lookback_scan_determinismE0ELb0ELb0ES3_PlS8_lN6thrust23THRUST_200600_302600_NS4plusIvEElEEDaPvRmT3_T4_T5_mT6_P12ihipStream_tbENKUlT_T0_E_clISt17integral_constantIbLb0EESQ_EEDaSL_SM_EUlSL_E0_NS1_11comp_targetILNS1_3genE9ELNS1_11target_archE1100ELNS1_3gpuE3ELNS1_3repE0EEENS1_30default_config_static_selectorELNS0_4arch9wavefront6targetE1EEEvT1_.num_agpr, 0
	.set _ZN7rocprim17ROCPRIM_400000_NS6detail17trampoline_kernelINS0_14default_configENS1_20scan_config_selectorIlEEZZNS1_9scan_implILNS1_25lookback_scan_determinismE0ELb0ELb0ES3_PlS8_lN6thrust23THRUST_200600_302600_NS4plusIvEElEEDaPvRmT3_T4_T5_mT6_P12ihipStream_tbENKUlT_T0_E_clISt17integral_constantIbLb0EESQ_EEDaSL_SM_EUlSL_E0_NS1_11comp_targetILNS1_3genE9ELNS1_11target_archE1100ELNS1_3gpuE3ELNS1_3repE0EEENS1_30default_config_static_selectorELNS0_4arch9wavefront6targetE1EEEvT1_.numbered_sgpr, 0
	.set _ZN7rocprim17ROCPRIM_400000_NS6detail17trampoline_kernelINS0_14default_configENS1_20scan_config_selectorIlEEZZNS1_9scan_implILNS1_25lookback_scan_determinismE0ELb0ELb0ES3_PlS8_lN6thrust23THRUST_200600_302600_NS4plusIvEElEEDaPvRmT3_T4_T5_mT6_P12ihipStream_tbENKUlT_T0_E_clISt17integral_constantIbLb0EESQ_EEDaSL_SM_EUlSL_E0_NS1_11comp_targetILNS1_3genE9ELNS1_11target_archE1100ELNS1_3gpuE3ELNS1_3repE0EEENS1_30default_config_static_selectorELNS0_4arch9wavefront6targetE1EEEvT1_.num_named_barrier, 0
	.set _ZN7rocprim17ROCPRIM_400000_NS6detail17trampoline_kernelINS0_14default_configENS1_20scan_config_selectorIlEEZZNS1_9scan_implILNS1_25lookback_scan_determinismE0ELb0ELb0ES3_PlS8_lN6thrust23THRUST_200600_302600_NS4plusIvEElEEDaPvRmT3_T4_T5_mT6_P12ihipStream_tbENKUlT_T0_E_clISt17integral_constantIbLb0EESQ_EEDaSL_SM_EUlSL_E0_NS1_11comp_targetILNS1_3genE9ELNS1_11target_archE1100ELNS1_3gpuE3ELNS1_3repE0EEENS1_30default_config_static_selectorELNS0_4arch9wavefront6targetE1EEEvT1_.private_seg_size, 0
	.set _ZN7rocprim17ROCPRIM_400000_NS6detail17trampoline_kernelINS0_14default_configENS1_20scan_config_selectorIlEEZZNS1_9scan_implILNS1_25lookback_scan_determinismE0ELb0ELb0ES3_PlS8_lN6thrust23THRUST_200600_302600_NS4plusIvEElEEDaPvRmT3_T4_T5_mT6_P12ihipStream_tbENKUlT_T0_E_clISt17integral_constantIbLb0EESQ_EEDaSL_SM_EUlSL_E0_NS1_11comp_targetILNS1_3genE9ELNS1_11target_archE1100ELNS1_3gpuE3ELNS1_3repE0EEENS1_30default_config_static_selectorELNS0_4arch9wavefront6targetE1EEEvT1_.uses_vcc, 0
	.set _ZN7rocprim17ROCPRIM_400000_NS6detail17trampoline_kernelINS0_14default_configENS1_20scan_config_selectorIlEEZZNS1_9scan_implILNS1_25lookback_scan_determinismE0ELb0ELb0ES3_PlS8_lN6thrust23THRUST_200600_302600_NS4plusIvEElEEDaPvRmT3_T4_T5_mT6_P12ihipStream_tbENKUlT_T0_E_clISt17integral_constantIbLb0EESQ_EEDaSL_SM_EUlSL_E0_NS1_11comp_targetILNS1_3genE9ELNS1_11target_archE1100ELNS1_3gpuE3ELNS1_3repE0EEENS1_30default_config_static_selectorELNS0_4arch9wavefront6targetE1EEEvT1_.uses_flat_scratch, 0
	.set _ZN7rocprim17ROCPRIM_400000_NS6detail17trampoline_kernelINS0_14default_configENS1_20scan_config_selectorIlEEZZNS1_9scan_implILNS1_25lookback_scan_determinismE0ELb0ELb0ES3_PlS8_lN6thrust23THRUST_200600_302600_NS4plusIvEElEEDaPvRmT3_T4_T5_mT6_P12ihipStream_tbENKUlT_T0_E_clISt17integral_constantIbLb0EESQ_EEDaSL_SM_EUlSL_E0_NS1_11comp_targetILNS1_3genE9ELNS1_11target_archE1100ELNS1_3gpuE3ELNS1_3repE0EEENS1_30default_config_static_selectorELNS0_4arch9wavefront6targetE1EEEvT1_.has_dyn_sized_stack, 0
	.set _ZN7rocprim17ROCPRIM_400000_NS6detail17trampoline_kernelINS0_14default_configENS1_20scan_config_selectorIlEEZZNS1_9scan_implILNS1_25lookback_scan_determinismE0ELb0ELb0ES3_PlS8_lN6thrust23THRUST_200600_302600_NS4plusIvEElEEDaPvRmT3_T4_T5_mT6_P12ihipStream_tbENKUlT_T0_E_clISt17integral_constantIbLb0EESQ_EEDaSL_SM_EUlSL_E0_NS1_11comp_targetILNS1_3genE9ELNS1_11target_archE1100ELNS1_3gpuE3ELNS1_3repE0EEENS1_30default_config_static_selectorELNS0_4arch9wavefront6targetE1EEEvT1_.has_recursion, 0
	.set _ZN7rocprim17ROCPRIM_400000_NS6detail17trampoline_kernelINS0_14default_configENS1_20scan_config_selectorIlEEZZNS1_9scan_implILNS1_25lookback_scan_determinismE0ELb0ELb0ES3_PlS8_lN6thrust23THRUST_200600_302600_NS4plusIvEElEEDaPvRmT3_T4_T5_mT6_P12ihipStream_tbENKUlT_T0_E_clISt17integral_constantIbLb0EESQ_EEDaSL_SM_EUlSL_E0_NS1_11comp_targetILNS1_3genE9ELNS1_11target_archE1100ELNS1_3gpuE3ELNS1_3repE0EEENS1_30default_config_static_selectorELNS0_4arch9wavefront6targetE1EEEvT1_.has_indirect_call, 0
	.section	.AMDGPU.csdata,"",@progbits
; Kernel info:
; codeLenInByte = 0
; TotalNumSgprs: 6
; NumVgprs: 0
; NumAgprs: 0
; TotalNumVgprs: 0
; ScratchSize: 0
; MemoryBound: 0
; FloatMode: 240
; IeeeMode: 1
; LDSByteSize: 0 bytes/workgroup (compile time only)
; SGPRBlocks: 0
; VGPRBlocks: 0
; NumSGPRsForWavesPerEU: 6
; NumVGPRsForWavesPerEU: 1
; AccumOffset: 4
; Occupancy: 8
; WaveLimiterHint : 0
; COMPUTE_PGM_RSRC2:SCRATCH_EN: 0
; COMPUTE_PGM_RSRC2:USER_SGPR: 2
; COMPUTE_PGM_RSRC2:TRAP_HANDLER: 0
; COMPUTE_PGM_RSRC2:TGID_X_EN: 1
; COMPUTE_PGM_RSRC2:TGID_Y_EN: 0
; COMPUTE_PGM_RSRC2:TGID_Z_EN: 0
; COMPUTE_PGM_RSRC2:TIDIG_COMP_CNT: 0
; COMPUTE_PGM_RSRC3_GFX90A:ACCUM_OFFSET: 0
; COMPUTE_PGM_RSRC3_GFX90A:TG_SPLIT: 0
	.section	.text._ZN7rocprim17ROCPRIM_400000_NS6detail17trampoline_kernelINS0_14default_configENS1_20scan_config_selectorIlEEZZNS1_9scan_implILNS1_25lookback_scan_determinismE0ELb0ELb0ES3_PlS8_lN6thrust23THRUST_200600_302600_NS4plusIvEElEEDaPvRmT3_T4_T5_mT6_P12ihipStream_tbENKUlT_T0_E_clISt17integral_constantIbLb0EESQ_EEDaSL_SM_EUlSL_E0_NS1_11comp_targetILNS1_3genE8ELNS1_11target_archE1030ELNS1_3gpuE2ELNS1_3repE0EEENS1_30default_config_static_selectorELNS0_4arch9wavefront6targetE1EEEvT1_,"axG",@progbits,_ZN7rocprim17ROCPRIM_400000_NS6detail17trampoline_kernelINS0_14default_configENS1_20scan_config_selectorIlEEZZNS1_9scan_implILNS1_25lookback_scan_determinismE0ELb0ELb0ES3_PlS8_lN6thrust23THRUST_200600_302600_NS4plusIvEElEEDaPvRmT3_T4_T5_mT6_P12ihipStream_tbENKUlT_T0_E_clISt17integral_constantIbLb0EESQ_EEDaSL_SM_EUlSL_E0_NS1_11comp_targetILNS1_3genE8ELNS1_11target_archE1030ELNS1_3gpuE2ELNS1_3repE0EEENS1_30default_config_static_selectorELNS0_4arch9wavefront6targetE1EEEvT1_,comdat
	.protected	_ZN7rocprim17ROCPRIM_400000_NS6detail17trampoline_kernelINS0_14default_configENS1_20scan_config_selectorIlEEZZNS1_9scan_implILNS1_25lookback_scan_determinismE0ELb0ELb0ES3_PlS8_lN6thrust23THRUST_200600_302600_NS4plusIvEElEEDaPvRmT3_T4_T5_mT6_P12ihipStream_tbENKUlT_T0_E_clISt17integral_constantIbLb0EESQ_EEDaSL_SM_EUlSL_E0_NS1_11comp_targetILNS1_3genE8ELNS1_11target_archE1030ELNS1_3gpuE2ELNS1_3repE0EEENS1_30default_config_static_selectorELNS0_4arch9wavefront6targetE1EEEvT1_ ; -- Begin function _ZN7rocprim17ROCPRIM_400000_NS6detail17trampoline_kernelINS0_14default_configENS1_20scan_config_selectorIlEEZZNS1_9scan_implILNS1_25lookback_scan_determinismE0ELb0ELb0ES3_PlS8_lN6thrust23THRUST_200600_302600_NS4plusIvEElEEDaPvRmT3_T4_T5_mT6_P12ihipStream_tbENKUlT_T0_E_clISt17integral_constantIbLb0EESQ_EEDaSL_SM_EUlSL_E0_NS1_11comp_targetILNS1_3genE8ELNS1_11target_archE1030ELNS1_3gpuE2ELNS1_3repE0EEENS1_30default_config_static_selectorELNS0_4arch9wavefront6targetE1EEEvT1_
	.globl	_ZN7rocprim17ROCPRIM_400000_NS6detail17trampoline_kernelINS0_14default_configENS1_20scan_config_selectorIlEEZZNS1_9scan_implILNS1_25lookback_scan_determinismE0ELb0ELb0ES3_PlS8_lN6thrust23THRUST_200600_302600_NS4plusIvEElEEDaPvRmT3_T4_T5_mT6_P12ihipStream_tbENKUlT_T0_E_clISt17integral_constantIbLb0EESQ_EEDaSL_SM_EUlSL_E0_NS1_11comp_targetILNS1_3genE8ELNS1_11target_archE1030ELNS1_3gpuE2ELNS1_3repE0EEENS1_30default_config_static_selectorELNS0_4arch9wavefront6targetE1EEEvT1_
	.p2align	8
	.type	_ZN7rocprim17ROCPRIM_400000_NS6detail17trampoline_kernelINS0_14default_configENS1_20scan_config_selectorIlEEZZNS1_9scan_implILNS1_25lookback_scan_determinismE0ELb0ELb0ES3_PlS8_lN6thrust23THRUST_200600_302600_NS4plusIvEElEEDaPvRmT3_T4_T5_mT6_P12ihipStream_tbENKUlT_T0_E_clISt17integral_constantIbLb0EESQ_EEDaSL_SM_EUlSL_E0_NS1_11comp_targetILNS1_3genE8ELNS1_11target_archE1030ELNS1_3gpuE2ELNS1_3repE0EEENS1_30default_config_static_selectorELNS0_4arch9wavefront6targetE1EEEvT1_,@function
_ZN7rocprim17ROCPRIM_400000_NS6detail17trampoline_kernelINS0_14default_configENS1_20scan_config_selectorIlEEZZNS1_9scan_implILNS1_25lookback_scan_determinismE0ELb0ELb0ES3_PlS8_lN6thrust23THRUST_200600_302600_NS4plusIvEElEEDaPvRmT3_T4_T5_mT6_P12ihipStream_tbENKUlT_T0_E_clISt17integral_constantIbLb0EESQ_EEDaSL_SM_EUlSL_E0_NS1_11comp_targetILNS1_3genE8ELNS1_11target_archE1030ELNS1_3gpuE2ELNS1_3repE0EEENS1_30default_config_static_selectorELNS0_4arch9wavefront6targetE1EEEvT1_: ; @_ZN7rocprim17ROCPRIM_400000_NS6detail17trampoline_kernelINS0_14default_configENS1_20scan_config_selectorIlEEZZNS1_9scan_implILNS1_25lookback_scan_determinismE0ELb0ELb0ES3_PlS8_lN6thrust23THRUST_200600_302600_NS4plusIvEElEEDaPvRmT3_T4_T5_mT6_P12ihipStream_tbENKUlT_T0_E_clISt17integral_constantIbLb0EESQ_EEDaSL_SM_EUlSL_E0_NS1_11comp_targetILNS1_3genE8ELNS1_11target_archE1030ELNS1_3gpuE2ELNS1_3repE0EEENS1_30default_config_static_selectorELNS0_4arch9wavefront6targetE1EEEvT1_
; %bb.0:
	.section	.rodata,"a",@progbits
	.p2align	6, 0x0
	.amdhsa_kernel _ZN7rocprim17ROCPRIM_400000_NS6detail17trampoline_kernelINS0_14default_configENS1_20scan_config_selectorIlEEZZNS1_9scan_implILNS1_25lookback_scan_determinismE0ELb0ELb0ES3_PlS8_lN6thrust23THRUST_200600_302600_NS4plusIvEElEEDaPvRmT3_T4_T5_mT6_P12ihipStream_tbENKUlT_T0_E_clISt17integral_constantIbLb0EESQ_EEDaSL_SM_EUlSL_E0_NS1_11comp_targetILNS1_3genE8ELNS1_11target_archE1030ELNS1_3gpuE2ELNS1_3repE0EEENS1_30default_config_static_selectorELNS0_4arch9wavefront6targetE1EEEvT1_
		.amdhsa_group_segment_fixed_size 0
		.amdhsa_private_segment_fixed_size 0
		.amdhsa_kernarg_size 40
		.amdhsa_user_sgpr_count 2
		.amdhsa_user_sgpr_dispatch_ptr 0
		.amdhsa_user_sgpr_queue_ptr 0
		.amdhsa_user_sgpr_kernarg_segment_ptr 1
		.amdhsa_user_sgpr_dispatch_id 0
		.amdhsa_user_sgpr_kernarg_preload_length 0
		.amdhsa_user_sgpr_kernarg_preload_offset 0
		.amdhsa_user_sgpr_private_segment_size 0
		.amdhsa_uses_dynamic_stack 0
		.amdhsa_enable_private_segment 0
		.amdhsa_system_sgpr_workgroup_id_x 1
		.amdhsa_system_sgpr_workgroup_id_y 0
		.amdhsa_system_sgpr_workgroup_id_z 0
		.amdhsa_system_sgpr_workgroup_info 0
		.amdhsa_system_vgpr_workitem_id 0
		.amdhsa_next_free_vgpr 1
		.amdhsa_next_free_sgpr 0
		.amdhsa_accum_offset 4
		.amdhsa_reserve_vcc 0
		.amdhsa_float_round_mode_32 0
		.amdhsa_float_round_mode_16_64 0
		.amdhsa_float_denorm_mode_32 3
		.amdhsa_float_denorm_mode_16_64 3
		.amdhsa_dx10_clamp 1
		.amdhsa_ieee_mode 1
		.amdhsa_fp16_overflow 0
		.amdhsa_tg_split 0
		.amdhsa_exception_fp_ieee_invalid_op 0
		.amdhsa_exception_fp_denorm_src 0
		.amdhsa_exception_fp_ieee_div_zero 0
		.amdhsa_exception_fp_ieee_overflow 0
		.amdhsa_exception_fp_ieee_underflow 0
		.amdhsa_exception_fp_ieee_inexact 0
		.amdhsa_exception_int_div_zero 0
	.end_amdhsa_kernel
	.section	.text._ZN7rocprim17ROCPRIM_400000_NS6detail17trampoline_kernelINS0_14default_configENS1_20scan_config_selectorIlEEZZNS1_9scan_implILNS1_25lookback_scan_determinismE0ELb0ELb0ES3_PlS8_lN6thrust23THRUST_200600_302600_NS4plusIvEElEEDaPvRmT3_T4_T5_mT6_P12ihipStream_tbENKUlT_T0_E_clISt17integral_constantIbLb0EESQ_EEDaSL_SM_EUlSL_E0_NS1_11comp_targetILNS1_3genE8ELNS1_11target_archE1030ELNS1_3gpuE2ELNS1_3repE0EEENS1_30default_config_static_selectorELNS0_4arch9wavefront6targetE1EEEvT1_,"axG",@progbits,_ZN7rocprim17ROCPRIM_400000_NS6detail17trampoline_kernelINS0_14default_configENS1_20scan_config_selectorIlEEZZNS1_9scan_implILNS1_25lookback_scan_determinismE0ELb0ELb0ES3_PlS8_lN6thrust23THRUST_200600_302600_NS4plusIvEElEEDaPvRmT3_T4_T5_mT6_P12ihipStream_tbENKUlT_T0_E_clISt17integral_constantIbLb0EESQ_EEDaSL_SM_EUlSL_E0_NS1_11comp_targetILNS1_3genE8ELNS1_11target_archE1030ELNS1_3gpuE2ELNS1_3repE0EEENS1_30default_config_static_selectorELNS0_4arch9wavefront6targetE1EEEvT1_,comdat
.Lfunc_end101:
	.size	_ZN7rocprim17ROCPRIM_400000_NS6detail17trampoline_kernelINS0_14default_configENS1_20scan_config_selectorIlEEZZNS1_9scan_implILNS1_25lookback_scan_determinismE0ELb0ELb0ES3_PlS8_lN6thrust23THRUST_200600_302600_NS4plusIvEElEEDaPvRmT3_T4_T5_mT6_P12ihipStream_tbENKUlT_T0_E_clISt17integral_constantIbLb0EESQ_EEDaSL_SM_EUlSL_E0_NS1_11comp_targetILNS1_3genE8ELNS1_11target_archE1030ELNS1_3gpuE2ELNS1_3repE0EEENS1_30default_config_static_selectorELNS0_4arch9wavefront6targetE1EEEvT1_, .Lfunc_end101-_ZN7rocprim17ROCPRIM_400000_NS6detail17trampoline_kernelINS0_14default_configENS1_20scan_config_selectorIlEEZZNS1_9scan_implILNS1_25lookback_scan_determinismE0ELb0ELb0ES3_PlS8_lN6thrust23THRUST_200600_302600_NS4plusIvEElEEDaPvRmT3_T4_T5_mT6_P12ihipStream_tbENKUlT_T0_E_clISt17integral_constantIbLb0EESQ_EEDaSL_SM_EUlSL_E0_NS1_11comp_targetILNS1_3genE8ELNS1_11target_archE1030ELNS1_3gpuE2ELNS1_3repE0EEENS1_30default_config_static_selectorELNS0_4arch9wavefront6targetE1EEEvT1_
                                        ; -- End function
	.set _ZN7rocprim17ROCPRIM_400000_NS6detail17trampoline_kernelINS0_14default_configENS1_20scan_config_selectorIlEEZZNS1_9scan_implILNS1_25lookback_scan_determinismE0ELb0ELb0ES3_PlS8_lN6thrust23THRUST_200600_302600_NS4plusIvEElEEDaPvRmT3_T4_T5_mT6_P12ihipStream_tbENKUlT_T0_E_clISt17integral_constantIbLb0EESQ_EEDaSL_SM_EUlSL_E0_NS1_11comp_targetILNS1_3genE8ELNS1_11target_archE1030ELNS1_3gpuE2ELNS1_3repE0EEENS1_30default_config_static_selectorELNS0_4arch9wavefront6targetE1EEEvT1_.num_vgpr, 0
	.set _ZN7rocprim17ROCPRIM_400000_NS6detail17trampoline_kernelINS0_14default_configENS1_20scan_config_selectorIlEEZZNS1_9scan_implILNS1_25lookback_scan_determinismE0ELb0ELb0ES3_PlS8_lN6thrust23THRUST_200600_302600_NS4plusIvEElEEDaPvRmT3_T4_T5_mT6_P12ihipStream_tbENKUlT_T0_E_clISt17integral_constantIbLb0EESQ_EEDaSL_SM_EUlSL_E0_NS1_11comp_targetILNS1_3genE8ELNS1_11target_archE1030ELNS1_3gpuE2ELNS1_3repE0EEENS1_30default_config_static_selectorELNS0_4arch9wavefront6targetE1EEEvT1_.num_agpr, 0
	.set _ZN7rocprim17ROCPRIM_400000_NS6detail17trampoline_kernelINS0_14default_configENS1_20scan_config_selectorIlEEZZNS1_9scan_implILNS1_25lookback_scan_determinismE0ELb0ELb0ES3_PlS8_lN6thrust23THRUST_200600_302600_NS4plusIvEElEEDaPvRmT3_T4_T5_mT6_P12ihipStream_tbENKUlT_T0_E_clISt17integral_constantIbLb0EESQ_EEDaSL_SM_EUlSL_E0_NS1_11comp_targetILNS1_3genE8ELNS1_11target_archE1030ELNS1_3gpuE2ELNS1_3repE0EEENS1_30default_config_static_selectorELNS0_4arch9wavefront6targetE1EEEvT1_.numbered_sgpr, 0
	.set _ZN7rocprim17ROCPRIM_400000_NS6detail17trampoline_kernelINS0_14default_configENS1_20scan_config_selectorIlEEZZNS1_9scan_implILNS1_25lookback_scan_determinismE0ELb0ELb0ES3_PlS8_lN6thrust23THRUST_200600_302600_NS4plusIvEElEEDaPvRmT3_T4_T5_mT6_P12ihipStream_tbENKUlT_T0_E_clISt17integral_constantIbLb0EESQ_EEDaSL_SM_EUlSL_E0_NS1_11comp_targetILNS1_3genE8ELNS1_11target_archE1030ELNS1_3gpuE2ELNS1_3repE0EEENS1_30default_config_static_selectorELNS0_4arch9wavefront6targetE1EEEvT1_.num_named_barrier, 0
	.set _ZN7rocprim17ROCPRIM_400000_NS6detail17trampoline_kernelINS0_14default_configENS1_20scan_config_selectorIlEEZZNS1_9scan_implILNS1_25lookback_scan_determinismE0ELb0ELb0ES3_PlS8_lN6thrust23THRUST_200600_302600_NS4plusIvEElEEDaPvRmT3_T4_T5_mT6_P12ihipStream_tbENKUlT_T0_E_clISt17integral_constantIbLb0EESQ_EEDaSL_SM_EUlSL_E0_NS1_11comp_targetILNS1_3genE8ELNS1_11target_archE1030ELNS1_3gpuE2ELNS1_3repE0EEENS1_30default_config_static_selectorELNS0_4arch9wavefront6targetE1EEEvT1_.private_seg_size, 0
	.set _ZN7rocprim17ROCPRIM_400000_NS6detail17trampoline_kernelINS0_14default_configENS1_20scan_config_selectorIlEEZZNS1_9scan_implILNS1_25lookback_scan_determinismE0ELb0ELb0ES3_PlS8_lN6thrust23THRUST_200600_302600_NS4plusIvEElEEDaPvRmT3_T4_T5_mT6_P12ihipStream_tbENKUlT_T0_E_clISt17integral_constantIbLb0EESQ_EEDaSL_SM_EUlSL_E0_NS1_11comp_targetILNS1_3genE8ELNS1_11target_archE1030ELNS1_3gpuE2ELNS1_3repE0EEENS1_30default_config_static_selectorELNS0_4arch9wavefront6targetE1EEEvT1_.uses_vcc, 0
	.set _ZN7rocprim17ROCPRIM_400000_NS6detail17trampoline_kernelINS0_14default_configENS1_20scan_config_selectorIlEEZZNS1_9scan_implILNS1_25lookback_scan_determinismE0ELb0ELb0ES3_PlS8_lN6thrust23THRUST_200600_302600_NS4plusIvEElEEDaPvRmT3_T4_T5_mT6_P12ihipStream_tbENKUlT_T0_E_clISt17integral_constantIbLb0EESQ_EEDaSL_SM_EUlSL_E0_NS1_11comp_targetILNS1_3genE8ELNS1_11target_archE1030ELNS1_3gpuE2ELNS1_3repE0EEENS1_30default_config_static_selectorELNS0_4arch9wavefront6targetE1EEEvT1_.uses_flat_scratch, 0
	.set _ZN7rocprim17ROCPRIM_400000_NS6detail17trampoline_kernelINS0_14default_configENS1_20scan_config_selectorIlEEZZNS1_9scan_implILNS1_25lookback_scan_determinismE0ELb0ELb0ES3_PlS8_lN6thrust23THRUST_200600_302600_NS4plusIvEElEEDaPvRmT3_T4_T5_mT6_P12ihipStream_tbENKUlT_T0_E_clISt17integral_constantIbLb0EESQ_EEDaSL_SM_EUlSL_E0_NS1_11comp_targetILNS1_3genE8ELNS1_11target_archE1030ELNS1_3gpuE2ELNS1_3repE0EEENS1_30default_config_static_selectorELNS0_4arch9wavefront6targetE1EEEvT1_.has_dyn_sized_stack, 0
	.set _ZN7rocprim17ROCPRIM_400000_NS6detail17trampoline_kernelINS0_14default_configENS1_20scan_config_selectorIlEEZZNS1_9scan_implILNS1_25lookback_scan_determinismE0ELb0ELb0ES3_PlS8_lN6thrust23THRUST_200600_302600_NS4plusIvEElEEDaPvRmT3_T4_T5_mT6_P12ihipStream_tbENKUlT_T0_E_clISt17integral_constantIbLb0EESQ_EEDaSL_SM_EUlSL_E0_NS1_11comp_targetILNS1_3genE8ELNS1_11target_archE1030ELNS1_3gpuE2ELNS1_3repE0EEENS1_30default_config_static_selectorELNS0_4arch9wavefront6targetE1EEEvT1_.has_recursion, 0
	.set _ZN7rocprim17ROCPRIM_400000_NS6detail17trampoline_kernelINS0_14default_configENS1_20scan_config_selectorIlEEZZNS1_9scan_implILNS1_25lookback_scan_determinismE0ELb0ELb0ES3_PlS8_lN6thrust23THRUST_200600_302600_NS4plusIvEElEEDaPvRmT3_T4_T5_mT6_P12ihipStream_tbENKUlT_T0_E_clISt17integral_constantIbLb0EESQ_EEDaSL_SM_EUlSL_E0_NS1_11comp_targetILNS1_3genE8ELNS1_11target_archE1030ELNS1_3gpuE2ELNS1_3repE0EEENS1_30default_config_static_selectorELNS0_4arch9wavefront6targetE1EEEvT1_.has_indirect_call, 0
	.section	.AMDGPU.csdata,"",@progbits
; Kernel info:
; codeLenInByte = 0
; TotalNumSgprs: 6
; NumVgprs: 0
; NumAgprs: 0
; TotalNumVgprs: 0
; ScratchSize: 0
; MemoryBound: 0
; FloatMode: 240
; IeeeMode: 1
; LDSByteSize: 0 bytes/workgroup (compile time only)
; SGPRBlocks: 0
; VGPRBlocks: 0
; NumSGPRsForWavesPerEU: 6
; NumVGPRsForWavesPerEU: 1
; AccumOffset: 4
; Occupancy: 8
; WaveLimiterHint : 0
; COMPUTE_PGM_RSRC2:SCRATCH_EN: 0
; COMPUTE_PGM_RSRC2:USER_SGPR: 2
; COMPUTE_PGM_RSRC2:TRAP_HANDLER: 0
; COMPUTE_PGM_RSRC2:TGID_X_EN: 1
; COMPUTE_PGM_RSRC2:TGID_Y_EN: 0
; COMPUTE_PGM_RSRC2:TGID_Z_EN: 0
; COMPUTE_PGM_RSRC2:TIDIG_COMP_CNT: 0
; COMPUTE_PGM_RSRC3_GFX90A:ACCUM_OFFSET: 0
; COMPUTE_PGM_RSRC3_GFX90A:TG_SPLIT: 0
	.section	.text._ZN7rocprim17ROCPRIM_400000_NS6detail31init_lookback_scan_state_kernelINS1_19lookback_scan_stateIlLb1ELb1EEENS1_16block_id_wrapperIjLb1EEEEEvT_jT0_jPNS7_10value_typeE,"axG",@progbits,_ZN7rocprim17ROCPRIM_400000_NS6detail31init_lookback_scan_state_kernelINS1_19lookback_scan_stateIlLb1ELb1EEENS1_16block_id_wrapperIjLb1EEEEEvT_jT0_jPNS7_10value_typeE,comdat
	.protected	_ZN7rocprim17ROCPRIM_400000_NS6detail31init_lookback_scan_state_kernelINS1_19lookback_scan_stateIlLb1ELb1EEENS1_16block_id_wrapperIjLb1EEEEEvT_jT0_jPNS7_10value_typeE ; -- Begin function _ZN7rocprim17ROCPRIM_400000_NS6detail31init_lookback_scan_state_kernelINS1_19lookback_scan_stateIlLb1ELb1EEENS1_16block_id_wrapperIjLb1EEEEEvT_jT0_jPNS7_10value_typeE
	.globl	_ZN7rocprim17ROCPRIM_400000_NS6detail31init_lookback_scan_state_kernelINS1_19lookback_scan_stateIlLb1ELb1EEENS1_16block_id_wrapperIjLb1EEEEEvT_jT0_jPNS7_10value_typeE
	.p2align	8
	.type	_ZN7rocprim17ROCPRIM_400000_NS6detail31init_lookback_scan_state_kernelINS1_19lookback_scan_stateIlLb1ELb1EEENS1_16block_id_wrapperIjLb1EEEEEvT_jT0_jPNS7_10value_typeE,@function
_ZN7rocprim17ROCPRIM_400000_NS6detail31init_lookback_scan_state_kernelINS1_19lookback_scan_stateIlLb1ELb1EEENS1_16block_id_wrapperIjLb1EEEEEvT_jT0_jPNS7_10value_typeE: ; @_ZN7rocprim17ROCPRIM_400000_NS6detail31init_lookback_scan_state_kernelINS1_19lookback_scan_stateIlLb1ELb1EEENS1_16block_id_wrapperIjLb1EEEEEvT_jT0_jPNS7_10value_typeE
; %bb.0:
	s_load_dword s3, s[0:1], 0x34
	s_load_dwordx2 s[6:7], s[0:1], 0x20
	s_load_dwordx2 s[4:5], s[0:1], 0x0
	s_load_dword s14, s[0:1], 0x8
	s_waitcnt lgkmcnt(0)
	s_and_b32 s3, s3, 0xffff
	s_mul_i32 s2, s2, s3
	s_cmp_eq_u64 s[6:7], 0
	v_add_u32_e32 v0, s2, v0
	s_cbranch_scc1 .LBB102_10
; %bb.1:
	s_load_dword s8, s[0:1], 0x18
	s_mov_b32 s9, 0
	s_waitcnt lgkmcnt(0)
	s_cmp_lt_u32 s8, s14
	s_cselect_b32 s2, s8, 0
	v_cmp_eq_u32_e32 vcc, s2, v0
	s_and_saveexec_b64 s[2:3], vcc
	s_cbranch_execz .LBB102_9
; %bb.2:
	s_add_i32 s8, s8, 64
	s_lshl_b64 s[8:9], s[8:9], 4
	s_add_u32 s12, s4, s8
	s_addc_u32 s13, s5, s9
	v_mov_b64_e32 v[2:3], s[12:13]
	;;#ASMSTART
	global_load_dwordx4 v[2:5], v[2:3] off sc1	
s_waitcnt vmcnt(0)
	;;#ASMEND
	v_mov_b32_e32 v7, 0
	v_and_b32_e32 v6, 0xff, v4
	s_mov_b64 s[10:11], 0
	v_cmp_eq_u64_e32 vcc, 0, v[6:7]
	s_and_saveexec_b64 s[8:9], vcc
	s_cbranch_execz .LBB102_8
; %bb.3:
	s_mov_b32 s15, 1
	v_mov_b64_e32 v[8:9], s[12:13]
.LBB102_4:                              ; =>This Loop Header: Depth=1
                                        ;     Child Loop BB102_5 Depth 2
	s_mov_b32 s12, s15
.LBB102_5:                              ;   Parent Loop BB102_4 Depth=1
                                        ; =>  This Inner Loop Header: Depth=2
	s_add_i32 s12, s12, -1
	s_cmp_eq_u32 s12, 0
	s_sleep 1
	s_cbranch_scc0 .LBB102_5
; %bb.6:                                ;   in Loop: Header=BB102_4 Depth=1
	s_cmp_lt_u32 s15, 32
	s_cselect_b64 s[12:13], -1, 0
	s_cmp_lg_u64 s[12:13], 0
	;;#ASMSTART
	global_load_dwordx4 v[2:5], v[8:9] off sc1	
s_waitcnt vmcnt(0)
	;;#ASMEND
	s_addc_u32 s15, s15, 0
	v_and_b32_e32 v6, 0xff, v4
	v_cmp_ne_u64_e32 vcc, 0, v[6:7]
	s_or_b64 s[10:11], vcc, s[10:11]
	s_andn2_b64 exec, exec, s[10:11]
	s_cbranch_execnz .LBB102_4
; %bb.7:
	s_or_b64 exec, exec, s[10:11]
.LBB102_8:
	s_or_b64 exec, exec, s[8:9]
	v_mov_b32_e32 v1, 0
	global_store_dwordx2 v1, v[2:3], s[6:7]
.LBB102_9:
	s_or_b64 exec, exec, s[2:3]
.LBB102_10:
	v_cmp_eq_u32_e32 vcc, 0, v0
	s_and_saveexec_b64 s[2:3], vcc
	s_cbranch_execnz .LBB102_14
; %bb.11:
	s_or_b64 exec, exec, s[2:3]
	v_cmp_gt_u32_e32 vcc, s14, v0
	s_and_saveexec_b64 s[0:1], vcc
	s_cbranch_execnz .LBB102_15
.LBB102_12:
	s_or_b64 exec, exec, s[0:1]
	v_cmp_gt_u32_e32 vcc, 64, v0
	s_and_saveexec_b64 s[0:1], vcc
	s_cbranch_execnz .LBB102_16
.LBB102_13:
	s_endpgm
.LBB102_14:
	s_load_dwordx2 s[0:1], s[0:1], 0x10
	v_mov_b32_e32 v1, 0
	s_waitcnt lgkmcnt(0)
	global_store_dword v1, v1, s[0:1]
	s_or_b64 exec, exec, s[2:3]
	v_cmp_gt_u32_e32 vcc, s14, v0
	s_and_saveexec_b64 s[0:1], vcc
	s_cbranch_execz .LBB102_12
.LBB102_15:
	v_add_u32_e32 v2, 64, v0
	v_mov_b32_e32 v3, 0
	v_lshl_add_u64 v[6:7], v[2:3], 4, s[4:5]
	v_mov_b32_e32 v2, v3
	v_mov_b32_e32 v4, v3
	;; [unrolled: 1-line block ×3, first 2 shown]
	global_store_dwordx4 v[6:7], v[2:5], off
	s_or_b64 exec, exec, s[0:1]
	v_cmp_gt_u32_e32 vcc, 64, v0
	s_and_saveexec_b64 s[0:1], vcc
	s_cbranch_execz .LBB102_13
.LBB102_16:
	v_mov_b32_e32 v1, 0
	v_lshl_add_u64 v[4:5], v[0:1], 4, s[4:5]
	v_mov_b32_e32 v2, 0xff
	v_mov_b32_e32 v0, v1
	;; [unrolled: 1-line block ×3, first 2 shown]
	global_store_dwordx4 v[4:5], v[0:3], off
	s_endpgm
	.section	.rodata,"a",@progbits
	.p2align	6, 0x0
	.amdhsa_kernel _ZN7rocprim17ROCPRIM_400000_NS6detail31init_lookback_scan_state_kernelINS1_19lookback_scan_stateIlLb1ELb1EEENS1_16block_id_wrapperIjLb1EEEEEvT_jT0_jPNS7_10value_typeE
		.amdhsa_group_segment_fixed_size 0
		.amdhsa_private_segment_fixed_size 0
		.amdhsa_kernarg_size 296
		.amdhsa_user_sgpr_count 2
		.amdhsa_user_sgpr_dispatch_ptr 0
		.amdhsa_user_sgpr_queue_ptr 0
		.amdhsa_user_sgpr_kernarg_segment_ptr 1
		.amdhsa_user_sgpr_dispatch_id 0
		.amdhsa_user_sgpr_kernarg_preload_length 0
		.amdhsa_user_sgpr_kernarg_preload_offset 0
		.amdhsa_user_sgpr_private_segment_size 0
		.amdhsa_uses_dynamic_stack 0
		.amdhsa_enable_private_segment 0
		.amdhsa_system_sgpr_workgroup_id_x 1
		.amdhsa_system_sgpr_workgroup_id_y 0
		.amdhsa_system_sgpr_workgroup_id_z 0
		.amdhsa_system_sgpr_workgroup_info 0
		.amdhsa_system_vgpr_workitem_id 0
		.amdhsa_next_free_vgpr 10
		.amdhsa_next_free_sgpr 16
		.amdhsa_accum_offset 12
		.amdhsa_reserve_vcc 1
		.amdhsa_float_round_mode_32 0
		.amdhsa_float_round_mode_16_64 0
		.amdhsa_float_denorm_mode_32 3
		.amdhsa_float_denorm_mode_16_64 3
		.amdhsa_dx10_clamp 1
		.amdhsa_ieee_mode 1
		.amdhsa_fp16_overflow 0
		.amdhsa_tg_split 0
		.amdhsa_exception_fp_ieee_invalid_op 0
		.amdhsa_exception_fp_denorm_src 0
		.amdhsa_exception_fp_ieee_div_zero 0
		.amdhsa_exception_fp_ieee_overflow 0
		.amdhsa_exception_fp_ieee_underflow 0
		.amdhsa_exception_fp_ieee_inexact 0
		.amdhsa_exception_int_div_zero 0
	.end_amdhsa_kernel
	.section	.text._ZN7rocprim17ROCPRIM_400000_NS6detail31init_lookback_scan_state_kernelINS1_19lookback_scan_stateIlLb1ELb1EEENS1_16block_id_wrapperIjLb1EEEEEvT_jT0_jPNS7_10value_typeE,"axG",@progbits,_ZN7rocprim17ROCPRIM_400000_NS6detail31init_lookback_scan_state_kernelINS1_19lookback_scan_stateIlLb1ELb1EEENS1_16block_id_wrapperIjLb1EEEEEvT_jT0_jPNS7_10value_typeE,comdat
.Lfunc_end102:
	.size	_ZN7rocprim17ROCPRIM_400000_NS6detail31init_lookback_scan_state_kernelINS1_19lookback_scan_stateIlLb1ELb1EEENS1_16block_id_wrapperIjLb1EEEEEvT_jT0_jPNS7_10value_typeE, .Lfunc_end102-_ZN7rocprim17ROCPRIM_400000_NS6detail31init_lookback_scan_state_kernelINS1_19lookback_scan_stateIlLb1ELb1EEENS1_16block_id_wrapperIjLb1EEEEEvT_jT0_jPNS7_10value_typeE
                                        ; -- End function
	.set _ZN7rocprim17ROCPRIM_400000_NS6detail31init_lookback_scan_state_kernelINS1_19lookback_scan_stateIlLb1ELb1EEENS1_16block_id_wrapperIjLb1EEEEEvT_jT0_jPNS7_10value_typeE.num_vgpr, 10
	.set _ZN7rocprim17ROCPRIM_400000_NS6detail31init_lookback_scan_state_kernelINS1_19lookback_scan_stateIlLb1ELb1EEENS1_16block_id_wrapperIjLb1EEEEEvT_jT0_jPNS7_10value_typeE.num_agpr, 0
	.set _ZN7rocprim17ROCPRIM_400000_NS6detail31init_lookback_scan_state_kernelINS1_19lookback_scan_stateIlLb1ELb1EEENS1_16block_id_wrapperIjLb1EEEEEvT_jT0_jPNS7_10value_typeE.numbered_sgpr, 16
	.set _ZN7rocprim17ROCPRIM_400000_NS6detail31init_lookback_scan_state_kernelINS1_19lookback_scan_stateIlLb1ELb1EEENS1_16block_id_wrapperIjLb1EEEEEvT_jT0_jPNS7_10value_typeE.num_named_barrier, 0
	.set _ZN7rocprim17ROCPRIM_400000_NS6detail31init_lookback_scan_state_kernelINS1_19lookback_scan_stateIlLb1ELb1EEENS1_16block_id_wrapperIjLb1EEEEEvT_jT0_jPNS7_10value_typeE.private_seg_size, 0
	.set _ZN7rocprim17ROCPRIM_400000_NS6detail31init_lookback_scan_state_kernelINS1_19lookback_scan_stateIlLb1ELb1EEENS1_16block_id_wrapperIjLb1EEEEEvT_jT0_jPNS7_10value_typeE.uses_vcc, 1
	.set _ZN7rocprim17ROCPRIM_400000_NS6detail31init_lookback_scan_state_kernelINS1_19lookback_scan_stateIlLb1ELb1EEENS1_16block_id_wrapperIjLb1EEEEEvT_jT0_jPNS7_10value_typeE.uses_flat_scratch, 0
	.set _ZN7rocprim17ROCPRIM_400000_NS6detail31init_lookback_scan_state_kernelINS1_19lookback_scan_stateIlLb1ELb1EEENS1_16block_id_wrapperIjLb1EEEEEvT_jT0_jPNS7_10value_typeE.has_dyn_sized_stack, 0
	.set _ZN7rocprim17ROCPRIM_400000_NS6detail31init_lookback_scan_state_kernelINS1_19lookback_scan_stateIlLb1ELb1EEENS1_16block_id_wrapperIjLb1EEEEEvT_jT0_jPNS7_10value_typeE.has_recursion, 0
	.set _ZN7rocprim17ROCPRIM_400000_NS6detail31init_lookback_scan_state_kernelINS1_19lookback_scan_stateIlLb1ELb1EEENS1_16block_id_wrapperIjLb1EEEEEvT_jT0_jPNS7_10value_typeE.has_indirect_call, 0
	.section	.AMDGPU.csdata,"",@progbits
; Kernel info:
; codeLenInByte = 480
; TotalNumSgprs: 22
; NumVgprs: 10
; NumAgprs: 0
; TotalNumVgprs: 10
; ScratchSize: 0
; MemoryBound: 0
; FloatMode: 240
; IeeeMode: 1
; LDSByteSize: 0 bytes/workgroup (compile time only)
; SGPRBlocks: 2
; VGPRBlocks: 1
; NumSGPRsForWavesPerEU: 22
; NumVGPRsForWavesPerEU: 10
; AccumOffset: 12
; Occupancy: 8
; WaveLimiterHint : 0
; COMPUTE_PGM_RSRC2:SCRATCH_EN: 0
; COMPUTE_PGM_RSRC2:USER_SGPR: 2
; COMPUTE_PGM_RSRC2:TRAP_HANDLER: 0
; COMPUTE_PGM_RSRC2:TGID_X_EN: 1
; COMPUTE_PGM_RSRC2:TGID_Y_EN: 0
; COMPUTE_PGM_RSRC2:TGID_Z_EN: 0
; COMPUTE_PGM_RSRC2:TIDIG_COMP_CNT: 0
; COMPUTE_PGM_RSRC3_GFX90A:ACCUM_OFFSET: 2
; COMPUTE_PGM_RSRC3_GFX90A:TG_SPLIT: 0
	.section	.text._ZN7rocprim17ROCPRIM_400000_NS6detail17trampoline_kernelINS0_14default_configENS1_20scan_config_selectorIlEEZZNS1_9scan_implILNS1_25lookback_scan_determinismE0ELb0ELb0ES3_PlS8_lN6thrust23THRUST_200600_302600_NS4plusIvEElEEDaPvRmT3_T4_T5_mT6_P12ihipStream_tbENKUlT_T0_E_clISt17integral_constantIbLb1EESQ_EEDaSL_SM_EUlSL_E_NS1_11comp_targetILNS1_3genE0ELNS1_11target_archE4294967295ELNS1_3gpuE0ELNS1_3repE0EEENS1_30default_config_static_selectorELNS0_4arch9wavefront6targetE1EEEvT1_,"axG",@progbits,_ZN7rocprim17ROCPRIM_400000_NS6detail17trampoline_kernelINS0_14default_configENS1_20scan_config_selectorIlEEZZNS1_9scan_implILNS1_25lookback_scan_determinismE0ELb0ELb0ES3_PlS8_lN6thrust23THRUST_200600_302600_NS4plusIvEElEEDaPvRmT3_T4_T5_mT6_P12ihipStream_tbENKUlT_T0_E_clISt17integral_constantIbLb1EESQ_EEDaSL_SM_EUlSL_E_NS1_11comp_targetILNS1_3genE0ELNS1_11target_archE4294967295ELNS1_3gpuE0ELNS1_3repE0EEENS1_30default_config_static_selectorELNS0_4arch9wavefront6targetE1EEEvT1_,comdat
	.protected	_ZN7rocprim17ROCPRIM_400000_NS6detail17trampoline_kernelINS0_14default_configENS1_20scan_config_selectorIlEEZZNS1_9scan_implILNS1_25lookback_scan_determinismE0ELb0ELb0ES3_PlS8_lN6thrust23THRUST_200600_302600_NS4plusIvEElEEDaPvRmT3_T4_T5_mT6_P12ihipStream_tbENKUlT_T0_E_clISt17integral_constantIbLb1EESQ_EEDaSL_SM_EUlSL_E_NS1_11comp_targetILNS1_3genE0ELNS1_11target_archE4294967295ELNS1_3gpuE0ELNS1_3repE0EEENS1_30default_config_static_selectorELNS0_4arch9wavefront6targetE1EEEvT1_ ; -- Begin function _ZN7rocprim17ROCPRIM_400000_NS6detail17trampoline_kernelINS0_14default_configENS1_20scan_config_selectorIlEEZZNS1_9scan_implILNS1_25lookback_scan_determinismE0ELb0ELb0ES3_PlS8_lN6thrust23THRUST_200600_302600_NS4plusIvEElEEDaPvRmT3_T4_T5_mT6_P12ihipStream_tbENKUlT_T0_E_clISt17integral_constantIbLb1EESQ_EEDaSL_SM_EUlSL_E_NS1_11comp_targetILNS1_3genE0ELNS1_11target_archE4294967295ELNS1_3gpuE0ELNS1_3repE0EEENS1_30default_config_static_selectorELNS0_4arch9wavefront6targetE1EEEvT1_
	.globl	_ZN7rocprim17ROCPRIM_400000_NS6detail17trampoline_kernelINS0_14default_configENS1_20scan_config_selectorIlEEZZNS1_9scan_implILNS1_25lookback_scan_determinismE0ELb0ELb0ES3_PlS8_lN6thrust23THRUST_200600_302600_NS4plusIvEElEEDaPvRmT3_T4_T5_mT6_P12ihipStream_tbENKUlT_T0_E_clISt17integral_constantIbLb1EESQ_EEDaSL_SM_EUlSL_E_NS1_11comp_targetILNS1_3genE0ELNS1_11target_archE4294967295ELNS1_3gpuE0ELNS1_3repE0EEENS1_30default_config_static_selectorELNS0_4arch9wavefront6targetE1EEEvT1_
	.p2align	8
	.type	_ZN7rocprim17ROCPRIM_400000_NS6detail17trampoline_kernelINS0_14default_configENS1_20scan_config_selectorIlEEZZNS1_9scan_implILNS1_25lookback_scan_determinismE0ELb0ELb0ES3_PlS8_lN6thrust23THRUST_200600_302600_NS4plusIvEElEEDaPvRmT3_T4_T5_mT6_P12ihipStream_tbENKUlT_T0_E_clISt17integral_constantIbLb1EESQ_EEDaSL_SM_EUlSL_E_NS1_11comp_targetILNS1_3genE0ELNS1_11target_archE4294967295ELNS1_3gpuE0ELNS1_3repE0EEENS1_30default_config_static_selectorELNS0_4arch9wavefront6targetE1EEEvT1_,@function
_ZN7rocprim17ROCPRIM_400000_NS6detail17trampoline_kernelINS0_14default_configENS1_20scan_config_selectorIlEEZZNS1_9scan_implILNS1_25lookback_scan_determinismE0ELb0ELb0ES3_PlS8_lN6thrust23THRUST_200600_302600_NS4plusIvEElEEDaPvRmT3_T4_T5_mT6_P12ihipStream_tbENKUlT_T0_E_clISt17integral_constantIbLb1EESQ_EEDaSL_SM_EUlSL_E_NS1_11comp_targetILNS1_3genE0ELNS1_11target_archE4294967295ELNS1_3gpuE0ELNS1_3repE0EEENS1_30default_config_static_selectorELNS0_4arch9wavefront6targetE1EEEvT1_: ; @_ZN7rocprim17ROCPRIM_400000_NS6detail17trampoline_kernelINS0_14default_configENS1_20scan_config_selectorIlEEZZNS1_9scan_implILNS1_25lookback_scan_determinismE0ELb0ELb0ES3_PlS8_lN6thrust23THRUST_200600_302600_NS4plusIvEElEEDaPvRmT3_T4_T5_mT6_P12ihipStream_tbENKUlT_T0_E_clISt17integral_constantIbLb1EESQ_EEDaSL_SM_EUlSL_E_NS1_11comp_targetILNS1_3genE0ELNS1_11target_archE4294967295ELNS1_3gpuE0ELNS1_3repE0EEENS1_30default_config_static_selectorELNS0_4arch9wavefront6targetE1EEEvT1_
; %bb.0:
	s_endpgm
	.section	.rodata,"a",@progbits
	.p2align	6, 0x0
	.amdhsa_kernel _ZN7rocprim17ROCPRIM_400000_NS6detail17trampoline_kernelINS0_14default_configENS1_20scan_config_selectorIlEEZZNS1_9scan_implILNS1_25lookback_scan_determinismE0ELb0ELb0ES3_PlS8_lN6thrust23THRUST_200600_302600_NS4plusIvEElEEDaPvRmT3_T4_T5_mT6_P12ihipStream_tbENKUlT_T0_E_clISt17integral_constantIbLb1EESQ_EEDaSL_SM_EUlSL_E_NS1_11comp_targetILNS1_3genE0ELNS1_11target_archE4294967295ELNS1_3gpuE0ELNS1_3repE0EEENS1_30default_config_static_selectorELNS0_4arch9wavefront6targetE1EEEvT1_
		.amdhsa_group_segment_fixed_size 0
		.amdhsa_private_segment_fixed_size 0
		.amdhsa_kernarg_size 104
		.amdhsa_user_sgpr_count 2
		.amdhsa_user_sgpr_dispatch_ptr 0
		.amdhsa_user_sgpr_queue_ptr 0
		.amdhsa_user_sgpr_kernarg_segment_ptr 1
		.amdhsa_user_sgpr_dispatch_id 0
		.amdhsa_user_sgpr_kernarg_preload_length 0
		.amdhsa_user_sgpr_kernarg_preload_offset 0
		.amdhsa_user_sgpr_private_segment_size 0
		.amdhsa_uses_dynamic_stack 0
		.amdhsa_enable_private_segment 0
		.amdhsa_system_sgpr_workgroup_id_x 1
		.amdhsa_system_sgpr_workgroup_id_y 0
		.amdhsa_system_sgpr_workgroup_id_z 0
		.amdhsa_system_sgpr_workgroup_info 0
		.amdhsa_system_vgpr_workitem_id 0
		.amdhsa_next_free_vgpr 1
		.amdhsa_next_free_sgpr 0
		.amdhsa_accum_offset 4
		.amdhsa_reserve_vcc 0
		.amdhsa_float_round_mode_32 0
		.amdhsa_float_round_mode_16_64 0
		.amdhsa_float_denorm_mode_32 3
		.amdhsa_float_denorm_mode_16_64 3
		.amdhsa_dx10_clamp 1
		.amdhsa_ieee_mode 1
		.amdhsa_fp16_overflow 0
		.amdhsa_tg_split 0
		.amdhsa_exception_fp_ieee_invalid_op 0
		.amdhsa_exception_fp_denorm_src 0
		.amdhsa_exception_fp_ieee_div_zero 0
		.amdhsa_exception_fp_ieee_overflow 0
		.amdhsa_exception_fp_ieee_underflow 0
		.amdhsa_exception_fp_ieee_inexact 0
		.amdhsa_exception_int_div_zero 0
	.end_amdhsa_kernel
	.section	.text._ZN7rocprim17ROCPRIM_400000_NS6detail17trampoline_kernelINS0_14default_configENS1_20scan_config_selectorIlEEZZNS1_9scan_implILNS1_25lookback_scan_determinismE0ELb0ELb0ES3_PlS8_lN6thrust23THRUST_200600_302600_NS4plusIvEElEEDaPvRmT3_T4_T5_mT6_P12ihipStream_tbENKUlT_T0_E_clISt17integral_constantIbLb1EESQ_EEDaSL_SM_EUlSL_E_NS1_11comp_targetILNS1_3genE0ELNS1_11target_archE4294967295ELNS1_3gpuE0ELNS1_3repE0EEENS1_30default_config_static_selectorELNS0_4arch9wavefront6targetE1EEEvT1_,"axG",@progbits,_ZN7rocprim17ROCPRIM_400000_NS6detail17trampoline_kernelINS0_14default_configENS1_20scan_config_selectorIlEEZZNS1_9scan_implILNS1_25lookback_scan_determinismE0ELb0ELb0ES3_PlS8_lN6thrust23THRUST_200600_302600_NS4plusIvEElEEDaPvRmT3_T4_T5_mT6_P12ihipStream_tbENKUlT_T0_E_clISt17integral_constantIbLb1EESQ_EEDaSL_SM_EUlSL_E_NS1_11comp_targetILNS1_3genE0ELNS1_11target_archE4294967295ELNS1_3gpuE0ELNS1_3repE0EEENS1_30default_config_static_selectorELNS0_4arch9wavefront6targetE1EEEvT1_,comdat
.Lfunc_end103:
	.size	_ZN7rocprim17ROCPRIM_400000_NS6detail17trampoline_kernelINS0_14default_configENS1_20scan_config_selectorIlEEZZNS1_9scan_implILNS1_25lookback_scan_determinismE0ELb0ELb0ES3_PlS8_lN6thrust23THRUST_200600_302600_NS4plusIvEElEEDaPvRmT3_T4_T5_mT6_P12ihipStream_tbENKUlT_T0_E_clISt17integral_constantIbLb1EESQ_EEDaSL_SM_EUlSL_E_NS1_11comp_targetILNS1_3genE0ELNS1_11target_archE4294967295ELNS1_3gpuE0ELNS1_3repE0EEENS1_30default_config_static_selectorELNS0_4arch9wavefront6targetE1EEEvT1_, .Lfunc_end103-_ZN7rocprim17ROCPRIM_400000_NS6detail17trampoline_kernelINS0_14default_configENS1_20scan_config_selectorIlEEZZNS1_9scan_implILNS1_25lookback_scan_determinismE0ELb0ELb0ES3_PlS8_lN6thrust23THRUST_200600_302600_NS4plusIvEElEEDaPvRmT3_T4_T5_mT6_P12ihipStream_tbENKUlT_T0_E_clISt17integral_constantIbLb1EESQ_EEDaSL_SM_EUlSL_E_NS1_11comp_targetILNS1_3genE0ELNS1_11target_archE4294967295ELNS1_3gpuE0ELNS1_3repE0EEENS1_30default_config_static_selectorELNS0_4arch9wavefront6targetE1EEEvT1_
                                        ; -- End function
	.set _ZN7rocprim17ROCPRIM_400000_NS6detail17trampoline_kernelINS0_14default_configENS1_20scan_config_selectorIlEEZZNS1_9scan_implILNS1_25lookback_scan_determinismE0ELb0ELb0ES3_PlS8_lN6thrust23THRUST_200600_302600_NS4plusIvEElEEDaPvRmT3_T4_T5_mT6_P12ihipStream_tbENKUlT_T0_E_clISt17integral_constantIbLb1EESQ_EEDaSL_SM_EUlSL_E_NS1_11comp_targetILNS1_3genE0ELNS1_11target_archE4294967295ELNS1_3gpuE0ELNS1_3repE0EEENS1_30default_config_static_selectorELNS0_4arch9wavefront6targetE1EEEvT1_.num_vgpr, 0
	.set _ZN7rocprim17ROCPRIM_400000_NS6detail17trampoline_kernelINS0_14default_configENS1_20scan_config_selectorIlEEZZNS1_9scan_implILNS1_25lookback_scan_determinismE0ELb0ELb0ES3_PlS8_lN6thrust23THRUST_200600_302600_NS4plusIvEElEEDaPvRmT3_T4_T5_mT6_P12ihipStream_tbENKUlT_T0_E_clISt17integral_constantIbLb1EESQ_EEDaSL_SM_EUlSL_E_NS1_11comp_targetILNS1_3genE0ELNS1_11target_archE4294967295ELNS1_3gpuE0ELNS1_3repE0EEENS1_30default_config_static_selectorELNS0_4arch9wavefront6targetE1EEEvT1_.num_agpr, 0
	.set _ZN7rocprim17ROCPRIM_400000_NS6detail17trampoline_kernelINS0_14default_configENS1_20scan_config_selectorIlEEZZNS1_9scan_implILNS1_25lookback_scan_determinismE0ELb0ELb0ES3_PlS8_lN6thrust23THRUST_200600_302600_NS4plusIvEElEEDaPvRmT3_T4_T5_mT6_P12ihipStream_tbENKUlT_T0_E_clISt17integral_constantIbLb1EESQ_EEDaSL_SM_EUlSL_E_NS1_11comp_targetILNS1_3genE0ELNS1_11target_archE4294967295ELNS1_3gpuE0ELNS1_3repE0EEENS1_30default_config_static_selectorELNS0_4arch9wavefront6targetE1EEEvT1_.numbered_sgpr, 0
	.set _ZN7rocprim17ROCPRIM_400000_NS6detail17trampoline_kernelINS0_14default_configENS1_20scan_config_selectorIlEEZZNS1_9scan_implILNS1_25lookback_scan_determinismE0ELb0ELb0ES3_PlS8_lN6thrust23THRUST_200600_302600_NS4plusIvEElEEDaPvRmT3_T4_T5_mT6_P12ihipStream_tbENKUlT_T0_E_clISt17integral_constantIbLb1EESQ_EEDaSL_SM_EUlSL_E_NS1_11comp_targetILNS1_3genE0ELNS1_11target_archE4294967295ELNS1_3gpuE0ELNS1_3repE0EEENS1_30default_config_static_selectorELNS0_4arch9wavefront6targetE1EEEvT1_.num_named_barrier, 0
	.set _ZN7rocprim17ROCPRIM_400000_NS6detail17trampoline_kernelINS0_14default_configENS1_20scan_config_selectorIlEEZZNS1_9scan_implILNS1_25lookback_scan_determinismE0ELb0ELb0ES3_PlS8_lN6thrust23THRUST_200600_302600_NS4plusIvEElEEDaPvRmT3_T4_T5_mT6_P12ihipStream_tbENKUlT_T0_E_clISt17integral_constantIbLb1EESQ_EEDaSL_SM_EUlSL_E_NS1_11comp_targetILNS1_3genE0ELNS1_11target_archE4294967295ELNS1_3gpuE0ELNS1_3repE0EEENS1_30default_config_static_selectorELNS0_4arch9wavefront6targetE1EEEvT1_.private_seg_size, 0
	.set _ZN7rocprim17ROCPRIM_400000_NS6detail17trampoline_kernelINS0_14default_configENS1_20scan_config_selectorIlEEZZNS1_9scan_implILNS1_25lookback_scan_determinismE0ELb0ELb0ES3_PlS8_lN6thrust23THRUST_200600_302600_NS4plusIvEElEEDaPvRmT3_T4_T5_mT6_P12ihipStream_tbENKUlT_T0_E_clISt17integral_constantIbLb1EESQ_EEDaSL_SM_EUlSL_E_NS1_11comp_targetILNS1_3genE0ELNS1_11target_archE4294967295ELNS1_3gpuE0ELNS1_3repE0EEENS1_30default_config_static_selectorELNS0_4arch9wavefront6targetE1EEEvT1_.uses_vcc, 0
	.set _ZN7rocprim17ROCPRIM_400000_NS6detail17trampoline_kernelINS0_14default_configENS1_20scan_config_selectorIlEEZZNS1_9scan_implILNS1_25lookback_scan_determinismE0ELb0ELb0ES3_PlS8_lN6thrust23THRUST_200600_302600_NS4plusIvEElEEDaPvRmT3_T4_T5_mT6_P12ihipStream_tbENKUlT_T0_E_clISt17integral_constantIbLb1EESQ_EEDaSL_SM_EUlSL_E_NS1_11comp_targetILNS1_3genE0ELNS1_11target_archE4294967295ELNS1_3gpuE0ELNS1_3repE0EEENS1_30default_config_static_selectorELNS0_4arch9wavefront6targetE1EEEvT1_.uses_flat_scratch, 0
	.set _ZN7rocprim17ROCPRIM_400000_NS6detail17trampoline_kernelINS0_14default_configENS1_20scan_config_selectorIlEEZZNS1_9scan_implILNS1_25lookback_scan_determinismE0ELb0ELb0ES3_PlS8_lN6thrust23THRUST_200600_302600_NS4plusIvEElEEDaPvRmT3_T4_T5_mT6_P12ihipStream_tbENKUlT_T0_E_clISt17integral_constantIbLb1EESQ_EEDaSL_SM_EUlSL_E_NS1_11comp_targetILNS1_3genE0ELNS1_11target_archE4294967295ELNS1_3gpuE0ELNS1_3repE0EEENS1_30default_config_static_selectorELNS0_4arch9wavefront6targetE1EEEvT1_.has_dyn_sized_stack, 0
	.set _ZN7rocprim17ROCPRIM_400000_NS6detail17trampoline_kernelINS0_14default_configENS1_20scan_config_selectorIlEEZZNS1_9scan_implILNS1_25lookback_scan_determinismE0ELb0ELb0ES3_PlS8_lN6thrust23THRUST_200600_302600_NS4plusIvEElEEDaPvRmT3_T4_T5_mT6_P12ihipStream_tbENKUlT_T0_E_clISt17integral_constantIbLb1EESQ_EEDaSL_SM_EUlSL_E_NS1_11comp_targetILNS1_3genE0ELNS1_11target_archE4294967295ELNS1_3gpuE0ELNS1_3repE0EEENS1_30default_config_static_selectorELNS0_4arch9wavefront6targetE1EEEvT1_.has_recursion, 0
	.set _ZN7rocprim17ROCPRIM_400000_NS6detail17trampoline_kernelINS0_14default_configENS1_20scan_config_selectorIlEEZZNS1_9scan_implILNS1_25lookback_scan_determinismE0ELb0ELb0ES3_PlS8_lN6thrust23THRUST_200600_302600_NS4plusIvEElEEDaPvRmT3_T4_T5_mT6_P12ihipStream_tbENKUlT_T0_E_clISt17integral_constantIbLb1EESQ_EEDaSL_SM_EUlSL_E_NS1_11comp_targetILNS1_3genE0ELNS1_11target_archE4294967295ELNS1_3gpuE0ELNS1_3repE0EEENS1_30default_config_static_selectorELNS0_4arch9wavefront6targetE1EEEvT1_.has_indirect_call, 0
	.section	.AMDGPU.csdata,"",@progbits
; Kernel info:
; codeLenInByte = 4
; TotalNumSgprs: 6
; NumVgprs: 0
; NumAgprs: 0
; TotalNumVgprs: 0
; ScratchSize: 0
; MemoryBound: 0
; FloatMode: 240
; IeeeMode: 1
; LDSByteSize: 0 bytes/workgroup (compile time only)
; SGPRBlocks: 0
; VGPRBlocks: 0
; NumSGPRsForWavesPerEU: 6
; NumVGPRsForWavesPerEU: 1
; AccumOffset: 4
; Occupancy: 8
; WaveLimiterHint : 0
; COMPUTE_PGM_RSRC2:SCRATCH_EN: 0
; COMPUTE_PGM_RSRC2:USER_SGPR: 2
; COMPUTE_PGM_RSRC2:TRAP_HANDLER: 0
; COMPUTE_PGM_RSRC2:TGID_X_EN: 1
; COMPUTE_PGM_RSRC2:TGID_Y_EN: 0
; COMPUTE_PGM_RSRC2:TGID_Z_EN: 0
; COMPUTE_PGM_RSRC2:TIDIG_COMP_CNT: 0
; COMPUTE_PGM_RSRC3_GFX90A:ACCUM_OFFSET: 0
; COMPUTE_PGM_RSRC3_GFX90A:TG_SPLIT: 0
	.section	.text._ZN7rocprim17ROCPRIM_400000_NS6detail17trampoline_kernelINS0_14default_configENS1_20scan_config_selectorIlEEZZNS1_9scan_implILNS1_25lookback_scan_determinismE0ELb0ELb0ES3_PlS8_lN6thrust23THRUST_200600_302600_NS4plusIvEElEEDaPvRmT3_T4_T5_mT6_P12ihipStream_tbENKUlT_T0_E_clISt17integral_constantIbLb1EESQ_EEDaSL_SM_EUlSL_E_NS1_11comp_targetILNS1_3genE5ELNS1_11target_archE942ELNS1_3gpuE9ELNS1_3repE0EEENS1_30default_config_static_selectorELNS0_4arch9wavefront6targetE1EEEvT1_,"axG",@progbits,_ZN7rocprim17ROCPRIM_400000_NS6detail17trampoline_kernelINS0_14default_configENS1_20scan_config_selectorIlEEZZNS1_9scan_implILNS1_25lookback_scan_determinismE0ELb0ELb0ES3_PlS8_lN6thrust23THRUST_200600_302600_NS4plusIvEElEEDaPvRmT3_T4_T5_mT6_P12ihipStream_tbENKUlT_T0_E_clISt17integral_constantIbLb1EESQ_EEDaSL_SM_EUlSL_E_NS1_11comp_targetILNS1_3genE5ELNS1_11target_archE942ELNS1_3gpuE9ELNS1_3repE0EEENS1_30default_config_static_selectorELNS0_4arch9wavefront6targetE1EEEvT1_,comdat
	.protected	_ZN7rocprim17ROCPRIM_400000_NS6detail17trampoline_kernelINS0_14default_configENS1_20scan_config_selectorIlEEZZNS1_9scan_implILNS1_25lookback_scan_determinismE0ELb0ELb0ES3_PlS8_lN6thrust23THRUST_200600_302600_NS4plusIvEElEEDaPvRmT3_T4_T5_mT6_P12ihipStream_tbENKUlT_T0_E_clISt17integral_constantIbLb1EESQ_EEDaSL_SM_EUlSL_E_NS1_11comp_targetILNS1_3genE5ELNS1_11target_archE942ELNS1_3gpuE9ELNS1_3repE0EEENS1_30default_config_static_selectorELNS0_4arch9wavefront6targetE1EEEvT1_ ; -- Begin function _ZN7rocprim17ROCPRIM_400000_NS6detail17trampoline_kernelINS0_14default_configENS1_20scan_config_selectorIlEEZZNS1_9scan_implILNS1_25lookback_scan_determinismE0ELb0ELb0ES3_PlS8_lN6thrust23THRUST_200600_302600_NS4plusIvEElEEDaPvRmT3_T4_T5_mT6_P12ihipStream_tbENKUlT_T0_E_clISt17integral_constantIbLb1EESQ_EEDaSL_SM_EUlSL_E_NS1_11comp_targetILNS1_3genE5ELNS1_11target_archE942ELNS1_3gpuE9ELNS1_3repE0EEENS1_30default_config_static_selectorELNS0_4arch9wavefront6targetE1EEEvT1_
	.globl	_ZN7rocprim17ROCPRIM_400000_NS6detail17trampoline_kernelINS0_14default_configENS1_20scan_config_selectorIlEEZZNS1_9scan_implILNS1_25lookback_scan_determinismE0ELb0ELb0ES3_PlS8_lN6thrust23THRUST_200600_302600_NS4plusIvEElEEDaPvRmT3_T4_T5_mT6_P12ihipStream_tbENKUlT_T0_E_clISt17integral_constantIbLb1EESQ_EEDaSL_SM_EUlSL_E_NS1_11comp_targetILNS1_3genE5ELNS1_11target_archE942ELNS1_3gpuE9ELNS1_3repE0EEENS1_30default_config_static_selectorELNS0_4arch9wavefront6targetE1EEEvT1_
	.p2align	8
	.type	_ZN7rocprim17ROCPRIM_400000_NS6detail17trampoline_kernelINS0_14default_configENS1_20scan_config_selectorIlEEZZNS1_9scan_implILNS1_25lookback_scan_determinismE0ELb0ELb0ES3_PlS8_lN6thrust23THRUST_200600_302600_NS4plusIvEElEEDaPvRmT3_T4_T5_mT6_P12ihipStream_tbENKUlT_T0_E_clISt17integral_constantIbLb1EESQ_EEDaSL_SM_EUlSL_E_NS1_11comp_targetILNS1_3genE5ELNS1_11target_archE942ELNS1_3gpuE9ELNS1_3repE0EEENS1_30default_config_static_selectorELNS0_4arch9wavefront6targetE1EEEvT1_,@function
_ZN7rocprim17ROCPRIM_400000_NS6detail17trampoline_kernelINS0_14default_configENS1_20scan_config_selectorIlEEZZNS1_9scan_implILNS1_25lookback_scan_determinismE0ELb0ELb0ES3_PlS8_lN6thrust23THRUST_200600_302600_NS4plusIvEElEEDaPvRmT3_T4_T5_mT6_P12ihipStream_tbENKUlT_T0_E_clISt17integral_constantIbLb1EESQ_EEDaSL_SM_EUlSL_E_NS1_11comp_targetILNS1_3genE5ELNS1_11target_archE942ELNS1_3gpuE9ELNS1_3repE0EEENS1_30default_config_static_selectorELNS0_4arch9wavefront6targetE1EEEvT1_: ; @_ZN7rocprim17ROCPRIM_400000_NS6detail17trampoline_kernelINS0_14default_configENS1_20scan_config_selectorIlEEZZNS1_9scan_implILNS1_25lookback_scan_determinismE0ELb0ELb0ES3_PlS8_lN6thrust23THRUST_200600_302600_NS4plusIvEElEEDaPvRmT3_T4_T5_mT6_P12ihipStream_tbENKUlT_T0_E_clISt17integral_constantIbLb1EESQ_EEDaSL_SM_EUlSL_E_NS1_11comp_targetILNS1_3genE5ELNS1_11target_archE942ELNS1_3gpuE9ELNS1_3repE0EEENS1_30default_config_static_selectorELNS0_4arch9wavefront6targetE1EEEvT1_
; %bb.0:
	.section	.rodata,"a",@progbits
	.p2align	6, 0x0
	.amdhsa_kernel _ZN7rocprim17ROCPRIM_400000_NS6detail17trampoline_kernelINS0_14default_configENS1_20scan_config_selectorIlEEZZNS1_9scan_implILNS1_25lookback_scan_determinismE0ELb0ELb0ES3_PlS8_lN6thrust23THRUST_200600_302600_NS4plusIvEElEEDaPvRmT3_T4_T5_mT6_P12ihipStream_tbENKUlT_T0_E_clISt17integral_constantIbLb1EESQ_EEDaSL_SM_EUlSL_E_NS1_11comp_targetILNS1_3genE5ELNS1_11target_archE942ELNS1_3gpuE9ELNS1_3repE0EEENS1_30default_config_static_selectorELNS0_4arch9wavefront6targetE1EEEvT1_
		.amdhsa_group_segment_fixed_size 0
		.amdhsa_private_segment_fixed_size 0
		.amdhsa_kernarg_size 104
		.amdhsa_user_sgpr_count 2
		.amdhsa_user_sgpr_dispatch_ptr 0
		.amdhsa_user_sgpr_queue_ptr 0
		.amdhsa_user_sgpr_kernarg_segment_ptr 1
		.amdhsa_user_sgpr_dispatch_id 0
		.amdhsa_user_sgpr_kernarg_preload_length 0
		.amdhsa_user_sgpr_kernarg_preload_offset 0
		.amdhsa_user_sgpr_private_segment_size 0
		.amdhsa_uses_dynamic_stack 0
		.amdhsa_enable_private_segment 0
		.amdhsa_system_sgpr_workgroup_id_x 1
		.amdhsa_system_sgpr_workgroup_id_y 0
		.amdhsa_system_sgpr_workgroup_id_z 0
		.amdhsa_system_sgpr_workgroup_info 0
		.amdhsa_system_vgpr_workitem_id 0
		.amdhsa_next_free_vgpr 1
		.amdhsa_next_free_sgpr 0
		.amdhsa_accum_offset 4
		.amdhsa_reserve_vcc 0
		.amdhsa_float_round_mode_32 0
		.amdhsa_float_round_mode_16_64 0
		.amdhsa_float_denorm_mode_32 3
		.amdhsa_float_denorm_mode_16_64 3
		.amdhsa_dx10_clamp 1
		.amdhsa_ieee_mode 1
		.amdhsa_fp16_overflow 0
		.amdhsa_tg_split 0
		.amdhsa_exception_fp_ieee_invalid_op 0
		.amdhsa_exception_fp_denorm_src 0
		.amdhsa_exception_fp_ieee_div_zero 0
		.amdhsa_exception_fp_ieee_overflow 0
		.amdhsa_exception_fp_ieee_underflow 0
		.amdhsa_exception_fp_ieee_inexact 0
		.amdhsa_exception_int_div_zero 0
	.end_amdhsa_kernel
	.section	.text._ZN7rocprim17ROCPRIM_400000_NS6detail17trampoline_kernelINS0_14default_configENS1_20scan_config_selectorIlEEZZNS1_9scan_implILNS1_25lookback_scan_determinismE0ELb0ELb0ES3_PlS8_lN6thrust23THRUST_200600_302600_NS4plusIvEElEEDaPvRmT3_T4_T5_mT6_P12ihipStream_tbENKUlT_T0_E_clISt17integral_constantIbLb1EESQ_EEDaSL_SM_EUlSL_E_NS1_11comp_targetILNS1_3genE5ELNS1_11target_archE942ELNS1_3gpuE9ELNS1_3repE0EEENS1_30default_config_static_selectorELNS0_4arch9wavefront6targetE1EEEvT1_,"axG",@progbits,_ZN7rocprim17ROCPRIM_400000_NS6detail17trampoline_kernelINS0_14default_configENS1_20scan_config_selectorIlEEZZNS1_9scan_implILNS1_25lookback_scan_determinismE0ELb0ELb0ES3_PlS8_lN6thrust23THRUST_200600_302600_NS4plusIvEElEEDaPvRmT3_T4_T5_mT6_P12ihipStream_tbENKUlT_T0_E_clISt17integral_constantIbLb1EESQ_EEDaSL_SM_EUlSL_E_NS1_11comp_targetILNS1_3genE5ELNS1_11target_archE942ELNS1_3gpuE9ELNS1_3repE0EEENS1_30default_config_static_selectorELNS0_4arch9wavefront6targetE1EEEvT1_,comdat
.Lfunc_end104:
	.size	_ZN7rocprim17ROCPRIM_400000_NS6detail17trampoline_kernelINS0_14default_configENS1_20scan_config_selectorIlEEZZNS1_9scan_implILNS1_25lookback_scan_determinismE0ELb0ELb0ES3_PlS8_lN6thrust23THRUST_200600_302600_NS4plusIvEElEEDaPvRmT3_T4_T5_mT6_P12ihipStream_tbENKUlT_T0_E_clISt17integral_constantIbLb1EESQ_EEDaSL_SM_EUlSL_E_NS1_11comp_targetILNS1_3genE5ELNS1_11target_archE942ELNS1_3gpuE9ELNS1_3repE0EEENS1_30default_config_static_selectorELNS0_4arch9wavefront6targetE1EEEvT1_, .Lfunc_end104-_ZN7rocprim17ROCPRIM_400000_NS6detail17trampoline_kernelINS0_14default_configENS1_20scan_config_selectorIlEEZZNS1_9scan_implILNS1_25lookback_scan_determinismE0ELb0ELb0ES3_PlS8_lN6thrust23THRUST_200600_302600_NS4plusIvEElEEDaPvRmT3_T4_T5_mT6_P12ihipStream_tbENKUlT_T0_E_clISt17integral_constantIbLb1EESQ_EEDaSL_SM_EUlSL_E_NS1_11comp_targetILNS1_3genE5ELNS1_11target_archE942ELNS1_3gpuE9ELNS1_3repE0EEENS1_30default_config_static_selectorELNS0_4arch9wavefront6targetE1EEEvT1_
                                        ; -- End function
	.set _ZN7rocprim17ROCPRIM_400000_NS6detail17trampoline_kernelINS0_14default_configENS1_20scan_config_selectorIlEEZZNS1_9scan_implILNS1_25lookback_scan_determinismE0ELb0ELb0ES3_PlS8_lN6thrust23THRUST_200600_302600_NS4plusIvEElEEDaPvRmT3_T4_T5_mT6_P12ihipStream_tbENKUlT_T0_E_clISt17integral_constantIbLb1EESQ_EEDaSL_SM_EUlSL_E_NS1_11comp_targetILNS1_3genE5ELNS1_11target_archE942ELNS1_3gpuE9ELNS1_3repE0EEENS1_30default_config_static_selectorELNS0_4arch9wavefront6targetE1EEEvT1_.num_vgpr, 0
	.set _ZN7rocprim17ROCPRIM_400000_NS6detail17trampoline_kernelINS0_14default_configENS1_20scan_config_selectorIlEEZZNS1_9scan_implILNS1_25lookback_scan_determinismE0ELb0ELb0ES3_PlS8_lN6thrust23THRUST_200600_302600_NS4plusIvEElEEDaPvRmT3_T4_T5_mT6_P12ihipStream_tbENKUlT_T0_E_clISt17integral_constantIbLb1EESQ_EEDaSL_SM_EUlSL_E_NS1_11comp_targetILNS1_3genE5ELNS1_11target_archE942ELNS1_3gpuE9ELNS1_3repE0EEENS1_30default_config_static_selectorELNS0_4arch9wavefront6targetE1EEEvT1_.num_agpr, 0
	.set _ZN7rocprim17ROCPRIM_400000_NS6detail17trampoline_kernelINS0_14default_configENS1_20scan_config_selectorIlEEZZNS1_9scan_implILNS1_25lookback_scan_determinismE0ELb0ELb0ES3_PlS8_lN6thrust23THRUST_200600_302600_NS4plusIvEElEEDaPvRmT3_T4_T5_mT6_P12ihipStream_tbENKUlT_T0_E_clISt17integral_constantIbLb1EESQ_EEDaSL_SM_EUlSL_E_NS1_11comp_targetILNS1_3genE5ELNS1_11target_archE942ELNS1_3gpuE9ELNS1_3repE0EEENS1_30default_config_static_selectorELNS0_4arch9wavefront6targetE1EEEvT1_.numbered_sgpr, 0
	.set _ZN7rocprim17ROCPRIM_400000_NS6detail17trampoline_kernelINS0_14default_configENS1_20scan_config_selectorIlEEZZNS1_9scan_implILNS1_25lookback_scan_determinismE0ELb0ELb0ES3_PlS8_lN6thrust23THRUST_200600_302600_NS4plusIvEElEEDaPvRmT3_T4_T5_mT6_P12ihipStream_tbENKUlT_T0_E_clISt17integral_constantIbLb1EESQ_EEDaSL_SM_EUlSL_E_NS1_11comp_targetILNS1_3genE5ELNS1_11target_archE942ELNS1_3gpuE9ELNS1_3repE0EEENS1_30default_config_static_selectorELNS0_4arch9wavefront6targetE1EEEvT1_.num_named_barrier, 0
	.set _ZN7rocprim17ROCPRIM_400000_NS6detail17trampoline_kernelINS0_14default_configENS1_20scan_config_selectorIlEEZZNS1_9scan_implILNS1_25lookback_scan_determinismE0ELb0ELb0ES3_PlS8_lN6thrust23THRUST_200600_302600_NS4plusIvEElEEDaPvRmT3_T4_T5_mT6_P12ihipStream_tbENKUlT_T0_E_clISt17integral_constantIbLb1EESQ_EEDaSL_SM_EUlSL_E_NS1_11comp_targetILNS1_3genE5ELNS1_11target_archE942ELNS1_3gpuE9ELNS1_3repE0EEENS1_30default_config_static_selectorELNS0_4arch9wavefront6targetE1EEEvT1_.private_seg_size, 0
	.set _ZN7rocprim17ROCPRIM_400000_NS6detail17trampoline_kernelINS0_14default_configENS1_20scan_config_selectorIlEEZZNS1_9scan_implILNS1_25lookback_scan_determinismE0ELb0ELb0ES3_PlS8_lN6thrust23THRUST_200600_302600_NS4plusIvEElEEDaPvRmT3_T4_T5_mT6_P12ihipStream_tbENKUlT_T0_E_clISt17integral_constantIbLb1EESQ_EEDaSL_SM_EUlSL_E_NS1_11comp_targetILNS1_3genE5ELNS1_11target_archE942ELNS1_3gpuE9ELNS1_3repE0EEENS1_30default_config_static_selectorELNS0_4arch9wavefront6targetE1EEEvT1_.uses_vcc, 0
	.set _ZN7rocprim17ROCPRIM_400000_NS6detail17trampoline_kernelINS0_14default_configENS1_20scan_config_selectorIlEEZZNS1_9scan_implILNS1_25lookback_scan_determinismE0ELb0ELb0ES3_PlS8_lN6thrust23THRUST_200600_302600_NS4plusIvEElEEDaPvRmT3_T4_T5_mT6_P12ihipStream_tbENKUlT_T0_E_clISt17integral_constantIbLb1EESQ_EEDaSL_SM_EUlSL_E_NS1_11comp_targetILNS1_3genE5ELNS1_11target_archE942ELNS1_3gpuE9ELNS1_3repE0EEENS1_30default_config_static_selectorELNS0_4arch9wavefront6targetE1EEEvT1_.uses_flat_scratch, 0
	.set _ZN7rocprim17ROCPRIM_400000_NS6detail17trampoline_kernelINS0_14default_configENS1_20scan_config_selectorIlEEZZNS1_9scan_implILNS1_25lookback_scan_determinismE0ELb0ELb0ES3_PlS8_lN6thrust23THRUST_200600_302600_NS4plusIvEElEEDaPvRmT3_T4_T5_mT6_P12ihipStream_tbENKUlT_T0_E_clISt17integral_constantIbLb1EESQ_EEDaSL_SM_EUlSL_E_NS1_11comp_targetILNS1_3genE5ELNS1_11target_archE942ELNS1_3gpuE9ELNS1_3repE0EEENS1_30default_config_static_selectorELNS0_4arch9wavefront6targetE1EEEvT1_.has_dyn_sized_stack, 0
	.set _ZN7rocprim17ROCPRIM_400000_NS6detail17trampoline_kernelINS0_14default_configENS1_20scan_config_selectorIlEEZZNS1_9scan_implILNS1_25lookback_scan_determinismE0ELb0ELb0ES3_PlS8_lN6thrust23THRUST_200600_302600_NS4plusIvEElEEDaPvRmT3_T4_T5_mT6_P12ihipStream_tbENKUlT_T0_E_clISt17integral_constantIbLb1EESQ_EEDaSL_SM_EUlSL_E_NS1_11comp_targetILNS1_3genE5ELNS1_11target_archE942ELNS1_3gpuE9ELNS1_3repE0EEENS1_30default_config_static_selectorELNS0_4arch9wavefront6targetE1EEEvT1_.has_recursion, 0
	.set _ZN7rocprim17ROCPRIM_400000_NS6detail17trampoline_kernelINS0_14default_configENS1_20scan_config_selectorIlEEZZNS1_9scan_implILNS1_25lookback_scan_determinismE0ELb0ELb0ES3_PlS8_lN6thrust23THRUST_200600_302600_NS4plusIvEElEEDaPvRmT3_T4_T5_mT6_P12ihipStream_tbENKUlT_T0_E_clISt17integral_constantIbLb1EESQ_EEDaSL_SM_EUlSL_E_NS1_11comp_targetILNS1_3genE5ELNS1_11target_archE942ELNS1_3gpuE9ELNS1_3repE0EEENS1_30default_config_static_selectorELNS0_4arch9wavefront6targetE1EEEvT1_.has_indirect_call, 0
	.section	.AMDGPU.csdata,"",@progbits
; Kernel info:
; codeLenInByte = 0
; TotalNumSgprs: 6
; NumVgprs: 0
; NumAgprs: 0
; TotalNumVgprs: 0
; ScratchSize: 0
; MemoryBound: 0
; FloatMode: 240
; IeeeMode: 1
; LDSByteSize: 0 bytes/workgroup (compile time only)
; SGPRBlocks: 0
; VGPRBlocks: 0
; NumSGPRsForWavesPerEU: 6
; NumVGPRsForWavesPerEU: 1
; AccumOffset: 4
; Occupancy: 8
; WaveLimiterHint : 0
; COMPUTE_PGM_RSRC2:SCRATCH_EN: 0
; COMPUTE_PGM_RSRC2:USER_SGPR: 2
; COMPUTE_PGM_RSRC2:TRAP_HANDLER: 0
; COMPUTE_PGM_RSRC2:TGID_X_EN: 1
; COMPUTE_PGM_RSRC2:TGID_Y_EN: 0
; COMPUTE_PGM_RSRC2:TGID_Z_EN: 0
; COMPUTE_PGM_RSRC2:TIDIG_COMP_CNT: 0
; COMPUTE_PGM_RSRC3_GFX90A:ACCUM_OFFSET: 0
; COMPUTE_PGM_RSRC3_GFX90A:TG_SPLIT: 0
	.section	.text._ZN7rocprim17ROCPRIM_400000_NS6detail17trampoline_kernelINS0_14default_configENS1_20scan_config_selectorIlEEZZNS1_9scan_implILNS1_25lookback_scan_determinismE0ELb0ELb0ES3_PlS8_lN6thrust23THRUST_200600_302600_NS4plusIvEElEEDaPvRmT3_T4_T5_mT6_P12ihipStream_tbENKUlT_T0_E_clISt17integral_constantIbLb1EESQ_EEDaSL_SM_EUlSL_E_NS1_11comp_targetILNS1_3genE4ELNS1_11target_archE910ELNS1_3gpuE8ELNS1_3repE0EEENS1_30default_config_static_selectorELNS0_4arch9wavefront6targetE1EEEvT1_,"axG",@progbits,_ZN7rocprim17ROCPRIM_400000_NS6detail17trampoline_kernelINS0_14default_configENS1_20scan_config_selectorIlEEZZNS1_9scan_implILNS1_25lookback_scan_determinismE0ELb0ELb0ES3_PlS8_lN6thrust23THRUST_200600_302600_NS4plusIvEElEEDaPvRmT3_T4_T5_mT6_P12ihipStream_tbENKUlT_T0_E_clISt17integral_constantIbLb1EESQ_EEDaSL_SM_EUlSL_E_NS1_11comp_targetILNS1_3genE4ELNS1_11target_archE910ELNS1_3gpuE8ELNS1_3repE0EEENS1_30default_config_static_selectorELNS0_4arch9wavefront6targetE1EEEvT1_,comdat
	.protected	_ZN7rocprim17ROCPRIM_400000_NS6detail17trampoline_kernelINS0_14default_configENS1_20scan_config_selectorIlEEZZNS1_9scan_implILNS1_25lookback_scan_determinismE0ELb0ELb0ES3_PlS8_lN6thrust23THRUST_200600_302600_NS4plusIvEElEEDaPvRmT3_T4_T5_mT6_P12ihipStream_tbENKUlT_T0_E_clISt17integral_constantIbLb1EESQ_EEDaSL_SM_EUlSL_E_NS1_11comp_targetILNS1_3genE4ELNS1_11target_archE910ELNS1_3gpuE8ELNS1_3repE0EEENS1_30default_config_static_selectorELNS0_4arch9wavefront6targetE1EEEvT1_ ; -- Begin function _ZN7rocprim17ROCPRIM_400000_NS6detail17trampoline_kernelINS0_14default_configENS1_20scan_config_selectorIlEEZZNS1_9scan_implILNS1_25lookback_scan_determinismE0ELb0ELb0ES3_PlS8_lN6thrust23THRUST_200600_302600_NS4plusIvEElEEDaPvRmT3_T4_T5_mT6_P12ihipStream_tbENKUlT_T0_E_clISt17integral_constantIbLb1EESQ_EEDaSL_SM_EUlSL_E_NS1_11comp_targetILNS1_3genE4ELNS1_11target_archE910ELNS1_3gpuE8ELNS1_3repE0EEENS1_30default_config_static_selectorELNS0_4arch9wavefront6targetE1EEEvT1_
	.globl	_ZN7rocprim17ROCPRIM_400000_NS6detail17trampoline_kernelINS0_14default_configENS1_20scan_config_selectorIlEEZZNS1_9scan_implILNS1_25lookback_scan_determinismE0ELb0ELb0ES3_PlS8_lN6thrust23THRUST_200600_302600_NS4plusIvEElEEDaPvRmT3_T4_T5_mT6_P12ihipStream_tbENKUlT_T0_E_clISt17integral_constantIbLb1EESQ_EEDaSL_SM_EUlSL_E_NS1_11comp_targetILNS1_3genE4ELNS1_11target_archE910ELNS1_3gpuE8ELNS1_3repE0EEENS1_30default_config_static_selectorELNS0_4arch9wavefront6targetE1EEEvT1_
	.p2align	8
	.type	_ZN7rocprim17ROCPRIM_400000_NS6detail17trampoline_kernelINS0_14default_configENS1_20scan_config_selectorIlEEZZNS1_9scan_implILNS1_25lookback_scan_determinismE0ELb0ELb0ES3_PlS8_lN6thrust23THRUST_200600_302600_NS4plusIvEElEEDaPvRmT3_T4_T5_mT6_P12ihipStream_tbENKUlT_T0_E_clISt17integral_constantIbLb1EESQ_EEDaSL_SM_EUlSL_E_NS1_11comp_targetILNS1_3genE4ELNS1_11target_archE910ELNS1_3gpuE8ELNS1_3repE0EEENS1_30default_config_static_selectorELNS0_4arch9wavefront6targetE1EEEvT1_,@function
_ZN7rocprim17ROCPRIM_400000_NS6detail17trampoline_kernelINS0_14default_configENS1_20scan_config_selectorIlEEZZNS1_9scan_implILNS1_25lookback_scan_determinismE0ELb0ELb0ES3_PlS8_lN6thrust23THRUST_200600_302600_NS4plusIvEElEEDaPvRmT3_T4_T5_mT6_P12ihipStream_tbENKUlT_T0_E_clISt17integral_constantIbLb1EESQ_EEDaSL_SM_EUlSL_E_NS1_11comp_targetILNS1_3genE4ELNS1_11target_archE910ELNS1_3gpuE8ELNS1_3repE0EEENS1_30default_config_static_selectorELNS0_4arch9wavefront6targetE1EEEvT1_: ; @_ZN7rocprim17ROCPRIM_400000_NS6detail17trampoline_kernelINS0_14default_configENS1_20scan_config_selectorIlEEZZNS1_9scan_implILNS1_25lookback_scan_determinismE0ELb0ELb0ES3_PlS8_lN6thrust23THRUST_200600_302600_NS4plusIvEElEEDaPvRmT3_T4_T5_mT6_P12ihipStream_tbENKUlT_T0_E_clISt17integral_constantIbLb1EESQ_EEDaSL_SM_EUlSL_E_NS1_11comp_targetILNS1_3genE4ELNS1_11target_archE910ELNS1_3gpuE8ELNS1_3repE0EEENS1_30default_config_static_selectorELNS0_4arch9wavefront6targetE1EEEvT1_
; %bb.0:
	.section	.rodata,"a",@progbits
	.p2align	6, 0x0
	.amdhsa_kernel _ZN7rocprim17ROCPRIM_400000_NS6detail17trampoline_kernelINS0_14default_configENS1_20scan_config_selectorIlEEZZNS1_9scan_implILNS1_25lookback_scan_determinismE0ELb0ELb0ES3_PlS8_lN6thrust23THRUST_200600_302600_NS4plusIvEElEEDaPvRmT3_T4_T5_mT6_P12ihipStream_tbENKUlT_T0_E_clISt17integral_constantIbLb1EESQ_EEDaSL_SM_EUlSL_E_NS1_11comp_targetILNS1_3genE4ELNS1_11target_archE910ELNS1_3gpuE8ELNS1_3repE0EEENS1_30default_config_static_selectorELNS0_4arch9wavefront6targetE1EEEvT1_
		.amdhsa_group_segment_fixed_size 0
		.amdhsa_private_segment_fixed_size 0
		.amdhsa_kernarg_size 104
		.amdhsa_user_sgpr_count 2
		.amdhsa_user_sgpr_dispatch_ptr 0
		.amdhsa_user_sgpr_queue_ptr 0
		.amdhsa_user_sgpr_kernarg_segment_ptr 1
		.amdhsa_user_sgpr_dispatch_id 0
		.amdhsa_user_sgpr_kernarg_preload_length 0
		.amdhsa_user_sgpr_kernarg_preload_offset 0
		.amdhsa_user_sgpr_private_segment_size 0
		.amdhsa_uses_dynamic_stack 0
		.amdhsa_enable_private_segment 0
		.amdhsa_system_sgpr_workgroup_id_x 1
		.amdhsa_system_sgpr_workgroup_id_y 0
		.amdhsa_system_sgpr_workgroup_id_z 0
		.amdhsa_system_sgpr_workgroup_info 0
		.amdhsa_system_vgpr_workitem_id 0
		.amdhsa_next_free_vgpr 1
		.amdhsa_next_free_sgpr 0
		.amdhsa_accum_offset 4
		.amdhsa_reserve_vcc 0
		.amdhsa_float_round_mode_32 0
		.amdhsa_float_round_mode_16_64 0
		.amdhsa_float_denorm_mode_32 3
		.amdhsa_float_denorm_mode_16_64 3
		.amdhsa_dx10_clamp 1
		.amdhsa_ieee_mode 1
		.amdhsa_fp16_overflow 0
		.amdhsa_tg_split 0
		.amdhsa_exception_fp_ieee_invalid_op 0
		.amdhsa_exception_fp_denorm_src 0
		.amdhsa_exception_fp_ieee_div_zero 0
		.amdhsa_exception_fp_ieee_overflow 0
		.amdhsa_exception_fp_ieee_underflow 0
		.amdhsa_exception_fp_ieee_inexact 0
		.amdhsa_exception_int_div_zero 0
	.end_amdhsa_kernel
	.section	.text._ZN7rocprim17ROCPRIM_400000_NS6detail17trampoline_kernelINS0_14default_configENS1_20scan_config_selectorIlEEZZNS1_9scan_implILNS1_25lookback_scan_determinismE0ELb0ELb0ES3_PlS8_lN6thrust23THRUST_200600_302600_NS4plusIvEElEEDaPvRmT3_T4_T5_mT6_P12ihipStream_tbENKUlT_T0_E_clISt17integral_constantIbLb1EESQ_EEDaSL_SM_EUlSL_E_NS1_11comp_targetILNS1_3genE4ELNS1_11target_archE910ELNS1_3gpuE8ELNS1_3repE0EEENS1_30default_config_static_selectorELNS0_4arch9wavefront6targetE1EEEvT1_,"axG",@progbits,_ZN7rocprim17ROCPRIM_400000_NS6detail17trampoline_kernelINS0_14default_configENS1_20scan_config_selectorIlEEZZNS1_9scan_implILNS1_25lookback_scan_determinismE0ELb0ELb0ES3_PlS8_lN6thrust23THRUST_200600_302600_NS4plusIvEElEEDaPvRmT3_T4_T5_mT6_P12ihipStream_tbENKUlT_T0_E_clISt17integral_constantIbLb1EESQ_EEDaSL_SM_EUlSL_E_NS1_11comp_targetILNS1_3genE4ELNS1_11target_archE910ELNS1_3gpuE8ELNS1_3repE0EEENS1_30default_config_static_selectorELNS0_4arch9wavefront6targetE1EEEvT1_,comdat
.Lfunc_end105:
	.size	_ZN7rocprim17ROCPRIM_400000_NS6detail17trampoline_kernelINS0_14default_configENS1_20scan_config_selectorIlEEZZNS1_9scan_implILNS1_25lookback_scan_determinismE0ELb0ELb0ES3_PlS8_lN6thrust23THRUST_200600_302600_NS4plusIvEElEEDaPvRmT3_T4_T5_mT6_P12ihipStream_tbENKUlT_T0_E_clISt17integral_constantIbLb1EESQ_EEDaSL_SM_EUlSL_E_NS1_11comp_targetILNS1_3genE4ELNS1_11target_archE910ELNS1_3gpuE8ELNS1_3repE0EEENS1_30default_config_static_selectorELNS0_4arch9wavefront6targetE1EEEvT1_, .Lfunc_end105-_ZN7rocprim17ROCPRIM_400000_NS6detail17trampoline_kernelINS0_14default_configENS1_20scan_config_selectorIlEEZZNS1_9scan_implILNS1_25lookback_scan_determinismE0ELb0ELb0ES3_PlS8_lN6thrust23THRUST_200600_302600_NS4plusIvEElEEDaPvRmT3_T4_T5_mT6_P12ihipStream_tbENKUlT_T0_E_clISt17integral_constantIbLb1EESQ_EEDaSL_SM_EUlSL_E_NS1_11comp_targetILNS1_3genE4ELNS1_11target_archE910ELNS1_3gpuE8ELNS1_3repE0EEENS1_30default_config_static_selectorELNS0_4arch9wavefront6targetE1EEEvT1_
                                        ; -- End function
	.set _ZN7rocprim17ROCPRIM_400000_NS6detail17trampoline_kernelINS0_14default_configENS1_20scan_config_selectorIlEEZZNS1_9scan_implILNS1_25lookback_scan_determinismE0ELb0ELb0ES3_PlS8_lN6thrust23THRUST_200600_302600_NS4plusIvEElEEDaPvRmT3_T4_T5_mT6_P12ihipStream_tbENKUlT_T0_E_clISt17integral_constantIbLb1EESQ_EEDaSL_SM_EUlSL_E_NS1_11comp_targetILNS1_3genE4ELNS1_11target_archE910ELNS1_3gpuE8ELNS1_3repE0EEENS1_30default_config_static_selectorELNS0_4arch9wavefront6targetE1EEEvT1_.num_vgpr, 0
	.set _ZN7rocprim17ROCPRIM_400000_NS6detail17trampoline_kernelINS0_14default_configENS1_20scan_config_selectorIlEEZZNS1_9scan_implILNS1_25lookback_scan_determinismE0ELb0ELb0ES3_PlS8_lN6thrust23THRUST_200600_302600_NS4plusIvEElEEDaPvRmT3_T4_T5_mT6_P12ihipStream_tbENKUlT_T0_E_clISt17integral_constantIbLb1EESQ_EEDaSL_SM_EUlSL_E_NS1_11comp_targetILNS1_3genE4ELNS1_11target_archE910ELNS1_3gpuE8ELNS1_3repE0EEENS1_30default_config_static_selectorELNS0_4arch9wavefront6targetE1EEEvT1_.num_agpr, 0
	.set _ZN7rocprim17ROCPRIM_400000_NS6detail17trampoline_kernelINS0_14default_configENS1_20scan_config_selectorIlEEZZNS1_9scan_implILNS1_25lookback_scan_determinismE0ELb0ELb0ES3_PlS8_lN6thrust23THRUST_200600_302600_NS4plusIvEElEEDaPvRmT3_T4_T5_mT6_P12ihipStream_tbENKUlT_T0_E_clISt17integral_constantIbLb1EESQ_EEDaSL_SM_EUlSL_E_NS1_11comp_targetILNS1_3genE4ELNS1_11target_archE910ELNS1_3gpuE8ELNS1_3repE0EEENS1_30default_config_static_selectorELNS0_4arch9wavefront6targetE1EEEvT1_.numbered_sgpr, 0
	.set _ZN7rocprim17ROCPRIM_400000_NS6detail17trampoline_kernelINS0_14default_configENS1_20scan_config_selectorIlEEZZNS1_9scan_implILNS1_25lookback_scan_determinismE0ELb0ELb0ES3_PlS8_lN6thrust23THRUST_200600_302600_NS4plusIvEElEEDaPvRmT3_T4_T5_mT6_P12ihipStream_tbENKUlT_T0_E_clISt17integral_constantIbLb1EESQ_EEDaSL_SM_EUlSL_E_NS1_11comp_targetILNS1_3genE4ELNS1_11target_archE910ELNS1_3gpuE8ELNS1_3repE0EEENS1_30default_config_static_selectorELNS0_4arch9wavefront6targetE1EEEvT1_.num_named_barrier, 0
	.set _ZN7rocprim17ROCPRIM_400000_NS6detail17trampoline_kernelINS0_14default_configENS1_20scan_config_selectorIlEEZZNS1_9scan_implILNS1_25lookback_scan_determinismE0ELb0ELb0ES3_PlS8_lN6thrust23THRUST_200600_302600_NS4plusIvEElEEDaPvRmT3_T4_T5_mT6_P12ihipStream_tbENKUlT_T0_E_clISt17integral_constantIbLb1EESQ_EEDaSL_SM_EUlSL_E_NS1_11comp_targetILNS1_3genE4ELNS1_11target_archE910ELNS1_3gpuE8ELNS1_3repE0EEENS1_30default_config_static_selectorELNS0_4arch9wavefront6targetE1EEEvT1_.private_seg_size, 0
	.set _ZN7rocprim17ROCPRIM_400000_NS6detail17trampoline_kernelINS0_14default_configENS1_20scan_config_selectorIlEEZZNS1_9scan_implILNS1_25lookback_scan_determinismE0ELb0ELb0ES3_PlS8_lN6thrust23THRUST_200600_302600_NS4plusIvEElEEDaPvRmT3_T4_T5_mT6_P12ihipStream_tbENKUlT_T0_E_clISt17integral_constantIbLb1EESQ_EEDaSL_SM_EUlSL_E_NS1_11comp_targetILNS1_3genE4ELNS1_11target_archE910ELNS1_3gpuE8ELNS1_3repE0EEENS1_30default_config_static_selectorELNS0_4arch9wavefront6targetE1EEEvT1_.uses_vcc, 0
	.set _ZN7rocprim17ROCPRIM_400000_NS6detail17trampoline_kernelINS0_14default_configENS1_20scan_config_selectorIlEEZZNS1_9scan_implILNS1_25lookback_scan_determinismE0ELb0ELb0ES3_PlS8_lN6thrust23THRUST_200600_302600_NS4plusIvEElEEDaPvRmT3_T4_T5_mT6_P12ihipStream_tbENKUlT_T0_E_clISt17integral_constantIbLb1EESQ_EEDaSL_SM_EUlSL_E_NS1_11comp_targetILNS1_3genE4ELNS1_11target_archE910ELNS1_3gpuE8ELNS1_3repE0EEENS1_30default_config_static_selectorELNS0_4arch9wavefront6targetE1EEEvT1_.uses_flat_scratch, 0
	.set _ZN7rocprim17ROCPRIM_400000_NS6detail17trampoline_kernelINS0_14default_configENS1_20scan_config_selectorIlEEZZNS1_9scan_implILNS1_25lookback_scan_determinismE0ELb0ELb0ES3_PlS8_lN6thrust23THRUST_200600_302600_NS4plusIvEElEEDaPvRmT3_T4_T5_mT6_P12ihipStream_tbENKUlT_T0_E_clISt17integral_constantIbLb1EESQ_EEDaSL_SM_EUlSL_E_NS1_11comp_targetILNS1_3genE4ELNS1_11target_archE910ELNS1_3gpuE8ELNS1_3repE0EEENS1_30default_config_static_selectorELNS0_4arch9wavefront6targetE1EEEvT1_.has_dyn_sized_stack, 0
	.set _ZN7rocprim17ROCPRIM_400000_NS6detail17trampoline_kernelINS0_14default_configENS1_20scan_config_selectorIlEEZZNS1_9scan_implILNS1_25lookback_scan_determinismE0ELb0ELb0ES3_PlS8_lN6thrust23THRUST_200600_302600_NS4plusIvEElEEDaPvRmT3_T4_T5_mT6_P12ihipStream_tbENKUlT_T0_E_clISt17integral_constantIbLb1EESQ_EEDaSL_SM_EUlSL_E_NS1_11comp_targetILNS1_3genE4ELNS1_11target_archE910ELNS1_3gpuE8ELNS1_3repE0EEENS1_30default_config_static_selectorELNS0_4arch9wavefront6targetE1EEEvT1_.has_recursion, 0
	.set _ZN7rocprim17ROCPRIM_400000_NS6detail17trampoline_kernelINS0_14default_configENS1_20scan_config_selectorIlEEZZNS1_9scan_implILNS1_25lookback_scan_determinismE0ELb0ELb0ES3_PlS8_lN6thrust23THRUST_200600_302600_NS4plusIvEElEEDaPvRmT3_T4_T5_mT6_P12ihipStream_tbENKUlT_T0_E_clISt17integral_constantIbLb1EESQ_EEDaSL_SM_EUlSL_E_NS1_11comp_targetILNS1_3genE4ELNS1_11target_archE910ELNS1_3gpuE8ELNS1_3repE0EEENS1_30default_config_static_selectorELNS0_4arch9wavefront6targetE1EEEvT1_.has_indirect_call, 0
	.section	.AMDGPU.csdata,"",@progbits
; Kernel info:
; codeLenInByte = 0
; TotalNumSgprs: 6
; NumVgprs: 0
; NumAgprs: 0
; TotalNumVgprs: 0
; ScratchSize: 0
; MemoryBound: 0
; FloatMode: 240
; IeeeMode: 1
; LDSByteSize: 0 bytes/workgroup (compile time only)
; SGPRBlocks: 0
; VGPRBlocks: 0
; NumSGPRsForWavesPerEU: 6
; NumVGPRsForWavesPerEU: 1
; AccumOffset: 4
; Occupancy: 8
; WaveLimiterHint : 0
; COMPUTE_PGM_RSRC2:SCRATCH_EN: 0
; COMPUTE_PGM_RSRC2:USER_SGPR: 2
; COMPUTE_PGM_RSRC2:TRAP_HANDLER: 0
; COMPUTE_PGM_RSRC2:TGID_X_EN: 1
; COMPUTE_PGM_RSRC2:TGID_Y_EN: 0
; COMPUTE_PGM_RSRC2:TGID_Z_EN: 0
; COMPUTE_PGM_RSRC2:TIDIG_COMP_CNT: 0
; COMPUTE_PGM_RSRC3_GFX90A:ACCUM_OFFSET: 0
; COMPUTE_PGM_RSRC3_GFX90A:TG_SPLIT: 0
	.section	.text._ZN7rocprim17ROCPRIM_400000_NS6detail17trampoline_kernelINS0_14default_configENS1_20scan_config_selectorIlEEZZNS1_9scan_implILNS1_25lookback_scan_determinismE0ELb0ELb0ES3_PlS8_lN6thrust23THRUST_200600_302600_NS4plusIvEElEEDaPvRmT3_T4_T5_mT6_P12ihipStream_tbENKUlT_T0_E_clISt17integral_constantIbLb1EESQ_EEDaSL_SM_EUlSL_E_NS1_11comp_targetILNS1_3genE3ELNS1_11target_archE908ELNS1_3gpuE7ELNS1_3repE0EEENS1_30default_config_static_selectorELNS0_4arch9wavefront6targetE1EEEvT1_,"axG",@progbits,_ZN7rocprim17ROCPRIM_400000_NS6detail17trampoline_kernelINS0_14default_configENS1_20scan_config_selectorIlEEZZNS1_9scan_implILNS1_25lookback_scan_determinismE0ELb0ELb0ES3_PlS8_lN6thrust23THRUST_200600_302600_NS4plusIvEElEEDaPvRmT3_T4_T5_mT6_P12ihipStream_tbENKUlT_T0_E_clISt17integral_constantIbLb1EESQ_EEDaSL_SM_EUlSL_E_NS1_11comp_targetILNS1_3genE3ELNS1_11target_archE908ELNS1_3gpuE7ELNS1_3repE0EEENS1_30default_config_static_selectorELNS0_4arch9wavefront6targetE1EEEvT1_,comdat
	.protected	_ZN7rocprim17ROCPRIM_400000_NS6detail17trampoline_kernelINS0_14default_configENS1_20scan_config_selectorIlEEZZNS1_9scan_implILNS1_25lookback_scan_determinismE0ELb0ELb0ES3_PlS8_lN6thrust23THRUST_200600_302600_NS4plusIvEElEEDaPvRmT3_T4_T5_mT6_P12ihipStream_tbENKUlT_T0_E_clISt17integral_constantIbLb1EESQ_EEDaSL_SM_EUlSL_E_NS1_11comp_targetILNS1_3genE3ELNS1_11target_archE908ELNS1_3gpuE7ELNS1_3repE0EEENS1_30default_config_static_selectorELNS0_4arch9wavefront6targetE1EEEvT1_ ; -- Begin function _ZN7rocprim17ROCPRIM_400000_NS6detail17trampoline_kernelINS0_14default_configENS1_20scan_config_selectorIlEEZZNS1_9scan_implILNS1_25lookback_scan_determinismE0ELb0ELb0ES3_PlS8_lN6thrust23THRUST_200600_302600_NS4plusIvEElEEDaPvRmT3_T4_T5_mT6_P12ihipStream_tbENKUlT_T0_E_clISt17integral_constantIbLb1EESQ_EEDaSL_SM_EUlSL_E_NS1_11comp_targetILNS1_3genE3ELNS1_11target_archE908ELNS1_3gpuE7ELNS1_3repE0EEENS1_30default_config_static_selectorELNS0_4arch9wavefront6targetE1EEEvT1_
	.globl	_ZN7rocprim17ROCPRIM_400000_NS6detail17trampoline_kernelINS0_14default_configENS1_20scan_config_selectorIlEEZZNS1_9scan_implILNS1_25lookback_scan_determinismE0ELb0ELb0ES3_PlS8_lN6thrust23THRUST_200600_302600_NS4plusIvEElEEDaPvRmT3_T4_T5_mT6_P12ihipStream_tbENKUlT_T0_E_clISt17integral_constantIbLb1EESQ_EEDaSL_SM_EUlSL_E_NS1_11comp_targetILNS1_3genE3ELNS1_11target_archE908ELNS1_3gpuE7ELNS1_3repE0EEENS1_30default_config_static_selectorELNS0_4arch9wavefront6targetE1EEEvT1_
	.p2align	8
	.type	_ZN7rocprim17ROCPRIM_400000_NS6detail17trampoline_kernelINS0_14default_configENS1_20scan_config_selectorIlEEZZNS1_9scan_implILNS1_25lookback_scan_determinismE0ELb0ELb0ES3_PlS8_lN6thrust23THRUST_200600_302600_NS4plusIvEElEEDaPvRmT3_T4_T5_mT6_P12ihipStream_tbENKUlT_T0_E_clISt17integral_constantIbLb1EESQ_EEDaSL_SM_EUlSL_E_NS1_11comp_targetILNS1_3genE3ELNS1_11target_archE908ELNS1_3gpuE7ELNS1_3repE0EEENS1_30default_config_static_selectorELNS0_4arch9wavefront6targetE1EEEvT1_,@function
_ZN7rocprim17ROCPRIM_400000_NS6detail17trampoline_kernelINS0_14default_configENS1_20scan_config_selectorIlEEZZNS1_9scan_implILNS1_25lookback_scan_determinismE0ELb0ELb0ES3_PlS8_lN6thrust23THRUST_200600_302600_NS4plusIvEElEEDaPvRmT3_T4_T5_mT6_P12ihipStream_tbENKUlT_T0_E_clISt17integral_constantIbLb1EESQ_EEDaSL_SM_EUlSL_E_NS1_11comp_targetILNS1_3genE3ELNS1_11target_archE908ELNS1_3gpuE7ELNS1_3repE0EEENS1_30default_config_static_selectorELNS0_4arch9wavefront6targetE1EEEvT1_: ; @_ZN7rocprim17ROCPRIM_400000_NS6detail17trampoline_kernelINS0_14default_configENS1_20scan_config_selectorIlEEZZNS1_9scan_implILNS1_25lookback_scan_determinismE0ELb0ELb0ES3_PlS8_lN6thrust23THRUST_200600_302600_NS4plusIvEElEEDaPvRmT3_T4_T5_mT6_P12ihipStream_tbENKUlT_T0_E_clISt17integral_constantIbLb1EESQ_EEDaSL_SM_EUlSL_E_NS1_11comp_targetILNS1_3genE3ELNS1_11target_archE908ELNS1_3gpuE7ELNS1_3repE0EEENS1_30default_config_static_selectorELNS0_4arch9wavefront6targetE1EEEvT1_
; %bb.0:
	.section	.rodata,"a",@progbits
	.p2align	6, 0x0
	.amdhsa_kernel _ZN7rocprim17ROCPRIM_400000_NS6detail17trampoline_kernelINS0_14default_configENS1_20scan_config_selectorIlEEZZNS1_9scan_implILNS1_25lookback_scan_determinismE0ELb0ELb0ES3_PlS8_lN6thrust23THRUST_200600_302600_NS4plusIvEElEEDaPvRmT3_T4_T5_mT6_P12ihipStream_tbENKUlT_T0_E_clISt17integral_constantIbLb1EESQ_EEDaSL_SM_EUlSL_E_NS1_11comp_targetILNS1_3genE3ELNS1_11target_archE908ELNS1_3gpuE7ELNS1_3repE0EEENS1_30default_config_static_selectorELNS0_4arch9wavefront6targetE1EEEvT1_
		.amdhsa_group_segment_fixed_size 0
		.amdhsa_private_segment_fixed_size 0
		.amdhsa_kernarg_size 104
		.amdhsa_user_sgpr_count 2
		.amdhsa_user_sgpr_dispatch_ptr 0
		.amdhsa_user_sgpr_queue_ptr 0
		.amdhsa_user_sgpr_kernarg_segment_ptr 1
		.amdhsa_user_sgpr_dispatch_id 0
		.amdhsa_user_sgpr_kernarg_preload_length 0
		.amdhsa_user_sgpr_kernarg_preload_offset 0
		.amdhsa_user_sgpr_private_segment_size 0
		.amdhsa_uses_dynamic_stack 0
		.amdhsa_enable_private_segment 0
		.amdhsa_system_sgpr_workgroup_id_x 1
		.amdhsa_system_sgpr_workgroup_id_y 0
		.amdhsa_system_sgpr_workgroup_id_z 0
		.amdhsa_system_sgpr_workgroup_info 0
		.amdhsa_system_vgpr_workitem_id 0
		.amdhsa_next_free_vgpr 1
		.amdhsa_next_free_sgpr 0
		.amdhsa_accum_offset 4
		.amdhsa_reserve_vcc 0
		.amdhsa_float_round_mode_32 0
		.amdhsa_float_round_mode_16_64 0
		.amdhsa_float_denorm_mode_32 3
		.amdhsa_float_denorm_mode_16_64 3
		.amdhsa_dx10_clamp 1
		.amdhsa_ieee_mode 1
		.amdhsa_fp16_overflow 0
		.amdhsa_tg_split 0
		.amdhsa_exception_fp_ieee_invalid_op 0
		.amdhsa_exception_fp_denorm_src 0
		.amdhsa_exception_fp_ieee_div_zero 0
		.amdhsa_exception_fp_ieee_overflow 0
		.amdhsa_exception_fp_ieee_underflow 0
		.amdhsa_exception_fp_ieee_inexact 0
		.amdhsa_exception_int_div_zero 0
	.end_amdhsa_kernel
	.section	.text._ZN7rocprim17ROCPRIM_400000_NS6detail17trampoline_kernelINS0_14default_configENS1_20scan_config_selectorIlEEZZNS1_9scan_implILNS1_25lookback_scan_determinismE0ELb0ELb0ES3_PlS8_lN6thrust23THRUST_200600_302600_NS4plusIvEElEEDaPvRmT3_T4_T5_mT6_P12ihipStream_tbENKUlT_T0_E_clISt17integral_constantIbLb1EESQ_EEDaSL_SM_EUlSL_E_NS1_11comp_targetILNS1_3genE3ELNS1_11target_archE908ELNS1_3gpuE7ELNS1_3repE0EEENS1_30default_config_static_selectorELNS0_4arch9wavefront6targetE1EEEvT1_,"axG",@progbits,_ZN7rocprim17ROCPRIM_400000_NS6detail17trampoline_kernelINS0_14default_configENS1_20scan_config_selectorIlEEZZNS1_9scan_implILNS1_25lookback_scan_determinismE0ELb0ELb0ES3_PlS8_lN6thrust23THRUST_200600_302600_NS4plusIvEElEEDaPvRmT3_T4_T5_mT6_P12ihipStream_tbENKUlT_T0_E_clISt17integral_constantIbLb1EESQ_EEDaSL_SM_EUlSL_E_NS1_11comp_targetILNS1_3genE3ELNS1_11target_archE908ELNS1_3gpuE7ELNS1_3repE0EEENS1_30default_config_static_selectorELNS0_4arch9wavefront6targetE1EEEvT1_,comdat
.Lfunc_end106:
	.size	_ZN7rocprim17ROCPRIM_400000_NS6detail17trampoline_kernelINS0_14default_configENS1_20scan_config_selectorIlEEZZNS1_9scan_implILNS1_25lookback_scan_determinismE0ELb0ELb0ES3_PlS8_lN6thrust23THRUST_200600_302600_NS4plusIvEElEEDaPvRmT3_T4_T5_mT6_P12ihipStream_tbENKUlT_T0_E_clISt17integral_constantIbLb1EESQ_EEDaSL_SM_EUlSL_E_NS1_11comp_targetILNS1_3genE3ELNS1_11target_archE908ELNS1_3gpuE7ELNS1_3repE0EEENS1_30default_config_static_selectorELNS0_4arch9wavefront6targetE1EEEvT1_, .Lfunc_end106-_ZN7rocprim17ROCPRIM_400000_NS6detail17trampoline_kernelINS0_14default_configENS1_20scan_config_selectorIlEEZZNS1_9scan_implILNS1_25lookback_scan_determinismE0ELb0ELb0ES3_PlS8_lN6thrust23THRUST_200600_302600_NS4plusIvEElEEDaPvRmT3_T4_T5_mT6_P12ihipStream_tbENKUlT_T0_E_clISt17integral_constantIbLb1EESQ_EEDaSL_SM_EUlSL_E_NS1_11comp_targetILNS1_3genE3ELNS1_11target_archE908ELNS1_3gpuE7ELNS1_3repE0EEENS1_30default_config_static_selectorELNS0_4arch9wavefront6targetE1EEEvT1_
                                        ; -- End function
	.set _ZN7rocprim17ROCPRIM_400000_NS6detail17trampoline_kernelINS0_14default_configENS1_20scan_config_selectorIlEEZZNS1_9scan_implILNS1_25lookback_scan_determinismE0ELb0ELb0ES3_PlS8_lN6thrust23THRUST_200600_302600_NS4plusIvEElEEDaPvRmT3_T4_T5_mT6_P12ihipStream_tbENKUlT_T0_E_clISt17integral_constantIbLb1EESQ_EEDaSL_SM_EUlSL_E_NS1_11comp_targetILNS1_3genE3ELNS1_11target_archE908ELNS1_3gpuE7ELNS1_3repE0EEENS1_30default_config_static_selectorELNS0_4arch9wavefront6targetE1EEEvT1_.num_vgpr, 0
	.set _ZN7rocprim17ROCPRIM_400000_NS6detail17trampoline_kernelINS0_14default_configENS1_20scan_config_selectorIlEEZZNS1_9scan_implILNS1_25lookback_scan_determinismE0ELb0ELb0ES3_PlS8_lN6thrust23THRUST_200600_302600_NS4plusIvEElEEDaPvRmT3_T4_T5_mT6_P12ihipStream_tbENKUlT_T0_E_clISt17integral_constantIbLb1EESQ_EEDaSL_SM_EUlSL_E_NS1_11comp_targetILNS1_3genE3ELNS1_11target_archE908ELNS1_3gpuE7ELNS1_3repE0EEENS1_30default_config_static_selectorELNS0_4arch9wavefront6targetE1EEEvT1_.num_agpr, 0
	.set _ZN7rocprim17ROCPRIM_400000_NS6detail17trampoline_kernelINS0_14default_configENS1_20scan_config_selectorIlEEZZNS1_9scan_implILNS1_25lookback_scan_determinismE0ELb0ELb0ES3_PlS8_lN6thrust23THRUST_200600_302600_NS4plusIvEElEEDaPvRmT3_T4_T5_mT6_P12ihipStream_tbENKUlT_T0_E_clISt17integral_constantIbLb1EESQ_EEDaSL_SM_EUlSL_E_NS1_11comp_targetILNS1_3genE3ELNS1_11target_archE908ELNS1_3gpuE7ELNS1_3repE0EEENS1_30default_config_static_selectorELNS0_4arch9wavefront6targetE1EEEvT1_.numbered_sgpr, 0
	.set _ZN7rocprim17ROCPRIM_400000_NS6detail17trampoline_kernelINS0_14default_configENS1_20scan_config_selectorIlEEZZNS1_9scan_implILNS1_25lookback_scan_determinismE0ELb0ELb0ES3_PlS8_lN6thrust23THRUST_200600_302600_NS4plusIvEElEEDaPvRmT3_T4_T5_mT6_P12ihipStream_tbENKUlT_T0_E_clISt17integral_constantIbLb1EESQ_EEDaSL_SM_EUlSL_E_NS1_11comp_targetILNS1_3genE3ELNS1_11target_archE908ELNS1_3gpuE7ELNS1_3repE0EEENS1_30default_config_static_selectorELNS0_4arch9wavefront6targetE1EEEvT1_.num_named_barrier, 0
	.set _ZN7rocprim17ROCPRIM_400000_NS6detail17trampoline_kernelINS0_14default_configENS1_20scan_config_selectorIlEEZZNS1_9scan_implILNS1_25lookback_scan_determinismE0ELb0ELb0ES3_PlS8_lN6thrust23THRUST_200600_302600_NS4plusIvEElEEDaPvRmT3_T4_T5_mT6_P12ihipStream_tbENKUlT_T0_E_clISt17integral_constantIbLb1EESQ_EEDaSL_SM_EUlSL_E_NS1_11comp_targetILNS1_3genE3ELNS1_11target_archE908ELNS1_3gpuE7ELNS1_3repE0EEENS1_30default_config_static_selectorELNS0_4arch9wavefront6targetE1EEEvT1_.private_seg_size, 0
	.set _ZN7rocprim17ROCPRIM_400000_NS6detail17trampoline_kernelINS0_14default_configENS1_20scan_config_selectorIlEEZZNS1_9scan_implILNS1_25lookback_scan_determinismE0ELb0ELb0ES3_PlS8_lN6thrust23THRUST_200600_302600_NS4plusIvEElEEDaPvRmT3_T4_T5_mT6_P12ihipStream_tbENKUlT_T0_E_clISt17integral_constantIbLb1EESQ_EEDaSL_SM_EUlSL_E_NS1_11comp_targetILNS1_3genE3ELNS1_11target_archE908ELNS1_3gpuE7ELNS1_3repE0EEENS1_30default_config_static_selectorELNS0_4arch9wavefront6targetE1EEEvT1_.uses_vcc, 0
	.set _ZN7rocprim17ROCPRIM_400000_NS6detail17trampoline_kernelINS0_14default_configENS1_20scan_config_selectorIlEEZZNS1_9scan_implILNS1_25lookback_scan_determinismE0ELb0ELb0ES3_PlS8_lN6thrust23THRUST_200600_302600_NS4plusIvEElEEDaPvRmT3_T4_T5_mT6_P12ihipStream_tbENKUlT_T0_E_clISt17integral_constantIbLb1EESQ_EEDaSL_SM_EUlSL_E_NS1_11comp_targetILNS1_3genE3ELNS1_11target_archE908ELNS1_3gpuE7ELNS1_3repE0EEENS1_30default_config_static_selectorELNS0_4arch9wavefront6targetE1EEEvT1_.uses_flat_scratch, 0
	.set _ZN7rocprim17ROCPRIM_400000_NS6detail17trampoline_kernelINS0_14default_configENS1_20scan_config_selectorIlEEZZNS1_9scan_implILNS1_25lookback_scan_determinismE0ELb0ELb0ES3_PlS8_lN6thrust23THRUST_200600_302600_NS4plusIvEElEEDaPvRmT3_T4_T5_mT6_P12ihipStream_tbENKUlT_T0_E_clISt17integral_constantIbLb1EESQ_EEDaSL_SM_EUlSL_E_NS1_11comp_targetILNS1_3genE3ELNS1_11target_archE908ELNS1_3gpuE7ELNS1_3repE0EEENS1_30default_config_static_selectorELNS0_4arch9wavefront6targetE1EEEvT1_.has_dyn_sized_stack, 0
	.set _ZN7rocprim17ROCPRIM_400000_NS6detail17trampoline_kernelINS0_14default_configENS1_20scan_config_selectorIlEEZZNS1_9scan_implILNS1_25lookback_scan_determinismE0ELb0ELb0ES3_PlS8_lN6thrust23THRUST_200600_302600_NS4plusIvEElEEDaPvRmT3_T4_T5_mT6_P12ihipStream_tbENKUlT_T0_E_clISt17integral_constantIbLb1EESQ_EEDaSL_SM_EUlSL_E_NS1_11comp_targetILNS1_3genE3ELNS1_11target_archE908ELNS1_3gpuE7ELNS1_3repE0EEENS1_30default_config_static_selectorELNS0_4arch9wavefront6targetE1EEEvT1_.has_recursion, 0
	.set _ZN7rocprim17ROCPRIM_400000_NS6detail17trampoline_kernelINS0_14default_configENS1_20scan_config_selectorIlEEZZNS1_9scan_implILNS1_25lookback_scan_determinismE0ELb0ELb0ES3_PlS8_lN6thrust23THRUST_200600_302600_NS4plusIvEElEEDaPvRmT3_T4_T5_mT6_P12ihipStream_tbENKUlT_T0_E_clISt17integral_constantIbLb1EESQ_EEDaSL_SM_EUlSL_E_NS1_11comp_targetILNS1_3genE3ELNS1_11target_archE908ELNS1_3gpuE7ELNS1_3repE0EEENS1_30default_config_static_selectorELNS0_4arch9wavefront6targetE1EEEvT1_.has_indirect_call, 0
	.section	.AMDGPU.csdata,"",@progbits
; Kernel info:
; codeLenInByte = 0
; TotalNumSgprs: 6
; NumVgprs: 0
; NumAgprs: 0
; TotalNumVgprs: 0
; ScratchSize: 0
; MemoryBound: 0
; FloatMode: 240
; IeeeMode: 1
; LDSByteSize: 0 bytes/workgroup (compile time only)
; SGPRBlocks: 0
; VGPRBlocks: 0
; NumSGPRsForWavesPerEU: 6
; NumVGPRsForWavesPerEU: 1
; AccumOffset: 4
; Occupancy: 8
; WaveLimiterHint : 0
; COMPUTE_PGM_RSRC2:SCRATCH_EN: 0
; COMPUTE_PGM_RSRC2:USER_SGPR: 2
; COMPUTE_PGM_RSRC2:TRAP_HANDLER: 0
; COMPUTE_PGM_RSRC2:TGID_X_EN: 1
; COMPUTE_PGM_RSRC2:TGID_Y_EN: 0
; COMPUTE_PGM_RSRC2:TGID_Z_EN: 0
; COMPUTE_PGM_RSRC2:TIDIG_COMP_CNT: 0
; COMPUTE_PGM_RSRC3_GFX90A:ACCUM_OFFSET: 0
; COMPUTE_PGM_RSRC3_GFX90A:TG_SPLIT: 0
	.section	.text._ZN7rocprim17ROCPRIM_400000_NS6detail17trampoline_kernelINS0_14default_configENS1_20scan_config_selectorIlEEZZNS1_9scan_implILNS1_25lookback_scan_determinismE0ELb0ELb0ES3_PlS8_lN6thrust23THRUST_200600_302600_NS4plusIvEElEEDaPvRmT3_T4_T5_mT6_P12ihipStream_tbENKUlT_T0_E_clISt17integral_constantIbLb1EESQ_EEDaSL_SM_EUlSL_E_NS1_11comp_targetILNS1_3genE2ELNS1_11target_archE906ELNS1_3gpuE6ELNS1_3repE0EEENS1_30default_config_static_selectorELNS0_4arch9wavefront6targetE1EEEvT1_,"axG",@progbits,_ZN7rocprim17ROCPRIM_400000_NS6detail17trampoline_kernelINS0_14default_configENS1_20scan_config_selectorIlEEZZNS1_9scan_implILNS1_25lookback_scan_determinismE0ELb0ELb0ES3_PlS8_lN6thrust23THRUST_200600_302600_NS4plusIvEElEEDaPvRmT3_T4_T5_mT6_P12ihipStream_tbENKUlT_T0_E_clISt17integral_constantIbLb1EESQ_EEDaSL_SM_EUlSL_E_NS1_11comp_targetILNS1_3genE2ELNS1_11target_archE906ELNS1_3gpuE6ELNS1_3repE0EEENS1_30default_config_static_selectorELNS0_4arch9wavefront6targetE1EEEvT1_,comdat
	.protected	_ZN7rocprim17ROCPRIM_400000_NS6detail17trampoline_kernelINS0_14default_configENS1_20scan_config_selectorIlEEZZNS1_9scan_implILNS1_25lookback_scan_determinismE0ELb0ELb0ES3_PlS8_lN6thrust23THRUST_200600_302600_NS4plusIvEElEEDaPvRmT3_T4_T5_mT6_P12ihipStream_tbENKUlT_T0_E_clISt17integral_constantIbLb1EESQ_EEDaSL_SM_EUlSL_E_NS1_11comp_targetILNS1_3genE2ELNS1_11target_archE906ELNS1_3gpuE6ELNS1_3repE0EEENS1_30default_config_static_selectorELNS0_4arch9wavefront6targetE1EEEvT1_ ; -- Begin function _ZN7rocprim17ROCPRIM_400000_NS6detail17trampoline_kernelINS0_14default_configENS1_20scan_config_selectorIlEEZZNS1_9scan_implILNS1_25lookback_scan_determinismE0ELb0ELb0ES3_PlS8_lN6thrust23THRUST_200600_302600_NS4plusIvEElEEDaPvRmT3_T4_T5_mT6_P12ihipStream_tbENKUlT_T0_E_clISt17integral_constantIbLb1EESQ_EEDaSL_SM_EUlSL_E_NS1_11comp_targetILNS1_3genE2ELNS1_11target_archE906ELNS1_3gpuE6ELNS1_3repE0EEENS1_30default_config_static_selectorELNS0_4arch9wavefront6targetE1EEEvT1_
	.globl	_ZN7rocprim17ROCPRIM_400000_NS6detail17trampoline_kernelINS0_14default_configENS1_20scan_config_selectorIlEEZZNS1_9scan_implILNS1_25lookback_scan_determinismE0ELb0ELb0ES3_PlS8_lN6thrust23THRUST_200600_302600_NS4plusIvEElEEDaPvRmT3_T4_T5_mT6_P12ihipStream_tbENKUlT_T0_E_clISt17integral_constantIbLb1EESQ_EEDaSL_SM_EUlSL_E_NS1_11comp_targetILNS1_3genE2ELNS1_11target_archE906ELNS1_3gpuE6ELNS1_3repE0EEENS1_30default_config_static_selectorELNS0_4arch9wavefront6targetE1EEEvT1_
	.p2align	8
	.type	_ZN7rocprim17ROCPRIM_400000_NS6detail17trampoline_kernelINS0_14default_configENS1_20scan_config_selectorIlEEZZNS1_9scan_implILNS1_25lookback_scan_determinismE0ELb0ELb0ES3_PlS8_lN6thrust23THRUST_200600_302600_NS4plusIvEElEEDaPvRmT3_T4_T5_mT6_P12ihipStream_tbENKUlT_T0_E_clISt17integral_constantIbLb1EESQ_EEDaSL_SM_EUlSL_E_NS1_11comp_targetILNS1_3genE2ELNS1_11target_archE906ELNS1_3gpuE6ELNS1_3repE0EEENS1_30default_config_static_selectorELNS0_4arch9wavefront6targetE1EEEvT1_,@function
_ZN7rocprim17ROCPRIM_400000_NS6detail17trampoline_kernelINS0_14default_configENS1_20scan_config_selectorIlEEZZNS1_9scan_implILNS1_25lookback_scan_determinismE0ELb0ELb0ES3_PlS8_lN6thrust23THRUST_200600_302600_NS4plusIvEElEEDaPvRmT3_T4_T5_mT6_P12ihipStream_tbENKUlT_T0_E_clISt17integral_constantIbLb1EESQ_EEDaSL_SM_EUlSL_E_NS1_11comp_targetILNS1_3genE2ELNS1_11target_archE906ELNS1_3gpuE6ELNS1_3repE0EEENS1_30default_config_static_selectorELNS0_4arch9wavefront6targetE1EEEvT1_: ; @_ZN7rocprim17ROCPRIM_400000_NS6detail17trampoline_kernelINS0_14default_configENS1_20scan_config_selectorIlEEZZNS1_9scan_implILNS1_25lookback_scan_determinismE0ELb0ELb0ES3_PlS8_lN6thrust23THRUST_200600_302600_NS4plusIvEElEEDaPvRmT3_T4_T5_mT6_P12ihipStream_tbENKUlT_T0_E_clISt17integral_constantIbLb1EESQ_EEDaSL_SM_EUlSL_E_NS1_11comp_targetILNS1_3genE2ELNS1_11target_archE906ELNS1_3gpuE6ELNS1_3repE0EEENS1_30default_config_static_selectorELNS0_4arch9wavefront6targetE1EEEvT1_
; %bb.0:
	.section	.rodata,"a",@progbits
	.p2align	6, 0x0
	.amdhsa_kernel _ZN7rocprim17ROCPRIM_400000_NS6detail17trampoline_kernelINS0_14default_configENS1_20scan_config_selectorIlEEZZNS1_9scan_implILNS1_25lookback_scan_determinismE0ELb0ELb0ES3_PlS8_lN6thrust23THRUST_200600_302600_NS4plusIvEElEEDaPvRmT3_T4_T5_mT6_P12ihipStream_tbENKUlT_T0_E_clISt17integral_constantIbLb1EESQ_EEDaSL_SM_EUlSL_E_NS1_11comp_targetILNS1_3genE2ELNS1_11target_archE906ELNS1_3gpuE6ELNS1_3repE0EEENS1_30default_config_static_selectorELNS0_4arch9wavefront6targetE1EEEvT1_
		.amdhsa_group_segment_fixed_size 0
		.amdhsa_private_segment_fixed_size 0
		.amdhsa_kernarg_size 104
		.amdhsa_user_sgpr_count 2
		.amdhsa_user_sgpr_dispatch_ptr 0
		.amdhsa_user_sgpr_queue_ptr 0
		.amdhsa_user_sgpr_kernarg_segment_ptr 1
		.amdhsa_user_sgpr_dispatch_id 0
		.amdhsa_user_sgpr_kernarg_preload_length 0
		.amdhsa_user_sgpr_kernarg_preload_offset 0
		.amdhsa_user_sgpr_private_segment_size 0
		.amdhsa_uses_dynamic_stack 0
		.amdhsa_enable_private_segment 0
		.amdhsa_system_sgpr_workgroup_id_x 1
		.amdhsa_system_sgpr_workgroup_id_y 0
		.amdhsa_system_sgpr_workgroup_id_z 0
		.amdhsa_system_sgpr_workgroup_info 0
		.amdhsa_system_vgpr_workitem_id 0
		.amdhsa_next_free_vgpr 1
		.amdhsa_next_free_sgpr 0
		.amdhsa_accum_offset 4
		.amdhsa_reserve_vcc 0
		.amdhsa_float_round_mode_32 0
		.amdhsa_float_round_mode_16_64 0
		.amdhsa_float_denorm_mode_32 3
		.amdhsa_float_denorm_mode_16_64 3
		.amdhsa_dx10_clamp 1
		.amdhsa_ieee_mode 1
		.amdhsa_fp16_overflow 0
		.amdhsa_tg_split 0
		.amdhsa_exception_fp_ieee_invalid_op 0
		.amdhsa_exception_fp_denorm_src 0
		.amdhsa_exception_fp_ieee_div_zero 0
		.amdhsa_exception_fp_ieee_overflow 0
		.amdhsa_exception_fp_ieee_underflow 0
		.amdhsa_exception_fp_ieee_inexact 0
		.amdhsa_exception_int_div_zero 0
	.end_amdhsa_kernel
	.section	.text._ZN7rocprim17ROCPRIM_400000_NS6detail17trampoline_kernelINS0_14default_configENS1_20scan_config_selectorIlEEZZNS1_9scan_implILNS1_25lookback_scan_determinismE0ELb0ELb0ES3_PlS8_lN6thrust23THRUST_200600_302600_NS4plusIvEElEEDaPvRmT3_T4_T5_mT6_P12ihipStream_tbENKUlT_T0_E_clISt17integral_constantIbLb1EESQ_EEDaSL_SM_EUlSL_E_NS1_11comp_targetILNS1_3genE2ELNS1_11target_archE906ELNS1_3gpuE6ELNS1_3repE0EEENS1_30default_config_static_selectorELNS0_4arch9wavefront6targetE1EEEvT1_,"axG",@progbits,_ZN7rocprim17ROCPRIM_400000_NS6detail17trampoline_kernelINS0_14default_configENS1_20scan_config_selectorIlEEZZNS1_9scan_implILNS1_25lookback_scan_determinismE0ELb0ELb0ES3_PlS8_lN6thrust23THRUST_200600_302600_NS4plusIvEElEEDaPvRmT3_T4_T5_mT6_P12ihipStream_tbENKUlT_T0_E_clISt17integral_constantIbLb1EESQ_EEDaSL_SM_EUlSL_E_NS1_11comp_targetILNS1_3genE2ELNS1_11target_archE906ELNS1_3gpuE6ELNS1_3repE0EEENS1_30default_config_static_selectorELNS0_4arch9wavefront6targetE1EEEvT1_,comdat
.Lfunc_end107:
	.size	_ZN7rocprim17ROCPRIM_400000_NS6detail17trampoline_kernelINS0_14default_configENS1_20scan_config_selectorIlEEZZNS1_9scan_implILNS1_25lookback_scan_determinismE0ELb0ELb0ES3_PlS8_lN6thrust23THRUST_200600_302600_NS4plusIvEElEEDaPvRmT3_T4_T5_mT6_P12ihipStream_tbENKUlT_T0_E_clISt17integral_constantIbLb1EESQ_EEDaSL_SM_EUlSL_E_NS1_11comp_targetILNS1_3genE2ELNS1_11target_archE906ELNS1_3gpuE6ELNS1_3repE0EEENS1_30default_config_static_selectorELNS0_4arch9wavefront6targetE1EEEvT1_, .Lfunc_end107-_ZN7rocprim17ROCPRIM_400000_NS6detail17trampoline_kernelINS0_14default_configENS1_20scan_config_selectorIlEEZZNS1_9scan_implILNS1_25lookback_scan_determinismE0ELb0ELb0ES3_PlS8_lN6thrust23THRUST_200600_302600_NS4plusIvEElEEDaPvRmT3_T4_T5_mT6_P12ihipStream_tbENKUlT_T0_E_clISt17integral_constantIbLb1EESQ_EEDaSL_SM_EUlSL_E_NS1_11comp_targetILNS1_3genE2ELNS1_11target_archE906ELNS1_3gpuE6ELNS1_3repE0EEENS1_30default_config_static_selectorELNS0_4arch9wavefront6targetE1EEEvT1_
                                        ; -- End function
	.set _ZN7rocprim17ROCPRIM_400000_NS6detail17trampoline_kernelINS0_14default_configENS1_20scan_config_selectorIlEEZZNS1_9scan_implILNS1_25lookback_scan_determinismE0ELb0ELb0ES3_PlS8_lN6thrust23THRUST_200600_302600_NS4plusIvEElEEDaPvRmT3_T4_T5_mT6_P12ihipStream_tbENKUlT_T0_E_clISt17integral_constantIbLb1EESQ_EEDaSL_SM_EUlSL_E_NS1_11comp_targetILNS1_3genE2ELNS1_11target_archE906ELNS1_3gpuE6ELNS1_3repE0EEENS1_30default_config_static_selectorELNS0_4arch9wavefront6targetE1EEEvT1_.num_vgpr, 0
	.set _ZN7rocprim17ROCPRIM_400000_NS6detail17trampoline_kernelINS0_14default_configENS1_20scan_config_selectorIlEEZZNS1_9scan_implILNS1_25lookback_scan_determinismE0ELb0ELb0ES3_PlS8_lN6thrust23THRUST_200600_302600_NS4plusIvEElEEDaPvRmT3_T4_T5_mT6_P12ihipStream_tbENKUlT_T0_E_clISt17integral_constantIbLb1EESQ_EEDaSL_SM_EUlSL_E_NS1_11comp_targetILNS1_3genE2ELNS1_11target_archE906ELNS1_3gpuE6ELNS1_3repE0EEENS1_30default_config_static_selectorELNS0_4arch9wavefront6targetE1EEEvT1_.num_agpr, 0
	.set _ZN7rocprim17ROCPRIM_400000_NS6detail17trampoline_kernelINS0_14default_configENS1_20scan_config_selectorIlEEZZNS1_9scan_implILNS1_25lookback_scan_determinismE0ELb0ELb0ES3_PlS8_lN6thrust23THRUST_200600_302600_NS4plusIvEElEEDaPvRmT3_T4_T5_mT6_P12ihipStream_tbENKUlT_T0_E_clISt17integral_constantIbLb1EESQ_EEDaSL_SM_EUlSL_E_NS1_11comp_targetILNS1_3genE2ELNS1_11target_archE906ELNS1_3gpuE6ELNS1_3repE0EEENS1_30default_config_static_selectorELNS0_4arch9wavefront6targetE1EEEvT1_.numbered_sgpr, 0
	.set _ZN7rocprim17ROCPRIM_400000_NS6detail17trampoline_kernelINS0_14default_configENS1_20scan_config_selectorIlEEZZNS1_9scan_implILNS1_25lookback_scan_determinismE0ELb0ELb0ES3_PlS8_lN6thrust23THRUST_200600_302600_NS4plusIvEElEEDaPvRmT3_T4_T5_mT6_P12ihipStream_tbENKUlT_T0_E_clISt17integral_constantIbLb1EESQ_EEDaSL_SM_EUlSL_E_NS1_11comp_targetILNS1_3genE2ELNS1_11target_archE906ELNS1_3gpuE6ELNS1_3repE0EEENS1_30default_config_static_selectorELNS0_4arch9wavefront6targetE1EEEvT1_.num_named_barrier, 0
	.set _ZN7rocprim17ROCPRIM_400000_NS6detail17trampoline_kernelINS0_14default_configENS1_20scan_config_selectorIlEEZZNS1_9scan_implILNS1_25lookback_scan_determinismE0ELb0ELb0ES3_PlS8_lN6thrust23THRUST_200600_302600_NS4plusIvEElEEDaPvRmT3_T4_T5_mT6_P12ihipStream_tbENKUlT_T0_E_clISt17integral_constantIbLb1EESQ_EEDaSL_SM_EUlSL_E_NS1_11comp_targetILNS1_3genE2ELNS1_11target_archE906ELNS1_3gpuE6ELNS1_3repE0EEENS1_30default_config_static_selectorELNS0_4arch9wavefront6targetE1EEEvT1_.private_seg_size, 0
	.set _ZN7rocprim17ROCPRIM_400000_NS6detail17trampoline_kernelINS0_14default_configENS1_20scan_config_selectorIlEEZZNS1_9scan_implILNS1_25lookback_scan_determinismE0ELb0ELb0ES3_PlS8_lN6thrust23THRUST_200600_302600_NS4plusIvEElEEDaPvRmT3_T4_T5_mT6_P12ihipStream_tbENKUlT_T0_E_clISt17integral_constantIbLb1EESQ_EEDaSL_SM_EUlSL_E_NS1_11comp_targetILNS1_3genE2ELNS1_11target_archE906ELNS1_3gpuE6ELNS1_3repE0EEENS1_30default_config_static_selectorELNS0_4arch9wavefront6targetE1EEEvT1_.uses_vcc, 0
	.set _ZN7rocprim17ROCPRIM_400000_NS6detail17trampoline_kernelINS0_14default_configENS1_20scan_config_selectorIlEEZZNS1_9scan_implILNS1_25lookback_scan_determinismE0ELb0ELb0ES3_PlS8_lN6thrust23THRUST_200600_302600_NS4plusIvEElEEDaPvRmT3_T4_T5_mT6_P12ihipStream_tbENKUlT_T0_E_clISt17integral_constantIbLb1EESQ_EEDaSL_SM_EUlSL_E_NS1_11comp_targetILNS1_3genE2ELNS1_11target_archE906ELNS1_3gpuE6ELNS1_3repE0EEENS1_30default_config_static_selectorELNS0_4arch9wavefront6targetE1EEEvT1_.uses_flat_scratch, 0
	.set _ZN7rocprim17ROCPRIM_400000_NS6detail17trampoline_kernelINS0_14default_configENS1_20scan_config_selectorIlEEZZNS1_9scan_implILNS1_25lookback_scan_determinismE0ELb0ELb0ES3_PlS8_lN6thrust23THRUST_200600_302600_NS4plusIvEElEEDaPvRmT3_T4_T5_mT6_P12ihipStream_tbENKUlT_T0_E_clISt17integral_constantIbLb1EESQ_EEDaSL_SM_EUlSL_E_NS1_11comp_targetILNS1_3genE2ELNS1_11target_archE906ELNS1_3gpuE6ELNS1_3repE0EEENS1_30default_config_static_selectorELNS0_4arch9wavefront6targetE1EEEvT1_.has_dyn_sized_stack, 0
	.set _ZN7rocprim17ROCPRIM_400000_NS6detail17trampoline_kernelINS0_14default_configENS1_20scan_config_selectorIlEEZZNS1_9scan_implILNS1_25lookback_scan_determinismE0ELb0ELb0ES3_PlS8_lN6thrust23THRUST_200600_302600_NS4plusIvEElEEDaPvRmT3_T4_T5_mT6_P12ihipStream_tbENKUlT_T0_E_clISt17integral_constantIbLb1EESQ_EEDaSL_SM_EUlSL_E_NS1_11comp_targetILNS1_3genE2ELNS1_11target_archE906ELNS1_3gpuE6ELNS1_3repE0EEENS1_30default_config_static_selectorELNS0_4arch9wavefront6targetE1EEEvT1_.has_recursion, 0
	.set _ZN7rocprim17ROCPRIM_400000_NS6detail17trampoline_kernelINS0_14default_configENS1_20scan_config_selectorIlEEZZNS1_9scan_implILNS1_25lookback_scan_determinismE0ELb0ELb0ES3_PlS8_lN6thrust23THRUST_200600_302600_NS4plusIvEElEEDaPvRmT3_T4_T5_mT6_P12ihipStream_tbENKUlT_T0_E_clISt17integral_constantIbLb1EESQ_EEDaSL_SM_EUlSL_E_NS1_11comp_targetILNS1_3genE2ELNS1_11target_archE906ELNS1_3gpuE6ELNS1_3repE0EEENS1_30default_config_static_selectorELNS0_4arch9wavefront6targetE1EEEvT1_.has_indirect_call, 0
	.section	.AMDGPU.csdata,"",@progbits
; Kernel info:
; codeLenInByte = 0
; TotalNumSgprs: 6
; NumVgprs: 0
; NumAgprs: 0
; TotalNumVgprs: 0
; ScratchSize: 0
; MemoryBound: 0
; FloatMode: 240
; IeeeMode: 1
; LDSByteSize: 0 bytes/workgroup (compile time only)
; SGPRBlocks: 0
; VGPRBlocks: 0
; NumSGPRsForWavesPerEU: 6
; NumVGPRsForWavesPerEU: 1
; AccumOffset: 4
; Occupancy: 8
; WaveLimiterHint : 0
; COMPUTE_PGM_RSRC2:SCRATCH_EN: 0
; COMPUTE_PGM_RSRC2:USER_SGPR: 2
; COMPUTE_PGM_RSRC2:TRAP_HANDLER: 0
; COMPUTE_PGM_RSRC2:TGID_X_EN: 1
; COMPUTE_PGM_RSRC2:TGID_Y_EN: 0
; COMPUTE_PGM_RSRC2:TGID_Z_EN: 0
; COMPUTE_PGM_RSRC2:TIDIG_COMP_CNT: 0
; COMPUTE_PGM_RSRC3_GFX90A:ACCUM_OFFSET: 0
; COMPUTE_PGM_RSRC3_GFX90A:TG_SPLIT: 0
	.section	.text._ZN7rocprim17ROCPRIM_400000_NS6detail17trampoline_kernelINS0_14default_configENS1_20scan_config_selectorIlEEZZNS1_9scan_implILNS1_25lookback_scan_determinismE0ELb0ELb0ES3_PlS8_lN6thrust23THRUST_200600_302600_NS4plusIvEElEEDaPvRmT3_T4_T5_mT6_P12ihipStream_tbENKUlT_T0_E_clISt17integral_constantIbLb1EESQ_EEDaSL_SM_EUlSL_E_NS1_11comp_targetILNS1_3genE10ELNS1_11target_archE1201ELNS1_3gpuE5ELNS1_3repE0EEENS1_30default_config_static_selectorELNS0_4arch9wavefront6targetE1EEEvT1_,"axG",@progbits,_ZN7rocprim17ROCPRIM_400000_NS6detail17trampoline_kernelINS0_14default_configENS1_20scan_config_selectorIlEEZZNS1_9scan_implILNS1_25lookback_scan_determinismE0ELb0ELb0ES3_PlS8_lN6thrust23THRUST_200600_302600_NS4plusIvEElEEDaPvRmT3_T4_T5_mT6_P12ihipStream_tbENKUlT_T0_E_clISt17integral_constantIbLb1EESQ_EEDaSL_SM_EUlSL_E_NS1_11comp_targetILNS1_3genE10ELNS1_11target_archE1201ELNS1_3gpuE5ELNS1_3repE0EEENS1_30default_config_static_selectorELNS0_4arch9wavefront6targetE1EEEvT1_,comdat
	.protected	_ZN7rocprim17ROCPRIM_400000_NS6detail17trampoline_kernelINS0_14default_configENS1_20scan_config_selectorIlEEZZNS1_9scan_implILNS1_25lookback_scan_determinismE0ELb0ELb0ES3_PlS8_lN6thrust23THRUST_200600_302600_NS4plusIvEElEEDaPvRmT3_T4_T5_mT6_P12ihipStream_tbENKUlT_T0_E_clISt17integral_constantIbLb1EESQ_EEDaSL_SM_EUlSL_E_NS1_11comp_targetILNS1_3genE10ELNS1_11target_archE1201ELNS1_3gpuE5ELNS1_3repE0EEENS1_30default_config_static_selectorELNS0_4arch9wavefront6targetE1EEEvT1_ ; -- Begin function _ZN7rocprim17ROCPRIM_400000_NS6detail17trampoline_kernelINS0_14default_configENS1_20scan_config_selectorIlEEZZNS1_9scan_implILNS1_25lookback_scan_determinismE0ELb0ELb0ES3_PlS8_lN6thrust23THRUST_200600_302600_NS4plusIvEElEEDaPvRmT3_T4_T5_mT6_P12ihipStream_tbENKUlT_T0_E_clISt17integral_constantIbLb1EESQ_EEDaSL_SM_EUlSL_E_NS1_11comp_targetILNS1_3genE10ELNS1_11target_archE1201ELNS1_3gpuE5ELNS1_3repE0EEENS1_30default_config_static_selectorELNS0_4arch9wavefront6targetE1EEEvT1_
	.globl	_ZN7rocprim17ROCPRIM_400000_NS6detail17trampoline_kernelINS0_14default_configENS1_20scan_config_selectorIlEEZZNS1_9scan_implILNS1_25lookback_scan_determinismE0ELb0ELb0ES3_PlS8_lN6thrust23THRUST_200600_302600_NS4plusIvEElEEDaPvRmT3_T4_T5_mT6_P12ihipStream_tbENKUlT_T0_E_clISt17integral_constantIbLb1EESQ_EEDaSL_SM_EUlSL_E_NS1_11comp_targetILNS1_3genE10ELNS1_11target_archE1201ELNS1_3gpuE5ELNS1_3repE0EEENS1_30default_config_static_selectorELNS0_4arch9wavefront6targetE1EEEvT1_
	.p2align	8
	.type	_ZN7rocprim17ROCPRIM_400000_NS6detail17trampoline_kernelINS0_14default_configENS1_20scan_config_selectorIlEEZZNS1_9scan_implILNS1_25lookback_scan_determinismE0ELb0ELb0ES3_PlS8_lN6thrust23THRUST_200600_302600_NS4plusIvEElEEDaPvRmT3_T4_T5_mT6_P12ihipStream_tbENKUlT_T0_E_clISt17integral_constantIbLb1EESQ_EEDaSL_SM_EUlSL_E_NS1_11comp_targetILNS1_3genE10ELNS1_11target_archE1201ELNS1_3gpuE5ELNS1_3repE0EEENS1_30default_config_static_selectorELNS0_4arch9wavefront6targetE1EEEvT1_,@function
_ZN7rocprim17ROCPRIM_400000_NS6detail17trampoline_kernelINS0_14default_configENS1_20scan_config_selectorIlEEZZNS1_9scan_implILNS1_25lookback_scan_determinismE0ELb0ELb0ES3_PlS8_lN6thrust23THRUST_200600_302600_NS4plusIvEElEEDaPvRmT3_T4_T5_mT6_P12ihipStream_tbENKUlT_T0_E_clISt17integral_constantIbLb1EESQ_EEDaSL_SM_EUlSL_E_NS1_11comp_targetILNS1_3genE10ELNS1_11target_archE1201ELNS1_3gpuE5ELNS1_3repE0EEENS1_30default_config_static_selectorELNS0_4arch9wavefront6targetE1EEEvT1_: ; @_ZN7rocprim17ROCPRIM_400000_NS6detail17trampoline_kernelINS0_14default_configENS1_20scan_config_selectorIlEEZZNS1_9scan_implILNS1_25lookback_scan_determinismE0ELb0ELb0ES3_PlS8_lN6thrust23THRUST_200600_302600_NS4plusIvEElEEDaPvRmT3_T4_T5_mT6_P12ihipStream_tbENKUlT_T0_E_clISt17integral_constantIbLb1EESQ_EEDaSL_SM_EUlSL_E_NS1_11comp_targetILNS1_3genE10ELNS1_11target_archE1201ELNS1_3gpuE5ELNS1_3repE0EEENS1_30default_config_static_selectorELNS0_4arch9wavefront6targetE1EEEvT1_
; %bb.0:
	.section	.rodata,"a",@progbits
	.p2align	6, 0x0
	.amdhsa_kernel _ZN7rocprim17ROCPRIM_400000_NS6detail17trampoline_kernelINS0_14default_configENS1_20scan_config_selectorIlEEZZNS1_9scan_implILNS1_25lookback_scan_determinismE0ELb0ELb0ES3_PlS8_lN6thrust23THRUST_200600_302600_NS4plusIvEElEEDaPvRmT3_T4_T5_mT6_P12ihipStream_tbENKUlT_T0_E_clISt17integral_constantIbLb1EESQ_EEDaSL_SM_EUlSL_E_NS1_11comp_targetILNS1_3genE10ELNS1_11target_archE1201ELNS1_3gpuE5ELNS1_3repE0EEENS1_30default_config_static_selectorELNS0_4arch9wavefront6targetE1EEEvT1_
		.amdhsa_group_segment_fixed_size 0
		.amdhsa_private_segment_fixed_size 0
		.amdhsa_kernarg_size 104
		.amdhsa_user_sgpr_count 2
		.amdhsa_user_sgpr_dispatch_ptr 0
		.amdhsa_user_sgpr_queue_ptr 0
		.amdhsa_user_sgpr_kernarg_segment_ptr 1
		.amdhsa_user_sgpr_dispatch_id 0
		.amdhsa_user_sgpr_kernarg_preload_length 0
		.amdhsa_user_sgpr_kernarg_preload_offset 0
		.amdhsa_user_sgpr_private_segment_size 0
		.amdhsa_uses_dynamic_stack 0
		.amdhsa_enable_private_segment 0
		.amdhsa_system_sgpr_workgroup_id_x 1
		.amdhsa_system_sgpr_workgroup_id_y 0
		.amdhsa_system_sgpr_workgroup_id_z 0
		.amdhsa_system_sgpr_workgroup_info 0
		.amdhsa_system_vgpr_workitem_id 0
		.amdhsa_next_free_vgpr 1
		.amdhsa_next_free_sgpr 0
		.amdhsa_accum_offset 4
		.amdhsa_reserve_vcc 0
		.amdhsa_float_round_mode_32 0
		.amdhsa_float_round_mode_16_64 0
		.amdhsa_float_denorm_mode_32 3
		.amdhsa_float_denorm_mode_16_64 3
		.amdhsa_dx10_clamp 1
		.amdhsa_ieee_mode 1
		.amdhsa_fp16_overflow 0
		.amdhsa_tg_split 0
		.amdhsa_exception_fp_ieee_invalid_op 0
		.amdhsa_exception_fp_denorm_src 0
		.amdhsa_exception_fp_ieee_div_zero 0
		.amdhsa_exception_fp_ieee_overflow 0
		.amdhsa_exception_fp_ieee_underflow 0
		.amdhsa_exception_fp_ieee_inexact 0
		.amdhsa_exception_int_div_zero 0
	.end_amdhsa_kernel
	.section	.text._ZN7rocprim17ROCPRIM_400000_NS6detail17trampoline_kernelINS0_14default_configENS1_20scan_config_selectorIlEEZZNS1_9scan_implILNS1_25lookback_scan_determinismE0ELb0ELb0ES3_PlS8_lN6thrust23THRUST_200600_302600_NS4plusIvEElEEDaPvRmT3_T4_T5_mT6_P12ihipStream_tbENKUlT_T0_E_clISt17integral_constantIbLb1EESQ_EEDaSL_SM_EUlSL_E_NS1_11comp_targetILNS1_3genE10ELNS1_11target_archE1201ELNS1_3gpuE5ELNS1_3repE0EEENS1_30default_config_static_selectorELNS0_4arch9wavefront6targetE1EEEvT1_,"axG",@progbits,_ZN7rocprim17ROCPRIM_400000_NS6detail17trampoline_kernelINS0_14default_configENS1_20scan_config_selectorIlEEZZNS1_9scan_implILNS1_25lookback_scan_determinismE0ELb0ELb0ES3_PlS8_lN6thrust23THRUST_200600_302600_NS4plusIvEElEEDaPvRmT3_T4_T5_mT6_P12ihipStream_tbENKUlT_T0_E_clISt17integral_constantIbLb1EESQ_EEDaSL_SM_EUlSL_E_NS1_11comp_targetILNS1_3genE10ELNS1_11target_archE1201ELNS1_3gpuE5ELNS1_3repE0EEENS1_30default_config_static_selectorELNS0_4arch9wavefront6targetE1EEEvT1_,comdat
.Lfunc_end108:
	.size	_ZN7rocprim17ROCPRIM_400000_NS6detail17trampoline_kernelINS0_14default_configENS1_20scan_config_selectorIlEEZZNS1_9scan_implILNS1_25lookback_scan_determinismE0ELb0ELb0ES3_PlS8_lN6thrust23THRUST_200600_302600_NS4plusIvEElEEDaPvRmT3_T4_T5_mT6_P12ihipStream_tbENKUlT_T0_E_clISt17integral_constantIbLb1EESQ_EEDaSL_SM_EUlSL_E_NS1_11comp_targetILNS1_3genE10ELNS1_11target_archE1201ELNS1_3gpuE5ELNS1_3repE0EEENS1_30default_config_static_selectorELNS0_4arch9wavefront6targetE1EEEvT1_, .Lfunc_end108-_ZN7rocprim17ROCPRIM_400000_NS6detail17trampoline_kernelINS0_14default_configENS1_20scan_config_selectorIlEEZZNS1_9scan_implILNS1_25lookback_scan_determinismE0ELb0ELb0ES3_PlS8_lN6thrust23THRUST_200600_302600_NS4plusIvEElEEDaPvRmT3_T4_T5_mT6_P12ihipStream_tbENKUlT_T0_E_clISt17integral_constantIbLb1EESQ_EEDaSL_SM_EUlSL_E_NS1_11comp_targetILNS1_3genE10ELNS1_11target_archE1201ELNS1_3gpuE5ELNS1_3repE0EEENS1_30default_config_static_selectorELNS0_4arch9wavefront6targetE1EEEvT1_
                                        ; -- End function
	.set _ZN7rocprim17ROCPRIM_400000_NS6detail17trampoline_kernelINS0_14default_configENS1_20scan_config_selectorIlEEZZNS1_9scan_implILNS1_25lookback_scan_determinismE0ELb0ELb0ES3_PlS8_lN6thrust23THRUST_200600_302600_NS4plusIvEElEEDaPvRmT3_T4_T5_mT6_P12ihipStream_tbENKUlT_T0_E_clISt17integral_constantIbLb1EESQ_EEDaSL_SM_EUlSL_E_NS1_11comp_targetILNS1_3genE10ELNS1_11target_archE1201ELNS1_3gpuE5ELNS1_3repE0EEENS1_30default_config_static_selectorELNS0_4arch9wavefront6targetE1EEEvT1_.num_vgpr, 0
	.set _ZN7rocprim17ROCPRIM_400000_NS6detail17trampoline_kernelINS0_14default_configENS1_20scan_config_selectorIlEEZZNS1_9scan_implILNS1_25lookback_scan_determinismE0ELb0ELb0ES3_PlS8_lN6thrust23THRUST_200600_302600_NS4plusIvEElEEDaPvRmT3_T4_T5_mT6_P12ihipStream_tbENKUlT_T0_E_clISt17integral_constantIbLb1EESQ_EEDaSL_SM_EUlSL_E_NS1_11comp_targetILNS1_3genE10ELNS1_11target_archE1201ELNS1_3gpuE5ELNS1_3repE0EEENS1_30default_config_static_selectorELNS0_4arch9wavefront6targetE1EEEvT1_.num_agpr, 0
	.set _ZN7rocprim17ROCPRIM_400000_NS6detail17trampoline_kernelINS0_14default_configENS1_20scan_config_selectorIlEEZZNS1_9scan_implILNS1_25lookback_scan_determinismE0ELb0ELb0ES3_PlS8_lN6thrust23THRUST_200600_302600_NS4plusIvEElEEDaPvRmT3_T4_T5_mT6_P12ihipStream_tbENKUlT_T0_E_clISt17integral_constantIbLb1EESQ_EEDaSL_SM_EUlSL_E_NS1_11comp_targetILNS1_3genE10ELNS1_11target_archE1201ELNS1_3gpuE5ELNS1_3repE0EEENS1_30default_config_static_selectorELNS0_4arch9wavefront6targetE1EEEvT1_.numbered_sgpr, 0
	.set _ZN7rocprim17ROCPRIM_400000_NS6detail17trampoline_kernelINS0_14default_configENS1_20scan_config_selectorIlEEZZNS1_9scan_implILNS1_25lookback_scan_determinismE0ELb0ELb0ES3_PlS8_lN6thrust23THRUST_200600_302600_NS4plusIvEElEEDaPvRmT3_T4_T5_mT6_P12ihipStream_tbENKUlT_T0_E_clISt17integral_constantIbLb1EESQ_EEDaSL_SM_EUlSL_E_NS1_11comp_targetILNS1_3genE10ELNS1_11target_archE1201ELNS1_3gpuE5ELNS1_3repE0EEENS1_30default_config_static_selectorELNS0_4arch9wavefront6targetE1EEEvT1_.num_named_barrier, 0
	.set _ZN7rocprim17ROCPRIM_400000_NS6detail17trampoline_kernelINS0_14default_configENS1_20scan_config_selectorIlEEZZNS1_9scan_implILNS1_25lookback_scan_determinismE0ELb0ELb0ES3_PlS8_lN6thrust23THRUST_200600_302600_NS4plusIvEElEEDaPvRmT3_T4_T5_mT6_P12ihipStream_tbENKUlT_T0_E_clISt17integral_constantIbLb1EESQ_EEDaSL_SM_EUlSL_E_NS1_11comp_targetILNS1_3genE10ELNS1_11target_archE1201ELNS1_3gpuE5ELNS1_3repE0EEENS1_30default_config_static_selectorELNS0_4arch9wavefront6targetE1EEEvT1_.private_seg_size, 0
	.set _ZN7rocprim17ROCPRIM_400000_NS6detail17trampoline_kernelINS0_14default_configENS1_20scan_config_selectorIlEEZZNS1_9scan_implILNS1_25lookback_scan_determinismE0ELb0ELb0ES3_PlS8_lN6thrust23THRUST_200600_302600_NS4plusIvEElEEDaPvRmT3_T4_T5_mT6_P12ihipStream_tbENKUlT_T0_E_clISt17integral_constantIbLb1EESQ_EEDaSL_SM_EUlSL_E_NS1_11comp_targetILNS1_3genE10ELNS1_11target_archE1201ELNS1_3gpuE5ELNS1_3repE0EEENS1_30default_config_static_selectorELNS0_4arch9wavefront6targetE1EEEvT1_.uses_vcc, 0
	.set _ZN7rocprim17ROCPRIM_400000_NS6detail17trampoline_kernelINS0_14default_configENS1_20scan_config_selectorIlEEZZNS1_9scan_implILNS1_25lookback_scan_determinismE0ELb0ELb0ES3_PlS8_lN6thrust23THRUST_200600_302600_NS4plusIvEElEEDaPvRmT3_T4_T5_mT6_P12ihipStream_tbENKUlT_T0_E_clISt17integral_constantIbLb1EESQ_EEDaSL_SM_EUlSL_E_NS1_11comp_targetILNS1_3genE10ELNS1_11target_archE1201ELNS1_3gpuE5ELNS1_3repE0EEENS1_30default_config_static_selectorELNS0_4arch9wavefront6targetE1EEEvT1_.uses_flat_scratch, 0
	.set _ZN7rocprim17ROCPRIM_400000_NS6detail17trampoline_kernelINS0_14default_configENS1_20scan_config_selectorIlEEZZNS1_9scan_implILNS1_25lookback_scan_determinismE0ELb0ELb0ES3_PlS8_lN6thrust23THRUST_200600_302600_NS4plusIvEElEEDaPvRmT3_T4_T5_mT6_P12ihipStream_tbENKUlT_T0_E_clISt17integral_constantIbLb1EESQ_EEDaSL_SM_EUlSL_E_NS1_11comp_targetILNS1_3genE10ELNS1_11target_archE1201ELNS1_3gpuE5ELNS1_3repE0EEENS1_30default_config_static_selectorELNS0_4arch9wavefront6targetE1EEEvT1_.has_dyn_sized_stack, 0
	.set _ZN7rocprim17ROCPRIM_400000_NS6detail17trampoline_kernelINS0_14default_configENS1_20scan_config_selectorIlEEZZNS1_9scan_implILNS1_25lookback_scan_determinismE0ELb0ELb0ES3_PlS8_lN6thrust23THRUST_200600_302600_NS4plusIvEElEEDaPvRmT3_T4_T5_mT6_P12ihipStream_tbENKUlT_T0_E_clISt17integral_constantIbLb1EESQ_EEDaSL_SM_EUlSL_E_NS1_11comp_targetILNS1_3genE10ELNS1_11target_archE1201ELNS1_3gpuE5ELNS1_3repE0EEENS1_30default_config_static_selectorELNS0_4arch9wavefront6targetE1EEEvT1_.has_recursion, 0
	.set _ZN7rocprim17ROCPRIM_400000_NS6detail17trampoline_kernelINS0_14default_configENS1_20scan_config_selectorIlEEZZNS1_9scan_implILNS1_25lookback_scan_determinismE0ELb0ELb0ES3_PlS8_lN6thrust23THRUST_200600_302600_NS4plusIvEElEEDaPvRmT3_T4_T5_mT6_P12ihipStream_tbENKUlT_T0_E_clISt17integral_constantIbLb1EESQ_EEDaSL_SM_EUlSL_E_NS1_11comp_targetILNS1_3genE10ELNS1_11target_archE1201ELNS1_3gpuE5ELNS1_3repE0EEENS1_30default_config_static_selectorELNS0_4arch9wavefront6targetE1EEEvT1_.has_indirect_call, 0
	.section	.AMDGPU.csdata,"",@progbits
; Kernel info:
; codeLenInByte = 0
; TotalNumSgprs: 6
; NumVgprs: 0
; NumAgprs: 0
; TotalNumVgprs: 0
; ScratchSize: 0
; MemoryBound: 0
; FloatMode: 240
; IeeeMode: 1
; LDSByteSize: 0 bytes/workgroup (compile time only)
; SGPRBlocks: 0
; VGPRBlocks: 0
; NumSGPRsForWavesPerEU: 6
; NumVGPRsForWavesPerEU: 1
; AccumOffset: 4
; Occupancy: 8
; WaveLimiterHint : 0
; COMPUTE_PGM_RSRC2:SCRATCH_EN: 0
; COMPUTE_PGM_RSRC2:USER_SGPR: 2
; COMPUTE_PGM_RSRC2:TRAP_HANDLER: 0
; COMPUTE_PGM_RSRC2:TGID_X_EN: 1
; COMPUTE_PGM_RSRC2:TGID_Y_EN: 0
; COMPUTE_PGM_RSRC2:TGID_Z_EN: 0
; COMPUTE_PGM_RSRC2:TIDIG_COMP_CNT: 0
; COMPUTE_PGM_RSRC3_GFX90A:ACCUM_OFFSET: 0
; COMPUTE_PGM_RSRC3_GFX90A:TG_SPLIT: 0
	.section	.text._ZN7rocprim17ROCPRIM_400000_NS6detail17trampoline_kernelINS0_14default_configENS1_20scan_config_selectorIlEEZZNS1_9scan_implILNS1_25lookback_scan_determinismE0ELb0ELb0ES3_PlS8_lN6thrust23THRUST_200600_302600_NS4plusIvEElEEDaPvRmT3_T4_T5_mT6_P12ihipStream_tbENKUlT_T0_E_clISt17integral_constantIbLb1EESQ_EEDaSL_SM_EUlSL_E_NS1_11comp_targetILNS1_3genE10ELNS1_11target_archE1200ELNS1_3gpuE4ELNS1_3repE0EEENS1_30default_config_static_selectorELNS0_4arch9wavefront6targetE1EEEvT1_,"axG",@progbits,_ZN7rocprim17ROCPRIM_400000_NS6detail17trampoline_kernelINS0_14default_configENS1_20scan_config_selectorIlEEZZNS1_9scan_implILNS1_25lookback_scan_determinismE0ELb0ELb0ES3_PlS8_lN6thrust23THRUST_200600_302600_NS4plusIvEElEEDaPvRmT3_T4_T5_mT6_P12ihipStream_tbENKUlT_T0_E_clISt17integral_constantIbLb1EESQ_EEDaSL_SM_EUlSL_E_NS1_11comp_targetILNS1_3genE10ELNS1_11target_archE1200ELNS1_3gpuE4ELNS1_3repE0EEENS1_30default_config_static_selectorELNS0_4arch9wavefront6targetE1EEEvT1_,comdat
	.protected	_ZN7rocprim17ROCPRIM_400000_NS6detail17trampoline_kernelINS0_14default_configENS1_20scan_config_selectorIlEEZZNS1_9scan_implILNS1_25lookback_scan_determinismE0ELb0ELb0ES3_PlS8_lN6thrust23THRUST_200600_302600_NS4plusIvEElEEDaPvRmT3_T4_T5_mT6_P12ihipStream_tbENKUlT_T0_E_clISt17integral_constantIbLb1EESQ_EEDaSL_SM_EUlSL_E_NS1_11comp_targetILNS1_3genE10ELNS1_11target_archE1200ELNS1_3gpuE4ELNS1_3repE0EEENS1_30default_config_static_selectorELNS0_4arch9wavefront6targetE1EEEvT1_ ; -- Begin function _ZN7rocprim17ROCPRIM_400000_NS6detail17trampoline_kernelINS0_14default_configENS1_20scan_config_selectorIlEEZZNS1_9scan_implILNS1_25lookback_scan_determinismE0ELb0ELb0ES3_PlS8_lN6thrust23THRUST_200600_302600_NS4plusIvEElEEDaPvRmT3_T4_T5_mT6_P12ihipStream_tbENKUlT_T0_E_clISt17integral_constantIbLb1EESQ_EEDaSL_SM_EUlSL_E_NS1_11comp_targetILNS1_3genE10ELNS1_11target_archE1200ELNS1_3gpuE4ELNS1_3repE0EEENS1_30default_config_static_selectorELNS0_4arch9wavefront6targetE1EEEvT1_
	.globl	_ZN7rocprim17ROCPRIM_400000_NS6detail17trampoline_kernelINS0_14default_configENS1_20scan_config_selectorIlEEZZNS1_9scan_implILNS1_25lookback_scan_determinismE0ELb0ELb0ES3_PlS8_lN6thrust23THRUST_200600_302600_NS4plusIvEElEEDaPvRmT3_T4_T5_mT6_P12ihipStream_tbENKUlT_T0_E_clISt17integral_constantIbLb1EESQ_EEDaSL_SM_EUlSL_E_NS1_11comp_targetILNS1_3genE10ELNS1_11target_archE1200ELNS1_3gpuE4ELNS1_3repE0EEENS1_30default_config_static_selectorELNS0_4arch9wavefront6targetE1EEEvT1_
	.p2align	8
	.type	_ZN7rocprim17ROCPRIM_400000_NS6detail17trampoline_kernelINS0_14default_configENS1_20scan_config_selectorIlEEZZNS1_9scan_implILNS1_25lookback_scan_determinismE0ELb0ELb0ES3_PlS8_lN6thrust23THRUST_200600_302600_NS4plusIvEElEEDaPvRmT3_T4_T5_mT6_P12ihipStream_tbENKUlT_T0_E_clISt17integral_constantIbLb1EESQ_EEDaSL_SM_EUlSL_E_NS1_11comp_targetILNS1_3genE10ELNS1_11target_archE1200ELNS1_3gpuE4ELNS1_3repE0EEENS1_30default_config_static_selectorELNS0_4arch9wavefront6targetE1EEEvT1_,@function
_ZN7rocprim17ROCPRIM_400000_NS6detail17trampoline_kernelINS0_14default_configENS1_20scan_config_selectorIlEEZZNS1_9scan_implILNS1_25lookback_scan_determinismE0ELb0ELb0ES3_PlS8_lN6thrust23THRUST_200600_302600_NS4plusIvEElEEDaPvRmT3_T4_T5_mT6_P12ihipStream_tbENKUlT_T0_E_clISt17integral_constantIbLb1EESQ_EEDaSL_SM_EUlSL_E_NS1_11comp_targetILNS1_3genE10ELNS1_11target_archE1200ELNS1_3gpuE4ELNS1_3repE0EEENS1_30default_config_static_selectorELNS0_4arch9wavefront6targetE1EEEvT1_: ; @_ZN7rocprim17ROCPRIM_400000_NS6detail17trampoline_kernelINS0_14default_configENS1_20scan_config_selectorIlEEZZNS1_9scan_implILNS1_25lookback_scan_determinismE0ELb0ELb0ES3_PlS8_lN6thrust23THRUST_200600_302600_NS4plusIvEElEEDaPvRmT3_T4_T5_mT6_P12ihipStream_tbENKUlT_T0_E_clISt17integral_constantIbLb1EESQ_EEDaSL_SM_EUlSL_E_NS1_11comp_targetILNS1_3genE10ELNS1_11target_archE1200ELNS1_3gpuE4ELNS1_3repE0EEENS1_30default_config_static_selectorELNS0_4arch9wavefront6targetE1EEEvT1_
; %bb.0:
	.section	.rodata,"a",@progbits
	.p2align	6, 0x0
	.amdhsa_kernel _ZN7rocprim17ROCPRIM_400000_NS6detail17trampoline_kernelINS0_14default_configENS1_20scan_config_selectorIlEEZZNS1_9scan_implILNS1_25lookback_scan_determinismE0ELb0ELb0ES3_PlS8_lN6thrust23THRUST_200600_302600_NS4plusIvEElEEDaPvRmT3_T4_T5_mT6_P12ihipStream_tbENKUlT_T0_E_clISt17integral_constantIbLb1EESQ_EEDaSL_SM_EUlSL_E_NS1_11comp_targetILNS1_3genE10ELNS1_11target_archE1200ELNS1_3gpuE4ELNS1_3repE0EEENS1_30default_config_static_selectorELNS0_4arch9wavefront6targetE1EEEvT1_
		.amdhsa_group_segment_fixed_size 0
		.amdhsa_private_segment_fixed_size 0
		.amdhsa_kernarg_size 104
		.amdhsa_user_sgpr_count 2
		.amdhsa_user_sgpr_dispatch_ptr 0
		.amdhsa_user_sgpr_queue_ptr 0
		.amdhsa_user_sgpr_kernarg_segment_ptr 1
		.amdhsa_user_sgpr_dispatch_id 0
		.amdhsa_user_sgpr_kernarg_preload_length 0
		.amdhsa_user_sgpr_kernarg_preload_offset 0
		.amdhsa_user_sgpr_private_segment_size 0
		.amdhsa_uses_dynamic_stack 0
		.amdhsa_enable_private_segment 0
		.amdhsa_system_sgpr_workgroup_id_x 1
		.amdhsa_system_sgpr_workgroup_id_y 0
		.amdhsa_system_sgpr_workgroup_id_z 0
		.amdhsa_system_sgpr_workgroup_info 0
		.amdhsa_system_vgpr_workitem_id 0
		.amdhsa_next_free_vgpr 1
		.amdhsa_next_free_sgpr 0
		.amdhsa_accum_offset 4
		.amdhsa_reserve_vcc 0
		.amdhsa_float_round_mode_32 0
		.amdhsa_float_round_mode_16_64 0
		.amdhsa_float_denorm_mode_32 3
		.amdhsa_float_denorm_mode_16_64 3
		.amdhsa_dx10_clamp 1
		.amdhsa_ieee_mode 1
		.amdhsa_fp16_overflow 0
		.amdhsa_tg_split 0
		.amdhsa_exception_fp_ieee_invalid_op 0
		.amdhsa_exception_fp_denorm_src 0
		.amdhsa_exception_fp_ieee_div_zero 0
		.amdhsa_exception_fp_ieee_overflow 0
		.amdhsa_exception_fp_ieee_underflow 0
		.amdhsa_exception_fp_ieee_inexact 0
		.amdhsa_exception_int_div_zero 0
	.end_amdhsa_kernel
	.section	.text._ZN7rocprim17ROCPRIM_400000_NS6detail17trampoline_kernelINS0_14default_configENS1_20scan_config_selectorIlEEZZNS1_9scan_implILNS1_25lookback_scan_determinismE0ELb0ELb0ES3_PlS8_lN6thrust23THRUST_200600_302600_NS4plusIvEElEEDaPvRmT3_T4_T5_mT6_P12ihipStream_tbENKUlT_T0_E_clISt17integral_constantIbLb1EESQ_EEDaSL_SM_EUlSL_E_NS1_11comp_targetILNS1_3genE10ELNS1_11target_archE1200ELNS1_3gpuE4ELNS1_3repE0EEENS1_30default_config_static_selectorELNS0_4arch9wavefront6targetE1EEEvT1_,"axG",@progbits,_ZN7rocprim17ROCPRIM_400000_NS6detail17trampoline_kernelINS0_14default_configENS1_20scan_config_selectorIlEEZZNS1_9scan_implILNS1_25lookback_scan_determinismE0ELb0ELb0ES3_PlS8_lN6thrust23THRUST_200600_302600_NS4plusIvEElEEDaPvRmT3_T4_T5_mT6_P12ihipStream_tbENKUlT_T0_E_clISt17integral_constantIbLb1EESQ_EEDaSL_SM_EUlSL_E_NS1_11comp_targetILNS1_3genE10ELNS1_11target_archE1200ELNS1_3gpuE4ELNS1_3repE0EEENS1_30default_config_static_selectorELNS0_4arch9wavefront6targetE1EEEvT1_,comdat
.Lfunc_end109:
	.size	_ZN7rocprim17ROCPRIM_400000_NS6detail17trampoline_kernelINS0_14default_configENS1_20scan_config_selectorIlEEZZNS1_9scan_implILNS1_25lookback_scan_determinismE0ELb0ELb0ES3_PlS8_lN6thrust23THRUST_200600_302600_NS4plusIvEElEEDaPvRmT3_T4_T5_mT6_P12ihipStream_tbENKUlT_T0_E_clISt17integral_constantIbLb1EESQ_EEDaSL_SM_EUlSL_E_NS1_11comp_targetILNS1_3genE10ELNS1_11target_archE1200ELNS1_3gpuE4ELNS1_3repE0EEENS1_30default_config_static_selectorELNS0_4arch9wavefront6targetE1EEEvT1_, .Lfunc_end109-_ZN7rocprim17ROCPRIM_400000_NS6detail17trampoline_kernelINS0_14default_configENS1_20scan_config_selectorIlEEZZNS1_9scan_implILNS1_25lookback_scan_determinismE0ELb0ELb0ES3_PlS8_lN6thrust23THRUST_200600_302600_NS4plusIvEElEEDaPvRmT3_T4_T5_mT6_P12ihipStream_tbENKUlT_T0_E_clISt17integral_constantIbLb1EESQ_EEDaSL_SM_EUlSL_E_NS1_11comp_targetILNS1_3genE10ELNS1_11target_archE1200ELNS1_3gpuE4ELNS1_3repE0EEENS1_30default_config_static_selectorELNS0_4arch9wavefront6targetE1EEEvT1_
                                        ; -- End function
	.set _ZN7rocprim17ROCPRIM_400000_NS6detail17trampoline_kernelINS0_14default_configENS1_20scan_config_selectorIlEEZZNS1_9scan_implILNS1_25lookback_scan_determinismE0ELb0ELb0ES3_PlS8_lN6thrust23THRUST_200600_302600_NS4plusIvEElEEDaPvRmT3_T4_T5_mT6_P12ihipStream_tbENKUlT_T0_E_clISt17integral_constantIbLb1EESQ_EEDaSL_SM_EUlSL_E_NS1_11comp_targetILNS1_3genE10ELNS1_11target_archE1200ELNS1_3gpuE4ELNS1_3repE0EEENS1_30default_config_static_selectorELNS0_4arch9wavefront6targetE1EEEvT1_.num_vgpr, 0
	.set _ZN7rocprim17ROCPRIM_400000_NS6detail17trampoline_kernelINS0_14default_configENS1_20scan_config_selectorIlEEZZNS1_9scan_implILNS1_25lookback_scan_determinismE0ELb0ELb0ES3_PlS8_lN6thrust23THRUST_200600_302600_NS4plusIvEElEEDaPvRmT3_T4_T5_mT6_P12ihipStream_tbENKUlT_T0_E_clISt17integral_constantIbLb1EESQ_EEDaSL_SM_EUlSL_E_NS1_11comp_targetILNS1_3genE10ELNS1_11target_archE1200ELNS1_3gpuE4ELNS1_3repE0EEENS1_30default_config_static_selectorELNS0_4arch9wavefront6targetE1EEEvT1_.num_agpr, 0
	.set _ZN7rocprim17ROCPRIM_400000_NS6detail17trampoline_kernelINS0_14default_configENS1_20scan_config_selectorIlEEZZNS1_9scan_implILNS1_25lookback_scan_determinismE0ELb0ELb0ES3_PlS8_lN6thrust23THRUST_200600_302600_NS4plusIvEElEEDaPvRmT3_T4_T5_mT6_P12ihipStream_tbENKUlT_T0_E_clISt17integral_constantIbLb1EESQ_EEDaSL_SM_EUlSL_E_NS1_11comp_targetILNS1_3genE10ELNS1_11target_archE1200ELNS1_3gpuE4ELNS1_3repE0EEENS1_30default_config_static_selectorELNS0_4arch9wavefront6targetE1EEEvT1_.numbered_sgpr, 0
	.set _ZN7rocprim17ROCPRIM_400000_NS6detail17trampoline_kernelINS0_14default_configENS1_20scan_config_selectorIlEEZZNS1_9scan_implILNS1_25lookback_scan_determinismE0ELb0ELb0ES3_PlS8_lN6thrust23THRUST_200600_302600_NS4plusIvEElEEDaPvRmT3_T4_T5_mT6_P12ihipStream_tbENKUlT_T0_E_clISt17integral_constantIbLb1EESQ_EEDaSL_SM_EUlSL_E_NS1_11comp_targetILNS1_3genE10ELNS1_11target_archE1200ELNS1_3gpuE4ELNS1_3repE0EEENS1_30default_config_static_selectorELNS0_4arch9wavefront6targetE1EEEvT1_.num_named_barrier, 0
	.set _ZN7rocprim17ROCPRIM_400000_NS6detail17trampoline_kernelINS0_14default_configENS1_20scan_config_selectorIlEEZZNS1_9scan_implILNS1_25lookback_scan_determinismE0ELb0ELb0ES3_PlS8_lN6thrust23THRUST_200600_302600_NS4plusIvEElEEDaPvRmT3_T4_T5_mT6_P12ihipStream_tbENKUlT_T0_E_clISt17integral_constantIbLb1EESQ_EEDaSL_SM_EUlSL_E_NS1_11comp_targetILNS1_3genE10ELNS1_11target_archE1200ELNS1_3gpuE4ELNS1_3repE0EEENS1_30default_config_static_selectorELNS0_4arch9wavefront6targetE1EEEvT1_.private_seg_size, 0
	.set _ZN7rocprim17ROCPRIM_400000_NS6detail17trampoline_kernelINS0_14default_configENS1_20scan_config_selectorIlEEZZNS1_9scan_implILNS1_25lookback_scan_determinismE0ELb0ELb0ES3_PlS8_lN6thrust23THRUST_200600_302600_NS4plusIvEElEEDaPvRmT3_T4_T5_mT6_P12ihipStream_tbENKUlT_T0_E_clISt17integral_constantIbLb1EESQ_EEDaSL_SM_EUlSL_E_NS1_11comp_targetILNS1_3genE10ELNS1_11target_archE1200ELNS1_3gpuE4ELNS1_3repE0EEENS1_30default_config_static_selectorELNS0_4arch9wavefront6targetE1EEEvT1_.uses_vcc, 0
	.set _ZN7rocprim17ROCPRIM_400000_NS6detail17trampoline_kernelINS0_14default_configENS1_20scan_config_selectorIlEEZZNS1_9scan_implILNS1_25lookback_scan_determinismE0ELb0ELb0ES3_PlS8_lN6thrust23THRUST_200600_302600_NS4plusIvEElEEDaPvRmT3_T4_T5_mT6_P12ihipStream_tbENKUlT_T0_E_clISt17integral_constantIbLb1EESQ_EEDaSL_SM_EUlSL_E_NS1_11comp_targetILNS1_3genE10ELNS1_11target_archE1200ELNS1_3gpuE4ELNS1_3repE0EEENS1_30default_config_static_selectorELNS0_4arch9wavefront6targetE1EEEvT1_.uses_flat_scratch, 0
	.set _ZN7rocprim17ROCPRIM_400000_NS6detail17trampoline_kernelINS0_14default_configENS1_20scan_config_selectorIlEEZZNS1_9scan_implILNS1_25lookback_scan_determinismE0ELb0ELb0ES3_PlS8_lN6thrust23THRUST_200600_302600_NS4plusIvEElEEDaPvRmT3_T4_T5_mT6_P12ihipStream_tbENKUlT_T0_E_clISt17integral_constantIbLb1EESQ_EEDaSL_SM_EUlSL_E_NS1_11comp_targetILNS1_3genE10ELNS1_11target_archE1200ELNS1_3gpuE4ELNS1_3repE0EEENS1_30default_config_static_selectorELNS0_4arch9wavefront6targetE1EEEvT1_.has_dyn_sized_stack, 0
	.set _ZN7rocprim17ROCPRIM_400000_NS6detail17trampoline_kernelINS0_14default_configENS1_20scan_config_selectorIlEEZZNS1_9scan_implILNS1_25lookback_scan_determinismE0ELb0ELb0ES3_PlS8_lN6thrust23THRUST_200600_302600_NS4plusIvEElEEDaPvRmT3_T4_T5_mT6_P12ihipStream_tbENKUlT_T0_E_clISt17integral_constantIbLb1EESQ_EEDaSL_SM_EUlSL_E_NS1_11comp_targetILNS1_3genE10ELNS1_11target_archE1200ELNS1_3gpuE4ELNS1_3repE0EEENS1_30default_config_static_selectorELNS0_4arch9wavefront6targetE1EEEvT1_.has_recursion, 0
	.set _ZN7rocprim17ROCPRIM_400000_NS6detail17trampoline_kernelINS0_14default_configENS1_20scan_config_selectorIlEEZZNS1_9scan_implILNS1_25lookback_scan_determinismE0ELb0ELb0ES3_PlS8_lN6thrust23THRUST_200600_302600_NS4plusIvEElEEDaPvRmT3_T4_T5_mT6_P12ihipStream_tbENKUlT_T0_E_clISt17integral_constantIbLb1EESQ_EEDaSL_SM_EUlSL_E_NS1_11comp_targetILNS1_3genE10ELNS1_11target_archE1200ELNS1_3gpuE4ELNS1_3repE0EEENS1_30default_config_static_selectorELNS0_4arch9wavefront6targetE1EEEvT1_.has_indirect_call, 0
	.section	.AMDGPU.csdata,"",@progbits
; Kernel info:
; codeLenInByte = 0
; TotalNumSgprs: 6
; NumVgprs: 0
; NumAgprs: 0
; TotalNumVgprs: 0
; ScratchSize: 0
; MemoryBound: 0
; FloatMode: 240
; IeeeMode: 1
; LDSByteSize: 0 bytes/workgroup (compile time only)
; SGPRBlocks: 0
; VGPRBlocks: 0
; NumSGPRsForWavesPerEU: 6
; NumVGPRsForWavesPerEU: 1
; AccumOffset: 4
; Occupancy: 8
; WaveLimiterHint : 0
; COMPUTE_PGM_RSRC2:SCRATCH_EN: 0
; COMPUTE_PGM_RSRC2:USER_SGPR: 2
; COMPUTE_PGM_RSRC2:TRAP_HANDLER: 0
; COMPUTE_PGM_RSRC2:TGID_X_EN: 1
; COMPUTE_PGM_RSRC2:TGID_Y_EN: 0
; COMPUTE_PGM_RSRC2:TGID_Z_EN: 0
; COMPUTE_PGM_RSRC2:TIDIG_COMP_CNT: 0
; COMPUTE_PGM_RSRC3_GFX90A:ACCUM_OFFSET: 0
; COMPUTE_PGM_RSRC3_GFX90A:TG_SPLIT: 0
	.section	.text._ZN7rocprim17ROCPRIM_400000_NS6detail17trampoline_kernelINS0_14default_configENS1_20scan_config_selectorIlEEZZNS1_9scan_implILNS1_25lookback_scan_determinismE0ELb0ELb0ES3_PlS8_lN6thrust23THRUST_200600_302600_NS4plusIvEElEEDaPvRmT3_T4_T5_mT6_P12ihipStream_tbENKUlT_T0_E_clISt17integral_constantIbLb1EESQ_EEDaSL_SM_EUlSL_E_NS1_11comp_targetILNS1_3genE9ELNS1_11target_archE1100ELNS1_3gpuE3ELNS1_3repE0EEENS1_30default_config_static_selectorELNS0_4arch9wavefront6targetE1EEEvT1_,"axG",@progbits,_ZN7rocprim17ROCPRIM_400000_NS6detail17trampoline_kernelINS0_14default_configENS1_20scan_config_selectorIlEEZZNS1_9scan_implILNS1_25lookback_scan_determinismE0ELb0ELb0ES3_PlS8_lN6thrust23THRUST_200600_302600_NS4plusIvEElEEDaPvRmT3_T4_T5_mT6_P12ihipStream_tbENKUlT_T0_E_clISt17integral_constantIbLb1EESQ_EEDaSL_SM_EUlSL_E_NS1_11comp_targetILNS1_3genE9ELNS1_11target_archE1100ELNS1_3gpuE3ELNS1_3repE0EEENS1_30default_config_static_selectorELNS0_4arch9wavefront6targetE1EEEvT1_,comdat
	.protected	_ZN7rocprim17ROCPRIM_400000_NS6detail17trampoline_kernelINS0_14default_configENS1_20scan_config_selectorIlEEZZNS1_9scan_implILNS1_25lookback_scan_determinismE0ELb0ELb0ES3_PlS8_lN6thrust23THRUST_200600_302600_NS4plusIvEElEEDaPvRmT3_T4_T5_mT6_P12ihipStream_tbENKUlT_T0_E_clISt17integral_constantIbLb1EESQ_EEDaSL_SM_EUlSL_E_NS1_11comp_targetILNS1_3genE9ELNS1_11target_archE1100ELNS1_3gpuE3ELNS1_3repE0EEENS1_30default_config_static_selectorELNS0_4arch9wavefront6targetE1EEEvT1_ ; -- Begin function _ZN7rocprim17ROCPRIM_400000_NS6detail17trampoline_kernelINS0_14default_configENS1_20scan_config_selectorIlEEZZNS1_9scan_implILNS1_25lookback_scan_determinismE0ELb0ELb0ES3_PlS8_lN6thrust23THRUST_200600_302600_NS4plusIvEElEEDaPvRmT3_T4_T5_mT6_P12ihipStream_tbENKUlT_T0_E_clISt17integral_constantIbLb1EESQ_EEDaSL_SM_EUlSL_E_NS1_11comp_targetILNS1_3genE9ELNS1_11target_archE1100ELNS1_3gpuE3ELNS1_3repE0EEENS1_30default_config_static_selectorELNS0_4arch9wavefront6targetE1EEEvT1_
	.globl	_ZN7rocprim17ROCPRIM_400000_NS6detail17trampoline_kernelINS0_14default_configENS1_20scan_config_selectorIlEEZZNS1_9scan_implILNS1_25lookback_scan_determinismE0ELb0ELb0ES3_PlS8_lN6thrust23THRUST_200600_302600_NS4plusIvEElEEDaPvRmT3_T4_T5_mT6_P12ihipStream_tbENKUlT_T0_E_clISt17integral_constantIbLb1EESQ_EEDaSL_SM_EUlSL_E_NS1_11comp_targetILNS1_3genE9ELNS1_11target_archE1100ELNS1_3gpuE3ELNS1_3repE0EEENS1_30default_config_static_selectorELNS0_4arch9wavefront6targetE1EEEvT1_
	.p2align	8
	.type	_ZN7rocprim17ROCPRIM_400000_NS6detail17trampoline_kernelINS0_14default_configENS1_20scan_config_selectorIlEEZZNS1_9scan_implILNS1_25lookback_scan_determinismE0ELb0ELb0ES3_PlS8_lN6thrust23THRUST_200600_302600_NS4plusIvEElEEDaPvRmT3_T4_T5_mT6_P12ihipStream_tbENKUlT_T0_E_clISt17integral_constantIbLb1EESQ_EEDaSL_SM_EUlSL_E_NS1_11comp_targetILNS1_3genE9ELNS1_11target_archE1100ELNS1_3gpuE3ELNS1_3repE0EEENS1_30default_config_static_selectorELNS0_4arch9wavefront6targetE1EEEvT1_,@function
_ZN7rocprim17ROCPRIM_400000_NS6detail17trampoline_kernelINS0_14default_configENS1_20scan_config_selectorIlEEZZNS1_9scan_implILNS1_25lookback_scan_determinismE0ELb0ELb0ES3_PlS8_lN6thrust23THRUST_200600_302600_NS4plusIvEElEEDaPvRmT3_T4_T5_mT6_P12ihipStream_tbENKUlT_T0_E_clISt17integral_constantIbLb1EESQ_EEDaSL_SM_EUlSL_E_NS1_11comp_targetILNS1_3genE9ELNS1_11target_archE1100ELNS1_3gpuE3ELNS1_3repE0EEENS1_30default_config_static_selectorELNS0_4arch9wavefront6targetE1EEEvT1_: ; @_ZN7rocprim17ROCPRIM_400000_NS6detail17trampoline_kernelINS0_14default_configENS1_20scan_config_selectorIlEEZZNS1_9scan_implILNS1_25lookback_scan_determinismE0ELb0ELb0ES3_PlS8_lN6thrust23THRUST_200600_302600_NS4plusIvEElEEDaPvRmT3_T4_T5_mT6_P12ihipStream_tbENKUlT_T0_E_clISt17integral_constantIbLb1EESQ_EEDaSL_SM_EUlSL_E_NS1_11comp_targetILNS1_3genE9ELNS1_11target_archE1100ELNS1_3gpuE3ELNS1_3repE0EEENS1_30default_config_static_selectorELNS0_4arch9wavefront6targetE1EEEvT1_
; %bb.0:
	.section	.rodata,"a",@progbits
	.p2align	6, 0x0
	.amdhsa_kernel _ZN7rocprim17ROCPRIM_400000_NS6detail17trampoline_kernelINS0_14default_configENS1_20scan_config_selectorIlEEZZNS1_9scan_implILNS1_25lookback_scan_determinismE0ELb0ELb0ES3_PlS8_lN6thrust23THRUST_200600_302600_NS4plusIvEElEEDaPvRmT3_T4_T5_mT6_P12ihipStream_tbENKUlT_T0_E_clISt17integral_constantIbLb1EESQ_EEDaSL_SM_EUlSL_E_NS1_11comp_targetILNS1_3genE9ELNS1_11target_archE1100ELNS1_3gpuE3ELNS1_3repE0EEENS1_30default_config_static_selectorELNS0_4arch9wavefront6targetE1EEEvT1_
		.amdhsa_group_segment_fixed_size 0
		.amdhsa_private_segment_fixed_size 0
		.amdhsa_kernarg_size 104
		.amdhsa_user_sgpr_count 2
		.amdhsa_user_sgpr_dispatch_ptr 0
		.amdhsa_user_sgpr_queue_ptr 0
		.amdhsa_user_sgpr_kernarg_segment_ptr 1
		.amdhsa_user_sgpr_dispatch_id 0
		.amdhsa_user_sgpr_kernarg_preload_length 0
		.amdhsa_user_sgpr_kernarg_preload_offset 0
		.amdhsa_user_sgpr_private_segment_size 0
		.amdhsa_uses_dynamic_stack 0
		.amdhsa_enable_private_segment 0
		.amdhsa_system_sgpr_workgroup_id_x 1
		.amdhsa_system_sgpr_workgroup_id_y 0
		.amdhsa_system_sgpr_workgroup_id_z 0
		.amdhsa_system_sgpr_workgroup_info 0
		.amdhsa_system_vgpr_workitem_id 0
		.amdhsa_next_free_vgpr 1
		.amdhsa_next_free_sgpr 0
		.amdhsa_accum_offset 4
		.amdhsa_reserve_vcc 0
		.amdhsa_float_round_mode_32 0
		.amdhsa_float_round_mode_16_64 0
		.amdhsa_float_denorm_mode_32 3
		.amdhsa_float_denorm_mode_16_64 3
		.amdhsa_dx10_clamp 1
		.amdhsa_ieee_mode 1
		.amdhsa_fp16_overflow 0
		.amdhsa_tg_split 0
		.amdhsa_exception_fp_ieee_invalid_op 0
		.amdhsa_exception_fp_denorm_src 0
		.amdhsa_exception_fp_ieee_div_zero 0
		.amdhsa_exception_fp_ieee_overflow 0
		.amdhsa_exception_fp_ieee_underflow 0
		.amdhsa_exception_fp_ieee_inexact 0
		.amdhsa_exception_int_div_zero 0
	.end_amdhsa_kernel
	.section	.text._ZN7rocprim17ROCPRIM_400000_NS6detail17trampoline_kernelINS0_14default_configENS1_20scan_config_selectorIlEEZZNS1_9scan_implILNS1_25lookback_scan_determinismE0ELb0ELb0ES3_PlS8_lN6thrust23THRUST_200600_302600_NS4plusIvEElEEDaPvRmT3_T4_T5_mT6_P12ihipStream_tbENKUlT_T0_E_clISt17integral_constantIbLb1EESQ_EEDaSL_SM_EUlSL_E_NS1_11comp_targetILNS1_3genE9ELNS1_11target_archE1100ELNS1_3gpuE3ELNS1_3repE0EEENS1_30default_config_static_selectorELNS0_4arch9wavefront6targetE1EEEvT1_,"axG",@progbits,_ZN7rocprim17ROCPRIM_400000_NS6detail17trampoline_kernelINS0_14default_configENS1_20scan_config_selectorIlEEZZNS1_9scan_implILNS1_25lookback_scan_determinismE0ELb0ELb0ES3_PlS8_lN6thrust23THRUST_200600_302600_NS4plusIvEElEEDaPvRmT3_T4_T5_mT6_P12ihipStream_tbENKUlT_T0_E_clISt17integral_constantIbLb1EESQ_EEDaSL_SM_EUlSL_E_NS1_11comp_targetILNS1_3genE9ELNS1_11target_archE1100ELNS1_3gpuE3ELNS1_3repE0EEENS1_30default_config_static_selectorELNS0_4arch9wavefront6targetE1EEEvT1_,comdat
.Lfunc_end110:
	.size	_ZN7rocprim17ROCPRIM_400000_NS6detail17trampoline_kernelINS0_14default_configENS1_20scan_config_selectorIlEEZZNS1_9scan_implILNS1_25lookback_scan_determinismE0ELb0ELb0ES3_PlS8_lN6thrust23THRUST_200600_302600_NS4plusIvEElEEDaPvRmT3_T4_T5_mT6_P12ihipStream_tbENKUlT_T0_E_clISt17integral_constantIbLb1EESQ_EEDaSL_SM_EUlSL_E_NS1_11comp_targetILNS1_3genE9ELNS1_11target_archE1100ELNS1_3gpuE3ELNS1_3repE0EEENS1_30default_config_static_selectorELNS0_4arch9wavefront6targetE1EEEvT1_, .Lfunc_end110-_ZN7rocprim17ROCPRIM_400000_NS6detail17trampoline_kernelINS0_14default_configENS1_20scan_config_selectorIlEEZZNS1_9scan_implILNS1_25lookback_scan_determinismE0ELb0ELb0ES3_PlS8_lN6thrust23THRUST_200600_302600_NS4plusIvEElEEDaPvRmT3_T4_T5_mT6_P12ihipStream_tbENKUlT_T0_E_clISt17integral_constantIbLb1EESQ_EEDaSL_SM_EUlSL_E_NS1_11comp_targetILNS1_3genE9ELNS1_11target_archE1100ELNS1_3gpuE3ELNS1_3repE0EEENS1_30default_config_static_selectorELNS0_4arch9wavefront6targetE1EEEvT1_
                                        ; -- End function
	.set _ZN7rocprim17ROCPRIM_400000_NS6detail17trampoline_kernelINS0_14default_configENS1_20scan_config_selectorIlEEZZNS1_9scan_implILNS1_25lookback_scan_determinismE0ELb0ELb0ES3_PlS8_lN6thrust23THRUST_200600_302600_NS4plusIvEElEEDaPvRmT3_T4_T5_mT6_P12ihipStream_tbENKUlT_T0_E_clISt17integral_constantIbLb1EESQ_EEDaSL_SM_EUlSL_E_NS1_11comp_targetILNS1_3genE9ELNS1_11target_archE1100ELNS1_3gpuE3ELNS1_3repE0EEENS1_30default_config_static_selectorELNS0_4arch9wavefront6targetE1EEEvT1_.num_vgpr, 0
	.set _ZN7rocprim17ROCPRIM_400000_NS6detail17trampoline_kernelINS0_14default_configENS1_20scan_config_selectorIlEEZZNS1_9scan_implILNS1_25lookback_scan_determinismE0ELb0ELb0ES3_PlS8_lN6thrust23THRUST_200600_302600_NS4plusIvEElEEDaPvRmT3_T4_T5_mT6_P12ihipStream_tbENKUlT_T0_E_clISt17integral_constantIbLb1EESQ_EEDaSL_SM_EUlSL_E_NS1_11comp_targetILNS1_3genE9ELNS1_11target_archE1100ELNS1_3gpuE3ELNS1_3repE0EEENS1_30default_config_static_selectorELNS0_4arch9wavefront6targetE1EEEvT1_.num_agpr, 0
	.set _ZN7rocprim17ROCPRIM_400000_NS6detail17trampoline_kernelINS0_14default_configENS1_20scan_config_selectorIlEEZZNS1_9scan_implILNS1_25lookback_scan_determinismE0ELb0ELb0ES3_PlS8_lN6thrust23THRUST_200600_302600_NS4plusIvEElEEDaPvRmT3_T4_T5_mT6_P12ihipStream_tbENKUlT_T0_E_clISt17integral_constantIbLb1EESQ_EEDaSL_SM_EUlSL_E_NS1_11comp_targetILNS1_3genE9ELNS1_11target_archE1100ELNS1_3gpuE3ELNS1_3repE0EEENS1_30default_config_static_selectorELNS0_4arch9wavefront6targetE1EEEvT1_.numbered_sgpr, 0
	.set _ZN7rocprim17ROCPRIM_400000_NS6detail17trampoline_kernelINS0_14default_configENS1_20scan_config_selectorIlEEZZNS1_9scan_implILNS1_25lookback_scan_determinismE0ELb0ELb0ES3_PlS8_lN6thrust23THRUST_200600_302600_NS4plusIvEElEEDaPvRmT3_T4_T5_mT6_P12ihipStream_tbENKUlT_T0_E_clISt17integral_constantIbLb1EESQ_EEDaSL_SM_EUlSL_E_NS1_11comp_targetILNS1_3genE9ELNS1_11target_archE1100ELNS1_3gpuE3ELNS1_3repE0EEENS1_30default_config_static_selectorELNS0_4arch9wavefront6targetE1EEEvT1_.num_named_barrier, 0
	.set _ZN7rocprim17ROCPRIM_400000_NS6detail17trampoline_kernelINS0_14default_configENS1_20scan_config_selectorIlEEZZNS1_9scan_implILNS1_25lookback_scan_determinismE0ELb0ELb0ES3_PlS8_lN6thrust23THRUST_200600_302600_NS4plusIvEElEEDaPvRmT3_T4_T5_mT6_P12ihipStream_tbENKUlT_T0_E_clISt17integral_constantIbLb1EESQ_EEDaSL_SM_EUlSL_E_NS1_11comp_targetILNS1_3genE9ELNS1_11target_archE1100ELNS1_3gpuE3ELNS1_3repE0EEENS1_30default_config_static_selectorELNS0_4arch9wavefront6targetE1EEEvT1_.private_seg_size, 0
	.set _ZN7rocprim17ROCPRIM_400000_NS6detail17trampoline_kernelINS0_14default_configENS1_20scan_config_selectorIlEEZZNS1_9scan_implILNS1_25lookback_scan_determinismE0ELb0ELb0ES3_PlS8_lN6thrust23THRUST_200600_302600_NS4plusIvEElEEDaPvRmT3_T4_T5_mT6_P12ihipStream_tbENKUlT_T0_E_clISt17integral_constantIbLb1EESQ_EEDaSL_SM_EUlSL_E_NS1_11comp_targetILNS1_3genE9ELNS1_11target_archE1100ELNS1_3gpuE3ELNS1_3repE0EEENS1_30default_config_static_selectorELNS0_4arch9wavefront6targetE1EEEvT1_.uses_vcc, 0
	.set _ZN7rocprim17ROCPRIM_400000_NS6detail17trampoline_kernelINS0_14default_configENS1_20scan_config_selectorIlEEZZNS1_9scan_implILNS1_25lookback_scan_determinismE0ELb0ELb0ES3_PlS8_lN6thrust23THRUST_200600_302600_NS4plusIvEElEEDaPvRmT3_T4_T5_mT6_P12ihipStream_tbENKUlT_T0_E_clISt17integral_constantIbLb1EESQ_EEDaSL_SM_EUlSL_E_NS1_11comp_targetILNS1_3genE9ELNS1_11target_archE1100ELNS1_3gpuE3ELNS1_3repE0EEENS1_30default_config_static_selectorELNS0_4arch9wavefront6targetE1EEEvT1_.uses_flat_scratch, 0
	.set _ZN7rocprim17ROCPRIM_400000_NS6detail17trampoline_kernelINS0_14default_configENS1_20scan_config_selectorIlEEZZNS1_9scan_implILNS1_25lookback_scan_determinismE0ELb0ELb0ES3_PlS8_lN6thrust23THRUST_200600_302600_NS4plusIvEElEEDaPvRmT3_T4_T5_mT6_P12ihipStream_tbENKUlT_T0_E_clISt17integral_constantIbLb1EESQ_EEDaSL_SM_EUlSL_E_NS1_11comp_targetILNS1_3genE9ELNS1_11target_archE1100ELNS1_3gpuE3ELNS1_3repE0EEENS1_30default_config_static_selectorELNS0_4arch9wavefront6targetE1EEEvT1_.has_dyn_sized_stack, 0
	.set _ZN7rocprim17ROCPRIM_400000_NS6detail17trampoline_kernelINS0_14default_configENS1_20scan_config_selectorIlEEZZNS1_9scan_implILNS1_25lookback_scan_determinismE0ELb0ELb0ES3_PlS8_lN6thrust23THRUST_200600_302600_NS4plusIvEElEEDaPvRmT3_T4_T5_mT6_P12ihipStream_tbENKUlT_T0_E_clISt17integral_constantIbLb1EESQ_EEDaSL_SM_EUlSL_E_NS1_11comp_targetILNS1_3genE9ELNS1_11target_archE1100ELNS1_3gpuE3ELNS1_3repE0EEENS1_30default_config_static_selectorELNS0_4arch9wavefront6targetE1EEEvT1_.has_recursion, 0
	.set _ZN7rocprim17ROCPRIM_400000_NS6detail17trampoline_kernelINS0_14default_configENS1_20scan_config_selectorIlEEZZNS1_9scan_implILNS1_25lookback_scan_determinismE0ELb0ELb0ES3_PlS8_lN6thrust23THRUST_200600_302600_NS4plusIvEElEEDaPvRmT3_T4_T5_mT6_P12ihipStream_tbENKUlT_T0_E_clISt17integral_constantIbLb1EESQ_EEDaSL_SM_EUlSL_E_NS1_11comp_targetILNS1_3genE9ELNS1_11target_archE1100ELNS1_3gpuE3ELNS1_3repE0EEENS1_30default_config_static_selectorELNS0_4arch9wavefront6targetE1EEEvT1_.has_indirect_call, 0
	.section	.AMDGPU.csdata,"",@progbits
; Kernel info:
; codeLenInByte = 0
; TotalNumSgprs: 6
; NumVgprs: 0
; NumAgprs: 0
; TotalNumVgprs: 0
; ScratchSize: 0
; MemoryBound: 0
; FloatMode: 240
; IeeeMode: 1
; LDSByteSize: 0 bytes/workgroup (compile time only)
; SGPRBlocks: 0
; VGPRBlocks: 0
; NumSGPRsForWavesPerEU: 6
; NumVGPRsForWavesPerEU: 1
; AccumOffset: 4
; Occupancy: 8
; WaveLimiterHint : 0
; COMPUTE_PGM_RSRC2:SCRATCH_EN: 0
; COMPUTE_PGM_RSRC2:USER_SGPR: 2
; COMPUTE_PGM_RSRC2:TRAP_HANDLER: 0
; COMPUTE_PGM_RSRC2:TGID_X_EN: 1
; COMPUTE_PGM_RSRC2:TGID_Y_EN: 0
; COMPUTE_PGM_RSRC2:TGID_Z_EN: 0
; COMPUTE_PGM_RSRC2:TIDIG_COMP_CNT: 0
; COMPUTE_PGM_RSRC3_GFX90A:ACCUM_OFFSET: 0
; COMPUTE_PGM_RSRC3_GFX90A:TG_SPLIT: 0
	.section	.text._ZN7rocprim17ROCPRIM_400000_NS6detail17trampoline_kernelINS0_14default_configENS1_20scan_config_selectorIlEEZZNS1_9scan_implILNS1_25lookback_scan_determinismE0ELb0ELb0ES3_PlS8_lN6thrust23THRUST_200600_302600_NS4plusIvEElEEDaPvRmT3_T4_T5_mT6_P12ihipStream_tbENKUlT_T0_E_clISt17integral_constantIbLb1EESQ_EEDaSL_SM_EUlSL_E_NS1_11comp_targetILNS1_3genE8ELNS1_11target_archE1030ELNS1_3gpuE2ELNS1_3repE0EEENS1_30default_config_static_selectorELNS0_4arch9wavefront6targetE1EEEvT1_,"axG",@progbits,_ZN7rocprim17ROCPRIM_400000_NS6detail17trampoline_kernelINS0_14default_configENS1_20scan_config_selectorIlEEZZNS1_9scan_implILNS1_25lookback_scan_determinismE0ELb0ELb0ES3_PlS8_lN6thrust23THRUST_200600_302600_NS4plusIvEElEEDaPvRmT3_T4_T5_mT6_P12ihipStream_tbENKUlT_T0_E_clISt17integral_constantIbLb1EESQ_EEDaSL_SM_EUlSL_E_NS1_11comp_targetILNS1_3genE8ELNS1_11target_archE1030ELNS1_3gpuE2ELNS1_3repE0EEENS1_30default_config_static_selectorELNS0_4arch9wavefront6targetE1EEEvT1_,comdat
	.protected	_ZN7rocprim17ROCPRIM_400000_NS6detail17trampoline_kernelINS0_14default_configENS1_20scan_config_selectorIlEEZZNS1_9scan_implILNS1_25lookback_scan_determinismE0ELb0ELb0ES3_PlS8_lN6thrust23THRUST_200600_302600_NS4plusIvEElEEDaPvRmT3_T4_T5_mT6_P12ihipStream_tbENKUlT_T0_E_clISt17integral_constantIbLb1EESQ_EEDaSL_SM_EUlSL_E_NS1_11comp_targetILNS1_3genE8ELNS1_11target_archE1030ELNS1_3gpuE2ELNS1_3repE0EEENS1_30default_config_static_selectorELNS0_4arch9wavefront6targetE1EEEvT1_ ; -- Begin function _ZN7rocprim17ROCPRIM_400000_NS6detail17trampoline_kernelINS0_14default_configENS1_20scan_config_selectorIlEEZZNS1_9scan_implILNS1_25lookback_scan_determinismE0ELb0ELb0ES3_PlS8_lN6thrust23THRUST_200600_302600_NS4plusIvEElEEDaPvRmT3_T4_T5_mT6_P12ihipStream_tbENKUlT_T0_E_clISt17integral_constantIbLb1EESQ_EEDaSL_SM_EUlSL_E_NS1_11comp_targetILNS1_3genE8ELNS1_11target_archE1030ELNS1_3gpuE2ELNS1_3repE0EEENS1_30default_config_static_selectorELNS0_4arch9wavefront6targetE1EEEvT1_
	.globl	_ZN7rocprim17ROCPRIM_400000_NS6detail17trampoline_kernelINS0_14default_configENS1_20scan_config_selectorIlEEZZNS1_9scan_implILNS1_25lookback_scan_determinismE0ELb0ELb0ES3_PlS8_lN6thrust23THRUST_200600_302600_NS4plusIvEElEEDaPvRmT3_T4_T5_mT6_P12ihipStream_tbENKUlT_T0_E_clISt17integral_constantIbLb1EESQ_EEDaSL_SM_EUlSL_E_NS1_11comp_targetILNS1_3genE8ELNS1_11target_archE1030ELNS1_3gpuE2ELNS1_3repE0EEENS1_30default_config_static_selectorELNS0_4arch9wavefront6targetE1EEEvT1_
	.p2align	8
	.type	_ZN7rocprim17ROCPRIM_400000_NS6detail17trampoline_kernelINS0_14default_configENS1_20scan_config_selectorIlEEZZNS1_9scan_implILNS1_25lookback_scan_determinismE0ELb0ELb0ES3_PlS8_lN6thrust23THRUST_200600_302600_NS4plusIvEElEEDaPvRmT3_T4_T5_mT6_P12ihipStream_tbENKUlT_T0_E_clISt17integral_constantIbLb1EESQ_EEDaSL_SM_EUlSL_E_NS1_11comp_targetILNS1_3genE8ELNS1_11target_archE1030ELNS1_3gpuE2ELNS1_3repE0EEENS1_30default_config_static_selectorELNS0_4arch9wavefront6targetE1EEEvT1_,@function
_ZN7rocprim17ROCPRIM_400000_NS6detail17trampoline_kernelINS0_14default_configENS1_20scan_config_selectorIlEEZZNS1_9scan_implILNS1_25lookback_scan_determinismE0ELb0ELb0ES3_PlS8_lN6thrust23THRUST_200600_302600_NS4plusIvEElEEDaPvRmT3_T4_T5_mT6_P12ihipStream_tbENKUlT_T0_E_clISt17integral_constantIbLb1EESQ_EEDaSL_SM_EUlSL_E_NS1_11comp_targetILNS1_3genE8ELNS1_11target_archE1030ELNS1_3gpuE2ELNS1_3repE0EEENS1_30default_config_static_selectorELNS0_4arch9wavefront6targetE1EEEvT1_: ; @_ZN7rocprim17ROCPRIM_400000_NS6detail17trampoline_kernelINS0_14default_configENS1_20scan_config_selectorIlEEZZNS1_9scan_implILNS1_25lookback_scan_determinismE0ELb0ELb0ES3_PlS8_lN6thrust23THRUST_200600_302600_NS4plusIvEElEEDaPvRmT3_T4_T5_mT6_P12ihipStream_tbENKUlT_T0_E_clISt17integral_constantIbLb1EESQ_EEDaSL_SM_EUlSL_E_NS1_11comp_targetILNS1_3genE8ELNS1_11target_archE1030ELNS1_3gpuE2ELNS1_3repE0EEENS1_30default_config_static_selectorELNS0_4arch9wavefront6targetE1EEEvT1_
; %bb.0:
	.section	.rodata,"a",@progbits
	.p2align	6, 0x0
	.amdhsa_kernel _ZN7rocprim17ROCPRIM_400000_NS6detail17trampoline_kernelINS0_14default_configENS1_20scan_config_selectorIlEEZZNS1_9scan_implILNS1_25lookback_scan_determinismE0ELb0ELb0ES3_PlS8_lN6thrust23THRUST_200600_302600_NS4plusIvEElEEDaPvRmT3_T4_T5_mT6_P12ihipStream_tbENKUlT_T0_E_clISt17integral_constantIbLb1EESQ_EEDaSL_SM_EUlSL_E_NS1_11comp_targetILNS1_3genE8ELNS1_11target_archE1030ELNS1_3gpuE2ELNS1_3repE0EEENS1_30default_config_static_selectorELNS0_4arch9wavefront6targetE1EEEvT1_
		.amdhsa_group_segment_fixed_size 0
		.amdhsa_private_segment_fixed_size 0
		.amdhsa_kernarg_size 104
		.amdhsa_user_sgpr_count 2
		.amdhsa_user_sgpr_dispatch_ptr 0
		.amdhsa_user_sgpr_queue_ptr 0
		.amdhsa_user_sgpr_kernarg_segment_ptr 1
		.amdhsa_user_sgpr_dispatch_id 0
		.amdhsa_user_sgpr_kernarg_preload_length 0
		.amdhsa_user_sgpr_kernarg_preload_offset 0
		.amdhsa_user_sgpr_private_segment_size 0
		.amdhsa_uses_dynamic_stack 0
		.amdhsa_enable_private_segment 0
		.amdhsa_system_sgpr_workgroup_id_x 1
		.amdhsa_system_sgpr_workgroup_id_y 0
		.amdhsa_system_sgpr_workgroup_id_z 0
		.amdhsa_system_sgpr_workgroup_info 0
		.amdhsa_system_vgpr_workitem_id 0
		.amdhsa_next_free_vgpr 1
		.amdhsa_next_free_sgpr 0
		.amdhsa_accum_offset 4
		.amdhsa_reserve_vcc 0
		.amdhsa_float_round_mode_32 0
		.amdhsa_float_round_mode_16_64 0
		.amdhsa_float_denorm_mode_32 3
		.amdhsa_float_denorm_mode_16_64 3
		.amdhsa_dx10_clamp 1
		.amdhsa_ieee_mode 1
		.amdhsa_fp16_overflow 0
		.amdhsa_tg_split 0
		.amdhsa_exception_fp_ieee_invalid_op 0
		.amdhsa_exception_fp_denorm_src 0
		.amdhsa_exception_fp_ieee_div_zero 0
		.amdhsa_exception_fp_ieee_overflow 0
		.amdhsa_exception_fp_ieee_underflow 0
		.amdhsa_exception_fp_ieee_inexact 0
		.amdhsa_exception_int_div_zero 0
	.end_amdhsa_kernel
	.section	.text._ZN7rocprim17ROCPRIM_400000_NS6detail17trampoline_kernelINS0_14default_configENS1_20scan_config_selectorIlEEZZNS1_9scan_implILNS1_25lookback_scan_determinismE0ELb0ELb0ES3_PlS8_lN6thrust23THRUST_200600_302600_NS4plusIvEElEEDaPvRmT3_T4_T5_mT6_P12ihipStream_tbENKUlT_T0_E_clISt17integral_constantIbLb1EESQ_EEDaSL_SM_EUlSL_E_NS1_11comp_targetILNS1_3genE8ELNS1_11target_archE1030ELNS1_3gpuE2ELNS1_3repE0EEENS1_30default_config_static_selectorELNS0_4arch9wavefront6targetE1EEEvT1_,"axG",@progbits,_ZN7rocprim17ROCPRIM_400000_NS6detail17trampoline_kernelINS0_14default_configENS1_20scan_config_selectorIlEEZZNS1_9scan_implILNS1_25lookback_scan_determinismE0ELb0ELb0ES3_PlS8_lN6thrust23THRUST_200600_302600_NS4plusIvEElEEDaPvRmT3_T4_T5_mT6_P12ihipStream_tbENKUlT_T0_E_clISt17integral_constantIbLb1EESQ_EEDaSL_SM_EUlSL_E_NS1_11comp_targetILNS1_3genE8ELNS1_11target_archE1030ELNS1_3gpuE2ELNS1_3repE0EEENS1_30default_config_static_selectorELNS0_4arch9wavefront6targetE1EEEvT1_,comdat
.Lfunc_end111:
	.size	_ZN7rocprim17ROCPRIM_400000_NS6detail17trampoline_kernelINS0_14default_configENS1_20scan_config_selectorIlEEZZNS1_9scan_implILNS1_25lookback_scan_determinismE0ELb0ELb0ES3_PlS8_lN6thrust23THRUST_200600_302600_NS4plusIvEElEEDaPvRmT3_T4_T5_mT6_P12ihipStream_tbENKUlT_T0_E_clISt17integral_constantIbLb1EESQ_EEDaSL_SM_EUlSL_E_NS1_11comp_targetILNS1_3genE8ELNS1_11target_archE1030ELNS1_3gpuE2ELNS1_3repE0EEENS1_30default_config_static_selectorELNS0_4arch9wavefront6targetE1EEEvT1_, .Lfunc_end111-_ZN7rocprim17ROCPRIM_400000_NS6detail17trampoline_kernelINS0_14default_configENS1_20scan_config_selectorIlEEZZNS1_9scan_implILNS1_25lookback_scan_determinismE0ELb0ELb0ES3_PlS8_lN6thrust23THRUST_200600_302600_NS4plusIvEElEEDaPvRmT3_T4_T5_mT6_P12ihipStream_tbENKUlT_T0_E_clISt17integral_constantIbLb1EESQ_EEDaSL_SM_EUlSL_E_NS1_11comp_targetILNS1_3genE8ELNS1_11target_archE1030ELNS1_3gpuE2ELNS1_3repE0EEENS1_30default_config_static_selectorELNS0_4arch9wavefront6targetE1EEEvT1_
                                        ; -- End function
	.set _ZN7rocprim17ROCPRIM_400000_NS6detail17trampoline_kernelINS0_14default_configENS1_20scan_config_selectorIlEEZZNS1_9scan_implILNS1_25lookback_scan_determinismE0ELb0ELb0ES3_PlS8_lN6thrust23THRUST_200600_302600_NS4plusIvEElEEDaPvRmT3_T4_T5_mT6_P12ihipStream_tbENKUlT_T0_E_clISt17integral_constantIbLb1EESQ_EEDaSL_SM_EUlSL_E_NS1_11comp_targetILNS1_3genE8ELNS1_11target_archE1030ELNS1_3gpuE2ELNS1_3repE0EEENS1_30default_config_static_selectorELNS0_4arch9wavefront6targetE1EEEvT1_.num_vgpr, 0
	.set _ZN7rocprim17ROCPRIM_400000_NS6detail17trampoline_kernelINS0_14default_configENS1_20scan_config_selectorIlEEZZNS1_9scan_implILNS1_25lookback_scan_determinismE0ELb0ELb0ES3_PlS8_lN6thrust23THRUST_200600_302600_NS4plusIvEElEEDaPvRmT3_T4_T5_mT6_P12ihipStream_tbENKUlT_T0_E_clISt17integral_constantIbLb1EESQ_EEDaSL_SM_EUlSL_E_NS1_11comp_targetILNS1_3genE8ELNS1_11target_archE1030ELNS1_3gpuE2ELNS1_3repE0EEENS1_30default_config_static_selectorELNS0_4arch9wavefront6targetE1EEEvT1_.num_agpr, 0
	.set _ZN7rocprim17ROCPRIM_400000_NS6detail17trampoline_kernelINS0_14default_configENS1_20scan_config_selectorIlEEZZNS1_9scan_implILNS1_25lookback_scan_determinismE0ELb0ELb0ES3_PlS8_lN6thrust23THRUST_200600_302600_NS4plusIvEElEEDaPvRmT3_T4_T5_mT6_P12ihipStream_tbENKUlT_T0_E_clISt17integral_constantIbLb1EESQ_EEDaSL_SM_EUlSL_E_NS1_11comp_targetILNS1_3genE8ELNS1_11target_archE1030ELNS1_3gpuE2ELNS1_3repE0EEENS1_30default_config_static_selectorELNS0_4arch9wavefront6targetE1EEEvT1_.numbered_sgpr, 0
	.set _ZN7rocprim17ROCPRIM_400000_NS6detail17trampoline_kernelINS0_14default_configENS1_20scan_config_selectorIlEEZZNS1_9scan_implILNS1_25lookback_scan_determinismE0ELb0ELb0ES3_PlS8_lN6thrust23THRUST_200600_302600_NS4plusIvEElEEDaPvRmT3_T4_T5_mT6_P12ihipStream_tbENKUlT_T0_E_clISt17integral_constantIbLb1EESQ_EEDaSL_SM_EUlSL_E_NS1_11comp_targetILNS1_3genE8ELNS1_11target_archE1030ELNS1_3gpuE2ELNS1_3repE0EEENS1_30default_config_static_selectorELNS0_4arch9wavefront6targetE1EEEvT1_.num_named_barrier, 0
	.set _ZN7rocprim17ROCPRIM_400000_NS6detail17trampoline_kernelINS0_14default_configENS1_20scan_config_selectorIlEEZZNS1_9scan_implILNS1_25lookback_scan_determinismE0ELb0ELb0ES3_PlS8_lN6thrust23THRUST_200600_302600_NS4plusIvEElEEDaPvRmT3_T4_T5_mT6_P12ihipStream_tbENKUlT_T0_E_clISt17integral_constantIbLb1EESQ_EEDaSL_SM_EUlSL_E_NS1_11comp_targetILNS1_3genE8ELNS1_11target_archE1030ELNS1_3gpuE2ELNS1_3repE0EEENS1_30default_config_static_selectorELNS0_4arch9wavefront6targetE1EEEvT1_.private_seg_size, 0
	.set _ZN7rocprim17ROCPRIM_400000_NS6detail17trampoline_kernelINS0_14default_configENS1_20scan_config_selectorIlEEZZNS1_9scan_implILNS1_25lookback_scan_determinismE0ELb0ELb0ES3_PlS8_lN6thrust23THRUST_200600_302600_NS4plusIvEElEEDaPvRmT3_T4_T5_mT6_P12ihipStream_tbENKUlT_T0_E_clISt17integral_constantIbLb1EESQ_EEDaSL_SM_EUlSL_E_NS1_11comp_targetILNS1_3genE8ELNS1_11target_archE1030ELNS1_3gpuE2ELNS1_3repE0EEENS1_30default_config_static_selectorELNS0_4arch9wavefront6targetE1EEEvT1_.uses_vcc, 0
	.set _ZN7rocprim17ROCPRIM_400000_NS6detail17trampoline_kernelINS0_14default_configENS1_20scan_config_selectorIlEEZZNS1_9scan_implILNS1_25lookback_scan_determinismE0ELb0ELb0ES3_PlS8_lN6thrust23THRUST_200600_302600_NS4plusIvEElEEDaPvRmT3_T4_T5_mT6_P12ihipStream_tbENKUlT_T0_E_clISt17integral_constantIbLb1EESQ_EEDaSL_SM_EUlSL_E_NS1_11comp_targetILNS1_3genE8ELNS1_11target_archE1030ELNS1_3gpuE2ELNS1_3repE0EEENS1_30default_config_static_selectorELNS0_4arch9wavefront6targetE1EEEvT1_.uses_flat_scratch, 0
	.set _ZN7rocprim17ROCPRIM_400000_NS6detail17trampoline_kernelINS0_14default_configENS1_20scan_config_selectorIlEEZZNS1_9scan_implILNS1_25lookback_scan_determinismE0ELb0ELb0ES3_PlS8_lN6thrust23THRUST_200600_302600_NS4plusIvEElEEDaPvRmT3_T4_T5_mT6_P12ihipStream_tbENKUlT_T0_E_clISt17integral_constantIbLb1EESQ_EEDaSL_SM_EUlSL_E_NS1_11comp_targetILNS1_3genE8ELNS1_11target_archE1030ELNS1_3gpuE2ELNS1_3repE0EEENS1_30default_config_static_selectorELNS0_4arch9wavefront6targetE1EEEvT1_.has_dyn_sized_stack, 0
	.set _ZN7rocprim17ROCPRIM_400000_NS6detail17trampoline_kernelINS0_14default_configENS1_20scan_config_selectorIlEEZZNS1_9scan_implILNS1_25lookback_scan_determinismE0ELb0ELb0ES3_PlS8_lN6thrust23THRUST_200600_302600_NS4plusIvEElEEDaPvRmT3_T4_T5_mT6_P12ihipStream_tbENKUlT_T0_E_clISt17integral_constantIbLb1EESQ_EEDaSL_SM_EUlSL_E_NS1_11comp_targetILNS1_3genE8ELNS1_11target_archE1030ELNS1_3gpuE2ELNS1_3repE0EEENS1_30default_config_static_selectorELNS0_4arch9wavefront6targetE1EEEvT1_.has_recursion, 0
	.set _ZN7rocprim17ROCPRIM_400000_NS6detail17trampoline_kernelINS0_14default_configENS1_20scan_config_selectorIlEEZZNS1_9scan_implILNS1_25lookback_scan_determinismE0ELb0ELb0ES3_PlS8_lN6thrust23THRUST_200600_302600_NS4plusIvEElEEDaPvRmT3_T4_T5_mT6_P12ihipStream_tbENKUlT_T0_E_clISt17integral_constantIbLb1EESQ_EEDaSL_SM_EUlSL_E_NS1_11comp_targetILNS1_3genE8ELNS1_11target_archE1030ELNS1_3gpuE2ELNS1_3repE0EEENS1_30default_config_static_selectorELNS0_4arch9wavefront6targetE1EEEvT1_.has_indirect_call, 0
	.section	.AMDGPU.csdata,"",@progbits
; Kernel info:
; codeLenInByte = 0
; TotalNumSgprs: 6
; NumVgprs: 0
; NumAgprs: 0
; TotalNumVgprs: 0
; ScratchSize: 0
; MemoryBound: 0
; FloatMode: 240
; IeeeMode: 1
; LDSByteSize: 0 bytes/workgroup (compile time only)
; SGPRBlocks: 0
; VGPRBlocks: 0
; NumSGPRsForWavesPerEU: 6
; NumVGPRsForWavesPerEU: 1
; AccumOffset: 4
; Occupancy: 8
; WaveLimiterHint : 0
; COMPUTE_PGM_RSRC2:SCRATCH_EN: 0
; COMPUTE_PGM_RSRC2:USER_SGPR: 2
; COMPUTE_PGM_RSRC2:TRAP_HANDLER: 0
; COMPUTE_PGM_RSRC2:TGID_X_EN: 1
; COMPUTE_PGM_RSRC2:TGID_Y_EN: 0
; COMPUTE_PGM_RSRC2:TGID_Z_EN: 0
; COMPUTE_PGM_RSRC2:TIDIG_COMP_CNT: 0
; COMPUTE_PGM_RSRC3_GFX90A:ACCUM_OFFSET: 0
; COMPUTE_PGM_RSRC3_GFX90A:TG_SPLIT: 0
	.section	.text._ZN7rocprim17ROCPRIM_400000_NS6detail17trampoline_kernelINS0_14default_configENS1_20scan_config_selectorIlEEZZNS1_9scan_implILNS1_25lookback_scan_determinismE0ELb0ELb0ES3_PlS8_lN6thrust23THRUST_200600_302600_NS4plusIvEElEEDaPvRmT3_T4_T5_mT6_P12ihipStream_tbENKUlT_T0_E_clISt17integral_constantIbLb1EESQ_EEDaSL_SM_EUlSL_E0_NS1_11comp_targetILNS1_3genE0ELNS1_11target_archE4294967295ELNS1_3gpuE0ELNS1_3repE0EEENS1_30default_config_static_selectorELNS0_4arch9wavefront6targetE1EEEvT1_,"axG",@progbits,_ZN7rocprim17ROCPRIM_400000_NS6detail17trampoline_kernelINS0_14default_configENS1_20scan_config_selectorIlEEZZNS1_9scan_implILNS1_25lookback_scan_determinismE0ELb0ELb0ES3_PlS8_lN6thrust23THRUST_200600_302600_NS4plusIvEElEEDaPvRmT3_T4_T5_mT6_P12ihipStream_tbENKUlT_T0_E_clISt17integral_constantIbLb1EESQ_EEDaSL_SM_EUlSL_E0_NS1_11comp_targetILNS1_3genE0ELNS1_11target_archE4294967295ELNS1_3gpuE0ELNS1_3repE0EEENS1_30default_config_static_selectorELNS0_4arch9wavefront6targetE1EEEvT1_,comdat
	.protected	_ZN7rocprim17ROCPRIM_400000_NS6detail17trampoline_kernelINS0_14default_configENS1_20scan_config_selectorIlEEZZNS1_9scan_implILNS1_25lookback_scan_determinismE0ELb0ELb0ES3_PlS8_lN6thrust23THRUST_200600_302600_NS4plusIvEElEEDaPvRmT3_T4_T5_mT6_P12ihipStream_tbENKUlT_T0_E_clISt17integral_constantIbLb1EESQ_EEDaSL_SM_EUlSL_E0_NS1_11comp_targetILNS1_3genE0ELNS1_11target_archE4294967295ELNS1_3gpuE0ELNS1_3repE0EEENS1_30default_config_static_selectorELNS0_4arch9wavefront6targetE1EEEvT1_ ; -- Begin function _ZN7rocprim17ROCPRIM_400000_NS6detail17trampoline_kernelINS0_14default_configENS1_20scan_config_selectorIlEEZZNS1_9scan_implILNS1_25lookback_scan_determinismE0ELb0ELb0ES3_PlS8_lN6thrust23THRUST_200600_302600_NS4plusIvEElEEDaPvRmT3_T4_T5_mT6_P12ihipStream_tbENKUlT_T0_E_clISt17integral_constantIbLb1EESQ_EEDaSL_SM_EUlSL_E0_NS1_11comp_targetILNS1_3genE0ELNS1_11target_archE4294967295ELNS1_3gpuE0ELNS1_3repE0EEENS1_30default_config_static_selectorELNS0_4arch9wavefront6targetE1EEEvT1_
	.globl	_ZN7rocprim17ROCPRIM_400000_NS6detail17trampoline_kernelINS0_14default_configENS1_20scan_config_selectorIlEEZZNS1_9scan_implILNS1_25lookback_scan_determinismE0ELb0ELb0ES3_PlS8_lN6thrust23THRUST_200600_302600_NS4plusIvEElEEDaPvRmT3_T4_T5_mT6_P12ihipStream_tbENKUlT_T0_E_clISt17integral_constantIbLb1EESQ_EEDaSL_SM_EUlSL_E0_NS1_11comp_targetILNS1_3genE0ELNS1_11target_archE4294967295ELNS1_3gpuE0ELNS1_3repE0EEENS1_30default_config_static_selectorELNS0_4arch9wavefront6targetE1EEEvT1_
	.p2align	8
	.type	_ZN7rocprim17ROCPRIM_400000_NS6detail17trampoline_kernelINS0_14default_configENS1_20scan_config_selectorIlEEZZNS1_9scan_implILNS1_25lookback_scan_determinismE0ELb0ELb0ES3_PlS8_lN6thrust23THRUST_200600_302600_NS4plusIvEElEEDaPvRmT3_T4_T5_mT6_P12ihipStream_tbENKUlT_T0_E_clISt17integral_constantIbLb1EESQ_EEDaSL_SM_EUlSL_E0_NS1_11comp_targetILNS1_3genE0ELNS1_11target_archE4294967295ELNS1_3gpuE0ELNS1_3repE0EEENS1_30default_config_static_selectorELNS0_4arch9wavefront6targetE1EEEvT1_,@function
_ZN7rocprim17ROCPRIM_400000_NS6detail17trampoline_kernelINS0_14default_configENS1_20scan_config_selectorIlEEZZNS1_9scan_implILNS1_25lookback_scan_determinismE0ELb0ELb0ES3_PlS8_lN6thrust23THRUST_200600_302600_NS4plusIvEElEEDaPvRmT3_T4_T5_mT6_P12ihipStream_tbENKUlT_T0_E_clISt17integral_constantIbLb1EESQ_EEDaSL_SM_EUlSL_E0_NS1_11comp_targetILNS1_3genE0ELNS1_11target_archE4294967295ELNS1_3gpuE0ELNS1_3repE0EEENS1_30default_config_static_selectorELNS0_4arch9wavefront6targetE1EEEvT1_: ; @_ZN7rocprim17ROCPRIM_400000_NS6detail17trampoline_kernelINS0_14default_configENS1_20scan_config_selectorIlEEZZNS1_9scan_implILNS1_25lookback_scan_determinismE0ELb0ELb0ES3_PlS8_lN6thrust23THRUST_200600_302600_NS4plusIvEElEEDaPvRmT3_T4_T5_mT6_P12ihipStream_tbENKUlT_T0_E_clISt17integral_constantIbLb1EESQ_EEDaSL_SM_EUlSL_E0_NS1_11comp_targetILNS1_3genE0ELNS1_11target_archE4294967295ELNS1_3gpuE0ELNS1_3repE0EEENS1_30default_config_static_selectorELNS0_4arch9wavefront6targetE1EEEvT1_
; %bb.0:
	s_load_dwordx4 s[12:15], s[0:1], 0x0
	v_lshlrev_b32_e32 v22, 3, v0
	s_waitcnt lgkmcnt(0)
	s_load_dwordx2 s[16:17], s[12:13], 0x0
	v_cmp_gt_u32_e32 vcc, s14, v0
	s_waitcnt lgkmcnt(0)
	v_mov_b64_e32 v[2:3], s[16:17]
	s_and_saveexec_b64 s[2:3], vcc
	s_cbranch_execz .LBB112_2
; %bb.1:
	global_load_dwordx2 v[2:3], v22, s[12:13]
.LBB112_2:
	s_or_b64 exec, exec, s[2:3]
	v_or_b32_e32 v1, 0x100, v0
	v_cmp_gt_u32_e64 s[10:11], s14, v1
	v_mov_b64_e32 v[4:5], s[16:17]
	s_and_saveexec_b64 s[2:3], s[10:11]
	s_cbranch_execz .LBB112_4
; %bb.3:
	global_load_dwordx2 v[4:5], v22, s[12:13] offset:2048
.LBB112_4:
	s_or_b64 exec, exec, s[2:3]
	v_or_b32_e32 v1, 0x200, v0
	v_cmp_gt_u32_e64 s[2:3], s14, v1
	v_mov_b64_e32 v[6:7], s[16:17]
	s_and_saveexec_b64 s[4:5], s[2:3]
	s_cbranch_execz .LBB112_6
; %bb.5:
	v_lshlrev_b32_e32 v1, 3, v1
	global_load_dwordx2 v[6:7], v1, s[12:13]
.LBB112_6:
	s_or_b64 exec, exec, s[4:5]
	v_or_b32_e32 v1, 0x300, v0
	v_cmp_gt_u32_e64 s[4:5], s14, v1
	v_mov_b64_e32 v[8:9], s[16:17]
	s_and_saveexec_b64 s[6:7], s[4:5]
	s_cbranch_execz .LBB112_8
; %bb.7:
	v_lshlrev_b32_e32 v1, 3, v1
	global_load_dwordx2 v[8:9], v1, s[12:13]
.LBB112_8:
	;; [unrolled: 10-line block ×4, first 2 shown]
	s_or_b64 exec, exec, s[14:15]
	v_mad_u32_u24 v1, v0, 40, v22
	s_waitcnt vmcnt(0)
	ds_write2st64_b64 v22, v[2:3], v[4:5] offset1:4
	ds_write2st64_b64 v22, v[6:7], v[8:9] offset0:8 offset1:12
	ds_write2st64_b64 v22, v[10:11], v[12:13] offset0:16 offset1:20
	s_waitcnt lgkmcnt(0)
	s_barrier
	ds_read_b128 v[2:5], v1
	ds_read_b128 v[18:21], v1 offset:16
	ds_read_b128 v[14:17], v1 offset:32
	v_mbcnt_lo_u32_b32 v1, -1, 0
	v_mov_b32_e32 v28, 0
	s_waitcnt lgkmcnt(2)
	v_lshl_add_u64 v[24:25], v[4:5], 0, v[2:3]
	s_waitcnt lgkmcnt(1)
	v_lshl_add_u64 v[10:11], v[24:25], 0, v[18:19]
	v_lshl_add_u64 v[12:13], v[10:11], 0, v[20:21]
	s_waitcnt lgkmcnt(0)
	v_lshl_add_u64 v[6:7], v[12:13], 0, v[14:15]
	v_lshl_add_u64 v[8:9], v[6:7], 0, v[16:17]
	v_mbcnt_hi_u32_b32 v1, -1, v1
	v_mov_b32_e32 v27, v28
	v_mov_b32_dpp v26, v8 row_shr:1 row_mask:0xf bank_mask:0xf
	v_and_b32_e32 v23, 15, v1
	v_mov_b32_dpp v29, v9 row_shr:1 row_mask:0xf bank_mask:0xf
	v_lshl_add_u64 v[26:27], v[8:9], 0, v[26:27]
	v_lshl_add_u64 v[28:29], v[28:29], 0, v[26:27]
	v_cmp_eq_u32_e64 s[12:13], 0, v23
	v_and_b32_e32 v32, 16, v1
	v_cmp_eq_u32_e64 s[14:15], 0, v32
	v_cndmask_b32_e64 v30, v26, v8, s[12:13]
	v_cndmask_b32_e64 v27, v29, v9, s[12:13]
	;; [unrolled: 1-line block ×3, first 2 shown]
	v_mov_b32_dpp v28, v30 row_shr:2 row_mask:0xf bank_mask:0xf
	v_mov_b32_dpp v29, v27 row_shr:2 row_mask:0xf bank_mask:0xf
	v_lshl_add_u64 v[28:29], v[28:29], 0, v[26:27]
	v_cmp_lt_u32_e64 s[12:13], 1, v23
	v_cmp_ne_u32_e64 s[16:17], 0, v1
	s_nop 0
	v_cndmask_b32_e64 v30, v30, v28, s[12:13]
	v_cndmask_b32_e64 v27, v27, v29, s[12:13]
	v_cndmask_b32_e64 v26, v26, v28, s[12:13]
	v_mov_b32_dpp v28, v30 row_shr:4 row_mask:0xf bank_mask:0xf
	v_mov_b32_dpp v29, v27 row_shr:4 row_mask:0xf bank_mask:0xf
	v_lshl_add_u64 v[28:29], v[28:29], 0, v[26:27]
	v_cmp_lt_u32_e64 s[12:13], 3, v23
	s_barrier
	s_nop 0
	v_cndmask_b32_e64 v30, v30, v28, s[12:13]
	v_cndmask_b32_e64 v27, v27, v29, s[12:13]
	;; [unrolled: 1-line block ×3, first 2 shown]
	v_mov_b32_dpp v28, v30 row_shr:8 row_mask:0xf bank_mask:0xf
	v_mov_b32_dpp v29, v27 row_shr:8 row_mask:0xf bank_mask:0xf
	v_lshl_add_u64 v[28:29], v[28:29], 0, v[26:27]
	v_cmp_lt_u32_e64 s[12:13], 7, v23
	s_nop 1
	v_cndmask_b32_e64 v23, v30, v28, s[12:13]
	v_cndmask_b32_e64 v29, v27, v29, s[12:13]
	;; [unrolled: 1-line block ×3, first 2 shown]
	v_mov_b32_dpp v26, v23 row_bcast:15 row_mask:0xf bank_mask:0xf
	v_mov_b32_dpp v27, v29 row_bcast:15 row_mask:0xf bank_mask:0xf
	v_lshl_add_u64 v[30:31], v[26:27], 0, v[28:29]
	v_cndmask_b32_e64 v26, v31, v29, s[14:15]
	v_cndmask_b32_e64 v23, v30, v23, s[14:15]
	v_cmp_eq_u32_e64 s[12:13], 0, v1
	v_mov_b32_dpp v32, v26 row_bcast:31 row_mask:0xf bank_mask:0xf
	v_mov_b32_dpp v23, v23 row_bcast:31 row_mask:0xf bank_mask:0xf
	v_mov_b64_e32 v[26:27], v[8:9]
	s_and_saveexec_b64 s[18:19], s[16:17]
; %bb.13:
	v_cndmask_b32_e64 v27, v31, v29, s[14:15]
	v_cndmask_b32_e64 v26, v30, v28, s[14:15]
	v_cmp_lt_u32_e64 s[14:15], 31, v1
	s_nop 1
	v_cndmask_b32_e64 v29, 0, v32, s[14:15]
	v_cndmask_b32_e64 v28, 0, v23, s[14:15]
	v_lshl_add_u64 v[26:27], v[28:29], 0, v[26:27]
; %bb.14:
	s_or_b64 exec, exec, s[18:19]
	v_or_b32_e32 v28, 63, v0
	v_lshrrev_b32_e32 v23, 6, v0
	v_cmp_eq_u32_e64 s[14:15], v0, v28
	s_and_saveexec_b64 s[16:17], s[14:15]
; %bb.15:
	v_lshlrev_b32_e32 v28, 3, v23
	ds_write_b64 v28, v[26:27]
; %bb.16:
	s_or_b64 exec, exec, s[16:17]
	v_cmp_gt_u32_e64 s[14:15], 4, v0
	s_waitcnt lgkmcnt(0)
	s_barrier
	s_and_saveexec_b64 s[18:19], s[14:15]
	s_cbranch_execz .LBB112_18
; %bb.17:
	ds_read_b64 v[28:29], v22
	v_mov_b32_e32 v30, 0
	v_mov_b32_e32 v33, v30
	v_and_b32_e32 v34, 3, v1
	v_cmp_eq_u32_e64 s[14:15], 0, v34
	s_waitcnt lgkmcnt(0)
	v_mov_b32_dpp v32, v28 row_shr:1 row_mask:0xf bank_mask:0xf
	v_mov_b32_dpp v31, v29 row_shr:1 row_mask:0xf bank_mask:0xf
	v_lshl_add_u64 v[32:33], v[28:29], 0, v[32:33]
	v_lshl_add_u64 v[30:31], v[30:31], 0, v[32:33]
	v_cndmask_b32_e64 v33, v31, v29, s[14:15]
	v_cndmask_b32_e64 v32, v32, v28, s[14:15]
	v_cmp_ne_u32_e64 s[16:17], 1, v34
	v_mov_b32_dpp v33, v33 row_shr:2 row_mask:0xf bank_mask:0xf
	v_mov_b32_dpp v32, v32 row_shr:2 row_mask:0xf bank_mask:0xf
	v_cndmask_b32_e64 v32, 0, v32, s[16:17]
	v_cndmask_b32_e64 v33, 0, v33, s[16:17]
	v_lshl_add_u64 v[30:31], v[32:33], 0, v[30:31]
	v_cndmask_b32_e64 v29, v31, v29, s[14:15]
	v_cndmask_b32_e64 v28, v30, v28, s[14:15]
	ds_write_b64 v22, v[28:29]
.LBB112_18:
	s_or_b64 exec, exec, s[18:19]
	v_cmp_lt_u32_e64 s[14:15], 63, v0
	s_waitcnt lgkmcnt(0)
	s_barrier
                                        ; implicit-def: $vgpr28_vgpr29
	s_and_saveexec_b64 s[16:17], s[14:15]
	s_cbranch_execz .LBB112_20
; %bb.19:
	v_lshl_add_u32 v23, v23, 3, -8
	ds_read_b64 v[28:29], v23
	s_waitcnt lgkmcnt(0)
	v_lshl_add_u64 v[26:27], v[28:29], 0, v[26:27]
.LBB112_20:
	s_or_b64 exec, exec, s[16:17]
	v_add_u32_e32 v23, -1, v1
	v_and_b32_e32 v30, 64, v1
	s_load_dwordx2 s[14:15], s[0:1], 0x20
	v_cmp_lt_i32_e64 s[0:1], v23, v30
	s_nop 1
	v_cndmask_b32_e64 v1, v23, v1, s[0:1]
	v_lshlrev_b32_e32 v1, 2, v1
	ds_bpermute_b32 v23, v1, v26
	ds_bpermute_b32 v26, v1, v27
	v_mul_u32_u24_e32 v1, 40, v0
	v_cmp_ne_u32_e64 s[0:1], 0, v0
	s_and_saveexec_b64 s[16:17], s[0:1]
	s_cbranch_execz .LBB112_22
; %bb.21:
	s_waitcnt lgkmcnt(0)
	v_cndmask_b32_e64 v7, v26, v29, s[12:13]
	v_cndmask_b32_e64 v6, v23, v28, s[12:13]
	v_lshl_add_u64 v[2:3], v[6:7], 0, v[2:3]
	v_lshl_add_u64 v[24:25], v[2:3], 0, v[4:5]
	;; [unrolled: 1-line block ×6, first 2 shown]
	;;#ASMSTART
	;;#ASMEND
.LBB112_22:
	s_or_b64 exec, exec, s[16:17]
	v_add_u32_e32 v0, v22, v1
	v_mov_b32_e32 v4, v24
	v_mov_b32_e32 v5, v25
	s_waitcnt lgkmcnt(0)
	s_barrier
	ds_write_b128 v0, v[2:5]
	ds_write_b128 v0, v[10:13] offset:16
	ds_write_b128 v0, v[6:9] offset:32
	s_waitcnt lgkmcnt(0)
	s_barrier
	ds_read2st64_b64 v[4:7], v22 offset0:4 offset1:8
	ds_read2st64_b64 v[0:3], v22 offset0:12 offset1:16
	ds_read_b64 v[8:9], v22 offset:10240
	v_mov_b32_e32 v23, 0
	v_lshl_add_u64 v[10:11], s[14:15], 0, v[22:23]
	s_and_saveexec_b64 s[0:1], vcc
	s_cbranch_execnz .LBB112_29
; %bb.23:
	s_or_b64 exec, exec, s[0:1]
	s_and_saveexec_b64 s[0:1], s[10:11]
	s_cbranch_execnz .LBB112_30
.LBB112_24:
	s_or_b64 exec, exec, s[0:1]
	s_and_saveexec_b64 s[0:1], s[2:3]
	s_cbranch_execnz .LBB112_31
.LBB112_25:
	s_or_b64 exec, exec, s[0:1]
	s_and_saveexec_b64 s[0:1], s[4:5]
	s_cbranch_execnz .LBB112_32
.LBB112_26:
	s_or_b64 exec, exec, s[0:1]
	s_and_saveexec_b64 s[0:1], s[6:7]
	s_cbranch_execnz .LBB112_33
.LBB112_27:
	s_or_b64 exec, exec, s[0:1]
	s_and_saveexec_b64 s[0:1], s[8:9]
	s_cbranch_execnz .LBB112_34
.LBB112_28:
	s_endpgm
.LBB112_29:
	ds_read_b64 v[12:13], v22
	s_waitcnt lgkmcnt(0)
	global_store_dwordx2 v[10:11], v[12:13], off
	s_or_b64 exec, exec, s[0:1]
	s_and_saveexec_b64 s[0:1], s[10:11]
	s_cbranch_execz .LBB112_24
.LBB112_30:
	s_waitcnt lgkmcnt(2)
	global_store_dwordx2 v[10:11], v[4:5], off offset:2048
	s_or_b64 exec, exec, s[0:1]
	s_and_saveexec_b64 s[0:1], s[2:3]
	s_cbranch_execz .LBB112_25
.LBB112_31:
	s_waitcnt lgkmcnt(2)
	v_add_co_u32_e32 v4, vcc, 0x1000, v10
	s_nop 1
	v_addc_co_u32_e32 v5, vcc, 0, v11, vcc
	global_store_dwordx2 v[4:5], v[6:7], off
	s_or_b64 exec, exec, s[0:1]
	s_and_saveexec_b64 s[0:1], s[4:5]
	s_cbranch_execz .LBB112_26
.LBB112_32:
	s_waitcnt lgkmcnt(2)
	v_add_co_u32_e32 v4, vcc, 0x1000, v10
	s_nop 1
	v_addc_co_u32_e32 v5, vcc, 0, v11, vcc
	s_waitcnt lgkmcnt(1)
	global_store_dwordx2 v[4:5], v[0:1], off offset:2048
	s_or_b64 exec, exec, s[0:1]
	s_and_saveexec_b64 s[0:1], s[6:7]
	s_cbranch_execz .LBB112_27
.LBB112_33:
	s_waitcnt lgkmcnt(1)
	v_add_co_u32_e32 v0, vcc, 0x2000, v10
	s_nop 1
	v_addc_co_u32_e32 v1, vcc, 0, v11, vcc
	global_store_dwordx2 v[0:1], v[2:3], off
	s_or_b64 exec, exec, s[0:1]
	s_and_saveexec_b64 s[0:1], s[8:9]
	s_cbranch_execz .LBB112_28
.LBB112_34:
	s_waitcnt lgkmcnt(1)
	v_add_co_u32_e32 v0, vcc, 0x2000, v10
	s_nop 1
	v_addc_co_u32_e32 v1, vcc, 0, v11, vcc
	s_waitcnt lgkmcnt(0)
	global_store_dwordx2 v[0:1], v[8:9], off offset:2048
	s_endpgm
	.section	.rodata,"a",@progbits
	.p2align	6, 0x0
	.amdhsa_kernel _ZN7rocprim17ROCPRIM_400000_NS6detail17trampoline_kernelINS0_14default_configENS1_20scan_config_selectorIlEEZZNS1_9scan_implILNS1_25lookback_scan_determinismE0ELb0ELb0ES3_PlS8_lN6thrust23THRUST_200600_302600_NS4plusIvEElEEDaPvRmT3_T4_T5_mT6_P12ihipStream_tbENKUlT_T0_E_clISt17integral_constantIbLb1EESQ_EEDaSL_SM_EUlSL_E0_NS1_11comp_targetILNS1_3genE0ELNS1_11target_archE4294967295ELNS1_3gpuE0ELNS1_3repE0EEENS1_30default_config_static_selectorELNS0_4arch9wavefront6targetE1EEEvT1_
		.amdhsa_group_segment_fixed_size 12288
		.amdhsa_private_segment_fixed_size 0
		.amdhsa_kernarg_size 40
		.amdhsa_user_sgpr_count 2
		.amdhsa_user_sgpr_dispatch_ptr 0
		.amdhsa_user_sgpr_queue_ptr 0
		.amdhsa_user_sgpr_kernarg_segment_ptr 1
		.amdhsa_user_sgpr_dispatch_id 0
		.amdhsa_user_sgpr_kernarg_preload_length 0
		.amdhsa_user_sgpr_kernarg_preload_offset 0
		.amdhsa_user_sgpr_private_segment_size 0
		.amdhsa_uses_dynamic_stack 0
		.amdhsa_enable_private_segment 0
		.amdhsa_system_sgpr_workgroup_id_x 1
		.amdhsa_system_sgpr_workgroup_id_y 0
		.amdhsa_system_sgpr_workgroup_id_z 0
		.amdhsa_system_sgpr_workgroup_info 0
		.amdhsa_system_vgpr_workitem_id 0
		.amdhsa_next_free_vgpr 35
		.amdhsa_next_free_sgpr 20
		.amdhsa_accum_offset 36
		.amdhsa_reserve_vcc 1
		.amdhsa_float_round_mode_32 0
		.amdhsa_float_round_mode_16_64 0
		.amdhsa_float_denorm_mode_32 3
		.amdhsa_float_denorm_mode_16_64 3
		.amdhsa_dx10_clamp 1
		.amdhsa_ieee_mode 1
		.amdhsa_fp16_overflow 0
		.amdhsa_tg_split 0
		.amdhsa_exception_fp_ieee_invalid_op 0
		.amdhsa_exception_fp_denorm_src 0
		.amdhsa_exception_fp_ieee_div_zero 0
		.amdhsa_exception_fp_ieee_overflow 0
		.amdhsa_exception_fp_ieee_underflow 0
		.amdhsa_exception_fp_ieee_inexact 0
		.amdhsa_exception_int_div_zero 0
	.end_amdhsa_kernel
	.section	.text._ZN7rocprim17ROCPRIM_400000_NS6detail17trampoline_kernelINS0_14default_configENS1_20scan_config_selectorIlEEZZNS1_9scan_implILNS1_25lookback_scan_determinismE0ELb0ELb0ES3_PlS8_lN6thrust23THRUST_200600_302600_NS4plusIvEElEEDaPvRmT3_T4_T5_mT6_P12ihipStream_tbENKUlT_T0_E_clISt17integral_constantIbLb1EESQ_EEDaSL_SM_EUlSL_E0_NS1_11comp_targetILNS1_3genE0ELNS1_11target_archE4294967295ELNS1_3gpuE0ELNS1_3repE0EEENS1_30default_config_static_selectorELNS0_4arch9wavefront6targetE1EEEvT1_,"axG",@progbits,_ZN7rocprim17ROCPRIM_400000_NS6detail17trampoline_kernelINS0_14default_configENS1_20scan_config_selectorIlEEZZNS1_9scan_implILNS1_25lookback_scan_determinismE0ELb0ELb0ES3_PlS8_lN6thrust23THRUST_200600_302600_NS4plusIvEElEEDaPvRmT3_T4_T5_mT6_P12ihipStream_tbENKUlT_T0_E_clISt17integral_constantIbLb1EESQ_EEDaSL_SM_EUlSL_E0_NS1_11comp_targetILNS1_3genE0ELNS1_11target_archE4294967295ELNS1_3gpuE0ELNS1_3repE0EEENS1_30default_config_static_selectorELNS0_4arch9wavefront6targetE1EEEvT1_,comdat
.Lfunc_end112:
	.size	_ZN7rocprim17ROCPRIM_400000_NS6detail17trampoline_kernelINS0_14default_configENS1_20scan_config_selectorIlEEZZNS1_9scan_implILNS1_25lookback_scan_determinismE0ELb0ELb0ES3_PlS8_lN6thrust23THRUST_200600_302600_NS4plusIvEElEEDaPvRmT3_T4_T5_mT6_P12ihipStream_tbENKUlT_T0_E_clISt17integral_constantIbLb1EESQ_EEDaSL_SM_EUlSL_E0_NS1_11comp_targetILNS1_3genE0ELNS1_11target_archE4294967295ELNS1_3gpuE0ELNS1_3repE0EEENS1_30default_config_static_selectorELNS0_4arch9wavefront6targetE1EEEvT1_, .Lfunc_end112-_ZN7rocprim17ROCPRIM_400000_NS6detail17trampoline_kernelINS0_14default_configENS1_20scan_config_selectorIlEEZZNS1_9scan_implILNS1_25lookback_scan_determinismE0ELb0ELb0ES3_PlS8_lN6thrust23THRUST_200600_302600_NS4plusIvEElEEDaPvRmT3_T4_T5_mT6_P12ihipStream_tbENKUlT_T0_E_clISt17integral_constantIbLb1EESQ_EEDaSL_SM_EUlSL_E0_NS1_11comp_targetILNS1_3genE0ELNS1_11target_archE4294967295ELNS1_3gpuE0ELNS1_3repE0EEENS1_30default_config_static_selectorELNS0_4arch9wavefront6targetE1EEEvT1_
                                        ; -- End function
	.set _ZN7rocprim17ROCPRIM_400000_NS6detail17trampoline_kernelINS0_14default_configENS1_20scan_config_selectorIlEEZZNS1_9scan_implILNS1_25lookback_scan_determinismE0ELb0ELb0ES3_PlS8_lN6thrust23THRUST_200600_302600_NS4plusIvEElEEDaPvRmT3_T4_T5_mT6_P12ihipStream_tbENKUlT_T0_E_clISt17integral_constantIbLb1EESQ_EEDaSL_SM_EUlSL_E0_NS1_11comp_targetILNS1_3genE0ELNS1_11target_archE4294967295ELNS1_3gpuE0ELNS1_3repE0EEENS1_30default_config_static_selectorELNS0_4arch9wavefront6targetE1EEEvT1_.num_vgpr, 35
	.set _ZN7rocprim17ROCPRIM_400000_NS6detail17trampoline_kernelINS0_14default_configENS1_20scan_config_selectorIlEEZZNS1_9scan_implILNS1_25lookback_scan_determinismE0ELb0ELb0ES3_PlS8_lN6thrust23THRUST_200600_302600_NS4plusIvEElEEDaPvRmT3_T4_T5_mT6_P12ihipStream_tbENKUlT_T0_E_clISt17integral_constantIbLb1EESQ_EEDaSL_SM_EUlSL_E0_NS1_11comp_targetILNS1_3genE0ELNS1_11target_archE4294967295ELNS1_3gpuE0ELNS1_3repE0EEENS1_30default_config_static_selectorELNS0_4arch9wavefront6targetE1EEEvT1_.num_agpr, 0
	.set _ZN7rocprim17ROCPRIM_400000_NS6detail17trampoline_kernelINS0_14default_configENS1_20scan_config_selectorIlEEZZNS1_9scan_implILNS1_25lookback_scan_determinismE0ELb0ELb0ES3_PlS8_lN6thrust23THRUST_200600_302600_NS4plusIvEElEEDaPvRmT3_T4_T5_mT6_P12ihipStream_tbENKUlT_T0_E_clISt17integral_constantIbLb1EESQ_EEDaSL_SM_EUlSL_E0_NS1_11comp_targetILNS1_3genE0ELNS1_11target_archE4294967295ELNS1_3gpuE0ELNS1_3repE0EEENS1_30default_config_static_selectorELNS0_4arch9wavefront6targetE1EEEvT1_.numbered_sgpr, 20
	.set _ZN7rocprim17ROCPRIM_400000_NS6detail17trampoline_kernelINS0_14default_configENS1_20scan_config_selectorIlEEZZNS1_9scan_implILNS1_25lookback_scan_determinismE0ELb0ELb0ES3_PlS8_lN6thrust23THRUST_200600_302600_NS4plusIvEElEEDaPvRmT3_T4_T5_mT6_P12ihipStream_tbENKUlT_T0_E_clISt17integral_constantIbLb1EESQ_EEDaSL_SM_EUlSL_E0_NS1_11comp_targetILNS1_3genE0ELNS1_11target_archE4294967295ELNS1_3gpuE0ELNS1_3repE0EEENS1_30default_config_static_selectorELNS0_4arch9wavefront6targetE1EEEvT1_.num_named_barrier, 0
	.set _ZN7rocprim17ROCPRIM_400000_NS6detail17trampoline_kernelINS0_14default_configENS1_20scan_config_selectorIlEEZZNS1_9scan_implILNS1_25lookback_scan_determinismE0ELb0ELb0ES3_PlS8_lN6thrust23THRUST_200600_302600_NS4plusIvEElEEDaPvRmT3_T4_T5_mT6_P12ihipStream_tbENKUlT_T0_E_clISt17integral_constantIbLb1EESQ_EEDaSL_SM_EUlSL_E0_NS1_11comp_targetILNS1_3genE0ELNS1_11target_archE4294967295ELNS1_3gpuE0ELNS1_3repE0EEENS1_30default_config_static_selectorELNS0_4arch9wavefront6targetE1EEEvT1_.private_seg_size, 0
	.set _ZN7rocprim17ROCPRIM_400000_NS6detail17trampoline_kernelINS0_14default_configENS1_20scan_config_selectorIlEEZZNS1_9scan_implILNS1_25lookback_scan_determinismE0ELb0ELb0ES3_PlS8_lN6thrust23THRUST_200600_302600_NS4plusIvEElEEDaPvRmT3_T4_T5_mT6_P12ihipStream_tbENKUlT_T0_E_clISt17integral_constantIbLb1EESQ_EEDaSL_SM_EUlSL_E0_NS1_11comp_targetILNS1_3genE0ELNS1_11target_archE4294967295ELNS1_3gpuE0ELNS1_3repE0EEENS1_30default_config_static_selectorELNS0_4arch9wavefront6targetE1EEEvT1_.uses_vcc, 1
	.set _ZN7rocprim17ROCPRIM_400000_NS6detail17trampoline_kernelINS0_14default_configENS1_20scan_config_selectorIlEEZZNS1_9scan_implILNS1_25lookback_scan_determinismE0ELb0ELb0ES3_PlS8_lN6thrust23THRUST_200600_302600_NS4plusIvEElEEDaPvRmT3_T4_T5_mT6_P12ihipStream_tbENKUlT_T0_E_clISt17integral_constantIbLb1EESQ_EEDaSL_SM_EUlSL_E0_NS1_11comp_targetILNS1_3genE0ELNS1_11target_archE4294967295ELNS1_3gpuE0ELNS1_3repE0EEENS1_30default_config_static_selectorELNS0_4arch9wavefront6targetE1EEEvT1_.uses_flat_scratch, 0
	.set _ZN7rocprim17ROCPRIM_400000_NS6detail17trampoline_kernelINS0_14default_configENS1_20scan_config_selectorIlEEZZNS1_9scan_implILNS1_25lookback_scan_determinismE0ELb0ELb0ES3_PlS8_lN6thrust23THRUST_200600_302600_NS4plusIvEElEEDaPvRmT3_T4_T5_mT6_P12ihipStream_tbENKUlT_T0_E_clISt17integral_constantIbLb1EESQ_EEDaSL_SM_EUlSL_E0_NS1_11comp_targetILNS1_3genE0ELNS1_11target_archE4294967295ELNS1_3gpuE0ELNS1_3repE0EEENS1_30default_config_static_selectorELNS0_4arch9wavefront6targetE1EEEvT1_.has_dyn_sized_stack, 0
	.set _ZN7rocprim17ROCPRIM_400000_NS6detail17trampoline_kernelINS0_14default_configENS1_20scan_config_selectorIlEEZZNS1_9scan_implILNS1_25lookback_scan_determinismE0ELb0ELb0ES3_PlS8_lN6thrust23THRUST_200600_302600_NS4plusIvEElEEDaPvRmT3_T4_T5_mT6_P12ihipStream_tbENKUlT_T0_E_clISt17integral_constantIbLb1EESQ_EEDaSL_SM_EUlSL_E0_NS1_11comp_targetILNS1_3genE0ELNS1_11target_archE4294967295ELNS1_3gpuE0ELNS1_3repE0EEENS1_30default_config_static_selectorELNS0_4arch9wavefront6targetE1EEEvT1_.has_recursion, 0
	.set _ZN7rocprim17ROCPRIM_400000_NS6detail17trampoline_kernelINS0_14default_configENS1_20scan_config_selectorIlEEZZNS1_9scan_implILNS1_25lookback_scan_determinismE0ELb0ELb0ES3_PlS8_lN6thrust23THRUST_200600_302600_NS4plusIvEElEEDaPvRmT3_T4_T5_mT6_P12ihipStream_tbENKUlT_T0_E_clISt17integral_constantIbLb1EESQ_EEDaSL_SM_EUlSL_E0_NS1_11comp_targetILNS1_3genE0ELNS1_11target_archE4294967295ELNS1_3gpuE0ELNS1_3repE0EEENS1_30default_config_static_selectorELNS0_4arch9wavefront6targetE1EEEvT1_.has_indirect_call, 0
	.section	.AMDGPU.csdata,"",@progbits
; Kernel info:
; codeLenInByte = 1612
; TotalNumSgprs: 26
; NumVgprs: 35
; NumAgprs: 0
; TotalNumVgprs: 35
; ScratchSize: 0
; MemoryBound: 0
; FloatMode: 240
; IeeeMode: 1
; LDSByteSize: 12288 bytes/workgroup (compile time only)
; SGPRBlocks: 3
; VGPRBlocks: 4
; NumSGPRsForWavesPerEU: 26
; NumVGPRsForWavesPerEU: 35
; AccumOffset: 36
; Occupancy: 8
; WaveLimiterHint : 0
; COMPUTE_PGM_RSRC2:SCRATCH_EN: 0
; COMPUTE_PGM_RSRC2:USER_SGPR: 2
; COMPUTE_PGM_RSRC2:TRAP_HANDLER: 0
; COMPUTE_PGM_RSRC2:TGID_X_EN: 1
; COMPUTE_PGM_RSRC2:TGID_Y_EN: 0
; COMPUTE_PGM_RSRC2:TGID_Z_EN: 0
; COMPUTE_PGM_RSRC2:TIDIG_COMP_CNT: 0
; COMPUTE_PGM_RSRC3_GFX90A:ACCUM_OFFSET: 8
; COMPUTE_PGM_RSRC3_GFX90A:TG_SPLIT: 0
	.section	.text._ZN7rocprim17ROCPRIM_400000_NS6detail17trampoline_kernelINS0_14default_configENS1_20scan_config_selectorIlEEZZNS1_9scan_implILNS1_25lookback_scan_determinismE0ELb0ELb0ES3_PlS8_lN6thrust23THRUST_200600_302600_NS4plusIvEElEEDaPvRmT3_T4_T5_mT6_P12ihipStream_tbENKUlT_T0_E_clISt17integral_constantIbLb1EESQ_EEDaSL_SM_EUlSL_E0_NS1_11comp_targetILNS1_3genE5ELNS1_11target_archE942ELNS1_3gpuE9ELNS1_3repE0EEENS1_30default_config_static_selectorELNS0_4arch9wavefront6targetE1EEEvT1_,"axG",@progbits,_ZN7rocprim17ROCPRIM_400000_NS6detail17trampoline_kernelINS0_14default_configENS1_20scan_config_selectorIlEEZZNS1_9scan_implILNS1_25lookback_scan_determinismE0ELb0ELb0ES3_PlS8_lN6thrust23THRUST_200600_302600_NS4plusIvEElEEDaPvRmT3_T4_T5_mT6_P12ihipStream_tbENKUlT_T0_E_clISt17integral_constantIbLb1EESQ_EEDaSL_SM_EUlSL_E0_NS1_11comp_targetILNS1_3genE5ELNS1_11target_archE942ELNS1_3gpuE9ELNS1_3repE0EEENS1_30default_config_static_selectorELNS0_4arch9wavefront6targetE1EEEvT1_,comdat
	.protected	_ZN7rocprim17ROCPRIM_400000_NS6detail17trampoline_kernelINS0_14default_configENS1_20scan_config_selectorIlEEZZNS1_9scan_implILNS1_25lookback_scan_determinismE0ELb0ELb0ES3_PlS8_lN6thrust23THRUST_200600_302600_NS4plusIvEElEEDaPvRmT3_T4_T5_mT6_P12ihipStream_tbENKUlT_T0_E_clISt17integral_constantIbLb1EESQ_EEDaSL_SM_EUlSL_E0_NS1_11comp_targetILNS1_3genE5ELNS1_11target_archE942ELNS1_3gpuE9ELNS1_3repE0EEENS1_30default_config_static_selectorELNS0_4arch9wavefront6targetE1EEEvT1_ ; -- Begin function _ZN7rocprim17ROCPRIM_400000_NS6detail17trampoline_kernelINS0_14default_configENS1_20scan_config_selectorIlEEZZNS1_9scan_implILNS1_25lookback_scan_determinismE0ELb0ELb0ES3_PlS8_lN6thrust23THRUST_200600_302600_NS4plusIvEElEEDaPvRmT3_T4_T5_mT6_P12ihipStream_tbENKUlT_T0_E_clISt17integral_constantIbLb1EESQ_EEDaSL_SM_EUlSL_E0_NS1_11comp_targetILNS1_3genE5ELNS1_11target_archE942ELNS1_3gpuE9ELNS1_3repE0EEENS1_30default_config_static_selectorELNS0_4arch9wavefront6targetE1EEEvT1_
	.globl	_ZN7rocprim17ROCPRIM_400000_NS6detail17trampoline_kernelINS0_14default_configENS1_20scan_config_selectorIlEEZZNS1_9scan_implILNS1_25lookback_scan_determinismE0ELb0ELb0ES3_PlS8_lN6thrust23THRUST_200600_302600_NS4plusIvEElEEDaPvRmT3_T4_T5_mT6_P12ihipStream_tbENKUlT_T0_E_clISt17integral_constantIbLb1EESQ_EEDaSL_SM_EUlSL_E0_NS1_11comp_targetILNS1_3genE5ELNS1_11target_archE942ELNS1_3gpuE9ELNS1_3repE0EEENS1_30default_config_static_selectorELNS0_4arch9wavefront6targetE1EEEvT1_
	.p2align	8
	.type	_ZN7rocprim17ROCPRIM_400000_NS6detail17trampoline_kernelINS0_14default_configENS1_20scan_config_selectorIlEEZZNS1_9scan_implILNS1_25lookback_scan_determinismE0ELb0ELb0ES3_PlS8_lN6thrust23THRUST_200600_302600_NS4plusIvEElEEDaPvRmT3_T4_T5_mT6_P12ihipStream_tbENKUlT_T0_E_clISt17integral_constantIbLb1EESQ_EEDaSL_SM_EUlSL_E0_NS1_11comp_targetILNS1_3genE5ELNS1_11target_archE942ELNS1_3gpuE9ELNS1_3repE0EEENS1_30default_config_static_selectorELNS0_4arch9wavefront6targetE1EEEvT1_,@function
_ZN7rocprim17ROCPRIM_400000_NS6detail17trampoline_kernelINS0_14default_configENS1_20scan_config_selectorIlEEZZNS1_9scan_implILNS1_25lookback_scan_determinismE0ELb0ELb0ES3_PlS8_lN6thrust23THRUST_200600_302600_NS4plusIvEElEEDaPvRmT3_T4_T5_mT6_P12ihipStream_tbENKUlT_T0_E_clISt17integral_constantIbLb1EESQ_EEDaSL_SM_EUlSL_E0_NS1_11comp_targetILNS1_3genE5ELNS1_11target_archE942ELNS1_3gpuE9ELNS1_3repE0EEENS1_30default_config_static_selectorELNS0_4arch9wavefront6targetE1EEEvT1_: ; @_ZN7rocprim17ROCPRIM_400000_NS6detail17trampoline_kernelINS0_14default_configENS1_20scan_config_selectorIlEEZZNS1_9scan_implILNS1_25lookback_scan_determinismE0ELb0ELb0ES3_PlS8_lN6thrust23THRUST_200600_302600_NS4plusIvEElEEDaPvRmT3_T4_T5_mT6_P12ihipStream_tbENKUlT_T0_E_clISt17integral_constantIbLb1EESQ_EEDaSL_SM_EUlSL_E0_NS1_11comp_targetILNS1_3genE5ELNS1_11target_archE942ELNS1_3gpuE9ELNS1_3repE0EEENS1_30default_config_static_selectorELNS0_4arch9wavefront6targetE1EEEvT1_
; %bb.0:
	.section	.rodata,"a",@progbits
	.p2align	6, 0x0
	.amdhsa_kernel _ZN7rocprim17ROCPRIM_400000_NS6detail17trampoline_kernelINS0_14default_configENS1_20scan_config_selectorIlEEZZNS1_9scan_implILNS1_25lookback_scan_determinismE0ELb0ELb0ES3_PlS8_lN6thrust23THRUST_200600_302600_NS4plusIvEElEEDaPvRmT3_T4_T5_mT6_P12ihipStream_tbENKUlT_T0_E_clISt17integral_constantIbLb1EESQ_EEDaSL_SM_EUlSL_E0_NS1_11comp_targetILNS1_3genE5ELNS1_11target_archE942ELNS1_3gpuE9ELNS1_3repE0EEENS1_30default_config_static_selectorELNS0_4arch9wavefront6targetE1EEEvT1_
		.amdhsa_group_segment_fixed_size 0
		.amdhsa_private_segment_fixed_size 0
		.amdhsa_kernarg_size 40
		.amdhsa_user_sgpr_count 2
		.amdhsa_user_sgpr_dispatch_ptr 0
		.amdhsa_user_sgpr_queue_ptr 0
		.amdhsa_user_sgpr_kernarg_segment_ptr 1
		.amdhsa_user_sgpr_dispatch_id 0
		.amdhsa_user_sgpr_kernarg_preload_length 0
		.amdhsa_user_sgpr_kernarg_preload_offset 0
		.amdhsa_user_sgpr_private_segment_size 0
		.amdhsa_uses_dynamic_stack 0
		.amdhsa_enable_private_segment 0
		.amdhsa_system_sgpr_workgroup_id_x 1
		.amdhsa_system_sgpr_workgroup_id_y 0
		.amdhsa_system_sgpr_workgroup_id_z 0
		.amdhsa_system_sgpr_workgroup_info 0
		.amdhsa_system_vgpr_workitem_id 0
		.amdhsa_next_free_vgpr 1
		.amdhsa_next_free_sgpr 0
		.amdhsa_accum_offset 4
		.amdhsa_reserve_vcc 0
		.amdhsa_float_round_mode_32 0
		.amdhsa_float_round_mode_16_64 0
		.amdhsa_float_denorm_mode_32 3
		.amdhsa_float_denorm_mode_16_64 3
		.amdhsa_dx10_clamp 1
		.amdhsa_ieee_mode 1
		.amdhsa_fp16_overflow 0
		.amdhsa_tg_split 0
		.amdhsa_exception_fp_ieee_invalid_op 0
		.amdhsa_exception_fp_denorm_src 0
		.amdhsa_exception_fp_ieee_div_zero 0
		.amdhsa_exception_fp_ieee_overflow 0
		.amdhsa_exception_fp_ieee_underflow 0
		.amdhsa_exception_fp_ieee_inexact 0
		.amdhsa_exception_int_div_zero 0
	.end_amdhsa_kernel
	.section	.text._ZN7rocprim17ROCPRIM_400000_NS6detail17trampoline_kernelINS0_14default_configENS1_20scan_config_selectorIlEEZZNS1_9scan_implILNS1_25lookback_scan_determinismE0ELb0ELb0ES3_PlS8_lN6thrust23THRUST_200600_302600_NS4plusIvEElEEDaPvRmT3_T4_T5_mT6_P12ihipStream_tbENKUlT_T0_E_clISt17integral_constantIbLb1EESQ_EEDaSL_SM_EUlSL_E0_NS1_11comp_targetILNS1_3genE5ELNS1_11target_archE942ELNS1_3gpuE9ELNS1_3repE0EEENS1_30default_config_static_selectorELNS0_4arch9wavefront6targetE1EEEvT1_,"axG",@progbits,_ZN7rocprim17ROCPRIM_400000_NS6detail17trampoline_kernelINS0_14default_configENS1_20scan_config_selectorIlEEZZNS1_9scan_implILNS1_25lookback_scan_determinismE0ELb0ELb0ES3_PlS8_lN6thrust23THRUST_200600_302600_NS4plusIvEElEEDaPvRmT3_T4_T5_mT6_P12ihipStream_tbENKUlT_T0_E_clISt17integral_constantIbLb1EESQ_EEDaSL_SM_EUlSL_E0_NS1_11comp_targetILNS1_3genE5ELNS1_11target_archE942ELNS1_3gpuE9ELNS1_3repE0EEENS1_30default_config_static_selectorELNS0_4arch9wavefront6targetE1EEEvT1_,comdat
.Lfunc_end113:
	.size	_ZN7rocprim17ROCPRIM_400000_NS6detail17trampoline_kernelINS0_14default_configENS1_20scan_config_selectorIlEEZZNS1_9scan_implILNS1_25lookback_scan_determinismE0ELb0ELb0ES3_PlS8_lN6thrust23THRUST_200600_302600_NS4plusIvEElEEDaPvRmT3_T4_T5_mT6_P12ihipStream_tbENKUlT_T0_E_clISt17integral_constantIbLb1EESQ_EEDaSL_SM_EUlSL_E0_NS1_11comp_targetILNS1_3genE5ELNS1_11target_archE942ELNS1_3gpuE9ELNS1_3repE0EEENS1_30default_config_static_selectorELNS0_4arch9wavefront6targetE1EEEvT1_, .Lfunc_end113-_ZN7rocprim17ROCPRIM_400000_NS6detail17trampoline_kernelINS0_14default_configENS1_20scan_config_selectorIlEEZZNS1_9scan_implILNS1_25lookback_scan_determinismE0ELb0ELb0ES3_PlS8_lN6thrust23THRUST_200600_302600_NS4plusIvEElEEDaPvRmT3_T4_T5_mT6_P12ihipStream_tbENKUlT_T0_E_clISt17integral_constantIbLb1EESQ_EEDaSL_SM_EUlSL_E0_NS1_11comp_targetILNS1_3genE5ELNS1_11target_archE942ELNS1_3gpuE9ELNS1_3repE0EEENS1_30default_config_static_selectorELNS0_4arch9wavefront6targetE1EEEvT1_
                                        ; -- End function
	.set _ZN7rocprim17ROCPRIM_400000_NS6detail17trampoline_kernelINS0_14default_configENS1_20scan_config_selectorIlEEZZNS1_9scan_implILNS1_25lookback_scan_determinismE0ELb0ELb0ES3_PlS8_lN6thrust23THRUST_200600_302600_NS4plusIvEElEEDaPvRmT3_T4_T5_mT6_P12ihipStream_tbENKUlT_T0_E_clISt17integral_constantIbLb1EESQ_EEDaSL_SM_EUlSL_E0_NS1_11comp_targetILNS1_3genE5ELNS1_11target_archE942ELNS1_3gpuE9ELNS1_3repE0EEENS1_30default_config_static_selectorELNS0_4arch9wavefront6targetE1EEEvT1_.num_vgpr, 0
	.set _ZN7rocprim17ROCPRIM_400000_NS6detail17trampoline_kernelINS0_14default_configENS1_20scan_config_selectorIlEEZZNS1_9scan_implILNS1_25lookback_scan_determinismE0ELb0ELb0ES3_PlS8_lN6thrust23THRUST_200600_302600_NS4plusIvEElEEDaPvRmT3_T4_T5_mT6_P12ihipStream_tbENKUlT_T0_E_clISt17integral_constantIbLb1EESQ_EEDaSL_SM_EUlSL_E0_NS1_11comp_targetILNS1_3genE5ELNS1_11target_archE942ELNS1_3gpuE9ELNS1_3repE0EEENS1_30default_config_static_selectorELNS0_4arch9wavefront6targetE1EEEvT1_.num_agpr, 0
	.set _ZN7rocprim17ROCPRIM_400000_NS6detail17trampoline_kernelINS0_14default_configENS1_20scan_config_selectorIlEEZZNS1_9scan_implILNS1_25lookback_scan_determinismE0ELb0ELb0ES3_PlS8_lN6thrust23THRUST_200600_302600_NS4plusIvEElEEDaPvRmT3_T4_T5_mT6_P12ihipStream_tbENKUlT_T0_E_clISt17integral_constantIbLb1EESQ_EEDaSL_SM_EUlSL_E0_NS1_11comp_targetILNS1_3genE5ELNS1_11target_archE942ELNS1_3gpuE9ELNS1_3repE0EEENS1_30default_config_static_selectorELNS0_4arch9wavefront6targetE1EEEvT1_.numbered_sgpr, 0
	.set _ZN7rocprim17ROCPRIM_400000_NS6detail17trampoline_kernelINS0_14default_configENS1_20scan_config_selectorIlEEZZNS1_9scan_implILNS1_25lookback_scan_determinismE0ELb0ELb0ES3_PlS8_lN6thrust23THRUST_200600_302600_NS4plusIvEElEEDaPvRmT3_T4_T5_mT6_P12ihipStream_tbENKUlT_T0_E_clISt17integral_constantIbLb1EESQ_EEDaSL_SM_EUlSL_E0_NS1_11comp_targetILNS1_3genE5ELNS1_11target_archE942ELNS1_3gpuE9ELNS1_3repE0EEENS1_30default_config_static_selectorELNS0_4arch9wavefront6targetE1EEEvT1_.num_named_barrier, 0
	.set _ZN7rocprim17ROCPRIM_400000_NS6detail17trampoline_kernelINS0_14default_configENS1_20scan_config_selectorIlEEZZNS1_9scan_implILNS1_25lookback_scan_determinismE0ELb0ELb0ES3_PlS8_lN6thrust23THRUST_200600_302600_NS4plusIvEElEEDaPvRmT3_T4_T5_mT6_P12ihipStream_tbENKUlT_T0_E_clISt17integral_constantIbLb1EESQ_EEDaSL_SM_EUlSL_E0_NS1_11comp_targetILNS1_3genE5ELNS1_11target_archE942ELNS1_3gpuE9ELNS1_3repE0EEENS1_30default_config_static_selectorELNS0_4arch9wavefront6targetE1EEEvT1_.private_seg_size, 0
	.set _ZN7rocprim17ROCPRIM_400000_NS6detail17trampoline_kernelINS0_14default_configENS1_20scan_config_selectorIlEEZZNS1_9scan_implILNS1_25lookback_scan_determinismE0ELb0ELb0ES3_PlS8_lN6thrust23THRUST_200600_302600_NS4plusIvEElEEDaPvRmT3_T4_T5_mT6_P12ihipStream_tbENKUlT_T0_E_clISt17integral_constantIbLb1EESQ_EEDaSL_SM_EUlSL_E0_NS1_11comp_targetILNS1_3genE5ELNS1_11target_archE942ELNS1_3gpuE9ELNS1_3repE0EEENS1_30default_config_static_selectorELNS0_4arch9wavefront6targetE1EEEvT1_.uses_vcc, 0
	.set _ZN7rocprim17ROCPRIM_400000_NS6detail17trampoline_kernelINS0_14default_configENS1_20scan_config_selectorIlEEZZNS1_9scan_implILNS1_25lookback_scan_determinismE0ELb0ELb0ES3_PlS8_lN6thrust23THRUST_200600_302600_NS4plusIvEElEEDaPvRmT3_T4_T5_mT6_P12ihipStream_tbENKUlT_T0_E_clISt17integral_constantIbLb1EESQ_EEDaSL_SM_EUlSL_E0_NS1_11comp_targetILNS1_3genE5ELNS1_11target_archE942ELNS1_3gpuE9ELNS1_3repE0EEENS1_30default_config_static_selectorELNS0_4arch9wavefront6targetE1EEEvT1_.uses_flat_scratch, 0
	.set _ZN7rocprim17ROCPRIM_400000_NS6detail17trampoline_kernelINS0_14default_configENS1_20scan_config_selectorIlEEZZNS1_9scan_implILNS1_25lookback_scan_determinismE0ELb0ELb0ES3_PlS8_lN6thrust23THRUST_200600_302600_NS4plusIvEElEEDaPvRmT3_T4_T5_mT6_P12ihipStream_tbENKUlT_T0_E_clISt17integral_constantIbLb1EESQ_EEDaSL_SM_EUlSL_E0_NS1_11comp_targetILNS1_3genE5ELNS1_11target_archE942ELNS1_3gpuE9ELNS1_3repE0EEENS1_30default_config_static_selectorELNS0_4arch9wavefront6targetE1EEEvT1_.has_dyn_sized_stack, 0
	.set _ZN7rocprim17ROCPRIM_400000_NS6detail17trampoline_kernelINS0_14default_configENS1_20scan_config_selectorIlEEZZNS1_9scan_implILNS1_25lookback_scan_determinismE0ELb0ELb0ES3_PlS8_lN6thrust23THRUST_200600_302600_NS4plusIvEElEEDaPvRmT3_T4_T5_mT6_P12ihipStream_tbENKUlT_T0_E_clISt17integral_constantIbLb1EESQ_EEDaSL_SM_EUlSL_E0_NS1_11comp_targetILNS1_3genE5ELNS1_11target_archE942ELNS1_3gpuE9ELNS1_3repE0EEENS1_30default_config_static_selectorELNS0_4arch9wavefront6targetE1EEEvT1_.has_recursion, 0
	.set _ZN7rocprim17ROCPRIM_400000_NS6detail17trampoline_kernelINS0_14default_configENS1_20scan_config_selectorIlEEZZNS1_9scan_implILNS1_25lookback_scan_determinismE0ELb0ELb0ES3_PlS8_lN6thrust23THRUST_200600_302600_NS4plusIvEElEEDaPvRmT3_T4_T5_mT6_P12ihipStream_tbENKUlT_T0_E_clISt17integral_constantIbLb1EESQ_EEDaSL_SM_EUlSL_E0_NS1_11comp_targetILNS1_3genE5ELNS1_11target_archE942ELNS1_3gpuE9ELNS1_3repE0EEENS1_30default_config_static_selectorELNS0_4arch9wavefront6targetE1EEEvT1_.has_indirect_call, 0
	.section	.AMDGPU.csdata,"",@progbits
; Kernel info:
; codeLenInByte = 0
; TotalNumSgprs: 6
; NumVgprs: 0
; NumAgprs: 0
; TotalNumVgprs: 0
; ScratchSize: 0
; MemoryBound: 0
; FloatMode: 240
; IeeeMode: 1
; LDSByteSize: 0 bytes/workgroup (compile time only)
; SGPRBlocks: 0
; VGPRBlocks: 0
; NumSGPRsForWavesPerEU: 6
; NumVGPRsForWavesPerEU: 1
; AccumOffset: 4
; Occupancy: 8
; WaveLimiterHint : 0
; COMPUTE_PGM_RSRC2:SCRATCH_EN: 0
; COMPUTE_PGM_RSRC2:USER_SGPR: 2
; COMPUTE_PGM_RSRC2:TRAP_HANDLER: 0
; COMPUTE_PGM_RSRC2:TGID_X_EN: 1
; COMPUTE_PGM_RSRC2:TGID_Y_EN: 0
; COMPUTE_PGM_RSRC2:TGID_Z_EN: 0
; COMPUTE_PGM_RSRC2:TIDIG_COMP_CNT: 0
; COMPUTE_PGM_RSRC3_GFX90A:ACCUM_OFFSET: 0
; COMPUTE_PGM_RSRC3_GFX90A:TG_SPLIT: 0
	.section	.text._ZN7rocprim17ROCPRIM_400000_NS6detail17trampoline_kernelINS0_14default_configENS1_20scan_config_selectorIlEEZZNS1_9scan_implILNS1_25lookback_scan_determinismE0ELb0ELb0ES3_PlS8_lN6thrust23THRUST_200600_302600_NS4plusIvEElEEDaPvRmT3_T4_T5_mT6_P12ihipStream_tbENKUlT_T0_E_clISt17integral_constantIbLb1EESQ_EEDaSL_SM_EUlSL_E0_NS1_11comp_targetILNS1_3genE4ELNS1_11target_archE910ELNS1_3gpuE8ELNS1_3repE0EEENS1_30default_config_static_selectorELNS0_4arch9wavefront6targetE1EEEvT1_,"axG",@progbits,_ZN7rocprim17ROCPRIM_400000_NS6detail17trampoline_kernelINS0_14default_configENS1_20scan_config_selectorIlEEZZNS1_9scan_implILNS1_25lookback_scan_determinismE0ELb0ELb0ES3_PlS8_lN6thrust23THRUST_200600_302600_NS4plusIvEElEEDaPvRmT3_T4_T5_mT6_P12ihipStream_tbENKUlT_T0_E_clISt17integral_constantIbLb1EESQ_EEDaSL_SM_EUlSL_E0_NS1_11comp_targetILNS1_3genE4ELNS1_11target_archE910ELNS1_3gpuE8ELNS1_3repE0EEENS1_30default_config_static_selectorELNS0_4arch9wavefront6targetE1EEEvT1_,comdat
	.protected	_ZN7rocprim17ROCPRIM_400000_NS6detail17trampoline_kernelINS0_14default_configENS1_20scan_config_selectorIlEEZZNS1_9scan_implILNS1_25lookback_scan_determinismE0ELb0ELb0ES3_PlS8_lN6thrust23THRUST_200600_302600_NS4plusIvEElEEDaPvRmT3_T4_T5_mT6_P12ihipStream_tbENKUlT_T0_E_clISt17integral_constantIbLb1EESQ_EEDaSL_SM_EUlSL_E0_NS1_11comp_targetILNS1_3genE4ELNS1_11target_archE910ELNS1_3gpuE8ELNS1_3repE0EEENS1_30default_config_static_selectorELNS0_4arch9wavefront6targetE1EEEvT1_ ; -- Begin function _ZN7rocprim17ROCPRIM_400000_NS6detail17trampoline_kernelINS0_14default_configENS1_20scan_config_selectorIlEEZZNS1_9scan_implILNS1_25lookback_scan_determinismE0ELb0ELb0ES3_PlS8_lN6thrust23THRUST_200600_302600_NS4plusIvEElEEDaPvRmT3_T4_T5_mT6_P12ihipStream_tbENKUlT_T0_E_clISt17integral_constantIbLb1EESQ_EEDaSL_SM_EUlSL_E0_NS1_11comp_targetILNS1_3genE4ELNS1_11target_archE910ELNS1_3gpuE8ELNS1_3repE0EEENS1_30default_config_static_selectorELNS0_4arch9wavefront6targetE1EEEvT1_
	.globl	_ZN7rocprim17ROCPRIM_400000_NS6detail17trampoline_kernelINS0_14default_configENS1_20scan_config_selectorIlEEZZNS1_9scan_implILNS1_25lookback_scan_determinismE0ELb0ELb0ES3_PlS8_lN6thrust23THRUST_200600_302600_NS4plusIvEElEEDaPvRmT3_T4_T5_mT6_P12ihipStream_tbENKUlT_T0_E_clISt17integral_constantIbLb1EESQ_EEDaSL_SM_EUlSL_E0_NS1_11comp_targetILNS1_3genE4ELNS1_11target_archE910ELNS1_3gpuE8ELNS1_3repE0EEENS1_30default_config_static_selectorELNS0_4arch9wavefront6targetE1EEEvT1_
	.p2align	8
	.type	_ZN7rocprim17ROCPRIM_400000_NS6detail17trampoline_kernelINS0_14default_configENS1_20scan_config_selectorIlEEZZNS1_9scan_implILNS1_25lookback_scan_determinismE0ELb0ELb0ES3_PlS8_lN6thrust23THRUST_200600_302600_NS4plusIvEElEEDaPvRmT3_T4_T5_mT6_P12ihipStream_tbENKUlT_T0_E_clISt17integral_constantIbLb1EESQ_EEDaSL_SM_EUlSL_E0_NS1_11comp_targetILNS1_3genE4ELNS1_11target_archE910ELNS1_3gpuE8ELNS1_3repE0EEENS1_30default_config_static_selectorELNS0_4arch9wavefront6targetE1EEEvT1_,@function
_ZN7rocprim17ROCPRIM_400000_NS6detail17trampoline_kernelINS0_14default_configENS1_20scan_config_selectorIlEEZZNS1_9scan_implILNS1_25lookback_scan_determinismE0ELb0ELb0ES3_PlS8_lN6thrust23THRUST_200600_302600_NS4plusIvEElEEDaPvRmT3_T4_T5_mT6_P12ihipStream_tbENKUlT_T0_E_clISt17integral_constantIbLb1EESQ_EEDaSL_SM_EUlSL_E0_NS1_11comp_targetILNS1_3genE4ELNS1_11target_archE910ELNS1_3gpuE8ELNS1_3repE0EEENS1_30default_config_static_selectorELNS0_4arch9wavefront6targetE1EEEvT1_: ; @_ZN7rocprim17ROCPRIM_400000_NS6detail17trampoline_kernelINS0_14default_configENS1_20scan_config_selectorIlEEZZNS1_9scan_implILNS1_25lookback_scan_determinismE0ELb0ELb0ES3_PlS8_lN6thrust23THRUST_200600_302600_NS4plusIvEElEEDaPvRmT3_T4_T5_mT6_P12ihipStream_tbENKUlT_T0_E_clISt17integral_constantIbLb1EESQ_EEDaSL_SM_EUlSL_E0_NS1_11comp_targetILNS1_3genE4ELNS1_11target_archE910ELNS1_3gpuE8ELNS1_3repE0EEENS1_30default_config_static_selectorELNS0_4arch9wavefront6targetE1EEEvT1_
; %bb.0:
	.section	.rodata,"a",@progbits
	.p2align	6, 0x0
	.amdhsa_kernel _ZN7rocprim17ROCPRIM_400000_NS6detail17trampoline_kernelINS0_14default_configENS1_20scan_config_selectorIlEEZZNS1_9scan_implILNS1_25lookback_scan_determinismE0ELb0ELb0ES3_PlS8_lN6thrust23THRUST_200600_302600_NS4plusIvEElEEDaPvRmT3_T4_T5_mT6_P12ihipStream_tbENKUlT_T0_E_clISt17integral_constantIbLb1EESQ_EEDaSL_SM_EUlSL_E0_NS1_11comp_targetILNS1_3genE4ELNS1_11target_archE910ELNS1_3gpuE8ELNS1_3repE0EEENS1_30default_config_static_selectorELNS0_4arch9wavefront6targetE1EEEvT1_
		.amdhsa_group_segment_fixed_size 0
		.amdhsa_private_segment_fixed_size 0
		.amdhsa_kernarg_size 40
		.amdhsa_user_sgpr_count 2
		.amdhsa_user_sgpr_dispatch_ptr 0
		.amdhsa_user_sgpr_queue_ptr 0
		.amdhsa_user_sgpr_kernarg_segment_ptr 1
		.amdhsa_user_sgpr_dispatch_id 0
		.amdhsa_user_sgpr_kernarg_preload_length 0
		.amdhsa_user_sgpr_kernarg_preload_offset 0
		.amdhsa_user_sgpr_private_segment_size 0
		.amdhsa_uses_dynamic_stack 0
		.amdhsa_enable_private_segment 0
		.amdhsa_system_sgpr_workgroup_id_x 1
		.amdhsa_system_sgpr_workgroup_id_y 0
		.amdhsa_system_sgpr_workgroup_id_z 0
		.amdhsa_system_sgpr_workgroup_info 0
		.amdhsa_system_vgpr_workitem_id 0
		.amdhsa_next_free_vgpr 1
		.amdhsa_next_free_sgpr 0
		.amdhsa_accum_offset 4
		.amdhsa_reserve_vcc 0
		.amdhsa_float_round_mode_32 0
		.amdhsa_float_round_mode_16_64 0
		.amdhsa_float_denorm_mode_32 3
		.amdhsa_float_denorm_mode_16_64 3
		.amdhsa_dx10_clamp 1
		.amdhsa_ieee_mode 1
		.amdhsa_fp16_overflow 0
		.amdhsa_tg_split 0
		.amdhsa_exception_fp_ieee_invalid_op 0
		.amdhsa_exception_fp_denorm_src 0
		.amdhsa_exception_fp_ieee_div_zero 0
		.amdhsa_exception_fp_ieee_overflow 0
		.amdhsa_exception_fp_ieee_underflow 0
		.amdhsa_exception_fp_ieee_inexact 0
		.amdhsa_exception_int_div_zero 0
	.end_amdhsa_kernel
	.section	.text._ZN7rocprim17ROCPRIM_400000_NS6detail17trampoline_kernelINS0_14default_configENS1_20scan_config_selectorIlEEZZNS1_9scan_implILNS1_25lookback_scan_determinismE0ELb0ELb0ES3_PlS8_lN6thrust23THRUST_200600_302600_NS4plusIvEElEEDaPvRmT3_T4_T5_mT6_P12ihipStream_tbENKUlT_T0_E_clISt17integral_constantIbLb1EESQ_EEDaSL_SM_EUlSL_E0_NS1_11comp_targetILNS1_3genE4ELNS1_11target_archE910ELNS1_3gpuE8ELNS1_3repE0EEENS1_30default_config_static_selectorELNS0_4arch9wavefront6targetE1EEEvT1_,"axG",@progbits,_ZN7rocprim17ROCPRIM_400000_NS6detail17trampoline_kernelINS0_14default_configENS1_20scan_config_selectorIlEEZZNS1_9scan_implILNS1_25lookback_scan_determinismE0ELb0ELb0ES3_PlS8_lN6thrust23THRUST_200600_302600_NS4plusIvEElEEDaPvRmT3_T4_T5_mT6_P12ihipStream_tbENKUlT_T0_E_clISt17integral_constantIbLb1EESQ_EEDaSL_SM_EUlSL_E0_NS1_11comp_targetILNS1_3genE4ELNS1_11target_archE910ELNS1_3gpuE8ELNS1_3repE0EEENS1_30default_config_static_selectorELNS0_4arch9wavefront6targetE1EEEvT1_,comdat
.Lfunc_end114:
	.size	_ZN7rocprim17ROCPRIM_400000_NS6detail17trampoline_kernelINS0_14default_configENS1_20scan_config_selectorIlEEZZNS1_9scan_implILNS1_25lookback_scan_determinismE0ELb0ELb0ES3_PlS8_lN6thrust23THRUST_200600_302600_NS4plusIvEElEEDaPvRmT3_T4_T5_mT6_P12ihipStream_tbENKUlT_T0_E_clISt17integral_constantIbLb1EESQ_EEDaSL_SM_EUlSL_E0_NS1_11comp_targetILNS1_3genE4ELNS1_11target_archE910ELNS1_3gpuE8ELNS1_3repE0EEENS1_30default_config_static_selectorELNS0_4arch9wavefront6targetE1EEEvT1_, .Lfunc_end114-_ZN7rocprim17ROCPRIM_400000_NS6detail17trampoline_kernelINS0_14default_configENS1_20scan_config_selectorIlEEZZNS1_9scan_implILNS1_25lookback_scan_determinismE0ELb0ELb0ES3_PlS8_lN6thrust23THRUST_200600_302600_NS4plusIvEElEEDaPvRmT3_T4_T5_mT6_P12ihipStream_tbENKUlT_T0_E_clISt17integral_constantIbLb1EESQ_EEDaSL_SM_EUlSL_E0_NS1_11comp_targetILNS1_3genE4ELNS1_11target_archE910ELNS1_3gpuE8ELNS1_3repE0EEENS1_30default_config_static_selectorELNS0_4arch9wavefront6targetE1EEEvT1_
                                        ; -- End function
	.set _ZN7rocprim17ROCPRIM_400000_NS6detail17trampoline_kernelINS0_14default_configENS1_20scan_config_selectorIlEEZZNS1_9scan_implILNS1_25lookback_scan_determinismE0ELb0ELb0ES3_PlS8_lN6thrust23THRUST_200600_302600_NS4plusIvEElEEDaPvRmT3_T4_T5_mT6_P12ihipStream_tbENKUlT_T0_E_clISt17integral_constantIbLb1EESQ_EEDaSL_SM_EUlSL_E0_NS1_11comp_targetILNS1_3genE4ELNS1_11target_archE910ELNS1_3gpuE8ELNS1_3repE0EEENS1_30default_config_static_selectorELNS0_4arch9wavefront6targetE1EEEvT1_.num_vgpr, 0
	.set _ZN7rocprim17ROCPRIM_400000_NS6detail17trampoline_kernelINS0_14default_configENS1_20scan_config_selectorIlEEZZNS1_9scan_implILNS1_25lookback_scan_determinismE0ELb0ELb0ES3_PlS8_lN6thrust23THRUST_200600_302600_NS4plusIvEElEEDaPvRmT3_T4_T5_mT6_P12ihipStream_tbENKUlT_T0_E_clISt17integral_constantIbLb1EESQ_EEDaSL_SM_EUlSL_E0_NS1_11comp_targetILNS1_3genE4ELNS1_11target_archE910ELNS1_3gpuE8ELNS1_3repE0EEENS1_30default_config_static_selectorELNS0_4arch9wavefront6targetE1EEEvT1_.num_agpr, 0
	.set _ZN7rocprim17ROCPRIM_400000_NS6detail17trampoline_kernelINS0_14default_configENS1_20scan_config_selectorIlEEZZNS1_9scan_implILNS1_25lookback_scan_determinismE0ELb0ELb0ES3_PlS8_lN6thrust23THRUST_200600_302600_NS4plusIvEElEEDaPvRmT3_T4_T5_mT6_P12ihipStream_tbENKUlT_T0_E_clISt17integral_constantIbLb1EESQ_EEDaSL_SM_EUlSL_E0_NS1_11comp_targetILNS1_3genE4ELNS1_11target_archE910ELNS1_3gpuE8ELNS1_3repE0EEENS1_30default_config_static_selectorELNS0_4arch9wavefront6targetE1EEEvT1_.numbered_sgpr, 0
	.set _ZN7rocprim17ROCPRIM_400000_NS6detail17trampoline_kernelINS0_14default_configENS1_20scan_config_selectorIlEEZZNS1_9scan_implILNS1_25lookback_scan_determinismE0ELb0ELb0ES3_PlS8_lN6thrust23THRUST_200600_302600_NS4plusIvEElEEDaPvRmT3_T4_T5_mT6_P12ihipStream_tbENKUlT_T0_E_clISt17integral_constantIbLb1EESQ_EEDaSL_SM_EUlSL_E0_NS1_11comp_targetILNS1_3genE4ELNS1_11target_archE910ELNS1_3gpuE8ELNS1_3repE0EEENS1_30default_config_static_selectorELNS0_4arch9wavefront6targetE1EEEvT1_.num_named_barrier, 0
	.set _ZN7rocprim17ROCPRIM_400000_NS6detail17trampoline_kernelINS0_14default_configENS1_20scan_config_selectorIlEEZZNS1_9scan_implILNS1_25lookback_scan_determinismE0ELb0ELb0ES3_PlS8_lN6thrust23THRUST_200600_302600_NS4plusIvEElEEDaPvRmT3_T4_T5_mT6_P12ihipStream_tbENKUlT_T0_E_clISt17integral_constantIbLb1EESQ_EEDaSL_SM_EUlSL_E0_NS1_11comp_targetILNS1_3genE4ELNS1_11target_archE910ELNS1_3gpuE8ELNS1_3repE0EEENS1_30default_config_static_selectorELNS0_4arch9wavefront6targetE1EEEvT1_.private_seg_size, 0
	.set _ZN7rocprim17ROCPRIM_400000_NS6detail17trampoline_kernelINS0_14default_configENS1_20scan_config_selectorIlEEZZNS1_9scan_implILNS1_25lookback_scan_determinismE0ELb0ELb0ES3_PlS8_lN6thrust23THRUST_200600_302600_NS4plusIvEElEEDaPvRmT3_T4_T5_mT6_P12ihipStream_tbENKUlT_T0_E_clISt17integral_constantIbLb1EESQ_EEDaSL_SM_EUlSL_E0_NS1_11comp_targetILNS1_3genE4ELNS1_11target_archE910ELNS1_3gpuE8ELNS1_3repE0EEENS1_30default_config_static_selectorELNS0_4arch9wavefront6targetE1EEEvT1_.uses_vcc, 0
	.set _ZN7rocprim17ROCPRIM_400000_NS6detail17trampoline_kernelINS0_14default_configENS1_20scan_config_selectorIlEEZZNS1_9scan_implILNS1_25lookback_scan_determinismE0ELb0ELb0ES3_PlS8_lN6thrust23THRUST_200600_302600_NS4plusIvEElEEDaPvRmT3_T4_T5_mT6_P12ihipStream_tbENKUlT_T0_E_clISt17integral_constantIbLb1EESQ_EEDaSL_SM_EUlSL_E0_NS1_11comp_targetILNS1_3genE4ELNS1_11target_archE910ELNS1_3gpuE8ELNS1_3repE0EEENS1_30default_config_static_selectorELNS0_4arch9wavefront6targetE1EEEvT1_.uses_flat_scratch, 0
	.set _ZN7rocprim17ROCPRIM_400000_NS6detail17trampoline_kernelINS0_14default_configENS1_20scan_config_selectorIlEEZZNS1_9scan_implILNS1_25lookback_scan_determinismE0ELb0ELb0ES3_PlS8_lN6thrust23THRUST_200600_302600_NS4plusIvEElEEDaPvRmT3_T4_T5_mT6_P12ihipStream_tbENKUlT_T0_E_clISt17integral_constantIbLb1EESQ_EEDaSL_SM_EUlSL_E0_NS1_11comp_targetILNS1_3genE4ELNS1_11target_archE910ELNS1_3gpuE8ELNS1_3repE0EEENS1_30default_config_static_selectorELNS0_4arch9wavefront6targetE1EEEvT1_.has_dyn_sized_stack, 0
	.set _ZN7rocprim17ROCPRIM_400000_NS6detail17trampoline_kernelINS0_14default_configENS1_20scan_config_selectorIlEEZZNS1_9scan_implILNS1_25lookback_scan_determinismE0ELb0ELb0ES3_PlS8_lN6thrust23THRUST_200600_302600_NS4plusIvEElEEDaPvRmT3_T4_T5_mT6_P12ihipStream_tbENKUlT_T0_E_clISt17integral_constantIbLb1EESQ_EEDaSL_SM_EUlSL_E0_NS1_11comp_targetILNS1_3genE4ELNS1_11target_archE910ELNS1_3gpuE8ELNS1_3repE0EEENS1_30default_config_static_selectorELNS0_4arch9wavefront6targetE1EEEvT1_.has_recursion, 0
	.set _ZN7rocprim17ROCPRIM_400000_NS6detail17trampoline_kernelINS0_14default_configENS1_20scan_config_selectorIlEEZZNS1_9scan_implILNS1_25lookback_scan_determinismE0ELb0ELb0ES3_PlS8_lN6thrust23THRUST_200600_302600_NS4plusIvEElEEDaPvRmT3_T4_T5_mT6_P12ihipStream_tbENKUlT_T0_E_clISt17integral_constantIbLb1EESQ_EEDaSL_SM_EUlSL_E0_NS1_11comp_targetILNS1_3genE4ELNS1_11target_archE910ELNS1_3gpuE8ELNS1_3repE0EEENS1_30default_config_static_selectorELNS0_4arch9wavefront6targetE1EEEvT1_.has_indirect_call, 0
	.section	.AMDGPU.csdata,"",@progbits
; Kernel info:
; codeLenInByte = 0
; TotalNumSgprs: 6
; NumVgprs: 0
; NumAgprs: 0
; TotalNumVgprs: 0
; ScratchSize: 0
; MemoryBound: 0
; FloatMode: 240
; IeeeMode: 1
; LDSByteSize: 0 bytes/workgroup (compile time only)
; SGPRBlocks: 0
; VGPRBlocks: 0
; NumSGPRsForWavesPerEU: 6
; NumVGPRsForWavesPerEU: 1
; AccumOffset: 4
; Occupancy: 8
; WaveLimiterHint : 0
; COMPUTE_PGM_RSRC2:SCRATCH_EN: 0
; COMPUTE_PGM_RSRC2:USER_SGPR: 2
; COMPUTE_PGM_RSRC2:TRAP_HANDLER: 0
; COMPUTE_PGM_RSRC2:TGID_X_EN: 1
; COMPUTE_PGM_RSRC2:TGID_Y_EN: 0
; COMPUTE_PGM_RSRC2:TGID_Z_EN: 0
; COMPUTE_PGM_RSRC2:TIDIG_COMP_CNT: 0
; COMPUTE_PGM_RSRC3_GFX90A:ACCUM_OFFSET: 0
; COMPUTE_PGM_RSRC3_GFX90A:TG_SPLIT: 0
	.section	.text._ZN7rocprim17ROCPRIM_400000_NS6detail17trampoline_kernelINS0_14default_configENS1_20scan_config_selectorIlEEZZNS1_9scan_implILNS1_25lookback_scan_determinismE0ELb0ELb0ES3_PlS8_lN6thrust23THRUST_200600_302600_NS4plusIvEElEEDaPvRmT3_T4_T5_mT6_P12ihipStream_tbENKUlT_T0_E_clISt17integral_constantIbLb1EESQ_EEDaSL_SM_EUlSL_E0_NS1_11comp_targetILNS1_3genE3ELNS1_11target_archE908ELNS1_3gpuE7ELNS1_3repE0EEENS1_30default_config_static_selectorELNS0_4arch9wavefront6targetE1EEEvT1_,"axG",@progbits,_ZN7rocprim17ROCPRIM_400000_NS6detail17trampoline_kernelINS0_14default_configENS1_20scan_config_selectorIlEEZZNS1_9scan_implILNS1_25lookback_scan_determinismE0ELb0ELb0ES3_PlS8_lN6thrust23THRUST_200600_302600_NS4plusIvEElEEDaPvRmT3_T4_T5_mT6_P12ihipStream_tbENKUlT_T0_E_clISt17integral_constantIbLb1EESQ_EEDaSL_SM_EUlSL_E0_NS1_11comp_targetILNS1_3genE3ELNS1_11target_archE908ELNS1_3gpuE7ELNS1_3repE0EEENS1_30default_config_static_selectorELNS0_4arch9wavefront6targetE1EEEvT1_,comdat
	.protected	_ZN7rocprim17ROCPRIM_400000_NS6detail17trampoline_kernelINS0_14default_configENS1_20scan_config_selectorIlEEZZNS1_9scan_implILNS1_25lookback_scan_determinismE0ELb0ELb0ES3_PlS8_lN6thrust23THRUST_200600_302600_NS4plusIvEElEEDaPvRmT3_T4_T5_mT6_P12ihipStream_tbENKUlT_T0_E_clISt17integral_constantIbLb1EESQ_EEDaSL_SM_EUlSL_E0_NS1_11comp_targetILNS1_3genE3ELNS1_11target_archE908ELNS1_3gpuE7ELNS1_3repE0EEENS1_30default_config_static_selectorELNS0_4arch9wavefront6targetE1EEEvT1_ ; -- Begin function _ZN7rocprim17ROCPRIM_400000_NS6detail17trampoline_kernelINS0_14default_configENS1_20scan_config_selectorIlEEZZNS1_9scan_implILNS1_25lookback_scan_determinismE0ELb0ELb0ES3_PlS8_lN6thrust23THRUST_200600_302600_NS4plusIvEElEEDaPvRmT3_T4_T5_mT6_P12ihipStream_tbENKUlT_T0_E_clISt17integral_constantIbLb1EESQ_EEDaSL_SM_EUlSL_E0_NS1_11comp_targetILNS1_3genE3ELNS1_11target_archE908ELNS1_3gpuE7ELNS1_3repE0EEENS1_30default_config_static_selectorELNS0_4arch9wavefront6targetE1EEEvT1_
	.globl	_ZN7rocprim17ROCPRIM_400000_NS6detail17trampoline_kernelINS0_14default_configENS1_20scan_config_selectorIlEEZZNS1_9scan_implILNS1_25lookback_scan_determinismE0ELb0ELb0ES3_PlS8_lN6thrust23THRUST_200600_302600_NS4plusIvEElEEDaPvRmT3_T4_T5_mT6_P12ihipStream_tbENKUlT_T0_E_clISt17integral_constantIbLb1EESQ_EEDaSL_SM_EUlSL_E0_NS1_11comp_targetILNS1_3genE3ELNS1_11target_archE908ELNS1_3gpuE7ELNS1_3repE0EEENS1_30default_config_static_selectorELNS0_4arch9wavefront6targetE1EEEvT1_
	.p2align	8
	.type	_ZN7rocprim17ROCPRIM_400000_NS6detail17trampoline_kernelINS0_14default_configENS1_20scan_config_selectorIlEEZZNS1_9scan_implILNS1_25lookback_scan_determinismE0ELb0ELb0ES3_PlS8_lN6thrust23THRUST_200600_302600_NS4plusIvEElEEDaPvRmT3_T4_T5_mT6_P12ihipStream_tbENKUlT_T0_E_clISt17integral_constantIbLb1EESQ_EEDaSL_SM_EUlSL_E0_NS1_11comp_targetILNS1_3genE3ELNS1_11target_archE908ELNS1_3gpuE7ELNS1_3repE0EEENS1_30default_config_static_selectorELNS0_4arch9wavefront6targetE1EEEvT1_,@function
_ZN7rocprim17ROCPRIM_400000_NS6detail17trampoline_kernelINS0_14default_configENS1_20scan_config_selectorIlEEZZNS1_9scan_implILNS1_25lookback_scan_determinismE0ELb0ELb0ES3_PlS8_lN6thrust23THRUST_200600_302600_NS4plusIvEElEEDaPvRmT3_T4_T5_mT6_P12ihipStream_tbENKUlT_T0_E_clISt17integral_constantIbLb1EESQ_EEDaSL_SM_EUlSL_E0_NS1_11comp_targetILNS1_3genE3ELNS1_11target_archE908ELNS1_3gpuE7ELNS1_3repE0EEENS1_30default_config_static_selectorELNS0_4arch9wavefront6targetE1EEEvT1_: ; @_ZN7rocprim17ROCPRIM_400000_NS6detail17trampoline_kernelINS0_14default_configENS1_20scan_config_selectorIlEEZZNS1_9scan_implILNS1_25lookback_scan_determinismE0ELb0ELb0ES3_PlS8_lN6thrust23THRUST_200600_302600_NS4plusIvEElEEDaPvRmT3_T4_T5_mT6_P12ihipStream_tbENKUlT_T0_E_clISt17integral_constantIbLb1EESQ_EEDaSL_SM_EUlSL_E0_NS1_11comp_targetILNS1_3genE3ELNS1_11target_archE908ELNS1_3gpuE7ELNS1_3repE0EEENS1_30default_config_static_selectorELNS0_4arch9wavefront6targetE1EEEvT1_
; %bb.0:
	.section	.rodata,"a",@progbits
	.p2align	6, 0x0
	.amdhsa_kernel _ZN7rocprim17ROCPRIM_400000_NS6detail17trampoline_kernelINS0_14default_configENS1_20scan_config_selectorIlEEZZNS1_9scan_implILNS1_25lookback_scan_determinismE0ELb0ELb0ES3_PlS8_lN6thrust23THRUST_200600_302600_NS4plusIvEElEEDaPvRmT3_T4_T5_mT6_P12ihipStream_tbENKUlT_T0_E_clISt17integral_constantIbLb1EESQ_EEDaSL_SM_EUlSL_E0_NS1_11comp_targetILNS1_3genE3ELNS1_11target_archE908ELNS1_3gpuE7ELNS1_3repE0EEENS1_30default_config_static_selectorELNS0_4arch9wavefront6targetE1EEEvT1_
		.amdhsa_group_segment_fixed_size 0
		.amdhsa_private_segment_fixed_size 0
		.amdhsa_kernarg_size 40
		.amdhsa_user_sgpr_count 2
		.amdhsa_user_sgpr_dispatch_ptr 0
		.amdhsa_user_sgpr_queue_ptr 0
		.amdhsa_user_sgpr_kernarg_segment_ptr 1
		.amdhsa_user_sgpr_dispatch_id 0
		.amdhsa_user_sgpr_kernarg_preload_length 0
		.amdhsa_user_sgpr_kernarg_preload_offset 0
		.amdhsa_user_sgpr_private_segment_size 0
		.amdhsa_uses_dynamic_stack 0
		.amdhsa_enable_private_segment 0
		.amdhsa_system_sgpr_workgroup_id_x 1
		.amdhsa_system_sgpr_workgroup_id_y 0
		.amdhsa_system_sgpr_workgroup_id_z 0
		.amdhsa_system_sgpr_workgroup_info 0
		.amdhsa_system_vgpr_workitem_id 0
		.amdhsa_next_free_vgpr 1
		.amdhsa_next_free_sgpr 0
		.amdhsa_accum_offset 4
		.amdhsa_reserve_vcc 0
		.amdhsa_float_round_mode_32 0
		.amdhsa_float_round_mode_16_64 0
		.amdhsa_float_denorm_mode_32 3
		.amdhsa_float_denorm_mode_16_64 3
		.amdhsa_dx10_clamp 1
		.amdhsa_ieee_mode 1
		.amdhsa_fp16_overflow 0
		.amdhsa_tg_split 0
		.amdhsa_exception_fp_ieee_invalid_op 0
		.amdhsa_exception_fp_denorm_src 0
		.amdhsa_exception_fp_ieee_div_zero 0
		.amdhsa_exception_fp_ieee_overflow 0
		.amdhsa_exception_fp_ieee_underflow 0
		.amdhsa_exception_fp_ieee_inexact 0
		.amdhsa_exception_int_div_zero 0
	.end_amdhsa_kernel
	.section	.text._ZN7rocprim17ROCPRIM_400000_NS6detail17trampoline_kernelINS0_14default_configENS1_20scan_config_selectorIlEEZZNS1_9scan_implILNS1_25lookback_scan_determinismE0ELb0ELb0ES3_PlS8_lN6thrust23THRUST_200600_302600_NS4plusIvEElEEDaPvRmT3_T4_T5_mT6_P12ihipStream_tbENKUlT_T0_E_clISt17integral_constantIbLb1EESQ_EEDaSL_SM_EUlSL_E0_NS1_11comp_targetILNS1_3genE3ELNS1_11target_archE908ELNS1_3gpuE7ELNS1_3repE0EEENS1_30default_config_static_selectorELNS0_4arch9wavefront6targetE1EEEvT1_,"axG",@progbits,_ZN7rocprim17ROCPRIM_400000_NS6detail17trampoline_kernelINS0_14default_configENS1_20scan_config_selectorIlEEZZNS1_9scan_implILNS1_25lookback_scan_determinismE0ELb0ELb0ES3_PlS8_lN6thrust23THRUST_200600_302600_NS4plusIvEElEEDaPvRmT3_T4_T5_mT6_P12ihipStream_tbENKUlT_T0_E_clISt17integral_constantIbLb1EESQ_EEDaSL_SM_EUlSL_E0_NS1_11comp_targetILNS1_3genE3ELNS1_11target_archE908ELNS1_3gpuE7ELNS1_3repE0EEENS1_30default_config_static_selectorELNS0_4arch9wavefront6targetE1EEEvT1_,comdat
.Lfunc_end115:
	.size	_ZN7rocprim17ROCPRIM_400000_NS6detail17trampoline_kernelINS0_14default_configENS1_20scan_config_selectorIlEEZZNS1_9scan_implILNS1_25lookback_scan_determinismE0ELb0ELb0ES3_PlS8_lN6thrust23THRUST_200600_302600_NS4plusIvEElEEDaPvRmT3_T4_T5_mT6_P12ihipStream_tbENKUlT_T0_E_clISt17integral_constantIbLb1EESQ_EEDaSL_SM_EUlSL_E0_NS1_11comp_targetILNS1_3genE3ELNS1_11target_archE908ELNS1_3gpuE7ELNS1_3repE0EEENS1_30default_config_static_selectorELNS0_4arch9wavefront6targetE1EEEvT1_, .Lfunc_end115-_ZN7rocprim17ROCPRIM_400000_NS6detail17trampoline_kernelINS0_14default_configENS1_20scan_config_selectorIlEEZZNS1_9scan_implILNS1_25lookback_scan_determinismE0ELb0ELb0ES3_PlS8_lN6thrust23THRUST_200600_302600_NS4plusIvEElEEDaPvRmT3_T4_T5_mT6_P12ihipStream_tbENKUlT_T0_E_clISt17integral_constantIbLb1EESQ_EEDaSL_SM_EUlSL_E0_NS1_11comp_targetILNS1_3genE3ELNS1_11target_archE908ELNS1_3gpuE7ELNS1_3repE0EEENS1_30default_config_static_selectorELNS0_4arch9wavefront6targetE1EEEvT1_
                                        ; -- End function
	.set _ZN7rocprim17ROCPRIM_400000_NS6detail17trampoline_kernelINS0_14default_configENS1_20scan_config_selectorIlEEZZNS1_9scan_implILNS1_25lookback_scan_determinismE0ELb0ELb0ES3_PlS8_lN6thrust23THRUST_200600_302600_NS4plusIvEElEEDaPvRmT3_T4_T5_mT6_P12ihipStream_tbENKUlT_T0_E_clISt17integral_constantIbLb1EESQ_EEDaSL_SM_EUlSL_E0_NS1_11comp_targetILNS1_3genE3ELNS1_11target_archE908ELNS1_3gpuE7ELNS1_3repE0EEENS1_30default_config_static_selectorELNS0_4arch9wavefront6targetE1EEEvT1_.num_vgpr, 0
	.set _ZN7rocprim17ROCPRIM_400000_NS6detail17trampoline_kernelINS0_14default_configENS1_20scan_config_selectorIlEEZZNS1_9scan_implILNS1_25lookback_scan_determinismE0ELb0ELb0ES3_PlS8_lN6thrust23THRUST_200600_302600_NS4plusIvEElEEDaPvRmT3_T4_T5_mT6_P12ihipStream_tbENKUlT_T0_E_clISt17integral_constantIbLb1EESQ_EEDaSL_SM_EUlSL_E0_NS1_11comp_targetILNS1_3genE3ELNS1_11target_archE908ELNS1_3gpuE7ELNS1_3repE0EEENS1_30default_config_static_selectorELNS0_4arch9wavefront6targetE1EEEvT1_.num_agpr, 0
	.set _ZN7rocprim17ROCPRIM_400000_NS6detail17trampoline_kernelINS0_14default_configENS1_20scan_config_selectorIlEEZZNS1_9scan_implILNS1_25lookback_scan_determinismE0ELb0ELb0ES3_PlS8_lN6thrust23THRUST_200600_302600_NS4plusIvEElEEDaPvRmT3_T4_T5_mT6_P12ihipStream_tbENKUlT_T0_E_clISt17integral_constantIbLb1EESQ_EEDaSL_SM_EUlSL_E0_NS1_11comp_targetILNS1_3genE3ELNS1_11target_archE908ELNS1_3gpuE7ELNS1_3repE0EEENS1_30default_config_static_selectorELNS0_4arch9wavefront6targetE1EEEvT1_.numbered_sgpr, 0
	.set _ZN7rocprim17ROCPRIM_400000_NS6detail17trampoline_kernelINS0_14default_configENS1_20scan_config_selectorIlEEZZNS1_9scan_implILNS1_25lookback_scan_determinismE0ELb0ELb0ES3_PlS8_lN6thrust23THRUST_200600_302600_NS4plusIvEElEEDaPvRmT3_T4_T5_mT6_P12ihipStream_tbENKUlT_T0_E_clISt17integral_constantIbLb1EESQ_EEDaSL_SM_EUlSL_E0_NS1_11comp_targetILNS1_3genE3ELNS1_11target_archE908ELNS1_3gpuE7ELNS1_3repE0EEENS1_30default_config_static_selectorELNS0_4arch9wavefront6targetE1EEEvT1_.num_named_barrier, 0
	.set _ZN7rocprim17ROCPRIM_400000_NS6detail17trampoline_kernelINS0_14default_configENS1_20scan_config_selectorIlEEZZNS1_9scan_implILNS1_25lookback_scan_determinismE0ELb0ELb0ES3_PlS8_lN6thrust23THRUST_200600_302600_NS4plusIvEElEEDaPvRmT3_T4_T5_mT6_P12ihipStream_tbENKUlT_T0_E_clISt17integral_constantIbLb1EESQ_EEDaSL_SM_EUlSL_E0_NS1_11comp_targetILNS1_3genE3ELNS1_11target_archE908ELNS1_3gpuE7ELNS1_3repE0EEENS1_30default_config_static_selectorELNS0_4arch9wavefront6targetE1EEEvT1_.private_seg_size, 0
	.set _ZN7rocprim17ROCPRIM_400000_NS6detail17trampoline_kernelINS0_14default_configENS1_20scan_config_selectorIlEEZZNS1_9scan_implILNS1_25lookback_scan_determinismE0ELb0ELb0ES3_PlS8_lN6thrust23THRUST_200600_302600_NS4plusIvEElEEDaPvRmT3_T4_T5_mT6_P12ihipStream_tbENKUlT_T0_E_clISt17integral_constantIbLb1EESQ_EEDaSL_SM_EUlSL_E0_NS1_11comp_targetILNS1_3genE3ELNS1_11target_archE908ELNS1_3gpuE7ELNS1_3repE0EEENS1_30default_config_static_selectorELNS0_4arch9wavefront6targetE1EEEvT1_.uses_vcc, 0
	.set _ZN7rocprim17ROCPRIM_400000_NS6detail17trampoline_kernelINS0_14default_configENS1_20scan_config_selectorIlEEZZNS1_9scan_implILNS1_25lookback_scan_determinismE0ELb0ELb0ES3_PlS8_lN6thrust23THRUST_200600_302600_NS4plusIvEElEEDaPvRmT3_T4_T5_mT6_P12ihipStream_tbENKUlT_T0_E_clISt17integral_constantIbLb1EESQ_EEDaSL_SM_EUlSL_E0_NS1_11comp_targetILNS1_3genE3ELNS1_11target_archE908ELNS1_3gpuE7ELNS1_3repE0EEENS1_30default_config_static_selectorELNS0_4arch9wavefront6targetE1EEEvT1_.uses_flat_scratch, 0
	.set _ZN7rocprim17ROCPRIM_400000_NS6detail17trampoline_kernelINS0_14default_configENS1_20scan_config_selectorIlEEZZNS1_9scan_implILNS1_25lookback_scan_determinismE0ELb0ELb0ES3_PlS8_lN6thrust23THRUST_200600_302600_NS4plusIvEElEEDaPvRmT3_T4_T5_mT6_P12ihipStream_tbENKUlT_T0_E_clISt17integral_constantIbLb1EESQ_EEDaSL_SM_EUlSL_E0_NS1_11comp_targetILNS1_3genE3ELNS1_11target_archE908ELNS1_3gpuE7ELNS1_3repE0EEENS1_30default_config_static_selectorELNS0_4arch9wavefront6targetE1EEEvT1_.has_dyn_sized_stack, 0
	.set _ZN7rocprim17ROCPRIM_400000_NS6detail17trampoline_kernelINS0_14default_configENS1_20scan_config_selectorIlEEZZNS1_9scan_implILNS1_25lookback_scan_determinismE0ELb0ELb0ES3_PlS8_lN6thrust23THRUST_200600_302600_NS4plusIvEElEEDaPvRmT3_T4_T5_mT6_P12ihipStream_tbENKUlT_T0_E_clISt17integral_constantIbLb1EESQ_EEDaSL_SM_EUlSL_E0_NS1_11comp_targetILNS1_3genE3ELNS1_11target_archE908ELNS1_3gpuE7ELNS1_3repE0EEENS1_30default_config_static_selectorELNS0_4arch9wavefront6targetE1EEEvT1_.has_recursion, 0
	.set _ZN7rocprim17ROCPRIM_400000_NS6detail17trampoline_kernelINS0_14default_configENS1_20scan_config_selectorIlEEZZNS1_9scan_implILNS1_25lookback_scan_determinismE0ELb0ELb0ES3_PlS8_lN6thrust23THRUST_200600_302600_NS4plusIvEElEEDaPvRmT3_T4_T5_mT6_P12ihipStream_tbENKUlT_T0_E_clISt17integral_constantIbLb1EESQ_EEDaSL_SM_EUlSL_E0_NS1_11comp_targetILNS1_3genE3ELNS1_11target_archE908ELNS1_3gpuE7ELNS1_3repE0EEENS1_30default_config_static_selectorELNS0_4arch9wavefront6targetE1EEEvT1_.has_indirect_call, 0
	.section	.AMDGPU.csdata,"",@progbits
; Kernel info:
; codeLenInByte = 0
; TotalNumSgprs: 6
; NumVgprs: 0
; NumAgprs: 0
; TotalNumVgprs: 0
; ScratchSize: 0
; MemoryBound: 0
; FloatMode: 240
; IeeeMode: 1
; LDSByteSize: 0 bytes/workgroup (compile time only)
; SGPRBlocks: 0
; VGPRBlocks: 0
; NumSGPRsForWavesPerEU: 6
; NumVGPRsForWavesPerEU: 1
; AccumOffset: 4
; Occupancy: 8
; WaveLimiterHint : 0
; COMPUTE_PGM_RSRC2:SCRATCH_EN: 0
; COMPUTE_PGM_RSRC2:USER_SGPR: 2
; COMPUTE_PGM_RSRC2:TRAP_HANDLER: 0
; COMPUTE_PGM_RSRC2:TGID_X_EN: 1
; COMPUTE_PGM_RSRC2:TGID_Y_EN: 0
; COMPUTE_PGM_RSRC2:TGID_Z_EN: 0
; COMPUTE_PGM_RSRC2:TIDIG_COMP_CNT: 0
; COMPUTE_PGM_RSRC3_GFX90A:ACCUM_OFFSET: 0
; COMPUTE_PGM_RSRC3_GFX90A:TG_SPLIT: 0
	.section	.text._ZN7rocprim17ROCPRIM_400000_NS6detail17trampoline_kernelINS0_14default_configENS1_20scan_config_selectorIlEEZZNS1_9scan_implILNS1_25lookback_scan_determinismE0ELb0ELb0ES3_PlS8_lN6thrust23THRUST_200600_302600_NS4plusIvEElEEDaPvRmT3_T4_T5_mT6_P12ihipStream_tbENKUlT_T0_E_clISt17integral_constantIbLb1EESQ_EEDaSL_SM_EUlSL_E0_NS1_11comp_targetILNS1_3genE2ELNS1_11target_archE906ELNS1_3gpuE6ELNS1_3repE0EEENS1_30default_config_static_selectorELNS0_4arch9wavefront6targetE1EEEvT1_,"axG",@progbits,_ZN7rocprim17ROCPRIM_400000_NS6detail17trampoline_kernelINS0_14default_configENS1_20scan_config_selectorIlEEZZNS1_9scan_implILNS1_25lookback_scan_determinismE0ELb0ELb0ES3_PlS8_lN6thrust23THRUST_200600_302600_NS4plusIvEElEEDaPvRmT3_T4_T5_mT6_P12ihipStream_tbENKUlT_T0_E_clISt17integral_constantIbLb1EESQ_EEDaSL_SM_EUlSL_E0_NS1_11comp_targetILNS1_3genE2ELNS1_11target_archE906ELNS1_3gpuE6ELNS1_3repE0EEENS1_30default_config_static_selectorELNS0_4arch9wavefront6targetE1EEEvT1_,comdat
	.protected	_ZN7rocprim17ROCPRIM_400000_NS6detail17trampoline_kernelINS0_14default_configENS1_20scan_config_selectorIlEEZZNS1_9scan_implILNS1_25lookback_scan_determinismE0ELb0ELb0ES3_PlS8_lN6thrust23THRUST_200600_302600_NS4plusIvEElEEDaPvRmT3_T4_T5_mT6_P12ihipStream_tbENKUlT_T0_E_clISt17integral_constantIbLb1EESQ_EEDaSL_SM_EUlSL_E0_NS1_11comp_targetILNS1_3genE2ELNS1_11target_archE906ELNS1_3gpuE6ELNS1_3repE0EEENS1_30default_config_static_selectorELNS0_4arch9wavefront6targetE1EEEvT1_ ; -- Begin function _ZN7rocprim17ROCPRIM_400000_NS6detail17trampoline_kernelINS0_14default_configENS1_20scan_config_selectorIlEEZZNS1_9scan_implILNS1_25lookback_scan_determinismE0ELb0ELb0ES3_PlS8_lN6thrust23THRUST_200600_302600_NS4plusIvEElEEDaPvRmT3_T4_T5_mT6_P12ihipStream_tbENKUlT_T0_E_clISt17integral_constantIbLb1EESQ_EEDaSL_SM_EUlSL_E0_NS1_11comp_targetILNS1_3genE2ELNS1_11target_archE906ELNS1_3gpuE6ELNS1_3repE0EEENS1_30default_config_static_selectorELNS0_4arch9wavefront6targetE1EEEvT1_
	.globl	_ZN7rocprim17ROCPRIM_400000_NS6detail17trampoline_kernelINS0_14default_configENS1_20scan_config_selectorIlEEZZNS1_9scan_implILNS1_25lookback_scan_determinismE0ELb0ELb0ES3_PlS8_lN6thrust23THRUST_200600_302600_NS4plusIvEElEEDaPvRmT3_T4_T5_mT6_P12ihipStream_tbENKUlT_T0_E_clISt17integral_constantIbLb1EESQ_EEDaSL_SM_EUlSL_E0_NS1_11comp_targetILNS1_3genE2ELNS1_11target_archE906ELNS1_3gpuE6ELNS1_3repE0EEENS1_30default_config_static_selectorELNS0_4arch9wavefront6targetE1EEEvT1_
	.p2align	8
	.type	_ZN7rocprim17ROCPRIM_400000_NS6detail17trampoline_kernelINS0_14default_configENS1_20scan_config_selectorIlEEZZNS1_9scan_implILNS1_25lookback_scan_determinismE0ELb0ELb0ES3_PlS8_lN6thrust23THRUST_200600_302600_NS4plusIvEElEEDaPvRmT3_T4_T5_mT6_P12ihipStream_tbENKUlT_T0_E_clISt17integral_constantIbLb1EESQ_EEDaSL_SM_EUlSL_E0_NS1_11comp_targetILNS1_3genE2ELNS1_11target_archE906ELNS1_3gpuE6ELNS1_3repE0EEENS1_30default_config_static_selectorELNS0_4arch9wavefront6targetE1EEEvT1_,@function
_ZN7rocprim17ROCPRIM_400000_NS6detail17trampoline_kernelINS0_14default_configENS1_20scan_config_selectorIlEEZZNS1_9scan_implILNS1_25lookback_scan_determinismE0ELb0ELb0ES3_PlS8_lN6thrust23THRUST_200600_302600_NS4plusIvEElEEDaPvRmT3_T4_T5_mT6_P12ihipStream_tbENKUlT_T0_E_clISt17integral_constantIbLb1EESQ_EEDaSL_SM_EUlSL_E0_NS1_11comp_targetILNS1_3genE2ELNS1_11target_archE906ELNS1_3gpuE6ELNS1_3repE0EEENS1_30default_config_static_selectorELNS0_4arch9wavefront6targetE1EEEvT1_: ; @_ZN7rocprim17ROCPRIM_400000_NS6detail17trampoline_kernelINS0_14default_configENS1_20scan_config_selectorIlEEZZNS1_9scan_implILNS1_25lookback_scan_determinismE0ELb0ELb0ES3_PlS8_lN6thrust23THRUST_200600_302600_NS4plusIvEElEEDaPvRmT3_T4_T5_mT6_P12ihipStream_tbENKUlT_T0_E_clISt17integral_constantIbLb1EESQ_EEDaSL_SM_EUlSL_E0_NS1_11comp_targetILNS1_3genE2ELNS1_11target_archE906ELNS1_3gpuE6ELNS1_3repE0EEENS1_30default_config_static_selectorELNS0_4arch9wavefront6targetE1EEEvT1_
; %bb.0:
	.section	.rodata,"a",@progbits
	.p2align	6, 0x0
	.amdhsa_kernel _ZN7rocprim17ROCPRIM_400000_NS6detail17trampoline_kernelINS0_14default_configENS1_20scan_config_selectorIlEEZZNS1_9scan_implILNS1_25lookback_scan_determinismE0ELb0ELb0ES3_PlS8_lN6thrust23THRUST_200600_302600_NS4plusIvEElEEDaPvRmT3_T4_T5_mT6_P12ihipStream_tbENKUlT_T0_E_clISt17integral_constantIbLb1EESQ_EEDaSL_SM_EUlSL_E0_NS1_11comp_targetILNS1_3genE2ELNS1_11target_archE906ELNS1_3gpuE6ELNS1_3repE0EEENS1_30default_config_static_selectorELNS0_4arch9wavefront6targetE1EEEvT1_
		.amdhsa_group_segment_fixed_size 0
		.amdhsa_private_segment_fixed_size 0
		.amdhsa_kernarg_size 40
		.amdhsa_user_sgpr_count 2
		.amdhsa_user_sgpr_dispatch_ptr 0
		.amdhsa_user_sgpr_queue_ptr 0
		.amdhsa_user_sgpr_kernarg_segment_ptr 1
		.amdhsa_user_sgpr_dispatch_id 0
		.amdhsa_user_sgpr_kernarg_preload_length 0
		.amdhsa_user_sgpr_kernarg_preload_offset 0
		.amdhsa_user_sgpr_private_segment_size 0
		.amdhsa_uses_dynamic_stack 0
		.amdhsa_enable_private_segment 0
		.amdhsa_system_sgpr_workgroup_id_x 1
		.amdhsa_system_sgpr_workgroup_id_y 0
		.amdhsa_system_sgpr_workgroup_id_z 0
		.amdhsa_system_sgpr_workgroup_info 0
		.amdhsa_system_vgpr_workitem_id 0
		.amdhsa_next_free_vgpr 1
		.amdhsa_next_free_sgpr 0
		.amdhsa_accum_offset 4
		.amdhsa_reserve_vcc 0
		.amdhsa_float_round_mode_32 0
		.amdhsa_float_round_mode_16_64 0
		.amdhsa_float_denorm_mode_32 3
		.amdhsa_float_denorm_mode_16_64 3
		.amdhsa_dx10_clamp 1
		.amdhsa_ieee_mode 1
		.amdhsa_fp16_overflow 0
		.amdhsa_tg_split 0
		.amdhsa_exception_fp_ieee_invalid_op 0
		.amdhsa_exception_fp_denorm_src 0
		.amdhsa_exception_fp_ieee_div_zero 0
		.amdhsa_exception_fp_ieee_overflow 0
		.amdhsa_exception_fp_ieee_underflow 0
		.amdhsa_exception_fp_ieee_inexact 0
		.amdhsa_exception_int_div_zero 0
	.end_amdhsa_kernel
	.section	.text._ZN7rocprim17ROCPRIM_400000_NS6detail17trampoline_kernelINS0_14default_configENS1_20scan_config_selectorIlEEZZNS1_9scan_implILNS1_25lookback_scan_determinismE0ELb0ELb0ES3_PlS8_lN6thrust23THRUST_200600_302600_NS4plusIvEElEEDaPvRmT3_T4_T5_mT6_P12ihipStream_tbENKUlT_T0_E_clISt17integral_constantIbLb1EESQ_EEDaSL_SM_EUlSL_E0_NS1_11comp_targetILNS1_3genE2ELNS1_11target_archE906ELNS1_3gpuE6ELNS1_3repE0EEENS1_30default_config_static_selectorELNS0_4arch9wavefront6targetE1EEEvT1_,"axG",@progbits,_ZN7rocprim17ROCPRIM_400000_NS6detail17trampoline_kernelINS0_14default_configENS1_20scan_config_selectorIlEEZZNS1_9scan_implILNS1_25lookback_scan_determinismE0ELb0ELb0ES3_PlS8_lN6thrust23THRUST_200600_302600_NS4plusIvEElEEDaPvRmT3_T4_T5_mT6_P12ihipStream_tbENKUlT_T0_E_clISt17integral_constantIbLb1EESQ_EEDaSL_SM_EUlSL_E0_NS1_11comp_targetILNS1_3genE2ELNS1_11target_archE906ELNS1_3gpuE6ELNS1_3repE0EEENS1_30default_config_static_selectorELNS0_4arch9wavefront6targetE1EEEvT1_,comdat
.Lfunc_end116:
	.size	_ZN7rocprim17ROCPRIM_400000_NS6detail17trampoline_kernelINS0_14default_configENS1_20scan_config_selectorIlEEZZNS1_9scan_implILNS1_25lookback_scan_determinismE0ELb0ELb0ES3_PlS8_lN6thrust23THRUST_200600_302600_NS4plusIvEElEEDaPvRmT3_T4_T5_mT6_P12ihipStream_tbENKUlT_T0_E_clISt17integral_constantIbLb1EESQ_EEDaSL_SM_EUlSL_E0_NS1_11comp_targetILNS1_3genE2ELNS1_11target_archE906ELNS1_3gpuE6ELNS1_3repE0EEENS1_30default_config_static_selectorELNS0_4arch9wavefront6targetE1EEEvT1_, .Lfunc_end116-_ZN7rocprim17ROCPRIM_400000_NS6detail17trampoline_kernelINS0_14default_configENS1_20scan_config_selectorIlEEZZNS1_9scan_implILNS1_25lookback_scan_determinismE0ELb0ELb0ES3_PlS8_lN6thrust23THRUST_200600_302600_NS4plusIvEElEEDaPvRmT3_T4_T5_mT6_P12ihipStream_tbENKUlT_T0_E_clISt17integral_constantIbLb1EESQ_EEDaSL_SM_EUlSL_E0_NS1_11comp_targetILNS1_3genE2ELNS1_11target_archE906ELNS1_3gpuE6ELNS1_3repE0EEENS1_30default_config_static_selectorELNS0_4arch9wavefront6targetE1EEEvT1_
                                        ; -- End function
	.set _ZN7rocprim17ROCPRIM_400000_NS6detail17trampoline_kernelINS0_14default_configENS1_20scan_config_selectorIlEEZZNS1_9scan_implILNS1_25lookback_scan_determinismE0ELb0ELb0ES3_PlS8_lN6thrust23THRUST_200600_302600_NS4plusIvEElEEDaPvRmT3_T4_T5_mT6_P12ihipStream_tbENKUlT_T0_E_clISt17integral_constantIbLb1EESQ_EEDaSL_SM_EUlSL_E0_NS1_11comp_targetILNS1_3genE2ELNS1_11target_archE906ELNS1_3gpuE6ELNS1_3repE0EEENS1_30default_config_static_selectorELNS0_4arch9wavefront6targetE1EEEvT1_.num_vgpr, 0
	.set _ZN7rocprim17ROCPRIM_400000_NS6detail17trampoline_kernelINS0_14default_configENS1_20scan_config_selectorIlEEZZNS1_9scan_implILNS1_25lookback_scan_determinismE0ELb0ELb0ES3_PlS8_lN6thrust23THRUST_200600_302600_NS4plusIvEElEEDaPvRmT3_T4_T5_mT6_P12ihipStream_tbENKUlT_T0_E_clISt17integral_constantIbLb1EESQ_EEDaSL_SM_EUlSL_E0_NS1_11comp_targetILNS1_3genE2ELNS1_11target_archE906ELNS1_3gpuE6ELNS1_3repE0EEENS1_30default_config_static_selectorELNS0_4arch9wavefront6targetE1EEEvT1_.num_agpr, 0
	.set _ZN7rocprim17ROCPRIM_400000_NS6detail17trampoline_kernelINS0_14default_configENS1_20scan_config_selectorIlEEZZNS1_9scan_implILNS1_25lookback_scan_determinismE0ELb0ELb0ES3_PlS8_lN6thrust23THRUST_200600_302600_NS4plusIvEElEEDaPvRmT3_T4_T5_mT6_P12ihipStream_tbENKUlT_T0_E_clISt17integral_constantIbLb1EESQ_EEDaSL_SM_EUlSL_E0_NS1_11comp_targetILNS1_3genE2ELNS1_11target_archE906ELNS1_3gpuE6ELNS1_3repE0EEENS1_30default_config_static_selectorELNS0_4arch9wavefront6targetE1EEEvT1_.numbered_sgpr, 0
	.set _ZN7rocprim17ROCPRIM_400000_NS6detail17trampoline_kernelINS0_14default_configENS1_20scan_config_selectorIlEEZZNS1_9scan_implILNS1_25lookback_scan_determinismE0ELb0ELb0ES3_PlS8_lN6thrust23THRUST_200600_302600_NS4plusIvEElEEDaPvRmT3_T4_T5_mT6_P12ihipStream_tbENKUlT_T0_E_clISt17integral_constantIbLb1EESQ_EEDaSL_SM_EUlSL_E0_NS1_11comp_targetILNS1_3genE2ELNS1_11target_archE906ELNS1_3gpuE6ELNS1_3repE0EEENS1_30default_config_static_selectorELNS0_4arch9wavefront6targetE1EEEvT1_.num_named_barrier, 0
	.set _ZN7rocprim17ROCPRIM_400000_NS6detail17trampoline_kernelINS0_14default_configENS1_20scan_config_selectorIlEEZZNS1_9scan_implILNS1_25lookback_scan_determinismE0ELb0ELb0ES3_PlS8_lN6thrust23THRUST_200600_302600_NS4plusIvEElEEDaPvRmT3_T4_T5_mT6_P12ihipStream_tbENKUlT_T0_E_clISt17integral_constantIbLb1EESQ_EEDaSL_SM_EUlSL_E0_NS1_11comp_targetILNS1_3genE2ELNS1_11target_archE906ELNS1_3gpuE6ELNS1_3repE0EEENS1_30default_config_static_selectorELNS0_4arch9wavefront6targetE1EEEvT1_.private_seg_size, 0
	.set _ZN7rocprim17ROCPRIM_400000_NS6detail17trampoline_kernelINS0_14default_configENS1_20scan_config_selectorIlEEZZNS1_9scan_implILNS1_25lookback_scan_determinismE0ELb0ELb0ES3_PlS8_lN6thrust23THRUST_200600_302600_NS4plusIvEElEEDaPvRmT3_T4_T5_mT6_P12ihipStream_tbENKUlT_T0_E_clISt17integral_constantIbLb1EESQ_EEDaSL_SM_EUlSL_E0_NS1_11comp_targetILNS1_3genE2ELNS1_11target_archE906ELNS1_3gpuE6ELNS1_3repE0EEENS1_30default_config_static_selectorELNS0_4arch9wavefront6targetE1EEEvT1_.uses_vcc, 0
	.set _ZN7rocprim17ROCPRIM_400000_NS6detail17trampoline_kernelINS0_14default_configENS1_20scan_config_selectorIlEEZZNS1_9scan_implILNS1_25lookback_scan_determinismE0ELb0ELb0ES3_PlS8_lN6thrust23THRUST_200600_302600_NS4plusIvEElEEDaPvRmT3_T4_T5_mT6_P12ihipStream_tbENKUlT_T0_E_clISt17integral_constantIbLb1EESQ_EEDaSL_SM_EUlSL_E0_NS1_11comp_targetILNS1_3genE2ELNS1_11target_archE906ELNS1_3gpuE6ELNS1_3repE0EEENS1_30default_config_static_selectorELNS0_4arch9wavefront6targetE1EEEvT1_.uses_flat_scratch, 0
	.set _ZN7rocprim17ROCPRIM_400000_NS6detail17trampoline_kernelINS0_14default_configENS1_20scan_config_selectorIlEEZZNS1_9scan_implILNS1_25lookback_scan_determinismE0ELb0ELb0ES3_PlS8_lN6thrust23THRUST_200600_302600_NS4plusIvEElEEDaPvRmT3_T4_T5_mT6_P12ihipStream_tbENKUlT_T0_E_clISt17integral_constantIbLb1EESQ_EEDaSL_SM_EUlSL_E0_NS1_11comp_targetILNS1_3genE2ELNS1_11target_archE906ELNS1_3gpuE6ELNS1_3repE0EEENS1_30default_config_static_selectorELNS0_4arch9wavefront6targetE1EEEvT1_.has_dyn_sized_stack, 0
	.set _ZN7rocprim17ROCPRIM_400000_NS6detail17trampoline_kernelINS0_14default_configENS1_20scan_config_selectorIlEEZZNS1_9scan_implILNS1_25lookback_scan_determinismE0ELb0ELb0ES3_PlS8_lN6thrust23THRUST_200600_302600_NS4plusIvEElEEDaPvRmT3_T4_T5_mT6_P12ihipStream_tbENKUlT_T0_E_clISt17integral_constantIbLb1EESQ_EEDaSL_SM_EUlSL_E0_NS1_11comp_targetILNS1_3genE2ELNS1_11target_archE906ELNS1_3gpuE6ELNS1_3repE0EEENS1_30default_config_static_selectorELNS0_4arch9wavefront6targetE1EEEvT1_.has_recursion, 0
	.set _ZN7rocprim17ROCPRIM_400000_NS6detail17trampoline_kernelINS0_14default_configENS1_20scan_config_selectorIlEEZZNS1_9scan_implILNS1_25lookback_scan_determinismE0ELb0ELb0ES3_PlS8_lN6thrust23THRUST_200600_302600_NS4plusIvEElEEDaPvRmT3_T4_T5_mT6_P12ihipStream_tbENKUlT_T0_E_clISt17integral_constantIbLb1EESQ_EEDaSL_SM_EUlSL_E0_NS1_11comp_targetILNS1_3genE2ELNS1_11target_archE906ELNS1_3gpuE6ELNS1_3repE0EEENS1_30default_config_static_selectorELNS0_4arch9wavefront6targetE1EEEvT1_.has_indirect_call, 0
	.section	.AMDGPU.csdata,"",@progbits
; Kernel info:
; codeLenInByte = 0
; TotalNumSgprs: 6
; NumVgprs: 0
; NumAgprs: 0
; TotalNumVgprs: 0
; ScratchSize: 0
; MemoryBound: 0
; FloatMode: 240
; IeeeMode: 1
; LDSByteSize: 0 bytes/workgroup (compile time only)
; SGPRBlocks: 0
; VGPRBlocks: 0
; NumSGPRsForWavesPerEU: 6
; NumVGPRsForWavesPerEU: 1
; AccumOffset: 4
; Occupancy: 8
; WaveLimiterHint : 0
; COMPUTE_PGM_RSRC2:SCRATCH_EN: 0
; COMPUTE_PGM_RSRC2:USER_SGPR: 2
; COMPUTE_PGM_RSRC2:TRAP_HANDLER: 0
; COMPUTE_PGM_RSRC2:TGID_X_EN: 1
; COMPUTE_PGM_RSRC2:TGID_Y_EN: 0
; COMPUTE_PGM_RSRC2:TGID_Z_EN: 0
; COMPUTE_PGM_RSRC2:TIDIG_COMP_CNT: 0
; COMPUTE_PGM_RSRC3_GFX90A:ACCUM_OFFSET: 0
; COMPUTE_PGM_RSRC3_GFX90A:TG_SPLIT: 0
	.section	.text._ZN7rocprim17ROCPRIM_400000_NS6detail17trampoline_kernelINS0_14default_configENS1_20scan_config_selectorIlEEZZNS1_9scan_implILNS1_25lookback_scan_determinismE0ELb0ELb0ES3_PlS8_lN6thrust23THRUST_200600_302600_NS4plusIvEElEEDaPvRmT3_T4_T5_mT6_P12ihipStream_tbENKUlT_T0_E_clISt17integral_constantIbLb1EESQ_EEDaSL_SM_EUlSL_E0_NS1_11comp_targetILNS1_3genE10ELNS1_11target_archE1201ELNS1_3gpuE5ELNS1_3repE0EEENS1_30default_config_static_selectorELNS0_4arch9wavefront6targetE1EEEvT1_,"axG",@progbits,_ZN7rocprim17ROCPRIM_400000_NS6detail17trampoline_kernelINS0_14default_configENS1_20scan_config_selectorIlEEZZNS1_9scan_implILNS1_25lookback_scan_determinismE0ELb0ELb0ES3_PlS8_lN6thrust23THRUST_200600_302600_NS4plusIvEElEEDaPvRmT3_T4_T5_mT6_P12ihipStream_tbENKUlT_T0_E_clISt17integral_constantIbLb1EESQ_EEDaSL_SM_EUlSL_E0_NS1_11comp_targetILNS1_3genE10ELNS1_11target_archE1201ELNS1_3gpuE5ELNS1_3repE0EEENS1_30default_config_static_selectorELNS0_4arch9wavefront6targetE1EEEvT1_,comdat
	.protected	_ZN7rocprim17ROCPRIM_400000_NS6detail17trampoline_kernelINS0_14default_configENS1_20scan_config_selectorIlEEZZNS1_9scan_implILNS1_25lookback_scan_determinismE0ELb0ELb0ES3_PlS8_lN6thrust23THRUST_200600_302600_NS4plusIvEElEEDaPvRmT3_T4_T5_mT6_P12ihipStream_tbENKUlT_T0_E_clISt17integral_constantIbLb1EESQ_EEDaSL_SM_EUlSL_E0_NS1_11comp_targetILNS1_3genE10ELNS1_11target_archE1201ELNS1_3gpuE5ELNS1_3repE0EEENS1_30default_config_static_selectorELNS0_4arch9wavefront6targetE1EEEvT1_ ; -- Begin function _ZN7rocprim17ROCPRIM_400000_NS6detail17trampoline_kernelINS0_14default_configENS1_20scan_config_selectorIlEEZZNS1_9scan_implILNS1_25lookback_scan_determinismE0ELb0ELb0ES3_PlS8_lN6thrust23THRUST_200600_302600_NS4plusIvEElEEDaPvRmT3_T4_T5_mT6_P12ihipStream_tbENKUlT_T0_E_clISt17integral_constantIbLb1EESQ_EEDaSL_SM_EUlSL_E0_NS1_11comp_targetILNS1_3genE10ELNS1_11target_archE1201ELNS1_3gpuE5ELNS1_3repE0EEENS1_30default_config_static_selectorELNS0_4arch9wavefront6targetE1EEEvT1_
	.globl	_ZN7rocprim17ROCPRIM_400000_NS6detail17trampoline_kernelINS0_14default_configENS1_20scan_config_selectorIlEEZZNS1_9scan_implILNS1_25lookback_scan_determinismE0ELb0ELb0ES3_PlS8_lN6thrust23THRUST_200600_302600_NS4plusIvEElEEDaPvRmT3_T4_T5_mT6_P12ihipStream_tbENKUlT_T0_E_clISt17integral_constantIbLb1EESQ_EEDaSL_SM_EUlSL_E0_NS1_11comp_targetILNS1_3genE10ELNS1_11target_archE1201ELNS1_3gpuE5ELNS1_3repE0EEENS1_30default_config_static_selectorELNS0_4arch9wavefront6targetE1EEEvT1_
	.p2align	8
	.type	_ZN7rocprim17ROCPRIM_400000_NS6detail17trampoline_kernelINS0_14default_configENS1_20scan_config_selectorIlEEZZNS1_9scan_implILNS1_25lookback_scan_determinismE0ELb0ELb0ES3_PlS8_lN6thrust23THRUST_200600_302600_NS4plusIvEElEEDaPvRmT3_T4_T5_mT6_P12ihipStream_tbENKUlT_T0_E_clISt17integral_constantIbLb1EESQ_EEDaSL_SM_EUlSL_E0_NS1_11comp_targetILNS1_3genE10ELNS1_11target_archE1201ELNS1_3gpuE5ELNS1_3repE0EEENS1_30default_config_static_selectorELNS0_4arch9wavefront6targetE1EEEvT1_,@function
_ZN7rocprim17ROCPRIM_400000_NS6detail17trampoline_kernelINS0_14default_configENS1_20scan_config_selectorIlEEZZNS1_9scan_implILNS1_25lookback_scan_determinismE0ELb0ELb0ES3_PlS8_lN6thrust23THRUST_200600_302600_NS4plusIvEElEEDaPvRmT3_T4_T5_mT6_P12ihipStream_tbENKUlT_T0_E_clISt17integral_constantIbLb1EESQ_EEDaSL_SM_EUlSL_E0_NS1_11comp_targetILNS1_3genE10ELNS1_11target_archE1201ELNS1_3gpuE5ELNS1_3repE0EEENS1_30default_config_static_selectorELNS0_4arch9wavefront6targetE1EEEvT1_: ; @_ZN7rocprim17ROCPRIM_400000_NS6detail17trampoline_kernelINS0_14default_configENS1_20scan_config_selectorIlEEZZNS1_9scan_implILNS1_25lookback_scan_determinismE0ELb0ELb0ES3_PlS8_lN6thrust23THRUST_200600_302600_NS4plusIvEElEEDaPvRmT3_T4_T5_mT6_P12ihipStream_tbENKUlT_T0_E_clISt17integral_constantIbLb1EESQ_EEDaSL_SM_EUlSL_E0_NS1_11comp_targetILNS1_3genE10ELNS1_11target_archE1201ELNS1_3gpuE5ELNS1_3repE0EEENS1_30default_config_static_selectorELNS0_4arch9wavefront6targetE1EEEvT1_
; %bb.0:
	.section	.rodata,"a",@progbits
	.p2align	6, 0x0
	.amdhsa_kernel _ZN7rocprim17ROCPRIM_400000_NS6detail17trampoline_kernelINS0_14default_configENS1_20scan_config_selectorIlEEZZNS1_9scan_implILNS1_25lookback_scan_determinismE0ELb0ELb0ES3_PlS8_lN6thrust23THRUST_200600_302600_NS4plusIvEElEEDaPvRmT3_T4_T5_mT6_P12ihipStream_tbENKUlT_T0_E_clISt17integral_constantIbLb1EESQ_EEDaSL_SM_EUlSL_E0_NS1_11comp_targetILNS1_3genE10ELNS1_11target_archE1201ELNS1_3gpuE5ELNS1_3repE0EEENS1_30default_config_static_selectorELNS0_4arch9wavefront6targetE1EEEvT1_
		.amdhsa_group_segment_fixed_size 0
		.amdhsa_private_segment_fixed_size 0
		.amdhsa_kernarg_size 40
		.amdhsa_user_sgpr_count 2
		.amdhsa_user_sgpr_dispatch_ptr 0
		.amdhsa_user_sgpr_queue_ptr 0
		.amdhsa_user_sgpr_kernarg_segment_ptr 1
		.amdhsa_user_sgpr_dispatch_id 0
		.amdhsa_user_sgpr_kernarg_preload_length 0
		.amdhsa_user_sgpr_kernarg_preload_offset 0
		.amdhsa_user_sgpr_private_segment_size 0
		.amdhsa_uses_dynamic_stack 0
		.amdhsa_enable_private_segment 0
		.amdhsa_system_sgpr_workgroup_id_x 1
		.amdhsa_system_sgpr_workgroup_id_y 0
		.amdhsa_system_sgpr_workgroup_id_z 0
		.amdhsa_system_sgpr_workgroup_info 0
		.amdhsa_system_vgpr_workitem_id 0
		.amdhsa_next_free_vgpr 1
		.amdhsa_next_free_sgpr 0
		.amdhsa_accum_offset 4
		.amdhsa_reserve_vcc 0
		.amdhsa_float_round_mode_32 0
		.amdhsa_float_round_mode_16_64 0
		.amdhsa_float_denorm_mode_32 3
		.amdhsa_float_denorm_mode_16_64 3
		.amdhsa_dx10_clamp 1
		.amdhsa_ieee_mode 1
		.amdhsa_fp16_overflow 0
		.amdhsa_tg_split 0
		.amdhsa_exception_fp_ieee_invalid_op 0
		.amdhsa_exception_fp_denorm_src 0
		.amdhsa_exception_fp_ieee_div_zero 0
		.amdhsa_exception_fp_ieee_overflow 0
		.amdhsa_exception_fp_ieee_underflow 0
		.amdhsa_exception_fp_ieee_inexact 0
		.amdhsa_exception_int_div_zero 0
	.end_amdhsa_kernel
	.section	.text._ZN7rocprim17ROCPRIM_400000_NS6detail17trampoline_kernelINS0_14default_configENS1_20scan_config_selectorIlEEZZNS1_9scan_implILNS1_25lookback_scan_determinismE0ELb0ELb0ES3_PlS8_lN6thrust23THRUST_200600_302600_NS4plusIvEElEEDaPvRmT3_T4_T5_mT6_P12ihipStream_tbENKUlT_T0_E_clISt17integral_constantIbLb1EESQ_EEDaSL_SM_EUlSL_E0_NS1_11comp_targetILNS1_3genE10ELNS1_11target_archE1201ELNS1_3gpuE5ELNS1_3repE0EEENS1_30default_config_static_selectorELNS0_4arch9wavefront6targetE1EEEvT1_,"axG",@progbits,_ZN7rocprim17ROCPRIM_400000_NS6detail17trampoline_kernelINS0_14default_configENS1_20scan_config_selectorIlEEZZNS1_9scan_implILNS1_25lookback_scan_determinismE0ELb0ELb0ES3_PlS8_lN6thrust23THRUST_200600_302600_NS4plusIvEElEEDaPvRmT3_T4_T5_mT6_P12ihipStream_tbENKUlT_T0_E_clISt17integral_constantIbLb1EESQ_EEDaSL_SM_EUlSL_E0_NS1_11comp_targetILNS1_3genE10ELNS1_11target_archE1201ELNS1_3gpuE5ELNS1_3repE0EEENS1_30default_config_static_selectorELNS0_4arch9wavefront6targetE1EEEvT1_,comdat
.Lfunc_end117:
	.size	_ZN7rocprim17ROCPRIM_400000_NS6detail17trampoline_kernelINS0_14default_configENS1_20scan_config_selectorIlEEZZNS1_9scan_implILNS1_25lookback_scan_determinismE0ELb0ELb0ES3_PlS8_lN6thrust23THRUST_200600_302600_NS4plusIvEElEEDaPvRmT3_T4_T5_mT6_P12ihipStream_tbENKUlT_T0_E_clISt17integral_constantIbLb1EESQ_EEDaSL_SM_EUlSL_E0_NS1_11comp_targetILNS1_3genE10ELNS1_11target_archE1201ELNS1_3gpuE5ELNS1_3repE0EEENS1_30default_config_static_selectorELNS0_4arch9wavefront6targetE1EEEvT1_, .Lfunc_end117-_ZN7rocprim17ROCPRIM_400000_NS6detail17trampoline_kernelINS0_14default_configENS1_20scan_config_selectorIlEEZZNS1_9scan_implILNS1_25lookback_scan_determinismE0ELb0ELb0ES3_PlS8_lN6thrust23THRUST_200600_302600_NS4plusIvEElEEDaPvRmT3_T4_T5_mT6_P12ihipStream_tbENKUlT_T0_E_clISt17integral_constantIbLb1EESQ_EEDaSL_SM_EUlSL_E0_NS1_11comp_targetILNS1_3genE10ELNS1_11target_archE1201ELNS1_3gpuE5ELNS1_3repE0EEENS1_30default_config_static_selectorELNS0_4arch9wavefront6targetE1EEEvT1_
                                        ; -- End function
	.set _ZN7rocprim17ROCPRIM_400000_NS6detail17trampoline_kernelINS0_14default_configENS1_20scan_config_selectorIlEEZZNS1_9scan_implILNS1_25lookback_scan_determinismE0ELb0ELb0ES3_PlS8_lN6thrust23THRUST_200600_302600_NS4plusIvEElEEDaPvRmT3_T4_T5_mT6_P12ihipStream_tbENKUlT_T0_E_clISt17integral_constantIbLb1EESQ_EEDaSL_SM_EUlSL_E0_NS1_11comp_targetILNS1_3genE10ELNS1_11target_archE1201ELNS1_3gpuE5ELNS1_3repE0EEENS1_30default_config_static_selectorELNS0_4arch9wavefront6targetE1EEEvT1_.num_vgpr, 0
	.set _ZN7rocprim17ROCPRIM_400000_NS6detail17trampoline_kernelINS0_14default_configENS1_20scan_config_selectorIlEEZZNS1_9scan_implILNS1_25lookback_scan_determinismE0ELb0ELb0ES3_PlS8_lN6thrust23THRUST_200600_302600_NS4plusIvEElEEDaPvRmT3_T4_T5_mT6_P12ihipStream_tbENKUlT_T0_E_clISt17integral_constantIbLb1EESQ_EEDaSL_SM_EUlSL_E0_NS1_11comp_targetILNS1_3genE10ELNS1_11target_archE1201ELNS1_3gpuE5ELNS1_3repE0EEENS1_30default_config_static_selectorELNS0_4arch9wavefront6targetE1EEEvT1_.num_agpr, 0
	.set _ZN7rocprim17ROCPRIM_400000_NS6detail17trampoline_kernelINS0_14default_configENS1_20scan_config_selectorIlEEZZNS1_9scan_implILNS1_25lookback_scan_determinismE0ELb0ELb0ES3_PlS8_lN6thrust23THRUST_200600_302600_NS4plusIvEElEEDaPvRmT3_T4_T5_mT6_P12ihipStream_tbENKUlT_T0_E_clISt17integral_constantIbLb1EESQ_EEDaSL_SM_EUlSL_E0_NS1_11comp_targetILNS1_3genE10ELNS1_11target_archE1201ELNS1_3gpuE5ELNS1_3repE0EEENS1_30default_config_static_selectorELNS0_4arch9wavefront6targetE1EEEvT1_.numbered_sgpr, 0
	.set _ZN7rocprim17ROCPRIM_400000_NS6detail17trampoline_kernelINS0_14default_configENS1_20scan_config_selectorIlEEZZNS1_9scan_implILNS1_25lookback_scan_determinismE0ELb0ELb0ES3_PlS8_lN6thrust23THRUST_200600_302600_NS4plusIvEElEEDaPvRmT3_T4_T5_mT6_P12ihipStream_tbENKUlT_T0_E_clISt17integral_constantIbLb1EESQ_EEDaSL_SM_EUlSL_E0_NS1_11comp_targetILNS1_3genE10ELNS1_11target_archE1201ELNS1_3gpuE5ELNS1_3repE0EEENS1_30default_config_static_selectorELNS0_4arch9wavefront6targetE1EEEvT1_.num_named_barrier, 0
	.set _ZN7rocprim17ROCPRIM_400000_NS6detail17trampoline_kernelINS0_14default_configENS1_20scan_config_selectorIlEEZZNS1_9scan_implILNS1_25lookback_scan_determinismE0ELb0ELb0ES3_PlS8_lN6thrust23THRUST_200600_302600_NS4plusIvEElEEDaPvRmT3_T4_T5_mT6_P12ihipStream_tbENKUlT_T0_E_clISt17integral_constantIbLb1EESQ_EEDaSL_SM_EUlSL_E0_NS1_11comp_targetILNS1_3genE10ELNS1_11target_archE1201ELNS1_3gpuE5ELNS1_3repE0EEENS1_30default_config_static_selectorELNS0_4arch9wavefront6targetE1EEEvT1_.private_seg_size, 0
	.set _ZN7rocprim17ROCPRIM_400000_NS6detail17trampoline_kernelINS0_14default_configENS1_20scan_config_selectorIlEEZZNS1_9scan_implILNS1_25lookback_scan_determinismE0ELb0ELb0ES3_PlS8_lN6thrust23THRUST_200600_302600_NS4plusIvEElEEDaPvRmT3_T4_T5_mT6_P12ihipStream_tbENKUlT_T0_E_clISt17integral_constantIbLb1EESQ_EEDaSL_SM_EUlSL_E0_NS1_11comp_targetILNS1_3genE10ELNS1_11target_archE1201ELNS1_3gpuE5ELNS1_3repE0EEENS1_30default_config_static_selectorELNS0_4arch9wavefront6targetE1EEEvT1_.uses_vcc, 0
	.set _ZN7rocprim17ROCPRIM_400000_NS6detail17trampoline_kernelINS0_14default_configENS1_20scan_config_selectorIlEEZZNS1_9scan_implILNS1_25lookback_scan_determinismE0ELb0ELb0ES3_PlS8_lN6thrust23THRUST_200600_302600_NS4plusIvEElEEDaPvRmT3_T4_T5_mT6_P12ihipStream_tbENKUlT_T0_E_clISt17integral_constantIbLb1EESQ_EEDaSL_SM_EUlSL_E0_NS1_11comp_targetILNS1_3genE10ELNS1_11target_archE1201ELNS1_3gpuE5ELNS1_3repE0EEENS1_30default_config_static_selectorELNS0_4arch9wavefront6targetE1EEEvT1_.uses_flat_scratch, 0
	.set _ZN7rocprim17ROCPRIM_400000_NS6detail17trampoline_kernelINS0_14default_configENS1_20scan_config_selectorIlEEZZNS1_9scan_implILNS1_25lookback_scan_determinismE0ELb0ELb0ES3_PlS8_lN6thrust23THRUST_200600_302600_NS4plusIvEElEEDaPvRmT3_T4_T5_mT6_P12ihipStream_tbENKUlT_T0_E_clISt17integral_constantIbLb1EESQ_EEDaSL_SM_EUlSL_E0_NS1_11comp_targetILNS1_3genE10ELNS1_11target_archE1201ELNS1_3gpuE5ELNS1_3repE0EEENS1_30default_config_static_selectorELNS0_4arch9wavefront6targetE1EEEvT1_.has_dyn_sized_stack, 0
	.set _ZN7rocprim17ROCPRIM_400000_NS6detail17trampoline_kernelINS0_14default_configENS1_20scan_config_selectorIlEEZZNS1_9scan_implILNS1_25lookback_scan_determinismE0ELb0ELb0ES3_PlS8_lN6thrust23THRUST_200600_302600_NS4plusIvEElEEDaPvRmT3_T4_T5_mT6_P12ihipStream_tbENKUlT_T0_E_clISt17integral_constantIbLb1EESQ_EEDaSL_SM_EUlSL_E0_NS1_11comp_targetILNS1_3genE10ELNS1_11target_archE1201ELNS1_3gpuE5ELNS1_3repE0EEENS1_30default_config_static_selectorELNS0_4arch9wavefront6targetE1EEEvT1_.has_recursion, 0
	.set _ZN7rocprim17ROCPRIM_400000_NS6detail17trampoline_kernelINS0_14default_configENS1_20scan_config_selectorIlEEZZNS1_9scan_implILNS1_25lookback_scan_determinismE0ELb0ELb0ES3_PlS8_lN6thrust23THRUST_200600_302600_NS4plusIvEElEEDaPvRmT3_T4_T5_mT6_P12ihipStream_tbENKUlT_T0_E_clISt17integral_constantIbLb1EESQ_EEDaSL_SM_EUlSL_E0_NS1_11comp_targetILNS1_3genE10ELNS1_11target_archE1201ELNS1_3gpuE5ELNS1_3repE0EEENS1_30default_config_static_selectorELNS0_4arch9wavefront6targetE1EEEvT1_.has_indirect_call, 0
	.section	.AMDGPU.csdata,"",@progbits
; Kernel info:
; codeLenInByte = 0
; TotalNumSgprs: 6
; NumVgprs: 0
; NumAgprs: 0
; TotalNumVgprs: 0
; ScratchSize: 0
; MemoryBound: 0
; FloatMode: 240
; IeeeMode: 1
; LDSByteSize: 0 bytes/workgroup (compile time only)
; SGPRBlocks: 0
; VGPRBlocks: 0
; NumSGPRsForWavesPerEU: 6
; NumVGPRsForWavesPerEU: 1
; AccumOffset: 4
; Occupancy: 8
; WaveLimiterHint : 0
; COMPUTE_PGM_RSRC2:SCRATCH_EN: 0
; COMPUTE_PGM_RSRC2:USER_SGPR: 2
; COMPUTE_PGM_RSRC2:TRAP_HANDLER: 0
; COMPUTE_PGM_RSRC2:TGID_X_EN: 1
; COMPUTE_PGM_RSRC2:TGID_Y_EN: 0
; COMPUTE_PGM_RSRC2:TGID_Z_EN: 0
; COMPUTE_PGM_RSRC2:TIDIG_COMP_CNT: 0
; COMPUTE_PGM_RSRC3_GFX90A:ACCUM_OFFSET: 0
; COMPUTE_PGM_RSRC3_GFX90A:TG_SPLIT: 0
	.section	.text._ZN7rocprim17ROCPRIM_400000_NS6detail17trampoline_kernelINS0_14default_configENS1_20scan_config_selectorIlEEZZNS1_9scan_implILNS1_25lookback_scan_determinismE0ELb0ELb0ES3_PlS8_lN6thrust23THRUST_200600_302600_NS4plusIvEElEEDaPvRmT3_T4_T5_mT6_P12ihipStream_tbENKUlT_T0_E_clISt17integral_constantIbLb1EESQ_EEDaSL_SM_EUlSL_E0_NS1_11comp_targetILNS1_3genE10ELNS1_11target_archE1200ELNS1_3gpuE4ELNS1_3repE0EEENS1_30default_config_static_selectorELNS0_4arch9wavefront6targetE1EEEvT1_,"axG",@progbits,_ZN7rocprim17ROCPRIM_400000_NS6detail17trampoline_kernelINS0_14default_configENS1_20scan_config_selectorIlEEZZNS1_9scan_implILNS1_25lookback_scan_determinismE0ELb0ELb0ES3_PlS8_lN6thrust23THRUST_200600_302600_NS4plusIvEElEEDaPvRmT3_T4_T5_mT6_P12ihipStream_tbENKUlT_T0_E_clISt17integral_constantIbLb1EESQ_EEDaSL_SM_EUlSL_E0_NS1_11comp_targetILNS1_3genE10ELNS1_11target_archE1200ELNS1_3gpuE4ELNS1_3repE0EEENS1_30default_config_static_selectorELNS0_4arch9wavefront6targetE1EEEvT1_,comdat
	.protected	_ZN7rocprim17ROCPRIM_400000_NS6detail17trampoline_kernelINS0_14default_configENS1_20scan_config_selectorIlEEZZNS1_9scan_implILNS1_25lookback_scan_determinismE0ELb0ELb0ES3_PlS8_lN6thrust23THRUST_200600_302600_NS4plusIvEElEEDaPvRmT3_T4_T5_mT6_P12ihipStream_tbENKUlT_T0_E_clISt17integral_constantIbLb1EESQ_EEDaSL_SM_EUlSL_E0_NS1_11comp_targetILNS1_3genE10ELNS1_11target_archE1200ELNS1_3gpuE4ELNS1_3repE0EEENS1_30default_config_static_selectorELNS0_4arch9wavefront6targetE1EEEvT1_ ; -- Begin function _ZN7rocprim17ROCPRIM_400000_NS6detail17trampoline_kernelINS0_14default_configENS1_20scan_config_selectorIlEEZZNS1_9scan_implILNS1_25lookback_scan_determinismE0ELb0ELb0ES3_PlS8_lN6thrust23THRUST_200600_302600_NS4plusIvEElEEDaPvRmT3_T4_T5_mT6_P12ihipStream_tbENKUlT_T0_E_clISt17integral_constantIbLb1EESQ_EEDaSL_SM_EUlSL_E0_NS1_11comp_targetILNS1_3genE10ELNS1_11target_archE1200ELNS1_3gpuE4ELNS1_3repE0EEENS1_30default_config_static_selectorELNS0_4arch9wavefront6targetE1EEEvT1_
	.globl	_ZN7rocprim17ROCPRIM_400000_NS6detail17trampoline_kernelINS0_14default_configENS1_20scan_config_selectorIlEEZZNS1_9scan_implILNS1_25lookback_scan_determinismE0ELb0ELb0ES3_PlS8_lN6thrust23THRUST_200600_302600_NS4plusIvEElEEDaPvRmT3_T4_T5_mT6_P12ihipStream_tbENKUlT_T0_E_clISt17integral_constantIbLb1EESQ_EEDaSL_SM_EUlSL_E0_NS1_11comp_targetILNS1_3genE10ELNS1_11target_archE1200ELNS1_3gpuE4ELNS1_3repE0EEENS1_30default_config_static_selectorELNS0_4arch9wavefront6targetE1EEEvT1_
	.p2align	8
	.type	_ZN7rocprim17ROCPRIM_400000_NS6detail17trampoline_kernelINS0_14default_configENS1_20scan_config_selectorIlEEZZNS1_9scan_implILNS1_25lookback_scan_determinismE0ELb0ELb0ES3_PlS8_lN6thrust23THRUST_200600_302600_NS4plusIvEElEEDaPvRmT3_T4_T5_mT6_P12ihipStream_tbENKUlT_T0_E_clISt17integral_constantIbLb1EESQ_EEDaSL_SM_EUlSL_E0_NS1_11comp_targetILNS1_3genE10ELNS1_11target_archE1200ELNS1_3gpuE4ELNS1_3repE0EEENS1_30default_config_static_selectorELNS0_4arch9wavefront6targetE1EEEvT1_,@function
_ZN7rocprim17ROCPRIM_400000_NS6detail17trampoline_kernelINS0_14default_configENS1_20scan_config_selectorIlEEZZNS1_9scan_implILNS1_25lookback_scan_determinismE0ELb0ELb0ES3_PlS8_lN6thrust23THRUST_200600_302600_NS4plusIvEElEEDaPvRmT3_T4_T5_mT6_P12ihipStream_tbENKUlT_T0_E_clISt17integral_constantIbLb1EESQ_EEDaSL_SM_EUlSL_E0_NS1_11comp_targetILNS1_3genE10ELNS1_11target_archE1200ELNS1_3gpuE4ELNS1_3repE0EEENS1_30default_config_static_selectorELNS0_4arch9wavefront6targetE1EEEvT1_: ; @_ZN7rocprim17ROCPRIM_400000_NS6detail17trampoline_kernelINS0_14default_configENS1_20scan_config_selectorIlEEZZNS1_9scan_implILNS1_25lookback_scan_determinismE0ELb0ELb0ES3_PlS8_lN6thrust23THRUST_200600_302600_NS4plusIvEElEEDaPvRmT3_T4_T5_mT6_P12ihipStream_tbENKUlT_T0_E_clISt17integral_constantIbLb1EESQ_EEDaSL_SM_EUlSL_E0_NS1_11comp_targetILNS1_3genE10ELNS1_11target_archE1200ELNS1_3gpuE4ELNS1_3repE0EEENS1_30default_config_static_selectorELNS0_4arch9wavefront6targetE1EEEvT1_
; %bb.0:
	.section	.rodata,"a",@progbits
	.p2align	6, 0x0
	.amdhsa_kernel _ZN7rocprim17ROCPRIM_400000_NS6detail17trampoline_kernelINS0_14default_configENS1_20scan_config_selectorIlEEZZNS1_9scan_implILNS1_25lookback_scan_determinismE0ELb0ELb0ES3_PlS8_lN6thrust23THRUST_200600_302600_NS4plusIvEElEEDaPvRmT3_T4_T5_mT6_P12ihipStream_tbENKUlT_T0_E_clISt17integral_constantIbLb1EESQ_EEDaSL_SM_EUlSL_E0_NS1_11comp_targetILNS1_3genE10ELNS1_11target_archE1200ELNS1_3gpuE4ELNS1_3repE0EEENS1_30default_config_static_selectorELNS0_4arch9wavefront6targetE1EEEvT1_
		.amdhsa_group_segment_fixed_size 0
		.amdhsa_private_segment_fixed_size 0
		.amdhsa_kernarg_size 40
		.amdhsa_user_sgpr_count 2
		.amdhsa_user_sgpr_dispatch_ptr 0
		.amdhsa_user_sgpr_queue_ptr 0
		.amdhsa_user_sgpr_kernarg_segment_ptr 1
		.amdhsa_user_sgpr_dispatch_id 0
		.amdhsa_user_sgpr_kernarg_preload_length 0
		.amdhsa_user_sgpr_kernarg_preload_offset 0
		.amdhsa_user_sgpr_private_segment_size 0
		.amdhsa_uses_dynamic_stack 0
		.amdhsa_enable_private_segment 0
		.amdhsa_system_sgpr_workgroup_id_x 1
		.amdhsa_system_sgpr_workgroup_id_y 0
		.amdhsa_system_sgpr_workgroup_id_z 0
		.amdhsa_system_sgpr_workgroup_info 0
		.amdhsa_system_vgpr_workitem_id 0
		.amdhsa_next_free_vgpr 1
		.amdhsa_next_free_sgpr 0
		.amdhsa_accum_offset 4
		.amdhsa_reserve_vcc 0
		.amdhsa_float_round_mode_32 0
		.amdhsa_float_round_mode_16_64 0
		.amdhsa_float_denorm_mode_32 3
		.amdhsa_float_denorm_mode_16_64 3
		.amdhsa_dx10_clamp 1
		.amdhsa_ieee_mode 1
		.amdhsa_fp16_overflow 0
		.amdhsa_tg_split 0
		.amdhsa_exception_fp_ieee_invalid_op 0
		.amdhsa_exception_fp_denorm_src 0
		.amdhsa_exception_fp_ieee_div_zero 0
		.amdhsa_exception_fp_ieee_overflow 0
		.amdhsa_exception_fp_ieee_underflow 0
		.amdhsa_exception_fp_ieee_inexact 0
		.amdhsa_exception_int_div_zero 0
	.end_amdhsa_kernel
	.section	.text._ZN7rocprim17ROCPRIM_400000_NS6detail17trampoline_kernelINS0_14default_configENS1_20scan_config_selectorIlEEZZNS1_9scan_implILNS1_25lookback_scan_determinismE0ELb0ELb0ES3_PlS8_lN6thrust23THRUST_200600_302600_NS4plusIvEElEEDaPvRmT3_T4_T5_mT6_P12ihipStream_tbENKUlT_T0_E_clISt17integral_constantIbLb1EESQ_EEDaSL_SM_EUlSL_E0_NS1_11comp_targetILNS1_3genE10ELNS1_11target_archE1200ELNS1_3gpuE4ELNS1_3repE0EEENS1_30default_config_static_selectorELNS0_4arch9wavefront6targetE1EEEvT1_,"axG",@progbits,_ZN7rocprim17ROCPRIM_400000_NS6detail17trampoline_kernelINS0_14default_configENS1_20scan_config_selectorIlEEZZNS1_9scan_implILNS1_25lookback_scan_determinismE0ELb0ELb0ES3_PlS8_lN6thrust23THRUST_200600_302600_NS4plusIvEElEEDaPvRmT3_T4_T5_mT6_P12ihipStream_tbENKUlT_T0_E_clISt17integral_constantIbLb1EESQ_EEDaSL_SM_EUlSL_E0_NS1_11comp_targetILNS1_3genE10ELNS1_11target_archE1200ELNS1_3gpuE4ELNS1_3repE0EEENS1_30default_config_static_selectorELNS0_4arch9wavefront6targetE1EEEvT1_,comdat
.Lfunc_end118:
	.size	_ZN7rocprim17ROCPRIM_400000_NS6detail17trampoline_kernelINS0_14default_configENS1_20scan_config_selectorIlEEZZNS1_9scan_implILNS1_25lookback_scan_determinismE0ELb0ELb0ES3_PlS8_lN6thrust23THRUST_200600_302600_NS4plusIvEElEEDaPvRmT3_T4_T5_mT6_P12ihipStream_tbENKUlT_T0_E_clISt17integral_constantIbLb1EESQ_EEDaSL_SM_EUlSL_E0_NS1_11comp_targetILNS1_3genE10ELNS1_11target_archE1200ELNS1_3gpuE4ELNS1_3repE0EEENS1_30default_config_static_selectorELNS0_4arch9wavefront6targetE1EEEvT1_, .Lfunc_end118-_ZN7rocprim17ROCPRIM_400000_NS6detail17trampoline_kernelINS0_14default_configENS1_20scan_config_selectorIlEEZZNS1_9scan_implILNS1_25lookback_scan_determinismE0ELb0ELb0ES3_PlS8_lN6thrust23THRUST_200600_302600_NS4plusIvEElEEDaPvRmT3_T4_T5_mT6_P12ihipStream_tbENKUlT_T0_E_clISt17integral_constantIbLb1EESQ_EEDaSL_SM_EUlSL_E0_NS1_11comp_targetILNS1_3genE10ELNS1_11target_archE1200ELNS1_3gpuE4ELNS1_3repE0EEENS1_30default_config_static_selectorELNS0_4arch9wavefront6targetE1EEEvT1_
                                        ; -- End function
	.set _ZN7rocprim17ROCPRIM_400000_NS6detail17trampoline_kernelINS0_14default_configENS1_20scan_config_selectorIlEEZZNS1_9scan_implILNS1_25lookback_scan_determinismE0ELb0ELb0ES3_PlS8_lN6thrust23THRUST_200600_302600_NS4plusIvEElEEDaPvRmT3_T4_T5_mT6_P12ihipStream_tbENKUlT_T0_E_clISt17integral_constantIbLb1EESQ_EEDaSL_SM_EUlSL_E0_NS1_11comp_targetILNS1_3genE10ELNS1_11target_archE1200ELNS1_3gpuE4ELNS1_3repE0EEENS1_30default_config_static_selectorELNS0_4arch9wavefront6targetE1EEEvT1_.num_vgpr, 0
	.set _ZN7rocprim17ROCPRIM_400000_NS6detail17trampoline_kernelINS0_14default_configENS1_20scan_config_selectorIlEEZZNS1_9scan_implILNS1_25lookback_scan_determinismE0ELb0ELb0ES3_PlS8_lN6thrust23THRUST_200600_302600_NS4plusIvEElEEDaPvRmT3_T4_T5_mT6_P12ihipStream_tbENKUlT_T0_E_clISt17integral_constantIbLb1EESQ_EEDaSL_SM_EUlSL_E0_NS1_11comp_targetILNS1_3genE10ELNS1_11target_archE1200ELNS1_3gpuE4ELNS1_3repE0EEENS1_30default_config_static_selectorELNS0_4arch9wavefront6targetE1EEEvT1_.num_agpr, 0
	.set _ZN7rocprim17ROCPRIM_400000_NS6detail17trampoline_kernelINS0_14default_configENS1_20scan_config_selectorIlEEZZNS1_9scan_implILNS1_25lookback_scan_determinismE0ELb0ELb0ES3_PlS8_lN6thrust23THRUST_200600_302600_NS4plusIvEElEEDaPvRmT3_T4_T5_mT6_P12ihipStream_tbENKUlT_T0_E_clISt17integral_constantIbLb1EESQ_EEDaSL_SM_EUlSL_E0_NS1_11comp_targetILNS1_3genE10ELNS1_11target_archE1200ELNS1_3gpuE4ELNS1_3repE0EEENS1_30default_config_static_selectorELNS0_4arch9wavefront6targetE1EEEvT1_.numbered_sgpr, 0
	.set _ZN7rocprim17ROCPRIM_400000_NS6detail17trampoline_kernelINS0_14default_configENS1_20scan_config_selectorIlEEZZNS1_9scan_implILNS1_25lookback_scan_determinismE0ELb0ELb0ES3_PlS8_lN6thrust23THRUST_200600_302600_NS4plusIvEElEEDaPvRmT3_T4_T5_mT6_P12ihipStream_tbENKUlT_T0_E_clISt17integral_constantIbLb1EESQ_EEDaSL_SM_EUlSL_E0_NS1_11comp_targetILNS1_3genE10ELNS1_11target_archE1200ELNS1_3gpuE4ELNS1_3repE0EEENS1_30default_config_static_selectorELNS0_4arch9wavefront6targetE1EEEvT1_.num_named_barrier, 0
	.set _ZN7rocprim17ROCPRIM_400000_NS6detail17trampoline_kernelINS0_14default_configENS1_20scan_config_selectorIlEEZZNS1_9scan_implILNS1_25lookback_scan_determinismE0ELb0ELb0ES3_PlS8_lN6thrust23THRUST_200600_302600_NS4plusIvEElEEDaPvRmT3_T4_T5_mT6_P12ihipStream_tbENKUlT_T0_E_clISt17integral_constantIbLb1EESQ_EEDaSL_SM_EUlSL_E0_NS1_11comp_targetILNS1_3genE10ELNS1_11target_archE1200ELNS1_3gpuE4ELNS1_3repE0EEENS1_30default_config_static_selectorELNS0_4arch9wavefront6targetE1EEEvT1_.private_seg_size, 0
	.set _ZN7rocprim17ROCPRIM_400000_NS6detail17trampoline_kernelINS0_14default_configENS1_20scan_config_selectorIlEEZZNS1_9scan_implILNS1_25lookback_scan_determinismE0ELb0ELb0ES3_PlS8_lN6thrust23THRUST_200600_302600_NS4plusIvEElEEDaPvRmT3_T4_T5_mT6_P12ihipStream_tbENKUlT_T0_E_clISt17integral_constantIbLb1EESQ_EEDaSL_SM_EUlSL_E0_NS1_11comp_targetILNS1_3genE10ELNS1_11target_archE1200ELNS1_3gpuE4ELNS1_3repE0EEENS1_30default_config_static_selectorELNS0_4arch9wavefront6targetE1EEEvT1_.uses_vcc, 0
	.set _ZN7rocprim17ROCPRIM_400000_NS6detail17trampoline_kernelINS0_14default_configENS1_20scan_config_selectorIlEEZZNS1_9scan_implILNS1_25lookback_scan_determinismE0ELb0ELb0ES3_PlS8_lN6thrust23THRUST_200600_302600_NS4plusIvEElEEDaPvRmT3_T4_T5_mT6_P12ihipStream_tbENKUlT_T0_E_clISt17integral_constantIbLb1EESQ_EEDaSL_SM_EUlSL_E0_NS1_11comp_targetILNS1_3genE10ELNS1_11target_archE1200ELNS1_3gpuE4ELNS1_3repE0EEENS1_30default_config_static_selectorELNS0_4arch9wavefront6targetE1EEEvT1_.uses_flat_scratch, 0
	.set _ZN7rocprim17ROCPRIM_400000_NS6detail17trampoline_kernelINS0_14default_configENS1_20scan_config_selectorIlEEZZNS1_9scan_implILNS1_25lookback_scan_determinismE0ELb0ELb0ES3_PlS8_lN6thrust23THRUST_200600_302600_NS4plusIvEElEEDaPvRmT3_T4_T5_mT6_P12ihipStream_tbENKUlT_T0_E_clISt17integral_constantIbLb1EESQ_EEDaSL_SM_EUlSL_E0_NS1_11comp_targetILNS1_3genE10ELNS1_11target_archE1200ELNS1_3gpuE4ELNS1_3repE0EEENS1_30default_config_static_selectorELNS0_4arch9wavefront6targetE1EEEvT1_.has_dyn_sized_stack, 0
	.set _ZN7rocprim17ROCPRIM_400000_NS6detail17trampoline_kernelINS0_14default_configENS1_20scan_config_selectorIlEEZZNS1_9scan_implILNS1_25lookback_scan_determinismE0ELb0ELb0ES3_PlS8_lN6thrust23THRUST_200600_302600_NS4plusIvEElEEDaPvRmT3_T4_T5_mT6_P12ihipStream_tbENKUlT_T0_E_clISt17integral_constantIbLb1EESQ_EEDaSL_SM_EUlSL_E0_NS1_11comp_targetILNS1_3genE10ELNS1_11target_archE1200ELNS1_3gpuE4ELNS1_3repE0EEENS1_30default_config_static_selectorELNS0_4arch9wavefront6targetE1EEEvT1_.has_recursion, 0
	.set _ZN7rocprim17ROCPRIM_400000_NS6detail17trampoline_kernelINS0_14default_configENS1_20scan_config_selectorIlEEZZNS1_9scan_implILNS1_25lookback_scan_determinismE0ELb0ELb0ES3_PlS8_lN6thrust23THRUST_200600_302600_NS4plusIvEElEEDaPvRmT3_T4_T5_mT6_P12ihipStream_tbENKUlT_T0_E_clISt17integral_constantIbLb1EESQ_EEDaSL_SM_EUlSL_E0_NS1_11comp_targetILNS1_3genE10ELNS1_11target_archE1200ELNS1_3gpuE4ELNS1_3repE0EEENS1_30default_config_static_selectorELNS0_4arch9wavefront6targetE1EEEvT1_.has_indirect_call, 0
	.section	.AMDGPU.csdata,"",@progbits
; Kernel info:
; codeLenInByte = 0
; TotalNumSgprs: 6
; NumVgprs: 0
; NumAgprs: 0
; TotalNumVgprs: 0
; ScratchSize: 0
; MemoryBound: 0
; FloatMode: 240
; IeeeMode: 1
; LDSByteSize: 0 bytes/workgroup (compile time only)
; SGPRBlocks: 0
; VGPRBlocks: 0
; NumSGPRsForWavesPerEU: 6
; NumVGPRsForWavesPerEU: 1
; AccumOffset: 4
; Occupancy: 8
; WaveLimiterHint : 0
; COMPUTE_PGM_RSRC2:SCRATCH_EN: 0
; COMPUTE_PGM_RSRC2:USER_SGPR: 2
; COMPUTE_PGM_RSRC2:TRAP_HANDLER: 0
; COMPUTE_PGM_RSRC2:TGID_X_EN: 1
; COMPUTE_PGM_RSRC2:TGID_Y_EN: 0
; COMPUTE_PGM_RSRC2:TGID_Z_EN: 0
; COMPUTE_PGM_RSRC2:TIDIG_COMP_CNT: 0
; COMPUTE_PGM_RSRC3_GFX90A:ACCUM_OFFSET: 0
; COMPUTE_PGM_RSRC3_GFX90A:TG_SPLIT: 0
	.section	.text._ZN7rocprim17ROCPRIM_400000_NS6detail17trampoline_kernelINS0_14default_configENS1_20scan_config_selectorIlEEZZNS1_9scan_implILNS1_25lookback_scan_determinismE0ELb0ELb0ES3_PlS8_lN6thrust23THRUST_200600_302600_NS4plusIvEElEEDaPvRmT3_T4_T5_mT6_P12ihipStream_tbENKUlT_T0_E_clISt17integral_constantIbLb1EESQ_EEDaSL_SM_EUlSL_E0_NS1_11comp_targetILNS1_3genE9ELNS1_11target_archE1100ELNS1_3gpuE3ELNS1_3repE0EEENS1_30default_config_static_selectorELNS0_4arch9wavefront6targetE1EEEvT1_,"axG",@progbits,_ZN7rocprim17ROCPRIM_400000_NS6detail17trampoline_kernelINS0_14default_configENS1_20scan_config_selectorIlEEZZNS1_9scan_implILNS1_25lookback_scan_determinismE0ELb0ELb0ES3_PlS8_lN6thrust23THRUST_200600_302600_NS4plusIvEElEEDaPvRmT3_T4_T5_mT6_P12ihipStream_tbENKUlT_T0_E_clISt17integral_constantIbLb1EESQ_EEDaSL_SM_EUlSL_E0_NS1_11comp_targetILNS1_3genE9ELNS1_11target_archE1100ELNS1_3gpuE3ELNS1_3repE0EEENS1_30default_config_static_selectorELNS0_4arch9wavefront6targetE1EEEvT1_,comdat
	.protected	_ZN7rocprim17ROCPRIM_400000_NS6detail17trampoline_kernelINS0_14default_configENS1_20scan_config_selectorIlEEZZNS1_9scan_implILNS1_25lookback_scan_determinismE0ELb0ELb0ES3_PlS8_lN6thrust23THRUST_200600_302600_NS4plusIvEElEEDaPvRmT3_T4_T5_mT6_P12ihipStream_tbENKUlT_T0_E_clISt17integral_constantIbLb1EESQ_EEDaSL_SM_EUlSL_E0_NS1_11comp_targetILNS1_3genE9ELNS1_11target_archE1100ELNS1_3gpuE3ELNS1_3repE0EEENS1_30default_config_static_selectorELNS0_4arch9wavefront6targetE1EEEvT1_ ; -- Begin function _ZN7rocprim17ROCPRIM_400000_NS6detail17trampoline_kernelINS0_14default_configENS1_20scan_config_selectorIlEEZZNS1_9scan_implILNS1_25lookback_scan_determinismE0ELb0ELb0ES3_PlS8_lN6thrust23THRUST_200600_302600_NS4plusIvEElEEDaPvRmT3_T4_T5_mT6_P12ihipStream_tbENKUlT_T0_E_clISt17integral_constantIbLb1EESQ_EEDaSL_SM_EUlSL_E0_NS1_11comp_targetILNS1_3genE9ELNS1_11target_archE1100ELNS1_3gpuE3ELNS1_3repE0EEENS1_30default_config_static_selectorELNS0_4arch9wavefront6targetE1EEEvT1_
	.globl	_ZN7rocprim17ROCPRIM_400000_NS6detail17trampoline_kernelINS0_14default_configENS1_20scan_config_selectorIlEEZZNS1_9scan_implILNS1_25lookback_scan_determinismE0ELb0ELb0ES3_PlS8_lN6thrust23THRUST_200600_302600_NS4plusIvEElEEDaPvRmT3_T4_T5_mT6_P12ihipStream_tbENKUlT_T0_E_clISt17integral_constantIbLb1EESQ_EEDaSL_SM_EUlSL_E0_NS1_11comp_targetILNS1_3genE9ELNS1_11target_archE1100ELNS1_3gpuE3ELNS1_3repE0EEENS1_30default_config_static_selectorELNS0_4arch9wavefront6targetE1EEEvT1_
	.p2align	8
	.type	_ZN7rocprim17ROCPRIM_400000_NS6detail17trampoline_kernelINS0_14default_configENS1_20scan_config_selectorIlEEZZNS1_9scan_implILNS1_25lookback_scan_determinismE0ELb0ELb0ES3_PlS8_lN6thrust23THRUST_200600_302600_NS4plusIvEElEEDaPvRmT3_T4_T5_mT6_P12ihipStream_tbENKUlT_T0_E_clISt17integral_constantIbLb1EESQ_EEDaSL_SM_EUlSL_E0_NS1_11comp_targetILNS1_3genE9ELNS1_11target_archE1100ELNS1_3gpuE3ELNS1_3repE0EEENS1_30default_config_static_selectorELNS0_4arch9wavefront6targetE1EEEvT1_,@function
_ZN7rocprim17ROCPRIM_400000_NS6detail17trampoline_kernelINS0_14default_configENS1_20scan_config_selectorIlEEZZNS1_9scan_implILNS1_25lookback_scan_determinismE0ELb0ELb0ES3_PlS8_lN6thrust23THRUST_200600_302600_NS4plusIvEElEEDaPvRmT3_T4_T5_mT6_P12ihipStream_tbENKUlT_T0_E_clISt17integral_constantIbLb1EESQ_EEDaSL_SM_EUlSL_E0_NS1_11comp_targetILNS1_3genE9ELNS1_11target_archE1100ELNS1_3gpuE3ELNS1_3repE0EEENS1_30default_config_static_selectorELNS0_4arch9wavefront6targetE1EEEvT1_: ; @_ZN7rocprim17ROCPRIM_400000_NS6detail17trampoline_kernelINS0_14default_configENS1_20scan_config_selectorIlEEZZNS1_9scan_implILNS1_25lookback_scan_determinismE0ELb0ELb0ES3_PlS8_lN6thrust23THRUST_200600_302600_NS4plusIvEElEEDaPvRmT3_T4_T5_mT6_P12ihipStream_tbENKUlT_T0_E_clISt17integral_constantIbLb1EESQ_EEDaSL_SM_EUlSL_E0_NS1_11comp_targetILNS1_3genE9ELNS1_11target_archE1100ELNS1_3gpuE3ELNS1_3repE0EEENS1_30default_config_static_selectorELNS0_4arch9wavefront6targetE1EEEvT1_
; %bb.0:
	.section	.rodata,"a",@progbits
	.p2align	6, 0x0
	.amdhsa_kernel _ZN7rocprim17ROCPRIM_400000_NS6detail17trampoline_kernelINS0_14default_configENS1_20scan_config_selectorIlEEZZNS1_9scan_implILNS1_25lookback_scan_determinismE0ELb0ELb0ES3_PlS8_lN6thrust23THRUST_200600_302600_NS4plusIvEElEEDaPvRmT3_T4_T5_mT6_P12ihipStream_tbENKUlT_T0_E_clISt17integral_constantIbLb1EESQ_EEDaSL_SM_EUlSL_E0_NS1_11comp_targetILNS1_3genE9ELNS1_11target_archE1100ELNS1_3gpuE3ELNS1_3repE0EEENS1_30default_config_static_selectorELNS0_4arch9wavefront6targetE1EEEvT1_
		.amdhsa_group_segment_fixed_size 0
		.amdhsa_private_segment_fixed_size 0
		.amdhsa_kernarg_size 40
		.amdhsa_user_sgpr_count 2
		.amdhsa_user_sgpr_dispatch_ptr 0
		.amdhsa_user_sgpr_queue_ptr 0
		.amdhsa_user_sgpr_kernarg_segment_ptr 1
		.amdhsa_user_sgpr_dispatch_id 0
		.amdhsa_user_sgpr_kernarg_preload_length 0
		.amdhsa_user_sgpr_kernarg_preload_offset 0
		.amdhsa_user_sgpr_private_segment_size 0
		.amdhsa_uses_dynamic_stack 0
		.amdhsa_enable_private_segment 0
		.amdhsa_system_sgpr_workgroup_id_x 1
		.amdhsa_system_sgpr_workgroup_id_y 0
		.amdhsa_system_sgpr_workgroup_id_z 0
		.amdhsa_system_sgpr_workgroup_info 0
		.amdhsa_system_vgpr_workitem_id 0
		.amdhsa_next_free_vgpr 1
		.amdhsa_next_free_sgpr 0
		.amdhsa_accum_offset 4
		.amdhsa_reserve_vcc 0
		.amdhsa_float_round_mode_32 0
		.amdhsa_float_round_mode_16_64 0
		.amdhsa_float_denorm_mode_32 3
		.amdhsa_float_denorm_mode_16_64 3
		.amdhsa_dx10_clamp 1
		.amdhsa_ieee_mode 1
		.amdhsa_fp16_overflow 0
		.amdhsa_tg_split 0
		.amdhsa_exception_fp_ieee_invalid_op 0
		.amdhsa_exception_fp_denorm_src 0
		.amdhsa_exception_fp_ieee_div_zero 0
		.amdhsa_exception_fp_ieee_overflow 0
		.amdhsa_exception_fp_ieee_underflow 0
		.amdhsa_exception_fp_ieee_inexact 0
		.amdhsa_exception_int_div_zero 0
	.end_amdhsa_kernel
	.section	.text._ZN7rocprim17ROCPRIM_400000_NS6detail17trampoline_kernelINS0_14default_configENS1_20scan_config_selectorIlEEZZNS1_9scan_implILNS1_25lookback_scan_determinismE0ELb0ELb0ES3_PlS8_lN6thrust23THRUST_200600_302600_NS4plusIvEElEEDaPvRmT3_T4_T5_mT6_P12ihipStream_tbENKUlT_T0_E_clISt17integral_constantIbLb1EESQ_EEDaSL_SM_EUlSL_E0_NS1_11comp_targetILNS1_3genE9ELNS1_11target_archE1100ELNS1_3gpuE3ELNS1_3repE0EEENS1_30default_config_static_selectorELNS0_4arch9wavefront6targetE1EEEvT1_,"axG",@progbits,_ZN7rocprim17ROCPRIM_400000_NS6detail17trampoline_kernelINS0_14default_configENS1_20scan_config_selectorIlEEZZNS1_9scan_implILNS1_25lookback_scan_determinismE0ELb0ELb0ES3_PlS8_lN6thrust23THRUST_200600_302600_NS4plusIvEElEEDaPvRmT3_T4_T5_mT6_P12ihipStream_tbENKUlT_T0_E_clISt17integral_constantIbLb1EESQ_EEDaSL_SM_EUlSL_E0_NS1_11comp_targetILNS1_3genE9ELNS1_11target_archE1100ELNS1_3gpuE3ELNS1_3repE0EEENS1_30default_config_static_selectorELNS0_4arch9wavefront6targetE1EEEvT1_,comdat
.Lfunc_end119:
	.size	_ZN7rocprim17ROCPRIM_400000_NS6detail17trampoline_kernelINS0_14default_configENS1_20scan_config_selectorIlEEZZNS1_9scan_implILNS1_25lookback_scan_determinismE0ELb0ELb0ES3_PlS8_lN6thrust23THRUST_200600_302600_NS4plusIvEElEEDaPvRmT3_T4_T5_mT6_P12ihipStream_tbENKUlT_T0_E_clISt17integral_constantIbLb1EESQ_EEDaSL_SM_EUlSL_E0_NS1_11comp_targetILNS1_3genE9ELNS1_11target_archE1100ELNS1_3gpuE3ELNS1_3repE0EEENS1_30default_config_static_selectorELNS0_4arch9wavefront6targetE1EEEvT1_, .Lfunc_end119-_ZN7rocprim17ROCPRIM_400000_NS6detail17trampoline_kernelINS0_14default_configENS1_20scan_config_selectorIlEEZZNS1_9scan_implILNS1_25lookback_scan_determinismE0ELb0ELb0ES3_PlS8_lN6thrust23THRUST_200600_302600_NS4plusIvEElEEDaPvRmT3_T4_T5_mT6_P12ihipStream_tbENKUlT_T0_E_clISt17integral_constantIbLb1EESQ_EEDaSL_SM_EUlSL_E0_NS1_11comp_targetILNS1_3genE9ELNS1_11target_archE1100ELNS1_3gpuE3ELNS1_3repE0EEENS1_30default_config_static_selectorELNS0_4arch9wavefront6targetE1EEEvT1_
                                        ; -- End function
	.set _ZN7rocprim17ROCPRIM_400000_NS6detail17trampoline_kernelINS0_14default_configENS1_20scan_config_selectorIlEEZZNS1_9scan_implILNS1_25lookback_scan_determinismE0ELb0ELb0ES3_PlS8_lN6thrust23THRUST_200600_302600_NS4plusIvEElEEDaPvRmT3_T4_T5_mT6_P12ihipStream_tbENKUlT_T0_E_clISt17integral_constantIbLb1EESQ_EEDaSL_SM_EUlSL_E0_NS1_11comp_targetILNS1_3genE9ELNS1_11target_archE1100ELNS1_3gpuE3ELNS1_3repE0EEENS1_30default_config_static_selectorELNS0_4arch9wavefront6targetE1EEEvT1_.num_vgpr, 0
	.set _ZN7rocprim17ROCPRIM_400000_NS6detail17trampoline_kernelINS0_14default_configENS1_20scan_config_selectorIlEEZZNS1_9scan_implILNS1_25lookback_scan_determinismE0ELb0ELb0ES3_PlS8_lN6thrust23THRUST_200600_302600_NS4plusIvEElEEDaPvRmT3_T4_T5_mT6_P12ihipStream_tbENKUlT_T0_E_clISt17integral_constantIbLb1EESQ_EEDaSL_SM_EUlSL_E0_NS1_11comp_targetILNS1_3genE9ELNS1_11target_archE1100ELNS1_3gpuE3ELNS1_3repE0EEENS1_30default_config_static_selectorELNS0_4arch9wavefront6targetE1EEEvT1_.num_agpr, 0
	.set _ZN7rocprim17ROCPRIM_400000_NS6detail17trampoline_kernelINS0_14default_configENS1_20scan_config_selectorIlEEZZNS1_9scan_implILNS1_25lookback_scan_determinismE0ELb0ELb0ES3_PlS8_lN6thrust23THRUST_200600_302600_NS4plusIvEElEEDaPvRmT3_T4_T5_mT6_P12ihipStream_tbENKUlT_T0_E_clISt17integral_constantIbLb1EESQ_EEDaSL_SM_EUlSL_E0_NS1_11comp_targetILNS1_3genE9ELNS1_11target_archE1100ELNS1_3gpuE3ELNS1_3repE0EEENS1_30default_config_static_selectorELNS0_4arch9wavefront6targetE1EEEvT1_.numbered_sgpr, 0
	.set _ZN7rocprim17ROCPRIM_400000_NS6detail17trampoline_kernelINS0_14default_configENS1_20scan_config_selectorIlEEZZNS1_9scan_implILNS1_25lookback_scan_determinismE0ELb0ELb0ES3_PlS8_lN6thrust23THRUST_200600_302600_NS4plusIvEElEEDaPvRmT3_T4_T5_mT6_P12ihipStream_tbENKUlT_T0_E_clISt17integral_constantIbLb1EESQ_EEDaSL_SM_EUlSL_E0_NS1_11comp_targetILNS1_3genE9ELNS1_11target_archE1100ELNS1_3gpuE3ELNS1_3repE0EEENS1_30default_config_static_selectorELNS0_4arch9wavefront6targetE1EEEvT1_.num_named_barrier, 0
	.set _ZN7rocprim17ROCPRIM_400000_NS6detail17trampoline_kernelINS0_14default_configENS1_20scan_config_selectorIlEEZZNS1_9scan_implILNS1_25lookback_scan_determinismE0ELb0ELb0ES3_PlS8_lN6thrust23THRUST_200600_302600_NS4plusIvEElEEDaPvRmT3_T4_T5_mT6_P12ihipStream_tbENKUlT_T0_E_clISt17integral_constantIbLb1EESQ_EEDaSL_SM_EUlSL_E0_NS1_11comp_targetILNS1_3genE9ELNS1_11target_archE1100ELNS1_3gpuE3ELNS1_3repE0EEENS1_30default_config_static_selectorELNS0_4arch9wavefront6targetE1EEEvT1_.private_seg_size, 0
	.set _ZN7rocprim17ROCPRIM_400000_NS6detail17trampoline_kernelINS0_14default_configENS1_20scan_config_selectorIlEEZZNS1_9scan_implILNS1_25lookback_scan_determinismE0ELb0ELb0ES3_PlS8_lN6thrust23THRUST_200600_302600_NS4plusIvEElEEDaPvRmT3_T4_T5_mT6_P12ihipStream_tbENKUlT_T0_E_clISt17integral_constantIbLb1EESQ_EEDaSL_SM_EUlSL_E0_NS1_11comp_targetILNS1_3genE9ELNS1_11target_archE1100ELNS1_3gpuE3ELNS1_3repE0EEENS1_30default_config_static_selectorELNS0_4arch9wavefront6targetE1EEEvT1_.uses_vcc, 0
	.set _ZN7rocprim17ROCPRIM_400000_NS6detail17trampoline_kernelINS0_14default_configENS1_20scan_config_selectorIlEEZZNS1_9scan_implILNS1_25lookback_scan_determinismE0ELb0ELb0ES3_PlS8_lN6thrust23THRUST_200600_302600_NS4plusIvEElEEDaPvRmT3_T4_T5_mT6_P12ihipStream_tbENKUlT_T0_E_clISt17integral_constantIbLb1EESQ_EEDaSL_SM_EUlSL_E0_NS1_11comp_targetILNS1_3genE9ELNS1_11target_archE1100ELNS1_3gpuE3ELNS1_3repE0EEENS1_30default_config_static_selectorELNS0_4arch9wavefront6targetE1EEEvT1_.uses_flat_scratch, 0
	.set _ZN7rocprim17ROCPRIM_400000_NS6detail17trampoline_kernelINS0_14default_configENS1_20scan_config_selectorIlEEZZNS1_9scan_implILNS1_25lookback_scan_determinismE0ELb0ELb0ES3_PlS8_lN6thrust23THRUST_200600_302600_NS4plusIvEElEEDaPvRmT3_T4_T5_mT6_P12ihipStream_tbENKUlT_T0_E_clISt17integral_constantIbLb1EESQ_EEDaSL_SM_EUlSL_E0_NS1_11comp_targetILNS1_3genE9ELNS1_11target_archE1100ELNS1_3gpuE3ELNS1_3repE0EEENS1_30default_config_static_selectorELNS0_4arch9wavefront6targetE1EEEvT1_.has_dyn_sized_stack, 0
	.set _ZN7rocprim17ROCPRIM_400000_NS6detail17trampoline_kernelINS0_14default_configENS1_20scan_config_selectorIlEEZZNS1_9scan_implILNS1_25lookback_scan_determinismE0ELb0ELb0ES3_PlS8_lN6thrust23THRUST_200600_302600_NS4plusIvEElEEDaPvRmT3_T4_T5_mT6_P12ihipStream_tbENKUlT_T0_E_clISt17integral_constantIbLb1EESQ_EEDaSL_SM_EUlSL_E0_NS1_11comp_targetILNS1_3genE9ELNS1_11target_archE1100ELNS1_3gpuE3ELNS1_3repE0EEENS1_30default_config_static_selectorELNS0_4arch9wavefront6targetE1EEEvT1_.has_recursion, 0
	.set _ZN7rocprim17ROCPRIM_400000_NS6detail17trampoline_kernelINS0_14default_configENS1_20scan_config_selectorIlEEZZNS1_9scan_implILNS1_25lookback_scan_determinismE0ELb0ELb0ES3_PlS8_lN6thrust23THRUST_200600_302600_NS4plusIvEElEEDaPvRmT3_T4_T5_mT6_P12ihipStream_tbENKUlT_T0_E_clISt17integral_constantIbLb1EESQ_EEDaSL_SM_EUlSL_E0_NS1_11comp_targetILNS1_3genE9ELNS1_11target_archE1100ELNS1_3gpuE3ELNS1_3repE0EEENS1_30default_config_static_selectorELNS0_4arch9wavefront6targetE1EEEvT1_.has_indirect_call, 0
	.section	.AMDGPU.csdata,"",@progbits
; Kernel info:
; codeLenInByte = 0
; TotalNumSgprs: 6
; NumVgprs: 0
; NumAgprs: 0
; TotalNumVgprs: 0
; ScratchSize: 0
; MemoryBound: 0
; FloatMode: 240
; IeeeMode: 1
; LDSByteSize: 0 bytes/workgroup (compile time only)
; SGPRBlocks: 0
; VGPRBlocks: 0
; NumSGPRsForWavesPerEU: 6
; NumVGPRsForWavesPerEU: 1
; AccumOffset: 4
; Occupancy: 8
; WaveLimiterHint : 0
; COMPUTE_PGM_RSRC2:SCRATCH_EN: 0
; COMPUTE_PGM_RSRC2:USER_SGPR: 2
; COMPUTE_PGM_RSRC2:TRAP_HANDLER: 0
; COMPUTE_PGM_RSRC2:TGID_X_EN: 1
; COMPUTE_PGM_RSRC2:TGID_Y_EN: 0
; COMPUTE_PGM_RSRC2:TGID_Z_EN: 0
; COMPUTE_PGM_RSRC2:TIDIG_COMP_CNT: 0
; COMPUTE_PGM_RSRC3_GFX90A:ACCUM_OFFSET: 0
; COMPUTE_PGM_RSRC3_GFX90A:TG_SPLIT: 0
	.section	.text._ZN7rocprim17ROCPRIM_400000_NS6detail17trampoline_kernelINS0_14default_configENS1_20scan_config_selectorIlEEZZNS1_9scan_implILNS1_25lookback_scan_determinismE0ELb0ELb0ES3_PlS8_lN6thrust23THRUST_200600_302600_NS4plusIvEElEEDaPvRmT3_T4_T5_mT6_P12ihipStream_tbENKUlT_T0_E_clISt17integral_constantIbLb1EESQ_EEDaSL_SM_EUlSL_E0_NS1_11comp_targetILNS1_3genE8ELNS1_11target_archE1030ELNS1_3gpuE2ELNS1_3repE0EEENS1_30default_config_static_selectorELNS0_4arch9wavefront6targetE1EEEvT1_,"axG",@progbits,_ZN7rocprim17ROCPRIM_400000_NS6detail17trampoline_kernelINS0_14default_configENS1_20scan_config_selectorIlEEZZNS1_9scan_implILNS1_25lookback_scan_determinismE0ELb0ELb0ES3_PlS8_lN6thrust23THRUST_200600_302600_NS4plusIvEElEEDaPvRmT3_T4_T5_mT6_P12ihipStream_tbENKUlT_T0_E_clISt17integral_constantIbLb1EESQ_EEDaSL_SM_EUlSL_E0_NS1_11comp_targetILNS1_3genE8ELNS1_11target_archE1030ELNS1_3gpuE2ELNS1_3repE0EEENS1_30default_config_static_selectorELNS0_4arch9wavefront6targetE1EEEvT1_,comdat
	.protected	_ZN7rocprim17ROCPRIM_400000_NS6detail17trampoline_kernelINS0_14default_configENS1_20scan_config_selectorIlEEZZNS1_9scan_implILNS1_25lookback_scan_determinismE0ELb0ELb0ES3_PlS8_lN6thrust23THRUST_200600_302600_NS4plusIvEElEEDaPvRmT3_T4_T5_mT6_P12ihipStream_tbENKUlT_T0_E_clISt17integral_constantIbLb1EESQ_EEDaSL_SM_EUlSL_E0_NS1_11comp_targetILNS1_3genE8ELNS1_11target_archE1030ELNS1_3gpuE2ELNS1_3repE0EEENS1_30default_config_static_selectorELNS0_4arch9wavefront6targetE1EEEvT1_ ; -- Begin function _ZN7rocprim17ROCPRIM_400000_NS6detail17trampoline_kernelINS0_14default_configENS1_20scan_config_selectorIlEEZZNS1_9scan_implILNS1_25lookback_scan_determinismE0ELb0ELb0ES3_PlS8_lN6thrust23THRUST_200600_302600_NS4plusIvEElEEDaPvRmT3_T4_T5_mT6_P12ihipStream_tbENKUlT_T0_E_clISt17integral_constantIbLb1EESQ_EEDaSL_SM_EUlSL_E0_NS1_11comp_targetILNS1_3genE8ELNS1_11target_archE1030ELNS1_3gpuE2ELNS1_3repE0EEENS1_30default_config_static_selectorELNS0_4arch9wavefront6targetE1EEEvT1_
	.globl	_ZN7rocprim17ROCPRIM_400000_NS6detail17trampoline_kernelINS0_14default_configENS1_20scan_config_selectorIlEEZZNS1_9scan_implILNS1_25lookback_scan_determinismE0ELb0ELb0ES3_PlS8_lN6thrust23THRUST_200600_302600_NS4plusIvEElEEDaPvRmT3_T4_T5_mT6_P12ihipStream_tbENKUlT_T0_E_clISt17integral_constantIbLb1EESQ_EEDaSL_SM_EUlSL_E0_NS1_11comp_targetILNS1_3genE8ELNS1_11target_archE1030ELNS1_3gpuE2ELNS1_3repE0EEENS1_30default_config_static_selectorELNS0_4arch9wavefront6targetE1EEEvT1_
	.p2align	8
	.type	_ZN7rocprim17ROCPRIM_400000_NS6detail17trampoline_kernelINS0_14default_configENS1_20scan_config_selectorIlEEZZNS1_9scan_implILNS1_25lookback_scan_determinismE0ELb0ELb0ES3_PlS8_lN6thrust23THRUST_200600_302600_NS4plusIvEElEEDaPvRmT3_T4_T5_mT6_P12ihipStream_tbENKUlT_T0_E_clISt17integral_constantIbLb1EESQ_EEDaSL_SM_EUlSL_E0_NS1_11comp_targetILNS1_3genE8ELNS1_11target_archE1030ELNS1_3gpuE2ELNS1_3repE0EEENS1_30default_config_static_selectorELNS0_4arch9wavefront6targetE1EEEvT1_,@function
_ZN7rocprim17ROCPRIM_400000_NS6detail17trampoline_kernelINS0_14default_configENS1_20scan_config_selectorIlEEZZNS1_9scan_implILNS1_25lookback_scan_determinismE0ELb0ELb0ES3_PlS8_lN6thrust23THRUST_200600_302600_NS4plusIvEElEEDaPvRmT3_T4_T5_mT6_P12ihipStream_tbENKUlT_T0_E_clISt17integral_constantIbLb1EESQ_EEDaSL_SM_EUlSL_E0_NS1_11comp_targetILNS1_3genE8ELNS1_11target_archE1030ELNS1_3gpuE2ELNS1_3repE0EEENS1_30default_config_static_selectorELNS0_4arch9wavefront6targetE1EEEvT1_: ; @_ZN7rocprim17ROCPRIM_400000_NS6detail17trampoline_kernelINS0_14default_configENS1_20scan_config_selectorIlEEZZNS1_9scan_implILNS1_25lookback_scan_determinismE0ELb0ELb0ES3_PlS8_lN6thrust23THRUST_200600_302600_NS4plusIvEElEEDaPvRmT3_T4_T5_mT6_P12ihipStream_tbENKUlT_T0_E_clISt17integral_constantIbLb1EESQ_EEDaSL_SM_EUlSL_E0_NS1_11comp_targetILNS1_3genE8ELNS1_11target_archE1030ELNS1_3gpuE2ELNS1_3repE0EEENS1_30default_config_static_selectorELNS0_4arch9wavefront6targetE1EEEvT1_
; %bb.0:
	.section	.rodata,"a",@progbits
	.p2align	6, 0x0
	.amdhsa_kernel _ZN7rocprim17ROCPRIM_400000_NS6detail17trampoline_kernelINS0_14default_configENS1_20scan_config_selectorIlEEZZNS1_9scan_implILNS1_25lookback_scan_determinismE0ELb0ELb0ES3_PlS8_lN6thrust23THRUST_200600_302600_NS4plusIvEElEEDaPvRmT3_T4_T5_mT6_P12ihipStream_tbENKUlT_T0_E_clISt17integral_constantIbLb1EESQ_EEDaSL_SM_EUlSL_E0_NS1_11comp_targetILNS1_3genE8ELNS1_11target_archE1030ELNS1_3gpuE2ELNS1_3repE0EEENS1_30default_config_static_selectorELNS0_4arch9wavefront6targetE1EEEvT1_
		.amdhsa_group_segment_fixed_size 0
		.amdhsa_private_segment_fixed_size 0
		.amdhsa_kernarg_size 40
		.amdhsa_user_sgpr_count 2
		.amdhsa_user_sgpr_dispatch_ptr 0
		.amdhsa_user_sgpr_queue_ptr 0
		.amdhsa_user_sgpr_kernarg_segment_ptr 1
		.amdhsa_user_sgpr_dispatch_id 0
		.amdhsa_user_sgpr_kernarg_preload_length 0
		.amdhsa_user_sgpr_kernarg_preload_offset 0
		.amdhsa_user_sgpr_private_segment_size 0
		.amdhsa_uses_dynamic_stack 0
		.amdhsa_enable_private_segment 0
		.amdhsa_system_sgpr_workgroup_id_x 1
		.amdhsa_system_sgpr_workgroup_id_y 0
		.amdhsa_system_sgpr_workgroup_id_z 0
		.amdhsa_system_sgpr_workgroup_info 0
		.amdhsa_system_vgpr_workitem_id 0
		.amdhsa_next_free_vgpr 1
		.amdhsa_next_free_sgpr 0
		.amdhsa_accum_offset 4
		.amdhsa_reserve_vcc 0
		.amdhsa_float_round_mode_32 0
		.amdhsa_float_round_mode_16_64 0
		.amdhsa_float_denorm_mode_32 3
		.amdhsa_float_denorm_mode_16_64 3
		.amdhsa_dx10_clamp 1
		.amdhsa_ieee_mode 1
		.amdhsa_fp16_overflow 0
		.amdhsa_tg_split 0
		.amdhsa_exception_fp_ieee_invalid_op 0
		.amdhsa_exception_fp_denorm_src 0
		.amdhsa_exception_fp_ieee_div_zero 0
		.amdhsa_exception_fp_ieee_overflow 0
		.amdhsa_exception_fp_ieee_underflow 0
		.amdhsa_exception_fp_ieee_inexact 0
		.amdhsa_exception_int_div_zero 0
	.end_amdhsa_kernel
	.section	.text._ZN7rocprim17ROCPRIM_400000_NS6detail17trampoline_kernelINS0_14default_configENS1_20scan_config_selectorIlEEZZNS1_9scan_implILNS1_25lookback_scan_determinismE0ELb0ELb0ES3_PlS8_lN6thrust23THRUST_200600_302600_NS4plusIvEElEEDaPvRmT3_T4_T5_mT6_P12ihipStream_tbENKUlT_T0_E_clISt17integral_constantIbLb1EESQ_EEDaSL_SM_EUlSL_E0_NS1_11comp_targetILNS1_3genE8ELNS1_11target_archE1030ELNS1_3gpuE2ELNS1_3repE0EEENS1_30default_config_static_selectorELNS0_4arch9wavefront6targetE1EEEvT1_,"axG",@progbits,_ZN7rocprim17ROCPRIM_400000_NS6detail17trampoline_kernelINS0_14default_configENS1_20scan_config_selectorIlEEZZNS1_9scan_implILNS1_25lookback_scan_determinismE0ELb0ELb0ES3_PlS8_lN6thrust23THRUST_200600_302600_NS4plusIvEElEEDaPvRmT3_T4_T5_mT6_P12ihipStream_tbENKUlT_T0_E_clISt17integral_constantIbLb1EESQ_EEDaSL_SM_EUlSL_E0_NS1_11comp_targetILNS1_3genE8ELNS1_11target_archE1030ELNS1_3gpuE2ELNS1_3repE0EEENS1_30default_config_static_selectorELNS0_4arch9wavefront6targetE1EEEvT1_,comdat
.Lfunc_end120:
	.size	_ZN7rocprim17ROCPRIM_400000_NS6detail17trampoline_kernelINS0_14default_configENS1_20scan_config_selectorIlEEZZNS1_9scan_implILNS1_25lookback_scan_determinismE0ELb0ELb0ES3_PlS8_lN6thrust23THRUST_200600_302600_NS4plusIvEElEEDaPvRmT3_T4_T5_mT6_P12ihipStream_tbENKUlT_T0_E_clISt17integral_constantIbLb1EESQ_EEDaSL_SM_EUlSL_E0_NS1_11comp_targetILNS1_3genE8ELNS1_11target_archE1030ELNS1_3gpuE2ELNS1_3repE0EEENS1_30default_config_static_selectorELNS0_4arch9wavefront6targetE1EEEvT1_, .Lfunc_end120-_ZN7rocprim17ROCPRIM_400000_NS6detail17trampoline_kernelINS0_14default_configENS1_20scan_config_selectorIlEEZZNS1_9scan_implILNS1_25lookback_scan_determinismE0ELb0ELb0ES3_PlS8_lN6thrust23THRUST_200600_302600_NS4plusIvEElEEDaPvRmT3_T4_T5_mT6_P12ihipStream_tbENKUlT_T0_E_clISt17integral_constantIbLb1EESQ_EEDaSL_SM_EUlSL_E0_NS1_11comp_targetILNS1_3genE8ELNS1_11target_archE1030ELNS1_3gpuE2ELNS1_3repE0EEENS1_30default_config_static_selectorELNS0_4arch9wavefront6targetE1EEEvT1_
                                        ; -- End function
	.set _ZN7rocprim17ROCPRIM_400000_NS6detail17trampoline_kernelINS0_14default_configENS1_20scan_config_selectorIlEEZZNS1_9scan_implILNS1_25lookback_scan_determinismE0ELb0ELb0ES3_PlS8_lN6thrust23THRUST_200600_302600_NS4plusIvEElEEDaPvRmT3_T4_T5_mT6_P12ihipStream_tbENKUlT_T0_E_clISt17integral_constantIbLb1EESQ_EEDaSL_SM_EUlSL_E0_NS1_11comp_targetILNS1_3genE8ELNS1_11target_archE1030ELNS1_3gpuE2ELNS1_3repE0EEENS1_30default_config_static_selectorELNS0_4arch9wavefront6targetE1EEEvT1_.num_vgpr, 0
	.set _ZN7rocprim17ROCPRIM_400000_NS6detail17trampoline_kernelINS0_14default_configENS1_20scan_config_selectorIlEEZZNS1_9scan_implILNS1_25lookback_scan_determinismE0ELb0ELb0ES3_PlS8_lN6thrust23THRUST_200600_302600_NS4plusIvEElEEDaPvRmT3_T4_T5_mT6_P12ihipStream_tbENKUlT_T0_E_clISt17integral_constantIbLb1EESQ_EEDaSL_SM_EUlSL_E0_NS1_11comp_targetILNS1_3genE8ELNS1_11target_archE1030ELNS1_3gpuE2ELNS1_3repE0EEENS1_30default_config_static_selectorELNS0_4arch9wavefront6targetE1EEEvT1_.num_agpr, 0
	.set _ZN7rocprim17ROCPRIM_400000_NS6detail17trampoline_kernelINS0_14default_configENS1_20scan_config_selectorIlEEZZNS1_9scan_implILNS1_25lookback_scan_determinismE0ELb0ELb0ES3_PlS8_lN6thrust23THRUST_200600_302600_NS4plusIvEElEEDaPvRmT3_T4_T5_mT6_P12ihipStream_tbENKUlT_T0_E_clISt17integral_constantIbLb1EESQ_EEDaSL_SM_EUlSL_E0_NS1_11comp_targetILNS1_3genE8ELNS1_11target_archE1030ELNS1_3gpuE2ELNS1_3repE0EEENS1_30default_config_static_selectorELNS0_4arch9wavefront6targetE1EEEvT1_.numbered_sgpr, 0
	.set _ZN7rocprim17ROCPRIM_400000_NS6detail17trampoline_kernelINS0_14default_configENS1_20scan_config_selectorIlEEZZNS1_9scan_implILNS1_25lookback_scan_determinismE0ELb0ELb0ES3_PlS8_lN6thrust23THRUST_200600_302600_NS4plusIvEElEEDaPvRmT3_T4_T5_mT6_P12ihipStream_tbENKUlT_T0_E_clISt17integral_constantIbLb1EESQ_EEDaSL_SM_EUlSL_E0_NS1_11comp_targetILNS1_3genE8ELNS1_11target_archE1030ELNS1_3gpuE2ELNS1_3repE0EEENS1_30default_config_static_selectorELNS0_4arch9wavefront6targetE1EEEvT1_.num_named_barrier, 0
	.set _ZN7rocprim17ROCPRIM_400000_NS6detail17trampoline_kernelINS0_14default_configENS1_20scan_config_selectorIlEEZZNS1_9scan_implILNS1_25lookback_scan_determinismE0ELb0ELb0ES3_PlS8_lN6thrust23THRUST_200600_302600_NS4plusIvEElEEDaPvRmT3_T4_T5_mT6_P12ihipStream_tbENKUlT_T0_E_clISt17integral_constantIbLb1EESQ_EEDaSL_SM_EUlSL_E0_NS1_11comp_targetILNS1_3genE8ELNS1_11target_archE1030ELNS1_3gpuE2ELNS1_3repE0EEENS1_30default_config_static_selectorELNS0_4arch9wavefront6targetE1EEEvT1_.private_seg_size, 0
	.set _ZN7rocprim17ROCPRIM_400000_NS6detail17trampoline_kernelINS0_14default_configENS1_20scan_config_selectorIlEEZZNS1_9scan_implILNS1_25lookback_scan_determinismE0ELb0ELb0ES3_PlS8_lN6thrust23THRUST_200600_302600_NS4plusIvEElEEDaPvRmT3_T4_T5_mT6_P12ihipStream_tbENKUlT_T0_E_clISt17integral_constantIbLb1EESQ_EEDaSL_SM_EUlSL_E0_NS1_11comp_targetILNS1_3genE8ELNS1_11target_archE1030ELNS1_3gpuE2ELNS1_3repE0EEENS1_30default_config_static_selectorELNS0_4arch9wavefront6targetE1EEEvT1_.uses_vcc, 0
	.set _ZN7rocprim17ROCPRIM_400000_NS6detail17trampoline_kernelINS0_14default_configENS1_20scan_config_selectorIlEEZZNS1_9scan_implILNS1_25lookback_scan_determinismE0ELb0ELb0ES3_PlS8_lN6thrust23THRUST_200600_302600_NS4plusIvEElEEDaPvRmT3_T4_T5_mT6_P12ihipStream_tbENKUlT_T0_E_clISt17integral_constantIbLb1EESQ_EEDaSL_SM_EUlSL_E0_NS1_11comp_targetILNS1_3genE8ELNS1_11target_archE1030ELNS1_3gpuE2ELNS1_3repE0EEENS1_30default_config_static_selectorELNS0_4arch9wavefront6targetE1EEEvT1_.uses_flat_scratch, 0
	.set _ZN7rocprim17ROCPRIM_400000_NS6detail17trampoline_kernelINS0_14default_configENS1_20scan_config_selectorIlEEZZNS1_9scan_implILNS1_25lookback_scan_determinismE0ELb0ELb0ES3_PlS8_lN6thrust23THRUST_200600_302600_NS4plusIvEElEEDaPvRmT3_T4_T5_mT6_P12ihipStream_tbENKUlT_T0_E_clISt17integral_constantIbLb1EESQ_EEDaSL_SM_EUlSL_E0_NS1_11comp_targetILNS1_3genE8ELNS1_11target_archE1030ELNS1_3gpuE2ELNS1_3repE0EEENS1_30default_config_static_selectorELNS0_4arch9wavefront6targetE1EEEvT1_.has_dyn_sized_stack, 0
	.set _ZN7rocprim17ROCPRIM_400000_NS6detail17trampoline_kernelINS0_14default_configENS1_20scan_config_selectorIlEEZZNS1_9scan_implILNS1_25lookback_scan_determinismE0ELb0ELb0ES3_PlS8_lN6thrust23THRUST_200600_302600_NS4plusIvEElEEDaPvRmT3_T4_T5_mT6_P12ihipStream_tbENKUlT_T0_E_clISt17integral_constantIbLb1EESQ_EEDaSL_SM_EUlSL_E0_NS1_11comp_targetILNS1_3genE8ELNS1_11target_archE1030ELNS1_3gpuE2ELNS1_3repE0EEENS1_30default_config_static_selectorELNS0_4arch9wavefront6targetE1EEEvT1_.has_recursion, 0
	.set _ZN7rocprim17ROCPRIM_400000_NS6detail17trampoline_kernelINS0_14default_configENS1_20scan_config_selectorIlEEZZNS1_9scan_implILNS1_25lookback_scan_determinismE0ELb0ELb0ES3_PlS8_lN6thrust23THRUST_200600_302600_NS4plusIvEElEEDaPvRmT3_T4_T5_mT6_P12ihipStream_tbENKUlT_T0_E_clISt17integral_constantIbLb1EESQ_EEDaSL_SM_EUlSL_E0_NS1_11comp_targetILNS1_3genE8ELNS1_11target_archE1030ELNS1_3gpuE2ELNS1_3repE0EEENS1_30default_config_static_selectorELNS0_4arch9wavefront6targetE1EEEvT1_.has_indirect_call, 0
	.section	.AMDGPU.csdata,"",@progbits
; Kernel info:
; codeLenInByte = 0
; TotalNumSgprs: 6
; NumVgprs: 0
; NumAgprs: 0
; TotalNumVgprs: 0
; ScratchSize: 0
; MemoryBound: 0
; FloatMode: 240
; IeeeMode: 1
; LDSByteSize: 0 bytes/workgroup (compile time only)
; SGPRBlocks: 0
; VGPRBlocks: 0
; NumSGPRsForWavesPerEU: 6
; NumVGPRsForWavesPerEU: 1
; AccumOffset: 4
; Occupancy: 8
; WaveLimiterHint : 0
; COMPUTE_PGM_RSRC2:SCRATCH_EN: 0
; COMPUTE_PGM_RSRC2:USER_SGPR: 2
; COMPUTE_PGM_RSRC2:TRAP_HANDLER: 0
; COMPUTE_PGM_RSRC2:TGID_X_EN: 1
; COMPUTE_PGM_RSRC2:TGID_Y_EN: 0
; COMPUTE_PGM_RSRC2:TGID_Z_EN: 0
; COMPUTE_PGM_RSRC2:TIDIG_COMP_CNT: 0
; COMPUTE_PGM_RSRC3_GFX90A:ACCUM_OFFSET: 0
; COMPUTE_PGM_RSRC3_GFX90A:TG_SPLIT: 0
	.section	.text._ZN7rocprim17ROCPRIM_400000_NS6detail31init_lookback_scan_state_kernelINS1_19lookback_scan_stateIlLb1ELb1EEENS1_16block_id_wrapperIjLb0EEEEEvT_jT0_jPNS7_10value_typeE,"axG",@progbits,_ZN7rocprim17ROCPRIM_400000_NS6detail31init_lookback_scan_state_kernelINS1_19lookback_scan_stateIlLb1ELb1EEENS1_16block_id_wrapperIjLb0EEEEEvT_jT0_jPNS7_10value_typeE,comdat
	.protected	_ZN7rocprim17ROCPRIM_400000_NS6detail31init_lookback_scan_state_kernelINS1_19lookback_scan_stateIlLb1ELb1EEENS1_16block_id_wrapperIjLb0EEEEEvT_jT0_jPNS7_10value_typeE ; -- Begin function _ZN7rocprim17ROCPRIM_400000_NS6detail31init_lookback_scan_state_kernelINS1_19lookback_scan_stateIlLb1ELb1EEENS1_16block_id_wrapperIjLb0EEEEEvT_jT0_jPNS7_10value_typeE
	.globl	_ZN7rocprim17ROCPRIM_400000_NS6detail31init_lookback_scan_state_kernelINS1_19lookback_scan_stateIlLb1ELb1EEENS1_16block_id_wrapperIjLb0EEEEEvT_jT0_jPNS7_10value_typeE
	.p2align	8
	.type	_ZN7rocprim17ROCPRIM_400000_NS6detail31init_lookback_scan_state_kernelINS1_19lookback_scan_stateIlLb1ELb1EEENS1_16block_id_wrapperIjLb0EEEEEvT_jT0_jPNS7_10value_typeE,@function
_ZN7rocprim17ROCPRIM_400000_NS6detail31init_lookback_scan_state_kernelINS1_19lookback_scan_stateIlLb1ELb1EEENS1_16block_id_wrapperIjLb0EEEEEvT_jT0_jPNS7_10value_typeE: ; @_ZN7rocprim17ROCPRIM_400000_NS6detail31init_lookback_scan_state_kernelINS1_19lookback_scan_stateIlLb1ELb1EEENS1_16block_id_wrapperIjLb0EEEEEvT_jT0_jPNS7_10value_typeE
; %bb.0:
	s_load_dword s3, s[0:1], 0x2c
	s_load_dwordx2 s[6:7], s[0:1], 0x18
	s_load_dwordx2 s[4:5], s[0:1], 0x0
	s_load_dword s12, s[0:1], 0x8
	s_waitcnt lgkmcnt(0)
	s_and_b32 s3, s3, 0xffff
	s_mul_i32 s2, s2, s3
	s_cmp_eq_u64 s[6:7], 0
	v_add_u32_e32 v0, s2, v0
	s_cbranch_scc1 .LBB121_10
; %bb.1:
	s_load_dword s2, s[0:1], 0x10
	s_mov_b32 s3, 0
	s_waitcnt lgkmcnt(0)
	s_cmp_lt_u32 s2, s12
	s_cselect_b32 s0, s2, 0
	v_cmp_eq_u32_e32 vcc, s0, v0
	s_and_saveexec_b64 s[0:1], vcc
	s_cbranch_execz .LBB121_9
; %bb.2:
	s_add_i32 s2, s2, 64
	s_lshl_b64 s[2:3], s[2:3], 4
	s_add_u32 s10, s4, s2
	s_addc_u32 s11, s5, s3
	v_mov_b64_e32 v[2:3], s[10:11]
	;;#ASMSTART
	global_load_dwordx4 v[2:5], v[2:3] off sc1	
s_waitcnt vmcnt(0)
	;;#ASMEND
	v_mov_b32_e32 v7, 0
	v_and_b32_e32 v6, 0xff, v4
	s_mov_b64 s[8:9], 0
	v_cmp_eq_u64_e32 vcc, 0, v[6:7]
	s_and_saveexec_b64 s[2:3], vcc
	s_cbranch_execz .LBB121_8
; %bb.3:
	s_mov_b32 s13, 1
	v_mov_b64_e32 v[8:9], s[10:11]
.LBB121_4:                              ; =>This Loop Header: Depth=1
                                        ;     Child Loop BB121_5 Depth 2
	s_mov_b32 s10, s13
.LBB121_5:                              ;   Parent Loop BB121_4 Depth=1
                                        ; =>  This Inner Loop Header: Depth=2
	s_add_i32 s10, s10, -1
	s_cmp_eq_u32 s10, 0
	s_sleep 1
	s_cbranch_scc0 .LBB121_5
; %bb.6:                                ;   in Loop: Header=BB121_4 Depth=1
	s_cmp_lt_u32 s13, 32
	s_cselect_b64 s[10:11], -1, 0
	s_cmp_lg_u64 s[10:11], 0
	;;#ASMSTART
	global_load_dwordx4 v[2:5], v[8:9] off sc1	
s_waitcnt vmcnt(0)
	;;#ASMEND
	s_addc_u32 s13, s13, 0
	v_and_b32_e32 v6, 0xff, v4
	v_cmp_ne_u64_e32 vcc, 0, v[6:7]
	s_or_b64 s[8:9], vcc, s[8:9]
	s_andn2_b64 exec, exec, s[8:9]
	s_cbranch_execnz .LBB121_4
; %bb.7:
	s_or_b64 exec, exec, s[8:9]
.LBB121_8:
	s_or_b64 exec, exec, s[2:3]
	v_mov_b32_e32 v1, 0
	global_store_dwordx2 v1, v[2:3], s[6:7]
.LBB121_9:
	s_or_b64 exec, exec, s[0:1]
.LBB121_10:
	v_cmp_gt_u32_e32 vcc, s12, v0
	s_and_saveexec_b64 s[0:1], vcc
	s_cbranch_execnz .LBB121_13
; %bb.11:
	s_or_b64 exec, exec, s[0:1]
	v_cmp_gt_u32_e32 vcc, 64, v0
	s_and_saveexec_b64 s[0:1], vcc
	s_cbranch_execnz .LBB121_14
.LBB121_12:
	s_endpgm
.LBB121_13:
	v_add_u32_e32 v2, 64, v0
	v_mov_b32_e32 v3, 0
	v_lshl_add_u64 v[6:7], v[2:3], 4, s[4:5]
	v_mov_b32_e32 v2, v3
	v_mov_b32_e32 v4, v3
	;; [unrolled: 1-line block ×3, first 2 shown]
	global_store_dwordx4 v[6:7], v[2:5], off
	s_or_b64 exec, exec, s[0:1]
	v_cmp_gt_u32_e32 vcc, 64, v0
	s_and_saveexec_b64 s[0:1], vcc
	s_cbranch_execz .LBB121_12
.LBB121_14:
	v_mov_b32_e32 v1, 0
	v_lshl_add_u64 v[4:5], v[0:1], 4, s[4:5]
	v_mov_b32_e32 v2, 0xff
	v_mov_b32_e32 v0, v1
	;; [unrolled: 1-line block ×3, first 2 shown]
	global_store_dwordx4 v[4:5], v[0:3], off
	s_endpgm
	.section	.rodata,"a",@progbits
	.p2align	6, 0x0
	.amdhsa_kernel _ZN7rocprim17ROCPRIM_400000_NS6detail31init_lookback_scan_state_kernelINS1_19lookback_scan_stateIlLb1ELb1EEENS1_16block_id_wrapperIjLb0EEEEEvT_jT0_jPNS7_10value_typeE
		.amdhsa_group_segment_fixed_size 0
		.amdhsa_private_segment_fixed_size 0
		.amdhsa_kernarg_size 288
		.amdhsa_user_sgpr_count 2
		.amdhsa_user_sgpr_dispatch_ptr 0
		.amdhsa_user_sgpr_queue_ptr 0
		.amdhsa_user_sgpr_kernarg_segment_ptr 1
		.amdhsa_user_sgpr_dispatch_id 0
		.amdhsa_user_sgpr_kernarg_preload_length 0
		.amdhsa_user_sgpr_kernarg_preload_offset 0
		.amdhsa_user_sgpr_private_segment_size 0
		.amdhsa_uses_dynamic_stack 0
		.amdhsa_enable_private_segment 0
		.amdhsa_system_sgpr_workgroup_id_x 1
		.amdhsa_system_sgpr_workgroup_id_y 0
		.amdhsa_system_sgpr_workgroup_id_z 0
		.amdhsa_system_sgpr_workgroup_info 0
		.amdhsa_system_vgpr_workitem_id 0
		.amdhsa_next_free_vgpr 10
		.amdhsa_next_free_sgpr 14
		.amdhsa_accum_offset 12
		.amdhsa_reserve_vcc 1
		.amdhsa_float_round_mode_32 0
		.amdhsa_float_round_mode_16_64 0
		.amdhsa_float_denorm_mode_32 3
		.amdhsa_float_denorm_mode_16_64 3
		.amdhsa_dx10_clamp 1
		.amdhsa_ieee_mode 1
		.amdhsa_fp16_overflow 0
		.amdhsa_tg_split 0
		.amdhsa_exception_fp_ieee_invalid_op 0
		.amdhsa_exception_fp_denorm_src 0
		.amdhsa_exception_fp_ieee_div_zero 0
		.amdhsa_exception_fp_ieee_overflow 0
		.amdhsa_exception_fp_ieee_underflow 0
		.amdhsa_exception_fp_ieee_inexact 0
		.amdhsa_exception_int_div_zero 0
	.end_amdhsa_kernel
	.section	.text._ZN7rocprim17ROCPRIM_400000_NS6detail31init_lookback_scan_state_kernelINS1_19lookback_scan_stateIlLb1ELb1EEENS1_16block_id_wrapperIjLb0EEEEEvT_jT0_jPNS7_10value_typeE,"axG",@progbits,_ZN7rocprim17ROCPRIM_400000_NS6detail31init_lookback_scan_state_kernelINS1_19lookback_scan_stateIlLb1ELb1EEENS1_16block_id_wrapperIjLb0EEEEEvT_jT0_jPNS7_10value_typeE,comdat
.Lfunc_end121:
	.size	_ZN7rocprim17ROCPRIM_400000_NS6detail31init_lookback_scan_state_kernelINS1_19lookback_scan_stateIlLb1ELb1EEENS1_16block_id_wrapperIjLb0EEEEEvT_jT0_jPNS7_10value_typeE, .Lfunc_end121-_ZN7rocprim17ROCPRIM_400000_NS6detail31init_lookback_scan_state_kernelINS1_19lookback_scan_stateIlLb1ELb1EEENS1_16block_id_wrapperIjLb0EEEEEvT_jT0_jPNS7_10value_typeE
                                        ; -- End function
	.set _ZN7rocprim17ROCPRIM_400000_NS6detail31init_lookback_scan_state_kernelINS1_19lookback_scan_stateIlLb1ELb1EEENS1_16block_id_wrapperIjLb0EEEEEvT_jT0_jPNS7_10value_typeE.num_vgpr, 10
	.set _ZN7rocprim17ROCPRIM_400000_NS6detail31init_lookback_scan_state_kernelINS1_19lookback_scan_stateIlLb1ELb1EEENS1_16block_id_wrapperIjLb0EEEEEvT_jT0_jPNS7_10value_typeE.num_agpr, 0
	.set _ZN7rocprim17ROCPRIM_400000_NS6detail31init_lookback_scan_state_kernelINS1_19lookback_scan_stateIlLb1ELb1EEENS1_16block_id_wrapperIjLb0EEEEEvT_jT0_jPNS7_10value_typeE.numbered_sgpr, 14
	.set _ZN7rocprim17ROCPRIM_400000_NS6detail31init_lookback_scan_state_kernelINS1_19lookback_scan_stateIlLb1ELb1EEENS1_16block_id_wrapperIjLb0EEEEEvT_jT0_jPNS7_10value_typeE.num_named_barrier, 0
	.set _ZN7rocprim17ROCPRIM_400000_NS6detail31init_lookback_scan_state_kernelINS1_19lookback_scan_stateIlLb1ELb1EEENS1_16block_id_wrapperIjLb0EEEEEvT_jT0_jPNS7_10value_typeE.private_seg_size, 0
	.set _ZN7rocprim17ROCPRIM_400000_NS6detail31init_lookback_scan_state_kernelINS1_19lookback_scan_stateIlLb1ELb1EEENS1_16block_id_wrapperIjLb0EEEEEvT_jT0_jPNS7_10value_typeE.uses_vcc, 1
	.set _ZN7rocprim17ROCPRIM_400000_NS6detail31init_lookback_scan_state_kernelINS1_19lookback_scan_stateIlLb1ELb1EEENS1_16block_id_wrapperIjLb0EEEEEvT_jT0_jPNS7_10value_typeE.uses_flat_scratch, 0
	.set _ZN7rocprim17ROCPRIM_400000_NS6detail31init_lookback_scan_state_kernelINS1_19lookback_scan_stateIlLb1ELb1EEENS1_16block_id_wrapperIjLb0EEEEEvT_jT0_jPNS7_10value_typeE.has_dyn_sized_stack, 0
	.set _ZN7rocprim17ROCPRIM_400000_NS6detail31init_lookback_scan_state_kernelINS1_19lookback_scan_stateIlLb1ELb1EEENS1_16block_id_wrapperIjLb0EEEEEvT_jT0_jPNS7_10value_typeE.has_recursion, 0
	.set _ZN7rocprim17ROCPRIM_400000_NS6detail31init_lookback_scan_state_kernelINS1_19lookback_scan_stateIlLb1ELb1EEENS1_16block_id_wrapperIjLb0EEEEEvT_jT0_jPNS7_10value_typeE.has_indirect_call, 0
	.section	.AMDGPU.csdata,"",@progbits
; Kernel info:
; codeLenInByte = 424
; TotalNumSgprs: 20
; NumVgprs: 10
; NumAgprs: 0
; TotalNumVgprs: 10
; ScratchSize: 0
; MemoryBound: 0
; FloatMode: 240
; IeeeMode: 1
; LDSByteSize: 0 bytes/workgroup (compile time only)
; SGPRBlocks: 2
; VGPRBlocks: 1
; NumSGPRsForWavesPerEU: 20
; NumVGPRsForWavesPerEU: 10
; AccumOffset: 12
; Occupancy: 8
; WaveLimiterHint : 0
; COMPUTE_PGM_RSRC2:SCRATCH_EN: 0
; COMPUTE_PGM_RSRC2:USER_SGPR: 2
; COMPUTE_PGM_RSRC2:TRAP_HANDLER: 0
; COMPUTE_PGM_RSRC2:TGID_X_EN: 1
; COMPUTE_PGM_RSRC2:TGID_Y_EN: 0
; COMPUTE_PGM_RSRC2:TGID_Z_EN: 0
; COMPUTE_PGM_RSRC2:TIDIG_COMP_CNT: 0
; COMPUTE_PGM_RSRC3_GFX90A:ACCUM_OFFSET: 2
; COMPUTE_PGM_RSRC3_GFX90A:TG_SPLIT: 0
	.section	.text._ZN7rocprim17ROCPRIM_400000_NS6detail17trampoline_kernelINS0_14default_configENS1_20scan_config_selectorIlEEZZNS1_9scan_implILNS1_25lookback_scan_determinismE0ELb0ELb0ES3_PlS8_lN6thrust23THRUST_200600_302600_NS4plusIvEElEEDaPvRmT3_T4_T5_mT6_P12ihipStream_tbENKUlT_T0_E_clISt17integral_constantIbLb1EESP_IbLb0EEEEDaSL_SM_EUlSL_E_NS1_11comp_targetILNS1_3genE0ELNS1_11target_archE4294967295ELNS1_3gpuE0ELNS1_3repE0EEENS1_30default_config_static_selectorELNS0_4arch9wavefront6targetE1EEEvT1_,"axG",@progbits,_ZN7rocprim17ROCPRIM_400000_NS6detail17trampoline_kernelINS0_14default_configENS1_20scan_config_selectorIlEEZZNS1_9scan_implILNS1_25lookback_scan_determinismE0ELb0ELb0ES3_PlS8_lN6thrust23THRUST_200600_302600_NS4plusIvEElEEDaPvRmT3_T4_T5_mT6_P12ihipStream_tbENKUlT_T0_E_clISt17integral_constantIbLb1EESP_IbLb0EEEEDaSL_SM_EUlSL_E_NS1_11comp_targetILNS1_3genE0ELNS1_11target_archE4294967295ELNS1_3gpuE0ELNS1_3repE0EEENS1_30default_config_static_selectorELNS0_4arch9wavefront6targetE1EEEvT1_,comdat
	.protected	_ZN7rocprim17ROCPRIM_400000_NS6detail17trampoline_kernelINS0_14default_configENS1_20scan_config_selectorIlEEZZNS1_9scan_implILNS1_25lookback_scan_determinismE0ELb0ELb0ES3_PlS8_lN6thrust23THRUST_200600_302600_NS4plusIvEElEEDaPvRmT3_T4_T5_mT6_P12ihipStream_tbENKUlT_T0_E_clISt17integral_constantIbLb1EESP_IbLb0EEEEDaSL_SM_EUlSL_E_NS1_11comp_targetILNS1_3genE0ELNS1_11target_archE4294967295ELNS1_3gpuE0ELNS1_3repE0EEENS1_30default_config_static_selectorELNS0_4arch9wavefront6targetE1EEEvT1_ ; -- Begin function _ZN7rocprim17ROCPRIM_400000_NS6detail17trampoline_kernelINS0_14default_configENS1_20scan_config_selectorIlEEZZNS1_9scan_implILNS1_25lookback_scan_determinismE0ELb0ELb0ES3_PlS8_lN6thrust23THRUST_200600_302600_NS4plusIvEElEEDaPvRmT3_T4_T5_mT6_P12ihipStream_tbENKUlT_T0_E_clISt17integral_constantIbLb1EESP_IbLb0EEEEDaSL_SM_EUlSL_E_NS1_11comp_targetILNS1_3genE0ELNS1_11target_archE4294967295ELNS1_3gpuE0ELNS1_3repE0EEENS1_30default_config_static_selectorELNS0_4arch9wavefront6targetE1EEEvT1_
	.globl	_ZN7rocprim17ROCPRIM_400000_NS6detail17trampoline_kernelINS0_14default_configENS1_20scan_config_selectorIlEEZZNS1_9scan_implILNS1_25lookback_scan_determinismE0ELb0ELb0ES3_PlS8_lN6thrust23THRUST_200600_302600_NS4plusIvEElEEDaPvRmT3_T4_T5_mT6_P12ihipStream_tbENKUlT_T0_E_clISt17integral_constantIbLb1EESP_IbLb0EEEEDaSL_SM_EUlSL_E_NS1_11comp_targetILNS1_3genE0ELNS1_11target_archE4294967295ELNS1_3gpuE0ELNS1_3repE0EEENS1_30default_config_static_selectorELNS0_4arch9wavefront6targetE1EEEvT1_
	.p2align	8
	.type	_ZN7rocprim17ROCPRIM_400000_NS6detail17trampoline_kernelINS0_14default_configENS1_20scan_config_selectorIlEEZZNS1_9scan_implILNS1_25lookback_scan_determinismE0ELb0ELb0ES3_PlS8_lN6thrust23THRUST_200600_302600_NS4plusIvEElEEDaPvRmT3_T4_T5_mT6_P12ihipStream_tbENKUlT_T0_E_clISt17integral_constantIbLb1EESP_IbLb0EEEEDaSL_SM_EUlSL_E_NS1_11comp_targetILNS1_3genE0ELNS1_11target_archE4294967295ELNS1_3gpuE0ELNS1_3repE0EEENS1_30default_config_static_selectorELNS0_4arch9wavefront6targetE1EEEvT1_,@function
_ZN7rocprim17ROCPRIM_400000_NS6detail17trampoline_kernelINS0_14default_configENS1_20scan_config_selectorIlEEZZNS1_9scan_implILNS1_25lookback_scan_determinismE0ELb0ELb0ES3_PlS8_lN6thrust23THRUST_200600_302600_NS4plusIvEElEEDaPvRmT3_T4_T5_mT6_P12ihipStream_tbENKUlT_T0_E_clISt17integral_constantIbLb1EESP_IbLb0EEEEDaSL_SM_EUlSL_E_NS1_11comp_targetILNS1_3genE0ELNS1_11target_archE4294967295ELNS1_3gpuE0ELNS1_3repE0EEENS1_30default_config_static_selectorELNS0_4arch9wavefront6targetE1EEEvT1_: ; @_ZN7rocprim17ROCPRIM_400000_NS6detail17trampoline_kernelINS0_14default_configENS1_20scan_config_selectorIlEEZZNS1_9scan_implILNS1_25lookback_scan_determinismE0ELb0ELb0ES3_PlS8_lN6thrust23THRUST_200600_302600_NS4plusIvEElEEDaPvRmT3_T4_T5_mT6_P12ihipStream_tbENKUlT_T0_E_clISt17integral_constantIbLb1EESP_IbLb0EEEEDaSL_SM_EUlSL_E_NS1_11comp_targetILNS1_3genE0ELNS1_11target_archE4294967295ELNS1_3gpuE0ELNS1_3repE0EEENS1_30default_config_static_selectorELNS0_4arch9wavefront6targetE1EEEvT1_
; %bb.0:
	s_endpgm
	.section	.rodata,"a",@progbits
	.p2align	6, 0x0
	.amdhsa_kernel _ZN7rocprim17ROCPRIM_400000_NS6detail17trampoline_kernelINS0_14default_configENS1_20scan_config_selectorIlEEZZNS1_9scan_implILNS1_25lookback_scan_determinismE0ELb0ELb0ES3_PlS8_lN6thrust23THRUST_200600_302600_NS4plusIvEElEEDaPvRmT3_T4_T5_mT6_P12ihipStream_tbENKUlT_T0_E_clISt17integral_constantIbLb1EESP_IbLb0EEEEDaSL_SM_EUlSL_E_NS1_11comp_targetILNS1_3genE0ELNS1_11target_archE4294967295ELNS1_3gpuE0ELNS1_3repE0EEENS1_30default_config_static_selectorELNS0_4arch9wavefront6targetE1EEEvT1_
		.amdhsa_group_segment_fixed_size 0
		.amdhsa_private_segment_fixed_size 0
		.amdhsa_kernarg_size 104
		.amdhsa_user_sgpr_count 2
		.amdhsa_user_sgpr_dispatch_ptr 0
		.amdhsa_user_sgpr_queue_ptr 0
		.amdhsa_user_sgpr_kernarg_segment_ptr 1
		.amdhsa_user_sgpr_dispatch_id 0
		.amdhsa_user_sgpr_kernarg_preload_length 0
		.amdhsa_user_sgpr_kernarg_preload_offset 0
		.amdhsa_user_sgpr_private_segment_size 0
		.amdhsa_uses_dynamic_stack 0
		.amdhsa_enable_private_segment 0
		.amdhsa_system_sgpr_workgroup_id_x 1
		.amdhsa_system_sgpr_workgroup_id_y 0
		.amdhsa_system_sgpr_workgroup_id_z 0
		.amdhsa_system_sgpr_workgroup_info 0
		.amdhsa_system_vgpr_workitem_id 0
		.amdhsa_next_free_vgpr 1
		.amdhsa_next_free_sgpr 0
		.amdhsa_accum_offset 4
		.amdhsa_reserve_vcc 0
		.amdhsa_float_round_mode_32 0
		.amdhsa_float_round_mode_16_64 0
		.amdhsa_float_denorm_mode_32 3
		.amdhsa_float_denorm_mode_16_64 3
		.amdhsa_dx10_clamp 1
		.amdhsa_ieee_mode 1
		.amdhsa_fp16_overflow 0
		.amdhsa_tg_split 0
		.amdhsa_exception_fp_ieee_invalid_op 0
		.amdhsa_exception_fp_denorm_src 0
		.amdhsa_exception_fp_ieee_div_zero 0
		.amdhsa_exception_fp_ieee_overflow 0
		.amdhsa_exception_fp_ieee_underflow 0
		.amdhsa_exception_fp_ieee_inexact 0
		.amdhsa_exception_int_div_zero 0
	.end_amdhsa_kernel
	.section	.text._ZN7rocprim17ROCPRIM_400000_NS6detail17trampoline_kernelINS0_14default_configENS1_20scan_config_selectorIlEEZZNS1_9scan_implILNS1_25lookback_scan_determinismE0ELb0ELb0ES3_PlS8_lN6thrust23THRUST_200600_302600_NS4plusIvEElEEDaPvRmT3_T4_T5_mT6_P12ihipStream_tbENKUlT_T0_E_clISt17integral_constantIbLb1EESP_IbLb0EEEEDaSL_SM_EUlSL_E_NS1_11comp_targetILNS1_3genE0ELNS1_11target_archE4294967295ELNS1_3gpuE0ELNS1_3repE0EEENS1_30default_config_static_selectorELNS0_4arch9wavefront6targetE1EEEvT1_,"axG",@progbits,_ZN7rocprim17ROCPRIM_400000_NS6detail17trampoline_kernelINS0_14default_configENS1_20scan_config_selectorIlEEZZNS1_9scan_implILNS1_25lookback_scan_determinismE0ELb0ELb0ES3_PlS8_lN6thrust23THRUST_200600_302600_NS4plusIvEElEEDaPvRmT3_T4_T5_mT6_P12ihipStream_tbENKUlT_T0_E_clISt17integral_constantIbLb1EESP_IbLb0EEEEDaSL_SM_EUlSL_E_NS1_11comp_targetILNS1_3genE0ELNS1_11target_archE4294967295ELNS1_3gpuE0ELNS1_3repE0EEENS1_30default_config_static_selectorELNS0_4arch9wavefront6targetE1EEEvT1_,comdat
.Lfunc_end122:
	.size	_ZN7rocprim17ROCPRIM_400000_NS6detail17trampoline_kernelINS0_14default_configENS1_20scan_config_selectorIlEEZZNS1_9scan_implILNS1_25lookback_scan_determinismE0ELb0ELb0ES3_PlS8_lN6thrust23THRUST_200600_302600_NS4plusIvEElEEDaPvRmT3_T4_T5_mT6_P12ihipStream_tbENKUlT_T0_E_clISt17integral_constantIbLb1EESP_IbLb0EEEEDaSL_SM_EUlSL_E_NS1_11comp_targetILNS1_3genE0ELNS1_11target_archE4294967295ELNS1_3gpuE0ELNS1_3repE0EEENS1_30default_config_static_selectorELNS0_4arch9wavefront6targetE1EEEvT1_, .Lfunc_end122-_ZN7rocprim17ROCPRIM_400000_NS6detail17trampoline_kernelINS0_14default_configENS1_20scan_config_selectorIlEEZZNS1_9scan_implILNS1_25lookback_scan_determinismE0ELb0ELb0ES3_PlS8_lN6thrust23THRUST_200600_302600_NS4plusIvEElEEDaPvRmT3_T4_T5_mT6_P12ihipStream_tbENKUlT_T0_E_clISt17integral_constantIbLb1EESP_IbLb0EEEEDaSL_SM_EUlSL_E_NS1_11comp_targetILNS1_3genE0ELNS1_11target_archE4294967295ELNS1_3gpuE0ELNS1_3repE0EEENS1_30default_config_static_selectorELNS0_4arch9wavefront6targetE1EEEvT1_
                                        ; -- End function
	.set _ZN7rocprim17ROCPRIM_400000_NS6detail17trampoline_kernelINS0_14default_configENS1_20scan_config_selectorIlEEZZNS1_9scan_implILNS1_25lookback_scan_determinismE0ELb0ELb0ES3_PlS8_lN6thrust23THRUST_200600_302600_NS4plusIvEElEEDaPvRmT3_T4_T5_mT6_P12ihipStream_tbENKUlT_T0_E_clISt17integral_constantIbLb1EESP_IbLb0EEEEDaSL_SM_EUlSL_E_NS1_11comp_targetILNS1_3genE0ELNS1_11target_archE4294967295ELNS1_3gpuE0ELNS1_3repE0EEENS1_30default_config_static_selectorELNS0_4arch9wavefront6targetE1EEEvT1_.num_vgpr, 0
	.set _ZN7rocprim17ROCPRIM_400000_NS6detail17trampoline_kernelINS0_14default_configENS1_20scan_config_selectorIlEEZZNS1_9scan_implILNS1_25lookback_scan_determinismE0ELb0ELb0ES3_PlS8_lN6thrust23THRUST_200600_302600_NS4plusIvEElEEDaPvRmT3_T4_T5_mT6_P12ihipStream_tbENKUlT_T0_E_clISt17integral_constantIbLb1EESP_IbLb0EEEEDaSL_SM_EUlSL_E_NS1_11comp_targetILNS1_3genE0ELNS1_11target_archE4294967295ELNS1_3gpuE0ELNS1_3repE0EEENS1_30default_config_static_selectorELNS0_4arch9wavefront6targetE1EEEvT1_.num_agpr, 0
	.set _ZN7rocprim17ROCPRIM_400000_NS6detail17trampoline_kernelINS0_14default_configENS1_20scan_config_selectorIlEEZZNS1_9scan_implILNS1_25lookback_scan_determinismE0ELb0ELb0ES3_PlS8_lN6thrust23THRUST_200600_302600_NS4plusIvEElEEDaPvRmT3_T4_T5_mT6_P12ihipStream_tbENKUlT_T0_E_clISt17integral_constantIbLb1EESP_IbLb0EEEEDaSL_SM_EUlSL_E_NS1_11comp_targetILNS1_3genE0ELNS1_11target_archE4294967295ELNS1_3gpuE0ELNS1_3repE0EEENS1_30default_config_static_selectorELNS0_4arch9wavefront6targetE1EEEvT1_.numbered_sgpr, 0
	.set _ZN7rocprim17ROCPRIM_400000_NS6detail17trampoline_kernelINS0_14default_configENS1_20scan_config_selectorIlEEZZNS1_9scan_implILNS1_25lookback_scan_determinismE0ELb0ELb0ES3_PlS8_lN6thrust23THRUST_200600_302600_NS4plusIvEElEEDaPvRmT3_T4_T5_mT6_P12ihipStream_tbENKUlT_T0_E_clISt17integral_constantIbLb1EESP_IbLb0EEEEDaSL_SM_EUlSL_E_NS1_11comp_targetILNS1_3genE0ELNS1_11target_archE4294967295ELNS1_3gpuE0ELNS1_3repE0EEENS1_30default_config_static_selectorELNS0_4arch9wavefront6targetE1EEEvT1_.num_named_barrier, 0
	.set _ZN7rocprim17ROCPRIM_400000_NS6detail17trampoline_kernelINS0_14default_configENS1_20scan_config_selectorIlEEZZNS1_9scan_implILNS1_25lookback_scan_determinismE0ELb0ELb0ES3_PlS8_lN6thrust23THRUST_200600_302600_NS4plusIvEElEEDaPvRmT3_T4_T5_mT6_P12ihipStream_tbENKUlT_T0_E_clISt17integral_constantIbLb1EESP_IbLb0EEEEDaSL_SM_EUlSL_E_NS1_11comp_targetILNS1_3genE0ELNS1_11target_archE4294967295ELNS1_3gpuE0ELNS1_3repE0EEENS1_30default_config_static_selectorELNS0_4arch9wavefront6targetE1EEEvT1_.private_seg_size, 0
	.set _ZN7rocprim17ROCPRIM_400000_NS6detail17trampoline_kernelINS0_14default_configENS1_20scan_config_selectorIlEEZZNS1_9scan_implILNS1_25lookback_scan_determinismE0ELb0ELb0ES3_PlS8_lN6thrust23THRUST_200600_302600_NS4plusIvEElEEDaPvRmT3_T4_T5_mT6_P12ihipStream_tbENKUlT_T0_E_clISt17integral_constantIbLb1EESP_IbLb0EEEEDaSL_SM_EUlSL_E_NS1_11comp_targetILNS1_3genE0ELNS1_11target_archE4294967295ELNS1_3gpuE0ELNS1_3repE0EEENS1_30default_config_static_selectorELNS0_4arch9wavefront6targetE1EEEvT1_.uses_vcc, 0
	.set _ZN7rocprim17ROCPRIM_400000_NS6detail17trampoline_kernelINS0_14default_configENS1_20scan_config_selectorIlEEZZNS1_9scan_implILNS1_25lookback_scan_determinismE0ELb0ELb0ES3_PlS8_lN6thrust23THRUST_200600_302600_NS4plusIvEElEEDaPvRmT3_T4_T5_mT6_P12ihipStream_tbENKUlT_T0_E_clISt17integral_constantIbLb1EESP_IbLb0EEEEDaSL_SM_EUlSL_E_NS1_11comp_targetILNS1_3genE0ELNS1_11target_archE4294967295ELNS1_3gpuE0ELNS1_3repE0EEENS1_30default_config_static_selectorELNS0_4arch9wavefront6targetE1EEEvT1_.uses_flat_scratch, 0
	.set _ZN7rocprim17ROCPRIM_400000_NS6detail17trampoline_kernelINS0_14default_configENS1_20scan_config_selectorIlEEZZNS1_9scan_implILNS1_25lookback_scan_determinismE0ELb0ELb0ES3_PlS8_lN6thrust23THRUST_200600_302600_NS4plusIvEElEEDaPvRmT3_T4_T5_mT6_P12ihipStream_tbENKUlT_T0_E_clISt17integral_constantIbLb1EESP_IbLb0EEEEDaSL_SM_EUlSL_E_NS1_11comp_targetILNS1_3genE0ELNS1_11target_archE4294967295ELNS1_3gpuE0ELNS1_3repE0EEENS1_30default_config_static_selectorELNS0_4arch9wavefront6targetE1EEEvT1_.has_dyn_sized_stack, 0
	.set _ZN7rocprim17ROCPRIM_400000_NS6detail17trampoline_kernelINS0_14default_configENS1_20scan_config_selectorIlEEZZNS1_9scan_implILNS1_25lookback_scan_determinismE0ELb0ELb0ES3_PlS8_lN6thrust23THRUST_200600_302600_NS4plusIvEElEEDaPvRmT3_T4_T5_mT6_P12ihipStream_tbENKUlT_T0_E_clISt17integral_constantIbLb1EESP_IbLb0EEEEDaSL_SM_EUlSL_E_NS1_11comp_targetILNS1_3genE0ELNS1_11target_archE4294967295ELNS1_3gpuE0ELNS1_3repE0EEENS1_30default_config_static_selectorELNS0_4arch9wavefront6targetE1EEEvT1_.has_recursion, 0
	.set _ZN7rocprim17ROCPRIM_400000_NS6detail17trampoline_kernelINS0_14default_configENS1_20scan_config_selectorIlEEZZNS1_9scan_implILNS1_25lookback_scan_determinismE0ELb0ELb0ES3_PlS8_lN6thrust23THRUST_200600_302600_NS4plusIvEElEEDaPvRmT3_T4_T5_mT6_P12ihipStream_tbENKUlT_T0_E_clISt17integral_constantIbLb1EESP_IbLb0EEEEDaSL_SM_EUlSL_E_NS1_11comp_targetILNS1_3genE0ELNS1_11target_archE4294967295ELNS1_3gpuE0ELNS1_3repE0EEENS1_30default_config_static_selectorELNS0_4arch9wavefront6targetE1EEEvT1_.has_indirect_call, 0
	.section	.AMDGPU.csdata,"",@progbits
; Kernel info:
; codeLenInByte = 4
; TotalNumSgprs: 6
; NumVgprs: 0
; NumAgprs: 0
; TotalNumVgprs: 0
; ScratchSize: 0
; MemoryBound: 0
; FloatMode: 240
; IeeeMode: 1
; LDSByteSize: 0 bytes/workgroup (compile time only)
; SGPRBlocks: 0
; VGPRBlocks: 0
; NumSGPRsForWavesPerEU: 6
; NumVGPRsForWavesPerEU: 1
; AccumOffset: 4
; Occupancy: 8
; WaveLimiterHint : 0
; COMPUTE_PGM_RSRC2:SCRATCH_EN: 0
; COMPUTE_PGM_RSRC2:USER_SGPR: 2
; COMPUTE_PGM_RSRC2:TRAP_HANDLER: 0
; COMPUTE_PGM_RSRC2:TGID_X_EN: 1
; COMPUTE_PGM_RSRC2:TGID_Y_EN: 0
; COMPUTE_PGM_RSRC2:TGID_Z_EN: 0
; COMPUTE_PGM_RSRC2:TIDIG_COMP_CNT: 0
; COMPUTE_PGM_RSRC3_GFX90A:ACCUM_OFFSET: 0
; COMPUTE_PGM_RSRC3_GFX90A:TG_SPLIT: 0
	.section	.text._ZN7rocprim17ROCPRIM_400000_NS6detail17trampoline_kernelINS0_14default_configENS1_20scan_config_selectorIlEEZZNS1_9scan_implILNS1_25lookback_scan_determinismE0ELb0ELb0ES3_PlS8_lN6thrust23THRUST_200600_302600_NS4plusIvEElEEDaPvRmT3_T4_T5_mT6_P12ihipStream_tbENKUlT_T0_E_clISt17integral_constantIbLb1EESP_IbLb0EEEEDaSL_SM_EUlSL_E_NS1_11comp_targetILNS1_3genE5ELNS1_11target_archE942ELNS1_3gpuE9ELNS1_3repE0EEENS1_30default_config_static_selectorELNS0_4arch9wavefront6targetE1EEEvT1_,"axG",@progbits,_ZN7rocprim17ROCPRIM_400000_NS6detail17trampoline_kernelINS0_14default_configENS1_20scan_config_selectorIlEEZZNS1_9scan_implILNS1_25lookback_scan_determinismE0ELb0ELb0ES3_PlS8_lN6thrust23THRUST_200600_302600_NS4plusIvEElEEDaPvRmT3_T4_T5_mT6_P12ihipStream_tbENKUlT_T0_E_clISt17integral_constantIbLb1EESP_IbLb0EEEEDaSL_SM_EUlSL_E_NS1_11comp_targetILNS1_3genE5ELNS1_11target_archE942ELNS1_3gpuE9ELNS1_3repE0EEENS1_30default_config_static_selectorELNS0_4arch9wavefront6targetE1EEEvT1_,comdat
	.protected	_ZN7rocprim17ROCPRIM_400000_NS6detail17trampoline_kernelINS0_14default_configENS1_20scan_config_selectorIlEEZZNS1_9scan_implILNS1_25lookback_scan_determinismE0ELb0ELb0ES3_PlS8_lN6thrust23THRUST_200600_302600_NS4plusIvEElEEDaPvRmT3_T4_T5_mT6_P12ihipStream_tbENKUlT_T0_E_clISt17integral_constantIbLb1EESP_IbLb0EEEEDaSL_SM_EUlSL_E_NS1_11comp_targetILNS1_3genE5ELNS1_11target_archE942ELNS1_3gpuE9ELNS1_3repE0EEENS1_30default_config_static_selectorELNS0_4arch9wavefront6targetE1EEEvT1_ ; -- Begin function _ZN7rocprim17ROCPRIM_400000_NS6detail17trampoline_kernelINS0_14default_configENS1_20scan_config_selectorIlEEZZNS1_9scan_implILNS1_25lookback_scan_determinismE0ELb0ELb0ES3_PlS8_lN6thrust23THRUST_200600_302600_NS4plusIvEElEEDaPvRmT3_T4_T5_mT6_P12ihipStream_tbENKUlT_T0_E_clISt17integral_constantIbLb1EESP_IbLb0EEEEDaSL_SM_EUlSL_E_NS1_11comp_targetILNS1_3genE5ELNS1_11target_archE942ELNS1_3gpuE9ELNS1_3repE0EEENS1_30default_config_static_selectorELNS0_4arch9wavefront6targetE1EEEvT1_
	.globl	_ZN7rocprim17ROCPRIM_400000_NS6detail17trampoline_kernelINS0_14default_configENS1_20scan_config_selectorIlEEZZNS1_9scan_implILNS1_25lookback_scan_determinismE0ELb0ELb0ES3_PlS8_lN6thrust23THRUST_200600_302600_NS4plusIvEElEEDaPvRmT3_T4_T5_mT6_P12ihipStream_tbENKUlT_T0_E_clISt17integral_constantIbLb1EESP_IbLb0EEEEDaSL_SM_EUlSL_E_NS1_11comp_targetILNS1_3genE5ELNS1_11target_archE942ELNS1_3gpuE9ELNS1_3repE0EEENS1_30default_config_static_selectorELNS0_4arch9wavefront6targetE1EEEvT1_
	.p2align	8
	.type	_ZN7rocprim17ROCPRIM_400000_NS6detail17trampoline_kernelINS0_14default_configENS1_20scan_config_selectorIlEEZZNS1_9scan_implILNS1_25lookback_scan_determinismE0ELb0ELb0ES3_PlS8_lN6thrust23THRUST_200600_302600_NS4plusIvEElEEDaPvRmT3_T4_T5_mT6_P12ihipStream_tbENKUlT_T0_E_clISt17integral_constantIbLb1EESP_IbLb0EEEEDaSL_SM_EUlSL_E_NS1_11comp_targetILNS1_3genE5ELNS1_11target_archE942ELNS1_3gpuE9ELNS1_3repE0EEENS1_30default_config_static_selectorELNS0_4arch9wavefront6targetE1EEEvT1_,@function
_ZN7rocprim17ROCPRIM_400000_NS6detail17trampoline_kernelINS0_14default_configENS1_20scan_config_selectorIlEEZZNS1_9scan_implILNS1_25lookback_scan_determinismE0ELb0ELb0ES3_PlS8_lN6thrust23THRUST_200600_302600_NS4plusIvEElEEDaPvRmT3_T4_T5_mT6_P12ihipStream_tbENKUlT_T0_E_clISt17integral_constantIbLb1EESP_IbLb0EEEEDaSL_SM_EUlSL_E_NS1_11comp_targetILNS1_3genE5ELNS1_11target_archE942ELNS1_3gpuE9ELNS1_3repE0EEENS1_30default_config_static_selectorELNS0_4arch9wavefront6targetE1EEEvT1_: ; @_ZN7rocprim17ROCPRIM_400000_NS6detail17trampoline_kernelINS0_14default_configENS1_20scan_config_selectorIlEEZZNS1_9scan_implILNS1_25lookback_scan_determinismE0ELb0ELb0ES3_PlS8_lN6thrust23THRUST_200600_302600_NS4plusIvEElEEDaPvRmT3_T4_T5_mT6_P12ihipStream_tbENKUlT_T0_E_clISt17integral_constantIbLb1EESP_IbLb0EEEEDaSL_SM_EUlSL_E_NS1_11comp_targetILNS1_3genE5ELNS1_11target_archE942ELNS1_3gpuE9ELNS1_3repE0EEENS1_30default_config_static_selectorELNS0_4arch9wavefront6targetE1EEEvT1_
; %bb.0:
	.section	.rodata,"a",@progbits
	.p2align	6, 0x0
	.amdhsa_kernel _ZN7rocprim17ROCPRIM_400000_NS6detail17trampoline_kernelINS0_14default_configENS1_20scan_config_selectorIlEEZZNS1_9scan_implILNS1_25lookback_scan_determinismE0ELb0ELb0ES3_PlS8_lN6thrust23THRUST_200600_302600_NS4plusIvEElEEDaPvRmT3_T4_T5_mT6_P12ihipStream_tbENKUlT_T0_E_clISt17integral_constantIbLb1EESP_IbLb0EEEEDaSL_SM_EUlSL_E_NS1_11comp_targetILNS1_3genE5ELNS1_11target_archE942ELNS1_3gpuE9ELNS1_3repE0EEENS1_30default_config_static_selectorELNS0_4arch9wavefront6targetE1EEEvT1_
		.amdhsa_group_segment_fixed_size 0
		.amdhsa_private_segment_fixed_size 0
		.amdhsa_kernarg_size 104
		.amdhsa_user_sgpr_count 2
		.amdhsa_user_sgpr_dispatch_ptr 0
		.amdhsa_user_sgpr_queue_ptr 0
		.amdhsa_user_sgpr_kernarg_segment_ptr 1
		.amdhsa_user_sgpr_dispatch_id 0
		.amdhsa_user_sgpr_kernarg_preload_length 0
		.amdhsa_user_sgpr_kernarg_preload_offset 0
		.amdhsa_user_sgpr_private_segment_size 0
		.amdhsa_uses_dynamic_stack 0
		.amdhsa_enable_private_segment 0
		.amdhsa_system_sgpr_workgroup_id_x 1
		.amdhsa_system_sgpr_workgroup_id_y 0
		.amdhsa_system_sgpr_workgroup_id_z 0
		.amdhsa_system_sgpr_workgroup_info 0
		.amdhsa_system_vgpr_workitem_id 0
		.amdhsa_next_free_vgpr 1
		.amdhsa_next_free_sgpr 0
		.amdhsa_accum_offset 4
		.amdhsa_reserve_vcc 0
		.amdhsa_float_round_mode_32 0
		.amdhsa_float_round_mode_16_64 0
		.amdhsa_float_denorm_mode_32 3
		.amdhsa_float_denorm_mode_16_64 3
		.amdhsa_dx10_clamp 1
		.amdhsa_ieee_mode 1
		.amdhsa_fp16_overflow 0
		.amdhsa_tg_split 0
		.amdhsa_exception_fp_ieee_invalid_op 0
		.amdhsa_exception_fp_denorm_src 0
		.amdhsa_exception_fp_ieee_div_zero 0
		.amdhsa_exception_fp_ieee_overflow 0
		.amdhsa_exception_fp_ieee_underflow 0
		.amdhsa_exception_fp_ieee_inexact 0
		.amdhsa_exception_int_div_zero 0
	.end_amdhsa_kernel
	.section	.text._ZN7rocprim17ROCPRIM_400000_NS6detail17trampoline_kernelINS0_14default_configENS1_20scan_config_selectorIlEEZZNS1_9scan_implILNS1_25lookback_scan_determinismE0ELb0ELb0ES3_PlS8_lN6thrust23THRUST_200600_302600_NS4plusIvEElEEDaPvRmT3_T4_T5_mT6_P12ihipStream_tbENKUlT_T0_E_clISt17integral_constantIbLb1EESP_IbLb0EEEEDaSL_SM_EUlSL_E_NS1_11comp_targetILNS1_3genE5ELNS1_11target_archE942ELNS1_3gpuE9ELNS1_3repE0EEENS1_30default_config_static_selectorELNS0_4arch9wavefront6targetE1EEEvT1_,"axG",@progbits,_ZN7rocprim17ROCPRIM_400000_NS6detail17trampoline_kernelINS0_14default_configENS1_20scan_config_selectorIlEEZZNS1_9scan_implILNS1_25lookback_scan_determinismE0ELb0ELb0ES3_PlS8_lN6thrust23THRUST_200600_302600_NS4plusIvEElEEDaPvRmT3_T4_T5_mT6_P12ihipStream_tbENKUlT_T0_E_clISt17integral_constantIbLb1EESP_IbLb0EEEEDaSL_SM_EUlSL_E_NS1_11comp_targetILNS1_3genE5ELNS1_11target_archE942ELNS1_3gpuE9ELNS1_3repE0EEENS1_30default_config_static_selectorELNS0_4arch9wavefront6targetE1EEEvT1_,comdat
.Lfunc_end123:
	.size	_ZN7rocprim17ROCPRIM_400000_NS6detail17trampoline_kernelINS0_14default_configENS1_20scan_config_selectorIlEEZZNS1_9scan_implILNS1_25lookback_scan_determinismE0ELb0ELb0ES3_PlS8_lN6thrust23THRUST_200600_302600_NS4plusIvEElEEDaPvRmT3_T4_T5_mT6_P12ihipStream_tbENKUlT_T0_E_clISt17integral_constantIbLb1EESP_IbLb0EEEEDaSL_SM_EUlSL_E_NS1_11comp_targetILNS1_3genE5ELNS1_11target_archE942ELNS1_3gpuE9ELNS1_3repE0EEENS1_30default_config_static_selectorELNS0_4arch9wavefront6targetE1EEEvT1_, .Lfunc_end123-_ZN7rocprim17ROCPRIM_400000_NS6detail17trampoline_kernelINS0_14default_configENS1_20scan_config_selectorIlEEZZNS1_9scan_implILNS1_25lookback_scan_determinismE0ELb0ELb0ES3_PlS8_lN6thrust23THRUST_200600_302600_NS4plusIvEElEEDaPvRmT3_T4_T5_mT6_P12ihipStream_tbENKUlT_T0_E_clISt17integral_constantIbLb1EESP_IbLb0EEEEDaSL_SM_EUlSL_E_NS1_11comp_targetILNS1_3genE5ELNS1_11target_archE942ELNS1_3gpuE9ELNS1_3repE0EEENS1_30default_config_static_selectorELNS0_4arch9wavefront6targetE1EEEvT1_
                                        ; -- End function
	.set _ZN7rocprim17ROCPRIM_400000_NS6detail17trampoline_kernelINS0_14default_configENS1_20scan_config_selectorIlEEZZNS1_9scan_implILNS1_25lookback_scan_determinismE0ELb0ELb0ES3_PlS8_lN6thrust23THRUST_200600_302600_NS4plusIvEElEEDaPvRmT3_T4_T5_mT6_P12ihipStream_tbENKUlT_T0_E_clISt17integral_constantIbLb1EESP_IbLb0EEEEDaSL_SM_EUlSL_E_NS1_11comp_targetILNS1_3genE5ELNS1_11target_archE942ELNS1_3gpuE9ELNS1_3repE0EEENS1_30default_config_static_selectorELNS0_4arch9wavefront6targetE1EEEvT1_.num_vgpr, 0
	.set _ZN7rocprim17ROCPRIM_400000_NS6detail17trampoline_kernelINS0_14default_configENS1_20scan_config_selectorIlEEZZNS1_9scan_implILNS1_25lookback_scan_determinismE0ELb0ELb0ES3_PlS8_lN6thrust23THRUST_200600_302600_NS4plusIvEElEEDaPvRmT3_T4_T5_mT6_P12ihipStream_tbENKUlT_T0_E_clISt17integral_constantIbLb1EESP_IbLb0EEEEDaSL_SM_EUlSL_E_NS1_11comp_targetILNS1_3genE5ELNS1_11target_archE942ELNS1_3gpuE9ELNS1_3repE0EEENS1_30default_config_static_selectorELNS0_4arch9wavefront6targetE1EEEvT1_.num_agpr, 0
	.set _ZN7rocprim17ROCPRIM_400000_NS6detail17trampoline_kernelINS0_14default_configENS1_20scan_config_selectorIlEEZZNS1_9scan_implILNS1_25lookback_scan_determinismE0ELb0ELb0ES3_PlS8_lN6thrust23THRUST_200600_302600_NS4plusIvEElEEDaPvRmT3_T4_T5_mT6_P12ihipStream_tbENKUlT_T0_E_clISt17integral_constantIbLb1EESP_IbLb0EEEEDaSL_SM_EUlSL_E_NS1_11comp_targetILNS1_3genE5ELNS1_11target_archE942ELNS1_3gpuE9ELNS1_3repE0EEENS1_30default_config_static_selectorELNS0_4arch9wavefront6targetE1EEEvT1_.numbered_sgpr, 0
	.set _ZN7rocprim17ROCPRIM_400000_NS6detail17trampoline_kernelINS0_14default_configENS1_20scan_config_selectorIlEEZZNS1_9scan_implILNS1_25lookback_scan_determinismE0ELb0ELb0ES3_PlS8_lN6thrust23THRUST_200600_302600_NS4plusIvEElEEDaPvRmT3_T4_T5_mT6_P12ihipStream_tbENKUlT_T0_E_clISt17integral_constantIbLb1EESP_IbLb0EEEEDaSL_SM_EUlSL_E_NS1_11comp_targetILNS1_3genE5ELNS1_11target_archE942ELNS1_3gpuE9ELNS1_3repE0EEENS1_30default_config_static_selectorELNS0_4arch9wavefront6targetE1EEEvT1_.num_named_barrier, 0
	.set _ZN7rocprim17ROCPRIM_400000_NS6detail17trampoline_kernelINS0_14default_configENS1_20scan_config_selectorIlEEZZNS1_9scan_implILNS1_25lookback_scan_determinismE0ELb0ELb0ES3_PlS8_lN6thrust23THRUST_200600_302600_NS4plusIvEElEEDaPvRmT3_T4_T5_mT6_P12ihipStream_tbENKUlT_T0_E_clISt17integral_constantIbLb1EESP_IbLb0EEEEDaSL_SM_EUlSL_E_NS1_11comp_targetILNS1_3genE5ELNS1_11target_archE942ELNS1_3gpuE9ELNS1_3repE0EEENS1_30default_config_static_selectorELNS0_4arch9wavefront6targetE1EEEvT1_.private_seg_size, 0
	.set _ZN7rocprim17ROCPRIM_400000_NS6detail17trampoline_kernelINS0_14default_configENS1_20scan_config_selectorIlEEZZNS1_9scan_implILNS1_25lookback_scan_determinismE0ELb0ELb0ES3_PlS8_lN6thrust23THRUST_200600_302600_NS4plusIvEElEEDaPvRmT3_T4_T5_mT6_P12ihipStream_tbENKUlT_T0_E_clISt17integral_constantIbLb1EESP_IbLb0EEEEDaSL_SM_EUlSL_E_NS1_11comp_targetILNS1_3genE5ELNS1_11target_archE942ELNS1_3gpuE9ELNS1_3repE0EEENS1_30default_config_static_selectorELNS0_4arch9wavefront6targetE1EEEvT1_.uses_vcc, 0
	.set _ZN7rocprim17ROCPRIM_400000_NS6detail17trampoline_kernelINS0_14default_configENS1_20scan_config_selectorIlEEZZNS1_9scan_implILNS1_25lookback_scan_determinismE0ELb0ELb0ES3_PlS8_lN6thrust23THRUST_200600_302600_NS4plusIvEElEEDaPvRmT3_T4_T5_mT6_P12ihipStream_tbENKUlT_T0_E_clISt17integral_constantIbLb1EESP_IbLb0EEEEDaSL_SM_EUlSL_E_NS1_11comp_targetILNS1_3genE5ELNS1_11target_archE942ELNS1_3gpuE9ELNS1_3repE0EEENS1_30default_config_static_selectorELNS0_4arch9wavefront6targetE1EEEvT1_.uses_flat_scratch, 0
	.set _ZN7rocprim17ROCPRIM_400000_NS6detail17trampoline_kernelINS0_14default_configENS1_20scan_config_selectorIlEEZZNS1_9scan_implILNS1_25lookback_scan_determinismE0ELb0ELb0ES3_PlS8_lN6thrust23THRUST_200600_302600_NS4plusIvEElEEDaPvRmT3_T4_T5_mT6_P12ihipStream_tbENKUlT_T0_E_clISt17integral_constantIbLb1EESP_IbLb0EEEEDaSL_SM_EUlSL_E_NS1_11comp_targetILNS1_3genE5ELNS1_11target_archE942ELNS1_3gpuE9ELNS1_3repE0EEENS1_30default_config_static_selectorELNS0_4arch9wavefront6targetE1EEEvT1_.has_dyn_sized_stack, 0
	.set _ZN7rocprim17ROCPRIM_400000_NS6detail17trampoline_kernelINS0_14default_configENS1_20scan_config_selectorIlEEZZNS1_9scan_implILNS1_25lookback_scan_determinismE0ELb0ELb0ES3_PlS8_lN6thrust23THRUST_200600_302600_NS4plusIvEElEEDaPvRmT3_T4_T5_mT6_P12ihipStream_tbENKUlT_T0_E_clISt17integral_constantIbLb1EESP_IbLb0EEEEDaSL_SM_EUlSL_E_NS1_11comp_targetILNS1_3genE5ELNS1_11target_archE942ELNS1_3gpuE9ELNS1_3repE0EEENS1_30default_config_static_selectorELNS0_4arch9wavefront6targetE1EEEvT1_.has_recursion, 0
	.set _ZN7rocprim17ROCPRIM_400000_NS6detail17trampoline_kernelINS0_14default_configENS1_20scan_config_selectorIlEEZZNS1_9scan_implILNS1_25lookback_scan_determinismE0ELb0ELb0ES3_PlS8_lN6thrust23THRUST_200600_302600_NS4plusIvEElEEDaPvRmT3_T4_T5_mT6_P12ihipStream_tbENKUlT_T0_E_clISt17integral_constantIbLb1EESP_IbLb0EEEEDaSL_SM_EUlSL_E_NS1_11comp_targetILNS1_3genE5ELNS1_11target_archE942ELNS1_3gpuE9ELNS1_3repE0EEENS1_30default_config_static_selectorELNS0_4arch9wavefront6targetE1EEEvT1_.has_indirect_call, 0
	.section	.AMDGPU.csdata,"",@progbits
; Kernel info:
; codeLenInByte = 0
; TotalNumSgprs: 6
; NumVgprs: 0
; NumAgprs: 0
; TotalNumVgprs: 0
; ScratchSize: 0
; MemoryBound: 0
; FloatMode: 240
; IeeeMode: 1
; LDSByteSize: 0 bytes/workgroup (compile time only)
; SGPRBlocks: 0
; VGPRBlocks: 0
; NumSGPRsForWavesPerEU: 6
; NumVGPRsForWavesPerEU: 1
; AccumOffset: 4
; Occupancy: 8
; WaveLimiterHint : 0
; COMPUTE_PGM_RSRC2:SCRATCH_EN: 0
; COMPUTE_PGM_RSRC2:USER_SGPR: 2
; COMPUTE_PGM_RSRC2:TRAP_HANDLER: 0
; COMPUTE_PGM_RSRC2:TGID_X_EN: 1
; COMPUTE_PGM_RSRC2:TGID_Y_EN: 0
; COMPUTE_PGM_RSRC2:TGID_Z_EN: 0
; COMPUTE_PGM_RSRC2:TIDIG_COMP_CNT: 0
; COMPUTE_PGM_RSRC3_GFX90A:ACCUM_OFFSET: 0
; COMPUTE_PGM_RSRC3_GFX90A:TG_SPLIT: 0
	.section	.text._ZN7rocprim17ROCPRIM_400000_NS6detail17trampoline_kernelINS0_14default_configENS1_20scan_config_selectorIlEEZZNS1_9scan_implILNS1_25lookback_scan_determinismE0ELb0ELb0ES3_PlS8_lN6thrust23THRUST_200600_302600_NS4plusIvEElEEDaPvRmT3_T4_T5_mT6_P12ihipStream_tbENKUlT_T0_E_clISt17integral_constantIbLb1EESP_IbLb0EEEEDaSL_SM_EUlSL_E_NS1_11comp_targetILNS1_3genE4ELNS1_11target_archE910ELNS1_3gpuE8ELNS1_3repE0EEENS1_30default_config_static_selectorELNS0_4arch9wavefront6targetE1EEEvT1_,"axG",@progbits,_ZN7rocprim17ROCPRIM_400000_NS6detail17trampoline_kernelINS0_14default_configENS1_20scan_config_selectorIlEEZZNS1_9scan_implILNS1_25lookback_scan_determinismE0ELb0ELb0ES3_PlS8_lN6thrust23THRUST_200600_302600_NS4plusIvEElEEDaPvRmT3_T4_T5_mT6_P12ihipStream_tbENKUlT_T0_E_clISt17integral_constantIbLb1EESP_IbLb0EEEEDaSL_SM_EUlSL_E_NS1_11comp_targetILNS1_3genE4ELNS1_11target_archE910ELNS1_3gpuE8ELNS1_3repE0EEENS1_30default_config_static_selectorELNS0_4arch9wavefront6targetE1EEEvT1_,comdat
	.protected	_ZN7rocprim17ROCPRIM_400000_NS6detail17trampoline_kernelINS0_14default_configENS1_20scan_config_selectorIlEEZZNS1_9scan_implILNS1_25lookback_scan_determinismE0ELb0ELb0ES3_PlS8_lN6thrust23THRUST_200600_302600_NS4plusIvEElEEDaPvRmT3_T4_T5_mT6_P12ihipStream_tbENKUlT_T0_E_clISt17integral_constantIbLb1EESP_IbLb0EEEEDaSL_SM_EUlSL_E_NS1_11comp_targetILNS1_3genE4ELNS1_11target_archE910ELNS1_3gpuE8ELNS1_3repE0EEENS1_30default_config_static_selectorELNS0_4arch9wavefront6targetE1EEEvT1_ ; -- Begin function _ZN7rocprim17ROCPRIM_400000_NS6detail17trampoline_kernelINS0_14default_configENS1_20scan_config_selectorIlEEZZNS1_9scan_implILNS1_25lookback_scan_determinismE0ELb0ELb0ES3_PlS8_lN6thrust23THRUST_200600_302600_NS4plusIvEElEEDaPvRmT3_T4_T5_mT6_P12ihipStream_tbENKUlT_T0_E_clISt17integral_constantIbLb1EESP_IbLb0EEEEDaSL_SM_EUlSL_E_NS1_11comp_targetILNS1_3genE4ELNS1_11target_archE910ELNS1_3gpuE8ELNS1_3repE0EEENS1_30default_config_static_selectorELNS0_4arch9wavefront6targetE1EEEvT1_
	.globl	_ZN7rocprim17ROCPRIM_400000_NS6detail17trampoline_kernelINS0_14default_configENS1_20scan_config_selectorIlEEZZNS1_9scan_implILNS1_25lookback_scan_determinismE0ELb0ELb0ES3_PlS8_lN6thrust23THRUST_200600_302600_NS4plusIvEElEEDaPvRmT3_T4_T5_mT6_P12ihipStream_tbENKUlT_T0_E_clISt17integral_constantIbLb1EESP_IbLb0EEEEDaSL_SM_EUlSL_E_NS1_11comp_targetILNS1_3genE4ELNS1_11target_archE910ELNS1_3gpuE8ELNS1_3repE0EEENS1_30default_config_static_selectorELNS0_4arch9wavefront6targetE1EEEvT1_
	.p2align	8
	.type	_ZN7rocprim17ROCPRIM_400000_NS6detail17trampoline_kernelINS0_14default_configENS1_20scan_config_selectorIlEEZZNS1_9scan_implILNS1_25lookback_scan_determinismE0ELb0ELb0ES3_PlS8_lN6thrust23THRUST_200600_302600_NS4plusIvEElEEDaPvRmT3_T4_T5_mT6_P12ihipStream_tbENKUlT_T0_E_clISt17integral_constantIbLb1EESP_IbLb0EEEEDaSL_SM_EUlSL_E_NS1_11comp_targetILNS1_3genE4ELNS1_11target_archE910ELNS1_3gpuE8ELNS1_3repE0EEENS1_30default_config_static_selectorELNS0_4arch9wavefront6targetE1EEEvT1_,@function
_ZN7rocprim17ROCPRIM_400000_NS6detail17trampoline_kernelINS0_14default_configENS1_20scan_config_selectorIlEEZZNS1_9scan_implILNS1_25lookback_scan_determinismE0ELb0ELb0ES3_PlS8_lN6thrust23THRUST_200600_302600_NS4plusIvEElEEDaPvRmT3_T4_T5_mT6_P12ihipStream_tbENKUlT_T0_E_clISt17integral_constantIbLb1EESP_IbLb0EEEEDaSL_SM_EUlSL_E_NS1_11comp_targetILNS1_3genE4ELNS1_11target_archE910ELNS1_3gpuE8ELNS1_3repE0EEENS1_30default_config_static_selectorELNS0_4arch9wavefront6targetE1EEEvT1_: ; @_ZN7rocprim17ROCPRIM_400000_NS6detail17trampoline_kernelINS0_14default_configENS1_20scan_config_selectorIlEEZZNS1_9scan_implILNS1_25lookback_scan_determinismE0ELb0ELb0ES3_PlS8_lN6thrust23THRUST_200600_302600_NS4plusIvEElEEDaPvRmT3_T4_T5_mT6_P12ihipStream_tbENKUlT_T0_E_clISt17integral_constantIbLb1EESP_IbLb0EEEEDaSL_SM_EUlSL_E_NS1_11comp_targetILNS1_3genE4ELNS1_11target_archE910ELNS1_3gpuE8ELNS1_3repE0EEENS1_30default_config_static_selectorELNS0_4arch9wavefront6targetE1EEEvT1_
; %bb.0:
	.section	.rodata,"a",@progbits
	.p2align	6, 0x0
	.amdhsa_kernel _ZN7rocprim17ROCPRIM_400000_NS6detail17trampoline_kernelINS0_14default_configENS1_20scan_config_selectorIlEEZZNS1_9scan_implILNS1_25lookback_scan_determinismE0ELb0ELb0ES3_PlS8_lN6thrust23THRUST_200600_302600_NS4plusIvEElEEDaPvRmT3_T4_T5_mT6_P12ihipStream_tbENKUlT_T0_E_clISt17integral_constantIbLb1EESP_IbLb0EEEEDaSL_SM_EUlSL_E_NS1_11comp_targetILNS1_3genE4ELNS1_11target_archE910ELNS1_3gpuE8ELNS1_3repE0EEENS1_30default_config_static_selectorELNS0_4arch9wavefront6targetE1EEEvT1_
		.amdhsa_group_segment_fixed_size 0
		.amdhsa_private_segment_fixed_size 0
		.amdhsa_kernarg_size 104
		.amdhsa_user_sgpr_count 2
		.amdhsa_user_sgpr_dispatch_ptr 0
		.amdhsa_user_sgpr_queue_ptr 0
		.amdhsa_user_sgpr_kernarg_segment_ptr 1
		.amdhsa_user_sgpr_dispatch_id 0
		.amdhsa_user_sgpr_kernarg_preload_length 0
		.amdhsa_user_sgpr_kernarg_preload_offset 0
		.amdhsa_user_sgpr_private_segment_size 0
		.amdhsa_uses_dynamic_stack 0
		.amdhsa_enable_private_segment 0
		.amdhsa_system_sgpr_workgroup_id_x 1
		.amdhsa_system_sgpr_workgroup_id_y 0
		.amdhsa_system_sgpr_workgroup_id_z 0
		.amdhsa_system_sgpr_workgroup_info 0
		.amdhsa_system_vgpr_workitem_id 0
		.amdhsa_next_free_vgpr 1
		.amdhsa_next_free_sgpr 0
		.amdhsa_accum_offset 4
		.amdhsa_reserve_vcc 0
		.amdhsa_float_round_mode_32 0
		.amdhsa_float_round_mode_16_64 0
		.amdhsa_float_denorm_mode_32 3
		.amdhsa_float_denorm_mode_16_64 3
		.amdhsa_dx10_clamp 1
		.amdhsa_ieee_mode 1
		.amdhsa_fp16_overflow 0
		.amdhsa_tg_split 0
		.amdhsa_exception_fp_ieee_invalid_op 0
		.amdhsa_exception_fp_denorm_src 0
		.amdhsa_exception_fp_ieee_div_zero 0
		.amdhsa_exception_fp_ieee_overflow 0
		.amdhsa_exception_fp_ieee_underflow 0
		.amdhsa_exception_fp_ieee_inexact 0
		.amdhsa_exception_int_div_zero 0
	.end_amdhsa_kernel
	.section	.text._ZN7rocprim17ROCPRIM_400000_NS6detail17trampoline_kernelINS0_14default_configENS1_20scan_config_selectorIlEEZZNS1_9scan_implILNS1_25lookback_scan_determinismE0ELb0ELb0ES3_PlS8_lN6thrust23THRUST_200600_302600_NS4plusIvEElEEDaPvRmT3_T4_T5_mT6_P12ihipStream_tbENKUlT_T0_E_clISt17integral_constantIbLb1EESP_IbLb0EEEEDaSL_SM_EUlSL_E_NS1_11comp_targetILNS1_3genE4ELNS1_11target_archE910ELNS1_3gpuE8ELNS1_3repE0EEENS1_30default_config_static_selectorELNS0_4arch9wavefront6targetE1EEEvT1_,"axG",@progbits,_ZN7rocprim17ROCPRIM_400000_NS6detail17trampoline_kernelINS0_14default_configENS1_20scan_config_selectorIlEEZZNS1_9scan_implILNS1_25lookback_scan_determinismE0ELb0ELb0ES3_PlS8_lN6thrust23THRUST_200600_302600_NS4plusIvEElEEDaPvRmT3_T4_T5_mT6_P12ihipStream_tbENKUlT_T0_E_clISt17integral_constantIbLb1EESP_IbLb0EEEEDaSL_SM_EUlSL_E_NS1_11comp_targetILNS1_3genE4ELNS1_11target_archE910ELNS1_3gpuE8ELNS1_3repE0EEENS1_30default_config_static_selectorELNS0_4arch9wavefront6targetE1EEEvT1_,comdat
.Lfunc_end124:
	.size	_ZN7rocprim17ROCPRIM_400000_NS6detail17trampoline_kernelINS0_14default_configENS1_20scan_config_selectorIlEEZZNS1_9scan_implILNS1_25lookback_scan_determinismE0ELb0ELb0ES3_PlS8_lN6thrust23THRUST_200600_302600_NS4plusIvEElEEDaPvRmT3_T4_T5_mT6_P12ihipStream_tbENKUlT_T0_E_clISt17integral_constantIbLb1EESP_IbLb0EEEEDaSL_SM_EUlSL_E_NS1_11comp_targetILNS1_3genE4ELNS1_11target_archE910ELNS1_3gpuE8ELNS1_3repE0EEENS1_30default_config_static_selectorELNS0_4arch9wavefront6targetE1EEEvT1_, .Lfunc_end124-_ZN7rocprim17ROCPRIM_400000_NS6detail17trampoline_kernelINS0_14default_configENS1_20scan_config_selectorIlEEZZNS1_9scan_implILNS1_25lookback_scan_determinismE0ELb0ELb0ES3_PlS8_lN6thrust23THRUST_200600_302600_NS4plusIvEElEEDaPvRmT3_T4_T5_mT6_P12ihipStream_tbENKUlT_T0_E_clISt17integral_constantIbLb1EESP_IbLb0EEEEDaSL_SM_EUlSL_E_NS1_11comp_targetILNS1_3genE4ELNS1_11target_archE910ELNS1_3gpuE8ELNS1_3repE0EEENS1_30default_config_static_selectorELNS0_4arch9wavefront6targetE1EEEvT1_
                                        ; -- End function
	.set _ZN7rocprim17ROCPRIM_400000_NS6detail17trampoline_kernelINS0_14default_configENS1_20scan_config_selectorIlEEZZNS1_9scan_implILNS1_25lookback_scan_determinismE0ELb0ELb0ES3_PlS8_lN6thrust23THRUST_200600_302600_NS4plusIvEElEEDaPvRmT3_T4_T5_mT6_P12ihipStream_tbENKUlT_T0_E_clISt17integral_constantIbLb1EESP_IbLb0EEEEDaSL_SM_EUlSL_E_NS1_11comp_targetILNS1_3genE4ELNS1_11target_archE910ELNS1_3gpuE8ELNS1_3repE0EEENS1_30default_config_static_selectorELNS0_4arch9wavefront6targetE1EEEvT1_.num_vgpr, 0
	.set _ZN7rocprim17ROCPRIM_400000_NS6detail17trampoline_kernelINS0_14default_configENS1_20scan_config_selectorIlEEZZNS1_9scan_implILNS1_25lookback_scan_determinismE0ELb0ELb0ES3_PlS8_lN6thrust23THRUST_200600_302600_NS4plusIvEElEEDaPvRmT3_T4_T5_mT6_P12ihipStream_tbENKUlT_T0_E_clISt17integral_constantIbLb1EESP_IbLb0EEEEDaSL_SM_EUlSL_E_NS1_11comp_targetILNS1_3genE4ELNS1_11target_archE910ELNS1_3gpuE8ELNS1_3repE0EEENS1_30default_config_static_selectorELNS0_4arch9wavefront6targetE1EEEvT1_.num_agpr, 0
	.set _ZN7rocprim17ROCPRIM_400000_NS6detail17trampoline_kernelINS0_14default_configENS1_20scan_config_selectorIlEEZZNS1_9scan_implILNS1_25lookback_scan_determinismE0ELb0ELb0ES3_PlS8_lN6thrust23THRUST_200600_302600_NS4plusIvEElEEDaPvRmT3_T4_T5_mT6_P12ihipStream_tbENKUlT_T0_E_clISt17integral_constantIbLb1EESP_IbLb0EEEEDaSL_SM_EUlSL_E_NS1_11comp_targetILNS1_3genE4ELNS1_11target_archE910ELNS1_3gpuE8ELNS1_3repE0EEENS1_30default_config_static_selectorELNS0_4arch9wavefront6targetE1EEEvT1_.numbered_sgpr, 0
	.set _ZN7rocprim17ROCPRIM_400000_NS6detail17trampoline_kernelINS0_14default_configENS1_20scan_config_selectorIlEEZZNS1_9scan_implILNS1_25lookback_scan_determinismE0ELb0ELb0ES3_PlS8_lN6thrust23THRUST_200600_302600_NS4plusIvEElEEDaPvRmT3_T4_T5_mT6_P12ihipStream_tbENKUlT_T0_E_clISt17integral_constantIbLb1EESP_IbLb0EEEEDaSL_SM_EUlSL_E_NS1_11comp_targetILNS1_3genE4ELNS1_11target_archE910ELNS1_3gpuE8ELNS1_3repE0EEENS1_30default_config_static_selectorELNS0_4arch9wavefront6targetE1EEEvT1_.num_named_barrier, 0
	.set _ZN7rocprim17ROCPRIM_400000_NS6detail17trampoline_kernelINS0_14default_configENS1_20scan_config_selectorIlEEZZNS1_9scan_implILNS1_25lookback_scan_determinismE0ELb0ELb0ES3_PlS8_lN6thrust23THRUST_200600_302600_NS4plusIvEElEEDaPvRmT3_T4_T5_mT6_P12ihipStream_tbENKUlT_T0_E_clISt17integral_constantIbLb1EESP_IbLb0EEEEDaSL_SM_EUlSL_E_NS1_11comp_targetILNS1_3genE4ELNS1_11target_archE910ELNS1_3gpuE8ELNS1_3repE0EEENS1_30default_config_static_selectorELNS0_4arch9wavefront6targetE1EEEvT1_.private_seg_size, 0
	.set _ZN7rocprim17ROCPRIM_400000_NS6detail17trampoline_kernelINS0_14default_configENS1_20scan_config_selectorIlEEZZNS1_9scan_implILNS1_25lookback_scan_determinismE0ELb0ELb0ES3_PlS8_lN6thrust23THRUST_200600_302600_NS4plusIvEElEEDaPvRmT3_T4_T5_mT6_P12ihipStream_tbENKUlT_T0_E_clISt17integral_constantIbLb1EESP_IbLb0EEEEDaSL_SM_EUlSL_E_NS1_11comp_targetILNS1_3genE4ELNS1_11target_archE910ELNS1_3gpuE8ELNS1_3repE0EEENS1_30default_config_static_selectorELNS0_4arch9wavefront6targetE1EEEvT1_.uses_vcc, 0
	.set _ZN7rocprim17ROCPRIM_400000_NS6detail17trampoline_kernelINS0_14default_configENS1_20scan_config_selectorIlEEZZNS1_9scan_implILNS1_25lookback_scan_determinismE0ELb0ELb0ES3_PlS8_lN6thrust23THRUST_200600_302600_NS4plusIvEElEEDaPvRmT3_T4_T5_mT6_P12ihipStream_tbENKUlT_T0_E_clISt17integral_constantIbLb1EESP_IbLb0EEEEDaSL_SM_EUlSL_E_NS1_11comp_targetILNS1_3genE4ELNS1_11target_archE910ELNS1_3gpuE8ELNS1_3repE0EEENS1_30default_config_static_selectorELNS0_4arch9wavefront6targetE1EEEvT1_.uses_flat_scratch, 0
	.set _ZN7rocprim17ROCPRIM_400000_NS6detail17trampoline_kernelINS0_14default_configENS1_20scan_config_selectorIlEEZZNS1_9scan_implILNS1_25lookback_scan_determinismE0ELb0ELb0ES3_PlS8_lN6thrust23THRUST_200600_302600_NS4plusIvEElEEDaPvRmT3_T4_T5_mT6_P12ihipStream_tbENKUlT_T0_E_clISt17integral_constantIbLb1EESP_IbLb0EEEEDaSL_SM_EUlSL_E_NS1_11comp_targetILNS1_3genE4ELNS1_11target_archE910ELNS1_3gpuE8ELNS1_3repE0EEENS1_30default_config_static_selectorELNS0_4arch9wavefront6targetE1EEEvT1_.has_dyn_sized_stack, 0
	.set _ZN7rocprim17ROCPRIM_400000_NS6detail17trampoline_kernelINS0_14default_configENS1_20scan_config_selectorIlEEZZNS1_9scan_implILNS1_25lookback_scan_determinismE0ELb0ELb0ES3_PlS8_lN6thrust23THRUST_200600_302600_NS4plusIvEElEEDaPvRmT3_T4_T5_mT6_P12ihipStream_tbENKUlT_T0_E_clISt17integral_constantIbLb1EESP_IbLb0EEEEDaSL_SM_EUlSL_E_NS1_11comp_targetILNS1_3genE4ELNS1_11target_archE910ELNS1_3gpuE8ELNS1_3repE0EEENS1_30default_config_static_selectorELNS0_4arch9wavefront6targetE1EEEvT1_.has_recursion, 0
	.set _ZN7rocprim17ROCPRIM_400000_NS6detail17trampoline_kernelINS0_14default_configENS1_20scan_config_selectorIlEEZZNS1_9scan_implILNS1_25lookback_scan_determinismE0ELb0ELb0ES3_PlS8_lN6thrust23THRUST_200600_302600_NS4plusIvEElEEDaPvRmT3_T4_T5_mT6_P12ihipStream_tbENKUlT_T0_E_clISt17integral_constantIbLb1EESP_IbLb0EEEEDaSL_SM_EUlSL_E_NS1_11comp_targetILNS1_3genE4ELNS1_11target_archE910ELNS1_3gpuE8ELNS1_3repE0EEENS1_30default_config_static_selectorELNS0_4arch9wavefront6targetE1EEEvT1_.has_indirect_call, 0
	.section	.AMDGPU.csdata,"",@progbits
; Kernel info:
; codeLenInByte = 0
; TotalNumSgprs: 6
; NumVgprs: 0
; NumAgprs: 0
; TotalNumVgprs: 0
; ScratchSize: 0
; MemoryBound: 0
; FloatMode: 240
; IeeeMode: 1
; LDSByteSize: 0 bytes/workgroup (compile time only)
; SGPRBlocks: 0
; VGPRBlocks: 0
; NumSGPRsForWavesPerEU: 6
; NumVGPRsForWavesPerEU: 1
; AccumOffset: 4
; Occupancy: 8
; WaveLimiterHint : 0
; COMPUTE_PGM_RSRC2:SCRATCH_EN: 0
; COMPUTE_PGM_RSRC2:USER_SGPR: 2
; COMPUTE_PGM_RSRC2:TRAP_HANDLER: 0
; COMPUTE_PGM_RSRC2:TGID_X_EN: 1
; COMPUTE_PGM_RSRC2:TGID_Y_EN: 0
; COMPUTE_PGM_RSRC2:TGID_Z_EN: 0
; COMPUTE_PGM_RSRC2:TIDIG_COMP_CNT: 0
; COMPUTE_PGM_RSRC3_GFX90A:ACCUM_OFFSET: 0
; COMPUTE_PGM_RSRC3_GFX90A:TG_SPLIT: 0
	.section	.text._ZN7rocprim17ROCPRIM_400000_NS6detail17trampoline_kernelINS0_14default_configENS1_20scan_config_selectorIlEEZZNS1_9scan_implILNS1_25lookback_scan_determinismE0ELb0ELb0ES3_PlS8_lN6thrust23THRUST_200600_302600_NS4plusIvEElEEDaPvRmT3_T4_T5_mT6_P12ihipStream_tbENKUlT_T0_E_clISt17integral_constantIbLb1EESP_IbLb0EEEEDaSL_SM_EUlSL_E_NS1_11comp_targetILNS1_3genE3ELNS1_11target_archE908ELNS1_3gpuE7ELNS1_3repE0EEENS1_30default_config_static_selectorELNS0_4arch9wavefront6targetE1EEEvT1_,"axG",@progbits,_ZN7rocprim17ROCPRIM_400000_NS6detail17trampoline_kernelINS0_14default_configENS1_20scan_config_selectorIlEEZZNS1_9scan_implILNS1_25lookback_scan_determinismE0ELb0ELb0ES3_PlS8_lN6thrust23THRUST_200600_302600_NS4plusIvEElEEDaPvRmT3_T4_T5_mT6_P12ihipStream_tbENKUlT_T0_E_clISt17integral_constantIbLb1EESP_IbLb0EEEEDaSL_SM_EUlSL_E_NS1_11comp_targetILNS1_3genE3ELNS1_11target_archE908ELNS1_3gpuE7ELNS1_3repE0EEENS1_30default_config_static_selectorELNS0_4arch9wavefront6targetE1EEEvT1_,comdat
	.protected	_ZN7rocprim17ROCPRIM_400000_NS6detail17trampoline_kernelINS0_14default_configENS1_20scan_config_selectorIlEEZZNS1_9scan_implILNS1_25lookback_scan_determinismE0ELb0ELb0ES3_PlS8_lN6thrust23THRUST_200600_302600_NS4plusIvEElEEDaPvRmT3_T4_T5_mT6_P12ihipStream_tbENKUlT_T0_E_clISt17integral_constantIbLb1EESP_IbLb0EEEEDaSL_SM_EUlSL_E_NS1_11comp_targetILNS1_3genE3ELNS1_11target_archE908ELNS1_3gpuE7ELNS1_3repE0EEENS1_30default_config_static_selectorELNS0_4arch9wavefront6targetE1EEEvT1_ ; -- Begin function _ZN7rocprim17ROCPRIM_400000_NS6detail17trampoline_kernelINS0_14default_configENS1_20scan_config_selectorIlEEZZNS1_9scan_implILNS1_25lookback_scan_determinismE0ELb0ELb0ES3_PlS8_lN6thrust23THRUST_200600_302600_NS4plusIvEElEEDaPvRmT3_T4_T5_mT6_P12ihipStream_tbENKUlT_T0_E_clISt17integral_constantIbLb1EESP_IbLb0EEEEDaSL_SM_EUlSL_E_NS1_11comp_targetILNS1_3genE3ELNS1_11target_archE908ELNS1_3gpuE7ELNS1_3repE0EEENS1_30default_config_static_selectorELNS0_4arch9wavefront6targetE1EEEvT1_
	.globl	_ZN7rocprim17ROCPRIM_400000_NS6detail17trampoline_kernelINS0_14default_configENS1_20scan_config_selectorIlEEZZNS1_9scan_implILNS1_25lookback_scan_determinismE0ELb0ELb0ES3_PlS8_lN6thrust23THRUST_200600_302600_NS4plusIvEElEEDaPvRmT3_T4_T5_mT6_P12ihipStream_tbENKUlT_T0_E_clISt17integral_constantIbLb1EESP_IbLb0EEEEDaSL_SM_EUlSL_E_NS1_11comp_targetILNS1_3genE3ELNS1_11target_archE908ELNS1_3gpuE7ELNS1_3repE0EEENS1_30default_config_static_selectorELNS0_4arch9wavefront6targetE1EEEvT1_
	.p2align	8
	.type	_ZN7rocprim17ROCPRIM_400000_NS6detail17trampoline_kernelINS0_14default_configENS1_20scan_config_selectorIlEEZZNS1_9scan_implILNS1_25lookback_scan_determinismE0ELb0ELb0ES3_PlS8_lN6thrust23THRUST_200600_302600_NS4plusIvEElEEDaPvRmT3_T4_T5_mT6_P12ihipStream_tbENKUlT_T0_E_clISt17integral_constantIbLb1EESP_IbLb0EEEEDaSL_SM_EUlSL_E_NS1_11comp_targetILNS1_3genE3ELNS1_11target_archE908ELNS1_3gpuE7ELNS1_3repE0EEENS1_30default_config_static_selectorELNS0_4arch9wavefront6targetE1EEEvT1_,@function
_ZN7rocprim17ROCPRIM_400000_NS6detail17trampoline_kernelINS0_14default_configENS1_20scan_config_selectorIlEEZZNS1_9scan_implILNS1_25lookback_scan_determinismE0ELb0ELb0ES3_PlS8_lN6thrust23THRUST_200600_302600_NS4plusIvEElEEDaPvRmT3_T4_T5_mT6_P12ihipStream_tbENKUlT_T0_E_clISt17integral_constantIbLb1EESP_IbLb0EEEEDaSL_SM_EUlSL_E_NS1_11comp_targetILNS1_3genE3ELNS1_11target_archE908ELNS1_3gpuE7ELNS1_3repE0EEENS1_30default_config_static_selectorELNS0_4arch9wavefront6targetE1EEEvT1_: ; @_ZN7rocprim17ROCPRIM_400000_NS6detail17trampoline_kernelINS0_14default_configENS1_20scan_config_selectorIlEEZZNS1_9scan_implILNS1_25lookback_scan_determinismE0ELb0ELb0ES3_PlS8_lN6thrust23THRUST_200600_302600_NS4plusIvEElEEDaPvRmT3_T4_T5_mT6_P12ihipStream_tbENKUlT_T0_E_clISt17integral_constantIbLb1EESP_IbLb0EEEEDaSL_SM_EUlSL_E_NS1_11comp_targetILNS1_3genE3ELNS1_11target_archE908ELNS1_3gpuE7ELNS1_3repE0EEENS1_30default_config_static_selectorELNS0_4arch9wavefront6targetE1EEEvT1_
; %bb.0:
	.section	.rodata,"a",@progbits
	.p2align	6, 0x0
	.amdhsa_kernel _ZN7rocprim17ROCPRIM_400000_NS6detail17trampoline_kernelINS0_14default_configENS1_20scan_config_selectorIlEEZZNS1_9scan_implILNS1_25lookback_scan_determinismE0ELb0ELb0ES3_PlS8_lN6thrust23THRUST_200600_302600_NS4plusIvEElEEDaPvRmT3_T4_T5_mT6_P12ihipStream_tbENKUlT_T0_E_clISt17integral_constantIbLb1EESP_IbLb0EEEEDaSL_SM_EUlSL_E_NS1_11comp_targetILNS1_3genE3ELNS1_11target_archE908ELNS1_3gpuE7ELNS1_3repE0EEENS1_30default_config_static_selectorELNS0_4arch9wavefront6targetE1EEEvT1_
		.amdhsa_group_segment_fixed_size 0
		.amdhsa_private_segment_fixed_size 0
		.amdhsa_kernarg_size 104
		.amdhsa_user_sgpr_count 2
		.amdhsa_user_sgpr_dispatch_ptr 0
		.amdhsa_user_sgpr_queue_ptr 0
		.amdhsa_user_sgpr_kernarg_segment_ptr 1
		.amdhsa_user_sgpr_dispatch_id 0
		.amdhsa_user_sgpr_kernarg_preload_length 0
		.amdhsa_user_sgpr_kernarg_preload_offset 0
		.amdhsa_user_sgpr_private_segment_size 0
		.amdhsa_uses_dynamic_stack 0
		.amdhsa_enable_private_segment 0
		.amdhsa_system_sgpr_workgroup_id_x 1
		.amdhsa_system_sgpr_workgroup_id_y 0
		.amdhsa_system_sgpr_workgroup_id_z 0
		.amdhsa_system_sgpr_workgroup_info 0
		.amdhsa_system_vgpr_workitem_id 0
		.amdhsa_next_free_vgpr 1
		.amdhsa_next_free_sgpr 0
		.amdhsa_accum_offset 4
		.amdhsa_reserve_vcc 0
		.amdhsa_float_round_mode_32 0
		.amdhsa_float_round_mode_16_64 0
		.amdhsa_float_denorm_mode_32 3
		.amdhsa_float_denorm_mode_16_64 3
		.amdhsa_dx10_clamp 1
		.amdhsa_ieee_mode 1
		.amdhsa_fp16_overflow 0
		.amdhsa_tg_split 0
		.amdhsa_exception_fp_ieee_invalid_op 0
		.amdhsa_exception_fp_denorm_src 0
		.amdhsa_exception_fp_ieee_div_zero 0
		.amdhsa_exception_fp_ieee_overflow 0
		.amdhsa_exception_fp_ieee_underflow 0
		.amdhsa_exception_fp_ieee_inexact 0
		.amdhsa_exception_int_div_zero 0
	.end_amdhsa_kernel
	.section	.text._ZN7rocprim17ROCPRIM_400000_NS6detail17trampoline_kernelINS0_14default_configENS1_20scan_config_selectorIlEEZZNS1_9scan_implILNS1_25lookback_scan_determinismE0ELb0ELb0ES3_PlS8_lN6thrust23THRUST_200600_302600_NS4plusIvEElEEDaPvRmT3_T4_T5_mT6_P12ihipStream_tbENKUlT_T0_E_clISt17integral_constantIbLb1EESP_IbLb0EEEEDaSL_SM_EUlSL_E_NS1_11comp_targetILNS1_3genE3ELNS1_11target_archE908ELNS1_3gpuE7ELNS1_3repE0EEENS1_30default_config_static_selectorELNS0_4arch9wavefront6targetE1EEEvT1_,"axG",@progbits,_ZN7rocprim17ROCPRIM_400000_NS6detail17trampoline_kernelINS0_14default_configENS1_20scan_config_selectorIlEEZZNS1_9scan_implILNS1_25lookback_scan_determinismE0ELb0ELb0ES3_PlS8_lN6thrust23THRUST_200600_302600_NS4plusIvEElEEDaPvRmT3_T4_T5_mT6_P12ihipStream_tbENKUlT_T0_E_clISt17integral_constantIbLb1EESP_IbLb0EEEEDaSL_SM_EUlSL_E_NS1_11comp_targetILNS1_3genE3ELNS1_11target_archE908ELNS1_3gpuE7ELNS1_3repE0EEENS1_30default_config_static_selectorELNS0_4arch9wavefront6targetE1EEEvT1_,comdat
.Lfunc_end125:
	.size	_ZN7rocprim17ROCPRIM_400000_NS6detail17trampoline_kernelINS0_14default_configENS1_20scan_config_selectorIlEEZZNS1_9scan_implILNS1_25lookback_scan_determinismE0ELb0ELb0ES3_PlS8_lN6thrust23THRUST_200600_302600_NS4plusIvEElEEDaPvRmT3_T4_T5_mT6_P12ihipStream_tbENKUlT_T0_E_clISt17integral_constantIbLb1EESP_IbLb0EEEEDaSL_SM_EUlSL_E_NS1_11comp_targetILNS1_3genE3ELNS1_11target_archE908ELNS1_3gpuE7ELNS1_3repE0EEENS1_30default_config_static_selectorELNS0_4arch9wavefront6targetE1EEEvT1_, .Lfunc_end125-_ZN7rocprim17ROCPRIM_400000_NS6detail17trampoline_kernelINS0_14default_configENS1_20scan_config_selectorIlEEZZNS1_9scan_implILNS1_25lookback_scan_determinismE0ELb0ELb0ES3_PlS8_lN6thrust23THRUST_200600_302600_NS4plusIvEElEEDaPvRmT3_T4_T5_mT6_P12ihipStream_tbENKUlT_T0_E_clISt17integral_constantIbLb1EESP_IbLb0EEEEDaSL_SM_EUlSL_E_NS1_11comp_targetILNS1_3genE3ELNS1_11target_archE908ELNS1_3gpuE7ELNS1_3repE0EEENS1_30default_config_static_selectorELNS0_4arch9wavefront6targetE1EEEvT1_
                                        ; -- End function
	.set _ZN7rocprim17ROCPRIM_400000_NS6detail17trampoline_kernelINS0_14default_configENS1_20scan_config_selectorIlEEZZNS1_9scan_implILNS1_25lookback_scan_determinismE0ELb0ELb0ES3_PlS8_lN6thrust23THRUST_200600_302600_NS4plusIvEElEEDaPvRmT3_T4_T5_mT6_P12ihipStream_tbENKUlT_T0_E_clISt17integral_constantIbLb1EESP_IbLb0EEEEDaSL_SM_EUlSL_E_NS1_11comp_targetILNS1_3genE3ELNS1_11target_archE908ELNS1_3gpuE7ELNS1_3repE0EEENS1_30default_config_static_selectorELNS0_4arch9wavefront6targetE1EEEvT1_.num_vgpr, 0
	.set _ZN7rocprim17ROCPRIM_400000_NS6detail17trampoline_kernelINS0_14default_configENS1_20scan_config_selectorIlEEZZNS1_9scan_implILNS1_25lookback_scan_determinismE0ELb0ELb0ES3_PlS8_lN6thrust23THRUST_200600_302600_NS4plusIvEElEEDaPvRmT3_T4_T5_mT6_P12ihipStream_tbENKUlT_T0_E_clISt17integral_constantIbLb1EESP_IbLb0EEEEDaSL_SM_EUlSL_E_NS1_11comp_targetILNS1_3genE3ELNS1_11target_archE908ELNS1_3gpuE7ELNS1_3repE0EEENS1_30default_config_static_selectorELNS0_4arch9wavefront6targetE1EEEvT1_.num_agpr, 0
	.set _ZN7rocprim17ROCPRIM_400000_NS6detail17trampoline_kernelINS0_14default_configENS1_20scan_config_selectorIlEEZZNS1_9scan_implILNS1_25lookback_scan_determinismE0ELb0ELb0ES3_PlS8_lN6thrust23THRUST_200600_302600_NS4plusIvEElEEDaPvRmT3_T4_T5_mT6_P12ihipStream_tbENKUlT_T0_E_clISt17integral_constantIbLb1EESP_IbLb0EEEEDaSL_SM_EUlSL_E_NS1_11comp_targetILNS1_3genE3ELNS1_11target_archE908ELNS1_3gpuE7ELNS1_3repE0EEENS1_30default_config_static_selectorELNS0_4arch9wavefront6targetE1EEEvT1_.numbered_sgpr, 0
	.set _ZN7rocprim17ROCPRIM_400000_NS6detail17trampoline_kernelINS0_14default_configENS1_20scan_config_selectorIlEEZZNS1_9scan_implILNS1_25lookback_scan_determinismE0ELb0ELb0ES3_PlS8_lN6thrust23THRUST_200600_302600_NS4plusIvEElEEDaPvRmT3_T4_T5_mT6_P12ihipStream_tbENKUlT_T0_E_clISt17integral_constantIbLb1EESP_IbLb0EEEEDaSL_SM_EUlSL_E_NS1_11comp_targetILNS1_3genE3ELNS1_11target_archE908ELNS1_3gpuE7ELNS1_3repE0EEENS1_30default_config_static_selectorELNS0_4arch9wavefront6targetE1EEEvT1_.num_named_barrier, 0
	.set _ZN7rocprim17ROCPRIM_400000_NS6detail17trampoline_kernelINS0_14default_configENS1_20scan_config_selectorIlEEZZNS1_9scan_implILNS1_25lookback_scan_determinismE0ELb0ELb0ES3_PlS8_lN6thrust23THRUST_200600_302600_NS4plusIvEElEEDaPvRmT3_T4_T5_mT6_P12ihipStream_tbENKUlT_T0_E_clISt17integral_constantIbLb1EESP_IbLb0EEEEDaSL_SM_EUlSL_E_NS1_11comp_targetILNS1_3genE3ELNS1_11target_archE908ELNS1_3gpuE7ELNS1_3repE0EEENS1_30default_config_static_selectorELNS0_4arch9wavefront6targetE1EEEvT1_.private_seg_size, 0
	.set _ZN7rocprim17ROCPRIM_400000_NS6detail17trampoline_kernelINS0_14default_configENS1_20scan_config_selectorIlEEZZNS1_9scan_implILNS1_25lookback_scan_determinismE0ELb0ELb0ES3_PlS8_lN6thrust23THRUST_200600_302600_NS4plusIvEElEEDaPvRmT3_T4_T5_mT6_P12ihipStream_tbENKUlT_T0_E_clISt17integral_constantIbLb1EESP_IbLb0EEEEDaSL_SM_EUlSL_E_NS1_11comp_targetILNS1_3genE3ELNS1_11target_archE908ELNS1_3gpuE7ELNS1_3repE0EEENS1_30default_config_static_selectorELNS0_4arch9wavefront6targetE1EEEvT1_.uses_vcc, 0
	.set _ZN7rocprim17ROCPRIM_400000_NS6detail17trampoline_kernelINS0_14default_configENS1_20scan_config_selectorIlEEZZNS1_9scan_implILNS1_25lookback_scan_determinismE0ELb0ELb0ES3_PlS8_lN6thrust23THRUST_200600_302600_NS4plusIvEElEEDaPvRmT3_T4_T5_mT6_P12ihipStream_tbENKUlT_T0_E_clISt17integral_constantIbLb1EESP_IbLb0EEEEDaSL_SM_EUlSL_E_NS1_11comp_targetILNS1_3genE3ELNS1_11target_archE908ELNS1_3gpuE7ELNS1_3repE0EEENS1_30default_config_static_selectorELNS0_4arch9wavefront6targetE1EEEvT1_.uses_flat_scratch, 0
	.set _ZN7rocprim17ROCPRIM_400000_NS6detail17trampoline_kernelINS0_14default_configENS1_20scan_config_selectorIlEEZZNS1_9scan_implILNS1_25lookback_scan_determinismE0ELb0ELb0ES3_PlS8_lN6thrust23THRUST_200600_302600_NS4plusIvEElEEDaPvRmT3_T4_T5_mT6_P12ihipStream_tbENKUlT_T0_E_clISt17integral_constantIbLb1EESP_IbLb0EEEEDaSL_SM_EUlSL_E_NS1_11comp_targetILNS1_3genE3ELNS1_11target_archE908ELNS1_3gpuE7ELNS1_3repE0EEENS1_30default_config_static_selectorELNS0_4arch9wavefront6targetE1EEEvT1_.has_dyn_sized_stack, 0
	.set _ZN7rocprim17ROCPRIM_400000_NS6detail17trampoline_kernelINS0_14default_configENS1_20scan_config_selectorIlEEZZNS1_9scan_implILNS1_25lookback_scan_determinismE0ELb0ELb0ES3_PlS8_lN6thrust23THRUST_200600_302600_NS4plusIvEElEEDaPvRmT3_T4_T5_mT6_P12ihipStream_tbENKUlT_T0_E_clISt17integral_constantIbLb1EESP_IbLb0EEEEDaSL_SM_EUlSL_E_NS1_11comp_targetILNS1_3genE3ELNS1_11target_archE908ELNS1_3gpuE7ELNS1_3repE0EEENS1_30default_config_static_selectorELNS0_4arch9wavefront6targetE1EEEvT1_.has_recursion, 0
	.set _ZN7rocprim17ROCPRIM_400000_NS6detail17trampoline_kernelINS0_14default_configENS1_20scan_config_selectorIlEEZZNS1_9scan_implILNS1_25lookback_scan_determinismE0ELb0ELb0ES3_PlS8_lN6thrust23THRUST_200600_302600_NS4plusIvEElEEDaPvRmT3_T4_T5_mT6_P12ihipStream_tbENKUlT_T0_E_clISt17integral_constantIbLb1EESP_IbLb0EEEEDaSL_SM_EUlSL_E_NS1_11comp_targetILNS1_3genE3ELNS1_11target_archE908ELNS1_3gpuE7ELNS1_3repE0EEENS1_30default_config_static_selectorELNS0_4arch9wavefront6targetE1EEEvT1_.has_indirect_call, 0
	.section	.AMDGPU.csdata,"",@progbits
; Kernel info:
; codeLenInByte = 0
; TotalNumSgprs: 6
; NumVgprs: 0
; NumAgprs: 0
; TotalNumVgprs: 0
; ScratchSize: 0
; MemoryBound: 0
; FloatMode: 240
; IeeeMode: 1
; LDSByteSize: 0 bytes/workgroup (compile time only)
; SGPRBlocks: 0
; VGPRBlocks: 0
; NumSGPRsForWavesPerEU: 6
; NumVGPRsForWavesPerEU: 1
; AccumOffset: 4
; Occupancy: 8
; WaveLimiterHint : 0
; COMPUTE_PGM_RSRC2:SCRATCH_EN: 0
; COMPUTE_PGM_RSRC2:USER_SGPR: 2
; COMPUTE_PGM_RSRC2:TRAP_HANDLER: 0
; COMPUTE_PGM_RSRC2:TGID_X_EN: 1
; COMPUTE_PGM_RSRC2:TGID_Y_EN: 0
; COMPUTE_PGM_RSRC2:TGID_Z_EN: 0
; COMPUTE_PGM_RSRC2:TIDIG_COMP_CNT: 0
; COMPUTE_PGM_RSRC3_GFX90A:ACCUM_OFFSET: 0
; COMPUTE_PGM_RSRC3_GFX90A:TG_SPLIT: 0
	.section	.text._ZN7rocprim17ROCPRIM_400000_NS6detail17trampoline_kernelINS0_14default_configENS1_20scan_config_selectorIlEEZZNS1_9scan_implILNS1_25lookback_scan_determinismE0ELb0ELb0ES3_PlS8_lN6thrust23THRUST_200600_302600_NS4plusIvEElEEDaPvRmT3_T4_T5_mT6_P12ihipStream_tbENKUlT_T0_E_clISt17integral_constantIbLb1EESP_IbLb0EEEEDaSL_SM_EUlSL_E_NS1_11comp_targetILNS1_3genE2ELNS1_11target_archE906ELNS1_3gpuE6ELNS1_3repE0EEENS1_30default_config_static_selectorELNS0_4arch9wavefront6targetE1EEEvT1_,"axG",@progbits,_ZN7rocprim17ROCPRIM_400000_NS6detail17trampoline_kernelINS0_14default_configENS1_20scan_config_selectorIlEEZZNS1_9scan_implILNS1_25lookback_scan_determinismE0ELb0ELb0ES3_PlS8_lN6thrust23THRUST_200600_302600_NS4plusIvEElEEDaPvRmT3_T4_T5_mT6_P12ihipStream_tbENKUlT_T0_E_clISt17integral_constantIbLb1EESP_IbLb0EEEEDaSL_SM_EUlSL_E_NS1_11comp_targetILNS1_3genE2ELNS1_11target_archE906ELNS1_3gpuE6ELNS1_3repE0EEENS1_30default_config_static_selectorELNS0_4arch9wavefront6targetE1EEEvT1_,comdat
	.protected	_ZN7rocprim17ROCPRIM_400000_NS6detail17trampoline_kernelINS0_14default_configENS1_20scan_config_selectorIlEEZZNS1_9scan_implILNS1_25lookback_scan_determinismE0ELb0ELb0ES3_PlS8_lN6thrust23THRUST_200600_302600_NS4plusIvEElEEDaPvRmT3_T4_T5_mT6_P12ihipStream_tbENKUlT_T0_E_clISt17integral_constantIbLb1EESP_IbLb0EEEEDaSL_SM_EUlSL_E_NS1_11comp_targetILNS1_3genE2ELNS1_11target_archE906ELNS1_3gpuE6ELNS1_3repE0EEENS1_30default_config_static_selectorELNS0_4arch9wavefront6targetE1EEEvT1_ ; -- Begin function _ZN7rocprim17ROCPRIM_400000_NS6detail17trampoline_kernelINS0_14default_configENS1_20scan_config_selectorIlEEZZNS1_9scan_implILNS1_25lookback_scan_determinismE0ELb0ELb0ES3_PlS8_lN6thrust23THRUST_200600_302600_NS4plusIvEElEEDaPvRmT3_T4_T5_mT6_P12ihipStream_tbENKUlT_T0_E_clISt17integral_constantIbLb1EESP_IbLb0EEEEDaSL_SM_EUlSL_E_NS1_11comp_targetILNS1_3genE2ELNS1_11target_archE906ELNS1_3gpuE6ELNS1_3repE0EEENS1_30default_config_static_selectorELNS0_4arch9wavefront6targetE1EEEvT1_
	.globl	_ZN7rocprim17ROCPRIM_400000_NS6detail17trampoline_kernelINS0_14default_configENS1_20scan_config_selectorIlEEZZNS1_9scan_implILNS1_25lookback_scan_determinismE0ELb0ELb0ES3_PlS8_lN6thrust23THRUST_200600_302600_NS4plusIvEElEEDaPvRmT3_T4_T5_mT6_P12ihipStream_tbENKUlT_T0_E_clISt17integral_constantIbLb1EESP_IbLb0EEEEDaSL_SM_EUlSL_E_NS1_11comp_targetILNS1_3genE2ELNS1_11target_archE906ELNS1_3gpuE6ELNS1_3repE0EEENS1_30default_config_static_selectorELNS0_4arch9wavefront6targetE1EEEvT1_
	.p2align	8
	.type	_ZN7rocprim17ROCPRIM_400000_NS6detail17trampoline_kernelINS0_14default_configENS1_20scan_config_selectorIlEEZZNS1_9scan_implILNS1_25lookback_scan_determinismE0ELb0ELb0ES3_PlS8_lN6thrust23THRUST_200600_302600_NS4plusIvEElEEDaPvRmT3_T4_T5_mT6_P12ihipStream_tbENKUlT_T0_E_clISt17integral_constantIbLb1EESP_IbLb0EEEEDaSL_SM_EUlSL_E_NS1_11comp_targetILNS1_3genE2ELNS1_11target_archE906ELNS1_3gpuE6ELNS1_3repE0EEENS1_30default_config_static_selectorELNS0_4arch9wavefront6targetE1EEEvT1_,@function
_ZN7rocprim17ROCPRIM_400000_NS6detail17trampoline_kernelINS0_14default_configENS1_20scan_config_selectorIlEEZZNS1_9scan_implILNS1_25lookback_scan_determinismE0ELb0ELb0ES3_PlS8_lN6thrust23THRUST_200600_302600_NS4plusIvEElEEDaPvRmT3_T4_T5_mT6_P12ihipStream_tbENKUlT_T0_E_clISt17integral_constantIbLb1EESP_IbLb0EEEEDaSL_SM_EUlSL_E_NS1_11comp_targetILNS1_3genE2ELNS1_11target_archE906ELNS1_3gpuE6ELNS1_3repE0EEENS1_30default_config_static_selectorELNS0_4arch9wavefront6targetE1EEEvT1_: ; @_ZN7rocprim17ROCPRIM_400000_NS6detail17trampoline_kernelINS0_14default_configENS1_20scan_config_selectorIlEEZZNS1_9scan_implILNS1_25lookback_scan_determinismE0ELb0ELb0ES3_PlS8_lN6thrust23THRUST_200600_302600_NS4plusIvEElEEDaPvRmT3_T4_T5_mT6_P12ihipStream_tbENKUlT_T0_E_clISt17integral_constantIbLb1EESP_IbLb0EEEEDaSL_SM_EUlSL_E_NS1_11comp_targetILNS1_3genE2ELNS1_11target_archE906ELNS1_3gpuE6ELNS1_3repE0EEENS1_30default_config_static_selectorELNS0_4arch9wavefront6targetE1EEEvT1_
; %bb.0:
	.section	.rodata,"a",@progbits
	.p2align	6, 0x0
	.amdhsa_kernel _ZN7rocprim17ROCPRIM_400000_NS6detail17trampoline_kernelINS0_14default_configENS1_20scan_config_selectorIlEEZZNS1_9scan_implILNS1_25lookback_scan_determinismE0ELb0ELb0ES3_PlS8_lN6thrust23THRUST_200600_302600_NS4plusIvEElEEDaPvRmT3_T4_T5_mT6_P12ihipStream_tbENKUlT_T0_E_clISt17integral_constantIbLb1EESP_IbLb0EEEEDaSL_SM_EUlSL_E_NS1_11comp_targetILNS1_3genE2ELNS1_11target_archE906ELNS1_3gpuE6ELNS1_3repE0EEENS1_30default_config_static_selectorELNS0_4arch9wavefront6targetE1EEEvT1_
		.amdhsa_group_segment_fixed_size 0
		.amdhsa_private_segment_fixed_size 0
		.amdhsa_kernarg_size 104
		.amdhsa_user_sgpr_count 2
		.amdhsa_user_sgpr_dispatch_ptr 0
		.amdhsa_user_sgpr_queue_ptr 0
		.amdhsa_user_sgpr_kernarg_segment_ptr 1
		.amdhsa_user_sgpr_dispatch_id 0
		.amdhsa_user_sgpr_kernarg_preload_length 0
		.amdhsa_user_sgpr_kernarg_preload_offset 0
		.amdhsa_user_sgpr_private_segment_size 0
		.amdhsa_uses_dynamic_stack 0
		.amdhsa_enable_private_segment 0
		.amdhsa_system_sgpr_workgroup_id_x 1
		.amdhsa_system_sgpr_workgroup_id_y 0
		.amdhsa_system_sgpr_workgroup_id_z 0
		.amdhsa_system_sgpr_workgroup_info 0
		.amdhsa_system_vgpr_workitem_id 0
		.amdhsa_next_free_vgpr 1
		.amdhsa_next_free_sgpr 0
		.amdhsa_accum_offset 4
		.amdhsa_reserve_vcc 0
		.amdhsa_float_round_mode_32 0
		.amdhsa_float_round_mode_16_64 0
		.amdhsa_float_denorm_mode_32 3
		.amdhsa_float_denorm_mode_16_64 3
		.amdhsa_dx10_clamp 1
		.amdhsa_ieee_mode 1
		.amdhsa_fp16_overflow 0
		.amdhsa_tg_split 0
		.amdhsa_exception_fp_ieee_invalid_op 0
		.amdhsa_exception_fp_denorm_src 0
		.amdhsa_exception_fp_ieee_div_zero 0
		.amdhsa_exception_fp_ieee_overflow 0
		.amdhsa_exception_fp_ieee_underflow 0
		.amdhsa_exception_fp_ieee_inexact 0
		.amdhsa_exception_int_div_zero 0
	.end_amdhsa_kernel
	.section	.text._ZN7rocprim17ROCPRIM_400000_NS6detail17trampoline_kernelINS0_14default_configENS1_20scan_config_selectorIlEEZZNS1_9scan_implILNS1_25lookback_scan_determinismE0ELb0ELb0ES3_PlS8_lN6thrust23THRUST_200600_302600_NS4plusIvEElEEDaPvRmT3_T4_T5_mT6_P12ihipStream_tbENKUlT_T0_E_clISt17integral_constantIbLb1EESP_IbLb0EEEEDaSL_SM_EUlSL_E_NS1_11comp_targetILNS1_3genE2ELNS1_11target_archE906ELNS1_3gpuE6ELNS1_3repE0EEENS1_30default_config_static_selectorELNS0_4arch9wavefront6targetE1EEEvT1_,"axG",@progbits,_ZN7rocprim17ROCPRIM_400000_NS6detail17trampoline_kernelINS0_14default_configENS1_20scan_config_selectorIlEEZZNS1_9scan_implILNS1_25lookback_scan_determinismE0ELb0ELb0ES3_PlS8_lN6thrust23THRUST_200600_302600_NS4plusIvEElEEDaPvRmT3_T4_T5_mT6_P12ihipStream_tbENKUlT_T0_E_clISt17integral_constantIbLb1EESP_IbLb0EEEEDaSL_SM_EUlSL_E_NS1_11comp_targetILNS1_3genE2ELNS1_11target_archE906ELNS1_3gpuE6ELNS1_3repE0EEENS1_30default_config_static_selectorELNS0_4arch9wavefront6targetE1EEEvT1_,comdat
.Lfunc_end126:
	.size	_ZN7rocprim17ROCPRIM_400000_NS6detail17trampoline_kernelINS0_14default_configENS1_20scan_config_selectorIlEEZZNS1_9scan_implILNS1_25lookback_scan_determinismE0ELb0ELb0ES3_PlS8_lN6thrust23THRUST_200600_302600_NS4plusIvEElEEDaPvRmT3_T4_T5_mT6_P12ihipStream_tbENKUlT_T0_E_clISt17integral_constantIbLb1EESP_IbLb0EEEEDaSL_SM_EUlSL_E_NS1_11comp_targetILNS1_3genE2ELNS1_11target_archE906ELNS1_3gpuE6ELNS1_3repE0EEENS1_30default_config_static_selectorELNS0_4arch9wavefront6targetE1EEEvT1_, .Lfunc_end126-_ZN7rocprim17ROCPRIM_400000_NS6detail17trampoline_kernelINS0_14default_configENS1_20scan_config_selectorIlEEZZNS1_9scan_implILNS1_25lookback_scan_determinismE0ELb0ELb0ES3_PlS8_lN6thrust23THRUST_200600_302600_NS4plusIvEElEEDaPvRmT3_T4_T5_mT6_P12ihipStream_tbENKUlT_T0_E_clISt17integral_constantIbLb1EESP_IbLb0EEEEDaSL_SM_EUlSL_E_NS1_11comp_targetILNS1_3genE2ELNS1_11target_archE906ELNS1_3gpuE6ELNS1_3repE0EEENS1_30default_config_static_selectorELNS0_4arch9wavefront6targetE1EEEvT1_
                                        ; -- End function
	.set _ZN7rocprim17ROCPRIM_400000_NS6detail17trampoline_kernelINS0_14default_configENS1_20scan_config_selectorIlEEZZNS1_9scan_implILNS1_25lookback_scan_determinismE0ELb0ELb0ES3_PlS8_lN6thrust23THRUST_200600_302600_NS4plusIvEElEEDaPvRmT3_T4_T5_mT6_P12ihipStream_tbENKUlT_T0_E_clISt17integral_constantIbLb1EESP_IbLb0EEEEDaSL_SM_EUlSL_E_NS1_11comp_targetILNS1_3genE2ELNS1_11target_archE906ELNS1_3gpuE6ELNS1_3repE0EEENS1_30default_config_static_selectorELNS0_4arch9wavefront6targetE1EEEvT1_.num_vgpr, 0
	.set _ZN7rocprim17ROCPRIM_400000_NS6detail17trampoline_kernelINS0_14default_configENS1_20scan_config_selectorIlEEZZNS1_9scan_implILNS1_25lookback_scan_determinismE0ELb0ELb0ES3_PlS8_lN6thrust23THRUST_200600_302600_NS4plusIvEElEEDaPvRmT3_T4_T5_mT6_P12ihipStream_tbENKUlT_T0_E_clISt17integral_constantIbLb1EESP_IbLb0EEEEDaSL_SM_EUlSL_E_NS1_11comp_targetILNS1_3genE2ELNS1_11target_archE906ELNS1_3gpuE6ELNS1_3repE0EEENS1_30default_config_static_selectorELNS0_4arch9wavefront6targetE1EEEvT1_.num_agpr, 0
	.set _ZN7rocprim17ROCPRIM_400000_NS6detail17trampoline_kernelINS0_14default_configENS1_20scan_config_selectorIlEEZZNS1_9scan_implILNS1_25lookback_scan_determinismE0ELb0ELb0ES3_PlS8_lN6thrust23THRUST_200600_302600_NS4plusIvEElEEDaPvRmT3_T4_T5_mT6_P12ihipStream_tbENKUlT_T0_E_clISt17integral_constantIbLb1EESP_IbLb0EEEEDaSL_SM_EUlSL_E_NS1_11comp_targetILNS1_3genE2ELNS1_11target_archE906ELNS1_3gpuE6ELNS1_3repE0EEENS1_30default_config_static_selectorELNS0_4arch9wavefront6targetE1EEEvT1_.numbered_sgpr, 0
	.set _ZN7rocprim17ROCPRIM_400000_NS6detail17trampoline_kernelINS0_14default_configENS1_20scan_config_selectorIlEEZZNS1_9scan_implILNS1_25lookback_scan_determinismE0ELb0ELb0ES3_PlS8_lN6thrust23THRUST_200600_302600_NS4plusIvEElEEDaPvRmT3_T4_T5_mT6_P12ihipStream_tbENKUlT_T0_E_clISt17integral_constantIbLb1EESP_IbLb0EEEEDaSL_SM_EUlSL_E_NS1_11comp_targetILNS1_3genE2ELNS1_11target_archE906ELNS1_3gpuE6ELNS1_3repE0EEENS1_30default_config_static_selectorELNS0_4arch9wavefront6targetE1EEEvT1_.num_named_barrier, 0
	.set _ZN7rocprim17ROCPRIM_400000_NS6detail17trampoline_kernelINS0_14default_configENS1_20scan_config_selectorIlEEZZNS1_9scan_implILNS1_25lookback_scan_determinismE0ELb0ELb0ES3_PlS8_lN6thrust23THRUST_200600_302600_NS4plusIvEElEEDaPvRmT3_T4_T5_mT6_P12ihipStream_tbENKUlT_T0_E_clISt17integral_constantIbLb1EESP_IbLb0EEEEDaSL_SM_EUlSL_E_NS1_11comp_targetILNS1_3genE2ELNS1_11target_archE906ELNS1_3gpuE6ELNS1_3repE0EEENS1_30default_config_static_selectorELNS0_4arch9wavefront6targetE1EEEvT1_.private_seg_size, 0
	.set _ZN7rocprim17ROCPRIM_400000_NS6detail17trampoline_kernelINS0_14default_configENS1_20scan_config_selectorIlEEZZNS1_9scan_implILNS1_25lookback_scan_determinismE0ELb0ELb0ES3_PlS8_lN6thrust23THRUST_200600_302600_NS4plusIvEElEEDaPvRmT3_T4_T5_mT6_P12ihipStream_tbENKUlT_T0_E_clISt17integral_constantIbLb1EESP_IbLb0EEEEDaSL_SM_EUlSL_E_NS1_11comp_targetILNS1_3genE2ELNS1_11target_archE906ELNS1_3gpuE6ELNS1_3repE0EEENS1_30default_config_static_selectorELNS0_4arch9wavefront6targetE1EEEvT1_.uses_vcc, 0
	.set _ZN7rocprim17ROCPRIM_400000_NS6detail17trampoline_kernelINS0_14default_configENS1_20scan_config_selectorIlEEZZNS1_9scan_implILNS1_25lookback_scan_determinismE0ELb0ELb0ES3_PlS8_lN6thrust23THRUST_200600_302600_NS4plusIvEElEEDaPvRmT3_T4_T5_mT6_P12ihipStream_tbENKUlT_T0_E_clISt17integral_constantIbLb1EESP_IbLb0EEEEDaSL_SM_EUlSL_E_NS1_11comp_targetILNS1_3genE2ELNS1_11target_archE906ELNS1_3gpuE6ELNS1_3repE0EEENS1_30default_config_static_selectorELNS0_4arch9wavefront6targetE1EEEvT1_.uses_flat_scratch, 0
	.set _ZN7rocprim17ROCPRIM_400000_NS6detail17trampoline_kernelINS0_14default_configENS1_20scan_config_selectorIlEEZZNS1_9scan_implILNS1_25lookback_scan_determinismE0ELb0ELb0ES3_PlS8_lN6thrust23THRUST_200600_302600_NS4plusIvEElEEDaPvRmT3_T4_T5_mT6_P12ihipStream_tbENKUlT_T0_E_clISt17integral_constantIbLb1EESP_IbLb0EEEEDaSL_SM_EUlSL_E_NS1_11comp_targetILNS1_3genE2ELNS1_11target_archE906ELNS1_3gpuE6ELNS1_3repE0EEENS1_30default_config_static_selectorELNS0_4arch9wavefront6targetE1EEEvT1_.has_dyn_sized_stack, 0
	.set _ZN7rocprim17ROCPRIM_400000_NS6detail17trampoline_kernelINS0_14default_configENS1_20scan_config_selectorIlEEZZNS1_9scan_implILNS1_25lookback_scan_determinismE0ELb0ELb0ES3_PlS8_lN6thrust23THRUST_200600_302600_NS4plusIvEElEEDaPvRmT3_T4_T5_mT6_P12ihipStream_tbENKUlT_T0_E_clISt17integral_constantIbLb1EESP_IbLb0EEEEDaSL_SM_EUlSL_E_NS1_11comp_targetILNS1_3genE2ELNS1_11target_archE906ELNS1_3gpuE6ELNS1_3repE0EEENS1_30default_config_static_selectorELNS0_4arch9wavefront6targetE1EEEvT1_.has_recursion, 0
	.set _ZN7rocprim17ROCPRIM_400000_NS6detail17trampoline_kernelINS0_14default_configENS1_20scan_config_selectorIlEEZZNS1_9scan_implILNS1_25lookback_scan_determinismE0ELb0ELb0ES3_PlS8_lN6thrust23THRUST_200600_302600_NS4plusIvEElEEDaPvRmT3_T4_T5_mT6_P12ihipStream_tbENKUlT_T0_E_clISt17integral_constantIbLb1EESP_IbLb0EEEEDaSL_SM_EUlSL_E_NS1_11comp_targetILNS1_3genE2ELNS1_11target_archE906ELNS1_3gpuE6ELNS1_3repE0EEENS1_30default_config_static_selectorELNS0_4arch9wavefront6targetE1EEEvT1_.has_indirect_call, 0
	.section	.AMDGPU.csdata,"",@progbits
; Kernel info:
; codeLenInByte = 0
; TotalNumSgprs: 6
; NumVgprs: 0
; NumAgprs: 0
; TotalNumVgprs: 0
; ScratchSize: 0
; MemoryBound: 0
; FloatMode: 240
; IeeeMode: 1
; LDSByteSize: 0 bytes/workgroup (compile time only)
; SGPRBlocks: 0
; VGPRBlocks: 0
; NumSGPRsForWavesPerEU: 6
; NumVGPRsForWavesPerEU: 1
; AccumOffset: 4
; Occupancy: 8
; WaveLimiterHint : 0
; COMPUTE_PGM_RSRC2:SCRATCH_EN: 0
; COMPUTE_PGM_RSRC2:USER_SGPR: 2
; COMPUTE_PGM_RSRC2:TRAP_HANDLER: 0
; COMPUTE_PGM_RSRC2:TGID_X_EN: 1
; COMPUTE_PGM_RSRC2:TGID_Y_EN: 0
; COMPUTE_PGM_RSRC2:TGID_Z_EN: 0
; COMPUTE_PGM_RSRC2:TIDIG_COMP_CNT: 0
; COMPUTE_PGM_RSRC3_GFX90A:ACCUM_OFFSET: 0
; COMPUTE_PGM_RSRC3_GFX90A:TG_SPLIT: 0
	.section	.text._ZN7rocprim17ROCPRIM_400000_NS6detail17trampoline_kernelINS0_14default_configENS1_20scan_config_selectorIlEEZZNS1_9scan_implILNS1_25lookback_scan_determinismE0ELb0ELb0ES3_PlS8_lN6thrust23THRUST_200600_302600_NS4plusIvEElEEDaPvRmT3_T4_T5_mT6_P12ihipStream_tbENKUlT_T0_E_clISt17integral_constantIbLb1EESP_IbLb0EEEEDaSL_SM_EUlSL_E_NS1_11comp_targetILNS1_3genE10ELNS1_11target_archE1201ELNS1_3gpuE5ELNS1_3repE0EEENS1_30default_config_static_selectorELNS0_4arch9wavefront6targetE1EEEvT1_,"axG",@progbits,_ZN7rocprim17ROCPRIM_400000_NS6detail17trampoline_kernelINS0_14default_configENS1_20scan_config_selectorIlEEZZNS1_9scan_implILNS1_25lookback_scan_determinismE0ELb0ELb0ES3_PlS8_lN6thrust23THRUST_200600_302600_NS4plusIvEElEEDaPvRmT3_T4_T5_mT6_P12ihipStream_tbENKUlT_T0_E_clISt17integral_constantIbLb1EESP_IbLb0EEEEDaSL_SM_EUlSL_E_NS1_11comp_targetILNS1_3genE10ELNS1_11target_archE1201ELNS1_3gpuE5ELNS1_3repE0EEENS1_30default_config_static_selectorELNS0_4arch9wavefront6targetE1EEEvT1_,comdat
	.protected	_ZN7rocprim17ROCPRIM_400000_NS6detail17trampoline_kernelINS0_14default_configENS1_20scan_config_selectorIlEEZZNS1_9scan_implILNS1_25lookback_scan_determinismE0ELb0ELb0ES3_PlS8_lN6thrust23THRUST_200600_302600_NS4plusIvEElEEDaPvRmT3_T4_T5_mT6_P12ihipStream_tbENKUlT_T0_E_clISt17integral_constantIbLb1EESP_IbLb0EEEEDaSL_SM_EUlSL_E_NS1_11comp_targetILNS1_3genE10ELNS1_11target_archE1201ELNS1_3gpuE5ELNS1_3repE0EEENS1_30default_config_static_selectorELNS0_4arch9wavefront6targetE1EEEvT1_ ; -- Begin function _ZN7rocprim17ROCPRIM_400000_NS6detail17trampoline_kernelINS0_14default_configENS1_20scan_config_selectorIlEEZZNS1_9scan_implILNS1_25lookback_scan_determinismE0ELb0ELb0ES3_PlS8_lN6thrust23THRUST_200600_302600_NS4plusIvEElEEDaPvRmT3_T4_T5_mT6_P12ihipStream_tbENKUlT_T0_E_clISt17integral_constantIbLb1EESP_IbLb0EEEEDaSL_SM_EUlSL_E_NS1_11comp_targetILNS1_3genE10ELNS1_11target_archE1201ELNS1_3gpuE5ELNS1_3repE0EEENS1_30default_config_static_selectorELNS0_4arch9wavefront6targetE1EEEvT1_
	.globl	_ZN7rocprim17ROCPRIM_400000_NS6detail17trampoline_kernelINS0_14default_configENS1_20scan_config_selectorIlEEZZNS1_9scan_implILNS1_25lookback_scan_determinismE0ELb0ELb0ES3_PlS8_lN6thrust23THRUST_200600_302600_NS4plusIvEElEEDaPvRmT3_T4_T5_mT6_P12ihipStream_tbENKUlT_T0_E_clISt17integral_constantIbLb1EESP_IbLb0EEEEDaSL_SM_EUlSL_E_NS1_11comp_targetILNS1_3genE10ELNS1_11target_archE1201ELNS1_3gpuE5ELNS1_3repE0EEENS1_30default_config_static_selectorELNS0_4arch9wavefront6targetE1EEEvT1_
	.p2align	8
	.type	_ZN7rocprim17ROCPRIM_400000_NS6detail17trampoline_kernelINS0_14default_configENS1_20scan_config_selectorIlEEZZNS1_9scan_implILNS1_25lookback_scan_determinismE0ELb0ELb0ES3_PlS8_lN6thrust23THRUST_200600_302600_NS4plusIvEElEEDaPvRmT3_T4_T5_mT6_P12ihipStream_tbENKUlT_T0_E_clISt17integral_constantIbLb1EESP_IbLb0EEEEDaSL_SM_EUlSL_E_NS1_11comp_targetILNS1_3genE10ELNS1_11target_archE1201ELNS1_3gpuE5ELNS1_3repE0EEENS1_30default_config_static_selectorELNS0_4arch9wavefront6targetE1EEEvT1_,@function
_ZN7rocprim17ROCPRIM_400000_NS6detail17trampoline_kernelINS0_14default_configENS1_20scan_config_selectorIlEEZZNS1_9scan_implILNS1_25lookback_scan_determinismE0ELb0ELb0ES3_PlS8_lN6thrust23THRUST_200600_302600_NS4plusIvEElEEDaPvRmT3_T4_T5_mT6_P12ihipStream_tbENKUlT_T0_E_clISt17integral_constantIbLb1EESP_IbLb0EEEEDaSL_SM_EUlSL_E_NS1_11comp_targetILNS1_3genE10ELNS1_11target_archE1201ELNS1_3gpuE5ELNS1_3repE0EEENS1_30default_config_static_selectorELNS0_4arch9wavefront6targetE1EEEvT1_: ; @_ZN7rocprim17ROCPRIM_400000_NS6detail17trampoline_kernelINS0_14default_configENS1_20scan_config_selectorIlEEZZNS1_9scan_implILNS1_25lookback_scan_determinismE0ELb0ELb0ES3_PlS8_lN6thrust23THRUST_200600_302600_NS4plusIvEElEEDaPvRmT3_T4_T5_mT6_P12ihipStream_tbENKUlT_T0_E_clISt17integral_constantIbLb1EESP_IbLb0EEEEDaSL_SM_EUlSL_E_NS1_11comp_targetILNS1_3genE10ELNS1_11target_archE1201ELNS1_3gpuE5ELNS1_3repE0EEENS1_30default_config_static_selectorELNS0_4arch9wavefront6targetE1EEEvT1_
; %bb.0:
	.section	.rodata,"a",@progbits
	.p2align	6, 0x0
	.amdhsa_kernel _ZN7rocprim17ROCPRIM_400000_NS6detail17trampoline_kernelINS0_14default_configENS1_20scan_config_selectorIlEEZZNS1_9scan_implILNS1_25lookback_scan_determinismE0ELb0ELb0ES3_PlS8_lN6thrust23THRUST_200600_302600_NS4plusIvEElEEDaPvRmT3_T4_T5_mT6_P12ihipStream_tbENKUlT_T0_E_clISt17integral_constantIbLb1EESP_IbLb0EEEEDaSL_SM_EUlSL_E_NS1_11comp_targetILNS1_3genE10ELNS1_11target_archE1201ELNS1_3gpuE5ELNS1_3repE0EEENS1_30default_config_static_selectorELNS0_4arch9wavefront6targetE1EEEvT1_
		.amdhsa_group_segment_fixed_size 0
		.amdhsa_private_segment_fixed_size 0
		.amdhsa_kernarg_size 104
		.amdhsa_user_sgpr_count 2
		.amdhsa_user_sgpr_dispatch_ptr 0
		.amdhsa_user_sgpr_queue_ptr 0
		.amdhsa_user_sgpr_kernarg_segment_ptr 1
		.amdhsa_user_sgpr_dispatch_id 0
		.amdhsa_user_sgpr_kernarg_preload_length 0
		.amdhsa_user_sgpr_kernarg_preload_offset 0
		.amdhsa_user_sgpr_private_segment_size 0
		.amdhsa_uses_dynamic_stack 0
		.amdhsa_enable_private_segment 0
		.amdhsa_system_sgpr_workgroup_id_x 1
		.amdhsa_system_sgpr_workgroup_id_y 0
		.amdhsa_system_sgpr_workgroup_id_z 0
		.amdhsa_system_sgpr_workgroup_info 0
		.amdhsa_system_vgpr_workitem_id 0
		.amdhsa_next_free_vgpr 1
		.amdhsa_next_free_sgpr 0
		.amdhsa_accum_offset 4
		.amdhsa_reserve_vcc 0
		.amdhsa_float_round_mode_32 0
		.amdhsa_float_round_mode_16_64 0
		.amdhsa_float_denorm_mode_32 3
		.amdhsa_float_denorm_mode_16_64 3
		.amdhsa_dx10_clamp 1
		.amdhsa_ieee_mode 1
		.amdhsa_fp16_overflow 0
		.amdhsa_tg_split 0
		.amdhsa_exception_fp_ieee_invalid_op 0
		.amdhsa_exception_fp_denorm_src 0
		.amdhsa_exception_fp_ieee_div_zero 0
		.amdhsa_exception_fp_ieee_overflow 0
		.amdhsa_exception_fp_ieee_underflow 0
		.amdhsa_exception_fp_ieee_inexact 0
		.amdhsa_exception_int_div_zero 0
	.end_amdhsa_kernel
	.section	.text._ZN7rocprim17ROCPRIM_400000_NS6detail17trampoline_kernelINS0_14default_configENS1_20scan_config_selectorIlEEZZNS1_9scan_implILNS1_25lookback_scan_determinismE0ELb0ELb0ES3_PlS8_lN6thrust23THRUST_200600_302600_NS4plusIvEElEEDaPvRmT3_T4_T5_mT6_P12ihipStream_tbENKUlT_T0_E_clISt17integral_constantIbLb1EESP_IbLb0EEEEDaSL_SM_EUlSL_E_NS1_11comp_targetILNS1_3genE10ELNS1_11target_archE1201ELNS1_3gpuE5ELNS1_3repE0EEENS1_30default_config_static_selectorELNS0_4arch9wavefront6targetE1EEEvT1_,"axG",@progbits,_ZN7rocprim17ROCPRIM_400000_NS6detail17trampoline_kernelINS0_14default_configENS1_20scan_config_selectorIlEEZZNS1_9scan_implILNS1_25lookback_scan_determinismE0ELb0ELb0ES3_PlS8_lN6thrust23THRUST_200600_302600_NS4plusIvEElEEDaPvRmT3_T4_T5_mT6_P12ihipStream_tbENKUlT_T0_E_clISt17integral_constantIbLb1EESP_IbLb0EEEEDaSL_SM_EUlSL_E_NS1_11comp_targetILNS1_3genE10ELNS1_11target_archE1201ELNS1_3gpuE5ELNS1_3repE0EEENS1_30default_config_static_selectorELNS0_4arch9wavefront6targetE1EEEvT1_,comdat
.Lfunc_end127:
	.size	_ZN7rocprim17ROCPRIM_400000_NS6detail17trampoline_kernelINS0_14default_configENS1_20scan_config_selectorIlEEZZNS1_9scan_implILNS1_25lookback_scan_determinismE0ELb0ELb0ES3_PlS8_lN6thrust23THRUST_200600_302600_NS4plusIvEElEEDaPvRmT3_T4_T5_mT6_P12ihipStream_tbENKUlT_T0_E_clISt17integral_constantIbLb1EESP_IbLb0EEEEDaSL_SM_EUlSL_E_NS1_11comp_targetILNS1_3genE10ELNS1_11target_archE1201ELNS1_3gpuE5ELNS1_3repE0EEENS1_30default_config_static_selectorELNS0_4arch9wavefront6targetE1EEEvT1_, .Lfunc_end127-_ZN7rocprim17ROCPRIM_400000_NS6detail17trampoline_kernelINS0_14default_configENS1_20scan_config_selectorIlEEZZNS1_9scan_implILNS1_25lookback_scan_determinismE0ELb0ELb0ES3_PlS8_lN6thrust23THRUST_200600_302600_NS4plusIvEElEEDaPvRmT3_T4_T5_mT6_P12ihipStream_tbENKUlT_T0_E_clISt17integral_constantIbLb1EESP_IbLb0EEEEDaSL_SM_EUlSL_E_NS1_11comp_targetILNS1_3genE10ELNS1_11target_archE1201ELNS1_3gpuE5ELNS1_3repE0EEENS1_30default_config_static_selectorELNS0_4arch9wavefront6targetE1EEEvT1_
                                        ; -- End function
	.set _ZN7rocprim17ROCPRIM_400000_NS6detail17trampoline_kernelINS0_14default_configENS1_20scan_config_selectorIlEEZZNS1_9scan_implILNS1_25lookback_scan_determinismE0ELb0ELb0ES3_PlS8_lN6thrust23THRUST_200600_302600_NS4plusIvEElEEDaPvRmT3_T4_T5_mT6_P12ihipStream_tbENKUlT_T0_E_clISt17integral_constantIbLb1EESP_IbLb0EEEEDaSL_SM_EUlSL_E_NS1_11comp_targetILNS1_3genE10ELNS1_11target_archE1201ELNS1_3gpuE5ELNS1_3repE0EEENS1_30default_config_static_selectorELNS0_4arch9wavefront6targetE1EEEvT1_.num_vgpr, 0
	.set _ZN7rocprim17ROCPRIM_400000_NS6detail17trampoline_kernelINS0_14default_configENS1_20scan_config_selectorIlEEZZNS1_9scan_implILNS1_25lookback_scan_determinismE0ELb0ELb0ES3_PlS8_lN6thrust23THRUST_200600_302600_NS4plusIvEElEEDaPvRmT3_T4_T5_mT6_P12ihipStream_tbENKUlT_T0_E_clISt17integral_constantIbLb1EESP_IbLb0EEEEDaSL_SM_EUlSL_E_NS1_11comp_targetILNS1_3genE10ELNS1_11target_archE1201ELNS1_3gpuE5ELNS1_3repE0EEENS1_30default_config_static_selectorELNS0_4arch9wavefront6targetE1EEEvT1_.num_agpr, 0
	.set _ZN7rocprim17ROCPRIM_400000_NS6detail17trampoline_kernelINS0_14default_configENS1_20scan_config_selectorIlEEZZNS1_9scan_implILNS1_25lookback_scan_determinismE0ELb0ELb0ES3_PlS8_lN6thrust23THRUST_200600_302600_NS4plusIvEElEEDaPvRmT3_T4_T5_mT6_P12ihipStream_tbENKUlT_T0_E_clISt17integral_constantIbLb1EESP_IbLb0EEEEDaSL_SM_EUlSL_E_NS1_11comp_targetILNS1_3genE10ELNS1_11target_archE1201ELNS1_3gpuE5ELNS1_3repE0EEENS1_30default_config_static_selectorELNS0_4arch9wavefront6targetE1EEEvT1_.numbered_sgpr, 0
	.set _ZN7rocprim17ROCPRIM_400000_NS6detail17trampoline_kernelINS0_14default_configENS1_20scan_config_selectorIlEEZZNS1_9scan_implILNS1_25lookback_scan_determinismE0ELb0ELb0ES3_PlS8_lN6thrust23THRUST_200600_302600_NS4plusIvEElEEDaPvRmT3_T4_T5_mT6_P12ihipStream_tbENKUlT_T0_E_clISt17integral_constantIbLb1EESP_IbLb0EEEEDaSL_SM_EUlSL_E_NS1_11comp_targetILNS1_3genE10ELNS1_11target_archE1201ELNS1_3gpuE5ELNS1_3repE0EEENS1_30default_config_static_selectorELNS0_4arch9wavefront6targetE1EEEvT1_.num_named_barrier, 0
	.set _ZN7rocprim17ROCPRIM_400000_NS6detail17trampoline_kernelINS0_14default_configENS1_20scan_config_selectorIlEEZZNS1_9scan_implILNS1_25lookback_scan_determinismE0ELb0ELb0ES3_PlS8_lN6thrust23THRUST_200600_302600_NS4plusIvEElEEDaPvRmT3_T4_T5_mT6_P12ihipStream_tbENKUlT_T0_E_clISt17integral_constantIbLb1EESP_IbLb0EEEEDaSL_SM_EUlSL_E_NS1_11comp_targetILNS1_3genE10ELNS1_11target_archE1201ELNS1_3gpuE5ELNS1_3repE0EEENS1_30default_config_static_selectorELNS0_4arch9wavefront6targetE1EEEvT1_.private_seg_size, 0
	.set _ZN7rocprim17ROCPRIM_400000_NS6detail17trampoline_kernelINS0_14default_configENS1_20scan_config_selectorIlEEZZNS1_9scan_implILNS1_25lookback_scan_determinismE0ELb0ELb0ES3_PlS8_lN6thrust23THRUST_200600_302600_NS4plusIvEElEEDaPvRmT3_T4_T5_mT6_P12ihipStream_tbENKUlT_T0_E_clISt17integral_constantIbLb1EESP_IbLb0EEEEDaSL_SM_EUlSL_E_NS1_11comp_targetILNS1_3genE10ELNS1_11target_archE1201ELNS1_3gpuE5ELNS1_3repE0EEENS1_30default_config_static_selectorELNS0_4arch9wavefront6targetE1EEEvT1_.uses_vcc, 0
	.set _ZN7rocprim17ROCPRIM_400000_NS6detail17trampoline_kernelINS0_14default_configENS1_20scan_config_selectorIlEEZZNS1_9scan_implILNS1_25lookback_scan_determinismE0ELb0ELb0ES3_PlS8_lN6thrust23THRUST_200600_302600_NS4plusIvEElEEDaPvRmT3_T4_T5_mT6_P12ihipStream_tbENKUlT_T0_E_clISt17integral_constantIbLb1EESP_IbLb0EEEEDaSL_SM_EUlSL_E_NS1_11comp_targetILNS1_3genE10ELNS1_11target_archE1201ELNS1_3gpuE5ELNS1_3repE0EEENS1_30default_config_static_selectorELNS0_4arch9wavefront6targetE1EEEvT1_.uses_flat_scratch, 0
	.set _ZN7rocprim17ROCPRIM_400000_NS6detail17trampoline_kernelINS0_14default_configENS1_20scan_config_selectorIlEEZZNS1_9scan_implILNS1_25lookback_scan_determinismE0ELb0ELb0ES3_PlS8_lN6thrust23THRUST_200600_302600_NS4plusIvEElEEDaPvRmT3_T4_T5_mT6_P12ihipStream_tbENKUlT_T0_E_clISt17integral_constantIbLb1EESP_IbLb0EEEEDaSL_SM_EUlSL_E_NS1_11comp_targetILNS1_3genE10ELNS1_11target_archE1201ELNS1_3gpuE5ELNS1_3repE0EEENS1_30default_config_static_selectorELNS0_4arch9wavefront6targetE1EEEvT1_.has_dyn_sized_stack, 0
	.set _ZN7rocprim17ROCPRIM_400000_NS6detail17trampoline_kernelINS0_14default_configENS1_20scan_config_selectorIlEEZZNS1_9scan_implILNS1_25lookback_scan_determinismE0ELb0ELb0ES3_PlS8_lN6thrust23THRUST_200600_302600_NS4plusIvEElEEDaPvRmT3_T4_T5_mT6_P12ihipStream_tbENKUlT_T0_E_clISt17integral_constantIbLb1EESP_IbLb0EEEEDaSL_SM_EUlSL_E_NS1_11comp_targetILNS1_3genE10ELNS1_11target_archE1201ELNS1_3gpuE5ELNS1_3repE0EEENS1_30default_config_static_selectorELNS0_4arch9wavefront6targetE1EEEvT1_.has_recursion, 0
	.set _ZN7rocprim17ROCPRIM_400000_NS6detail17trampoline_kernelINS0_14default_configENS1_20scan_config_selectorIlEEZZNS1_9scan_implILNS1_25lookback_scan_determinismE0ELb0ELb0ES3_PlS8_lN6thrust23THRUST_200600_302600_NS4plusIvEElEEDaPvRmT3_T4_T5_mT6_P12ihipStream_tbENKUlT_T0_E_clISt17integral_constantIbLb1EESP_IbLb0EEEEDaSL_SM_EUlSL_E_NS1_11comp_targetILNS1_3genE10ELNS1_11target_archE1201ELNS1_3gpuE5ELNS1_3repE0EEENS1_30default_config_static_selectorELNS0_4arch9wavefront6targetE1EEEvT1_.has_indirect_call, 0
	.section	.AMDGPU.csdata,"",@progbits
; Kernel info:
; codeLenInByte = 0
; TotalNumSgprs: 6
; NumVgprs: 0
; NumAgprs: 0
; TotalNumVgprs: 0
; ScratchSize: 0
; MemoryBound: 0
; FloatMode: 240
; IeeeMode: 1
; LDSByteSize: 0 bytes/workgroup (compile time only)
; SGPRBlocks: 0
; VGPRBlocks: 0
; NumSGPRsForWavesPerEU: 6
; NumVGPRsForWavesPerEU: 1
; AccumOffset: 4
; Occupancy: 8
; WaveLimiterHint : 0
; COMPUTE_PGM_RSRC2:SCRATCH_EN: 0
; COMPUTE_PGM_RSRC2:USER_SGPR: 2
; COMPUTE_PGM_RSRC2:TRAP_HANDLER: 0
; COMPUTE_PGM_RSRC2:TGID_X_EN: 1
; COMPUTE_PGM_RSRC2:TGID_Y_EN: 0
; COMPUTE_PGM_RSRC2:TGID_Z_EN: 0
; COMPUTE_PGM_RSRC2:TIDIG_COMP_CNT: 0
; COMPUTE_PGM_RSRC3_GFX90A:ACCUM_OFFSET: 0
; COMPUTE_PGM_RSRC3_GFX90A:TG_SPLIT: 0
	.section	.text._ZN7rocprim17ROCPRIM_400000_NS6detail17trampoline_kernelINS0_14default_configENS1_20scan_config_selectorIlEEZZNS1_9scan_implILNS1_25lookback_scan_determinismE0ELb0ELb0ES3_PlS8_lN6thrust23THRUST_200600_302600_NS4plusIvEElEEDaPvRmT3_T4_T5_mT6_P12ihipStream_tbENKUlT_T0_E_clISt17integral_constantIbLb1EESP_IbLb0EEEEDaSL_SM_EUlSL_E_NS1_11comp_targetILNS1_3genE10ELNS1_11target_archE1200ELNS1_3gpuE4ELNS1_3repE0EEENS1_30default_config_static_selectorELNS0_4arch9wavefront6targetE1EEEvT1_,"axG",@progbits,_ZN7rocprim17ROCPRIM_400000_NS6detail17trampoline_kernelINS0_14default_configENS1_20scan_config_selectorIlEEZZNS1_9scan_implILNS1_25lookback_scan_determinismE0ELb0ELb0ES3_PlS8_lN6thrust23THRUST_200600_302600_NS4plusIvEElEEDaPvRmT3_T4_T5_mT6_P12ihipStream_tbENKUlT_T0_E_clISt17integral_constantIbLb1EESP_IbLb0EEEEDaSL_SM_EUlSL_E_NS1_11comp_targetILNS1_3genE10ELNS1_11target_archE1200ELNS1_3gpuE4ELNS1_3repE0EEENS1_30default_config_static_selectorELNS0_4arch9wavefront6targetE1EEEvT1_,comdat
	.protected	_ZN7rocprim17ROCPRIM_400000_NS6detail17trampoline_kernelINS0_14default_configENS1_20scan_config_selectorIlEEZZNS1_9scan_implILNS1_25lookback_scan_determinismE0ELb0ELb0ES3_PlS8_lN6thrust23THRUST_200600_302600_NS4plusIvEElEEDaPvRmT3_T4_T5_mT6_P12ihipStream_tbENKUlT_T0_E_clISt17integral_constantIbLb1EESP_IbLb0EEEEDaSL_SM_EUlSL_E_NS1_11comp_targetILNS1_3genE10ELNS1_11target_archE1200ELNS1_3gpuE4ELNS1_3repE0EEENS1_30default_config_static_selectorELNS0_4arch9wavefront6targetE1EEEvT1_ ; -- Begin function _ZN7rocprim17ROCPRIM_400000_NS6detail17trampoline_kernelINS0_14default_configENS1_20scan_config_selectorIlEEZZNS1_9scan_implILNS1_25lookback_scan_determinismE0ELb0ELb0ES3_PlS8_lN6thrust23THRUST_200600_302600_NS4plusIvEElEEDaPvRmT3_T4_T5_mT6_P12ihipStream_tbENKUlT_T0_E_clISt17integral_constantIbLb1EESP_IbLb0EEEEDaSL_SM_EUlSL_E_NS1_11comp_targetILNS1_3genE10ELNS1_11target_archE1200ELNS1_3gpuE4ELNS1_3repE0EEENS1_30default_config_static_selectorELNS0_4arch9wavefront6targetE1EEEvT1_
	.globl	_ZN7rocprim17ROCPRIM_400000_NS6detail17trampoline_kernelINS0_14default_configENS1_20scan_config_selectorIlEEZZNS1_9scan_implILNS1_25lookback_scan_determinismE0ELb0ELb0ES3_PlS8_lN6thrust23THRUST_200600_302600_NS4plusIvEElEEDaPvRmT3_T4_T5_mT6_P12ihipStream_tbENKUlT_T0_E_clISt17integral_constantIbLb1EESP_IbLb0EEEEDaSL_SM_EUlSL_E_NS1_11comp_targetILNS1_3genE10ELNS1_11target_archE1200ELNS1_3gpuE4ELNS1_3repE0EEENS1_30default_config_static_selectorELNS0_4arch9wavefront6targetE1EEEvT1_
	.p2align	8
	.type	_ZN7rocprim17ROCPRIM_400000_NS6detail17trampoline_kernelINS0_14default_configENS1_20scan_config_selectorIlEEZZNS1_9scan_implILNS1_25lookback_scan_determinismE0ELb0ELb0ES3_PlS8_lN6thrust23THRUST_200600_302600_NS4plusIvEElEEDaPvRmT3_T4_T5_mT6_P12ihipStream_tbENKUlT_T0_E_clISt17integral_constantIbLb1EESP_IbLb0EEEEDaSL_SM_EUlSL_E_NS1_11comp_targetILNS1_3genE10ELNS1_11target_archE1200ELNS1_3gpuE4ELNS1_3repE0EEENS1_30default_config_static_selectorELNS0_4arch9wavefront6targetE1EEEvT1_,@function
_ZN7rocprim17ROCPRIM_400000_NS6detail17trampoline_kernelINS0_14default_configENS1_20scan_config_selectorIlEEZZNS1_9scan_implILNS1_25lookback_scan_determinismE0ELb0ELb0ES3_PlS8_lN6thrust23THRUST_200600_302600_NS4plusIvEElEEDaPvRmT3_T4_T5_mT6_P12ihipStream_tbENKUlT_T0_E_clISt17integral_constantIbLb1EESP_IbLb0EEEEDaSL_SM_EUlSL_E_NS1_11comp_targetILNS1_3genE10ELNS1_11target_archE1200ELNS1_3gpuE4ELNS1_3repE0EEENS1_30default_config_static_selectorELNS0_4arch9wavefront6targetE1EEEvT1_: ; @_ZN7rocprim17ROCPRIM_400000_NS6detail17trampoline_kernelINS0_14default_configENS1_20scan_config_selectorIlEEZZNS1_9scan_implILNS1_25lookback_scan_determinismE0ELb0ELb0ES3_PlS8_lN6thrust23THRUST_200600_302600_NS4plusIvEElEEDaPvRmT3_T4_T5_mT6_P12ihipStream_tbENKUlT_T0_E_clISt17integral_constantIbLb1EESP_IbLb0EEEEDaSL_SM_EUlSL_E_NS1_11comp_targetILNS1_3genE10ELNS1_11target_archE1200ELNS1_3gpuE4ELNS1_3repE0EEENS1_30default_config_static_selectorELNS0_4arch9wavefront6targetE1EEEvT1_
; %bb.0:
	.section	.rodata,"a",@progbits
	.p2align	6, 0x0
	.amdhsa_kernel _ZN7rocprim17ROCPRIM_400000_NS6detail17trampoline_kernelINS0_14default_configENS1_20scan_config_selectorIlEEZZNS1_9scan_implILNS1_25lookback_scan_determinismE0ELb0ELb0ES3_PlS8_lN6thrust23THRUST_200600_302600_NS4plusIvEElEEDaPvRmT3_T4_T5_mT6_P12ihipStream_tbENKUlT_T0_E_clISt17integral_constantIbLb1EESP_IbLb0EEEEDaSL_SM_EUlSL_E_NS1_11comp_targetILNS1_3genE10ELNS1_11target_archE1200ELNS1_3gpuE4ELNS1_3repE0EEENS1_30default_config_static_selectorELNS0_4arch9wavefront6targetE1EEEvT1_
		.amdhsa_group_segment_fixed_size 0
		.amdhsa_private_segment_fixed_size 0
		.amdhsa_kernarg_size 104
		.amdhsa_user_sgpr_count 2
		.amdhsa_user_sgpr_dispatch_ptr 0
		.amdhsa_user_sgpr_queue_ptr 0
		.amdhsa_user_sgpr_kernarg_segment_ptr 1
		.amdhsa_user_sgpr_dispatch_id 0
		.amdhsa_user_sgpr_kernarg_preload_length 0
		.amdhsa_user_sgpr_kernarg_preload_offset 0
		.amdhsa_user_sgpr_private_segment_size 0
		.amdhsa_uses_dynamic_stack 0
		.amdhsa_enable_private_segment 0
		.amdhsa_system_sgpr_workgroup_id_x 1
		.amdhsa_system_sgpr_workgroup_id_y 0
		.amdhsa_system_sgpr_workgroup_id_z 0
		.amdhsa_system_sgpr_workgroup_info 0
		.amdhsa_system_vgpr_workitem_id 0
		.amdhsa_next_free_vgpr 1
		.amdhsa_next_free_sgpr 0
		.amdhsa_accum_offset 4
		.amdhsa_reserve_vcc 0
		.amdhsa_float_round_mode_32 0
		.amdhsa_float_round_mode_16_64 0
		.amdhsa_float_denorm_mode_32 3
		.amdhsa_float_denorm_mode_16_64 3
		.amdhsa_dx10_clamp 1
		.amdhsa_ieee_mode 1
		.amdhsa_fp16_overflow 0
		.amdhsa_tg_split 0
		.amdhsa_exception_fp_ieee_invalid_op 0
		.amdhsa_exception_fp_denorm_src 0
		.amdhsa_exception_fp_ieee_div_zero 0
		.amdhsa_exception_fp_ieee_overflow 0
		.amdhsa_exception_fp_ieee_underflow 0
		.amdhsa_exception_fp_ieee_inexact 0
		.amdhsa_exception_int_div_zero 0
	.end_amdhsa_kernel
	.section	.text._ZN7rocprim17ROCPRIM_400000_NS6detail17trampoline_kernelINS0_14default_configENS1_20scan_config_selectorIlEEZZNS1_9scan_implILNS1_25lookback_scan_determinismE0ELb0ELb0ES3_PlS8_lN6thrust23THRUST_200600_302600_NS4plusIvEElEEDaPvRmT3_T4_T5_mT6_P12ihipStream_tbENKUlT_T0_E_clISt17integral_constantIbLb1EESP_IbLb0EEEEDaSL_SM_EUlSL_E_NS1_11comp_targetILNS1_3genE10ELNS1_11target_archE1200ELNS1_3gpuE4ELNS1_3repE0EEENS1_30default_config_static_selectorELNS0_4arch9wavefront6targetE1EEEvT1_,"axG",@progbits,_ZN7rocprim17ROCPRIM_400000_NS6detail17trampoline_kernelINS0_14default_configENS1_20scan_config_selectorIlEEZZNS1_9scan_implILNS1_25lookback_scan_determinismE0ELb0ELb0ES3_PlS8_lN6thrust23THRUST_200600_302600_NS4plusIvEElEEDaPvRmT3_T4_T5_mT6_P12ihipStream_tbENKUlT_T0_E_clISt17integral_constantIbLb1EESP_IbLb0EEEEDaSL_SM_EUlSL_E_NS1_11comp_targetILNS1_3genE10ELNS1_11target_archE1200ELNS1_3gpuE4ELNS1_3repE0EEENS1_30default_config_static_selectorELNS0_4arch9wavefront6targetE1EEEvT1_,comdat
.Lfunc_end128:
	.size	_ZN7rocprim17ROCPRIM_400000_NS6detail17trampoline_kernelINS0_14default_configENS1_20scan_config_selectorIlEEZZNS1_9scan_implILNS1_25lookback_scan_determinismE0ELb0ELb0ES3_PlS8_lN6thrust23THRUST_200600_302600_NS4plusIvEElEEDaPvRmT3_T4_T5_mT6_P12ihipStream_tbENKUlT_T0_E_clISt17integral_constantIbLb1EESP_IbLb0EEEEDaSL_SM_EUlSL_E_NS1_11comp_targetILNS1_3genE10ELNS1_11target_archE1200ELNS1_3gpuE4ELNS1_3repE0EEENS1_30default_config_static_selectorELNS0_4arch9wavefront6targetE1EEEvT1_, .Lfunc_end128-_ZN7rocprim17ROCPRIM_400000_NS6detail17trampoline_kernelINS0_14default_configENS1_20scan_config_selectorIlEEZZNS1_9scan_implILNS1_25lookback_scan_determinismE0ELb0ELb0ES3_PlS8_lN6thrust23THRUST_200600_302600_NS4plusIvEElEEDaPvRmT3_T4_T5_mT6_P12ihipStream_tbENKUlT_T0_E_clISt17integral_constantIbLb1EESP_IbLb0EEEEDaSL_SM_EUlSL_E_NS1_11comp_targetILNS1_3genE10ELNS1_11target_archE1200ELNS1_3gpuE4ELNS1_3repE0EEENS1_30default_config_static_selectorELNS0_4arch9wavefront6targetE1EEEvT1_
                                        ; -- End function
	.set _ZN7rocprim17ROCPRIM_400000_NS6detail17trampoline_kernelINS0_14default_configENS1_20scan_config_selectorIlEEZZNS1_9scan_implILNS1_25lookback_scan_determinismE0ELb0ELb0ES3_PlS8_lN6thrust23THRUST_200600_302600_NS4plusIvEElEEDaPvRmT3_T4_T5_mT6_P12ihipStream_tbENKUlT_T0_E_clISt17integral_constantIbLb1EESP_IbLb0EEEEDaSL_SM_EUlSL_E_NS1_11comp_targetILNS1_3genE10ELNS1_11target_archE1200ELNS1_3gpuE4ELNS1_3repE0EEENS1_30default_config_static_selectorELNS0_4arch9wavefront6targetE1EEEvT1_.num_vgpr, 0
	.set _ZN7rocprim17ROCPRIM_400000_NS6detail17trampoline_kernelINS0_14default_configENS1_20scan_config_selectorIlEEZZNS1_9scan_implILNS1_25lookback_scan_determinismE0ELb0ELb0ES3_PlS8_lN6thrust23THRUST_200600_302600_NS4plusIvEElEEDaPvRmT3_T4_T5_mT6_P12ihipStream_tbENKUlT_T0_E_clISt17integral_constantIbLb1EESP_IbLb0EEEEDaSL_SM_EUlSL_E_NS1_11comp_targetILNS1_3genE10ELNS1_11target_archE1200ELNS1_3gpuE4ELNS1_3repE0EEENS1_30default_config_static_selectorELNS0_4arch9wavefront6targetE1EEEvT1_.num_agpr, 0
	.set _ZN7rocprim17ROCPRIM_400000_NS6detail17trampoline_kernelINS0_14default_configENS1_20scan_config_selectorIlEEZZNS1_9scan_implILNS1_25lookback_scan_determinismE0ELb0ELb0ES3_PlS8_lN6thrust23THRUST_200600_302600_NS4plusIvEElEEDaPvRmT3_T4_T5_mT6_P12ihipStream_tbENKUlT_T0_E_clISt17integral_constantIbLb1EESP_IbLb0EEEEDaSL_SM_EUlSL_E_NS1_11comp_targetILNS1_3genE10ELNS1_11target_archE1200ELNS1_3gpuE4ELNS1_3repE0EEENS1_30default_config_static_selectorELNS0_4arch9wavefront6targetE1EEEvT1_.numbered_sgpr, 0
	.set _ZN7rocprim17ROCPRIM_400000_NS6detail17trampoline_kernelINS0_14default_configENS1_20scan_config_selectorIlEEZZNS1_9scan_implILNS1_25lookback_scan_determinismE0ELb0ELb0ES3_PlS8_lN6thrust23THRUST_200600_302600_NS4plusIvEElEEDaPvRmT3_T4_T5_mT6_P12ihipStream_tbENKUlT_T0_E_clISt17integral_constantIbLb1EESP_IbLb0EEEEDaSL_SM_EUlSL_E_NS1_11comp_targetILNS1_3genE10ELNS1_11target_archE1200ELNS1_3gpuE4ELNS1_3repE0EEENS1_30default_config_static_selectorELNS0_4arch9wavefront6targetE1EEEvT1_.num_named_barrier, 0
	.set _ZN7rocprim17ROCPRIM_400000_NS6detail17trampoline_kernelINS0_14default_configENS1_20scan_config_selectorIlEEZZNS1_9scan_implILNS1_25lookback_scan_determinismE0ELb0ELb0ES3_PlS8_lN6thrust23THRUST_200600_302600_NS4plusIvEElEEDaPvRmT3_T4_T5_mT6_P12ihipStream_tbENKUlT_T0_E_clISt17integral_constantIbLb1EESP_IbLb0EEEEDaSL_SM_EUlSL_E_NS1_11comp_targetILNS1_3genE10ELNS1_11target_archE1200ELNS1_3gpuE4ELNS1_3repE0EEENS1_30default_config_static_selectorELNS0_4arch9wavefront6targetE1EEEvT1_.private_seg_size, 0
	.set _ZN7rocprim17ROCPRIM_400000_NS6detail17trampoline_kernelINS0_14default_configENS1_20scan_config_selectorIlEEZZNS1_9scan_implILNS1_25lookback_scan_determinismE0ELb0ELb0ES3_PlS8_lN6thrust23THRUST_200600_302600_NS4plusIvEElEEDaPvRmT3_T4_T5_mT6_P12ihipStream_tbENKUlT_T0_E_clISt17integral_constantIbLb1EESP_IbLb0EEEEDaSL_SM_EUlSL_E_NS1_11comp_targetILNS1_3genE10ELNS1_11target_archE1200ELNS1_3gpuE4ELNS1_3repE0EEENS1_30default_config_static_selectorELNS0_4arch9wavefront6targetE1EEEvT1_.uses_vcc, 0
	.set _ZN7rocprim17ROCPRIM_400000_NS6detail17trampoline_kernelINS0_14default_configENS1_20scan_config_selectorIlEEZZNS1_9scan_implILNS1_25lookback_scan_determinismE0ELb0ELb0ES3_PlS8_lN6thrust23THRUST_200600_302600_NS4plusIvEElEEDaPvRmT3_T4_T5_mT6_P12ihipStream_tbENKUlT_T0_E_clISt17integral_constantIbLb1EESP_IbLb0EEEEDaSL_SM_EUlSL_E_NS1_11comp_targetILNS1_3genE10ELNS1_11target_archE1200ELNS1_3gpuE4ELNS1_3repE0EEENS1_30default_config_static_selectorELNS0_4arch9wavefront6targetE1EEEvT1_.uses_flat_scratch, 0
	.set _ZN7rocprim17ROCPRIM_400000_NS6detail17trampoline_kernelINS0_14default_configENS1_20scan_config_selectorIlEEZZNS1_9scan_implILNS1_25lookback_scan_determinismE0ELb0ELb0ES3_PlS8_lN6thrust23THRUST_200600_302600_NS4plusIvEElEEDaPvRmT3_T4_T5_mT6_P12ihipStream_tbENKUlT_T0_E_clISt17integral_constantIbLb1EESP_IbLb0EEEEDaSL_SM_EUlSL_E_NS1_11comp_targetILNS1_3genE10ELNS1_11target_archE1200ELNS1_3gpuE4ELNS1_3repE0EEENS1_30default_config_static_selectorELNS0_4arch9wavefront6targetE1EEEvT1_.has_dyn_sized_stack, 0
	.set _ZN7rocprim17ROCPRIM_400000_NS6detail17trampoline_kernelINS0_14default_configENS1_20scan_config_selectorIlEEZZNS1_9scan_implILNS1_25lookback_scan_determinismE0ELb0ELb0ES3_PlS8_lN6thrust23THRUST_200600_302600_NS4plusIvEElEEDaPvRmT3_T4_T5_mT6_P12ihipStream_tbENKUlT_T0_E_clISt17integral_constantIbLb1EESP_IbLb0EEEEDaSL_SM_EUlSL_E_NS1_11comp_targetILNS1_3genE10ELNS1_11target_archE1200ELNS1_3gpuE4ELNS1_3repE0EEENS1_30default_config_static_selectorELNS0_4arch9wavefront6targetE1EEEvT1_.has_recursion, 0
	.set _ZN7rocprim17ROCPRIM_400000_NS6detail17trampoline_kernelINS0_14default_configENS1_20scan_config_selectorIlEEZZNS1_9scan_implILNS1_25lookback_scan_determinismE0ELb0ELb0ES3_PlS8_lN6thrust23THRUST_200600_302600_NS4plusIvEElEEDaPvRmT3_T4_T5_mT6_P12ihipStream_tbENKUlT_T0_E_clISt17integral_constantIbLb1EESP_IbLb0EEEEDaSL_SM_EUlSL_E_NS1_11comp_targetILNS1_3genE10ELNS1_11target_archE1200ELNS1_3gpuE4ELNS1_3repE0EEENS1_30default_config_static_selectorELNS0_4arch9wavefront6targetE1EEEvT1_.has_indirect_call, 0
	.section	.AMDGPU.csdata,"",@progbits
; Kernel info:
; codeLenInByte = 0
; TotalNumSgprs: 6
; NumVgprs: 0
; NumAgprs: 0
; TotalNumVgprs: 0
; ScratchSize: 0
; MemoryBound: 0
; FloatMode: 240
; IeeeMode: 1
; LDSByteSize: 0 bytes/workgroup (compile time only)
; SGPRBlocks: 0
; VGPRBlocks: 0
; NumSGPRsForWavesPerEU: 6
; NumVGPRsForWavesPerEU: 1
; AccumOffset: 4
; Occupancy: 8
; WaveLimiterHint : 0
; COMPUTE_PGM_RSRC2:SCRATCH_EN: 0
; COMPUTE_PGM_RSRC2:USER_SGPR: 2
; COMPUTE_PGM_RSRC2:TRAP_HANDLER: 0
; COMPUTE_PGM_RSRC2:TGID_X_EN: 1
; COMPUTE_PGM_RSRC2:TGID_Y_EN: 0
; COMPUTE_PGM_RSRC2:TGID_Z_EN: 0
; COMPUTE_PGM_RSRC2:TIDIG_COMP_CNT: 0
; COMPUTE_PGM_RSRC3_GFX90A:ACCUM_OFFSET: 0
; COMPUTE_PGM_RSRC3_GFX90A:TG_SPLIT: 0
	.section	.text._ZN7rocprim17ROCPRIM_400000_NS6detail17trampoline_kernelINS0_14default_configENS1_20scan_config_selectorIlEEZZNS1_9scan_implILNS1_25lookback_scan_determinismE0ELb0ELb0ES3_PlS8_lN6thrust23THRUST_200600_302600_NS4plusIvEElEEDaPvRmT3_T4_T5_mT6_P12ihipStream_tbENKUlT_T0_E_clISt17integral_constantIbLb1EESP_IbLb0EEEEDaSL_SM_EUlSL_E_NS1_11comp_targetILNS1_3genE9ELNS1_11target_archE1100ELNS1_3gpuE3ELNS1_3repE0EEENS1_30default_config_static_selectorELNS0_4arch9wavefront6targetE1EEEvT1_,"axG",@progbits,_ZN7rocprim17ROCPRIM_400000_NS6detail17trampoline_kernelINS0_14default_configENS1_20scan_config_selectorIlEEZZNS1_9scan_implILNS1_25lookback_scan_determinismE0ELb0ELb0ES3_PlS8_lN6thrust23THRUST_200600_302600_NS4plusIvEElEEDaPvRmT3_T4_T5_mT6_P12ihipStream_tbENKUlT_T0_E_clISt17integral_constantIbLb1EESP_IbLb0EEEEDaSL_SM_EUlSL_E_NS1_11comp_targetILNS1_3genE9ELNS1_11target_archE1100ELNS1_3gpuE3ELNS1_3repE0EEENS1_30default_config_static_selectorELNS0_4arch9wavefront6targetE1EEEvT1_,comdat
	.protected	_ZN7rocprim17ROCPRIM_400000_NS6detail17trampoline_kernelINS0_14default_configENS1_20scan_config_selectorIlEEZZNS1_9scan_implILNS1_25lookback_scan_determinismE0ELb0ELb0ES3_PlS8_lN6thrust23THRUST_200600_302600_NS4plusIvEElEEDaPvRmT3_T4_T5_mT6_P12ihipStream_tbENKUlT_T0_E_clISt17integral_constantIbLb1EESP_IbLb0EEEEDaSL_SM_EUlSL_E_NS1_11comp_targetILNS1_3genE9ELNS1_11target_archE1100ELNS1_3gpuE3ELNS1_3repE0EEENS1_30default_config_static_selectorELNS0_4arch9wavefront6targetE1EEEvT1_ ; -- Begin function _ZN7rocprim17ROCPRIM_400000_NS6detail17trampoline_kernelINS0_14default_configENS1_20scan_config_selectorIlEEZZNS1_9scan_implILNS1_25lookback_scan_determinismE0ELb0ELb0ES3_PlS8_lN6thrust23THRUST_200600_302600_NS4plusIvEElEEDaPvRmT3_T4_T5_mT6_P12ihipStream_tbENKUlT_T0_E_clISt17integral_constantIbLb1EESP_IbLb0EEEEDaSL_SM_EUlSL_E_NS1_11comp_targetILNS1_3genE9ELNS1_11target_archE1100ELNS1_3gpuE3ELNS1_3repE0EEENS1_30default_config_static_selectorELNS0_4arch9wavefront6targetE1EEEvT1_
	.globl	_ZN7rocprim17ROCPRIM_400000_NS6detail17trampoline_kernelINS0_14default_configENS1_20scan_config_selectorIlEEZZNS1_9scan_implILNS1_25lookback_scan_determinismE0ELb0ELb0ES3_PlS8_lN6thrust23THRUST_200600_302600_NS4plusIvEElEEDaPvRmT3_T4_T5_mT6_P12ihipStream_tbENKUlT_T0_E_clISt17integral_constantIbLb1EESP_IbLb0EEEEDaSL_SM_EUlSL_E_NS1_11comp_targetILNS1_3genE9ELNS1_11target_archE1100ELNS1_3gpuE3ELNS1_3repE0EEENS1_30default_config_static_selectorELNS0_4arch9wavefront6targetE1EEEvT1_
	.p2align	8
	.type	_ZN7rocprim17ROCPRIM_400000_NS6detail17trampoline_kernelINS0_14default_configENS1_20scan_config_selectorIlEEZZNS1_9scan_implILNS1_25lookback_scan_determinismE0ELb0ELb0ES3_PlS8_lN6thrust23THRUST_200600_302600_NS4plusIvEElEEDaPvRmT3_T4_T5_mT6_P12ihipStream_tbENKUlT_T0_E_clISt17integral_constantIbLb1EESP_IbLb0EEEEDaSL_SM_EUlSL_E_NS1_11comp_targetILNS1_3genE9ELNS1_11target_archE1100ELNS1_3gpuE3ELNS1_3repE0EEENS1_30default_config_static_selectorELNS0_4arch9wavefront6targetE1EEEvT1_,@function
_ZN7rocprim17ROCPRIM_400000_NS6detail17trampoline_kernelINS0_14default_configENS1_20scan_config_selectorIlEEZZNS1_9scan_implILNS1_25lookback_scan_determinismE0ELb0ELb0ES3_PlS8_lN6thrust23THRUST_200600_302600_NS4plusIvEElEEDaPvRmT3_T4_T5_mT6_P12ihipStream_tbENKUlT_T0_E_clISt17integral_constantIbLb1EESP_IbLb0EEEEDaSL_SM_EUlSL_E_NS1_11comp_targetILNS1_3genE9ELNS1_11target_archE1100ELNS1_3gpuE3ELNS1_3repE0EEENS1_30default_config_static_selectorELNS0_4arch9wavefront6targetE1EEEvT1_: ; @_ZN7rocprim17ROCPRIM_400000_NS6detail17trampoline_kernelINS0_14default_configENS1_20scan_config_selectorIlEEZZNS1_9scan_implILNS1_25lookback_scan_determinismE0ELb0ELb0ES3_PlS8_lN6thrust23THRUST_200600_302600_NS4plusIvEElEEDaPvRmT3_T4_T5_mT6_P12ihipStream_tbENKUlT_T0_E_clISt17integral_constantIbLb1EESP_IbLb0EEEEDaSL_SM_EUlSL_E_NS1_11comp_targetILNS1_3genE9ELNS1_11target_archE1100ELNS1_3gpuE3ELNS1_3repE0EEENS1_30default_config_static_selectorELNS0_4arch9wavefront6targetE1EEEvT1_
; %bb.0:
	.section	.rodata,"a",@progbits
	.p2align	6, 0x0
	.amdhsa_kernel _ZN7rocprim17ROCPRIM_400000_NS6detail17trampoline_kernelINS0_14default_configENS1_20scan_config_selectorIlEEZZNS1_9scan_implILNS1_25lookback_scan_determinismE0ELb0ELb0ES3_PlS8_lN6thrust23THRUST_200600_302600_NS4plusIvEElEEDaPvRmT3_T4_T5_mT6_P12ihipStream_tbENKUlT_T0_E_clISt17integral_constantIbLb1EESP_IbLb0EEEEDaSL_SM_EUlSL_E_NS1_11comp_targetILNS1_3genE9ELNS1_11target_archE1100ELNS1_3gpuE3ELNS1_3repE0EEENS1_30default_config_static_selectorELNS0_4arch9wavefront6targetE1EEEvT1_
		.amdhsa_group_segment_fixed_size 0
		.amdhsa_private_segment_fixed_size 0
		.amdhsa_kernarg_size 104
		.amdhsa_user_sgpr_count 2
		.amdhsa_user_sgpr_dispatch_ptr 0
		.amdhsa_user_sgpr_queue_ptr 0
		.amdhsa_user_sgpr_kernarg_segment_ptr 1
		.amdhsa_user_sgpr_dispatch_id 0
		.amdhsa_user_sgpr_kernarg_preload_length 0
		.amdhsa_user_sgpr_kernarg_preload_offset 0
		.amdhsa_user_sgpr_private_segment_size 0
		.amdhsa_uses_dynamic_stack 0
		.amdhsa_enable_private_segment 0
		.amdhsa_system_sgpr_workgroup_id_x 1
		.amdhsa_system_sgpr_workgroup_id_y 0
		.amdhsa_system_sgpr_workgroup_id_z 0
		.amdhsa_system_sgpr_workgroup_info 0
		.amdhsa_system_vgpr_workitem_id 0
		.amdhsa_next_free_vgpr 1
		.amdhsa_next_free_sgpr 0
		.amdhsa_accum_offset 4
		.amdhsa_reserve_vcc 0
		.amdhsa_float_round_mode_32 0
		.amdhsa_float_round_mode_16_64 0
		.amdhsa_float_denorm_mode_32 3
		.amdhsa_float_denorm_mode_16_64 3
		.amdhsa_dx10_clamp 1
		.amdhsa_ieee_mode 1
		.amdhsa_fp16_overflow 0
		.amdhsa_tg_split 0
		.amdhsa_exception_fp_ieee_invalid_op 0
		.amdhsa_exception_fp_denorm_src 0
		.amdhsa_exception_fp_ieee_div_zero 0
		.amdhsa_exception_fp_ieee_overflow 0
		.amdhsa_exception_fp_ieee_underflow 0
		.amdhsa_exception_fp_ieee_inexact 0
		.amdhsa_exception_int_div_zero 0
	.end_amdhsa_kernel
	.section	.text._ZN7rocprim17ROCPRIM_400000_NS6detail17trampoline_kernelINS0_14default_configENS1_20scan_config_selectorIlEEZZNS1_9scan_implILNS1_25lookback_scan_determinismE0ELb0ELb0ES3_PlS8_lN6thrust23THRUST_200600_302600_NS4plusIvEElEEDaPvRmT3_T4_T5_mT6_P12ihipStream_tbENKUlT_T0_E_clISt17integral_constantIbLb1EESP_IbLb0EEEEDaSL_SM_EUlSL_E_NS1_11comp_targetILNS1_3genE9ELNS1_11target_archE1100ELNS1_3gpuE3ELNS1_3repE0EEENS1_30default_config_static_selectorELNS0_4arch9wavefront6targetE1EEEvT1_,"axG",@progbits,_ZN7rocprim17ROCPRIM_400000_NS6detail17trampoline_kernelINS0_14default_configENS1_20scan_config_selectorIlEEZZNS1_9scan_implILNS1_25lookback_scan_determinismE0ELb0ELb0ES3_PlS8_lN6thrust23THRUST_200600_302600_NS4plusIvEElEEDaPvRmT3_T4_T5_mT6_P12ihipStream_tbENKUlT_T0_E_clISt17integral_constantIbLb1EESP_IbLb0EEEEDaSL_SM_EUlSL_E_NS1_11comp_targetILNS1_3genE9ELNS1_11target_archE1100ELNS1_3gpuE3ELNS1_3repE0EEENS1_30default_config_static_selectorELNS0_4arch9wavefront6targetE1EEEvT1_,comdat
.Lfunc_end129:
	.size	_ZN7rocprim17ROCPRIM_400000_NS6detail17trampoline_kernelINS0_14default_configENS1_20scan_config_selectorIlEEZZNS1_9scan_implILNS1_25lookback_scan_determinismE0ELb0ELb0ES3_PlS8_lN6thrust23THRUST_200600_302600_NS4plusIvEElEEDaPvRmT3_T4_T5_mT6_P12ihipStream_tbENKUlT_T0_E_clISt17integral_constantIbLb1EESP_IbLb0EEEEDaSL_SM_EUlSL_E_NS1_11comp_targetILNS1_3genE9ELNS1_11target_archE1100ELNS1_3gpuE3ELNS1_3repE0EEENS1_30default_config_static_selectorELNS0_4arch9wavefront6targetE1EEEvT1_, .Lfunc_end129-_ZN7rocprim17ROCPRIM_400000_NS6detail17trampoline_kernelINS0_14default_configENS1_20scan_config_selectorIlEEZZNS1_9scan_implILNS1_25lookback_scan_determinismE0ELb0ELb0ES3_PlS8_lN6thrust23THRUST_200600_302600_NS4plusIvEElEEDaPvRmT3_T4_T5_mT6_P12ihipStream_tbENKUlT_T0_E_clISt17integral_constantIbLb1EESP_IbLb0EEEEDaSL_SM_EUlSL_E_NS1_11comp_targetILNS1_3genE9ELNS1_11target_archE1100ELNS1_3gpuE3ELNS1_3repE0EEENS1_30default_config_static_selectorELNS0_4arch9wavefront6targetE1EEEvT1_
                                        ; -- End function
	.set _ZN7rocprim17ROCPRIM_400000_NS6detail17trampoline_kernelINS0_14default_configENS1_20scan_config_selectorIlEEZZNS1_9scan_implILNS1_25lookback_scan_determinismE0ELb0ELb0ES3_PlS8_lN6thrust23THRUST_200600_302600_NS4plusIvEElEEDaPvRmT3_T4_T5_mT6_P12ihipStream_tbENKUlT_T0_E_clISt17integral_constantIbLb1EESP_IbLb0EEEEDaSL_SM_EUlSL_E_NS1_11comp_targetILNS1_3genE9ELNS1_11target_archE1100ELNS1_3gpuE3ELNS1_3repE0EEENS1_30default_config_static_selectorELNS0_4arch9wavefront6targetE1EEEvT1_.num_vgpr, 0
	.set _ZN7rocprim17ROCPRIM_400000_NS6detail17trampoline_kernelINS0_14default_configENS1_20scan_config_selectorIlEEZZNS1_9scan_implILNS1_25lookback_scan_determinismE0ELb0ELb0ES3_PlS8_lN6thrust23THRUST_200600_302600_NS4plusIvEElEEDaPvRmT3_T4_T5_mT6_P12ihipStream_tbENKUlT_T0_E_clISt17integral_constantIbLb1EESP_IbLb0EEEEDaSL_SM_EUlSL_E_NS1_11comp_targetILNS1_3genE9ELNS1_11target_archE1100ELNS1_3gpuE3ELNS1_3repE0EEENS1_30default_config_static_selectorELNS0_4arch9wavefront6targetE1EEEvT1_.num_agpr, 0
	.set _ZN7rocprim17ROCPRIM_400000_NS6detail17trampoline_kernelINS0_14default_configENS1_20scan_config_selectorIlEEZZNS1_9scan_implILNS1_25lookback_scan_determinismE0ELb0ELb0ES3_PlS8_lN6thrust23THRUST_200600_302600_NS4plusIvEElEEDaPvRmT3_T4_T5_mT6_P12ihipStream_tbENKUlT_T0_E_clISt17integral_constantIbLb1EESP_IbLb0EEEEDaSL_SM_EUlSL_E_NS1_11comp_targetILNS1_3genE9ELNS1_11target_archE1100ELNS1_3gpuE3ELNS1_3repE0EEENS1_30default_config_static_selectorELNS0_4arch9wavefront6targetE1EEEvT1_.numbered_sgpr, 0
	.set _ZN7rocprim17ROCPRIM_400000_NS6detail17trampoline_kernelINS0_14default_configENS1_20scan_config_selectorIlEEZZNS1_9scan_implILNS1_25lookback_scan_determinismE0ELb0ELb0ES3_PlS8_lN6thrust23THRUST_200600_302600_NS4plusIvEElEEDaPvRmT3_T4_T5_mT6_P12ihipStream_tbENKUlT_T0_E_clISt17integral_constantIbLb1EESP_IbLb0EEEEDaSL_SM_EUlSL_E_NS1_11comp_targetILNS1_3genE9ELNS1_11target_archE1100ELNS1_3gpuE3ELNS1_3repE0EEENS1_30default_config_static_selectorELNS0_4arch9wavefront6targetE1EEEvT1_.num_named_barrier, 0
	.set _ZN7rocprim17ROCPRIM_400000_NS6detail17trampoline_kernelINS0_14default_configENS1_20scan_config_selectorIlEEZZNS1_9scan_implILNS1_25lookback_scan_determinismE0ELb0ELb0ES3_PlS8_lN6thrust23THRUST_200600_302600_NS4plusIvEElEEDaPvRmT3_T4_T5_mT6_P12ihipStream_tbENKUlT_T0_E_clISt17integral_constantIbLb1EESP_IbLb0EEEEDaSL_SM_EUlSL_E_NS1_11comp_targetILNS1_3genE9ELNS1_11target_archE1100ELNS1_3gpuE3ELNS1_3repE0EEENS1_30default_config_static_selectorELNS0_4arch9wavefront6targetE1EEEvT1_.private_seg_size, 0
	.set _ZN7rocprim17ROCPRIM_400000_NS6detail17trampoline_kernelINS0_14default_configENS1_20scan_config_selectorIlEEZZNS1_9scan_implILNS1_25lookback_scan_determinismE0ELb0ELb0ES3_PlS8_lN6thrust23THRUST_200600_302600_NS4plusIvEElEEDaPvRmT3_T4_T5_mT6_P12ihipStream_tbENKUlT_T0_E_clISt17integral_constantIbLb1EESP_IbLb0EEEEDaSL_SM_EUlSL_E_NS1_11comp_targetILNS1_3genE9ELNS1_11target_archE1100ELNS1_3gpuE3ELNS1_3repE0EEENS1_30default_config_static_selectorELNS0_4arch9wavefront6targetE1EEEvT1_.uses_vcc, 0
	.set _ZN7rocprim17ROCPRIM_400000_NS6detail17trampoline_kernelINS0_14default_configENS1_20scan_config_selectorIlEEZZNS1_9scan_implILNS1_25lookback_scan_determinismE0ELb0ELb0ES3_PlS8_lN6thrust23THRUST_200600_302600_NS4plusIvEElEEDaPvRmT3_T4_T5_mT6_P12ihipStream_tbENKUlT_T0_E_clISt17integral_constantIbLb1EESP_IbLb0EEEEDaSL_SM_EUlSL_E_NS1_11comp_targetILNS1_3genE9ELNS1_11target_archE1100ELNS1_3gpuE3ELNS1_3repE0EEENS1_30default_config_static_selectorELNS0_4arch9wavefront6targetE1EEEvT1_.uses_flat_scratch, 0
	.set _ZN7rocprim17ROCPRIM_400000_NS6detail17trampoline_kernelINS0_14default_configENS1_20scan_config_selectorIlEEZZNS1_9scan_implILNS1_25lookback_scan_determinismE0ELb0ELb0ES3_PlS8_lN6thrust23THRUST_200600_302600_NS4plusIvEElEEDaPvRmT3_T4_T5_mT6_P12ihipStream_tbENKUlT_T0_E_clISt17integral_constantIbLb1EESP_IbLb0EEEEDaSL_SM_EUlSL_E_NS1_11comp_targetILNS1_3genE9ELNS1_11target_archE1100ELNS1_3gpuE3ELNS1_3repE0EEENS1_30default_config_static_selectorELNS0_4arch9wavefront6targetE1EEEvT1_.has_dyn_sized_stack, 0
	.set _ZN7rocprim17ROCPRIM_400000_NS6detail17trampoline_kernelINS0_14default_configENS1_20scan_config_selectorIlEEZZNS1_9scan_implILNS1_25lookback_scan_determinismE0ELb0ELb0ES3_PlS8_lN6thrust23THRUST_200600_302600_NS4plusIvEElEEDaPvRmT3_T4_T5_mT6_P12ihipStream_tbENKUlT_T0_E_clISt17integral_constantIbLb1EESP_IbLb0EEEEDaSL_SM_EUlSL_E_NS1_11comp_targetILNS1_3genE9ELNS1_11target_archE1100ELNS1_3gpuE3ELNS1_3repE0EEENS1_30default_config_static_selectorELNS0_4arch9wavefront6targetE1EEEvT1_.has_recursion, 0
	.set _ZN7rocprim17ROCPRIM_400000_NS6detail17trampoline_kernelINS0_14default_configENS1_20scan_config_selectorIlEEZZNS1_9scan_implILNS1_25lookback_scan_determinismE0ELb0ELb0ES3_PlS8_lN6thrust23THRUST_200600_302600_NS4plusIvEElEEDaPvRmT3_T4_T5_mT6_P12ihipStream_tbENKUlT_T0_E_clISt17integral_constantIbLb1EESP_IbLb0EEEEDaSL_SM_EUlSL_E_NS1_11comp_targetILNS1_3genE9ELNS1_11target_archE1100ELNS1_3gpuE3ELNS1_3repE0EEENS1_30default_config_static_selectorELNS0_4arch9wavefront6targetE1EEEvT1_.has_indirect_call, 0
	.section	.AMDGPU.csdata,"",@progbits
; Kernel info:
; codeLenInByte = 0
; TotalNumSgprs: 6
; NumVgprs: 0
; NumAgprs: 0
; TotalNumVgprs: 0
; ScratchSize: 0
; MemoryBound: 0
; FloatMode: 240
; IeeeMode: 1
; LDSByteSize: 0 bytes/workgroup (compile time only)
; SGPRBlocks: 0
; VGPRBlocks: 0
; NumSGPRsForWavesPerEU: 6
; NumVGPRsForWavesPerEU: 1
; AccumOffset: 4
; Occupancy: 8
; WaveLimiterHint : 0
; COMPUTE_PGM_RSRC2:SCRATCH_EN: 0
; COMPUTE_PGM_RSRC2:USER_SGPR: 2
; COMPUTE_PGM_RSRC2:TRAP_HANDLER: 0
; COMPUTE_PGM_RSRC2:TGID_X_EN: 1
; COMPUTE_PGM_RSRC2:TGID_Y_EN: 0
; COMPUTE_PGM_RSRC2:TGID_Z_EN: 0
; COMPUTE_PGM_RSRC2:TIDIG_COMP_CNT: 0
; COMPUTE_PGM_RSRC3_GFX90A:ACCUM_OFFSET: 0
; COMPUTE_PGM_RSRC3_GFX90A:TG_SPLIT: 0
	.section	.text._ZN7rocprim17ROCPRIM_400000_NS6detail17trampoline_kernelINS0_14default_configENS1_20scan_config_selectorIlEEZZNS1_9scan_implILNS1_25lookback_scan_determinismE0ELb0ELb0ES3_PlS8_lN6thrust23THRUST_200600_302600_NS4plusIvEElEEDaPvRmT3_T4_T5_mT6_P12ihipStream_tbENKUlT_T0_E_clISt17integral_constantIbLb1EESP_IbLb0EEEEDaSL_SM_EUlSL_E_NS1_11comp_targetILNS1_3genE8ELNS1_11target_archE1030ELNS1_3gpuE2ELNS1_3repE0EEENS1_30default_config_static_selectorELNS0_4arch9wavefront6targetE1EEEvT1_,"axG",@progbits,_ZN7rocprim17ROCPRIM_400000_NS6detail17trampoline_kernelINS0_14default_configENS1_20scan_config_selectorIlEEZZNS1_9scan_implILNS1_25lookback_scan_determinismE0ELb0ELb0ES3_PlS8_lN6thrust23THRUST_200600_302600_NS4plusIvEElEEDaPvRmT3_T4_T5_mT6_P12ihipStream_tbENKUlT_T0_E_clISt17integral_constantIbLb1EESP_IbLb0EEEEDaSL_SM_EUlSL_E_NS1_11comp_targetILNS1_3genE8ELNS1_11target_archE1030ELNS1_3gpuE2ELNS1_3repE0EEENS1_30default_config_static_selectorELNS0_4arch9wavefront6targetE1EEEvT1_,comdat
	.protected	_ZN7rocprim17ROCPRIM_400000_NS6detail17trampoline_kernelINS0_14default_configENS1_20scan_config_selectorIlEEZZNS1_9scan_implILNS1_25lookback_scan_determinismE0ELb0ELb0ES3_PlS8_lN6thrust23THRUST_200600_302600_NS4plusIvEElEEDaPvRmT3_T4_T5_mT6_P12ihipStream_tbENKUlT_T0_E_clISt17integral_constantIbLb1EESP_IbLb0EEEEDaSL_SM_EUlSL_E_NS1_11comp_targetILNS1_3genE8ELNS1_11target_archE1030ELNS1_3gpuE2ELNS1_3repE0EEENS1_30default_config_static_selectorELNS0_4arch9wavefront6targetE1EEEvT1_ ; -- Begin function _ZN7rocprim17ROCPRIM_400000_NS6detail17trampoline_kernelINS0_14default_configENS1_20scan_config_selectorIlEEZZNS1_9scan_implILNS1_25lookback_scan_determinismE0ELb0ELb0ES3_PlS8_lN6thrust23THRUST_200600_302600_NS4plusIvEElEEDaPvRmT3_T4_T5_mT6_P12ihipStream_tbENKUlT_T0_E_clISt17integral_constantIbLb1EESP_IbLb0EEEEDaSL_SM_EUlSL_E_NS1_11comp_targetILNS1_3genE8ELNS1_11target_archE1030ELNS1_3gpuE2ELNS1_3repE0EEENS1_30default_config_static_selectorELNS0_4arch9wavefront6targetE1EEEvT1_
	.globl	_ZN7rocprim17ROCPRIM_400000_NS6detail17trampoline_kernelINS0_14default_configENS1_20scan_config_selectorIlEEZZNS1_9scan_implILNS1_25lookback_scan_determinismE0ELb0ELb0ES3_PlS8_lN6thrust23THRUST_200600_302600_NS4plusIvEElEEDaPvRmT3_T4_T5_mT6_P12ihipStream_tbENKUlT_T0_E_clISt17integral_constantIbLb1EESP_IbLb0EEEEDaSL_SM_EUlSL_E_NS1_11comp_targetILNS1_3genE8ELNS1_11target_archE1030ELNS1_3gpuE2ELNS1_3repE0EEENS1_30default_config_static_selectorELNS0_4arch9wavefront6targetE1EEEvT1_
	.p2align	8
	.type	_ZN7rocprim17ROCPRIM_400000_NS6detail17trampoline_kernelINS0_14default_configENS1_20scan_config_selectorIlEEZZNS1_9scan_implILNS1_25lookback_scan_determinismE0ELb0ELb0ES3_PlS8_lN6thrust23THRUST_200600_302600_NS4plusIvEElEEDaPvRmT3_T4_T5_mT6_P12ihipStream_tbENKUlT_T0_E_clISt17integral_constantIbLb1EESP_IbLb0EEEEDaSL_SM_EUlSL_E_NS1_11comp_targetILNS1_3genE8ELNS1_11target_archE1030ELNS1_3gpuE2ELNS1_3repE0EEENS1_30default_config_static_selectorELNS0_4arch9wavefront6targetE1EEEvT1_,@function
_ZN7rocprim17ROCPRIM_400000_NS6detail17trampoline_kernelINS0_14default_configENS1_20scan_config_selectorIlEEZZNS1_9scan_implILNS1_25lookback_scan_determinismE0ELb0ELb0ES3_PlS8_lN6thrust23THRUST_200600_302600_NS4plusIvEElEEDaPvRmT3_T4_T5_mT6_P12ihipStream_tbENKUlT_T0_E_clISt17integral_constantIbLb1EESP_IbLb0EEEEDaSL_SM_EUlSL_E_NS1_11comp_targetILNS1_3genE8ELNS1_11target_archE1030ELNS1_3gpuE2ELNS1_3repE0EEENS1_30default_config_static_selectorELNS0_4arch9wavefront6targetE1EEEvT1_: ; @_ZN7rocprim17ROCPRIM_400000_NS6detail17trampoline_kernelINS0_14default_configENS1_20scan_config_selectorIlEEZZNS1_9scan_implILNS1_25lookback_scan_determinismE0ELb0ELb0ES3_PlS8_lN6thrust23THRUST_200600_302600_NS4plusIvEElEEDaPvRmT3_T4_T5_mT6_P12ihipStream_tbENKUlT_T0_E_clISt17integral_constantIbLb1EESP_IbLb0EEEEDaSL_SM_EUlSL_E_NS1_11comp_targetILNS1_3genE8ELNS1_11target_archE1030ELNS1_3gpuE2ELNS1_3repE0EEENS1_30default_config_static_selectorELNS0_4arch9wavefront6targetE1EEEvT1_
; %bb.0:
	.section	.rodata,"a",@progbits
	.p2align	6, 0x0
	.amdhsa_kernel _ZN7rocprim17ROCPRIM_400000_NS6detail17trampoline_kernelINS0_14default_configENS1_20scan_config_selectorIlEEZZNS1_9scan_implILNS1_25lookback_scan_determinismE0ELb0ELb0ES3_PlS8_lN6thrust23THRUST_200600_302600_NS4plusIvEElEEDaPvRmT3_T4_T5_mT6_P12ihipStream_tbENKUlT_T0_E_clISt17integral_constantIbLb1EESP_IbLb0EEEEDaSL_SM_EUlSL_E_NS1_11comp_targetILNS1_3genE8ELNS1_11target_archE1030ELNS1_3gpuE2ELNS1_3repE0EEENS1_30default_config_static_selectorELNS0_4arch9wavefront6targetE1EEEvT1_
		.amdhsa_group_segment_fixed_size 0
		.amdhsa_private_segment_fixed_size 0
		.amdhsa_kernarg_size 104
		.amdhsa_user_sgpr_count 2
		.amdhsa_user_sgpr_dispatch_ptr 0
		.amdhsa_user_sgpr_queue_ptr 0
		.amdhsa_user_sgpr_kernarg_segment_ptr 1
		.amdhsa_user_sgpr_dispatch_id 0
		.amdhsa_user_sgpr_kernarg_preload_length 0
		.amdhsa_user_sgpr_kernarg_preload_offset 0
		.amdhsa_user_sgpr_private_segment_size 0
		.amdhsa_uses_dynamic_stack 0
		.amdhsa_enable_private_segment 0
		.amdhsa_system_sgpr_workgroup_id_x 1
		.amdhsa_system_sgpr_workgroup_id_y 0
		.amdhsa_system_sgpr_workgroup_id_z 0
		.amdhsa_system_sgpr_workgroup_info 0
		.amdhsa_system_vgpr_workitem_id 0
		.amdhsa_next_free_vgpr 1
		.amdhsa_next_free_sgpr 0
		.amdhsa_accum_offset 4
		.amdhsa_reserve_vcc 0
		.amdhsa_float_round_mode_32 0
		.amdhsa_float_round_mode_16_64 0
		.amdhsa_float_denorm_mode_32 3
		.amdhsa_float_denorm_mode_16_64 3
		.amdhsa_dx10_clamp 1
		.amdhsa_ieee_mode 1
		.amdhsa_fp16_overflow 0
		.amdhsa_tg_split 0
		.amdhsa_exception_fp_ieee_invalid_op 0
		.amdhsa_exception_fp_denorm_src 0
		.amdhsa_exception_fp_ieee_div_zero 0
		.amdhsa_exception_fp_ieee_overflow 0
		.amdhsa_exception_fp_ieee_underflow 0
		.amdhsa_exception_fp_ieee_inexact 0
		.amdhsa_exception_int_div_zero 0
	.end_amdhsa_kernel
	.section	.text._ZN7rocprim17ROCPRIM_400000_NS6detail17trampoline_kernelINS0_14default_configENS1_20scan_config_selectorIlEEZZNS1_9scan_implILNS1_25lookback_scan_determinismE0ELb0ELb0ES3_PlS8_lN6thrust23THRUST_200600_302600_NS4plusIvEElEEDaPvRmT3_T4_T5_mT6_P12ihipStream_tbENKUlT_T0_E_clISt17integral_constantIbLb1EESP_IbLb0EEEEDaSL_SM_EUlSL_E_NS1_11comp_targetILNS1_3genE8ELNS1_11target_archE1030ELNS1_3gpuE2ELNS1_3repE0EEENS1_30default_config_static_selectorELNS0_4arch9wavefront6targetE1EEEvT1_,"axG",@progbits,_ZN7rocprim17ROCPRIM_400000_NS6detail17trampoline_kernelINS0_14default_configENS1_20scan_config_selectorIlEEZZNS1_9scan_implILNS1_25lookback_scan_determinismE0ELb0ELb0ES3_PlS8_lN6thrust23THRUST_200600_302600_NS4plusIvEElEEDaPvRmT3_T4_T5_mT6_P12ihipStream_tbENKUlT_T0_E_clISt17integral_constantIbLb1EESP_IbLb0EEEEDaSL_SM_EUlSL_E_NS1_11comp_targetILNS1_3genE8ELNS1_11target_archE1030ELNS1_3gpuE2ELNS1_3repE0EEENS1_30default_config_static_selectorELNS0_4arch9wavefront6targetE1EEEvT1_,comdat
.Lfunc_end130:
	.size	_ZN7rocprim17ROCPRIM_400000_NS6detail17trampoline_kernelINS0_14default_configENS1_20scan_config_selectorIlEEZZNS1_9scan_implILNS1_25lookback_scan_determinismE0ELb0ELb0ES3_PlS8_lN6thrust23THRUST_200600_302600_NS4plusIvEElEEDaPvRmT3_T4_T5_mT6_P12ihipStream_tbENKUlT_T0_E_clISt17integral_constantIbLb1EESP_IbLb0EEEEDaSL_SM_EUlSL_E_NS1_11comp_targetILNS1_3genE8ELNS1_11target_archE1030ELNS1_3gpuE2ELNS1_3repE0EEENS1_30default_config_static_selectorELNS0_4arch9wavefront6targetE1EEEvT1_, .Lfunc_end130-_ZN7rocprim17ROCPRIM_400000_NS6detail17trampoline_kernelINS0_14default_configENS1_20scan_config_selectorIlEEZZNS1_9scan_implILNS1_25lookback_scan_determinismE0ELb0ELb0ES3_PlS8_lN6thrust23THRUST_200600_302600_NS4plusIvEElEEDaPvRmT3_T4_T5_mT6_P12ihipStream_tbENKUlT_T0_E_clISt17integral_constantIbLb1EESP_IbLb0EEEEDaSL_SM_EUlSL_E_NS1_11comp_targetILNS1_3genE8ELNS1_11target_archE1030ELNS1_3gpuE2ELNS1_3repE0EEENS1_30default_config_static_selectorELNS0_4arch9wavefront6targetE1EEEvT1_
                                        ; -- End function
	.set _ZN7rocprim17ROCPRIM_400000_NS6detail17trampoline_kernelINS0_14default_configENS1_20scan_config_selectorIlEEZZNS1_9scan_implILNS1_25lookback_scan_determinismE0ELb0ELb0ES3_PlS8_lN6thrust23THRUST_200600_302600_NS4plusIvEElEEDaPvRmT3_T4_T5_mT6_P12ihipStream_tbENKUlT_T0_E_clISt17integral_constantIbLb1EESP_IbLb0EEEEDaSL_SM_EUlSL_E_NS1_11comp_targetILNS1_3genE8ELNS1_11target_archE1030ELNS1_3gpuE2ELNS1_3repE0EEENS1_30default_config_static_selectorELNS0_4arch9wavefront6targetE1EEEvT1_.num_vgpr, 0
	.set _ZN7rocprim17ROCPRIM_400000_NS6detail17trampoline_kernelINS0_14default_configENS1_20scan_config_selectorIlEEZZNS1_9scan_implILNS1_25lookback_scan_determinismE0ELb0ELb0ES3_PlS8_lN6thrust23THRUST_200600_302600_NS4plusIvEElEEDaPvRmT3_T4_T5_mT6_P12ihipStream_tbENKUlT_T0_E_clISt17integral_constantIbLb1EESP_IbLb0EEEEDaSL_SM_EUlSL_E_NS1_11comp_targetILNS1_3genE8ELNS1_11target_archE1030ELNS1_3gpuE2ELNS1_3repE0EEENS1_30default_config_static_selectorELNS0_4arch9wavefront6targetE1EEEvT1_.num_agpr, 0
	.set _ZN7rocprim17ROCPRIM_400000_NS6detail17trampoline_kernelINS0_14default_configENS1_20scan_config_selectorIlEEZZNS1_9scan_implILNS1_25lookback_scan_determinismE0ELb0ELb0ES3_PlS8_lN6thrust23THRUST_200600_302600_NS4plusIvEElEEDaPvRmT3_T4_T5_mT6_P12ihipStream_tbENKUlT_T0_E_clISt17integral_constantIbLb1EESP_IbLb0EEEEDaSL_SM_EUlSL_E_NS1_11comp_targetILNS1_3genE8ELNS1_11target_archE1030ELNS1_3gpuE2ELNS1_3repE0EEENS1_30default_config_static_selectorELNS0_4arch9wavefront6targetE1EEEvT1_.numbered_sgpr, 0
	.set _ZN7rocprim17ROCPRIM_400000_NS6detail17trampoline_kernelINS0_14default_configENS1_20scan_config_selectorIlEEZZNS1_9scan_implILNS1_25lookback_scan_determinismE0ELb0ELb0ES3_PlS8_lN6thrust23THRUST_200600_302600_NS4plusIvEElEEDaPvRmT3_T4_T5_mT6_P12ihipStream_tbENKUlT_T0_E_clISt17integral_constantIbLb1EESP_IbLb0EEEEDaSL_SM_EUlSL_E_NS1_11comp_targetILNS1_3genE8ELNS1_11target_archE1030ELNS1_3gpuE2ELNS1_3repE0EEENS1_30default_config_static_selectorELNS0_4arch9wavefront6targetE1EEEvT1_.num_named_barrier, 0
	.set _ZN7rocprim17ROCPRIM_400000_NS6detail17trampoline_kernelINS0_14default_configENS1_20scan_config_selectorIlEEZZNS1_9scan_implILNS1_25lookback_scan_determinismE0ELb0ELb0ES3_PlS8_lN6thrust23THRUST_200600_302600_NS4plusIvEElEEDaPvRmT3_T4_T5_mT6_P12ihipStream_tbENKUlT_T0_E_clISt17integral_constantIbLb1EESP_IbLb0EEEEDaSL_SM_EUlSL_E_NS1_11comp_targetILNS1_3genE8ELNS1_11target_archE1030ELNS1_3gpuE2ELNS1_3repE0EEENS1_30default_config_static_selectorELNS0_4arch9wavefront6targetE1EEEvT1_.private_seg_size, 0
	.set _ZN7rocprim17ROCPRIM_400000_NS6detail17trampoline_kernelINS0_14default_configENS1_20scan_config_selectorIlEEZZNS1_9scan_implILNS1_25lookback_scan_determinismE0ELb0ELb0ES3_PlS8_lN6thrust23THRUST_200600_302600_NS4plusIvEElEEDaPvRmT3_T4_T5_mT6_P12ihipStream_tbENKUlT_T0_E_clISt17integral_constantIbLb1EESP_IbLb0EEEEDaSL_SM_EUlSL_E_NS1_11comp_targetILNS1_3genE8ELNS1_11target_archE1030ELNS1_3gpuE2ELNS1_3repE0EEENS1_30default_config_static_selectorELNS0_4arch9wavefront6targetE1EEEvT1_.uses_vcc, 0
	.set _ZN7rocprim17ROCPRIM_400000_NS6detail17trampoline_kernelINS0_14default_configENS1_20scan_config_selectorIlEEZZNS1_9scan_implILNS1_25lookback_scan_determinismE0ELb0ELb0ES3_PlS8_lN6thrust23THRUST_200600_302600_NS4plusIvEElEEDaPvRmT3_T4_T5_mT6_P12ihipStream_tbENKUlT_T0_E_clISt17integral_constantIbLb1EESP_IbLb0EEEEDaSL_SM_EUlSL_E_NS1_11comp_targetILNS1_3genE8ELNS1_11target_archE1030ELNS1_3gpuE2ELNS1_3repE0EEENS1_30default_config_static_selectorELNS0_4arch9wavefront6targetE1EEEvT1_.uses_flat_scratch, 0
	.set _ZN7rocprim17ROCPRIM_400000_NS6detail17trampoline_kernelINS0_14default_configENS1_20scan_config_selectorIlEEZZNS1_9scan_implILNS1_25lookback_scan_determinismE0ELb0ELb0ES3_PlS8_lN6thrust23THRUST_200600_302600_NS4plusIvEElEEDaPvRmT3_T4_T5_mT6_P12ihipStream_tbENKUlT_T0_E_clISt17integral_constantIbLb1EESP_IbLb0EEEEDaSL_SM_EUlSL_E_NS1_11comp_targetILNS1_3genE8ELNS1_11target_archE1030ELNS1_3gpuE2ELNS1_3repE0EEENS1_30default_config_static_selectorELNS0_4arch9wavefront6targetE1EEEvT1_.has_dyn_sized_stack, 0
	.set _ZN7rocprim17ROCPRIM_400000_NS6detail17trampoline_kernelINS0_14default_configENS1_20scan_config_selectorIlEEZZNS1_9scan_implILNS1_25lookback_scan_determinismE0ELb0ELb0ES3_PlS8_lN6thrust23THRUST_200600_302600_NS4plusIvEElEEDaPvRmT3_T4_T5_mT6_P12ihipStream_tbENKUlT_T0_E_clISt17integral_constantIbLb1EESP_IbLb0EEEEDaSL_SM_EUlSL_E_NS1_11comp_targetILNS1_3genE8ELNS1_11target_archE1030ELNS1_3gpuE2ELNS1_3repE0EEENS1_30default_config_static_selectorELNS0_4arch9wavefront6targetE1EEEvT1_.has_recursion, 0
	.set _ZN7rocprim17ROCPRIM_400000_NS6detail17trampoline_kernelINS0_14default_configENS1_20scan_config_selectorIlEEZZNS1_9scan_implILNS1_25lookback_scan_determinismE0ELb0ELb0ES3_PlS8_lN6thrust23THRUST_200600_302600_NS4plusIvEElEEDaPvRmT3_T4_T5_mT6_P12ihipStream_tbENKUlT_T0_E_clISt17integral_constantIbLb1EESP_IbLb0EEEEDaSL_SM_EUlSL_E_NS1_11comp_targetILNS1_3genE8ELNS1_11target_archE1030ELNS1_3gpuE2ELNS1_3repE0EEENS1_30default_config_static_selectorELNS0_4arch9wavefront6targetE1EEEvT1_.has_indirect_call, 0
	.section	.AMDGPU.csdata,"",@progbits
; Kernel info:
; codeLenInByte = 0
; TotalNumSgprs: 6
; NumVgprs: 0
; NumAgprs: 0
; TotalNumVgprs: 0
; ScratchSize: 0
; MemoryBound: 0
; FloatMode: 240
; IeeeMode: 1
; LDSByteSize: 0 bytes/workgroup (compile time only)
; SGPRBlocks: 0
; VGPRBlocks: 0
; NumSGPRsForWavesPerEU: 6
; NumVGPRsForWavesPerEU: 1
; AccumOffset: 4
; Occupancy: 8
; WaveLimiterHint : 0
; COMPUTE_PGM_RSRC2:SCRATCH_EN: 0
; COMPUTE_PGM_RSRC2:USER_SGPR: 2
; COMPUTE_PGM_RSRC2:TRAP_HANDLER: 0
; COMPUTE_PGM_RSRC2:TGID_X_EN: 1
; COMPUTE_PGM_RSRC2:TGID_Y_EN: 0
; COMPUTE_PGM_RSRC2:TGID_Z_EN: 0
; COMPUTE_PGM_RSRC2:TIDIG_COMP_CNT: 0
; COMPUTE_PGM_RSRC3_GFX90A:ACCUM_OFFSET: 0
; COMPUTE_PGM_RSRC3_GFX90A:TG_SPLIT: 0
	.section	.text._ZN7rocprim17ROCPRIM_400000_NS6detail17trampoline_kernelINS0_14default_configENS1_20scan_config_selectorIlEEZZNS1_9scan_implILNS1_25lookback_scan_determinismE0ELb0ELb0ES3_PlS8_lN6thrust23THRUST_200600_302600_NS4plusIvEElEEDaPvRmT3_T4_T5_mT6_P12ihipStream_tbENKUlT_T0_E_clISt17integral_constantIbLb1EESP_IbLb0EEEEDaSL_SM_EUlSL_E0_NS1_11comp_targetILNS1_3genE0ELNS1_11target_archE4294967295ELNS1_3gpuE0ELNS1_3repE0EEENS1_30default_config_static_selectorELNS0_4arch9wavefront6targetE1EEEvT1_,"axG",@progbits,_ZN7rocprim17ROCPRIM_400000_NS6detail17trampoline_kernelINS0_14default_configENS1_20scan_config_selectorIlEEZZNS1_9scan_implILNS1_25lookback_scan_determinismE0ELb0ELb0ES3_PlS8_lN6thrust23THRUST_200600_302600_NS4plusIvEElEEDaPvRmT3_T4_T5_mT6_P12ihipStream_tbENKUlT_T0_E_clISt17integral_constantIbLb1EESP_IbLb0EEEEDaSL_SM_EUlSL_E0_NS1_11comp_targetILNS1_3genE0ELNS1_11target_archE4294967295ELNS1_3gpuE0ELNS1_3repE0EEENS1_30default_config_static_selectorELNS0_4arch9wavefront6targetE1EEEvT1_,comdat
	.protected	_ZN7rocprim17ROCPRIM_400000_NS6detail17trampoline_kernelINS0_14default_configENS1_20scan_config_selectorIlEEZZNS1_9scan_implILNS1_25lookback_scan_determinismE0ELb0ELb0ES3_PlS8_lN6thrust23THRUST_200600_302600_NS4plusIvEElEEDaPvRmT3_T4_T5_mT6_P12ihipStream_tbENKUlT_T0_E_clISt17integral_constantIbLb1EESP_IbLb0EEEEDaSL_SM_EUlSL_E0_NS1_11comp_targetILNS1_3genE0ELNS1_11target_archE4294967295ELNS1_3gpuE0ELNS1_3repE0EEENS1_30default_config_static_selectorELNS0_4arch9wavefront6targetE1EEEvT1_ ; -- Begin function _ZN7rocprim17ROCPRIM_400000_NS6detail17trampoline_kernelINS0_14default_configENS1_20scan_config_selectorIlEEZZNS1_9scan_implILNS1_25lookback_scan_determinismE0ELb0ELb0ES3_PlS8_lN6thrust23THRUST_200600_302600_NS4plusIvEElEEDaPvRmT3_T4_T5_mT6_P12ihipStream_tbENKUlT_T0_E_clISt17integral_constantIbLb1EESP_IbLb0EEEEDaSL_SM_EUlSL_E0_NS1_11comp_targetILNS1_3genE0ELNS1_11target_archE4294967295ELNS1_3gpuE0ELNS1_3repE0EEENS1_30default_config_static_selectorELNS0_4arch9wavefront6targetE1EEEvT1_
	.globl	_ZN7rocprim17ROCPRIM_400000_NS6detail17trampoline_kernelINS0_14default_configENS1_20scan_config_selectorIlEEZZNS1_9scan_implILNS1_25lookback_scan_determinismE0ELb0ELb0ES3_PlS8_lN6thrust23THRUST_200600_302600_NS4plusIvEElEEDaPvRmT3_T4_T5_mT6_P12ihipStream_tbENKUlT_T0_E_clISt17integral_constantIbLb1EESP_IbLb0EEEEDaSL_SM_EUlSL_E0_NS1_11comp_targetILNS1_3genE0ELNS1_11target_archE4294967295ELNS1_3gpuE0ELNS1_3repE0EEENS1_30default_config_static_selectorELNS0_4arch9wavefront6targetE1EEEvT1_
	.p2align	8
	.type	_ZN7rocprim17ROCPRIM_400000_NS6detail17trampoline_kernelINS0_14default_configENS1_20scan_config_selectorIlEEZZNS1_9scan_implILNS1_25lookback_scan_determinismE0ELb0ELb0ES3_PlS8_lN6thrust23THRUST_200600_302600_NS4plusIvEElEEDaPvRmT3_T4_T5_mT6_P12ihipStream_tbENKUlT_T0_E_clISt17integral_constantIbLb1EESP_IbLb0EEEEDaSL_SM_EUlSL_E0_NS1_11comp_targetILNS1_3genE0ELNS1_11target_archE4294967295ELNS1_3gpuE0ELNS1_3repE0EEENS1_30default_config_static_selectorELNS0_4arch9wavefront6targetE1EEEvT1_,@function
_ZN7rocprim17ROCPRIM_400000_NS6detail17trampoline_kernelINS0_14default_configENS1_20scan_config_selectorIlEEZZNS1_9scan_implILNS1_25lookback_scan_determinismE0ELb0ELb0ES3_PlS8_lN6thrust23THRUST_200600_302600_NS4plusIvEElEEDaPvRmT3_T4_T5_mT6_P12ihipStream_tbENKUlT_T0_E_clISt17integral_constantIbLb1EESP_IbLb0EEEEDaSL_SM_EUlSL_E0_NS1_11comp_targetILNS1_3genE0ELNS1_11target_archE4294967295ELNS1_3gpuE0ELNS1_3repE0EEENS1_30default_config_static_selectorELNS0_4arch9wavefront6targetE1EEEvT1_: ; @_ZN7rocprim17ROCPRIM_400000_NS6detail17trampoline_kernelINS0_14default_configENS1_20scan_config_selectorIlEEZZNS1_9scan_implILNS1_25lookback_scan_determinismE0ELb0ELb0ES3_PlS8_lN6thrust23THRUST_200600_302600_NS4plusIvEElEEDaPvRmT3_T4_T5_mT6_P12ihipStream_tbENKUlT_T0_E_clISt17integral_constantIbLb1EESP_IbLb0EEEEDaSL_SM_EUlSL_E0_NS1_11comp_targetILNS1_3genE0ELNS1_11target_archE4294967295ELNS1_3gpuE0ELNS1_3repE0EEENS1_30default_config_static_selectorELNS0_4arch9wavefront6targetE1EEEvT1_
; %bb.0:
	s_load_dwordx4 s[12:15], s[0:1], 0x0
	v_lshlrev_b32_e32 v22, 3, v0
	s_waitcnt lgkmcnt(0)
	s_load_dwordx2 s[16:17], s[12:13], 0x0
	v_cmp_gt_u32_e32 vcc, s14, v0
	s_waitcnt lgkmcnt(0)
	v_mov_b64_e32 v[2:3], s[16:17]
	s_and_saveexec_b64 s[2:3], vcc
	s_cbranch_execz .LBB131_2
; %bb.1:
	global_load_dwordx2 v[2:3], v22, s[12:13]
.LBB131_2:
	s_or_b64 exec, exec, s[2:3]
	v_or_b32_e32 v1, 0x100, v0
	v_cmp_gt_u32_e64 s[10:11], s14, v1
	v_mov_b64_e32 v[4:5], s[16:17]
	s_and_saveexec_b64 s[2:3], s[10:11]
	s_cbranch_execz .LBB131_4
; %bb.3:
	global_load_dwordx2 v[4:5], v22, s[12:13] offset:2048
.LBB131_4:
	s_or_b64 exec, exec, s[2:3]
	v_or_b32_e32 v1, 0x200, v0
	v_cmp_gt_u32_e64 s[2:3], s14, v1
	v_mov_b64_e32 v[6:7], s[16:17]
	s_and_saveexec_b64 s[4:5], s[2:3]
	s_cbranch_execz .LBB131_6
; %bb.5:
	v_lshlrev_b32_e32 v1, 3, v1
	global_load_dwordx2 v[6:7], v1, s[12:13]
.LBB131_6:
	s_or_b64 exec, exec, s[4:5]
	v_or_b32_e32 v1, 0x300, v0
	v_cmp_gt_u32_e64 s[4:5], s14, v1
	v_mov_b64_e32 v[8:9], s[16:17]
	s_and_saveexec_b64 s[6:7], s[4:5]
	s_cbranch_execz .LBB131_8
; %bb.7:
	v_lshlrev_b32_e32 v1, 3, v1
	global_load_dwordx2 v[8:9], v1, s[12:13]
.LBB131_8:
	;; [unrolled: 10-line block ×4, first 2 shown]
	s_or_b64 exec, exec, s[14:15]
	v_mad_u32_u24 v1, v0, 40, v22
	s_waitcnt vmcnt(0)
	ds_write2st64_b64 v22, v[2:3], v[4:5] offset1:4
	ds_write2st64_b64 v22, v[6:7], v[8:9] offset0:8 offset1:12
	ds_write2st64_b64 v22, v[10:11], v[12:13] offset0:16 offset1:20
	s_waitcnt lgkmcnt(0)
	s_barrier
	ds_read_b128 v[2:5], v1
	ds_read_b128 v[18:21], v1 offset:16
	ds_read_b128 v[14:17], v1 offset:32
	v_mbcnt_lo_u32_b32 v1, -1, 0
	v_mov_b32_e32 v28, 0
	s_waitcnt lgkmcnt(2)
	v_lshl_add_u64 v[24:25], v[4:5], 0, v[2:3]
	s_waitcnt lgkmcnt(1)
	v_lshl_add_u64 v[10:11], v[24:25], 0, v[18:19]
	v_lshl_add_u64 v[12:13], v[10:11], 0, v[20:21]
	s_waitcnt lgkmcnt(0)
	v_lshl_add_u64 v[6:7], v[12:13], 0, v[14:15]
	v_lshl_add_u64 v[8:9], v[6:7], 0, v[16:17]
	v_mbcnt_hi_u32_b32 v1, -1, v1
	v_mov_b32_e32 v27, v28
	v_mov_b32_dpp v26, v8 row_shr:1 row_mask:0xf bank_mask:0xf
	v_and_b32_e32 v23, 15, v1
	v_mov_b32_dpp v29, v9 row_shr:1 row_mask:0xf bank_mask:0xf
	v_lshl_add_u64 v[26:27], v[8:9], 0, v[26:27]
	v_lshl_add_u64 v[28:29], v[28:29], 0, v[26:27]
	v_cmp_eq_u32_e64 s[12:13], 0, v23
	v_and_b32_e32 v32, 16, v1
	v_cmp_eq_u32_e64 s[14:15], 0, v32
	v_cndmask_b32_e64 v30, v26, v8, s[12:13]
	v_cndmask_b32_e64 v27, v29, v9, s[12:13]
	;; [unrolled: 1-line block ×3, first 2 shown]
	v_mov_b32_dpp v28, v30 row_shr:2 row_mask:0xf bank_mask:0xf
	v_mov_b32_dpp v29, v27 row_shr:2 row_mask:0xf bank_mask:0xf
	v_lshl_add_u64 v[28:29], v[28:29], 0, v[26:27]
	v_cmp_lt_u32_e64 s[12:13], 1, v23
	v_cmp_ne_u32_e64 s[16:17], 0, v1
	s_nop 0
	v_cndmask_b32_e64 v30, v30, v28, s[12:13]
	v_cndmask_b32_e64 v27, v27, v29, s[12:13]
	;; [unrolled: 1-line block ×3, first 2 shown]
	v_mov_b32_dpp v28, v30 row_shr:4 row_mask:0xf bank_mask:0xf
	v_mov_b32_dpp v29, v27 row_shr:4 row_mask:0xf bank_mask:0xf
	v_lshl_add_u64 v[28:29], v[28:29], 0, v[26:27]
	v_cmp_lt_u32_e64 s[12:13], 3, v23
	s_barrier
	s_nop 0
	v_cndmask_b32_e64 v30, v30, v28, s[12:13]
	v_cndmask_b32_e64 v27, v27, v29, s[12:13]
	;; [unrolled: 1-line block ×3, first 2 shown]
	v_mov_b32_dpp v28, v30 row_shr:8 row_mask:0xf bank_mask:0xf
	v_mov_b32_dpp v29, v27 row_shr:8 row_mask:0xf bank_mask:0xf
	v_lshl_add_u64 v[28:29], v[28:29], 0, v[26:27]
	v_cmp_lt_u32_e64 s[12:13], 7, v23
	s_nop 1
	v_cndmask_b32_e64 v23, v30, v28, s[12:13]
	v_cndmask_b32_e64 v29, v27, v29, s[12:13]
	;; [unrolled: 1-line block ×3, first 2 shown]
	v_mov_b32_dpp v26, v23 row_bcast:15 row_mask:0xf bank_mask:0xf
	v_mov_b32_dpp v27, v29 row_bcast:15 row_mask:0xf bank_mask:0xf
	v_lshl_add_u64 v[30:31], v[26:27], 0, v[28:29]
	v_cndmask_b32_e64 v26, v31, v29, s[14:15]
	v_cndmask_b32_e64 v23, v30, v23, s[14:15]
	v_cmp_eq_u32_e64 s[12:13], 0, v1
	v_mov_b32_dpp v32, v26 row_bcast:31 row_mask:0xf bank_mask:0xf
	v_mov_b32_dpp v23, v23 row_bcast:31 row_mask:0xf bank_mask:0xf
	v_mov_b64_e32 v[26:27], v[8:9]
	s_and_saveexec_b64 s[18:19], s[16:17]
; %bb.13:
	v_cndmask_b32_e64 v27, v31, v29, s[14:15]
	v_cndmask_b32_e64 v26, v30, v28, s[14:15]
	v_cmp_lt_u32_e64 s[14:15], 31, v1
	s_nop 1
	v_cndmask_b32_e64 v29, 0, v32, s[14:15]
	v_cndmask_b32_e64 v28, 0, v23, s[14:15]
	v_lshl_add_u64 v[26:27], v[28:29], 0, v[26:27]
; %bb.14:
	s_or_b64 exec, exec, s[18:19]
	v_or_b32_e32 v28, 63, v0
	v_lshrrev_b32_e32 v23, 6, v0
	v_cmp_eq_u32_e64 s[14:15], v0, v28
	s_and_saveexec_b64 s[16:17], s[14:15]
; %bb.15:
	v_lshlrev_b32_e32 v28, 3, v23
	ds_write_b64 v28, v[26:27]
; %bb.16:
	s_or_b64 exec, exec, s[16:17]
	v_cmp_gt_u32_e64 s[14:15], 4, v0
	s_waitcnt lgkmcnt(0)
	s_barrier
	s_and_saveexec_b64 s[18:19], s[14:15]
	s_cbranch_execz .LBB131_18
; %bb.17:
	ds_read_b64 v[28:29], v22
	v_mov_b32_e32 v30, 0
	v_mov_b32_e32 v33, v30
	v_and_b32_e32 v34, 3, v1
	v_cmp_eq_u32_e64 s[14:15], 0, v34
	s_waitcnt lgkmcnt(0)
	v_mov_b32_dpp v32, v28 row_shr:1 row_mask:0xf bank_mask:0xf
	v_mov_b32_dpp v31, v29 row_shr:1 row_mask:0xf bank_mask:0xf
	v_lshl_add_u64 v[32:33], v[28:29], 0, v[32:33]
	v_lshl_add_u64 v[30:31], v[30:31], 0, v[32:33]
	v_cndmask_b32_e64 v33, v31, v29, s[14:15]
	v_cndmask_b32_e64 v32, v32, v28, s[14:15]
	v_cmp_ne_u32_e64 s[16:17], 1, v34
	v_mov_b32_dpp v33, v33 row_shr:2 row_mask:0xf bank_mask:0xf
	v_mov_b32_dpp v32, v32 row_shr:2 row_mask:0xf bank_mask:0xf
	v_cndmask_b32_e64 v32, 0, v32, s[16:17]
	v_cndmask_b32_e64 v33, 0, v33, s[16:17]
	v_lshl_add_u64 v[30:31], v[32:33], 0, v[30:31]
	v_cndmask_b32_e64 v29, v31, v29, s[14:15]
	v_cndmask_b32_e64 v28, v30, v28, s[14:15]
	ds_write_b64 v22, v[28:29]
.LBB131_18:
	s_or_b64 exec, exec, s[18:19]
	v_cmp_lt_u32_e64 s[14:15], 63, v0
	s_waitcnt lgkmcnt(0)
	s_barrier
                                        ; implicit-def: $vgpr28_vgpr29
	s_and_saveexec_b64 s[16:17], s[14:15]
	s_cbranch_execz .LBB131_20
; %bb.19:
	v_lshl_add_u32 v23, v23, 3, -8
	ds_read_b64 v[28:29], v23
	s_waitcnt lgkmcnt(0)
	v_lshl_add_u64 v[26:27], v[28:29], 0, v[26:27]
.LBB131_20:
	s_or_b64 exec, exec, s[16:17]
	v_add_u32_e32 v23, -1, v1
	v_and_b32_e32 v30, 64, v1
	s_load_dwordx2 s[14:15], s[0:1], 0x20
	v_cmp_lt_i32_e64 s[0:1], v23, v30
	s_nop 1
	v_cndmask_b32_e64 v1, v23, v1, s[0:1]
	v_lshlrev_b32_e32 v1, 2, v1
	ds_bpermute_b32 v23, v1, v26
	ds_bpermute_b32 v26, v1, v27
	v_mul_u32_u24_e32 v1, 40, v0
	v_cmp_ne_u32_e64 s[0:1], 0, v0
	s_and_saveexec_b64 s[16:17], s[0:1]
	s_cbranch_execz .LBB131_22
; %bb.21:
	s_waitcnt lgkmcnt(0)
	v_cndmask_b32_e64 v7, v26, v29, s[12:13]
	v_cndmask_b32_e64 v6, v23, v28, s[12:13]
	v_lshl_add_u64 v[2:3], v[6:7], 0, v[2:3]
	v_lshl_add_u64 v[24:25], v[2:3], 0, v[4:5]
	;; [unrolled: 1-line block ×6, first 2 shown]
	;;#ASMSTART
	;;#ASMEND
.LBB131_22:
	s_or_b64 exec, exec, s[16:17]
	v_add_u32_e32 v0, v22, v1
	v_mov_b32_e32 v4, v24
	v_mov_b32_e32 v5, v25
	s_waitcnt lgkmcnt(0)
	s_barrier
	ds_write_b128 v0, v[2:5]
	ds_write_b128 v0, v[10:13] offset:16
	ds_write_b128 v0, v[6:9] offset:32
	s_waitcnt lgkmcnt(0)
	s_barrier
	ds_read2st64_b64 v[4:7], v22 offset0:4 offset1:8
	ds_read2st64_b64 v[0:3], v22 offset0:12 offset1:16
	ds_read_b64 v[8:9], v22 offset:10240
	v_mov_b32_e32 v23, 0
	v_lshl_add_u64 v[10:11], s[14:15], 0, v[22:23]
	s_and_saveexec_b64 s[0:1], vcc
	s_cbranch_execnz .LBB131_29
; %bb.23:
	s_or_b64 exec, exec, s[0:1]
	s_and_saveexec_b64 s[0:1], s[10:11]
	s_cbranch_execnz .LBB131_30
.LBB131_24:
	s_or_b64 exec, exec, s[0:1]
	s_and_saveexec_b64 s[0:1], s[2:3]
	s_cbranch_execnz .LBB131_31
.LBB131_25:
	s_or_b64 exec, exec, s[0:1]
	s_and_saveexec_b64 s[0:1], s[4:5]
	s_cbranch_execnz .LBB131_32
.LBB131_26:
	s_or_b64 exec, exec, s[0:1]
	s_and_saveexec_b64 s[0:1], s[6:7]
	s_cbranch_execnz .LBB131_33
.LBB131_27:
	s_or_b64 exec, exec, s[0:1]
	s_and_saveexec_b64 s[0:1], s[8:9]
	s_cbranch_execnz .LBB131_34
.LBB131_28:
	s_endpgm
.LBB131_29:
	ds_read_b64 v[12:13], v22
	s_waitcnt lgkmcnt(0)
	global_store_dwordx2 v[10:11], v[12:13], off
	s_or_b64 exec, exec, s[0:1]
	s_and_saveexec_b64 s[0:1], s[10:11]
	s_cbranch_execz .LBB131_24
.LBB131_30:
	s_waitcnt lgkmcnt(2)
	global_store_dwordx2 v[10:11], v[4:5], off offset:2048
	s_or_b64 exec, exec, s[0:1]
	s_and_saveexec_b64 s[0:1], s[2:3]
	s_cbranch_execz .LBB131_25
.LBB131_31:
	s_waitcnt lgkmcnt(2)
	v_add_co_u32_e32 v4, vcc, 0x1000, v10
	s_nop 1
	v_addc_co_u32_e32 v5, vcc, 0, v11, vcc
	global_store_dwordx2 v[4:5], v[6:7], off
	s_or_b64 exec, exec, s[0:1]
	s_and_saveexec_b64 s[0:1], s[4:5]
	s_cbranch_execz .LBB131_26
.LBB131_32:
	s_waitcnt lgkmcnt(2)
	v_add_co_u32_e32 v4, vcc, 0x1000, v10
	s_nop 1
	v_addc_co_u32_e32 v5, vcc, 0, v11, vcc
	s_waitcnt lgkmcnt(1)
	global_store_dwordx2 v[4:5], v[0:1], off offset:2048
	s_or_b64 exec, exec, s[0:1]
	s_and_saveexec_b64 s[0:1], s[6:7]
	s_cbranch_execz .LBB131_27
.LBB131_33:
	s_waitcnt lgkmcnt(1)
	v_add_co_u32_e32 v0, vcc, 0x2000, v10
	s_nop 1
	v_addc_co_u32_e32 v1, vcc, 0, v11, vcc
	global_store_dwordx2 v[0:1], v[2:3], off
	s_or_b64 exec, exec, s[0:1]
	s_and_saveexec_b64 s[0:1], s[8:9]
	s_cbranch_execz .LBB131_28
.LBB131_34:
	s_waitcnt lgkmcnt(1)
	v_add_co_u32_e32 v0, vcc, 0x2000, v10
	s_nop 1
	v_addc_co_u32_e32 v1, vcc, 0, v11, vcc
	s_waitcnt lgkmcnt(0)
	global_store_dwordx2 v[0:1], v[8:9], off offset:2048
	s_endpgm
	.section	.rodata,"a",@progbits
	.p2align	6, 0x0
	.amdhsa_kernel _ZN7rocprim17ROCPRIM_400000_NS6detail17trampoline_kernelINS0_14default_configENS1_20scan_config_selectorIlEEZZNS1_9scan_implILNS1_25lookback_scan_determinismE0ELb0ELb0ES3_PlS8_lN6thrust23THRUST_200600_302600_NS4plusIvEElEEDaPvRmT3_T4_T5_mT6_P12ihipStream_tbENKUlT_T0_E_clISt17integral_constantIbLb1EESP_IbLb0EEEEDaSL_SM_EUlSL_E0_NS1_11comp_targetILNS1_3genE0ELNS1_11target_archE4294967295ELNS1_3gpuE0ELNS1_3repE0EEENS1_30default_config_static_selectorELNS0_4arch9wavefront6targetE1EEEvT1_
		.amdhsa_group_segment_fixed_size 12288
		.amdhsa_private_segment_fixed_size 0
		.amdhsa_kernarg_size 40
		.amdhsa_user_sgpr_count 2
		.amdhsa_user_sgpr_dispatch_ptr 0
		.amdhsa_user_sgpr_queue_ptr 0
		.amdhsa_user_sgpr_kernarg_segment_ptr 1
		.amdhsa_user_sgpr_dispatch_id 0
		.amdhsa_user_sgpr_kernarg_preload_length 0
		.amdhsa_user_sgpr_kernarg_preload_offset 0
		.amdhsa_user_sgpr_private_segment_size 0
		.amdhsa_uses_dynamic_stack 0
		.amdhsa_enable_private_segment 0
		.amdhsa_system_sgpr_workgroup_id_x 1
		.amdhsa_system_sgpr_workgroup_id_y 0
		.amdhsa_system_sgpr_workgroup_id_z 0
		.amdhsa_system_sgpr_workgroup_info 0
		.amdhsa_system_vgpr_workitem_id 0
		.amdhsa_next_free_vgpr 35
		.amdhsa_next_free_sgpr 20
		.amdhsa_accum_offset 36
		.amdhsa_reserve_vcc 1
		.amdhsa_float_round_mode_32 0
		.amdhsa_float_round_mode_16_64 0
		.amdhsa_float_denorm_mode_32 3
		.amdhsa_float_denorm_mode_16_64 3
		.amdhsa_dx10_clamp 1
		.amdhsa_ieee_mode 1
		.amdhsa_fp16_overflow 0
		.amdhsa_tg_split 0
		.amdhsa_exception_fp_ieee_invalid_op 0
		.amdhsa_exception_fp_denorm_src 0
		.amdhsa_exception_fp_ieee_div_zero 0
		.amdhsa_exception_fp_ieee_overflow 0
		.amdhsa_exception_fp_ieee_underflow 0
		.amdhsa_exception_fp_ieee_inexact 0
		.amdhsa_exception_int_div_zero 0
	.end_amdhsa_kernel
	.section	.text._ZN7rocprim17ROCPRIM_400000_NS6detail17trampoline_kernelINS0_14default_configENS1_20scan_config_selectorIlEEZZNS1_9scan_implILNS1_25lookback_scan_determinismE0ELb0ELb0ES3_PlS8_lN6thrust23THRUST_200600_302600_NS4plusIvEElEEDaPvRmT3_T4_T5_mT6_P12ihipStream_tbENKUlT_T0_E_clISt17integral_constantIbLb1EESP_IbLb0EEEEDaSL_SM_EUlSL_E0_NS1_11comp_targetILNS1_3genE0ELNS1_11target_archE4294967295ELNS1_3gpuE0ELNS1_3repE0EEENS1_30default_config_static_selectorELNS0_4arch9wavefront6targetE1EEEvT1_,"axG",@progbits,_ZN7rocprim17ROCPRIM_400000_NS6detail17trampoline_kernelINS0_14default_configENS1_20scan_config_selectorIlEEZZNS1_9scan_implILNS1_25lookback_scan_determinismE0ELb0ELb0ES3_PlS8_lN6thrust23THRUST_200600_302600_NS4plusIvEElEEDaPvRmT3_T4_T5_mT6_P12ihipStream_tbENKUlT_T0_E_clISt17integral_constantIbLb1EESP_IbLb0EEEEDaSL_SM_EUlSL_E0_NS1_11comp_targetILNS1_3genE0ELNS1_11target_archE4294967295ELNS1_3gpuE0ELNS1_3repE0EEENS1_30default_config_static_selectorELNS0_4arch9wavefront6targetE1EEEvT1_,comdat
.Lfunc_end131:
	.size	_ZN7rocprim17ROCPRIM_400000_NS6detail17trampoline_kernelINS0_14default_configENS1_20scan_config_selectorIlEEZZNS1_9scan_implILNS1_25lookback_scan_determinismE0ELb0ELb0ES3_PlS8_lN6thrust23THRUST_200600_302600_NS4plusIvEElEEDaPvRmT3_T4_T5_mT6_P12ihipStream_tbENKUlT_T0_E_clISt17integral_constantIbLb1EESP_IbLb0EEEEDaSL_SM_EUlSL_E0_NS1_11comp_targetILNS1_3genE0ELNS1_11target_archE4294967295ELNS1_3gpuE0ELNS1_3repE0EEENS1_30default_config_static_selectorELNS0_4arch9wavefront6targetE1EEEvT1_, .Lfunc_end131-_ZN7rocprim17ROCPRIM_400000_NS6detail17trampoline_kernelINS0_14default_configENS1_20scan_config_selectorIlEEZZNS1_9scan_implILNS1_25lookback_scan_determinismE0ELb0ELb0ES3_PlS8_lN6thrust23THRUST_200600_302600_NS4plusIvEElEEDaPvRmT3_T4_T5_mT6_P12ihipStream_tbENKUlT_T0_E_clISt17integral_constantIbLb1EESP_IbLb0EEEEDaSL_SM_EUlSL_E0_NS1_11comp_targetILNS1_3genE0ELNS1_11target_archE4294967295ELNS1_3gpuE0ELNS1_3repE0EEENS1_30default_config_static_selectorELNS0_4arch9wavefront6targetE1EEEvT1_
                                        ; -- End function
	.set _ZN7rocprim17ROCPRIM_400000_NS6detail17trampoline_kernelINS0_14default_configENS1_20scan_config_selectorIlEEZZNS1_9scan_implILNS1_25lookback_scan_determinismE0ELb0ELb0ES3_PlS8_lN6thrust23THRUST_200600_302600_NS4plusIvEElEEDaPvRmT3_T4_T5_mT6_P12ihipStream_tbENKUlT_T0_E_clISt17integral_constantIbLb1EESP_IbLb0EEEEDaSL_SM_EUlSL_E0_NS1_11comp_targetILNS1_3genE0ELNS1_11target_archE4294967295ELNS1_3gpuE0ELNS1_3repE0EEENS1_30default_config_static_selectorELNS0_4arch9wavefront6targetE1EEEvT1_.num_vgpr, 35
	.set _ZN7rocprim17ROCPRIM_400000_NS6detail17trampoline_kernelINS0_14default_configENS1_20scan_config_selectorIlEEZZNS1_9scan_implILNS1_25lookback_scan_determinismE0ELb0ELb0ES3_PlS8_lN6thrust23THRUST_200600_302600_NS4plusIvEElEEDaPvRmT3_T4_T5_mT6_P12ihipStream_tbENKUlT_T0_E_clISt17integral_constantIbLb1EESP_IbLb0EEEEDaSL_SM_EUlSL_E0_NS1_11comp_targetILNS1_3genE0ELNS1_11target_archE4294967295ELNS1_3gpuE0ELNS1_3repE0EEENS1_30default_config_static_selectorELNS0_4arch9wavefront6targetE1EEEvT1_.num_agpr, 0
	.set _ZN7rocprim17ROCPRIM_400000_NS6detail17trampoline_kernelINS0_14default_configENS1_20scan_config_selectorIlEEZZNS1_9scan_implILNS1_25lookback_scan_determinismE0ELb0ELb0ES3_PlS8_lN6thrust23THRUST_200600_302600_NS4plusIvEElEEDaPvRmT3_T4_T5_mT6_P12ihipStream_tbENKUlT_T0_E_clISt17integral_constantIbLb1EESP_IbLb0EEEEDaSL_SM_EUlSL_E0_NS1_11comp_targetILNS1_3genE0ELNS1_11target_archE4294967295ELNS1_3gpuE0ELNS1_3repE0EEENS1_30default_config_static_selectorELNS0_4arch9wavefront6targetE1EEEvT1_.numbered_sgpr, 20
	.set _ZN7rocprim17ROCPRIM_400000_NS6detail17trampoline_kernelINS0_14default_configENS1_20scan_config_selectorIlEEZZNS1_9scan_implILNS1_25lookback_scan_determinismE0ELb0ELb0ES3_PlS8_lN6thrust23THRUST_200600_302600_NS4plusIvEElEEDaPvRmT3_T4_T5_mT6_P12ihipStream_tbENKUlT_T0_E_clISt17integral_constantIbLb1EESP_IbLb0EEEEDaSL_SM_EUlSL_E0_NS1_11comp_targetILNS1_3genE0ELNS1_11target_archE4294967295ELNS1_3gpuE0ELNS1_3repE0EEENS1_30default_config_static_selectorELNS0_4arch9wavefront6targetE1EEEvT1_.num_named_barrier, 0
	.set _ZN7rocprim17ROCPRIM_400000_NS6detail17trampoline_kernelINS0_14default_configENS1_20scan_config_selectorIlEEZZNS1_9scan_implILNS1_25lookback_scan_determinismE0ELb0ELb0ES3_PlS8_lN6thrust23THRUST_200600_302600_NS4plusIvEElEEDaPvRmT3_T4_T5_mT6_P12ihipStream_tbENKUlT_T0_E_clISt17integral_constantIbLb1EESP_IbLb0EEEEDaSL_SM_EUlSL_E0_NS1_11comp_targetILNS1_3genE0ELNS1_11target_archE4294967295ELNS1_3gpuE0ELNS1_3repE0EEENS1_30default_config_static_selectorELNS0_4arch9wavefront6targetE1EEEvT1_.private_seg_size, 0
	.set _ZN7rocprim17ROCPRIM_400000_NS6detail17trampoline_kernelINS0_14default_configENS1_20scan_config_selectorIlEEZZNS1_9scan_implILNS1_25lookback_scan_determinismE0ELb0ELb0ES3_PlS8_lN6thrust23THRUST_200600_302600_NS4plusIvEElEEDaPvRmT3_T4_T5_mT6_P12ihipStream_tbENKUlT_T0_E_clISt17integral_constantIbLb1EESP_IbLb0EEEEDaSL_SM_EUlSL_E0_NS1_11comp_targetILNS1_3genE0ELNS1_11target_archE4294967295ELNS1_3gpuE0ELNS1_3repE0EEENS1_30default_config_static_selectorELNS0_4arch9wavefront6targetE1EEEvT1_.uses_vcc, 1
	.set _ZN7rocprim17ROCPRIM_400000_NS6detail17trampoline_kernelINS0_14default_configENS1_20scan_config_selectorIlEEZZNS1_9scan_implILNS1_25lookback_scan_determinismE0ELb0ELb0ES3_PlS8_lN6thrust23THRUST_200600_302600_NS4plusIvEElEEDaPvRmT3_T4_T5_mT6_P12ihipStream_tbENKUlT_T0_E_clISt17integral_constantIbLb1EESP_IbLb0EEEEDaSL_SM_EUlSL_E0_NS1_11comp_targetILNS1_3genE0ELNS1_11target_archE4294967295ELNS1_3gpuE0ELNS1_3repE0EEENS1_30default_config_static_selectorELNS0_4arch9wavefront6targetE1EEEvT1_.uses_flat_scratch, 0
	.set _ZN7rocprim17ROCPRIM_400000_NS6detail17trampoline_kernelINS0_14default_configENS1_20scan_config_selectorIlEEZZNS1_9scan_implILNS1_25lookback_scan_determinismE0ELb0ELb0ES3_PlS8_lN6thrust23THRUST_200600_302600_NS4plusIvEElEEDaPvRmT3_T4_T5_mT6_P12ihipStream_tbENKUlT_T0_E_clISt17integral_constantIbLb1EESP_IbLb0EEEEDaSL_SM_EUlSL_E0_NS1_11comp_targetILNS1_3genE0ELNS1_11target_archE4294967295ELNS1_3gpuE0ELNS1_3repE0EEENS1_30default_config_static_selectorELNS0_4arch9wavefront6targetE1EEEvT1_.has_dyn_sized_stack, 0
	.set _ZN7rocprim17ROCPRIM_400000_NS6detail17trampoline_kernelINS0_14default_configENS1_20scan_config_selectorIlEEZZNS1_9scan_implILNS1_25lookback_scan_determinismE0ELb0ELb0ES3_PlS8_lN6thrust23THRUST_200600_302600_NS4plusIvEElEEDaPvRmT3_T4_T5_mT6_P12ihipStream_tbENKUlT_T0_E_clISt17integral_constantIbLb1EESP_IbLb0EEEEDaSL_SM_EUlSL_E0_NS1_11comp_targetILNS1_3genE0ELNS1_11target_archE4294967295ELNS1_3gpuE0ELNS1_3repE0EEENS1_30default_config_static_selectorELNS0_4arch9wavefront6targetE1EEEvT1_.has_recursion, 0
	.set _ZN7rocprim17ROCPRIM_400000_NS6detail17trampoline_kernelINS0_14default_configENS1_20scan_config_selectorIlEEZZNS1_9scan_implILNS1_25lookback_scan_determinismE0ELb0ELb0ES3_PlS8_lN6thrust23THRUST_200600_302600_NS4plusIvEElEEDaPvRmT3_T4_T5_mT6_P12ihipStream_tbENKUlT_T0_E_clISt17integral_constantIbLb1EESP_IbLb0EEEEDaSL_SM_EUlSL_E0_NS1_11comp_targetILNS1_3genE0ELNS1_11target_archE4294967295ELNS1_3gpuE0ELNS1_3repE0EEENS1_30default_config_static_selectorELNS0_4arch9wavefront6targetE1EEEvT1_.has_indirect_call, 0
	.section	.AMDGPU.csdata,"",@progbits
; Kernel info:
; codeLenInByte = 1612
; TotalNumSgprs: 26
; NumVgprs: 35
; NumAgprs: 0
; TotalNumVgprs: 35
; ScratchSize: 0
; MemoryBound: 0
; FloatMode: 240
; IeeeMode: 1
; LDSByteSize: 12288 bytes/workgroup (compile time only)
; SGPRBlocks: 3
; VGPRBlocks: 4
; NumSGPRsForWavesPerEU: 26
; NumVGPRsForWavesPerEU: 35
; AccumOffset: 36
; Occupancy: 8
; WaveLimiterHint : 0
; COMPUTE_PGM_RSRC2:SCRATCH_EN: 0
; COMPUTE_PGM_RSRC2:USER_SGPR: 2
; COMPUTE_PGM_RSRC2:TRAP_HANDLER: 0
; COMPUTE_PGM_RSRC2:TGID_X_EN: 1
; COMPUTE_PGM_RSRC2:TGID_Y_EN: 0
; COMPUTE_PGM_RSRC2:TGID_Z_EN: 0
; COMPUTE_PGM_RSRC2:TIDIG_COMP_CNT: 0
; COMPUTE_PGM_RSRC3_GFX90A:ACCUM_OFFSET: 8
; COMPUTE_PGM_RSRC3_GFX90A:TG_SPLIT: 0
	.section	.text._ZN7rocprim17ROCPRIM_400000_NS6detail17trampoline_kernelINS0_14default_configENS1_20scan_config_selectorIlEEZZNS1_9scan_implILNS1_25lookback_scan_determinismE0ELb0ELb0ES3_PlS8_lN6thrust23THRUST_200600_302600_NS4plusIvEElEEDaPvRmT3_T4_T5_mT6_P12ihipStream_tbENKUlT_T0_E_clISt17integral_constantIbLb1EESP_IbLb0EEEEDaSL_SM_EUlSL_E0_NS1_11comp_targetILNS1_3genE5ELNS1_11target_archE942ELNS1_3gpuE9ELNS1_3repE0EEENS1_30default_config_static_selectorELNS0_4arch9wavefront6targetE1EEEvT1_,"axG",@progbits,_ZN7rocprim17ROCPRIM_400000_NS6detail17trampoline_kernelINS0_14default_configENS1_20scan_config_selectorIlEEZZNS1_9scan_implILNS1_25lookback_scan_determinismE0ELb0ELb0ES3_PlS8_lN6thrust23THRUST_200600_302600_NS4plusIvEElEEDaPvRmT3_T4_T5_mT6_P12ihipStream_tbENKUlT_T0_E_clISt17integral_constantIbLb1EESP_IbLb0EEEEDaSL_SM_EUlSL_E0_NS1_11comp_targetILNS1_3genE5ELNS1_11target_archE942ELNS1_3gpuE9ELNS1_3repE0EEENS1_30default_config_static_selectorELNS0_4arch9wavefront6targetE1EEEvT1_,comdat
	.protected	_ZN7rocprim17ROCPRIM_400000_NS6detail17trampoline_kernelINS0_14default_configENS1_20scan_config_selectorIlEEZZNS1_9scan_implILNS1_25lookback_scan_determinismE0ELb0ELb0ES3_PlS8_lN6thrust23THRUST_200600_302600_NS4plusIvEElEEDaPvRmT3_T4_T5_mT6_P12ihipStream_tbENKUlT_T0_E_clISt17integral_constantIbLb1EESP_IbLb0EEEEDaSL_SM_EUlSL_E0_NS1_11comp_targetILNS1_3genE5ELNS1_11target_archE942ELNS1_3gpuE9ELNS1_3repE0EEENS1_30default_config_static_selectorELNS0_4arch9wavefront6targetE1EEEvT1_ ; -- Begin function _ZN7rocprim17ROCPRIM_400000_NS6detail17trampoline_kernelINS0_14default_configENS1_20scan_config_selectorIlEEZZNS1_9scan_implILNS1_25lookback_scan_determinismE0ELb0ELb0ES3_PlS8_lN6thrust23THRUST_200600_302600_NS4plusIvEElEEDaPvRmT3_T4_T5_mT6_P12ihipStream_tbENKUlT_T0_E_clISt17integral_constantIbLb1EESP_IbLb0EEEEDaSL_SM_EUlSL_E0_NS1_11comp_targetILNS1_3genE5ELNS1_11target_archE942ELNS1_3gpuE9ELNS1_3repE0EEENS1_30default_config_static_selectorELNS0_4arch9wavefront6targetE1EEEvT1_
	.globl	_ZN7rocprim17ROCPRIM_400000_NS6detail17trampoline_kernelINS0_14default_configENS1_20scan_config_selectorIlEEZZNS1_9scan_implILNS1_25lookback_scan_determinismE0ELb0ELb0ES3_PlS8_lN6thrust23THRUST_200600_302600_NS4plusIvEElEEDaPvRmT3_T4_T5_mT6_P12ihipStream_tbENKUlT_T0_E_clISt17integral_constantIbLb1EESP_IbLb0EEEEDaSL_SM_EUlSL_E0_NS1_11comp_targetILNS1_3genE5ELNS1_11target_archE942ELNS1_3gpuE9ELNS1_3repE0EEENS1_30default_config_static_selectorELNS0_4arch9wavefront6targetE1EEEvT1_
	.p2align	8
	.type	_ZN7rocprim17ROCPRIM_400000_NS6detail17trampoline_kernelINS0_14default_configENS1_20scan_config_selectorIlEEZZNS1_9scan_implILNS1_25lookback_scan_determinismE0ELb0ELb0ES3_PlS8_lN6thrust23THRUST_200600_302600_NS4plusIvEElEEDaPvRmT3_T4_T5_mT6_P12ihipStream_tbENKUlT_T0_E_clISt17integral_constantIbLb1EESP_IbLb0EEEEDaSL_SM_EUlSL_E0_NS1_11comp_targetILNS1_3genE5ELNS1_11target_archE942ELNS1_3gpuE9ELNS1_3repE0EEENS1_30default_config_static_selectorELNS0_4arch9wavefront6targetE1EEEvT1_,@function
_ZN7rocprim17ROCPRIM_400000_NS6detail17trampoline_kernelINS0_14default_configENS1_20scan_config_selectorIlEEZZNS1_9scan_implILNS1_25lookback_scan_determinismE0ELb0ELb0ES3_PlS8_lN6thrust23THRUST_200600_302600_NS4plusIvEElEEDaPvRmT3_T4_T5_mT6_P12ihipStream_tbENKUlT_T0_E_clISt17integral_constantIbLb1EESP_IbLb0EEEEDaSL_SM_EUlSL_E0_NS1_11comp_targetILNS1_3genE5ELNS1_11target_archE942ELNS1_3gpuE9ELNS1_3repE0EEENS1_30default_config_static_selectorELNS0_4arch9wavefront6targetE1EEEvT1_: ; @_ZN7rocprim17ROCPRIM_400000_NS6detail17trampoline_kernelINS0_14default_configENS1_20scan_config_selectorIlEEZZNS1_9scan_implILNS1_25lookback_scan_determinismE0ELb0ELb0ES3_PlS8_lN6thrust23THRUST_200600_302600_NS4plusIvEElEEDaPvRmT3_T4_T5_mT6_P12ihipStream_tbENKUlT_T0_E_clISt17integral_constantIbLb1EESP_IbLb0EEEEDaSL_SM_EUlSL_E0_NS1_11comp_targetILNS1_3genE5ELNS1_11target_archE942ELNS1_3gpuE9ELNS1_3repE0EEENS1_30default_config_static_selectorELNS0_4arch9wavefront6targetE1EEEvT1_
; %bb.0:
	.section	.rodata,"a",@progbits
	.p2align	6, 0x0
	.amdhsa_kernel _ZN7rocprim17ROCPRIM_400000_NS6detail17trampoline_kernelINS0_14default_configENS1_20scan_config_selectorIlEEZZNS1_9scan_implILNS1_25lookback_scan_determinismE0ELb0ELb0ES3_PlS8_lN6thrust23THRUST_200600_302600_NS4plusIvEElEEDaPvRmT3_T4_T5_mT6_P12ihipStream_tbENKUlT_T0_E_clISt17integral_constantIbLb1EESP_IbLb0EEEEDaSL_SM_EUlSL_E0_NS1_11comp_targetILNS1_3genE5ELNS1_11target_archE942ELNS1_3gpuE9ELNS1_3repE0EEENS1_30default_config_static_selectorELNS0_4arch9wavefront6targetE1EEEvT1_
		.amdhsa_group_segment_fixed_size 0
		.amdhsa_private_segment_fixed_size 0
		.amdhsa_kernarg_size 40
		.amdhsa_user_sgpr_count 2
		.amdhsa_user_sgpr_dispatch_ptr 0
		.amdhsa_user_sgpr_queue_ptr 0
		.amdhsa_user_sgpr_kernarg_segment_ptr 1
		.amdhsa_user_sgpr_dispatch_id 0
		.amdhsa_user_sgpr_kernarg_preload_length 0
		.amdhsa_user_sgpr_kernarg_preload_offset 0
		.amdhsa_user_sgpr_private_segment_size 0
		.amdhsa_uses_dynamic_stack 0
		.amdhsa_enable_private_segment 0
		.amdhsa_system_sgpr_workgroup_id_x 1
		.amdhsa_system_sgpr_workgroup_id_y 0
		.amdhsa_system_sgpr_workgroup_id_z 0
		.amdhsa_system_sgpr_workgroup_info 0
		.amdhsa_system_vgpr_workitem_id 0
		.amdhsa_next_free_vgpr 1
		.amdhsa_next_free_sgpr 0
		.amdhsa_accum_offset 4
		.amdhsa_reserve_vcc 0
		.amdhsa_float_round_mode_32 0
		.amdhsa_float_round_mode_16_64 0
		.amdhsa_float_denorm_mode_32 3
		.amdhsa_float_denorm_mode_16_64 3
		.amdhsa_dx10_clamp 1
		.amdhsa_ieee_mode 1
		.amdhsa_fp16_overflow 0
		.amdhsa_tg_split 0
		.amdhsa_exception_fp_ieee_invalid_op 0
		.amdhsa_exception_fp_denorm_src 0
		.amdhsa_exception_fp_ieee_div_zero 0
		.amdhsa_exception_fp_ieee_overflow 0
		.amdhsa_exception_fp_ieee_underflow 0
		.amdhsa_exception_fp_ieee_inexact 0
		.amdhsa_exception_int_div_zero 0
	.end_amdhsa_kernel
	.section	.text._ZN7rocprim17ROCPRIM_400000_NS6detail17trampoline_kernelINS0_14default_configENS1_20scan_config_selectorIlEEZZNS1_9scan_implILNS1_25lookback_scan_determinismE0ELb0ELb0ES3_PlS8_lN6thrust23THRUST_200600_302600_NS4plusIvEElEEDaPvRmT3_T4_T5_mT6_P12ihipStream_tbENKUlT_T0_E_clISt17integral_constantIbLb1EESP_IbLb0EEEEDaSL_SM_EUlSL_E0_NS1_11comp_targetILNS1_3genE5ELNS1_11target_archE942ELNS1_3gpuE9ELNS1_3repE0EEENS1_30default_config_static_selectorELNS0_4arch9wavefront6targetE1EEEvT1_,"axG",@progbits,_ZN7rocprim17ROCPRIM_400000_NS6detail17trampoline_kernelINS0_14default_configENS1_20scan_config_selectorIlEEZZNS1_9scan_implILNS1_25lookback_scan_determinismE0ELb0ELb0ES3_PlS8_lN6thrust23THRUST_200600_302600_NS4plusIvEElEEDaPvRmT3_T4_T5_mT6_P12ihipStream_tbENKUlT_T0_E_clISt17integral_constantIbLb1EESP_IbLb0EEEEDaSL_SM_EUlSL_E0_NS1_11comp_targetILNS1_3genE5ELNS1_11target_archE942ELNS1_3gpuE9ELNS1_3repE0EEENS1_30default_config_static_selectorELNS0_4arch9wavefront6targetE1EEEvT1_,comdat
.Lfunc_end132:
	.size	_ZN7rocprim17ROCPRIM_400000_NS6detail17trampoline_kernelINS0_14default_configENS1_20scan_config_selectorIlEEZZNS1_9scan_implILNS1_25lookback_scan_determinismE0ELb0ELb0ES3_PlS8_lN6thrust23THRUST_200600_302600_NS4plusIvEElEEDaPvRmT3_T4_T5_mT6_P12ihipStream_tbENKUlT_T0_E_clISt17integral_constantIbLb1EESP_IbLb0EEEEDaSL_SM_EUlSL_E0_NS1_11comp_targetILNS1_3genE5ELNS1_11target_archE942ELNS1_3gpuE9ELNS1_3repE0EEENS1_30default_config_static_selectorELNS0_4arch9wavefront6targetE1EEEvT1_, .Lfunc_end132-_ZN7rocprim17ROCPRIM_400000_NS6detail17trampoline_kernelINS0_14default_configENS1_20scan_config_selectorIlEEZZNS1_9scan_implILNS1_25lookback_scan_determinismE0ELb0ELb0ES3_PlS8_lN6thrust23THRUST_200600_302600_NS4plusIvEElEEDaPvRmT3_T4_T5_mT6_P12ihipStream_tbENKUlT_T0_E_clISt17integral_constantIbLb1EESP_IbLb0EEEEDaSL_SM_EUlSL_E0_NS1_11comp_targetILNS1_3genE5ELNS1_11target_archE942ELNS1_3gpuE9ELNS1_3repE0EEENS1_30default_config_static_selectorELNS0_4arch9wavefront6targetE1EEEvT1_
                                        ; -- End function
	.set _ZN7rocprim17ROCPRIM_400000_NS6detail17trampoline_kernelINS0_14default_configENS1_20scan_config_selectorIlEEZZNS1_9scan_implILNS1_25lookback_scan_determinismE0ELb0ELb0ES3_PlS8_lN6thrust23THRUST_200600_302600_NS4plusIvEElEEDaPvRmT3_T4_T5_mT6_P12ihipStream_tbENKUlT_T0_E_clISt17integral_constantIbLb1EESP_IbLb0EEEEDaSL_SM_EUlSL_E0_NS1_11comp_targetILNS1_3genE5ELNS1_11target_archE942ELNS1_3gpuE9ELNS1_3repE0EEENS1_30default_config_static_selectorELNS0_4arch9wavefront6targetE1EEEvT1_.num_vgpr, 0
	.set _ZN7rocprim17ROCPRIM_400000_NS6detail17trampoline_kernelINS0_14default_configENS1_20scan_config_selectorIlEEZZNS1_9scan_implILNS1_25lookback_scan_determinismE0ELb0ELb0ES3_PlS8_lN6thrust23THRUST_200600_302600_NS4plusIvEElEEDaPvRmT3_T4_T5_mT6_P12ihipStream_tbENKUlT_T0_E_clISt17integral_constantIbLb1EESP_IbLb0EEEEDaSL_SM_EUlSL_E0_NS1_11comp_targetILNS1_3genE5ELNS1_11target_archE942ELNS1_3gpuE9ELNS1_3repE0EEENS1_30default_config_static_selectorELNS0_4arch9wavefront6targetE1EEEvT1_.num_agpr, 0
	.set _ZN7rocprim17ROCPRIM_400000_NS6detail17trampoline_kernelINS0_14default_configENS1_20scan_config_selectorIlEEZZNS1_9scan_implILNS1_25lookback_scan_determinismE0ELb0ELb0ES3_PlS8_lN6thrust23THRUST_200600_302600_NS4plusIvEElEEDaPvRmT3_T4_T5_mT6_P12ihipStream_tbENKUlT_T0_E_clISt17integral_constantIbLb1EESP_IbLb0EEEEDaSL_SM_EUlSL_E0_NS1_11comp_targetILNS1_3genE5ELNS1_11target_archE942ELNS1_3gpuE9ELNS1_3repE0EEENS1_30default_config_static_selectorELNS0_4arch9wavefront6targetE1EEEvT1_.numbered_sgpr, 0
	.set _ZN7rocprim17ROCPRIM_400000_NS6detail17trampoline_kernelINS0_14default_configENS1_20scan_config_selectorIlEEZZNS1_9scan_implILNS1_25lookback_scan_determinismE0ELb0ELb0ES3_PlS8_lN6thrust23THRUST_200600_302600_NS4plusIvEElEEDaPvRmT3_T4_T5_mT6_P12ihipStream_tbENKUlT_T0_E_clISt17integral_constantIbLb1EESP_IbLb0EEEEDaSL_SM_EUlSL_E0_NS1_11comp_targetILNS1_3genE5ELNS1_11target_archE942ELNS1_3gpuE9ELNS1_3repE0EEENS1_30default_config_static_selectorELNS0_4arch9wavefront6targetE1EEEvT1_.num_named_barrier, 0
	.set _ZN7rocprim17ROCPRIM_400000_NS6detail17trampoline_kernelINS0_14default_configENS1_20scan_config_selectorIlEEZZNS1_9scan_implILNS1_25lookback_scan_determinismE0ELb0ELb0ES3_PlS8_lN6thrust23THRUST_200600_302600_NS4plusIvEElEEDaPvRmT3_T4_T5_mT6_P12ihipStream_tbENKUlT_T0_E_clISt17integral_constantIbLb1EESP_IbLb0EEEEDaSL_SM_EUlSL_E0_NS1_11comp_targetILNS1_3genE5ELNS1_11target_archE942ELNS1_3gpuE9ELNS1_3repE0EEENS1_30default_config_static_selectorELNS0_4arch9wavefront6targetE1EEEvT1_.private_seg_size, 0
	.set _ZN7rocprim17ROCPRIM_400000_NS6detail17trampoline_kernelINS0_14default_configENS1_20scan_config_selectorIlEEZZNS1_9scan_implILNS1_25lookback_scan_determinismE0ELb0ELb0ES3_PlS8_lN6thrust23THRUST_200600_302600_NS4plusIvEElEEDaPvRmT3_T4_T5_mT6_P12ihipStream_tbENKUlT_T0_E_clISt17integral_constantIbLb1EESP_IbLb0EEEEDaSL_SM_EUlSL_E0_NS1_11comp_targetILNS1_3genE5ELNS1_11target_archE942ELNS1_3gpuE9ELNS1_3repE0EEENS1_30default_config_static_selectorELNS0_4arch9wavefront6targetE1EEEvT1_.uses_vcc, 0
	.set _ZN7rocprim17ROCPRIM_400000_NS6detail17trampoline_kernelINS0_14default_configENS1_20scan_config_selectorIlEEZZNS1_9scan_implILNS1_25lookback_scan_determinismE0ELb0ELb0ES3_PlS8_lN6thrust23THRUST_200600_302600_NS4plusIvEElEEDaPvRmT3_T4_T5_mT6_P12ihipStream_tbENKUlT_T0_E_clISt17integral_constantIbLb1EESP_IbLb0EEEEDaSL_SM_EUlSL_E0_NS1_11comp_targetILNS1_3genE5ELNS1_11target_archE942ELNS1_3gpuE9ELNS1_3repE0EEENS1_30default_config_static_selectorELNS0_4arch9wavefront6targetE1EEEvT1_.uses_flat_scratch, 0
	.set _ZN7rocprim17ROCPRIM_400000_NS6detail17trampoline_kernelINS0_14default_configENS1_20scan_config_selectorIlEEZZNS1_9scan_implILNS1_25lookback_scan_determinismE0ELb0ELb0ES3_PlS8_lN6thrust23THRUST_200600_302600_NS4plusIvEElEEDaPvRmT3_T4_T5_mT6_P12ihipStream_tbENKUlT_T0_E_clISt17integral_constantIbLb1EESP_IbLb0EEEEDaSL_SM_EUlSL_E0_NS1_11comp_targetILNS1_3genE5ELNS1_11target_archE942ELNS1_3gpuE9ELNS1_3repE0EEENS1_30default_config_static_selectorELNS0_4arch9wavefront6targetE1EEEvT1_.has_dyn_sized_stack, 0
	.set _ZN7rocprim17ROCPRIM_400000_NS6detail17trampoline_kernelINS0_14default_configENS1_20scan_config_selectorIlEEZZNS1_9scan_implILNS1_25lookback_scan_determinismE0ELb0ELb0ES3_PlS8_lN6thrust23THRUST_200600_302600_NS4plusIvEElEEDaPvRmT3_T4_T5_mT6_P12ihipStream_tbENKUlT_T0_E_clISt17integral_constantIbLb1EESP_IbLb0EEEEDaSL_SM_EUlSL_E0_NS1_11comp_targetILNS1_3genE5ELNS1_11target_archE942ELNS1_3gpuE9ELNS1_3repE0EEENS1_30default_config_static_selectorELNS0_4arch9wavefront6targetE1EEEvT1_.has_recursion, 0
	.set _ZN7rocprim17ROCPRIM_400000_NS6detail17trampoline_kernelINS0_14default_configENS1_20scan_config_selectorIlEEZZNS1_9scan_implILNS1_25lookback_scan_determinismE0ELb0ELb0ES3_PlS8_lN6thrust23THRUST_200600_302600_NS4plusIvEElEEDaPvRmT3_T4_T5_mT6_P12ihipStream_tbENKUlT_T0_E_clISt17integral_constantIbLb1EESP_IbLb0EEEEDaSL_SM_EUlSL_E0_NS1_11comp_targetILNS1_3genE5ELNS1_11target_archE942ELNS1_3gpuE9ELNS1_3repE0EEENS1_30default_config_static_selectorELNS0_4arch9wavefront6targetE1EEEvT1_.has_indirect_call, 0
	.section	.AMDGPU.csdata,"",@progbits
; Kernel info:
; codeLenInByte = 0
; TotalNumSgprs: 6
; NumVgprs: 0
; NumAgprs: 0
; TotalNumVgprs: 0
; ScratchSize: 0
; MemoryBound: 0
; FloatMode: 240
; IeeeMode: 1
; LDSByteSize: 0 bytes/workgroup (compile time only)
; SGPRBlocks: 0
; VGPRBlocks: 0
; NumSGPRsForWavesPerEU: 6
; NumVGPRsForWavesPerEU: 1
; AccumOffset: 4
; Occupancy: 8
; WaveLimiterHint : 0
; COMPUTE_PGM_RSRC2:SCRATCH_EN: 0
; COMPUTE_PGM_RSRC2:USER_SGPR: 2
; COMPUTE_PGM_RSRC2:TRAP_HANDLER: 0
; COMPUTE_PGM_RSRC2:TGID_X_EN: 1
; COMPUTE_PGM_RSRC2:TGID_Y_EN: 0
; COMPUTE_PGM_RSRC2:TGID_Z_EN: 0
; COMPUTE_PGM_RSRC2:TIDIG_COMP_CNT: 0
; COMPUTE_PGM_RSRC3_GFX90A:ACCUM_OFFSET: 0
; COMPUTE_PGM_RSRC3_GFX90A:TG_SPLIT: 0
	.section	.text._ZN7rocprim17ROCPRIM_400000_NS6detail17trampoline_kernelINS0_14default_configENS1_20scan_config_selectorIlEEZZNS1_9scan_implILNS1_25lookback_scan_determinismE0ELb0ELb0ES3_PlS8_lN6thrust23THRUST_200600_302600_NS4plusIvEElEEDaPvRmT3_T4_T5_mT6_P12ihipStream_tbENKUlT_T0_E_clISt17integral_constantIbLb1EESP_IbLb0EEEEDaSL_SM_EUlSL_E0_NS1_11comp_targetILNS1_3genE4ELNS1_11target_archE910ELNS1_3gpuE8ELNS1_3repE0EEENS1_30default_config_static_selectorELNS0_4arch9wavefront6targetE1EEEvT1_,"axG",@progbits,_ZN7rocprim17ROCPRIM_400000_NS6detail17trampoline_kernelINS0_14default_configENS1_20scan_config_selectorIlEEZZNS1_9scan_implILNS1_25lookback_scan_determinismE0ELb0ELb0ES3_PlS8_lN6thrust23THRUST_200600_302600_NS4plusIvEElEEDaPvRmT3_T4_T5_mT6_P12ihipStream_tbENKUlT_T0_E_clISt17integral_constantIbLb1EESP_IbLb0EEEEDaSL_SM_EUlSL_E0_NS1_11comp_targetILNS1_3genE4ELNS1_11target_archE910ELNS1_3gpuE8ELNS1_3repE0EEENS1_30default_config_static_selectorELNS0_4arch9wavefront6targetE1EEEvT1_,comdat
	.protected	_ZN7rocprim17ROCPRIM_400000_NS6detail17trampoline_kernelINS0_14default_configENS1_20scan_config_selectorIlEEZZNS1_9scan_implILNS1_25lookback_scan_determinismE0ELb0ELb0ES3_PlS8_lN6thrust23THRUST_200600_302600_NS4plusIvEElEEDaPvRmT3_T4_T5_mT6_P12ihipStream_tbENKUlT_T0_E_clISt17integral_constantIbLb1EESP_IbLb0EEEEDaSL_SM_EUlSL_E0_NS1_11comp_targetILNS1_3genE4ELNS1_11target_archE910ELNS1_3gpuE8ELNS1_3repE0EEENS1_30default_config_static_selectorELNS0_4arch9wavefront6targetE1EEEvT1_ ; -- Begin function _ZN7rocprim17ROCPRIM_400000_NS6detail17trampoline_kernelINS0_14default_configENS1_20scan_config_selectorIlEEZZNS1_9scan_implILNS1_25lookback_scan_determinismE0ELb0ELb0ES3_PlS8_lN6thrust23THRUST_200600_302600_NS4plusIvEElEEDaPvRmT3_T4_T5_mT6_P12ihipStream_tbENKUlT_T0_E_clISt17integral_constantIbLb1EESP_IbLb0EEEEDaSL_SM_EUlSL_E0_NS1_11comp_targetILNS1_3genE4ELNS1_11target_archE910ELNS1_3gpuE8ELNS1_3repE0EEENS1_30default_config_static_selectorELNS0_4arch9wavefront6targetE1EEEvT1_
	.globl	_ZN7rocprim17ROCPRIM_400000_NS6detail17trampoline_kernelINS0_14default_configENS1_20scan_config_selectorIlEEZZNS1_9scan_implILNS1_25lookback_scan_determinismE0ELb0ELb0ES3_PlS8_lN6thrust23THRUST_200600_302600_NS4plusIvEElEEDaPvRmT3_T4_T5_mT6_P12ihipStream_tbENKUlT_T0_E_clISt17integral_constantIbLb1EESP_IbLb0EEEEDaSL_SM_EUlSL_E0_NS1_11comp_targetILNS1_3genE4ELNS1_11target_archE910ELNS1_3gpuE8ELNS1_3repE0EEENS1_30default_config_static_selectorELNS0_4arch9wavefront6targetE1EEEvT1_
	.p2align	8
	.type	_ZN7rocprim17ROCPRIM_400000_NS6detail17trampoline_kernelINS0_14default_configENS1_20scan_config_selectorIlEEZZNS1_9scan_implILNS1_25lookback_scan_determinismE0ELb0ELb0ES3_PlS8_lN6thrust23THRUST_200600_302600_NS4plusIvEElEEDaPvRmT3_T4_T5_mT6_P12ihipStream_tbENKUlT_T0_E_clISt17integral_constantIbLb1EESP_IbLb0EEEEDaSL_SM_EUlSL_E0_NS1_11comp_targetILNS1_3genE4ELNS1_11target_archE910ELNS1_3gpuE8ELNS1_3repE0EEENS1_30default_config_static_selectorELNS0_4arch9wavefront6targetE1EEEvT1_,@function
_ZN7rocprim17ROCPRIM_400000_NS6detail17trampoline_kernelINS0_14default_configENS1_20scan_config_selectorIlEEZZNS1_9scan_implILNS1_25lookback_scan_determinismE0ELb0ELb0ES3_PlS8_lN6thrust23THRUST_200600_302600_NS4plusIvEElEEDaPvRmT3_T4_T5_mT6_P12ihipStream_tbENKUlT_T0_E_clISt17integral_constantIbLb1EESP_IbLb0EEEEDaSL_SM_EUlSL_E0_NS1_11comp_targetILNS1_3genE4ELNS1_11target_archE910ELNS1_3gpuE8ELNS1_3repE0EEENS1_30default_config_static_selectorELNS0_4arch9wavefront6targetE1EEEvT1_: ; @_ZN7rocprim17ROCPRIM_400000_NS6detail17trampoline_kernelINS0_14default_configENS1_20scan_config_selectorIlEEZZNS1_9scan_implILNS1_25lookback_scan_determinismE0ELb0ELb0ES3_PlS8_lN6thrust23THRUST_200600_302600_NS4plusIvEElEEDaPvRmT3_T4_T5_mT6_P12ihipStream_tbENKUlT_T0_E_clISt17integral_constantIbLb1EESP_IbLb0EEEEDaSL_SM_EUlSL_E0_NS1_11comp_targetILNS1_3genE4ELNS1_11target_archE910ELNS1_3gpuE8ELNS1_3repE0EEENS1_30default_config_static_selectorELNS0_4arch9wavefront6targetE1EEEvT1_
; %bb.0:
	.section	.rodata,"a",@progbits
	.p2align	6, 0x0
	.amdhsa_kernel _ZN7rocprim17ROCPRIM_400000_NS6detail17trampoline_kernelINS0_14default_configENS1_20scan_config_selectorIlEEZZNS1_9scan_implILNS1_25lookback_scan_determinismE0ELb0ELb0ES3_PlS8_lN6thrust23THRUST_200600_302600_NS4plusIvEElEEDaPvRmT3_T4_T5_mT6_P12ihipStream_tbENKUlT_T0_E_clISt17integral_constantIbLb1EESP_IbLb0EEEEDaSL_SM_EUlSL_E0_NS1_11comp_targetILNS1_3genE4ELNS1_11target_archE910ELNS1_3gpuE8ELNS1_3repE0EEENS1_30default_config_static_selectorELNS0_4arch9wavefront6targetE1EEEvT1_
		.amdhsa_group_segment_fixed_size 0
		.amdhsa_private_segment_fixed_size 0
		.amdhsa_kernarg_size 40
		.amdhsa_user_sgpr_count 2
		.amdhsa_user_sgpr_dispatch_ptr 0
		.amdhsa_user_sgpr_queue_ptr 0
		.amdhsa_user_sgpr_kernarg_segment_ptr 1
		.amdhsa_user_sgpr_dispatch_id 0
		.amdhsa_user_sgpr_kernarg_preload_length 0
		.amdhsa_user_sgpr_kernarg_preload_offset 0
		.amdhsa_user_sgpr_private_segment_size 0
		.amdhsa_uses_dynamic_stack 0
		.amdhsa_enable_private_segment 0
		.amdhsa_system_sgpr_workgroup_id_x 1
		.amdhsa_system_sgpr_workgroup_id_y 0
		.amdhsa_system_sgpr_workgroup_id_z 0
		.amdhsa_system_sgpr_workgroup_info 0
		.amdhsa_system_vgpr_workitem_id 0
		.amdhsa_next_free_vgpr 1
		.amdhsa_next_free_sgpr 0
		.amdhsa_accum_offset 4
		.amdhsa_reserve_vcc 0
		.amdhsa_float_round_mode_32 0
		.amdhsa_float_round_mode_16_64 0
		.amdhsa_float_denorm_mode_32 3
		.amdhsa_float_denorm_mode_16_64 3
		.amdhsa_dx10_clamp 1
		.amdhsa_ieee_mode 1
		.amdhsa_fp16_overflow 0
		.amdhsa_tg_split 0
		.amdhsa_exception_fp_ieee_invalid_op 0
		.amdhsa_exception_fp_denorm_src 0
		.amdhsa_exception_fp_ieee_div_zero 0
		.amdhsa_exception_fp_ieee_overflow 0
		.amdhsa_exception_fp_ieee_underflow 0
		.amdhsa_exception_fp_ieee_inexact 0
		.amdhsa_exception_int_div_zero 0
	.end_amdhsa_kernel
	.section	.text._ZN7rocprim17ROCPRIM_400000_NS6detail17trampoline_kernelINS0_14default_configENS1_20scan_config_selectorIlEEZZNS1_9scan_implILNS1_25lookback_scan_determinismE0ELb0ELb0ES3_PlS8_lN6thrust23THRUST_200600_302600_NS4plusIvEElEEDaPvRmT3_T4_T5_mT6_P12ihipStream_tbENKUlT_T0_E_clISt17integral_constantIbLb1EESP_IbLb0EEEEDaSL_SM_EUlSL_E0_NS1_11comp_targetILNS1_3genE4ELNS1_11target_archE910ELNS1_3gpuE8ELNS1_3repE0EEENS1_30default_config_static_selectorELNS0_4arch9wavefront6targetE1EEEvT1_,"axG",@progbits,_ZN7rocprim17ROCPRIM_400000_NS6detail17trampoline_kernelINS0_14default_configENS1_20scan_config_selectorIlEEZZNS1_9scan_implILNS1_25lookback_scan_determinismE0ELb0ELb0ES3_PlS8_lN6thrust23THRUST_200600_302600_NS4plusIvEElEEDaPvRmT3_T4_T5_mT6_P12ihipStream_tbENKUlT_T0_E_clISt17integral_constantIbLb1EESP_IbLb0EEEEDaSL_SM_EUlSL_E0_NS1_11comp_targetILNS1_3genE4ELNS1_11target_archE910ELNS1_3gpuE8ELNS1_3repE0EEENS1_30default_config_static_selectorELNS0_4arch9wavefront6targetE1EEEvT1_,comdat
.Lfunc_end133:
	.size	_ZN7rocprim17ROCPRIM_400000_NS6detail17trampoline_kernelINS0_14default_configENS1_20scan_config_selectorIlEEZZNS1_9scan_implILNS1_25lookback_scan_determinismE0ELb0ELb0ES3_PlS8_lN6thrust23THRUST_200600_302600_NS4plusIvEElEEDaPvRmT3_T4_T5_mT6_P12ihipStream_tbENKUlT_T0_E_clISt17integral_constantIbLb1EESP_IbLb0EEEEDaSL_SM_EUlSL_E0_NS1_11comp_targetILNS1_3genE4ELNS1_11target_archE910ELNS1_3gpuE8ELNS1_3repE0EEENS1_30default_config_static_selectorELNS0_4arch9wavefront6targetE1EEEvT1_, .Lfunc_end133-_ZN7rocprim17ROCPRIM_400000_NS6detail17trampoline_kernelINS0_14default_configENS1_20scan_config_selectorIlEEZZNS1_9scan_implILNS1_25lookback_scan_determinismE0ELb0ELb0ES3_PlS8_lN6thrust23THRUST_200600_302600_NS4plusIvEElEEDaPvRmT3_T4_T5_mT6_P12ihipStream_tbENKUlT_T0_E_clISt17integral_constantIbLb1EESP_IbLb0EEEEDaSL_SM_EUlSL_E0_NS1_11comp_targetILNS1_3genE4ELNS1_11target_archE910ELNS1_3gpuE8ELNS1_3repE0EEENS1_30default_config_static_selectorELNS0_4arch9wavefront6targetE1EEEvT1_
                                        ; -- End function
	.set _ZN7rocprim17ROCPRIM_400000_NS6detail17trampoline_kernelINS0_14default_configENS1_20scan_config_selectorIlEEZZNS1_9scan_implILNS1_25lookback_scan_determinismE0ELb0ELb0ES3_PlS8_lN6thrust23THRUST_200600_302600_NS4plusIvEElEEDaPvRmT3_T4_T5_mT6_P12ihipStream_tbENKUlT_T0_E_clISt17integral_constantIbLb1EESP_IbLb0EEEEDaSL_SM_EUlSL_E0_NS1_11comp_targetILNS1_3genE4ELNS1_11target_archE910ELNS1_3gpuE8ELNS1_3repE0EEENS1_30default_config_static_selectorELNS0_4arch9wavefront6targetE1EEEvT1_.num_vgpr, 0
	.set _ZN7rocprim17ROCPRIM_400000_NS6detail17trampoline_kernelINS0_14default_configENS1_20scan_config_selectorIlEEZZNS1_9scan_implILNS1_25lookback_scan_determinismE0ELb0ELb0ES3_PlS8_lN6thrust23THRUST_200600_302600_NS4plusIvEElEEDaPvRmT3_T4_T5_mT6_P12ihipStream_tbENKUlT_T0_E_clISt17integral_constantIbLb1EESP_IbLb0EEEEDaSL_SM_EUlSL_E0_NS1_11comp_targetILNS1_3genE4ELNS1_11target_archE910ELNS1_3gpuE8ELNS1_3repE0EEENS1_30default_config_static_selectorELNS0_4arch9wavefront6targetE1EEEvT1_.num_agpr, 0
	.set _ZN7rocprim17ROCPRIM_400000_NS6detail17trampoline_kernelINS0_14default_configENS1_20scan_config_selectorIlEEZZNS1_9scan_implILNS1_25lookback_scan_determinismE0ELb0ELb0ES3_PlS8_lN6thrust23THRUST_200600_302600_NS4plusIvEElEEDaPvRmT3_T4_T5_mT6_P12ihipStream_tbENKUlT_T0_E_clISt17integral_constantIbLb1EESP_IbLb0EEEEDaSL_SM_EUlSL_E0_NS1_11comp_targetILNS1_3genE4ELNS1_11target_archE910ELNS1_3gpuE8ELNS1_3repE0EEENS1_30default_config_static_selectorELNS0_4arch9wavefront6targetE1EEEvT1_.numbered_sgpr, 0
	.set _ZN7rocprim17ROCPRIM_400000_NS6detail17trampoline_kernelINS0_14default_configENS1_20scan_config_selectorIlEEZZNS1_9scan_implILNS1_25lookback_scan_determinismE0ELb0ELb0ES3_PlS8_lN6thrust23THRUST_200600_302600_NS4plusIvEElEEDaPvRmT3_T4_T5_mT6_P12ihipStream_tbENKUlT_T0_E_clISt17integral_constantIbLb1EESP_IbLb0EEEEDaSL_SM_EUlSL_E0_NS1_11comp_targetILNS1_3genE4ELNS1_11target_archE910ELNS1_3gpuE8ELNS1_3repE0EEENS1_30default_config_static_selectorELNS0_4arch9wavefront6targetE1EEEvT1_.num_named_barrier, 0
	.set _ZN7rocprim17ROCPRIM_400000_NS6detail17trampoline_kernelINS0_14default_configENS1_20scan_config_selectorIlEEZZNS1_9scan_implILNS1_25lookback_scan_determinismE0ELb0ELb0ES3_PlS8_lN6thrust23THRUST_200600_302600_NS4plusIvEElEEDaPvRmT3_T4_T5_mT6_P12ihipStream_tbENKUlT_T0_E_clISt17integral_constantIbLb1EESP_IbLb0EEEEDaSL_SM_EUlSL_E0_NS1_11comp_targetILNS1_3genE4ELNS1_11target_archE910ELNS1_3gpuE8ELNS1_3repE0EEENS1_30default_config_static_selectorELNS0_4arch9wavefront6targetE1EEEvT1_.private_seg_size, 0
	.set _ZN7rocprim17ROCPRIM_400000_NS6detail17trampoline_kernelINS0_14default_configENS1_20scan_config_selectorIlEEZZNS1_9scan_implILNS1_25lookback_scan_determinismE0ELb0ELb0ES3_PlS8_lN6thrust23THRUST_200600_302600_NS4plusIvEElEEDaPvRmT3_T4_T5_mT6_P12ihipStream_tbENKUlT_T0_E_clISt17integral_constantIbLb1EESP_IbLb0EEEEDaSL_SM_EUlSL_E0_NS1_11comp_targetILNS1_3genE4ELNS1_11target_archE910ELNS1_3gpuE8ELNS1_3repE0EEENS1_30default_config_static_selectorELNS0_4arch9wavefront6targetE1EEEvT1_.uses_vcc, 0
	.set _ZN7rocprim17ROCPRIM_400000_NS6detail17trampoline_kernelINS0_14default_configENS1_20scan_config_selectorIlEEZZNS1_9scan_implILNS1_25lookback_scan_determinismE0ELb0ELb0ES3_PlS8_lN6thrust23THRUST_200600_302600_NS4plusIvEElEEDaPvRmT3_T4_T5_mT6_P12ihipStream_tbENKUlT_T0_E_clISt17integral_constantIbLb1EESP_IbLb0EEEEDaSL_SM_EUlSL_E0_NS1_11comp_targetILNS1_3genE4ELNS1_11target_archE910ELNS1_3gpuE8ELNS1_3repE0EEENS1_30default_config_static_selectorELNS0_4arch9wavefront6targetE1EEEvT1_.uses_flat_scratch, 0
	.set _ZN7rocprim17ROCPRIM_400000_NS6detail17trampoline_kernelINS0_14default_configENS1_20scan_config_selectorIlEEZZNS1_9scan_implILNS1_25lookback_scan_determinismE0ELb0ELb0ES3_PlS8_lN6thrust23THRUST_200600_302600_NS4plusIvEElEEDaPvRmT3_T4_T5_mT6_P12ihipStream_tbENKUlT_T0_E_clISt17integral_constantIbLb1EESP_IbLb0EEEEDaSL_SM_EUlSL_E0_NS1_11comp_targetILNS1_3genE4ELNS1_11target_archE910ELNS1_3gpuE8ELNS1_3repE0EEENS1_30default_config_static_selectorELNS0_4arch9wavefront6targetE1EEEvT1_.has_dyn_sized_stack, 0
	.set _ZN7rocprim17ROCPRIM_400000_NS6detail17trampoline_kernelINS0_14default_configENS1_20scan_config_selectorIlEEZZNS1_9scan_implILNS1_25lookback_scan_determinismE0ELb0ELb0ES3_PlS8_lN6thrust23THRUST_200600_302600_NS4plusIvEElEEDaPvRmT3_T4_T5_mT6_P12ihipStream_tbENKUlT_T0_E_clISt17integral_constantIbLb1EESP_IbLb0EEEEDaSL_SM_EUlSL_E0_NS1_11comp_targetILNS1_3genE4ELNS1_11target_archE910ELNS1_3gpuE8ELNS1_3repE0EEENS1_30default_config_static_selectorELNS0_4arch9wavefront6targetE1EEEvT1_.has_recursion, 0
	.set _ZN7rocprim17ROCPRIM_400000_NS6detail17trampoline_kernelINS0_14default_configENS1_20scan_config_selectorIlEEZZNS1_9scan_implILNS1_25lookback_scan_determinismE0ELb0ELb0ES3_PlS8_lN6thrust23THRUST_200600_302600_NS4plusIvEElEEDaPvRmT3_T4_T5_mT6_P12ihipStream_tbENKUlT_T0_E_clISt17integral_constantIbLb1EESP_IbLb0EEEEDaSL_SM_EUlSL_E0_NS1_11comp_targetILNS1_3genE4ELNS1_11target_archE910ELNS1_3gpuE8ELNS1_3repE0EEENS1_30default_config_static_selectorELNS0_4arch9wavefront6targetE1EEEvT1_.has_indirect_call, 0
	.section	.AMDGPU.csdata,"",@progbits
; Kernel info:
; codeLenInByte = 0
; TotalNumSgprs: 6
; NumVgprs: 0
; NumAgprs: 0
; TotalNumVgprs: 0
; ScratchSize: 0
; MemoryBound: 0
; FloatMode: 240
; IeeeMode: 1
; LDSByteSize: 0 bytes/workgroup (compile time only)
; SGPRBlocks: 0
; VGPRBlocks: 0
; NumSGPRsForWavesPerEU: 6
; NumVGPRsForWavesPerEU: 1
; AccumOffset: 4
; Occupancy: 8
; WaveLimiterHint : 0
; COMPUTE_PGM_RSRC2:SCRATCH_EN: 0
; COMPUTE_PGM_RSRC2:USER_SGPR: 2
; COMPUTE_PGM_RSRC2:TRAP_HANDLER: 0
; COMPUTE_PGM_RSRC2:TGID_X_EN: 1
; COMPUTE_PGM_RSRC2:TGID_Y_EN: 0
; COMPUTE_PGM_RSRC2:TGID_Z_EN: 0
; COMPUTE_PGM_RSRC2:TIDIG_COMP_CNT: 0
; COMPUTE_PGM_RSRC3_GFX90A:ACCUM_OFFSET: 0
; COMPUTE_PGM_RSRC3_GFX90A:TG_SPLIT: 0
	.section	.text._ZN7rocprim17ROCPRIM_400000_NS6detail17trampoline_kernelINS0_14default_configENS1_20scan_config_selectorIlEEZZNS1_9scan_implILNS1_25lookback_scan_determinismE0ELb0ELb0ES3_PlS8_lN6thrust23THRUST_200600_302600_NS4plusIvEElEEDaPvRmT3_T4_T5_mT6_P12ihipStream_tbENKUlT_T0_E_clISt17integral_constantIbLb1EESP_IbLb0EEEEDaSL_SM_EUlSL_E0_NS1_11comp_targetILNS1_3genE3ELNS1_11target_archE908ELNS1_3gpuE7ELNS1_3repE0EEENS1_30default_config_static_selectorELNS0_4arch9wavefront6targetE1EEEvT1_,"axG",@progbits,_ZN7rocprim17ROCPRIM_400000_NS6detail17trampoline_kernelINS0_14default_configENS1_20scan_config_selectorIlEEZZNS1_9scan_implILNS1_25lookback_scan_determinismE0ELb0ELb0ES3_PlS8_lN6thrust23THRUST_200600_302600_NS4plusIvEElEEDaPvRmT3_T4_T5_mT6_P12ihipStream_tbENKUlT_T0_E_clISt17integral_constantIbLb1EESP_IbLb0EEEEDaSL_SM_EUlSL_E0_NS1_11comp_targetILNS1_3genE3ELNS1_11target_archE908ELNS1_3gpuE7ELNS1_3repE0EEENS1_30default_config_static_selectorELNS0_4arch9wavefront6targetE1EEEvT1_,comdat
	.protected	_ZN7rocprim17ROCPRIM_400000_NS6detail17trampoline_kernelINS0_14default_configENS1_20scan_config_selectorIlEEZZNS1_9scan_implILNS1_25lookback_scan_determinismE0ELb0ELb0ES3_PlS8_lN6thrust23THRUST_200600_302600_NS4plusIvEElEEDaPvRmT3_T4_T5_mT6_P12ihipStream_tbENKUlT_T0_E_clISt17integral_constantIbLb1EESP_IbLb0EEEEDaSL_SM_EUlSL_E0_NS1_11comp_targetILNS1_3genE3ELNS1_11target_archE908ELNS1_3gpuE7ELNS1_3repE0EEENS1_30default_config_static_selectorELNS0_4arch9wavefront6targetE1EEEvT1_ ; -- Begin function _ZN7rocprim17ROCPRIM_400000_NS6detail17trampoline_kernelINS0_14default_configENS1_20scan_config_selectorIlEEZZNS1_9scan_implILNS1_25lookback_scan_determinismE0ELb0ELb0ES3_PlS8_lN6thrust23THRUST_200600_302600_NS4plusIvEElEEDaPvRmT3_T4_T5_mT6_P12ihipStream_tbENKUlT_T0_E_clISt17integral_constantIbLb1EESP_IbLb0EEEEDaSL_SM_EUlSL_E0_NS1_11comp_targetILNS1_3genE3ELNS1_11target_archE908ELNS1_3gpuE7ELNS1_3repE0EEENS1_30default_config_static_selectorELNS0_4arch9wavefront6targetE1EEEvT1_
	.globl	_ZN7rocprim17ROCPRIM_400000_NS6detail17trampoline_kernelINS0_14default_configENS1_20scan_config_selectorIlEEZZNS1_9scan_implILNS1_25lookback_scan_determinismE0ELb0ELb0ES3_PlS8_lN6thrust23THRUST_200600_302600_NS4plusIvEElEEDaPvRmT3_T4_T5_mT6_P12ihipStream_tbENKUlT_T0_E_clISt17integral_constantIbLb1EESP_IbLb0EEEEDaSL_SM_EUlSL_E0_NS1_11comp_targetILNS1_3genE3ELNS1_11target_archE908ELNS1_3gpuE7ELNS1_3repE0EEENS1_30default_config_static_selectorELNS0_4arch9wavefront6targetE1EEEvT1_
	.p2align	8
	.type	_ZN7rocprim17ROCPRIM_400000_NS6detail17trampoline_kernelINS0_14default_configENS1_20scan_config_selectorIlEEZZNS1_9scan_implILNS1_25lookback_scan_determinismE0ELb0ELb0ES3_PlS8_lN6thrust23THRUST_200600_302600_NS4plusIvEElEEDaPvRmT3_T4_T5_mT6_P12ihipStream_tbENKUlT_T0_E_clISt17integral_constantIbLb1EESP_IbLb0EEEEDaSL_SM_EUlSL_E0_NS1_11comp_targetILNS1_3genE3ELNS1_11target_archE908ELNS1_3gpuE7ELNS1_3repE0EEENS1_30default_config_static_selectorELNS0_4arch9wavefront6targetE1EEEvT1_,@function
_ZN7rocprim17ROCPRIM_400000_NS6detail17trampoline_kernelINS0_14default_configENS1_20scan_config_selectorIlEEZZNS1_9scan_implILNS1_25lookback_scan_determinismE0ELb0ELb0ES3_PlS8_lN6thrust23THRUST_200600_302600_NS4plusIvEElEEDaPvRmT3_T4_T5_mT6_P12ihipStream_tbENKUlT_T0_E_clISt17integral_constantIbLb1EESP_IbLb0EEEEDaSL_SM_EUlSL_E0_NS1_11comp_targetILNS1_3genE3ELNS1_11target_archE908ELNS1_3gpuE7ELNS1_3repE0EEENS1_30default_config_static_selectorELNS0_4arch9wavefront6targetE1EEEvT1_: ; @_ZN7rocprim17ROCPRIM_400000_NS6detail17trampoline_kernelINS0_14default_configENS1_20scan_config_selectorIlEEZZNS1_9scan_implILNS1_25lookback_scan_determinismE0ELb0ELb0ES3_PlS8_lN6thrust23THRUST_200600_302600_NS4plusIvEElEEDaPvRmT3_T4_T5_mT6_P12ihipStream_tbENKUlT_T0_E_clISt17integral_constantIbLb1EESP_IbLb0EEEEDaSL_SM_EUlSL_E0_NS1_11comp_targetILNS1_3genE3ELNS1_11target_archE908ELNS1_3gpuE7ELNS1_3repE0EEENS1_30default_config_static_selectorELNS0_4arch9wavefront6targetE1EEEvT1_
; %bb.0:
	.section	.rodata,"a",@progbits
	.p2align	6, 0x0
	.amdhsa_kernel _ZN7rocprim17ROCPRIM_400000_NS6detail17trampoline_kernelINS0_14default_configENS1_20scan_config_selectorIlEEZZNS1_9scan_implILNS1_25lookback_scan_determinismE0ELb0ELb0ES3_PlS8_lN6thrust23THRUST_200600_302600_NS4plusIvEElEEDaPvRmT3_T4_T5_mT6_P12ihipStream_tbENKUlT_T0_E_clISt17integral_constantIbLb1EESP_IbLb0EEEEDaSL_SM_EUlSL_E0_NS1_11comp_targetILNS1_3genE3ELNS1_11target_archE908ELNS1_3gpuE7ELNS1_3repE0EEENS1_30default_config_static_selectorELNS0_4arch9wavefront6targetE1EEEvT1_
		.amdhsa_group_segment_fixed_size 0
		.amdhsa_private_segment_fixed_size 0
		.amdhsa_kernarg_size 40
		.amdhsa_user_sgpr_count 2
		.amdhsa_user_sgpr_dispatch_ptr 0
		.amdhsa_user_sgpr_queue_ptr 0
		.amdhsa_user_sgpr_kernarg_segment_ptr 1
		.amdhsa_user_sgpr_dispatch_id 0
		.amdhsa_user_sgpr_kernarg_preload_length 0
		.amdhsa_user_sgpr_kernarg_preload_offset 0
		.amdhsa_user_sgpr_private_segment_size 0
		.amdhsa_uses_dynamic_stack 0
		.amdhsa_enable_private_segment 0
		.amdhsa_system_sgpr_workgroup_id_x 1
		.amdhsa_system_sgpr_workgroup_id_y 0
		.amdhsa_system_sgpr_workgroup_id_z 0
		.amdhsa_system_sgpr_workgroup_info 0
		.amdhsa_system_vgpr_workitem_id 0
		.amdhsa_next_free_vgpr 1
		.amdhsa_next_free_sgpr 0
		.amdhsa_accum_offset 4
		.amdhsa_reserve_vcc 0
		.amdhsa_float_round_mode_32 0
		.amdhsa_float_round_mode_16_64 0
		.amdhsa_float_denorm_mode_32 3
		.amdhsa_float_denorm_mode_16_64 3
		.amdhsa_dx10_clamp 1
		.amdhsa_ieee_mode 1
		.amdhsa_fp16_overflow 0
		.amdhsa_tg_split 0
		.amdhsa_exception_fp_ieee_invalid_op 0
		.amdhsa_exception_fp_denorm_src 0
		.amdhsa_exception_fp_ieee_div_zero 0
		.amdhsa_exception_fp_ieee_overflow 0
		.amdhsa_exception_fp_ieee_underflow 0
		.amdhsa_exception_fp_ieee_inexact 0
		.amdhsa_exception_int_div_zero 0
	.end_amdhsa_kernel
	.section	.text._ZN7rocprim17ROCPRIM_400000_NS6detail17trampoline_kernelINS0_14default_configENS1_20scan_config_selectorIlEEZZNS1_9scan_implILNS1_25lookback_scan_determinismE0ELb0ELb0ES3_PlS8_lN6thrust23THRUST_200600_302600_NS4plusIvEElEEDaPvRmT3_T4_T5_mT6_P12ihipStream_tbENKUlT_T0_E_clISt17integral_constantIbLb1EESP_IbLb0EEEEDaSL_SM_EUlSL_E0_NS1_11comp_targetILNS1_3genE3ELNS1_11target_archE908ELNS1_3gpuE7ELNS1_3repE0EEENS1_30default_config_static_selectorELNS0_4arch9wavefront6targetE1EEEvT1_,"axG",@progbits,_ZN7rocprim17ROCPRIM_400000_NS6detail17trampoline_kernelINS0_14default_configENS1_20scan_config_selectorIlEEZZNS1_9scan_implILNS1_25lookback_scan_determinismE0ELb0ELb0ES3_PlS8_lN6thrust23THRUST_200600_302600_NS4plusIvEElEEDaPvRmT3_T4_T5_mT6_P12ihipStream_tbENKUlT_T0_E_clISt17integral_constantIbLb1EESP_IbLb0EEEEDaSL_SM_EUlSL_E0_NS1_11comp_targetILNS1_3genE3ELNS1_11target_archE908ELNS1_3gpuE7ELNS1_3repE0EEENS1_30default_config_static_selectorELNS0_4arch9wavefront6targetE1EEEvT1_,comdat
.Lfunc_end134:
	.size	_ZN7rocprim17ROCPRIM_400000_NS6detail17trampoline_kernelINS0_14default_configENS1_20scan_config_selectorIlEEZZNS1_9scan_implILNS1_25lookback_scan_determinismE0ELb0ELb0ES3_PlS8_lN6thrust23THRUST_200600_302600_NS4plusIvEElEEDaPvRmT3_T4_T5_mT6_P12ihipStream_tbENKUlT_T0_E_clISt17integral_constantIbLb1EESP_IbLb0EEEEDaSL_SM_EUlSL_E0_NS1_11comp_targetILNS1_3genE3ELNS1_11target_archE908ELNS1_3gpuE7ELNS1_3repE0EEENS1_30default_config_static_selectorELNS0_4arch9wavefront6targetE1EEEvT1_, .Lfunc_end134-_ZN7rocprim17ROCPRIM_400000_NS6detail17trampoline_kernelINS0_14default_configENS1_20scan_config_selectorIlEEZZNS1_9scan_implILNS1_25lookback_scan_determinismE0ELb0ELb0ES3_PlS8_lN6thrust23THRUST_200600_302600_NS4plusIvEElEEDaPvRmT3_T4_T5_mT6_P12ihipStream_tbENKUlT_T0_E_clISt17integral_constantIbLb1EESP_IbLb0EEEEDaSL_SM_EUlSL_E0_NS1_11comp_targetILNS1_3genE3ELNS1_11target_archE908ELNS1_3gpuE7ELNS1_3repE0EEENS1_30default_config_static_selectorELNS0_4arch9wavefront6targetE1EEEvT1_
                                        ; -- End function
	.set _ZN7rocprim17ROCPRIM_400000_NS6detail17trampoline_kernelINS0_14default_configENS1_20scan_config_selectorIlEEZZNS1_9scan_implILNS1_25lookback_scan_determinismE0ELb0ELb0ES3_PlS8_lN6thrust23THRUST_200600_302600_NS4plusIvEElEEDaPvRmT3_T4_T5_mT6_P12ihipStream_tbENKUlT_T0_E_clISt17integral_constantIbLb1EESP_IbLb0EEEEDaSL_SM_EUlSL_E0_NS1_11comp_targetILNS1_3genE3ELNS1_11target_archE908ELNS1_3gpuE7ELNS1_3repE0EEENS1_30default_config_static_selectorELNS0_4arch9wavefront6targetE1EEEvT1_.num_vgpr, 0
	.set _ZN7rocprim17ROCPRIM_400000_NS6detail17trampoline_kernelINS0_14default_configENS1_20scan_config_selectorIlEEZZNS1_9scan_implILNS1_25lookback_scan_determinismE0ELb0ELb0ES3_PlS8_lN6thrust23THRUST_200600_302600_NS4plusIvEElEEDaPvRmT3_T4_T5_mT6_P12ihipStream_tbENKUlT_T0_E_clISt17integral_constantIbLb1EESP_IbLb0EEEEDaSL_SM_EUlSL_E0_NS1_11comp_targetILNS1_3genE3ELNS1_11target_archE908ELNS1_3gpuE7ELNS1_3repE0EEENS1_30default_config_static_selectorELNS0_4arch9wavefront6targetE1EEEvT1_.num_agpr, 0
	.set _ZN7rocprim17ROCPRIM_400000_NS6detail17trampoline_kernelINS0_14default_configENS1_20scan_config_selectorIlEEZZNS1_9scan_implILNS1_25lookback_scan_determinismE0ELb0ELb0ES3_PlS8_lN6thrust23THRUST_200600_302600_NS4plusIvEElEEDaPvRmT3_T4_T5_mT6_P12ihipStream_tbENKUlT_T0_E_clISt17integral_constantIbLb1EESP_IbLb0EEEEDaSL_SM_EUlSL_E0_NS1_11comp_targetILNS1_3genE3ELNS1_11target_archE908ELNS1_3gpuE7ELNS1_3repE0EEENS1_30default_config_static_selectorELNS0_4arch9wavefront6targetE1EEEvT1_.numbered_sgpr, 0
	.set _ZN7rocprim17ROCPRIM_400000_NS6detail17trampoline_kernelINS0_14default_configENS1_20scan_config_selectorIlEEZZNS1_9scan_implILNS1_25lookback_scan_determinismE0ELb0ELb0ES3_PlS8_lN6thrust23THRUST_200600_302600_NS4plusIvEElEEDaPvRmT3_T4_T5_mT6_P12ihipStream_tbENKUlT_T0_E_clISt17integral_constantIbLb1EESP_IbLb0EEEEDaSL_SM_EUlSL_E0_NS1_11comp_targetILNS1_3genE3ELNS1_11target_archE908ELNS1_3gpuE7ELNS1_3repE0EEENS1_30default_config_static_selectorELNS0_4arch9wavefront6targetE1EEEvT1_.num_named_barrier, 0
	.set _ZN7rocprim17ROCPRIM_400000_NS6detail17trampoline_kernelINS0_14default_configENS1_20scan_config_selectorIlEEZZNS1_9scan_implILNS1_25lookback_scan_determinismE0ELb0ELb0ES3_PlS8_lN6thrust23THRUST_200600_302600_NS4plusIvEElEEDaPvRmT3_T4_T5_mT6_P12ihipStream_tbENKUlT_T0_E_clISt17integral_constantIbLb1EESP_IbLb0EEEEDaSL_SM_EUlSL_E0_NS1_11comp_targetILNS1_3genE3ELNS1_11target_archE908ELNS1_3gpuE7ELNS1_3repE0EEENS1_30default_config_static_selectorELNS0_4arch9wavefront6targetE1EEEvT1_.private_seg_size, 0
	.set _ZN7rocprim17ROCPRIM_400000_NS6detail17trampoline_kernelINS0_14default_configENS1_20scan_config_selectorIlEEZZNS1_9scan_implILNS1_25lookback_scan_determinismE0ELb0ELb0ES3_PlS8_lN6thrust23THRUST_200600_302600_NS4plusIvEElEEDaPvRmT3_T4_T5_mT6_P12ihipStream_tbENKUlT_T0_E_clISt17integral_constantIbLb1EESP_IbLb0EEEEDaSL_SM_EUlSL_E0_NS1_11comp_targetILNS1_3genE3ELNS1_11target_archE908ELNS1_3gpuE7ELNS1_3repE0EEENS1_30default_config_static_selectorELNS0_4arch9wavefront6targetE1EEEvT1_.uses_vcc, 0
	.set _ZN7rocprim17ROCPRIM_400000_NS6detail17trampoline_kernelINS0_14default_configENS1_20scan_config_selectorIlEEZZNS1_9scan_implILNS1_25lookback_scan_determinismE0ELb0ELb0ES3_PlS8_lN6thrust23THRUST_200600_302600_NS4plusIvEElEEDaPvRmT3_T4_T5_mT6_P12ihipStream_tbENKUlT_T0_E_clISt17integral_constantIbLb1EESP_IbLb0EEEEDaSL_SM_EUlSL_E0_NS1_11comp_targetILNS1_3genE3ELNS1_11target_archE908ELNS1_3gpuE7ELNS1_3repE0EEENS1_30default_config_static_selectorELNS0_4arch9wavefront6targetE1EEEvT1_.uses_flat_scratch, 0
	.set _ZN7rocprim17ROCPRIM_400000_NS6detail17trampoline_kernelINS0_14default_configENS1_20scan_config_selectorIlEEZZNS1_9scan_implILNS1_25lookback_scan_determinismE0ELb0ELb0ES3_PlS8_lN6thrust23THRUST_200600_302600_NS4plusIvEElEEDaPvRmT3_T4_T5_mT6_P12ihipStream_tbENKUlT_T0_E_clISt17integral_constantIbLb1EESP_IbLb0EEEEDaSL_SM_EUlSL_E0_NS1_11comp_targetILNS1_3genE3ELNS1_11target_archE908ELNS1_3gpuE7ELNS1_3repE0EEENS1_30default_config_static_selectorELNS0_4arch9wavefront6targetE1EEEvT1_.has_dyn_sized_stack, 0
	.set _ZN7rocprim17ROCPRIM_400000_NS6detail17trampoline_kernelINS0_14default_configENS1_20scan_config_selectorIlEEZZNS1_9scan_implILNS1_25lookback_scan_determinismE0ELb0ELb0ES3_PlS8_lN6thrust23THRUST_200600_302600_NS4plusIvEElEEDaPvRmT3_T4_T5_mT6_P12ihipStream_tbENKUlT_T0_E_clISt17integral_constantIbLb1EESP_IbLb0EEEEDaSL_SM_EUlSL_E0_NS1_11comp_targetILNS1_3genE3ELNS1_11target_archE908ELNS1_3gpuE7ELNS1_3repE0EEENS1_30default_config_static_selectorELNS0_4arch9wavefront6targetE1EEEvT1_.has_recursion, 0
	.set _ZN7rocprim17ROCPRIM_400000_NS6detail17trampoline_kernelINS0_14default_configENS1_20scan_config_selectorIlEEZZNS1_9scan_implILNS1_25lookback_scan_determinismE0ELb0ELb0ES3_PlS8_lN6thrust23THRUST_200600_302600_NS4plusIvEElEEDaPvRmT3_T4_T5_mT6_P12ihipStream_tbENKUlT_T0_E_clISt17integral_constantIbLb1EESP_IbLb0EEEEDaSL_SM_EUlSL_E0_NS1_11comp_targetILNS1_3genE3ELNS1_11target_archE908ELNS1_3gpuE7ELNS1_3repE0EEENS1_30default_config_static_selectorELNS0_4arch9wavefront6targetE1EEEvT1_.has_indirect_call, 0
	.section	.AMDGPU.csdata,"",@progbits
; Kernel info:
; codeLenInByte = 0
; TotalNumSgprs: 6
; NumVgprs: 0
; NumAgprs: 0
; TotalNumVgprs: 0
; ScratchSize: 0
; MemoryBound: 0
; FloatMode: 240
; IeeeMode: 1
; LDSByteSize: 0 bytes/workgroup (compile time only)
; SGPRBlocks: 0
; VGPRBlocks: 0
; NumSGPRsForWavesPerEU: 6
; NumVGPRsForWavesPerEU: 1
; AccumOffset: 4
; Occupancy: 8
; WaveLimiterHint : 0
; COMPUTE_PGM_RSRC2:SCRATCH_EN: 0
; COMPUTE_PGM_RSRC2:USER_SGPR: 2
; COMPUTE_PGM_RSRC2:TRAP_HANDLER: 0
; COMPUTE_PGM_RSRC2:TGID_X_EN: 1
; COMPUTE_PGM_RSRC2:TGID_Y_EN: 0
; COMPUTE_PGM_RSRC2:TGID_Z_EN: 0
; COMPUTE_PGM_RSRC2:TIDIG_COMP_CNT: 0
; COMPUTE_PGM_RSRC3_GFX90A:ACCUM_OFFSET: 0
; COMPUTE_PGM_RSRC3_GFX90A:TG_SPLIT: 0
	.section	.text._ZN7rocprim17ROCPRIM_400000_NS6detail17trampoline_kernelINS0_14default_configENS1_20scan_config_selectorIlEEZZNS1_9scan_implILNS1_25lookback_scan_determinismE0ELb0ELb0ES3_PlS8_lN6thrust23THRUST_200600_302600_NS4plusIvEElEEDaPvRmT3_T4_T5_mT6_P12ihipStream_tbENKUlT_T0_E_clISt17integral_constantIbLb1EESP_IbLb0EEEEDaSL_SM_EUlSL_E0_NS1_11comp_targetILNS1_3genE2ELNS1_11target_archE906ELNS1_3gpuE6ELNS1_3repE0EEENS1_30default_config_static_selectorELNS0_4arch9wavefront6targetE1EEEvT1_,"axG",@progbits,_ZN7rocprim17ROCPRIM_400000_NS6detail17trampoline_kernelINS0_14default_configENS1_20scan_config_selectorIlEEZZNS1_9scan_implILNS1_25lookback_scan_determinismE0ELb0ELb0ES3_PlS8_lN6thrust23THRUST_200600_302600_NS4plusIvEElEEDaPvRmT3_T4_T5_mT6_P12ihipStream_tbENKUlT_T0_E_clISt17integral_constantIbLb1EESP_IbLb0EEEEDaSL_SM_EUlSL_E0_NS1_11comp_targetILNS1_3genE2ELNS1_11target_archE906ELNS1_3gpuE6ELNS1_3repE0EEENS1_30default_config_static_selectorELNS0_4arch9wavefront6targetE1EEEvT1_,comdat
	.protected	_ZN7rocprim17ROCPRIM_400000_NS6detail17trampoline_kernelINS0_14default_configENS1_20scan_config_selectorIlEEZZNS1_9scan_implILNS1_25lookback_scan_determinismE0ELb0ELb0ES3_PlS8_lN6thrust23THRUST_200600_302600_NS4plusIvEElEEDaPvRmT3_T4_T5_mT6_P12ihipStream_tbENKUlT_T0_E_clISt17integral_constantIbLb1EESP_IbLb0EEEEDaSL_SM_EUlSL_E0_NS1_11comp_targetILNS1_3genE2ELNS1_11target_archE906ELNS1_3gpuE6ELNS1_3repE0EEENS1_30default_config_static_selectorELNS0_4arch9wavefront6targetE1EEEvT1_ ; -- Begin function _ZN7rocprim17ROCPRIM_400000_NS6detail17trampoline_kernelINS0_14default_configENS1_20scan_config_selectorIlEEZZNS1_9scan_implILNS1_25lookback_scan_determinismE0ELb0ELb0ES3_PlS8_lN6thrust23THRUST_200600_302600_NS4plusIvEElEEDaPvRmT3_T4_T5_mT6_P12ihipStream_tbENKUlT_T0_E_clISt17integral_constantIbLb1EESP_IbLb0EEEEDaSL_SM_EUlSL_E0_NS1_11comp_targetILNS1_3genE2ELNS1_11target_archE906ELNS1_3gpuE6ELNS1_3repE0EEENS1_30default_config_static_selectorELNS0_4arch9wavefront6targetE1EEEvT1_
	.globl	_ZN7rocprim17ROCPRIM_400000_NS6detail17trampoline_kernelINS0_14default_configENS1_20scan_config_selectorIlEEZZNS1_9scan_implILNS1_25lookback_scan_determinismE0ELb0ELb0ES3_PlS8_lN6thrust23THRUST_200600_302600_NS4plusIvEElEEDaPvRmT3_T4_T5_mT6_P12ihipStream_tbENKUlT_T0_E_clISt17integral_constantIbLb1EESP_IbLb0EEEEDaSL_SM_EUlSL_E0_NS1_11comp_targetILNS1_3genE2ELNS1_11target_archE906ELNS1_3gpuE6ELNS1_3repE0EEENS1_30default_config_static_selectorELNS0_4arch9wavefront6targetE1EEEvT1_
	.p2align	8
	.type	_ZN7rocprim17ROCPRIM_400000_NS6detail17trampoline_kernelINS0_14default_configENS1_20scan_config_selectorIlEEZZNS1_9scan_implILNS1_25lookback_scan_determinismE0ELb0ELb0ES3_PlS8_lN6thrust23THRUST_200600_302600_NS4plusIvEElEEDaPvRmT3_T4_T5_mT6_P12ihipStream_tbENKUlT_T0_E_clISt17integral_constantIbLb1EESP_IbLb0EEEEDaSL_SM_EUlSL_E0_NS1_11comp_targetILNS1_3genE2ELNS1_11target_archE906ELNS1_3gpuE6ELNS1_3repE0EEENS1_30default_config_static_selectorELNS0_4arch9wavefront6targetE1EEEvT1_,@function
_ZN7rocprim17ROCPRIM_400000_NS6detail17trampoline_kernelINS0_14default_configENS1_20scan_config_selectorIlEEZZNS1_9scan_implILNS1_25lookback_scan_determinismE0ELb0ELb0ES3_PlS8_lN6thrust23THRUST_200600_302600_NS4plusIvEElEEDaPvRmT3_T4_T5_mT6_P12ihipStream_tbENKUlT_T0_E_clISt17integral_constantIbLb1EESP_IbLb0EEEEDaSL_SM_EUlSL_E0_NS1_11comp_targetILNS1_3genE2ELNS1_11target_archE906ELNS1_3gpuE6ELNS1_3repE0EEENS1_30default_config_static_selectorELNS0_4arch9wavefront6targetE1EEEvT1_: ; @_ZN7rocprim17ROCPRIM_400000_NS6detail17trampoline_kernelINS0_14default_configENS1_20scan_config_selectorIlEEZZNS1_9scan_implILNS1_25lookback_scan_determinismE0ELb0ELb0ES3_PlS8_lN6thrust23THRUST_200600_302600_NS4plusIvEElEEDaPvRmT3_T4_T5_mT6_P12ihipStream_tbENKUlT_T0_E_clISt17integral_constantIbLb1EESP_IbLb0EEEEDaSL_SM_EUlSL_E0_NS1_11comp_targetILNS1_3genE2ELNS1_11target_archE906ELNS1_3gpuE6ELNS1_3repE0EEENS1_30default_config_static_selectorELNS0_4arch9wavefront6targetE1EEEvT1_
; %bb.0:
	.section	.rodata,"a",@progbits
	.p2align	6, 0x0
	.amdhsa_kernel _ZN7rocprim17ROCPRIM_400000_NS6detail17trampoline_kernelINS0_14default_configENS1_20scan_config_selectorIlEEZZNS1_9scan_implILNS1_25lookback_scan_determinismE0ELb0ELb0ES3_PlS8_lN6thrust23THRUST_200600_302600_NS4plusIvEElEEDaPvRmT3_T4_T5_mT6_P12ihipStream_tbENKUlT_T0_E_clISt17integral_constantIbLb1EESP_IbLb0EEEEDaSL_SM_EUlSL_E0_NS1_11comp_targetILNS1_3genE2ELNS1_11target_archE906ELNS1_3gpuE6ELNS1_3repE0EEENS1_30default_config_static_selectorELNS0_4arch9wavefront6targetE1EEEvT1_
		.amdhsa_group_segment_fixed_size 0
		.amdhsa_private_segment_fixed_size 0
		.amdhsa_kernarg_size 40
		.amdhsa_user_sgpr_count 2
		.amdhsa_user_sgpr_dispatch_ptr 0
		.amdhsa_user_sgpr_queue_ptr 0
		.amdhsa_user_sgpr_kernarg_segment_ptr 1
		.amdhsa_user_sgpr_dispatch_id 0
		.amdhsa_user_sgpr_kernarg_preload_length 0
		.amdhsa_user_sgpr_kernarg_preload_offset 0
		.amdhsa_user_sgpr_private_segment_size 0
		.amdhsa_uses_dynamic_stack 0
		.amdhsa_enable_private_segment 0
		.amdhsa_system_sgpr_workgroup_id_x 1
		.amdhsa_system_sgpr_workgroup_id_y 0
		.amdhsa_system_sgpr_workgroup_id_z 0
		.amdhsa_system_sgpr_workgroup_info 0
		.amdhsa_system_vgpr_workitem_id 0
		.amdhsa_next_free_vgpr 1
		.amdhsa_next_free_sgpr 0
		.amdhsa_accum_offset 4
		.amdhsa_reserve_vcc 0
		.amdhsa_float_round_mode_32 0
		.amdhsa_float_round_mode_16_64 0
		.amdhsa_float_denorm_mode_32 3
		.amdhsa_float_denorm_mode_16_64 3
		.amdhsa_dx10_clamp 1
		.amdhsa_ieee_mode 1
		.amdhsa_fp16_overflow 0
		.amdhsa_tg_split 0
		.amdhsa_exception_fp_ieee_invalid_op 0
		.amdhsa_exception_fp_denorm_src 0
		.amdhsa_exception_fp_ieee_div_zero 0
		.amdhsa_exception_fp_ieee_overflow 0
		.amdhsa_exception_fp_ieee_underflow 0
		.amdhsa_exception_fp_ieee_inexact 0
		.amdhsa_exception_int_div_zero 0
	.end_amdhsa_kernel
	.section	.text._ZN7rocprim17ROCPRIM_400000_NS6detail17trampoline_kernelINS0_14default_configENS1_20scan_config_selectorIlEEZZNS1_9scan_implILNS1_25lookback_scan_determinismE0ELb0ELb0ES3_PlS8_lN6thrust23THRUST_200600_302600_NS4plusIvEElEEDaPvRmT3_T4_T5_mT6_P12ihipStream_tbENKUlT_T0_E_clISt17integral_constantIbLb1EESP_IbLb0EEEEDaSL_SM_EUlSL_E0_NS1_11comp_targetILNS1_3genE2ELNS1_11target_archE906ELNS1_3gpuE6ELNS1_3repE0EEENS1_30default_config_static_selectorELNS0_4arch9wavefront6targetE1EEEvT1_,"axG",@progbits,_ZN7rocprim17ROCPRIM_400000_NS6detail17trampoline_kernelINS0_14default_configENS1_20scan_config_selectorIlEEZZNS1_9scan_implILNS1_25lookback_scan_determinismE0ELb0ELb0ES3_PlS8_lN6thrust23THRUST_200600_302600_NS4plusIvEElEEDaPvRmT3_T4_T5_mT6_P12ihipStream_tbENKUlT_T0_E_clISt17integral_constantIbLb1EESP_IbLb0EEEEDaSL_SM_EUlSL_E0_NS1_11comp_targetILNS1_3genE2ELNS1_11target_archE906ELNS1_3gpuE6ELNS1_3repE0EEENS1_30default_config_static_selectorELNS0_4arch9wavefront6targetE1EEEvT1_,comdat
.Lfunc_end135:
	.size	_ZN7rocprim17ROCPRIM_400000_NS6detail17trampoline_kernelINS0_14default_configENS1_20scan_config_selectorIlEEZZNS1_9scan_implILNS1_25lookback_scan_determinismE0ELb0ELb0ES3_PlS8_lN6thrust23THRUST_200600_302600_NS4plusIvEElEEDaPvRmT3_T4_T5_mT6_P12ihipStream_tbENKUlT_T0_E_clISt17integral_constantIbLb1EESP_IbLb0EEEEDaSL_SM_EUlSL_E0_NS1_11comp_targetILNS1_3genE2ELNS1_11target_archE906ELNS1_3gpuE6ELNS1_3repE0EEENS1_30default_config_static_selectorELNS0_4arch9wavefront6targetE1EEEvT1_, .Lfunc_end135-_ZN7rocprim17ROCPRIM_400000_NS6detail17trampoline_kernelINS0_14default_configENS1_20scan_config_selectorIlEEZZNS1_9scan_implILNS1_25lookback_scan_determinismE0ELb0ELb0ES3_PlS8_lN6thrust23THRUST_200600_302600_NS4plusIvEElEEDaPvRmT3_T4_T5_mT6_P12ihipStream_tbENKUlT_T0_E_clISt17integral_constantIbLb1EESP_IbLb0EEEEDaSL_SM_EUlSL_E0_NS1_11comp_targetILNS1_3genE2ELNS1_11target_archE906ELNS1_3gpuE6ELNS1_3repE0EEENS1_30default_config_static_selectorELNS0_4arch9wavefront6targetE1EEEvT1_
                                        ; -- End function
	.set _ZN7rocprim17ROCPRIM_400000_NS6detail17trampoline_kernelINS0_14default_configENS1_20scan_config_selectorIlEEZZNS1_9scan_implILNS1_25lookback_scan_determinismE0ELb0ELb0ES3_PlS8_lN6thrust23THRUST_200600_302600_NS4plusIvEElEEDaPvRmT3_T4_T5_mT6_P12ihipStream_tbENKUlT_T0_E_clISt17integral_constantIbLb1EESP_IbLb0EEEEDaSL_SM_EUlSL_E0_NS1_11comp_targetILNS1_3genE2ELNS1_11target_archE906ELNS1_3gpuE6ELNS1_3repE0EEENS1_30default_config_static_selectorELNS0_4arch9wavefront6targetE1EEEvT1_.num_vgpr, 0
	.set _ZN7rocprim17ROCPRIM_400000_NS6detail17trampoline_kernelINS0_14default_configENS1_20scan_config_selectorIlEEZZNS1_9scan_implILNS1_25lookback_scan_determinismE0ELb0ELb0ES3_PlS8_lN6thrust23THRUST_200600_302600_NS4plusIvEElEEDaPvRmT3_T4_T5_mT6_P12ihipStream_tbENKUlT_T0_E_clISt17integral_constantIbLb1EESP_IbLb0EEEEDaSL_SM_EUlSL_E0_NS1_11comp_targetILNS1_3genE2ELNS1_11target_archE906ELNS1_3gpuE6ELNS1_3repE0EEENS1_30default_config_static_selectorELNS0_4arch9wavefront6targetE1EEEvT1_.num_agpr, 0
	.set _ZN7rocprim17ROCPRIM_400000_NS6detail17trampoline_kernelINS0_14default_configENS1_20scan_config_selectorIlEEZZNS1_9scan_implILNS1_25lookback_scan_determinismE0ELb0ELb0ES3_PlS8_lN6thrust23THRUST_200600_302600_NS4plusIvEElEEDaPvRmT3_T4_T5_mT6_P12ihipStream_tbENKUlT_T0_E_clISt17integral_constantIbLb1EESP_IbLb0EEEEDaSL_SM_EUlSL_E0_NS1_11comp_targetILNS1_3genE2ELNS1_11target_archE906ELNS1_3gpuE6ELNS1_3repE0EEENS1_30default_config_static_selectorELNS0_4arch9wavefront6targetE1EEEvT1_.numbered_sgpr, 0
	.set _ZN7rocprim17ROCPRIM_400000_NS6detail17trampoline_kernelINS0_14default_configENS1_20scan_config_selectorIlEEZZNS1_9scan_implILNS1_25lookback_scan_determinismE0ELb0ELb0ES3_PlS8_lN6thrust23THRUST_200600_302600_NS4plusIvEElEEDaPvRmT3_T4_T5_mT6_P12ihipStream_tbENKUlT_T0_E_clISt17integral_constantIbLb1EESP_IbLb0EEEEDaSL_SM_EUlSL_E0_NS1_11comp_targetILNS1_3genE2ELNS1_11target_archE906ELNS1_3gpuE6ELNS1_3repE0EEENS1_30default_config_static_selectorELNS0_4arch9wavefront6targetE1EEEvT1_.num_named_barrier, 0
	.set _ZN7rocprim17ROCPRIM_400000_NS6detail17trampoline_kernelINS0_14default_configENS1_20scan_config_selectorIlEEZZNS1_9scan_implILNS1_25lookback_scan_determinismE0ELb0ELb0ES3_PlS8_lN6thrust23THRUST_200600_302600_NS4plusIvEElEEDaPvRmT3_T4_T5_mT6_P12ihipStream_tbENKUlT_T0_E_clISt17integral_constantIbLb1EESP_IbLb0EEEEDaSL_SM_EUlSL_E0_NS1_11comp_targetILNS1_3genE2ELNS1_11target_archE906ELNS1_3gpuE6ELNS1_3repE0EEENS1_30default_config_static_selectorELNS0_4arch9wavefront6targetE1EEEvT1_.private_seg_size, 0
	.set _ZN7rocprim17ROCPRIM_400000_NS6detail17trampoline_kernelINS0_14default_configENS1_20scan_config_selectorIlEEZZNS1_9scan_implILNS1_25lookback_scan_determinismE0ELb0ELb0ES3_PlS8_lN6thrust23THRUST_200600_302600_NS4plusIvEElEEDaPvRmT3_T4_T5_mT6_P12ihipStream_tbENKUlT_T0_E_clISt17integral_constantIbLb1EESP_IbLb0EEEEDaSL_SM_EUlSL_E0_NS1_11comp_targetILNS1_3genE2ELNS1_11target_archE906ELNS1_3gpuE6ELNS1_3repE0EEENS1_30default_config_static_selectorELNS0_4arch9wavefront6targetE1EEEvT1_.uses_vcc, 0
	.set _ZN7rocprim17ROCPRIM_400000_NS6detail17trampoline_kernelINS0_14default_configENS1_20scan_config_selectorIlEEZZNS1_9scan_implILNS1_25lookback_scan_determinismE0ELb0ELb0ES3_PlS8_lN6thrust23THRUST_200600_302600_NS4plusIvEElEEDaPvRmT3_T4_T5_mT6_P12ihipStream_tbENKUlT_T0_E_clISt17integral_constantIbLb1EESP_IbLb0EEEEDaSL_SM_EUlSL_E0_NS1_11comp_targetILNS1_3genE2ELNS1_11target_archE906ELNS1_3gpuE6ELNS1_3repE0EEENS1_30default_config_static_selectorELNS0_4arch9wavefront6targetE1EEEvT1_.uses_flat_scratch, 0
	.set _ZN7rocprim17ROCPRIM_400000_NS6detail17trampoline_kernelINS0_14default_configENS1_20scan_config_selectorIlEEZZNS1_9scan_implILNS1_25lookback_scan_determinismE0ELb0ELb0ES3_PlS8_lN6thrust23THRUST_200600_302600_NS4plusIvEElEEDaPvRmT3_T4_T5_mT6_P12ihipStream_tbENKUlT_T0_E_clISt17integral_constantIbLb1EESP_IbLb0EEEEDaSL_SM_EUlSL_E0_NS1_11comp_targetILNS1_3genE2ELNS1_11target_archE906ELNS1_3gpuE6ELNS1_3repE0EEENS1_30default_config_static_selectorELNS0_4arch9wavefront6targetE1EEEvT1_.has_dyn_sized_stack, 0
	.set _ZN7rocprim17ROCPRIM_400000_NS6detail17trampoline_kernelINS0_14default_configENS1_20scan_config_selectorIlEEZZNS1_9scan_implILNS1_25lookback_scan_determinismE0ELb0ELb0ES3_PlS8_lN6thrust23THRUST_200600_302600_NS4plusIvEElEEDaPvRmT3_T4_T5_mT6_P12ihipStream_tbENKUlT_T0_E_clISt17integral_constantIbLb1EESP_IbLb0EEEEDaSL_SM_EUlSL_E0_NS1_11comp_targetILNS1_3genE2ELNS1_11target_archE906ELNS1_3gpuE6ELNS1_3repE0EEENS1_30default_config_static_selectorELNS0_4arch9wavefront6targetE1EEEvT1_.has_recursion, 0
	.set _ZN7rocprim17ROCPRIM_400000_NS6detail17trampoline_kernelINS0_14default_configENS1_20scan_config_selectorIlEEZZNS1_9scan_implILNS1_25lookback_scan_determinismE0ELb0ELb0ES3_PlS8_lN6thrust23THRUST_200600_302600_NS4plusIvEElEEDaPvRmT3_T4_T5_mT6_P12ihipStream_tbENKUlT_T0_E_clISt17integral_constantIbLb1EESP_IbLb0EEEEDaSL_SM_EUlSL_E0_NS1_11comp_targetILNS1_3genE2ELNS1_11target_archE906ELNS1_3gpuE6ELNS1_3repE0EEENS1_30default_config_static_selectorELNS0_4arch9wavefront6targetE1EEEvT1_.has_indirect_call, 0
	.section	.AMDGPU.csdata,"",@progbits
; Kernel info:
; codeLenInByte = 0
; TotalNumSgprs: 6
; NumVgprs: 0
; NumAgprs: 0
; TotalNumVgprs: 0
; ScratchSize: 0
; MemoryBound: 0
; FloatMode: 240
; IeeeMode: 1
; LDSByteSize: 0 bytes/workgroup (compile time only)
; SGPRBlocks: 0
; VGPRBlocks: 0
; NumSGPRsForWavesPerEU: 6
; NumVGPRsForWavesPerEU: 1
; AccumOffset: 4
; Occupancy: 8
; WaveLimiterHint : 0
; COMPUTE_PGM_RSRC2:SCRATCH_EN: 0
; COMPUTE_PGM_RSRC2:USER_SGPR: 2
; COMPUTE_PGM_RSRC2:TRAP_HANDLER: 0
; COMPUTE_PGM_RSRC2:TGID_X_EN: 1
; COMPUTE_PGM_RSRC2:TGID_Y_EN: 0
; COMPUTE_PGM_RSRC2:TGID_Z_EN: 0
; COMPUTE_PGM_RSRC2:TIDIG_COMP_CNT: 0
; COMPUTE_PGM_RSRC3_GFX90A:ACCUM_OFFSET: 0
; COMPUTE_PGM_RSRC3_GFX90A:TG_SPLIT: 0
	.section	.text._ZN7rocprim17ROCPRIM_400000_NS6detail17trampoline_kernelINS0_14default_configENS1_20scan_config_selectorIlEEZZNS1_9scan_implILNS1_25lookback_scan_determinismE0ELb0ELb0ES3_PlS8_lN6thrust23THRUST_200600_302600_NS4plusIvEElEEDaPvRmT3_T4_T5_mT6_P12ihipStream_tbENKUlT_T0_E_clISt17integral_constantIbLb1EESP_IbLb0EEEEDaSL_SM_EUlSL_E0_NS1_11comp_targetILNS1_3genE10ELNS1_11target_archE1201ELNS1_3gpuE5ELNS1_3repE0EEENS1_30default_config_static_selectorELNS0_4arch9wavefront6targetE1EEEvT1_,"axG",@progbits,_ZN7rocprim17ROCPRIM_400000_NS6detail17trampoline_kernelINS0_14default_configENS1_20scan_config_selectorIlEEZZNS1_9scan_implILNS1_25lookback_scan_determinismE0ELb0ELb0ES3_PlS8_lN6thrust23THRUST_200600_302600_NS4plusIvEElEEDaPvRmT3_T4_T5_mT6_P12ihipStream_tbENKUlT_T0_E_clISt17integral_constantIbLb1EESP_IbLb0EEEEDaSL_SM_EUlSL_E0_NS1_11comp_targetILNS1_3genE10ELNS1_11target_archE1201ELNS1_3gpuE5ELNS1_3repE0EEENS1_30default_config_static_selectorELNS0_4arch9wavefront6targetE1EEEvT1_,comdat
	.protected	_ZN7rocprim17ROCPRIM_400000_NS6detail17trampoline_kernelINS0_14default_configENS1_20scan_config_selectorIlEEZZNS1_9scan_implILNS1_25lookback_scan_determinismE0ELb0ELb0ES3_PlS8_lN6thrust23THRUST_200600_302600_NS4plusIvEElEEDaPvRmT3_T4_T5_mT6_P12ihipStream_tbENKUlT_T0_E_clISt17integral_constantIbLb1EESP_IbLb0EEEEDaSL_SM_EUlSL_E0_NS1_11comp_targetILNS1_3genE10ELNS1_11target_archE1201ELNS1_3gpuE5ELNS1_3repE0EEENS1_30default_config_static_selectorELNS0_4arch9wavefront6targetE1EEEvT1_ ; -- Begin function _ZN7rocprim17ROCPRIM_400000_NS6detail17trampoline_kernelINS0_14default_configENS1_20scan_config_selectorIlEEZZNS1_9scan_implILNS1_25lookback_scan_determinismE0ELb0ELb0ES3_PlS8_lN6thrust23THRUST_200600_302600_NS4plusIvEElEEDaPvRmT3_T4_T5_mT6_P12ihipStream_tbENKUlT_T0_E_clISt17integral_constantIbLb1EESP_IbLb0EEEEDaSL_SM_EUlSL_E0_NS1_11comp_targetILNS1_3genE10ELNS1_11target_archE1201ELNS1_3gpuE5ELNS1_3repE0EEENS1_30default_config_static_selectorELNS0_4arch9wavefront6targetE1EEEvT1_
	.globl	_ZN7rocprim17ROCPRIM_400000_NS6detail17trampoline_kernelINS0_14default_configENS1_20scan_config_selectorIlEEZZNS1_9scan_implILNS1_25lookback_scan_determinismE0ELb0ELb0ES3_PlS8_lN6thrust23THRUST_200600_302600_NS4plusIvEElEEDaPvRmT3_T4_T5_mT6_P12ihipStream_tbENKUlT_T0_E_clISt17integral_constantIbLb1EESP_IbLb0EEEEDaSL_SM_EUlSL_E0_NS1_11comp_targetILNS1_3genE10ELNS1_11target_archE1201ELNS1_3gpuE5ELNS1_3repE0EEENS1_30default_config_static_selectorELNS0_4arch9wavefront6targetE1EEEvT1_
	.p2align	8
	.type	_ZN7rocprim17ROCPRIM_400000_NS6detail17trampoline_kernelINS0_14default_configENS1_20scan_config_selectorIlEEZZNS1_9scan_implILNS1_25lookback_scan_determinismE0ELb0ELb0ES3_PlS8_lN6thrust23THRUST_200600_302600_NS4plusIvEElEEDaPvRmT3_T4_T5_mT6_P12ihipStream_tbENKUlT_T0_E_clISt17integral_constantIbLb1EESP_IbLb0EEEEDaSL_SM_EUlSL_E0_NS1_11comp_targetILNS1_3genE10ELNS1_11target_archE1201ELNS1_3gpuE5ELNS1_3repE0EEENS1_30default_config_static_selectorELNS0_4arch9wavefront6targetE1EEEvT1_,@function
_ZN7rocprim17ROCPRIM_400000_NS6detail17trampoline_kernelINS0_14default_configENS1_20scan_config_selectorIlEEZZNS1_9scan_implILNS1_25lookback_scan_determinismE0ELb0ELb0ES3_PlS8_lN6thrust23THRUST_200600_302600_NS4plusIvEElEEDaPvRmT3_T4_T5_mT6_P12ihipStream_tbENKUlT_T0_E_clISt17integral_constantIbLb1EESP_IbLb0EEEEDaSL_SM_EUlSL_E0_NS1_11comp_targetILNS1_3genE10ELNS1_11target_archE1201ELNS1_3gpuE5ELNS1_3repE0EEENS1_30default_config_static_selectorELNS0_4arch9wavefront6targetE1EEEvT1_: ; @_ZN7rocprim17ROCPRIM_400000_NS6detail17trampoline_kernelINS0_14default_configENS1_20scan_config_selectorIlEEZZNS1_9scan_implILNS1_25lookback_scan_determinismE0ELb0ELb0ES3_PlS8_lN6thrust23THRUST_200600_302600_NS4plusIvEElEEDaPvRmT3_T4_T5_mT6_P12ihipStream_tbENKUlT_T0_E_clISt17integral_constantIbLb1EESP_IbLb0EEEEDaSL_SM_EUlSL_E0_NS1_11comp_targetILNS1_3genE10ELNS1_11target_archE1201ELNS1_3gpuE5ELNS1_3repE0EEENS1_30default_config_static_selectorELNS0_4arch9wavefront6targetE1EEEvT1_
; %bb.0:
	.section	.rodata,"a",@progbits
	.p2align	6, 0x0
	.amdhsa_kernel _ZN7rocprim17ROCPRIM_400000_NS6detail17trampoline_kernelINS0_14default_configENS1_20scan_config_selectorIlEEZZNS1_9scan_implILNS1_25lookback_scan_determinismE0ELb0ELb0ES3_PlS8_lN6thrust23THRUST_200600_302600_NS4plusIvEElEEDaPvRmT3_T4_T5_mT6_P12ihipStream_tbENKUlT_T0_E_clISt17integral_constantIbLb1EESP_IbLb0EEEEDaSL_SM_EUlSL_E0_NS1_11comp_targetILNS1_3genE10ELNS1_11target_archE1201ELNS1_3gpuE5ELNS1_3repE0EEENS1_30default_config_static_selectorELNS0_4arch9wavefront6targetE1EEEvT1_
		.amdhsa_group_segment_fixed_size 0
		.amdhsa_private_segment_fixed_size 0
		.amdhsa_kernarg_size 40
		.amdhsa_user_sgpr_count 2
		.amdhsa_user_sgpr_dispatch_ptr 0
		.amdhsa_user_sgpr_queue_ptr 0
		.amdhsa_user_sgpr_kernarg_segment_ptr 1
		.amdhsa_user_sgpr_dispatch_id 0
		.amdhsa_user_sgpr_kernarg_preload_length 0
		.amdhsa_user_sgpr_kernarg_preload_offset 0
		.amdhsa_user_sgpr_private_segment_size 0
		.amdhsa_uses_dynamic_stack 0
		.amdhsa_enable_private_segment 0
		.amdhsa_system_sgpr_workgroup_id_x 1
		.amdhsa_system_sgpr_workgroup_id_y 0
		.amdhsa_system_sgpr_workgroup_id_z 0
		.amdhsa_system_sgpr_workgroup_info 0
		.amdhsa_system_vgpr_workitem_id 0
		.amdhsa_next_free_vgpr 1
		.amdhsa_next_free_sgpr 0
		.amdhsa_accum_offset 4
		.amdhsa_reserve_vcc 0
		.amdhsa_float_round_mode_32 0
		.amdhsa_float_round_mode_16_64 0
		.amdhsa_float_denorm_mode_32 3
		.amdhsa_float_denorm_mode_16_64 3
		.amdhsa_dx10_clamp 1
		.amdhsa_ieee_mode 1
		.amdhsa_fp16_overflow 0
		.amdhsa_tg_split 0
		.amdhsa_exception_fp_ieee_invalid_op 0
		.amdhsa_exception_fp_denorm_src 0
		.amdhsa_exception_fp_ieee_div_zero 0
		.amdhsa_exception_fp_ieee_overflow 0
		.amdhsa_exception_fp_ieee_underflow 0
		.amdhsa_exception_fp_ieee_inexact 0
		.amdhsa_exception_int_div_zero 0
	.end_amdhsa_kernel
	.section	.text._ZN7rocprim17ROCPRIM_400000_NS6detail17trampoline_kernelINS0_14default_configENS1_20scan_config_selectorIlEEZZNS1_9scan_implILNS1_25lookback_scan_determinismE0ELb0ELb0ES3_PlS8_lN6thrust23THRUST_200600_302600_NS4plusIvEElEEDaPvRmT3_T4_T5_mT6_P12ihipStream_tbENKUlT_T0_E_clISt17integral_constantIbLb1EESP_IbLb0EEEEDaSL_SM_EUlSL_E0_NS1_11comp_targetILNS1_3genE10ELNS1_11target_archE1201ELNS1_3gpuE5ELNS1_3repE0EEENS1_30default_config_static_selectorELNS0_4arch9wavefront6targetE1EEEvT1_,"axG",@progbits,_ZN7rocprim17ROCPRIM_400000_NS6detail17trampoline_kernelINS0_14default_configENS1_20scan_config_selectorIlEEZZNS1_9scan_implILNS1_25lookback_scan_determinismE0ELb0ELb0ES3_PlS8_lN6thrust23THRUST_200600_302600_NS4plusIvEElEEDaPvRmT3_T4_T5_mT6_P12ihipStream_tbENKUlT_T0_E_clISt17integral_constantIbLb1EESP_IbLb0EEEEDaSL_SM_EUlSL_E0_NS1_11comp_targetILNS1_3genE10ELNS1_11target_archE1201ELNS1_3gpuE5ELNS1_3repE0EEENS1_30default_config_static_selectorELNS0_4arch9wavefront6targetE1EEEvT1_,comdat
.Lfunc_end136:
	.size	_ZN7rocprim17ROCPRIM_400000_NS6detail17trampoline_kernelINS0_14default_configENS1_20scan_config_selectorIlEEZZNS1_9scan_implILNS1_25lookback_scan_determinismE0ELb0ELb0ES3_PlS8_lN6thrust23THRUST_200600_302600_NS4plusIvEElEEDaPvRmT3_T4_T5_mT6_P12ihipStream_tbENKUlT_T0_E_clISt17integral_constantIbLb1EESP_IbLb0EEEEDaSL_SM_EUlSL_E0_NS1_11comp_targetILNS1_3genE10ELNS1_11target_archE1201ELNS1_3gpuE5ELNS1_3repE0EEENS1_30default_config_static_selectorELNS0_4arch9wavefront6targetE1EEEvT1_, .Lfunc_end136-_ZN7rocprim17ROCPRIM_400000_NS6detail17trampoline_kernelINS0_14default_configENS1_20scan_config_selectorIlEEZZNS1_9scan_implILNS1_25lookback_scan_determinismE0ELb0ELb0ES3_PlS8_lN6thrust23THRUST_200600_302600_NS4plusIvEElEEDaPvRmT3_T4_T5_mT6_P12ihipStream_tbENKUlT_T0_E_clISt17integral_constantIbLb1EESP_IbLb0EEEEDaSL_SM_EUlSL_E0_NS1_11comp_targetILNS1_3genE10ELNS1_11target_archE1201ELNS1_3gpuE5ELNS1_3repE0EEENS1_30default_config_static_selectorELNS0_4arch9wavefront6targetE1EEEvT1_
                                        ; -- End function
	.set _ZN7rocprim17ROCPRIM_400000_NS6detail17trampoline_kernelINS0_14default_configENS1_20scan_config_selectorIlEEZZNS1_9scan_implILNS1_25lookback_scan_determinismE0ELb0ELb0ES3_PlS8_lN6thrust23THRUST_200600_302600_NS4plusIvEElEEDaPvRmT3_T4_T5_mT6_P12ihipStream_tbENKUlT_T0_E_clISt17integral_constantIbLb1EESP_IbLb0EEEEDaSL_SM_EUlSL_E0_NS1_11comp_targetILNS1_3genE10ELNS1_11target_archE1201ELNS1_3gpuE5ELNS1_3repE0EEENS1_30default_config_static_selectorELNS0_4arch9wavefront6targetE1EEEvT1_.num_vgpr, 0
	.set _ZN7rocprim17ROCPRIM_400000_NS6detail17trampoline_kernelINS0_14default_configENS1_20scan_config_selectorIlEEZZNS1_9scan_implILNS1_25lookback_scan_determinismE0ELb0ELb0ES3_PlS8_lN6thrust23THRUST_200600_302600_NS4plusIvEElEEDaPvRmT3_T4_T5_mT6_P12ihipStream_tbENKUlT_T0_E_clISt17integral_constantIbLb1EESP_IbLb0EEEEDaSL_SM_EUlSL_E0_NS1_11comp_targetILNS1_3genE10ELNS1_11target_archE1201ELNS1_3gpuE5ELNS1_3repE0EEENS1_30default_config_static_selectorELNS0_4arch9wavefront6targetE1EEEvT1_.num_agpr, 0
	.set _ZN7rocprim17ROCPRIM_400000_NS6detail17trampoline_kernelINS0_14default_configENS1_20scan_config_selectorIlEEZZNS1_9scan_implILNS1_25lookback_scan_determinismE0ELb0ELb0ES3_PlS8_lN6thrust23THRUST_200600_302600_NS4plusIvEElEEDaPvRmT3_T4_T5_mT6_P12ihipStream_tbENKUlT_T0_E_clISt17integral_constantIbLb1EESP_IbLb0EEEEDaSL_SM_EUlSL_E0_NS1_11comp_targetILNS1_3genE10ELNS1_11target_archE1201ELNS1_3gpuE5ELNS1_3repE0EEENS1_30default_config_static_selectorELNS0_4arch9wavefront6targetE1EEEvT1_.numbered_sgpr, 0
	.set _ZN7rocprim17ROCPRIM_400000_NS6detail17trampoline_kernelINS0_14default_configENS1_20scan_config_selectorIlEEZZNS1_9scan_implILNS1_25lookback_scan_determinismE0ELb0ELb0ES3_PlS8_lN6thrust23THRUST_200600_302600_NS4plusIvEElEEDaPvRmT3_T4_T5_mT6_P12ihipStream_tbENKUlT_T0_E_clISt17integral_constantIbLb1EESP_IbLb0EEEEDaSL_SM_EUlSL_E0_NS1_11comp_targetILNS1_3genE10ELNS1_11target_archE1201ELNS1_3gpuE5ELNS1_3repE0EEENS1_30default_config_static_selectorELNS0_4arch9wavefront6targetE1EEEvT1_.num_named_barrier, 0
	.set _ZN7rocprim17ROCPRIM_400000_NS6detail17trampoline_kernelINS0_14default_configENS1_20scan_config_selectorIlEEZZNS1_9scan_implILNS1_25lookback_scan_determinismE0ELb0ELb0ES3_PlS8_lN6thrust23THRUST_200600_302600_NS4plusIvEElEEDaPvRmT3_T4_T5_mT6_P12ihipStream_tbENKUlT_T0_E_clISt17integral_constantIbLb1EESP_IbLb0EEEEDaSL_SM_EUlSL_E0_NS1_11comp_targetILNS1_3genE10ELNS1_11target_archE1201ELNS1_3gpuE5ELNS1_3repE0EEENS1_30default_config_static_selectorELNS0_4arch9wavefront6targetE1EEEvT1_.private_seg_size, 0
	.set _ZN7rocprim17ROCPRIM_400000_NS6detail17trampoline_kernelINS0_14default_configENS1_20scan_config_selectorIlEEZZNS1_9scan_implILNS1_25lookback_scan_determinismE0ELb0ELb0ES3_PlS8_lN6thrust23THRUST_200600_302600_NS4plusIvEElEEDaPvRmT3_T4_T5_mT6_P12ihipStream_tbENKUlT_T0_E_clISt17integral_constantIbLb1EESP_IbLb0EEEEDaSL_SM_EUlSL_E0_NS1_11comp_targetILNS1_3genE10ELNS1_11target_archE1201ELNS1_3gpuE5ELNS1_3repE0EEENS1_30default_config_static_selectorELNS0_4arch9wavefront6targetE1EEEvT1_.uses_vcc, 0
	.set _ZN7rocprim17ROCPRIM_400000_NS6detail17trampoline_kernelINS0_14default_configENS1_20scan_config_selectorIlEEZZNS1_9scan_implILNS1_25lookback_scan_determinismE0ELb0ELb0ES3_PlS8_lN6thrust23THRUST_200600_302600_NS4plusIvEElEEDaPvRmT3_T4_T5_mT6_P12ihipStream_tbENKUlT_T0_E_clISt17integral_constantIbLb1EESP_IbLb0EEEEDaSL_SM_EUlSL_E0_NS1_11comp_targetILNS1_3genE10ELNS1_11target_archE1201ELNS1_3gpuE5ELNS1_3repE0EEENS1_30default_config_static_selectorELNS0_4arch9wavefront6targetE1EEEvT1_.uses_flat_scratch, 0
	.set _ZN7rocprim17ROCPRIM_400000_NS6detail17trampoline_kernelINS0_14default_configENS1_20scan_config_selectorIlEEZZNS1_9scan_implILNS1_25lookback_scan_determinismE0ELb0ELb0ES3_PlS8_lN6thrust23THRUST_200600_302600_NS4plusIvEElEEDaPvRmT3_T4_T5_mT6_P12ihipStream_tbENKUlT_T0_E_clISt17integral_constantIbLb1EESP_IbLb0EEEEDaSL_SM_EUlSL_E0_NS1_11comp_targetILNS1_3genE10ELNS1_11target_archE1201ELNS1_3gpuE5ELNS1_3repE0EEENS1_30default_config_static_selectorELNS0_4arch9wavefront6targetE1EEEvT1_.has_dyn_sized_stack, 0
	.set _ZN7rocprim17ROCPRIM_400000_NS6detail17trampoline_kernelINS0_14default_configENS1_20scan_config_selectorIlEEZZNS1_9scan_implILNS1_25lookback_scan_determinismE0ELb0ELb0ES3_PlS8_lN6thrust23THRUST_200600_302600_NS4plusIvEElEEDaPvRmT3_T4_T5_mT6_P12ihipStream_tbENKUlT_T0_E_clISt17integral_constantIbLb1EESP_IbLb0EEEEDaSL_SM_EUlSL_E0_NS1_11comp_targetILNS1_3genE10ELNS1_11target_archE1201ELNS1_3gpuE5ELNS1_3repE0EEENS1_30default_config_static_selectorELNS0_4arch9wavefront6targetE1EEEvT1_.has_recursion, 0
	.set _ZN7rocprim17ROCPRIM_400000_NS6detail17trampoline_kernelINS0_14default_configENS1_20scan_config_selectorIlEEZZNS1_9scan_implILNS1_25lookback_scan_determinismE0ELb0ELb0ES3_PlS8_lN6thrust23THRUST_200600_302600_NS4plusIvEElEEDaPvRmT3_T4_T5_mT6_P12ihipStream_tbENKUlT_T0_E_clISt17integral_constantIbLb1EESP_IbLb0EEEEDaSL_SM_EUlSL_E0_NS1_11comp_targetILNS1_3genE10ELNS1_11target_archE1201ELNS1_3gpuE5ELNS1_3repE0EEENS1_30default_config_static_selectorELNS0_4arch9wavefront6targetE1EEEvT1_.has_indirect_call, 0
	.section	.AMDGPU.csdata,"",@progbits
; Kernel info:
; codeLenInByte = 0
; TotalNumSgprs: 6
; NumVgprs: 0
; NumAgprs: 0
; TotalNumVgprs: 0
; ScratchSize: 0
; MemoryBound: 0
; FloatMode: 240
; IeeeMode: 1
; LDSByteSize: 0 bytes/workgroup (compile time only)
; SGPRBlocks: 0
; VGPRBlocks: 0
; NumSGPRsForWavesPerEU: 6
; NumVGPRsForWavesPerEU: 1
; AccumOffset: 4
; Occupancy: 8
; WaveLimiterHint : 0
; COMPUTE_PGM_RSRC2:SCRATCH_EN: 0
; COMPUTE_PGM_RSRC2:USER_SGPR: 2
; COMPUTE_PGM_RSRC2:TRAP_HANDLER: 0
; COMPUTE_PGM_RSRC2:TGID_X_EN: 1
; COMPUTE_PGM_RSRC2:TGID_Y_EN: 0
; COMPUTE_PGM_RSRC2:TGID_Z_EN: 0
; COMPUTE_PGM_RSRC2:TIDIG_COMP_CNT: 0
; COMPUTE_PGM_RSRC3_GFX90A:ACCUM_OFFSET: 0
; COMPUTE_PGM_RSRC3_GFX90A:TG_SPLIT: 0
	.section	.text._ZN7rocprim17ROCPRIM_400000_NS6detail17trampoline_kernelINS0_14default_configENS1_20scan_config_selectorIlEEZZNS1_9scan_implILNS1_25lookback_scan_determinismE0ELb0ELb0ES3_PlS8_lN6thrust23THRUST_200600_302600_NS4plusIvEElEEDaPvRmT3_T4_T5_mT6_P12ihipStream_tbENKUlT_T0_E_clISt17integral_constantIbLb1EESP_IbLb0EEEEDaSL_SM_EUlSL_E0_NS1_11comp_targetILNS1_3genE10ELNS1_11target_archE1200ELNS1_3gpuE4ELNS1_3repE0EEENS1_30default_config_static_selectorELNS0_4arch9wavefront6targetE1EEEvT1_,"axG",@progbits,_ZN7rocprim17ROCPRIM_400000_NS6detail17trampoline_kernelINS0_14default_configENS1_20scan_config_selectorIlEEZZNS1_9scan_implILNS1_25lookback_scan_determinismE0ELb0ELb0ES3_PlS8_lN6thrust23THRUST_200600_302600_NS4plusIvEElEEDaPvRmT3_T4_T5_mT6_P12ihipStream_tbENKUlT_T0_E_clISt17integral_constantIbLb1EESP_IbLb0EEEEDaSL_SM_EUlSL_E0_NS1_11comp_targetILNS1_3genE10ELNS1_11target_archE1200ELNS1_3gpuE4ELNS1_3repE0EEENS1_30default_config_static_selectorELNS0_4arch9wavefront6targetE1EEEvT1_,comdat
	.protected	_ZN7rocprim17ROCPRIM_400000_NS6detail17trampoline_kernelINS0_14default_configENS1_20scan_config_selectorIlEEZZNS1_9scan_implILNS1_25lookback_scan_determinismE0ELb0ELb0ES3_PlS8_lN6thrust23THRUST_200600_302600_NS4plusIvEElEEDaPvRmT3_T4_T5_mT6_P12ihipStream_tbENKUlT_T0_E_clISt17integral_constantIbLb1EESP_IbLb0EEEEDaSL_SM_EUlSL_E0_NS1_11comp_targetILNS1_3genE10ELNS1_11target_archE1200ELNS1_3gpuE4ELNS1_3repE0EEENS1_30default_config_static_selectorELNS0_4arch9wavefront6targetE1EEEvT1_ ; -- Begin function _ZN7rocprim17ROCPRIM_400000_NS6detail17trampoline_kernelINS0_14default_configENS1_20scan_config_selectorIlEEZZNS1_9scan_implILNS1_25lookback_scan_determinismE0ELb0ELb0ES3_PlS8_lN6thrust23THRUST_200600_302600_NS4plusIvEElEEDaPvRmT3_T4_T5_mT6_P12ihipStream_tbENKUlT_T0_E_clISt17integral_constantIbLb1EESP_IbLb0EEEEDaSL_SM_EUlSL_E0_NS1_11comp_targetILNS1_3genE10ELNS1_11target_archE1200ELNS1_3gpuE4ELNS1_3repE0EEENS1_30default_config_static_selectorELNS0_4arch9wavefront6targetE1EEEvT1_
	.globl	_ZN7rocprim17ROCPRIM_400000_NS6detail17trampoline_kernelINS0_14default_configENS1_20scan_config_selectorIlEEZZNS1_9scan_implILNS1_25lookback_scan_determinismE0ELb0ELb0ES3_PlS8_lN6thrust23THRUST_200600_302600_NS4plusIvEElEEDaPvRmT3_T4_T5_mT6_P12ihipStream_tbENKUlT_T0_E_clISt17integral_constantIbLb1EESP_IbLb0EEEEDaSL_SM_EUlSL_E0_NS1_11comp_targetILNS1_3genE10ELNS1_11target_archE1200ELNS1_3gpuE4ELNS1_3repE0EEENS1_30default_config_static_selectorELNS0_4arch9wavefront6targetE1EEEvT1_
	.p2align	8
	.type	_ZN7rocprim17ROCPRIM_400000_NS6detail17trampoline_kernelINS0_14default_configENS1_20scan_config_selectorIlEEZZNS1_9scan_implILNS1_25lookback_scan_determinismE0ELb0ELb0ES3_PlS8_lN6thrust23THRUST_200600_302600_NS4plusIvEElEEDaPvRmT3_T4_T5_mT6_P12ihipStream_tbENKUlT_T0_E_clISt17integral_constantIbLb1EESP_IbLb0EEEEDaSL_SM_EUlSL_E0_NS1_11comp_targetILNS1_3genE10ELNS1_11target_archE1200ELNS1_3gpuE4ELNS1_3repE0EEENS1_30default_config_static_selectorELNS0_4arch9wavefront6targetE1EEEvT1_,@function
_ZN7rocprim17ROCPRIM_400000_NS6detail17trampoline_kernelINS0_14default_configENS1_20scan_config_selectorIlEEZZNS1_9scan_implILNS1_25lookback_scan_determinismE0ELb0ELb0ES3_PlS8_lN6thrust23THRUST_200600_302600_NS4plusIvEElEEDaPvRmT3_T4_T5_mT6_P12ihipStream_tbENKUlT_T0_E_clISt17integral_constantIbLb1EESP_IbLb0EEEEDaSL_SM_EUlSL_E0_NS1_11comp_targetILNS1_3genE10ELNS1_11target_archE1200ELNS1_3gpuE4ELNS1_3repE0EEENS1_30default_config_static_selectorELNS0_4arch9wavefront6targetE1EEEvT1_: ; @_ZN7rocprim17ROCPRIM_400000_NS6detail17trampoline_kernelINS0_14default_configENS1_20scan_config_selectorIlEEZZNS1_9scan_implILNS1_25lookback_scan_determinismE0ELb0ELb0ES3_PlS8_lN6thrust23THRUST_200600_302600_NS4plusIvEElEEDaPvRmT3_T4_T5_mT6_P12ihipStream_tbENKUlT_T0_E_clISt17integral_constantIbLb1EESP_IbLb0EEEEDaSL_SM_EUlSL_E0_NS1_11comp_targetILNS1_3genE10ELNS1_11target_archE1200ELNS1_3gpuE4ELNS1_3repE0EEENS1_30default_config_static_selectorELNS0_4arch9wavefront6targetE1EEEvT1_
; %bb.0:
	.section	.rodata,"a",@progbits
	.p2align	6, 0x0
	.amdhsa_kernel _ZN7rocprim17ROCPRIM_400000_NS6detail17trampoline_kernelINS0_14default_configENS1_20scan_config_selectorIlEEZZNS1_9scan_implILNS1_25lookback_scan_determinismE0ELb0ELb0ES3_PlS8_lN6thrust23THRUST_200600_302600_NS4plusIvEElEEDaPvRmT3_T4_T5_mT6_P12ihipStream_tbENKUlT_T0_E_clISt17integral_constantIbLb1EESP_IbLb0EEEEDaSL_SM_EUlSL_E0_NS1_11comp_targetILNS1_3genE10ELNS1_11target_archE1200ELNS1_3gpuE4ELNS1_3repE0EEENS1_30default_config_static_selectorELNS0_4arch9wavefront6targetE1EEEvT1_
		.amdhsa_group_segment_fixed_size 0
		.amdhsa_private_segment_fixed_size 0
		.amdhsa_kernarg_size 40
		.amdhsa_user_sgpr_count 2
		.amdhsa_user_sgpr_dispatch_ptr 0
		.amdhsa_user_sgpr_queue_ptr 0
		.amdhsa_user_sgpr_kernarg_segment_ptr 1
		.amdhsa_user_sgpr_dispatch_id 0
		.amdhsa_user_sgpr_kernarg_preload_length 0
		.amdhsa_user_sgpr_kernarg_preload_offset 0
		.amdhsa_user_sgpr_private_segment_size 0
		.amdhsa_uses_dynamic_stack 0
		.amdhsa_enable_private_segment 0
		.amdhsa_system_sgpr_workgroup_id_x 1
		.amdhsa_system_sgpr_workgroup_id_y 0
		.amdhsa_system_sgpr_workgroup_id_z 0
		.amdhsa_system_sgpr_workgroup_info 0
		.amdhsa_system_vgpr_workitem_id 0
		.amdhsa_next_free_vgpr 1
		.amdhsa_next_free_sgpr 0
		.amdhsa_accum_offset 4
		.amdhsa_reserve_vcc 0
		.amdhsa_float_round_mode_32 0
		.amdhsa_float_round_mode_16_64 0
		.amdhsa_float_denorm_mode_32 3
		.amdhsa_float_denorm_mode_16_64 3
		.amdhsa_dx10_clamp 1
		.amdhsa_ieee_mode 1
		.amdhsa_fp16_overflow 0
		.amdhsa_tg_split 0
		.amdhsa_exception_fp_ieee_invalid_op 0
		.amdhsa_exception_fp_denorm_src 0
		.amdhsa_exception_fp_ieee_div_zero 0
		.amdhsa_exception_fp_ieee_overflow 0
		.amdhsa_exception_fp_ieee_underflow 0
		.amdhsa_exception_fp_ieee_inexact 0
		.amdhsa_exception_int_div_zero 0
	.end_amdhsa_kernel
	.section	.text._ZN7rocprim17ROCPRIM_400000_NS6detail17trampoline_kernelINS0_14default_configENS1_20scan_config_selectorIlEEZZNS1_9scan_implILNS1_25lookback_scan_determinismE0ELb0ELb0ES3_PlS8_lN6thrust23THRUST_200600_302600_NS4plusIvEElEEDaPvRmT3_T4_T5_mT6_P12ihipStream_tbENKUlT_T0_E_clISt17integral_constantIbLb1EESP_IbLb0EEEEDaSL_SM_EUlSL_E0_NS1_11comp_targetILNS1_3genE10ELNS1_11target_archE1200ELNS1_3gpuE4ELNS1_3repE0EEENS1_30default_config_static_selectorELNS0_4arch9wavefront6targetE1EEEvT1_,"axG",@progbits,_ZN7rocprim17ROCPRIM_400000_NS6detail17trampoline_kernelINS0_14default_configENS1_20scan_config_selectorIlEEZZNS1_9scan_implILNS1_25lookback_scan_determinismE0ELb0ELb0ES3_PlS8_lN6thrust23THRUST_200600_302600_NS4plusIvEElEEDaPvRmT3_T4_T5_mT6_P12ihipStream_tbENKUlT_T0_E_clISt17integral_constantIbLb1EESP_IbLb0EEEEDaSL_SM_EUlSL_E0_NS1_11comp_targetILNS1_3genE10ELNS1_11target_archE1200ELNS1_3gpuE4ELNS1_3repE0EEENS1_30default_config_static_selectorELNS0_4arch9wavefront6targetE1EEEvT1_,comdat
.Lfunc_end137:
	.size	_ZN7rocprim17ROCPRIM_400000_NS6detail17trampoline_kernelINS0_14default_configENS1_20scan_config_selectorIlEEZZNS1_9scan_implILNS1_25lookback_scan_determinismE0ELb0ELb0ES3_PlS8_lN6thrust23THRUST_200600_302600_NS4plusIvEElEEDaPvRmT3_T4_T5_mT6_P12ihipStream_tbENKUlT_T0_E_clISt17integral_constantIbLb1EESP_IbLb0EEEEDaSL_SM_EUlSL_E0_NS1_11comp_targetILNS1_3genE10ELNS1_11target_archE1200ELNS1_3gpuE4ELNS1_3repE0EEENS1_30default_config_static_selectorELNS0_4arch9wavefront6targetE1EEEvT1_, .Lfunc_end137-_ZN7rocprim17ROCPRIM_400000_NS6detail17trampoline_kernelINS0_14default_configENS1_20scan_config_selectorIlEEZZNS1_9scan_implILNS1_25lookback_scan_determinismE0ELb0ELb0ES3_PlS8_lN6thrust23THRUST_200600_302600_NS4plusIvEElEEDaPvRmT3_T4_T5_mT6_P12ihipStream_tbENKUlT_T0_E_clISt17integral_constantIbLb1EESP_IbLb0EEEEDaSL_SM_EUlSL_E0_NS1_11comp_targetILNS1_3genE10ELNS1_11target_archE1200ELNS1_3gpuE4ELNS1_3repE0EEENS1_30default_config_static_selectorELNS0_4arch9wavefront6targetE1EEEvT1_
                                        ; -- End function
	.set _ZN7rocprim17ROCPRIM_400000_NS6detail17trampoline_kernelINS0_14default_configENS1_20scan_config_selectorIlEEZZNS1_9scan_implILNS1_25lookback_scan_determinismE0ELb0ELb0ES3_PlS8_lN6thrust23THRUST_200600_302600_NS4plusIvEElEEDaPvRmT3_T4_T5_mT6_P12ihipStream_tbENKUlT_T0_E_clISt17integral_constantIbLb1EESP_IbLb0EEEEDaSL_SM_EUlSL_E0_NS1_11comp_targetILNS1_3genE10ELNS1_11target_archE1200ELNS1_3gpuE4ELNS1_3repE0EEENS1_30default_config_static_selectorELNS0_4arch9wavefront6targetE1EEEvT1_.num_vgpr, 0
	.set _ZN7rocprim17ROCPRIM_400000_NS6detail17trampoline_kernelINS0_14default_configENS1_20scan_config_selectorIlEEZZNS1_9scan_implILNS1_25lookback_scan_determinismE0ELb0ELb0ES3_PlS8_lN6thrust23THRUST_200600_302600_NS4plusIvEElEEDaPvRmT3_T4_T5_mT6_P12ihipStream_tbENKUlT_T0_E_clISt17integral_constantIbLb1EESP_IbLb0EEEEDaSL_SM_EUlSL_E0_NS1_11comp_targetILNS1_3genE10ELNS1_11target_archE1200ELNS1_3gpuE4ELNS1_3repE0EEENS1_30default_config_static_selectorELNS0_4arch9wavefront6targetE1EEEvT1_.num_agpr, 0
	.set _ZN7rocprim17ROCPRIM_400000_NS6detail17trampoline_kernelINS0_14default_configENS1_20scan_config_selectorIlEEZZNS1_9scan_implILNS1_25lookback_scan_determinismE0ELb0ELb0ES3_PlS8_lN6thrust23THRUST_200600_302600_NS4plusIvEElEEDaPvRmT3_T4_T5_mT6_P12ihipStream_tbENKUlT_T0_E_clISt17integral_constantIbLb1EESP_IbLb0EEEEDaSL_SM_EUlSL_E0_NS1_11comp_targetILNS1_3genE10ELNS1_11target_archE1200ELNS1_3gpuE4ELNS1_3repE0EEENS1_30default_config_static_selectorELNS0_4arch9wavefront6targetE1EEEvT1_.numbered_sgpr, 0
	.set _ZN7rocprim17ROCPRIM_400000_NS6detail17trampoline_kernelINS0_14default_configENS1_20scan_config_selectorIlEEZZNS1_9scan_implILNS1_25lookback_scan_determinismE0ELb0ELb0ES3_PlS8_lN6thrust23THRUST_200600_302600_NS4plusIvEElEEDaPvRmT3_T4_T5_mT6_P12ihipStream_tbENKUlT_T0_E_clISt17integral_constantIbLb1EESP_IbLb0EEEEDaSL_SM_EUlSL_E0_NS1_11comp_targetILNS1_3genE10ELNS1_11target_archE1200ELNS1_3gpuE4ELNS1_3repE0EEENS1_30default_config_static_selectorELNS0_4arch9wavefront6targetE1EEEvT1_.num_named_barrier, 0
	.set _ZN7rocprim17ROCPRIM_400000_NS6detail17trampoline_kernelINS0_14default_configENS1_20scan_config_selectorIlEEZZNS1_9scan_implILNS1_25lookback_scan_determinismE0ELb0ELb0ES3_PlS8_lN6thrust23THRUST_200600_302600_NS4plusIvEElEEDaPvRmT3_T4_T5_mT6_P12ihipStream_tbENKUlT_T0_E_clISt17integral_constantIbLb1EESP_IbLb0EEEEDaSL_SM_EUlSL_E0_NS1_11comp_targetILNS1_3genE10ELNS1_11target_archE1200ELNS1_3gpuE4ELNS1_3repE0EEENS1_30default_config_static_selectorELNS0_4arch9wavefront6targetE1EEEvT1_.private_seg_size, 0
	.set _ZN7rocprim17ROCPRIM_400000_NS6detail17trampoline_kernelINS0_14default_configENS1_20scan_config_selectorIlEEZZNS1_9scan_implILNS1_25lookback_scan_determinismE0ELb0ELb0ES3_PlS8_lN6thrust23THRUST_200600_302600_NS4plusIvEElEEDaPvRmT3_T4_T5_mT6_P12ihipStream_tbENKUlT_T0_E_clISt17integral_constantIbLb1EESP_IbLb0EEEEDaSL_SM_EUlSL_E0_NS1_11comp_targetILNS1_3genE10ELNS1_11target_archE1200ELNS1_3gpuE4ELNS1_3repE0EEENS1_30default_config_static_selectorELNS0_4arch9wavefront6targetE1EEEvT1_.uses_vcc, 0
	.set _ZN7rocprim17ROCPRIM_400000_NS6detail17trampoline_kernelINS0_14default_configENS1_20scan_config_selectorIlEEZZNS1_9scan_implILNS1_25lookback_scan_determinismE0ELb0ELb0ES3_PlS8_lN6thrust23THRUST_200600_302600_NS4plusIvEElEEDaPvRmT3_T4_T5_mT6_P12ihipStream_tbENKUlT_T0_E_clISt17integral_constantIbLb1EESP_IbLb0EEEEDaSL_SM_EUlSL_E0_NS1_11comp_targetILNS1_3genE10ELNS1_11target_archE1200ELNS1_3gpuE4ELNS1_3repE0EEENS1_30default_config_static_selectorELNS0_4arch9wavefront6targetE1EEEvT1_.uses_flat_scratch, 0
	.set _ZN7rocprim17ROCPRIM_400000_NS6detail17trampoline_kernelINS0_14default_configENS1_20scan_config_selectorIlEEZZNS1_9scan_implILNS1_25lookback_scan_determinismE0ELb0ELb0ES3_PlS8_lN6thrust23THRUST_200600_302600_NS4plusIvEElEEDaPvRmT3_T4_T5_mT6_P12ihipStream_tbENKUlT_T0_E_clISt17integral_constantIbLb1EESP_IbLb0EEEEDaSL_SM_EUlSL_E0_NS1_11comp_targetILNS1_3genE10ELNS1_11target_archE1200ELNS1_3gpuE4ELNS1_3repE0EEENS1_30default_config_static_selectorELNS0_4arch9wavefront6targetE1EEEvT1_.has_dyn_sized_stack, 0
	.set _ZN7rocprim17ROCPRIM_400000_NS6detail17trampoline_kernelINS0_14default_configENS1_20scan_config_selectorIlEEZZNS1_9scan_implILNS1_25lookback_scan_determinismE0ELb0ELb0ES3_PlS8_lN6thrust23THRUST_200600_302600_NS4plusIvEElEEDaPvRmT3_T4_T5_mT6_P12ihipStream_tbENKUlT_T0_E_clISt17integral_constantIbLb1EESP_IbLb0EEEEDaSL_SM_EUlSL_E0_NS1_11comp_targetILNS1_3genE10ELNS1_11target_archE1200ELNS1_3gpuE4ELNS1_3repE0EEENS1_30default_config_static_selectorELNS0_4arch9wavefront6targetE1EEEvT1_.has_recursion, 0
	.set _ZN7rocprim17ROCPRIM_400000_NS6detail17trampoline_kernelINS0_14default_configENS1_20scan_config_selectorIlEEZZNS1_9scan_implILNS1_25lookback_scan_determinismE0ELb0ELb0ES3_PlS8_lN6thrust23THRUST_200600_302600_NS4plusIvEElEEDaPvRmT3_T4_T5_mT6_P12ihipStream_tbENKUlT_T0_E_clISt17integral_constantIbLb1EESP_IbLb0EEEEDaSL_SM_EUlSL_E0_NS1_11comp_targetILNS1_3genE10ELNS1_11target_archE1200ELNS1_3gpuE4ELNS1_3repE0EEENS1_30default_config_static_selectorELNS0_4arch9wavefront6targetE1EEEvT1_.has_indirect_call, 0
	.section	.AMDGPU.csdata,"",@progbits
; Kernel info:
; codeLenInByte = 0
; TotalNumSgprs: 6
; NumVgprs: 0
; NumAgprs: 0
; TotalNumVgprs: 0
; ScratchSize: 0
; MemoryBound: 0
; FloatMode: 240
; IeeeMode: 1
; LDSByteSize: 0 bytes/workgroup (compile time only)
; SGPRBlocks: 0
; VGPRBlocks: 0
; NumSGPRsForWavesPerEU: 6
; NumVGPRsForWavesPerEU: 1
; AccumOffset: 4
; Occupancy: 8
; WaveLimiterHint : 0
; COMPUTE_PGM_RSRC2:SCRATCH_EN: 0
; COMPUTE_PGM_RSRC2:USER_SGPR: 2
; COMPUTE_PGM_RSRC2:TRAP_HANDLER: 0
; COMPUTE_PGM_RSRC2:TGID_X_EN: 1
; COMPUTE_PGM_RSRC2:TGID_Y_EN: 0
; COMPUTE_PGM_RSRC2:TGID_Z_EN: 0
; COMPUTE_PGM_RSRC2:TIDIG_COMP_CNT: 0
; COMPUTE_PGM_RSRC3_GFX90A:ACCUM_OFFSET: 0
; COMPUTE_PGM_RSRC3_GFX90A:TG_SPLIT: 0
	.section	.text._ZN7rocprim17ROCPRIM_400000_NS6detail17trampoline_kernelINS0_14default_configENS1_20scan_config_selectorIlEEZZNS1_9scan_implILNS1_25lookback_scan_determinismE0ELb0ELb0ES3_PlS8_lN6thrust23THRUST_200600_302600_NS4plusIvEElEEDaPvRmT3_T4_T5_mT6_P12ihipStream_tbENKUlT_T0_E_clISt17integral_constantIbLb1EESP_IbLb0EEEEDaSL_SM_EUlSL_E0_NS1_11comp_targetILNS1_3genE9ELNS1_11target_archE1100ELNS1_3gpuE3ELNS1_3repE0EEENS1_30default_config_static_selectorELNS0_4arch9wavefront6targetE1EEEvT1_,"axG",@progbits,_ZN7rocprim17ROCPRIM_400000_NS6detail17trampoline_kernelINS0_14default_configENS1_20scan_config_selectorIlEEZZNS1_9scan_implILNS1_25lookback_scan_determinismE0ELb0ELb0ES3_PlS8_lN6thrust23THRUST_200600_302600_NS4plusIvEElEEDaPvRmT3_T4_T5_mT6_P12ihipStream_tbENKUlT_T0_E_clISt17integral_constantIbLb1EESP_IbLb0EEEEDaSL_SM_EUlSL_E0_NS1_11comp_targetILNS1_3genE9ELNS1_11target_archE1100ELNS1_3gpuE3ELNS1_3repE0EEENS1_30default_config_static_selectorELNS0_4arch9wavefront6targetE1EEEvT1_,comdat
	.protected	_ZN7rocprim17ROCPRIM_400000_NS6detail17trampoline_kernelINS0_14default_configENS1_20scan_config_selectorIlEEZZNS1_9scan_implILNS1_25lookback_scan_determinismE0ELb0ELb0ES3_PlS8_lN6thrust23THRUST_200600_302600_NS4plusIvEElEEDaPvRmT3_T4_T5_mT6_P12ihipStream_tbENKUlT_T0_E_clISt17integral_constantIbLb1EESP_IbLb0EEEEDaSL_SM_EUlSL_E0_NS1_11comp_targetILNS1_3genE9ELNS1_11target_archE1100ELNS1_3gpuE3ELNS1_3repE0EEENS1_30default_config_static_selectorELNS0_4arch9wavefront6targetE1EEEvT1_ ; -- Begin function _ZN7rocprim17ROCPRIM_400000_NS6detail17trampoline_kernelINS0_14default_configENS1_20scan_config_selectorIlEEZZNS1_9scan_implILNS1_25lookback_scan_determinismE0ELb0ELb0ES3_PlS8_lN6thrust23THRUST_200600_302600_NS4plusIvEElEEDaPvRmT3_T4_T5_mT6_P12ihipStream_tbENKUlT_T0_E_clISt17integral_constantIbLb1EESP_IbLb0EEEEDaSL_SM_EUlSL_E0_NS1_11comp_targetILNS1_3genE9ELNS1_11target_archE1100ELNS1_3gpuE3ELNS1_3repE0EEENS1_30default_config_static_selectorELNS0_4arch9wavefront6targetE1EEEvT1_
	.globl	_ZN7rocprim17ROCPRIM_400000_NS6detail17trampoline_kernelINS0_14default_configENS1_20scan_config_selectorIlEEZZNS1_9scan_implILNS1_25lookback_scan_determinismE0ELb0ELb0ES3_PlS8_lN6thrust23THRUST_200600_302600_NS4plusIvEElEEDaPvRmT3_T4_T5_mT6_P12ihipStream_tbENKUlT_T0_E_clISt17integral_constantIbLb1EESP_IbLb0EEEEDaSL_SM_EUlSL_E0_NS1_11comp_targetILNS1_3genE9ELNS1_11target_archE1100ELNS1_3gpuE3ELNS1_3repE0EEENS1_30default_config_static_selectorELNS0_4arch9wavefront6targetE1EEEvT1_
	.p2align	8
	.type	_ZN7rocprim17ROCPRIM_400000_NS6detail17trampoline_kernelINS0_14default_configENS1_20scan_config_selectorIlEEZZNS1_9scan_implILNS1_25lookback_scan_determinismE0ELb0ELb0ES3_PlS8_lN6thrust23THRUST_200600_302600_NS4plusIvEElEEDaPvRmT3_T4_T5_mT6_P12ihipStream_tbENKUlT_T0_E_clISt17integral_constantIbLb1EESP_IbLb0EEEEDaSL_SM_EUlSL_E0_NS1_11comp_targetILNS1_3genE9ELNS1_11target_archE1100ELNS1_3gpuE3ELNS1_3repE0EEENS1_30default_config_static_selectorELNS0_4arch9wavefront6targetE1EEEvT1_,@function
_ZN7rocprim17ROCPRIM_400000_NS6detail17trampoline_kernelINS0_14default_configENS1_20scan_config_selectorIlEEZZNS1_9scan_implILNS1_25lookback_scan_determinismE0ELb0ELb0ES3_PlS8_lN6thrust23THRUST_200600_302600_NS4plusIvEElEEDaPvRmT3_T4_T5_mT6_P12ihipStream_tbENKUlT_T0_E_clISt17integral_constantIbLb1EESP_IbLb0EEEEDaSL_SM_EUlSL_E0_NS1_11comp_targetILNS1_3genE9ELNS1_11target_archE1100ELNS1_3gpuE3ELNS1_3repE0EEENS1_30default_config_static_selectorELNS0_4arch9wavefront6targetE1EEEvT1_: ; @_ZN7rocprim17ROCPRIM_400000_NS6detail17trampoline_kernelINS0_14default_configENS1_20scan_config_selectorIlEEZZNS1_9scan_implILNS1_25lookback_scan_determinismE0ELb0ELb0ES3_PlS8_lN6thrust23THRUST_200600_302600_NS4plusIvEElEEDaPvRmT3_T4_T5_mT6_P12ihipStream_tbENKUlT_T0_E_clISt17integral_constantIbLb1EESP_IbLb0EEEEDaSL_SM_EUlSL_E0_NS1_11comp_targetILNS1_3genE9ELNS1_11target_archE1100ELNS1_3gpuE3ELNS1_3repE0EEENS1_30default_config_static_selectorELNS0_4arch9wavefront6targetE1EEEvT1_
; %bb.0:
	.section	.rodata,"a",@progbits
	.p2align	6, 0x0
	.amdhsa_kernel _ZN7rocprim17ROCPRIM_400000_NS6detail17trampoline_kernelINS0_14default_configENS1_20scan_config_selectorIlEEZZNS1_9scan_implILNS1_25lookback_scan_determinismE0ELb0ELb0ES3_PlS8_lN6thrust23THRUST_200600_302600_NS4plusIvEElEEDaPvRmT3_T4_T5_mT6_P12ihipStream_tbENKUlT_T0_E_clISt17integral_constantIbLb1EESP_IbLb0EEEEDaSL_SM_EUlSL_E0_NS1_11comp_targetILNS1_3genE9ELNS1_11target_archE1100ELNS1_3gpuE3ELNS1_3repE0EEENS1_30default_config_static_selectorELNS0_4arch9wavefront6targetE1EEEvT1_
		.amdhsa_group_segment_fixed_size 0
		.amdhsa_private_segment_fixed_size 0
		.amdhsa_kernarg_size 40
		.amdhsa_user_sgpr_count 2
		.amdhsa_user_sgpr_dispatch_ptr 0
		.amdhsa_user_sgpr_queue_ptr 0
		.amdhsa_user_sgpr_kernarg_segment_ptr 1
		.amdhsa_user_sgpr_dispatch_id 0
		.amdhsa_user_sgpr_kernarg_preload_length 0
		.amdhsa_user_sgpr_kernarg_preload_offset 0
		.amdhsa_user_sgpr_private_segment_size 0
		.amdhsa_uses_dynamic_stack 0
		.amdhsa_enable_private_segment 0
		.amdhsa_system_sgpr_workgroup_id_x 1
		.amdhsa_system_sgpr_workgroup_id_y 0
		.amdhsa_system_sgpr_workgroup_id_z 0
		.amdhsa_system_sgpr_workgroup_info 0
		.amdhsa_system_vgpr_workitem_id 0
		.amdhsa_next_free_vgpr 1
		.amdhsa_next_free_sgpr 0
		.amdhsa_accum_offset 4
		.amdhsa_reserve_vcc 0
		.amdhsa_float_round_mode_32 0
		.amdhsa_float_round_mode_16_64 0
		.amdhsa_float_denorm_mode_32 3
		.amdhsa_float_denorm_mode_16_64 3
		.amdhsa_dx10_clamp 1
		.amdhsa_ieee_mode 1
		.amdhsa_fp16_overflow 0
		.amdhsa_tg_split 0
		.amdhsa_exception_fp_ieee_invalid_op 0
		.amdhsa_exception_fp_denorm_src 0
		.amdhsa_exception_fp_ieee_div_zero 0
		.amdhsa_exception_fp_ieee_overflow 0
		.amdhsa_exception_fp_ieee_underflow 0
		.amdhsa_exception_fp_ieee_inexact 0
		.amdhsa_exception_int_div_zero 0
	.end_amdhsa_kernel
	.section	.text._ZN7rocprim17ROCPRIM_400000_NS6detail17trampoline_kernelINS0_14default_configENS1_20scan_config_selectorIlEEZZNS1_9scan_implILNS1_25lookback_scan_determinismE0ELb0ELb0ES3_PlS8_lN6thrust23THRUST_200600_302600_NS4plusIvEElEEDaPvRmT3_T4_T5_mT6_P12ihipStream_tbENKUlT_T0_E_clISt17integral_constantIbLb1EESP_IbLb0EEEEDaSL_SM_EUlSL_E0_NS1_11comp_targetILNS1_3genE9ELNS1_11target_archE1100ELNS1_3gpuE3ELNS1_3repE0EEENS1_30default_config_static_selectorELNS0_4arch9wavefront6targetE1EEEvT1_,"axG",@progbits,_ZN7rocprim17ROCPRIM_400000_NS6detail17trampoline_kernelINS0_14default_configENS1_20scan_config_selectorIlEEZZNS1_9scan_implILNS1_25lookback_scan_determinismE0ELb0ELb0ES3_PlS8_lN6thrust23THRUST_200600_302600_NS4plusIvEElEEDaPvRmT3_T4_T5_mT6_P12ihipStream_tbENKUlT_T0_E_clISt17integral_constantIbLb1EESP_IbLb0EEEEDaSL_SM_EUlSL_E0_NS1_11comp_targetILNS1_3genE9ELNS1_11target_archE1100ELNS1_3gpuE3ELNS1_3repE0EEENS1_30default_config_static_selectorELNS0_4arch9wavefront6targetE1EEEvT1_,comdat
.Lfunc_end138:
	.size	_ZN7rocprim17ROCPRIM_400000_NS6detail17trampoline_kernelINS0_14default_configENS1_20scan_config_selectorIlEEZZNS1_9scan_implILNS1_25lookback_scan_determinismE0ELb0ELb0ES3_PlS8_lN6thrust23THRUST_200600_302600_NS4plusIvEElEEDaPvRmT3_T4_T5_mT6_P12ihipStream_tbENKUlT_T0_E_clISt17integral_constantIbLb1EESP_IbLb0EEEEDaSL_SM_EUlSL_E0_NS1_11comp_targetILNS1_3genE9ELNS1_11target_archE1100ELNS1_3gpuE3ELNS1_3repE0EEENS1_30default_config_static_selectorELNS0_4arch9wavefront6targetE1EEEvT1_, .Lfunc_end138-_ZN7rocprim17ROCPRIM_400000_NS6detail17trampoline_kernelINS0_14default_configENS1_20scan_config_selectorIlEEZZNS1_9scan_implILNS1_25lookback_scan_determinismE0ELb0ELb0ES3_PlS8_lN6thrust23THRUST_200600_302600_NS4plusIvEElEEDaPvRmT3_T4_T5_mT6_P12ihipStream_tbENKUlT_T0_E_clISt17integral_constantIbLb1EESP_IbLb0EEEEDaSL_SM_EUlSL_E0_NS1_11comp_targetILNS1_3genE9ELNS1_11target_archE1100ELNS1_3gpuE3ELNS1_3repE0EEENS1_30default_config_static_selectorELNS0_4arch9wavefront6targetE1EEEvT1_
                                        ; -- End function
	.set _ZN7rocprim17ROCPRIM_400000_NS6detail17trampoline_kernelINS0_14default_configENS1_20scan_config_selectorIlEEZZNS1_9scan_implILNS1_25lookback_scan_determinismE0ELb0ELb0ES3_PlS8_lN6thrust23THRUST_200600_302600_NS4plusIvEElEEDaPvRmT3_T4_T5_mT6_P12ihipStream_tbENKUlT_T0_E_clISt17integral_constantIbLb1EESP_IbLb0EEEEDaSL_SM_EUlSL_E0_NS1_11comp_targetILNS1_3genE9ELNS1_11target_archE1100ELNS1_3gpuE3ELNS1_3repE0EEENS1_30default_config_static_selectorELNS0_4arch9wavefront6targetE1EEEvT1_.num_vgpr, 0
	.set _ZN7rocprim17ROCPRIM_400000_NS6detail17trampoline_kernelINS0_14default_configENS1_20scan_config_selectorIlEEZZNS1_9scan_implILNS1_25lookback_scan_determinismE0ELb0ELb0ES3_PlS8_lN6thrust23THRUST_200600_302600_NS4plusIvEElEEDaPvRmT3_T4_T5_mT6_P12ihipStream_tbENKUlT_T0_E_clISt17integral_constantIbLb1EESP_IbLb0EEEEDaSL_SM_EUlSL_E0_NS1_11comp_targetILNS1_3genE9ELNS1_11target_archE1100ELNS1_3gpuE3ELNS1_3repE0EEENS1_30default_config_static_selectorELNS0_4arch9wavefront6targetE1EEEvT1_.num_agpr, 0
	.set _ZN7rocprim17ROCPRIM_400000_NS6detail17trampoline_kernelINS0_14default_configENS1_20scan_config_selectorIlEEZZNS1_9scan_implILNS1_25lookback_scan_determinismE0ELb0ELb0ES3_PlS8_lN6thrust23THRUST_200600_302600_NS4plusIvEElEEDaPvRmT3_T4_T5_mT6_P12ihipStream_tbENKUlT_T0_E_clISt17integral_constantIbLb1EESP_IbLb0EEEEDaSL_SM_EUlSL_E0_NS1_11comp_targetILNS1_3genE9ELNS1_11target_archE1100ELNS1_3gpuE3ELNS1_3repE0EEENS1_30default_config_static_selectorELNS0_4arch9wavefront6targetE1EEEvT1_.numbered_sgpr, 0
	.set _ZN7rocprim17ROCPRIM_400000_NS6detail17trampoline_kernelINS0_14default_configENS1_20scan_config_selectorIlEEZZNS1_9scan_implILNS1_25lookback_scan_determinismE0ELb0ELb0ES3_PlS8_lN6thrust23THRUST_200600_302600_NS4plusIvEElEEDaPvRmT3_T4_T5_mT6_P12ihipStream_tbENKUlT_T0_E_clISt17integral_constantIbLb1EESP_IbLb0EEEEDaSL_SM_EUlSL_E0_NS1_11comp_targetILNS1_3genE9ELNS1_11target_archE1100ELNS1_3gpuE3ELNS1_3repE0EEENS1_30default_config_static_selectorELNS0_4arch9wavefront6targetE1EEEvT1_.num_named_barrier, 0
	.set _ZN7rocprim17ROCPRIM_400000_NS6detail17trampoline_kernelINS0_14default_configENS1_20scan_config_selectorIlEEZZNS1_9scan_implILNS1_25lookback_scan_determinismE0ELb0ELb0ES3_PlS8_lN6thrust23THRUST_200600_302600_NS4plusIvEElEEDaPvRmT3_T4_T5_mT6_P12ihipStream_tbENKUlT_T0_E_clISt17integral_constantIbLb1EESP_IbLb0EEEEDaSL_SM_EUlSL_E0_NS1_11comp_targetILNS1_3genE9ELNS1_11target_archE1100ELNS1_3gpuE3ELNS1_3repE0EEENS1_30default_config_static_selectorELNS0_4arch9wavefront6targetE1EEEvT1_.private_seg_size, 0
	.set _ZN7rocprim17ROCPRIM_400000_NS6detail17trampoline_kernelINS0_14default_configENS1_20scan_config_selectorIlEEZZNS1_9scan_implILNS1_25lookback_scan_determinismE0ELb0ELb0ES3_PlS8_lN6thrust23THRUST_200600_302600_NS4plusIvEElEEDaPvRmT3_T4_T5_mT6_P12ihipStream_tbENKUlT_T0_E_clISt17integral_constantIbLb1EESP_IbLb0EEEEDaSL_SM_EUlSL_E0_NS1_11comp_targetILNS1_3genE9ELNS1_11target_archE1100ELNS1_3gpuE3ELNS1_3repE0EEENS1_30default_config_static_selectorELNS0_4arch9wavefront6targetE1EEEvT1_.uses_vcc, 0
	.set _ZN7rocprim17ROCPRIM_400000_NS6detail17trampoline_kernelINS0_14default_configENS1_20scan_config_selectorIlEEZZNS1_9scan_implILNS1_25lookback_scan_determinismE0ELb0ELb0ES3_PlS8_lN6thrust23THRUST_200600_302600_NS4plusIvEElEEDaPvRmT3_T4_T5_mT6_P12ihipStream_tbENKUlT_T0_E_clISt17integral_constantIbLb1EESP_IbLb0EEEEDaSL_SM_EUlSL_E0_NS1_11comp_targetILNS1_3genE9ELNS1_11target_archE1100ELNS1_3gpuE3ELNS1_3repE0EEENS1_30default_config_static_selectorELNS0_4arch9wavefront6targetE1EEEvT1_.uses_flat_scratch, 0
	.set _ZN7rocprim17ROCPRIM_400000_NS6detail17trampoline_kernelINS0_14default_configENS1_20scan_config_selectorIlEEZZNS1_9scan_implILNS1_25lookback_scan_determinismE0ELb0ELb0ES3_PlS8_lN6thrust23THRUST_200600_302600_NS4plusIvEElEEDaPvRmT3_T4_T5_mT6_P12ihipStream_tbENKUlT_T0_E_clISt17integral_constantIbLb1EESP_IbLb0EEEEDaSL_SM_EUlSL_E0_NS1_11comp_targetILNS1_3genE9ELNS1_11target_archE1100ELNS1_3gpuE3ELNS1_3repE0EEENS1_30default_config_static_selectorELNS0_4arch9wavefront6targetE1EEEvT1_.has_dyn_sized_stack, 0
	.set _ZN7rocprim17ROCPRIM_400000_NS6detail17trampoline_kernelINS0_14default_configENS1_20scan_config_selectorIlEEZZNS1_9scan_implILNS1_25lookback_scan_determinismE0ELb0ELb0ES3_PlS8_lN6thrust23THRUST_200600_302600_NS4plusIvEElEEDaPvRmT3_T4_T5_mT6_P12ihipStream_tbENKUlT_T0_E_clISt17integral_constantIbLb1EESP_IbLb0EEEEDaSL_SM_EUlSL_E0_NS1_11comp_targetILNS1_3genE9ELNS1_11target_archE1100ELNS1_3gpuE3ELNS1_3repE0EEENS1_30default_config_static_selectorELNS0_4arch9wavefront6targetE1EEEvT1_.has_recursion, 0
	.set _ZN7rocprim17ROCPRIM_400000_NS6detail17trampoline_kernelINS0_14default_configENS1_20scan_config_selectorIlEEZZNS1_9scan_implILNS1_25lookback_scan_determinismE0ELb0ELb0ES3_PlS8_lN6thrust23THRUST_200600_302600_NS4plusIvEElEEDaPvRmT3_T4_T5_mT6_P12ihipStream_tbENKUlT_T0_E_clISt17integral_constantIbLb1EESP_IbLb0EEEEDaSL_SM_EUlSL_E0_NS1_11comp_targetILNS1_3genE9ELNS1_11target_archE1100ELNS1_3gpuE3ELNS1_3repE0EEENS1_30default_config_static_selectorELNS0_4arch9wavefront6targetE1EEEvT1_.has_indirect_call, 0
	.section	.AMDGPU.csdata,"",@progbits
; Kernel info:
; codeLenInByte = 0
; TotalNumSgprs: 6
; NumVgprs: 0
; NumAgprs: 0
; TotalNumVgprs: 0
; ScratchSize: 0
; MemoryBound: 0
; FloatMode: 240
; IeeeMode: 1
; LDSByteSize: 0 bytes/workgroup (compile time only)
; SGPRBlocks: 0
; VGPRBlocks: 0
; NumSGPRsForWavesPerEU: 6
; NumVGPRsForWavesPerEU: 1
; AccumOffset: 4
; Occupancy: 8
; WaveLimiterHint : 0
; COMPUTE_PGM_RSRC2:SCRATCH_EN: 0
; COMPUTE_PGM_RSRC2:USER_SGPR: 2
; COMPUTE_PGM_RSRC2:TRAP_HANDLER: 0
; COMPUTE_PGM_RSRC2:TGID_X_EN: 1
; COMPUTE_PGM_RSRC2:TGID_Y_EN: 0
; COMPUTE_PGM_RSRC2:TGID_Z_EN: 0
; COMPUTE_PGM_RSRC2:TIDIG_COMP_CNT: 0
; COMPUTE_PGM_RSRC3_GFX90A:ACCUM_OFFSET: 0
; COMPUTE_PGM_RSRC3_GFX90A:TG_SPLIT: 0
	.section	.text._ZN7rocprim17ROCPRIM_400000_NS6detail17trampoline_kernelINS0_14default_configENS1_20scan_config_selectorIlEEZZNS1_9scan_implILNS1_25lookback_scan_determinismE0ELb0ELb0ES3_PlS8_lN6thrust23THRUST_200600_302600_NS4plusIvEElEEDaPvRmT3_T4_T5_mT6_P12ihipStream_tbENKUlT_T0_E_clISt17integral_constantIbLb1EESP_IbLb0EEEEDaSL_SM_EUlSL_E0_NS1_11comp_targetILNS1_3genE8ELNS1_11target_archE1030ELNS1_3gpuE2ELNS1_3repE0EEENS1_30default_config_static_selectorELNS0_4arch9wavefront6targetE1EEEvT1_,"axG",@progbits,_ZN7rocprim17ROCPRIM_400000_NS6detail17trampoline_kernelINS0_14default_configENS1_20scan_config_selectorIlEEZZNS1_9scan_implILNS1_25lookback_scan_determinismE0ELb0ELb0ES3_PlS8_lN6thrust23THRUST_200600_302600_NS4plusIvEElEEDaPvRmT3_T4_T5_mT6_P12ihipStream_tbENKUlT_T0_E_clISt17integral_constantIbLb1EESP_IbLb0EEEEDaSL_SM_EUlSL_E0_NS1_11comp_targetILNS1_3genE8ELNS1_11target_archE1030ELNS1_3gpuE2ELNS1_3repE0EEENS1_30default_config_static_selectorELNS0_4arch9wavefront6targetE1EEEvT1_,comdat
	.protected	_ZN7rocprim17ROCPRIM_400000_NS6detail17trampoline_kernelINS0_14default_configENS1_20scan_config_selectorIlEEZZNS1_9scan_implILNS1_25lookback_scan_determinismE0ELb0ELb0ES3_PlS8_lN6thrust23THRUST_200600_302600_NS4plusIvEElEEDaPvRmT3_T4_T5_mT6_P12ihipStream_tbENKUlT_T0_E_clISt17integral_constantIbLb1EESP_IbLb0EEEEDaSL_SM_EUlSL_E0_NS1_11comp_targetILNS1_3genE8ELNS1_11target_archE1030ELNS1_3gpuE2ELNS1_3repE0EEENS1_30default_config_static_selectorELNS0_4arch9wavefront6targetE1EEEvT1_ ; -- Begin function _ZN7rocprim17ROCPRIM_400000_NS6detail17trampoline_kernelINS0_14default_configENS1_20scan_config_selectorIlEEZZNS1_9scan_implILNS1_25lookback_scan_determinismE0ELb0ELb0ES3_PlS8_lN6thrust23THRUST_200600_302600_NS4plusIvEElEEDaPvRmT3_T4_T5_mT6_P12ihipStream_tbENKUlT_T0_E_clISt17integral_constantIbLb1EESP_IbLb0EEEEDaSL_SM_EUlSL_E0_NS1_11comp_targetILNS1_3genE8ELNS1_11target_archE1030ELNS1_3gpuE2ELNS1_3repE0EEENS1_30default_config_static_selectorELNS0_4arch9wavefront6targetE1EEEvT1_
	.globl	_ZN7rocprim17ROCPRIM_400000_NS6detail17trampoline_kernelINS0_14default_configENS1_20scan_config_selectorIlEEZZNS1_9scan_implILNS1_25lookback_scan_determinismE0ELb0ELb0ES3_PlS8_lN6thrust23THRUST_200600_302600_NS4plusIvEElEEDaPvRmT3_T4_T5_mT6_P12ihipStream_tbENKUlT_T0_E_clISt17integral_constantIbLb1EESP_IbLb0EEEEDaSL_SM_EUlSL_E0_NS1_11comp_targetILNS1_3genE8ELNS1_11target_archE1030ELNS1_3gpuE2ELNS1_3repE0EEENS1_30default_config_static_selectorELNS0_4arch9wavefront6targetE1EEEvT1_
	.p2align	8
	.type	_ZN7rocprim17ROCPRIM_400000_NS6detail17trampoline_kernelINS0_14default_configENS1_20scan_config_selectorIlEEZZNS1_9scan_implILNS1_25lookback_scan_determinismE0ELb0ELb0ES3_PlS8_lN6thrust23THRUST_200600_302600_NS4plusIvEElEEDaPvRmT3_T4_T5_mT6_P12ihipStream_tbENKUlT_T0_E_clISt17integral_constantIbLb1EESP_IbLb0EEEEDaSL_SM_EUlSL_E0_NS1_11comp_targetILNS1_3genE8ELNS1_11target_archE1030ELNS1_3gpuE2ELNS1_3repE0EEENS1_30default_config_static_selectorELNS0_4arch9wavefront6targetE1EEEvT1_,@function
_ZN7rocprim17ROCPRIM_400000_NS6detail17trampoline_kernelINS0_14default_configENS1_20scan_config_selectorIlEEZZNS1_9scan_implILNS1_25lookback_scan_determinismE0ELb0ELb0ES3_PlS8_lN6thrust23THRUST_200600_302600_NS4plusIvEElEEDaPvRmT3_T4_T5_mT6_P12ihipStream_tbENKUlT_T0_E_clISt17integral_constantIbLb1EESP_IbLb0EEEEDaSL_SM_EUlSL_E0_NS1_11comp_targetILNS1_3genE8ELNS1_11target_archE1030ELNS1_3gpuE2ELNS1_3repE0EEENS1_30default_config_static_selectorELNS0_4arch9wavefront6targetE1EEEvT1_: ; @_ZN7rocprim17ROCPRIM_400000_NS6detail17trampoline_kernelINS0_14default_configENS1_20scan_config_selectorIlEEZZNS1_9scan_implILNS1_25lookback_scan_determinismE0ELb0ELb0ES3_PlS8_lN6thrust23THRUST_200600_302600_NS4plusIvEElEEDaPvRmT3_T4_T5_mT6_P12ihipStream_tbENKUlT_T0_E_clISt17integral_constantIbLb1EESP_IbLb0EEEEDaSL_SM_EUlSL_E0_NS1_11comp_targetILNS1_3genE8ELNS1_11target_archE1030ELNS1_3gpuE2ELNS1_3repE0EEENS1_30default_config_static_selectorELNS0_4arch9wavefront6targetE1EEEvT1_
; %bb.0:
	.section	.rodata,"a",@progbits
	.p2align	6, 0x0
	.amdhsa_kernel _ZN7rocprim17ROCPRIM_400000_NS6detail17trampoline_kernelINS0_14default_configENS1_20scan_config_selectorIlEEZZNS1_9scan_implILNS1_25lookback_scan_determinismE0ELb0ELb0ES3_PlS8_lN6thrust23THRUST_200600_302600_NS4plusIvEElEEDaPvRmT3_T4_T5_mT6_P12ihipStream_tbENKUlT_T0_E_clISt17integral_constantIbLb1EESP_IbLb0EEEEDaSL_SM_EUlSL_E0_NS1_11comp_targetILNS1_3genE8ELNS1_11target_archE1030ELNS1_3gpuE2ELNS1_3repE0EEENS1_30default_config_static_selectorELNS0_4arch9wavefront6targetE1EEEvT1_
		.amdhsa_group_segment_fixed_size 0
		.amdhsa_private_segment_fixed_size 0
		.amdhsa_kernarg_size 40
		.amdhsa_user_sgpr_count 2
		.amdhsa_user_sgpr_dispatch_ptr 0
		.amdhsa_user_sgpr_queue_ptr 0
		.amdhsa_user_sgpr_kernarg_segment_ptr 1
		.amdhsa_user_sgpr_dispatch_id 0
		.amdhsa_user_sgpr_kernarg_preload_length 0
		.amdhsa_user_sgpr_kernarg_preload_offset 0
		.amdhsa_user_sgpr_private_segment_size 0
		.amdhsa_uses_dynamic_stack 0
		.amdhsa_enable_private_segment 0
		.amdhsa_system_sgpr_workgroup_id_x 1
		.amdhsa_system_sgpr_workgroup_id_y 0
		.amdhsa_system_sgpr_workgroup_id_z 0
		.amdhsa_system_sgpr_workgroup_info 0
		.amdhsa_system_vgpr_workitem_id 0
		.amdhsa_next_free_vgpr 1
		.amdhsa_next_free_sgpr 0
		.amdhsa_accum_offset 4
		.amdhsa_reserve_vcc 0
		.amdhsa_float_round_mode_32 0
		.amdhsa_float_round_mode_16_64 0
		.amdhsa_float_denorm_mode_32 3
		.amdhsa_float_denorm_mode_16_64 3
		.amdhsa_dx10_clamp 1
		.amdhsa_ieee_mode 1
		.amdhsa_fp16_overflow 0
		.amdhsa_tg_split 0
		.amdhsa_exception_fp_ieee_invalid_op 0
		.amdhsa_exception_fp_denorm_src 0
		.amdhsa_exception_fp_ieee_div_zero 0
		.amdhsa_exception_fp_ieee_overflow 0
		.amdhsa_exception_fp_ieee_underflow 0
		.amdhsa_exception_fp_ieee_inexact 0
		.amdhsa_exception_int_div_zero 0
	.end_amdhsa_kernel
	.section	.text._ZN7rocprim17ROCPRIM_400000_NS6detail17trampoline_kernelINS0_14default_configENS1_20scan_config_selectorIlEEZZNS1_9scan_implILNS1_25lookback_scan_determinismE0ELb0ELb0ES3_PlS8_lN6thrust23THRUST_200600_302600_NS4plusIvEElEEDaPvRmT3_T4_T5_mT6_P12ihipStream_tbENKUlT_T0_E_clISt17integral_constantIbLb1EESP_IbLb0EEEEDaSL_SM_EUlSL_E0_NS1_11comp_targetILNS1_3genE8ELNS1_11target_archE1030ELNS1_3gpuE2ELNS1_3repE0EEENS1_30default_config_static_selectorELNS0_4arch9wavefront6targetE1EEEvT1_,"axG",@progbits,_ZN7rocprim17ROCPRIM_400000_NS6detail17trampoline_kernelINS0_14default_configENS1_20scan_config_selectorIlEEZZNS1_9scan_implILNS1_25lookback_scan_determinismE0ELb0ELb0ES3_PlS8_lN6thrust23THRUST_200600_302600_NS4plusIvEElEEDaPvRmT3_T4_T5_mT6_P12ihipStream_tbENKUlT_T0_E_clISt17integral_constantIbLb1EESP_IbLb0EEEEDaSL_SM_EUlSL_E0_NS1_11comp_targetILNS1_3genE8ELNS1_11target_archE1030ELNS1_3gpuE2ELNS1_3repE0EEENS1_30default_config_static_selectorELNS0_4arch9wavefront6targetE1EEEvT1_,comdat
.Lfunc_end139:
	.size	_ZN7rocprim17ROCPRIM_400000_NS6detail17trampoline_kernelINS0_14default_configENS1_20scan_config_selectorIlEEZZNS1_9scan_implILNS1_25lookback_scan_determinismE0ELb0ELb0ES3_PlS8_lN6thrust23THRUST_200600_302600_NS4plusIvEElEEDaPvRmT3_T4_T5_mT6_P12ihipStream_tbENKUlT_T0_E_clISt17integral_constantIbLb1EESP_IbLb0EEEEDaSL_SM_EUlSL_E0_NS1_11comp_targetILNS1_3genE8ELNS1_11target_archE1030ELNS1_3gpuE2ELNS1_3repE0EEENS1_30default_config_static_selectorELNS0_4arch9wavefront6targetE1EEEvT1_, .Lfunc_end139-_ZN7rocprim17ROCPRIM_400000_NS6detail17trampoline_kernelINS0_14default_configENS1_20scan_config_selectorIlEEZZNS1_9scan_implILNS1_25lookback_scan_determinismE0ELb0ELb0ES3_PlS8_lN6thrust23THRUST_200600_302600_NS4plusIvEElEEDaPvRmT3_T4_T5_mT6_P12ihipStream_tbENKUlT_T0_E_clISt17integral_constantIbLb1EESP_IbLb0EEEEDaSL_SM_EUlSL_E0_NS1_11comp_targetILNS1_3genE8ELNS1_11target_archE1030ELNS1_3gpuE2ELNS1_3repE0EEENS1_30default_config_static_selectorELNS0_4arch9wavefront6targetE1EEEvT1_
                                        ; -- End function
	.set _ZN7rocprim17ROCPRIM_400000_NS6detail17trampoline_kernelINS0_14default_configENS1_20scan_config_selectorIlEEZZNS1_9scan_implILNS1_25lookback_scan_determinismE0ELb0ELb0ES3_PlS8_lN6thrust23THRUST_200600_302600_NS4plusIvEElEEDaPvRmT3_T4_T5_mT6_P12ihipStream_tbENKUlT_T0_E_clISt17integral_constantIbLb1EESP_IbLb0EEEEDaSL_SM_EUlSL_E0_NS1_11comp_targetILNS1_3genE8ELNS1_11target_archE1030ELNS1_3gpuE2ELNS1_3repE0EEENS1_30default_config_static_selectorELNS0_4arch9wavefront6targetE1EEEvT1_.num_vgpr, 0
	.set _ZN7rocprim17ROCPRIM_400000_NS6detail17trampoline_kernelINS0_14default_configENS1_20scan_config_selectorIlEEZZNS1_9scan_implILNS1_25lookback_scan_determinismE0ELb0ELb0ES3_PlS8_lN6thrust23THRUST_200600_302600_NS4plusIvEElEEDaPvRmT3_T4_T5_mT6_P12ihipStream_tbENKUlT_T0_E_clISt17integral_constantIbLb1EESP_IbLb0EEEEDaSL_SM_EUlSL_E0_NS1_11comp_targetILNS1_3genE8ELNS1_11target_archE1030ELNS1_3gpuE2ELNS1_3repE0EEENS1_30default_config_static_selectorELNS0_4arch9wavefront6targetE1EEEvT1_.num_agpr, 0
	.set _ZN7rocprim17ROCPRIM_400000_NS6detail17trampoline_kernelINS0_14default_configENS1_20scan_config_selectorIlEEZZNS1_9scan_implILNS1_25lookback_scan_determinismE0ELb0ELb0ES3_PlS8_lN6thrust23THRUST_200600_302600_NS4plusIvEElEEDaPvRmT3_T4_T5_mT6_P12ihipStream_tbENKUlT_T0_E_clISt17integral_constantIbLb1EESP_IbLb0EEEEDaSL_SM_EUlSL_E0_NS1_11comp_targetILNS1_3genE8ELNS1_11target_archE1030ELNS1_3gpuE2ELNS1_3repE0EEENS1_30default_config_static_selectorELNS0_4arch9wavefront6targetE1EEEvT1_.numbered_sgpr, 0
	.set _ZN7rocprim17ROCPRIM_400000_NS6detail17trampoline_kernelINS0_14default_configENS1_20scan_config_selectorIlEEZZNS1_9scan_implILNS1_25lookback_scan_determinismE0ELb0ELb0ES3_PlS8_lN6thrust23THRUST_200600_302600_NS4plusIvEElEEDaPvRmT3_T4_T5_mT6_P12ihipStream_tbENKUlT_T0_E_clISt17integral_constantIbLb1EESP_IbLb0EEEEDaSL_SM_EUlSL_E0_NS1_11comp_targetILNS1_3genE8ELNS1_11target_archE1030ELNS1_3gpuE2ELNS1_3repE0EEENS1_30default_config_static_selectorELNS0_4arch9wavefront6targetE1EEEvT1_.num_named_barrier, 0
	.set _ZN7rocprim17ROCPRIM_400000_NS6detail17trampoline_kernelINS0_14default_configENS1_20scan_config_selectorIlEEZZNS1_9scan_implILNS1_25lookback_scan_determinismE0ELb0ELb0ES3_PlS8_lN6thrust23THRUST_200600_302600_NS4plusIvEElEEDaPvRmT3_T4_T5_mT6_P12ihipStream_tbENKUlT_T0_E_clISt17integral_constantIbLb1EESP_IbLb0EEEEDaSL_SM_EUlSL_E0_NS1_11comp_targetILNS1_3genE8ELNS1_11target_archE1030ELNS1_3gpuE2ELNS1_3repE0EEENS1_30default_config_static_selectorELNS0_4arch9wavefront6targetE1EEEvT1_.private_seg_size, 0
	.set _ZN7rocprim17ROCPRIM_400000_NS6detail17trampoline_kernelINS0_14default_configENS1_20scan_config_selectorIlEEZZNS1_9scan_implILNS1_25lookback_scan_determinismE0ELb0ELb0ES3_PlS8_lN6thrust23THRUST_200600_302600_NS4plusIvEElEEDaPvRmT3_T4_T5_mT6_P12ihipStream_tbENKUlT_T0_E_clISt17integral_constantIbLb1EESP_IbLb0EEEEDaSL_SM_EUlSL_E0_NS1_11comp_targetILNS1_3genE8ELNS1_11target_archE1030ELNS1_3gpuE2ELNS1_3repE0EEENS1_30default_config_static_selectorELNS0_4arch9wavefront6targetE1EEEvT1_.uses_vcc, 0
	.set _ZN7rocprim17ROCPRIM_400000_NS6detail17trampoline_kernelINS0_14default_configENS1_20scan_config_selectorIlEEZZNS1_9scan_implILNS1_25lookback_scan_determinismE0ELb0ELb0ES3_PlS8_lN6thrust23THRUST_200600_302600_NS4plusIvEElEEDaPvRmT3_T4_T5_mT6_P12ihipStream_tbENKUlT_T0_E_clISt17integral_constantIbLb1EESP_IbLb0EEEEDaSL_SM_EUlSL_E0_NS1_11comp_targetILNS1_3genE8ELNS1_11target_archE1030ELNS1_3gpuE2ELNS1_3repE0EEENS1_30default_config_static_selectorELNS0_4arch9wavefront6targetE1EEEvT1_.uses_flat_scratch, 0
	.set _ZN7rocprim17ROCPRIM_400000_NS6detail17trampoline_kernelINS0_14default_configENS1_20scan_config_selectorIlEEZZNS1_9scan_implILNS1_25lookback_scan_determinismE0ELb0ELb0ES3_PlS8_lN6thrust23THRUST_200600_302600_NS4plusIvEElEEDaPvRmT3_T4_T5_mT6_P12ihipStream_tbENKUlT_T0_E_clISt17integral_constantIbLb1EESP_IbLb0EEEEDaSL_SM_EUlSL_E0_NS1_11comp_targetILNS1_3genE8ELNS1_11target_archE1030ELNS1_3gpuE2ELNS1_3repE0EEENS1_30default_config_static_selectorELNS0_4arch9wavefront6targetE1EEEvT1_.has_dyn_sized_stack, 0
	.set _ZN7rocprim17ROCPRIM_400000_NS6detail17trampoline_kernelINS0_14default_configENS1_20scan_config_selectorIlEEZZNS1_9scan_implILNS1_25lookback_scan_determinismE0ELb0ELb0ES3_PlS8_lN6thrust23THRUST_200600_302600_NS4plusIvEElEEDaPvRmT3_T4_T5_mT6_P12ihipStream_tbENKUlT_T0_E_clISt17integral_constantIbLb1EESP_IbLb0EEEEDaSL_SM_EUlSL_E0_NS1_11comp_targetILNS1_3genE8ELNS1_11target_archE1030ELNS1_3gpuE2ELNS1_3repE0EEENS1_30default_config_static_selectorELNS0_4arch9wavefront6targetE1EEEvT1_.has_recursion, 0
	.set _ZN7rocprim17ROCPRIM_400000_NS6detail17trampoline_kernelINS0_14default_configENS1_20scan_config_selectorIlEEZZNS1_9scan_implILNS1_25lookback_scan_determinismE0ELb0ELb0ES3_PlS8_lN6thrust23THRUST_200600_302600_NS4plusIvEElEEDaPvRmT3_T4_T5_mT6_P12ihipStream_tbENKUlT_T0_E_clISt17integral_constantIbLb1EESP_IbLb0EEEEDaSL_SM_EUlSL_E0_NS1_11comp_targetILNS1_3genE8ELNS1_11target_archE1030ELNS1_3gpuE2ELNS1_3repE0EEENS1_30default_config_static_selectorELNS0_4arch9wavefront6targetE1EEEvT1_.has_indirect_call, 0
	.section	.AMDGPU.csdata,"",@progbits
; Kernel info:
; codeLenInByte = 0
; TotalNumSgprs: 6
; NumVgprs: 0
; NumAgprs: 0
; TotalNumVgprs: 0
; ScratchSize: 0
; MemoryBound: 0
; FloatMode: 240
; IeeeMode: 1
; LDSByteSize: 0 bytes/workgroup (compile time only)
; SGPRBlocks: 0
; VGPRBlocks: 0
; NumSGPRsForWavesPerEU: 6
; NumVGPRsForWavesPerEU: 1
; AccumOffset: 4
; Occupancy: 8
; WaveLimiterHint : 0
; COMPUTE_PGM_RSRC2:SCRATCH_EN: 0
; COMPUTE_PGM_RSRC2:USER_SGPR: 2
; COMPUTE_PGM_RSRC2:TRAP_HANDLER: 0
; COMPUTE_PGM_RSRC2:TGID_X_EN: 1
; COMPUTE_PGM_RSRC2:TGID_Y_EN: 0
; COMPUTE_PGM_RSRC2:TGID_Z_EN: 0
; COMPUTE_PGM_RSRC2:TIDIG_COMP_CNT: 0
; COMPUTE_PGM_RSRC3_GFX90A:ACCUM_OFFSET: 0
; COMPUTE_PGM_RSRC3_GFX90A:TG_SPLIT: 0
	.section	.text._ZN7rocprim17ROCPRIM_400000_NS6detail31init_lookback_scan_state_kernelINS1_19lookback_scan_stateIlLb0ELb1EEENS1_16block_id_wrapperIjLb1EEEEEvT_jT0_jPNS7_10value_typeE,"axG",@progbits,_ZN7rocprim17ROCPRIM_400000_NS6detail31init_lookback_scan_state_kernelINS1_19lookback_scan_stateIlLb0ELb1EEENS1_16block_id_wrapperIjLb1EEEEEvT_jT0_jPNS7_10value_typeE,comdat
	.protected	_ZN7rocprim17ROCPRIM_400000_NS6detail31init_lookback_scan_state_kernelINS1_19lookback_scan_stateIlLb0ELb1EEENS1_16block_id_wrapperIjLb1EEEEEvT_jT0_jPNS7_10value_typeE ; -- Begin function _ZN7rocprim17ROCPRIM_400000_NS6detail31init_lookback_scan_state_kernelINS1_19lookback_scan_stateIlLb0ELb1EEENS1_16block_id_wrapperIjLb1EEEEEvT_jT0_jPNS7_10value_typeE
	.globl	_ZN7rocprim17ROCPRIM_400000_NS6detail31init_lookback_scan_state_kernelINS1_19lookback_scan_stateIlLb0ELb1EEENS1_16block_id_wrapperIjLb1EEEEEvT_jT0_jPNS7_10value_typeE
	.p2align	8
	.type	_ZN7rocprim17ROCPRIM_400000_NS6detail31init_lookback_scan_state_kernelINS1_19lookback_scan_stateIlLb0ELb1EEENS1_16block_id_wrapperIjLb1EEEEEvT_jT0_jPNS7_10value_typeE,@function
_ZN7rocprim17ROCPRIM_400000_NS6detail31init_lookback_scan_state_kernelINS1_19lookback_scan_stateIlLb0ELb1EEENS1_16block_id_wrapperIjLb1EEEEEvT_jT0_jPNS7_10value_typeE: ; @_ZN7rocprim17ROCPRIM_400000_NS6detail31init_lookback_scan_state_kernelINS1_19lookback_scan_stateIlLb0ELb1EEENS1_16block_id_wrapperIjLb1EEEEEvT_jT0_jPNS7_10value_typeE
; %bb.0:
	s_load_dword s3, s[0:1], 0x34
	s_load_dwordx2 s[6:7], s[0:1], 0x20
	s_load_dwordx2 s[4:5], s[0:1], 0x0
	s_load_dword s14, s[0:1], 0x8
	s_waitcnt lgkmcnt(0)
	s_and_b32 s3, s3, 0xffff
	s_mul_i32 s2, s2, s3
	s_cmp_eq_u64 s[6:7], 0
	v_add_u32_e32 v0, s2, v0
	s_cbranch_scc1 .LBB140_8
; %bb.1:
	s_load_dword s8, s[0:1], 0x18
	s_mov_b32 s9, 0
	s_waitcnt lgkmcnt(0)
	s_cmp_lt_u32 s8, s14
	s_cselect_b32 s2, s8, 0
	v_cmp_eq_u32_e32 vcc, s2, v0
	s_and_saveexec_b64 s[2:3], vcc
	s_cbranch_execz .LBB140_7
; %bb.2:
	s_add_i32 s8, s8, 64
	s_lshl_b64 s[8:9], s[8:9], 4
	s_add_u32 s12, s4, s8
	s_addc_u32 s13, s5, s9
	v_mov_b64_e32 v[2:3], s[12:13]
	;;#ASMSTART
	global_load_dwordx4 v[2:5], v[2:3] off sc1	
s_waitcnt vmcnt(0)
	;;#ASMEND
	v_mov_b32_e32 v7, 0
	v_and_b32_e32 v6, 0xff, v4
	s_mov_b64 s[10:11], 0
	v_cmp_eq_u64_e32 vcc, 0, v[6:7]
	s_and_saveexec_b64 s[8:9], vcc
	s_cbranch_execz .LBB140_6
; %bb.3:
	v_mov_b64_e32 v[8:9], s[12:13]
.LBB140_4:                              ; =>This Inner Loop Header: Depth=1
	;;#ASMSTART
	global_load_dwordx4 v[2:5], v[8:9] off sc1	
s_waitcnt vmcnt(0)
	;;#ASMEND
	s_nop 0
	v_and_b32_e32 v6, 0xff, v4
	v_cmp_ne_u64_e32 vcc, 0, v[6:7]
	s_or_b64 s[10:11], vcc, s[10:11]
	s_andn2_b64 exec, exec, s[10:11]
	s_cbranch_execnz .LBB140_4
; %bb.5:
	s_or_b64 exec, exec, s[10:11]
.LBB140_6:
	s_or_b64 exec, exec, s[8:9]
	v_mov_b32_e32 v1, 0
	global_store_dwordx2 v1, v[2:3], s[6:7]
.LBB140_7:
	s_or_b64 exec, exec, s[2:3]
.LBB140_8:
	v_cmp_eq_u32_e32 vcc, 0, v0
	s_and_saveexec_b64 s[2:3], vcc
	s_cbranch_execnz .LBB140_12
; %bb.9:
	s_or_b64 exec, exec, s[2:3]
	v_cmp_gt_u32_e32 vcc, s14, v0
	s_and_saveexec_b64 s[0:1], vcc
	s_cbranch_execnz .LBB140_13
.LBB140_10:
	s_or_b64 exec, exec, s[0:1]
	v_cmp_gt_u32_e32 vcc, 64, v0
	s_and_saveexec_b64 s[0:1], vcc
	s_cbranch_execnz .LBB140_14
.LBB140_11:
	s_endpgm
.LBB140_12:
	s_load_dwordx2 s[0:1], s[0:1], 0x10
	v_mov_b32_e32 v1, 0
	s_waitcnt lgkmcnt(0)
	global_store_dword v1, v1, s[0:1]
	s_or_b64 exec, exec, s[2:3]
	v_cmp_gt_u32_e32 vcc, s14, v0
	s_and_saveexec_b64 s[0:1], vcc
	s_cbranch_execz .LBB140_10
.LBB140_13:
	v_add_u32_e32 v2, 64, v0
	v_mov_b32_e32 v3, 0
	v_lshl_add_u64 v[6:7], v[2:3], 4, s[4:5]
	v_mov_b32_e32 v2, v3
	v_mov_b32_e32 v4, v3
	;; [unrolled: 1-line block ×3, first 2 shown]
	global_store_dwordx4 v[6:7], v[2:5], off
	s_or_b64 exec, exec, s[0:1]
	v_cmp_gt_u32_e32 vcc, 64, v0
	s_and_saveexec_b64 s[0:1], vcc
	s_cbranch_execz .LBB140_11
.LBB140_14:
	v_mov_b32_e32 v1, 0
	v_lshl_add_u64 v[4:5], v[0:1], 4, s[4:5]
	v_mov_b32_e32 v2, 0xff
	v_mov_b32_e32 v0, v1
	;; [unrolled: 1-line block ×3, first 2 shown]
	global_store_dwordx4 v[4:5], v[0:3], off
	s_endpgm
	.section	.rodata,"a",@progbits
	.p2align	6, 0x0
	.amdhsa_kernel _ZN7rocprim17ROCPRIM_400000_NS6detail31init_lookback_scan_state_kernelINS1_19lookback_scan_stateIlLb0ELb1EEENS1_16block_id_wrapperIjLb1EEEEEvT_jT0_jPNS7_10value_typeE
		.amdhsa_group_segment_fixed_size 0
		.amdhsa_private_segment_fixed_size 0
		.amdhsa_kernarg_size 296
		.amdhsa_user_sgpr_count 2
		.amdhsa_user_sgpr_dispatch_ptr 0
		.amdhsa_user_sgpr_queue_ptr 0
		.amdhsa_user_sgpr_kernarg_segment_ptr 1
		.amdhsa_user_sgpr_dispatch_id 0
		.amdhsa_user_sgpr_kernarg_preload_length 0
		.amdhsa_user_sgpr_kernarg_preload_offset 0
		.amdhsa_user_sgpr_private_segment_size 0
		.amdhsa_uses_dynamic_stack 0
		.amdhsa_enable_private_segment 0
		.amdhsa_system_sgpr_workgroup_id_x 1
		.amdhsa_system_sgpr_workgroup_id_y 0
		.amdhsa_system_sgpr_workgroup_id_z 0
		.amdhsa_system_sgpr_workgroup_info 0
		.amdhsa_system_vgpr_workitem_id 0
		.amdhsa_next_free_vgpr 10
		.amdhsa_next_free_sgpr 15
		.amdhsa_accum_offset 12
		.amdhsa_reserve_vcc 1
		.amdhsa_float_round_mode_32 0
		.amdhsa_float_round_mode_16_64 0
		.amdhsa_float_denorm_mode_32 3
		.amdhsa_float_denorm_mode_16_64 3
		.amdhsa_dx10_clamp 1
		.amdhsa_ieee_mode 1
		.amdhsa_fp16_overflow 0
		.amdhsa_tg_split 0
		.amdhsa_exception_fp_ieee_invalid_op 0
		.amdhsa_exception_fp_denorm_src 0
		.amdhsa_exception_fp_ieee_div_zero 0
		.amdhsa_exception_fp_ieee_overflow 0
		.amdhsa_exception_fp_ieee_underflow 0
		.amdhsa_exception_fp_ieee_inexact 0
		.amdhsa_exception_int_div_zero 0
	.end_amdhsa_kernel
	.section	.text._ZN7rocprim17ROCPRIM_400000_NS6detail31init_lookback_scan_state_kernelINS1_19lookback_scan_stateIlLb0ELb1EEENS1_16block_id_wrapperIjLb1EEEEEvT_jT0_jPNS7_10value_typeE,"axG",@progbits,_ZN7rocprim17ROCPRIM_400000_NS6detail31init_lookback_scan_state_kernelINS1_19lookback_scan_stateIlLb0ELb1EEENS1_16block_id_wrapperIjLb1EEEEEvT_jT0_jPNS7_10value_typeE,comdat
.Lfunc_end140:
	.size	_ZN7rocprim17ROCPRIM_400000_NS6detail31init_lookback_scan_state_kernelINS1_19lookback_scan_stateIlLb0ELb1EEENS1_16block_id_wrapperIjLb1EEEEEvT_jT0_jPNS7_10value_typeE, .Lfunc_end140-_ZN7rocprim17ROCPRIM_400000_NS6detail31init_lookback_scan_state_kernelINS1_19lookback_scan_stateIlLb0ELb1EEENS1_16block_id_wrapperIjLb1EEEEEvT_jT0_jPNS7_10value_typeE
                                        ; -- End function
	.set _ZN7rocprim17ROCPRIM_400000_NS6detail31init_lookback_scan_state_kernelINS1_19lookback_scan_stateIlLb0ELb1EEENS1_16block_id_wrapperIjLb1EEEEEvT_jT0_jPNS7_10value_typeE.num_vgpr, 10
	.set _ZN7rocprim17ROCPRIM_400000_NS6detail31init_lookback_scan_state_kernelINS1_19lookback_scan_stateIlLb0ELb1EEENS1_16block_id_wrapperIjLb1EEEEEvT_jT0_jPNS7_10value_typeE.num_agpr, 0
	.set _ZN7rocprim17ROCPRIM_400000_NS6detail31init_lookback_scan_state_kernelINS1_19lookback_scan_stateIlLb0ELb1EEENS1_16block_id_wrapperIjLb1EEEEEvT_jT0_jPNS7_10value_typeE.numbered_sgpr, 15
	.set _ZN7rocprim17ROCPRIM_400000_NS6detail31init_lookback_scan_state_kernelINS1_19lookback_scan_stateIlLb0ELb1EEENS1_16block_id_wrapperIjLb1EEEEEvT_jT0_jPNS7_10value_typeE.num_named_barrier, 0
	.set _ZN7rocprim17ROCPRIM_400000_NS6detail31init_lookback_scan_state_kernelINS1_19lookback_scan_stateIlLb0ELb1EEENS1_16block_id_wrapperIjLb1EEEEEvT_jT0_jPNS7_10value_typeE.private_seg_size, 0
	.set _ZN7rocprim17ROCPRIM_400000_NS6detail31init_lookback_scan_state_kernelINS1_19lookback_scan_stateIlLb0ELb1EEENS1_16block_id_wrapperIjLb1EEEEEvT_jT0_jPNS7_10value_typeE.uses_vcc, 1
	.set _ZN7rocprim17ROCPRIM_400000_NS6detail31init_lookback_scan_state_kernelINS1_19lookback_scan_stateIlLb0ELb1EEENS1_16block_id_wrapperIjLb1EEEEEvT_jT0_jPNS7_10value_typeE.uses_flat_scratch, 0
	.set _ZN7rocprim17ROCPRIM_400000_NS6detail31init_lookback_scan_state_kernelINS1_19lookback_scan_stateIlLb0ELb1EEENS1_16block_id_wrapperIjLb1EEEEEvT_jT0_jPNS7_10value_typeE.has_dyn_sized_stack, 0
	.set _ZN7rocprim17ROCPRIM_400000_NS6detail31init_lookback_scan_state_kernelINS1_19lookback_scan_stateIlLb0ELb1EEENS1_16block_id_wrapperIjLb1EEEEEvT_jT0_jPNS7_10value_typeE.has_recursion, 0
	.set _ZN7rocprim17ROCPRIM_400000_NS6detail31init_lookback_scan_state_kernelINS1_19lookback_scan_stateIlLb0ELb1EEENS1_16block_id_wrapperIjLb1EEEEEvT_jT0_jPNS7_10value_typeE.has_indirect_call, 0
	.section	.AMDGPU.csdata,"",@progbits
; Kernel info:
; codeLenInByte = 444
; TotalNumSgprs: 21
; NumVgprs: 10
; NumAgprs: 0
; TotalNumVgprs: 10
; ScratchSize: 0
; MemoryBound: 0
; FloatMode: 240
; IeeeMode: 1
; LDSByteSize: 0 bytes/workgroup (compile time only)
; SGPRBlocks: 2
; VGPRBlocks: 1
; NumSGPRsForWavesPerEU: 21
; NumVGPRsForWavesPerEU: 10
; AccumOffset: 12
; Occupancy: 8
; WaveLimiterHint : 0
; COMPUTE_PGM_RSRC2:SCRATCH_EN: 0
; COMPUTE_PGM_RSRC2:USER_SGPR: 2
; COMPUTE_PGM_RSRC2:TRAP_HANDLER: 0
; COMPUTE_PGM_RSRC2:TGID_X_EN: 1
; COMPUTE_PGM_RSRC2:TGID_Y_EN: 0
; COMPUTE_PGM_RSRC2:TGID_Z_EN: 0
; COMPUTE_PGM_RSRC2:TIDIG_COMP_CNT: 0
; COMPUTE_PGM_RSRC3_GFX90A:ACCUM_OFFSET: 2
; COMPUTE_PGM_RSRC3_GFX90A:TG_SPLIT: 0
	.section	.text._ZN7rocprim17ROCPRIM_400000_NS6detail17trampoline_kernelINS0_14default_configENS1_20scan_config_selectorIlEEZZNS1_9scan_implILNS1_25lookback_scan_determinismE0ELb0ELb0ES3_PlS8_lN6thrust23THRUST_200600_302600_NS4plusIvEElEEDaPvRmT3_T4_T5_mT6_P12ihipStream_tbENKUlT_T0_E_clISt17integral_constantIbLb0EESP_IbLb1EEEEDaSL_SM_EUlSL_E_NS1_11comp_targetILNS1_3genE0ELNS1_11target_archE4294967295ELNS1_3gpuE0ELNS1_3repE0EEENS1_30default_config_static_selectorELNS0_4arch9wavefront6targetE1EEEvT1_,"axG",@progbits,_ZN7rocprim17ROCPRIM_400000_NS6detail17trampoline_kernelINS0_14default_configENS1_20scan_config_selectorIlEEZZNS1_9scan_implILNS1_25lookback_scan_determinismE0ELb0ELb0ES3_PlS8_lN6thrust23THRUST_200600_302600_NS4plusIvEElEEDaPvRmT3_T4_T5_mT6_P12ihipStream_tbENKUlT_T0_E_clISt17integral_constantIbLb0EESP_IbLb1EEEEDaSL_SM_EUlSL_E_NS1_11comp_targetILNS1_3genE0ELNS1_11target_archE4294967295ELNS1_3gpuE0ELNS1_3repE0EEENS1_30default_config_static_selectorELNS0_4arch9wavefront6targetE1EEEvT1_,comdat
	.protected	_ZN7rocprim17ROCPRIM_400000_NS6detail17trampoline_kernelINS0_14default_configENS1_20scan_config_selectorIlEEZZNS1_9scan_implILNS1_25lookback_scan_determinismE0ELb0ELb0ES3_PlS8_lN6thrust23THRUST_200600_302600_NS4plusIvEElEEDaPvRmT3_T4_T5_mT6_P12ihipStream_tbENKUlT_T0_E_clISt17integral_constantIbLb0EESP_IbLb1EEEEDaSL_SM_EUlSL_E_NS1_11comp_targetILNS1_3genE0ELNS1_11target_archE4294967295ELNS1_3gpuE0ELNS1_3repE0EEENS1_30default_config_static_selectorELNS0_4arch9wavefront6targetE1EEEvT1_ ; -- Begin function _ZN7rocprim17ROCPRIM_400000_NS6detail17trampoline_kernelINS0_14default_configENS1_20scan_config_selectorIlEEZZNS1_9scan_implILNS1_25lookback_scan_determinismE0ELb0ELb0ES3_PlS8_lN6thrust23THRUST_200600_302600_NS4plusIvEElEEDaPvRmT3_T4_T5_mT6_P12ihipStream_tbENKUlT_T0_E_clISt17integral_constantIbLb0EESP_IbLb1EEEEDaSL_SM_EUlSL_E_NS1_11comp_targetILNS1_3genE0ELNS1_11target_archE4294967295ELNS1_3gpuE0ELNS1_3repE0EEENS1_30default_config_static_selectorELNS0_4arch9wavefront6targetE1EEEvT1_
	.globl	_ZN7rocprim17ROCPRIM_400000_NS6detail17trampoline_kernelINS0_14default_configENS1_20scan_config_selectorIlEEZZNS1_9scan_implILNS1_25lookback_scan_determinismE0ELb0ELb0ES3_PlS8_lN6thrust23THRUST_200600_302600_NS4plusIvEElEEDaPvRmT3_T4_T5_mT6_P12ihipStream_tbENKUlT_T0_E_clISt17integral_constantIbLb0EESP_IbLb1EEEEDaSL_SM_EUlSL_E_NS1_11comp_targetILNS1_3genE0ELNS1_11target_archE4294967295ELNS1_3gpuE0ELNS1_3repE0EEENS1_30default_config_static_selectorELNS0_4arch9wavefront6targetE1EEEvT1_
	.p2align	8
	.type	_ZN7rocprim17ROCPRIM_400000_NS6detail17trampoline_kernelINS0_14default_configENS1_20scan_config_selectorIlEEZZNS1_9scan_implILNS1_25lookback_scan_determinismE0ELb0ELb0ES3_PlS8_lN6thrust23THRUST_200600_302600_NS4plusIvEElEEDaPvRmT3_T4_T5_mT6_P12ihipStream_tbENKUlT_T0_E_clISt17integral_constantIbLb0EESP_IbLb1EEEEDaSL_SM_EUlSL_E_NS1_11comp_targetILNS1_3genE0ELNS1_11target_archE4294967295ELNS1_3gpuE0ELNS1_3repE0EEENS1_30default_config_static_selectorELNS0_4arch9wavefront6targetE1EEEvT1_,@function
_ZN7rocprim17ROCPRIM_400000_NS6detail17trampoline_kernelINS0_14default_configENS1_20scan_config_selectorIlEEZZNS1_9scan_implILNS1_25lookback_scan_determinismE0ELb0ELb0ES3_PlS8_lN6thrust23THRUST_200600_302600_NS4plusIvEElEEDaPvRmT3_T4_T5_mT6_P12ihipStream_tbENKUlT_T0_E_clISt17integral_constantIbLb0EESP_IbLb1EEEEDaSL_SM_EUlSL_E_NS1_11comp_targetILNS1_3genE0ELNS1_11target_archE4294967295ELNS1_3gpuE0ELNS1_3repE0EEENS1_30default_config_static_selectorELNS0_4arch9wavefront6targetE1EEEvT1_: ; @_ZN7rocprim17ROCPRIM_400000_NS6detail17trampoline_kernelINS0_14default_configENS1_20scan_config_selectorIlEEZZNS1_9scan_implILNS1_25lookback_scan_determinismE0ELb0ELb0ES3_PlS8_lN6thrust23THRUST_200600_302600_NS4plusIvEElEEDaPvRmT3_T4_T5_mT6_P12ihipStream_tbENKUlT_T0_E_clISt17integral_constantIbLb0EESP_IbLb1EEEEDaSL_SM_EUlSL_E_NS1_11comp_targetILNS1_3genE0ELNS1_11target_archE4294967295ELNS1_3gpuE0ELNS1_3repE0EEENS1_30default_config_static_selectorELNS0_4arch9wavefront6targetE1EEEvT1_
; %bb.0:
	s_load_dwordx2 s[28:29], s[0:1], 0x30
	v_cmp_ne_u32_e64 s[2:3], 0, v0
	v_cmp_eq_u32_e64 s[4:5], 0, v0
	s_and_saveexec_b64 s[6:7], s[4:5]
	s_cbranch_execz .LBB141_4
; %bb.1:
	s_mov_b64 s[10:11], exec
	v_mbcnt_lo_u32_b32 v1, s10, 0
	v_mbcnt_hi_u32_b32 v1, s11, v1
	v_cmp_eq_u32_e32 vcc, 0, v1
                                        ; implicit-def: $vgpr2
	s_and_saveexec_b64 s[8:9], vcc
	s_cbranch_execz .LBB141_3
; %bb.2:
	s_load_dwordx2 s[12:13], s[0:1], 0x60
	s_bcnt1_i32_b64 s10, s[10:11]
	v_mov_b32_e32 v2, 0
	v_mov_b32_e32 v3, s10
	s_waitcnt lgkmcnt(0)
	global_atomic_add v2, v2, v3, s[12:13] sc0
.LBB141_3:
	s_or_b64 exec, exec, s[8:9]
	s_waitcnt vmcnt(0)
	v_readfirstlane_b32 s8, v2
	v_mov_b32_e32 v2, 0
	s_nop 0
	v_add_u32_e32 v1, s8, v1
	ds_write_b32 v2, v1
.LBB141_4:
	s_or_b64 exec, exec, s[6:7]
	s_load_dwordx8 s[20:27], s[0:1], 0x0
	s_load_dword s6, s[0:1], 0x38
	s_load_dwordx8 s[12:19], s[0:1], 0x40
	v_mov_b32_e32 v27, 0
	s_waitcnt lgkmcnt(0)
	s_barrier
	ds_read_b32 v1, v27
	s_lshl_b64 s[22:23], s[22:23], 3
	s_add_u32 s7, s20, s22
	s_addc_u32 s10, s21, s23
	s_add_i32 s0, s6, -1
	s_waitcnt lgkmcnt(0)
	v_readfirstlane_b32 s33, v1
	s_mul_i32 s1, s0, 0x600
	s_mul_i32 s8, s33, 0x600
	s_mov_b32 s9, 0
	s_sub_u32 s30, s26, s1
	s_subb_u32 s31, s27, 0
	s_lshl_b64 s[20:21], s[8:9], 3
	v_cmp_ne_u32_e64 s[0:1], s0, v1
	s_add_u32 s8, s7, s20
	s_addc_u32 s9, s10, s21
	s_mov_b64 s[6:7], -1
	s_and_b64 vcc, exec, s[0:1]
	v_lshlrev_b32_e32 v26, 3, v0
	s_barrier
	s_cbranch_vccz .LBB141_6
; %bb.5:
	v_lshl_add_u64 v[2:3], s[8:9], 0, v[26:27]
	v_add_co_u32_e32 v8, vcc, 0x1000, v2
	global_load_dwordx2 v[4:5], v26, s[8:9]
	global_load_dwordx2 v[6:7], v26, s[8:9] offset:2048
	v_addc_co_u32_e32 v9, vcc, 0, v3, vcc
	v_add_co_u32_e32 v2, vcc, 0x2000, v2
	s_mov_b64 s[6:7], 0
	s_nop 0
	v_addc_co_u32_e32 v3, vcc, 0, v3, vcc
	global_load_dwordx2 v[10:11], v[8:9], off
	global_load_dwordx2 v[12:13], v[8:9], off offset:2048
	global_load_dwordx2 v[14:15], v[2:3], off
	global_load_dwordx2 v[16:17], v[2:3], off offset:2048
	s_waitcnt vmcnt(4)
	ds_write2st64_b64 v26, v[4:5], v[6:7] offset1:4
	s_waitcnt vmcnt(2)
	ds_write2st64_b64 v26, v[10:11], v[12:13] offset0:8 offset1:12
	s_waitcnt vmcnt(0)
	ds_write2st64_b64 v26, v[14:15], v[16:17] offset0:16 offset1:20
	s_waitcnt lgkmcnt(0)
	s_barrier
.LBB141_6:
	s_andn2_b64 vcc, exec, s[6:7]
	v_cmp_gt_u32_e64 s[6:7], s30, v0
	s_cbranch_vccnz .LBB141_20
; %bb.7:
	v_mov_b32_e32 v1, 0
	global_load_dwordx2 v[2:3], v1, s[8:9]
	s_waitcnt vmcnt(0)
	v_mov_b32_e32 v4, v2
	v_mov_b32_e32 v5, v3
	v_mov_b32_e32 v6, v2
	v_mov_b32_e32 v7, v3
	v_mov_b32_e32 v8, v2
	v_mov_b32_e32 v9, v3
	v_mov_b32_e32 v10, v2
	v_mov_b32_e32 v11, v3
	v_mov_b64_e32 v[18:19], v[14:15]
	v_mov_b64_e32 v[16:17], v[12:13]
	;; [unrolled: 1-line block ×8, first 2 shown]
	s_and_saveexec_b64 s[10:11], s[6:7]
	s_cbranch_execz .LBB141_9
; %bb.8:
	global_load_dwordx2 v[20:21], v26, s[8:9]
	v_mov_b32_e32 v4, v2
	v_mov_b32_e32 v5, v3
	;; [unrolled: 1-line block ×8, first 2 shown]
	v_mov_b64_e32 v[18:19], v[14:15]
	v_mov_b64_e32 v[16:17], v[12:13]
	;; [unrolled: 1-line block ×8, first 2 shown]
	s_waitcnt vmcnt(0)
	v_mov_b64_e32 v[2:3], v[20:21]
.LBB141_9:
	s_or_b64 exec, exec, s[10:11]
	v_or_b32_e32 v1, 0x100, v0
	v_cmp_gt_u32_e32 vcc, s30, v1
	s_and_saveexec_b64 s[6:7], vcc
	s_cbranch_execz .LBB141_11
; %bb.10:
	global_load_dwordx2 v[6:7], v26, s[8:9] offset:2048
.LBB141_11:
	s_or_b64 exec, exec, s[6:7]
	v_or_b32_e32 v1, 0x200, v0
	v_cmp_gt_u32_e32 vcc, s30, v1
	s_and_saveexec_b64 s[6:7], vcc
	s_cbranch_execz .LBB141_13
; %bb.12:
	v_lshlrev_b32_e32 v1, 3, v1
	global_load_dwordx2 v[8:9], v1, s[8:9]
.LBB141_13:
	s_or_b64 exec, exec, s[6:7]
	v_or_b32_e32 v1, 0x300, v0
	v_cmp_gt_u32_e32 vcc, s30, v1
	s_and_saveexec_b64 s[6:7], vcc
	s_cbranch_execz .LBB141_15
; %bb.14:
	v_lshlrev_b32_e32 v1, 3, v1
	global_load_dwordx2 v[10:11], v1, s[8:9]
.LBB141_15:
	;; [unrolled: 9-line block ×4, first 2 shown]
	s_or_b64 exec, exec, s[6:7]
	s_waitcnt vmcnt(0)
	ds_write2st64_b64 v26, v[2:3], v[6:7] offset1:4
	ds_write2st64_b64 v26, v[8:9], v[10:11] offset0:8 offset1:12
	ds_write2st64_b64 v26, v[12:13], v[14:15] offset0:16 offset1:20
	s_waitcnt lgkmcnt(0)
	s_barrier
.LBB141_20:
	v_mul_u32_u24_e32 v1, 48, v0
	ds_read_b128 v[10:13], v1
	ds_read_b128 v[6:9], v1 offset:16
	ds_read_b128 v[2:5], v1 offset:32
	s_cmp_lg_u32 s33, 0
	v_mbcnt_lo_u32_b32 v27, -1, 0
	s_waitcnt lgkmcnt(0)
	s_barrier
	s_cbranch_scc0 .LBB141_48
; %bb.21:
	v_lshl_add_u64 v[14:15], v[12:13], 0, v[10:11]
	v_lshl_add_u64 v[14:15], v[14:15], 0, v[6:7]
	;; [unrolled: 1-line block ×5, first 2 shown]
	v_mov_b32_e32 v18, 0
	v_mbcnt_hi_u32_b32 v32, -1, v27
	v_mov_b32_dpp v16, v14 row_shr:1 row_mask:0xf bank_mask:0xf
	v_mov_b32_e32 v17, v18
	v_and_b32_e32 v20, 15, v32
	v_mov_b32_dpp v19, v15 row_shr:1 row_mask:0xf bank_mask:0xf
	v_lshl_add_u64 v[16:17], v[14:15], 0, v[16:17]
	v_lshl_add_u64 v[18:19], v[18:19], 0, v[16:17]
	v_cmp_eq_u32_e32 vcc, 0, v20
	v_cmp_eq_u32_e64 s[6:7], 0, v32
	v_cmp_ne_u32_e64 s[8:9], 0, v32
	v_cndmask_b32_e32 v21, v16, v14, vcc
	v_cndmask_b32_e32 v17, v19, v15, vcc
	v_cndmask_b32_e32 v16, v18, v14, vcc
	v_mov_b32_dpp v18, v21 row_shr:2 row_mask:0xf bank_mask:0xf
	v_mov_b32_dpp v19, v17 row_shr:2 row_mask:0xf bank_mask:0xf
	v_lshl_add_u64 v[18:19], v[18:19], 0, v[16:17]
	v_cmp_lt_u32_e32 vcc, 1, v20
	s_nop 1
	v_cndmask_b32_e32 v21, v21, v18, vcc
	v_cndmask_b32_e32 v17, v17, v19, vcc
	v_cndmask_b32_e32 v16, v16, v18, vcc
	v_mov_b32_dpp v18, v21 row_shr:4 row_mask:0xf bank_mask:0xf
	v_mov_b32_dpp v19, v17 row_shr:4 row_mask:0xf bank_mask:0xf
	v_lshl_add_u64 v[18:19], v[18:19], 0, v[16:17]
	v_cmp_lt_u32_e32 vcc, 3, v20
	s_nop 1
	;; [unrolled: 8-line block ×3, first 2 shown]
	v_cndmask_b32_e32 v20, v21, v18, vcc
	v_cndmask_b32_e32 v17, v17, v19, vcc
	;; [unrolled: 1-line block ×3, first 2 shown]
	v_mov_b32_dpp v18, v20 row_bcast:15 row_mask:0xf bank_mask:0xf
	v_mov_b32_dpp v19, v17 row_bcast:15 row_mask:0xf bank_mask:0xf
	v_and_b32_e32 v21, 16, v32
	v_lshl_add_u64 v[18:19], v[18:19], 0, v[16:17]
	v_cmp_eq_u32_e32 vcc, 0, v21
	s_nop 1
	v_cndmask_b32_e32 v21, v19, v17, vcc
	v_cndmask_b32_e32 v20, v18, v20, vcc
	s_nop 0
	v_mov_b32_dpp v21, v21 row_bcast:31 row_mask:0xf bank_mask:0xf
	v_mov_b32_dpp v20, v20 row_bcast:31 row_mask:0xf bank_mask:0xf
	s_and_saveexec_b64 s[10:11], s[8:9]
; %bb.22:
	v_cndmask_b32_e32 v15, v19, v17, vcc
	v_cndmask_b32_e32 v14, v18, v16, vcc
	v_cmp_lt_u32_e32 vcc, 31, v32
	s_nop 1
	v_cndmask_b32_e32 v17, 0, v21, vcc
	v_cndmask_b32_e32 v16, 0, v20, vcc
	v_lshl_add_u64 v[14:15], v[16:17], 0, v[14:15]
; %bb.23:
	s_or_b64 exec, exec, s[10:11]
	v_or_b32_e32 v17, 63, v0
	v_lshrrev_b32_e32 v16, 6, v0
	v_cmp_eq_u32_e32 vcc, v0, v17
	s_and_saveexec_b64 s[8:9], vcc
; %bb.24:
	v_lshlrev_b32_e32 v17, 3, v16
	ds_write_b64 v17, v[14:15]
; %bb.25:
	s_or_b64 exec, exec, s[8:9]
	v_cmp_gt_u32_e32 vcc, 4, v0
	s_waitcnt lgkmcnt(0)
	s_barrier
	s_and_saveexec_b64 s[10:11], vcc
	s_cbranch_execz .LBB141_27
; %bb.26:
	ds_read_b64 v[18:19], v26
	v_mov_b32_e32 v20, 0
	v_mov_b32_e32 v23, v20
	v_and_b32_e32 v17, 3, v32
	v_cmp_eq_u32_e32 vcc, 0, v17
	s_waitcnt lgkmcnt(0)
	v_mov_b32_dpp v22, v18 row_shr:1 row_mask:0xf bank_mask:0xf
	v_mov_b32_dpp v21, v19 row_shr:1 row_mask:0xf bank_mask:0xf
	v_lshl_add_u64 v[22:23], v[18:19], 0, v[22:23]
	v_lshl_add_u64 v[20:21], v[20:21], 0, v[22:23]
	v_cndmask_b32_e32 v23, v21, v19, vcc
	v_cndmask_b32_e32 v22, v22, v18, vcc
	v_cmp_ne_u32_e64 s[8:9], 1, v17
	v_mov_b32_dpp v23, v23 row_shr:2 row_mask:0xf bank_mask:0xf
	v_mov_b32_dpp v22, v22 row_shr:2 row_mask:0xf bank_mask:0xf
	v_cndmask_b32_e64 v22, 0, v22, s[8:9]
	v_cndmask_b32_e64 v23, 0, v23, s[8:9]
	v_lshl_add_u64 v[20:21], v[22:23], 0, v[20:21]
	v_cndmask_b32_e32 v19, v21, v19, vcc
	v_cndmask_b32_e32 v18, v20, v18, vcc
	ds_write_b64 v26, v[18:19]
.LBB141_27:
	s_or_b64 exec, exec, s[10:11]
	v_cmp_gt_u32_e32 vcc, 64, v0
	v_cmp_lt_u32_e64 s[8:9], 63, v0
	s_waitcnt lgkmcnt(0)
	s_barrier
                                        ; implicit-def: $vgpr22_vgpr23
	s_and_saveexec_b64 s[10:11], s[8:9]
	s_cbranch_execz .LBB141_29
; %bb.28:
	v_lshl_add_u32 v16, v16, 3, -8
	ds_read_b64 v[22:23], v16
	s_waitcnt lgkmcnt(0)
	v_lshl_add_u64 v[14:15], v[22:23], 0, v[14:15]
.LBB141_29:
	s_or_b64 exec, exec, s[10:11]
	v_add_u32_e32 v16, -1, v32
	v_and_b32_e32 v17, 64, v32
	v_cmp_lt_i32_e64 s[8:9], v16, v17
	s_nop 1
	v_cndmask_b32_e64 v16, v16, v32, s[8:9]
	v_lshlrev_b32_e32 v16, 2, v16
	ds_bpermute_b32 v35, v16, v14
	ds_bpermute_b32 v34, v16, v15
	s_and_saveexec_b64 s[26:27], vcc
	s_cbranch_execz .LBB141_53
; %bb.30:
	v_mov_b32_e32 v17, 0
	ds_read_b64 v[14:15], v17 offset:24
	s_and_saveexec_b64 s[8:9], s[6:7]
	s_cbranch_execz .LBB141_32
; %bb.31:
	s_add_i32 s10, s33, 64
	s_mov_b32 s11, 0
	s_lshl_b64 s[10:11], s[10:11], 4
	s_add_u32 s10, s28, s10
	s_addc_u32 s11, s29, s11
	v_mov_b32_e32 v16, 1
	v_mov_b64_e32 v[18:19], s[10:11]
	s_waitcnt lgkmcnt(0)
	;;#ASMSTART
	global_store_dwordx4 v[18:19], v[14:17] off sc1	
s_waitcnt vmcnt(0)
	;;#ASMEND
.LBB141_32:
	s_or_b64 exec, exec, s[8:9]
	v_xad_u32 v24, v32, -1, s33
	v_add_u32_e32 v16, 64, v24
	v_lshl_add_u64 v[28:29], v[16:17], 4, s[28:29]
	;;#ASMSTART
	global_load_dwordx4 v[18:21], v[28:29] off sc1	
s_waitcnt vmcnt(0)
	;;#ASMEND
	s_nop 0
	v_cmp_eq_u16_sdwa s[10:11], v20, v17 src0_sel:BYTE_0 src1_sel:DWORD
	s_and_saveexec_b64 s[8:9], s[10:11]
	s_cbranch_execz .LBB141_36
; %bb.33:
	s_mov_b64 s[10:11], 0
	v_mov_b32_e32 v16, 0
.LBB141_34:                             ; =>This Inner Loop Header: Depth=1
	;;#ASMSTART
	global_load_dwordx4 v[18:21], v[28:29] off sc1	
s_waitcnt vmcnt(0)
	;;#ASMEND
	s_nop 0
	v_cmp_ne_u16_sdwa s[34:35], v20, v16 src0_sel:BYTE_0 src1_sel:DWORD
	s_or_b64 s[10:11], s[34:35], s[10:11]
	s_andn2_b64 exec, exec, s[10:11]
	s_cbranch_execnz .LBB141_34
; %bb.35:
	s_or_b64 exec, exec, s[10:11]
.LBB141_36:
	s_or_b64 exec, exec, s[8:9]
	v_mov_b32_e32 v36, 2
	v_cmp_eq_u16_sdwa s[8:9], v20, v36 src0_sel:BYTE_0 src1_sel:DWORD
	v_lshlrev_b64 v[16:17], v32, -1
	v_and_b32_e32 v37, 63, v32
	v_and_b32_e32 v21, s9, v17
	v_or_b32_e32 v21, 0x80000000, v21
	v_and_b32_e32 v25, s8, v16
	v_ffbl_b32_e32 v21, v21
	v_add_u32_e32 v21, 32, v21
	v_ffbl_b32_e32 v25, v25
	v_cmp_ne_u32_e32 vcc, 63, v37
	v_min_u32_e32 v21, v25, v21
	v_cmp_lt_u32_e64 s[8:9], v37, v21
	v_addc_co_u32_e32 v25, vcc, 0, v32, vcc
	v_lshlrev_b32_e32 v38, 2, v25
	ds_bpermute_b32 v28, v38, v18
	ds_bpermute_b32 v31, v38, v19
	v_mov_b32_e32 v25, 0
	v_mov_b32_e32 v29, v25
	;; [unrolled: 1-line block ×3, first 2 shown]
	s_waitcnt lgkmcnt(1)
	v_lshl_add_u64 v[28:29], v[18:19], 0, v[28:29]
	v_cmp_gt_u32_e32 vcc, 62, v37
	s_waitcnt lgkmcnt(0)
	v_lshl_add_u64 v[30:31], v[30:31], 0, v[28:29]
	v_cndmask_b32_e64 v33, v18, v28, s[8:9]
	v_cndmask_b32_e64 v28, 0, 2, vcc
	v_cndmask_b32_e64 v29, v19, v31, s[8:9]
	v_add_lshl_u32 v39, v28, v32, 2
	ds_bpermute_b32 v42, v39, v33
	ds_bpermute_b32 v43, v39, v29
	v_cndmask_b32_e64 v28, v18, v30, s[8:9]
	v_add_u32_e32 v40, 2, v37
	v_cmp_gt_u32_e32 vcc, v40, v21
	v_cmp_gt_u32_e64 s[10:11], 60, v37
	s_waitcnt lgkmcnt(0)
	v_lshl_add_u64 v[30:31], v[42:43], 0, v[28:29]
	v_cndmask_b32_e32 v29, v31, v29, vcc
	v_cndmask_b32_e64 v31, 0, 4, s[10:11]
	v_cndmask_b32_e32 v33, v30, v33, vcc
	v_add_lshl_u32 v41, v31, v32, 2
	ds_bpermute_b32 v44, v41, v33
	ds_bpermute_b32 v45, v41, v29
	v_cndmask_b32_e32 v28, v30, v28, vcc
	v_add_u32_e32 v42, 4, v37
	v_cmp_gt_u32_e32 vcc, v42, v21
	v_cmp_gt_u32_e64 s[10:11], 56, v37
	s_waitcnt lgkmcnt(0)
	v_lshl_add_u64 v[30:31], v[44:45], 0, v[28:29]
	v_cndmask_b32_e32 v29, v31, v29, vcc
	v_cndmask_b32_e64 v31, 0, 8, s[10:11]
	v_cndmask_b32_e32 v33, v30, v33, vcc
	v_add_lshl_u32 v43, v31, v32, 2
	ds_bpermute_b32 v46, v43, v33
	ds_bpermute_b32 v47, v43, v29
	v_cndmask_b32_e32 v28, v30, v28, vcc
	;; [unrolled: 12-line block ×3, first 2 shown]
	v_add_u32_e32 v46, 16, v37
	v_cmp_gt_u32_e32 vcc, v46, v21
	v_mov_b32_e32 v47, 0x80
	s_waitcnt lgkmcnt(0)
	v_lshl_add_u64 v[30:31], v[48:49], 0, v[28:29]
	v_cndmask_b32_e32 v48, v31, v29, vcc
	v_cndmask_b32_e32 v33, v30, v33, vcc
	v_lshl_or_b32 v47, v32, 2, v47
	ds_bpermute_b32 v32, v47, v33
	ds_bpermute_b32 v33, v47, v48
	v_add_u32_e32 v48, 32, v37
	s_and_saveexec_b64 s[10:11], s[8:9]
	s_cbranch_execz .LBB141_38
; %bb.37:
	v_cndmask_b32_e32 v19, v31, v29, vcc
	v_cndmask_b32_e32 v18, v30, v28, vcc
	v_cmp_le_u32_e32 vcc, v48, v21
	s_waitcnt lgkmcnt(0)
	s_nop 0
	v_cndmask_b32_e32 v29, 0, v33, vcc
	v_cndmask_b32_e32 v28, 0, v32, vcc
	v_lshl_add_u64 v[18:19], v[28:29], 0, v[18:19]
.LBB141_38:
	s_or_b64 exec, exec, s[10:11]
	s_branch .LBB141_41
.LBB141_39:                             ;   in Loop: Header=BB141_41 Depth=1
	s_or_b64 exec, exec, s[10:11]
	v_subrev_u32_e32 v24, 64, v24
	v_lshl_add_u64 v[18:19], v[18:19], 0, v[28:29]
	s_mov_b64 s[8:9], 0
.LBB141_40:                             ;   in Loop: Header=BB141_41 Depth=1
	s_and_b64 vcc, exec, s[8:9]
	s_cbranch_vccnz .LBB141_49
.LBB141_41:                             ; =>This Loop Header: Depth=1
                                        ;     Child Loop BB141_44 Depth 2
	v_cmp_ne_u16_sdwa s[8:9], v20, v36 src0_sel:BYTE_0 src1_sel:DWORD
	v_mov_b64_e32 v[28:29], v[18:19]
	s_cmp_lg_u64 s[8:9], exec
	s_mov_b64 s[8:9], -1
                                        ; implicit-def: $vgpr18_vgpr19
	s_cbranch_scc1 .LBB141_40
; %bb.42:                               ;   in Loop: Header=BB141_41 Depth=1
	v_lshl_add_u64 v[30:31], v[24:25], 4, s[28:29]
	;;#ASMSTART
	global_load_dwordx4 v[18:21], v[30:31] off sc1	
s_waitcnt vmcnt(0)
	;;#ASMEND
	s_nop 0
	v_cmp_eq_u16_sdwa s[10:11], v20, v25 src0_sel:BYTE_0 src1_sel:DWORD
	s_and_saveexec_b64 s[8:9], s[10:11]
	s_cbranch_execz .LBB141_46
; %bb.43:                               ;   in Loop: Header=BB141_41 Depth=1
	s_mov_b64 s[10:11], 0
.LBB141_44:                             ;   Parent Loop BB141_41 Depth=1
                                        ; =>  This Inner Loop Header: Depth=2
	;;#ASMSTART
	global_load_dwordx4 v[18:21], v[30:31] off sc1	
s_waitcnt vmcnt(0)
	;;#ASMEND
	s_nop 0
	v_cmp_ne_u16_sdwa s[34:35], v20, v25 src0_sel:BYTE_0 src1_sel:DWORD
	s_or_b64 s[10:11], s[34:35], s[10:11]
	s_andn2_b64 exec, exec, s[10:11]
	s_cbranch_execnz .LBB141_44
; %bb.45:                               ;   in Loop: Header=BB141_41 Depth=1
	s_or_b64 exec, exec, s[10:11]
.LBB141_46:                             ;   in Loop: Header=BB141_41 Depth=1
	s_or_b64 exec, exec, s[8:9]
	v_cmp_eq_u16_sdwa s[8:9], v20, v36 src0_sel:BYTE_0 src1_sel:DWORD
	s_waitcnt lgkmcnt(0)
	ds_bpermute_b32 v33, v38, v19
	v_mov_b32_e32 v32, v25
	v_and_b32_e32 v30, s8, v16
	v_and_b32_e32 v21, s9, v17
	v_ffbl_b32_e32 v31, v30
	ds_bpermute_b32 v30, v38, v18
	v_or_b32_e32 v21, 0x80000000, v21
	v_ffbl_b32_e32 v21, v21
	v_add_u32_e32 v21, 32, v21
	v_min_u32_e32 v21, v31, v21
	v_mov_b32_e32 v31, v25
	s_waitcnt lgkmcnt(0)
	v_lshl_add_u64 v[30:31], v[18:19], 0, v[30:31]
	v_lshl_add_u64 v[32:33], v[32:33], 0, v[30:31]
	v_cmp_lt_u32_e64 s[8:9], v37, v21
	v_cmp_gt_u32_e32 vcc, v40, v21
	s_nop 0
	v_cndmask_b32_e64 v49, v18, v30, s[8:9]
	v_cndmask_b32_e64 v31, v19, v33, s[8:9]
	ds_bpermute_b32 v50, v39, v49
	ds_bpermute_b32 v51, v39, v31
	v_cndmask_b32_e64 v30, v18, v32, s[8:9]
	s_waitcnt lgkmcnt(0)
	v_lshl_add_u64 v[32:33], v[50:51], 0, v[30:31]
	v_cndmask_b32_e32 v49, v32, v49, vcc
	v_cndmask_b32_e32 v31, v33, v31, vcc
	ds_bpermute_b32 v50, v41, v49
	ds_bpermute_b32 v51, v41, v31
	v_cndmask_b32_e32 v30, v32, v30, vcc
	v_cmp_gt_u32_e32 vcc, v42, v21
	s_waitcnt lgkmcnt(0)
	v_lshl_add_u64 v[32:33], v[50:51], 0, v[30:31]
	v_cndmask_b32_e32 v49, v32, v49, vcc
	v_cndmask_b32_e32 v31, v33, v31, vcc
	ds_bpermute_b32 v50, v43, v49
	ds_bpermute_b32 v51, v43, v31
	v_cndmask_b32_e32 v30, v32, v30, vcc
	v_cmp_gt_u32_e32 vcc, v44, v21
	;; [unrolled: 8-line block ×3, first 2 shown]
	s_waitcnt lgkmcnt(0)
	v_lshl_add_u64 v[32:33], v[50:51], 0, v[30:31]
	v_cndmask_b32_e32 v50, v33, v31, vcc
	v_cndmask_b32_e32 v49, v32, v49, vcc
	ds_bpermute_b32 v49, v47, v49
	ds_bpermute_b32 v50, v47, v50
	s_and_saveexec_b64 s[10:11], s[8:9]
	s_cbranch_execz .LBB141_39
; %bb.47:                               ;   in Loop: Header=BB141_41 Depth=1
	v_cndmask_b32_e32 v19, v33, v31, vcc
	v_cndmask_b32_e32 v18, v32, v30, vcc
	v_cmp_le_u32_e32 vcc, v48, v21
	s_waitcnt lgkmcnt(0)
	s_nop 0
	v_cndmask_b32_e32 v31, 0, v50, vcc
	v_cndmask_b32_e32 v30, 0, v49, vcc
	v_lshl_add_u64 v[18:19], v[30:31], 0, v[18:19]
	s_branch .LBB141_39
.LBB141_48:
                                        ; implicit-def: $vgpr20_vgpr21
                                        ; implicit-def: $vgpr24_vgpr25
                                        ; implicit-def: $vgpr16_vgpr17
	s_cbranch_execnz .LBB141_54
	s_branch .LBB141_69
.LBB141_49:
	s_and_saveexec_b64 s[8:9], s[6:7]
	s_cbranch_execz .LBB141_51
; %bb.50:
	s_add_i32 s10, s33, 64
	s_mov_b32 s11, 0
	s_lshl_b64 s[10:11], s[10:11], 4
	s_add_u32 s10, s28, s10
	s_addc_u32 s11, s29, s11
	v_lshl_add_u64 v[14:15], v[28:29], 0, v[14:15]
	v_mov_b32_e32 v16, 2
	v_mov_b32_e32 v17, 0
	v_mov_b64_e32 v[18:19], s[10:11]
	;;#ASMSTART
	global_store_dwordx4 v[18:19], v[14:17] off sc1	
s_waitcnt vmcnt(0)
	;;#ASMEND
.LBB141_51:
	s_or_b64 exec, exec, s[8:9]
	s_and_b64 exec, exec, s[4:5]
; %bb.52:
	v_mov_b32_e32 v14, 0
	ds_write_b64 v14, v[28:29] offset:24
.LBB141_53:
	s_or_b64 exec, exec, s[26:27]
	v_mov_b32_e32 v14, 0
	s_waitcnt lgkmcnt(0)
	s_barrier
	ds_read_b64 v[14:15], v14 offset:24
	v_cndmask_b32_e64 v16, v35, v22, s[6:7]
	v_cndmask_b32_e64 v17, v34, v23, s[6:7]
	v_cndmask_b32_e64 v17, v17, 0, s[4:5]
	v_cndmask_b32_e64 v16, v16, 0, s[4:5]
	v_lshl_add_u64 v[16:17], v[16:17], 0, v[10:11]
	s_waitcnt lgkmcnt(0)
	v_lshl_add_u64 v[14:15], v[16:17], 0, v[14:15]
	v_lshl_add_u64 v[16:17], v[14:15], 0, v[12:13]
	;; [unrolled: 1-line block ×6, first 2 shown]
	s_branch .LBB141_69
.LBB141_54:
	s_cmp_lg_u64 s[16:17], 0
	s_cselect_b64 s[6:7], -1, 0
	s_and_b64 s[6:7], s[4:5], s[6:7]
	v_mov_b64_e32 v[14:15], v[10:11]
	s_and_saveexec_b64 s[4:5], s[6:7]
	s_cbranch_execz .LBB141_56
; %bb.55:
	v_mov_b32_e32 v14, 0
	global_load_dwordx2 v[14:15], v14, s[12:13]
	s_waitcnt vmcnt(0)
	v_lshl_add_u64 v[14:15], v[14:15], 0, v[10:11]
.LBB141_56:
	s_or_b64 exec, exec, s[4:5]
	v_lshl_add_u64 v[16:17], v[12:13], 0, v[14:15]
	v_lshl_add_u64 v[22:23], v[16:17], 0, v[6:7]
	;; [unrolled: 1-line block ×5, first 2 shown]
	v_mov_b32_e32 v28, 0
	v_mbcnt_hi_u32_b32 v27, -1, v27
	v_mov_b32_dpp v10, v20 row_shr:1 row_mask:0xf bank_mask:0xf
	v_mov_b32_e32 v11, v28
	v_and_b32_e32 v30, 15, v27
	v_mov_b32_dpp v29, v21 row_shr:1 row_mask:0xf bank_mask:0xf
	v_lshl_add_u64 v[10:11], v[20:21], 0, v[10:11]
	v_lshl_add_u64 v[28:29], v[10:11], 0, v[28:29]
	v_cmp_eq_u32_e32 vcc, 0, v30
	v_and_b32_e32 v33, 16, v27
	v_cmp_eq_u32_e64 s[4:5], 0, v33
	v_cndmask_b32_e32 v31, v10, v20, vcc
	v_cndmask_b32_e32 v11, v29, v21, vcc
	v_cndmask_b32_e32 v10, v28, v20, vcc
	v_mov_b32_dpp v28, v31 row_shr:2 row_mask:0xf bank_mask:0xf
	v_mov_b32_dpp v29, v11 row_shr:2 row_mask:0xf bank_mask:0xf
	v_lshl_add_u64 v[28:29], v[28:29], 0, v[10:11]
	v_cmp_lt_u32_e32 vcc, 1, v30
	v_cmp_ne_u32_e64 s[6:7], 0, v27
	s_nop 0
	v_cndmask_b32_e32 v31, v31, v28, vcc
	v_cndmask_b32_e32 v11, v11, v29, vcc
	;; [unrolled: 1-line block ×3, first 2 shown]
	v_mov_b32_dpp v28, v31 row_shr:4 row_mask:0xf bank_mask:0xf
	v_mov_b32_dpp v29, v11 row_shr:4 row_mask:0xf bank_mask:0xf
	v_lshl_add_u64 v[28:29], v[28:29], 0, v[10:11]
	v_cmp_lt_u32_e32 vcc, 3, v30
	s_nop 1
	v_cndmask_b32_e32 v31, v31, v28, vcc
	v_cndmask_b32_e32 v11, v11, v29, vcc
	;; [unrolled: 1-line block ×3, first 2 shown]
	v_mov_b32_dpp v28, v31 row_shr:8 row_mask:0xf bank_mask:0xf
	v_mov_b32_dpp v29, v11 row_shr:8 row_mask:0xf bank_mask:0xf
	v_lshl_add_u64 v[28:29], v[28:29], 0, v[10:11]
	v_cmp_lt_u32_e32 vcc, 7, v30
	s_nop 1
	v_cndmask_b32_e32 v32, v31, v28, vcc
	v_cndmask_b32_e32 v29, v11, v29, vcc
	;; [unrolled: 1-line block ×3, first 2 shown]
	v_mov_b32_dpp v10, v32 row_bcast:15 row_mask:0xf bank_mask:0xf
	v_mov_b32_dpp v11, v29 row_bcast:15 row_mask:0xf bank_mask:0xf
	v_lshl_add_u64 v[30:31], v[10:11], 0, v[28:29]
	v_cndmask_b32_e64 v10, v31, v29, s[4:5]
	v_cndmask_b32_e64 v11, v30, v32, s[4:5]
	v_cmp_eq_u32_e32 vcc, 0, v27
	v_mov_b32_dpp v33, v10 row_bcast:31 row_mask:0xf bank_mask:0xf
	v_mov_b32_dpp v32, v11 row_bcast:31 row_mask:0xf bank_mask:0xf
	v_mov_b64_e32 v[10:11], v[20:21]
	s_and_saveexec_b64 s[8:9], s[6:7]
; %bb.57:
	v_cndmask_b32_e64 v11, v31, v29, s[4:5]
	v_cndmask_b32_e64 v10, v30, v28, s[4:5]
	v_cmp_lt_u32_e64 s[4:5], 31, v27
	s_nop 1
	v_cndmask_b32_e64 v29, 0, v33, s[4:5]
	v_cndmask_b32_e64 v28, 0, v32, s[4:5]
	v_lshl_add_u64 v[10:11], v[28:29], 0, v[10:11]
; %bb.58:
	s_or_b64 exec, exec, s[8:9]
	v_or_b32_e32 v28, 63, v0
	v_lshrrev_b32_e32 v30, 6, v0
	v_cmp_eq_u32_e64 s[4:5], v0, v28
	s_and_saveexec_b64 s[6:7], s[4:5]
; %bb.59:
	v_lshlrev_b32_e32 v28, 3, v30
	ds_write_b64 v28, v[10:11]
; %bb.60:
	s_or_b64 exec, exec, s[6:7]
	v_cmp_gt_u32_e64 s[4:5], 4, v0
	s_waitcnt lgkmcnt(0)
	s_barrier
	s_and_saveexec_b64 s[8:9], s[4:5]
	s_cbranch_execz .LBB141_62
; %bb.61:
	s_movk_i32 s4, 0xffd8
	v_mad_i32_i24 v31, v0, s4, v1
	ds_read_b64 v[28:29], v31
	v_mov_b32_e32 v32, 0
	v_mov_b32_e32 v35, v32
	v_and_b32_e32 v36, 3, v27
	v_cmp_eq_u32_e64 s[4:5], 0, v36
	s_waitcnt lgkmcnt(0)
	v_mov_b32_dpp v34, v28 row_shr:1 row_mask:0xf bank_mask:0xf
	v_mov_b32_dpp v33, v29 row_shr:1 row_mask:0xf bank_mask:0xf
	v_lshl_add_u64 v[34:35], v[28:29], 0, v[34:35]
	v_lshl_add_u64 v[32:33], v[32:33], 0, v[34:35]
	v_cndmask_b32_e64 v35, v33, v29, s[4:5]
	v_cndmask_b32_e64 v34, v34, v28, s[4:5]
	v_cmp_ne_u32_e64 s[6:7], 1, v36
	v_mov_b32_dpp v35, v35 row_shr:2 row_mask:0xf bank_mask:0xf
	v_mov_b32_dpp v34, v34 row_shr:2 row_mask:0xf bank_mask:0xf
	v_cndmask_b32_e64 v34, 0, v34, s[6:7]
	v_cndmask_b32_e64 v35, 0, v35, s[6:7]
	v_lshl_add_u64 v[32:33], v[34:35], 0, v[32:33]
	v_cndmask_b32_e64 v29, v33, v29, s[4:5]
	v_cndmask_b32_e64 v28, v32, v28, s[4:5]
	ds_write_b64 v31, v[28:29]
.LBB141_62:
	s_or_b64 exec, exec, s[8:9]
	v_cmp_lt_u32_e64 s[4:5], 63, v0
	s_waitcnt lgkmcnt(0)
	s_barrier
                                        ; implicit-def: $vgpr28_vgpr29
	s_and_saveexec_b64 s[6:7], s[4:5]
	s_cbranch_execz .LBB141_64
; %bb.63:
	v_lshl_add_u32 v28, v30, 3, -8
	ds_read_b64 v[28:29], v28
	s_waitcnt lgkmcnt(0)
	v_lshl_add_u64 v[10:11], v[28:29], 0, v[10:11]
.LBB141_64:
	s_or_b64 exec, exec, s[6:7]
	v_add_u32_e32 v30, -1, v27
	v_and_b32_e32 v31, 64, v27
	v_cmp_lt_i32_e64 s[4:5], v30, v31
	s_nop 1
	v_cndmask_b32_e64 v27, v30, v27, s[4:5]
	v_lshlrev_b32_e32 v27, 2, v27
	ds_bpermute_b32 v10, v27, v10
	ds_bpermute_b32 v11, v27, v11
	s_and_saveexec_b64 s[4:5], s[2:3]
	s_cbranch_execz .LBB141_66
; %bb.65:
	s_waitcnt lgkmcnt(0)
	v_cndmask_b32_e32 v11, v11, v29, vcc
	v_cndmask_b32_e32 v10, v10, v28, vcc
	v_lshl_add_u64 v[14:15], v[10:11], 0, v[14:15]
	v_lshl_add_u64 v[16:17], v[14:15], 0, v[12:13]
	;; [unrolled: 1-line block ×6, first 2 shown]
	;;#ASMSTART
	;;#ASMEND
.LBB141_66:
	s_or_b64 exec, exec, s[4:5]
	s_movk_i32 s2, 0xff
	v_cmp_eq_u32_e32 vcc, s2, v0
	s_and_saveexec_b64 s[2:3], vcc
	s_cbranch_execz .LBB141_68
; %bb.67:
	s_add_u32 s4, s28, 0x400
	s_addc_u32 s5, s29, 0
	v_mov_b32_e32 v4, 2
	v_mov_b32_e32 v5, 0
	;; [unrolled: 1-line block ×4, first 2 shown]
	v_mov_b64_e32 v[6:7], s[4:5]
	;;#ASMSTART
	global_store_dwordx4 v[6:7], v[2:5] off sc1	
s_waitcnt vmcnt(0)
	;;#ASMEND
.LBB141_68:
	s_or_b64 exec, exec, s[2:3]
.LBB141_69:
	s_add_u32 s2, s24, s22
	s_addc_u32 s3, s25, s23
	s_add_u32 s2, s2, s20
	s_addc_u32 s3, s3, s21
	s_mov_b64 s[4:5], -1
	s_and_b64 vcc, exec, s[0:1]
	s_waitcnt lgkmcnt(0)
	s_barrier
	s_cbranch_vccz .LBB141_71
; %bb.70:
	ds_write_b128 v1, v[14:17]
	ds_write_b128 v1, v[22:25] offset:16
	ds_write_b128 v1, v[18:21] offset:32
	s_waitcnt lgkmcnt(0)
	s_barrier
	ds_read2st64_b64 v[2:5], v26 offset1:4
	ds_read2st64_b64 v[6:9], v26 offset0:8 offset1:12
	ds_read2st64_b64 v[10:13], v26 offset0:16 offset1:20
	v_mov_b32_e32 v27, 0
	v_lshl_add_u64 v[28:29], s[2:3], 0, v[26:27]
	s_waitcnt lgkmcnt(2)
	global_store_dwordx2 v26, v[2:3], s[2:3]
	global_store_dwordx2 v26, v[4:5], s[2:3] offset:2048
	v_add_co_u32_e32 v2, vcc, 0x1000, v28
	s_mov_b64 s[4:5], 0
	s_nop 0
	v_addc_co_u32_e32 v3, vcc, 0, v29, vcc
	s_waitcnt lgkmcnt(1)
	global_store_dwordx2 v[2:3], v[6:7], off
	global_store_dwordx2 v[2:3], v[8:9], off offset:2048
	v_add_co_u32_e32 v2, vcc, 0x2000, v28
	s_nop 1
	v_addc_co_u32_e32 v3, vcc, 0, v29, vcc
	s_waitcnt lgkmcnt(0)
	global_store_dwordx2 v[2:3], v[10:11], off
	global_store_dwordx2 v[2:3], v[12:13], off offset:2048
.LBB141_71:
	s_andn2_b64 vcc, exec, s[4:5]
	s_cbranch_vccnz .LBB141_104
; %bb.72:
	ds_write_b128 v1, v[14:17]
	ds_write_b128 v1, v[22:25] offset:16
	ds_write_b128 v1, v[18:21] offset:32
	s_waitcnt lgkmcnt(0)
	s_barrier
	ds_read2st64_b64 v[4:7], v26 offset1:4
	ds_read2st64_b64 v[8:11], v26 offset0:8 offset1:12
	ds_read2st64_b64 v[12:15], v26 offset0:16 offset1:20
	v_mov_b32_e32 v27, 0
	v_lshl_add_u64 v[2:3], s[2:3], 0, v[26:27]
	v_cmp_gt_u32_e32 vcc, s30, v0
	s_and_saveexec_b64 s[0:1], vcc
	s_cbranch_execz .LBB141_74
; %bb.73:
	s_waitcnt lgkmcnt(2)
	global_store_dwordx2 v[2:3], v[4:5], off
.LBB141_74:
	s_or_b64 exec, exec, s[0:1]
	v_or_b32_e32 v1, 0x100, v0
	v_cmp_gt_u32_e32 vcc, s30, v1
	s_and_saveexec_b64 s[0:1], vcc
	s_cbranch_execz .LBB141_76
; %bb.75:
	s_waitcnt lgkmcnt(2)
	global_store_dwordx2 v[2:3], v[6:7], off offset:2048
.LBB141_76:
	s_or_b64 exec, exec, s[0:1]
	v_or_b32_e32 v1, 0x200, v0
	v_cmp_gt_u32_e32 vcc, s30, v1
	s_and_saveexec_b64 s[0:1], vcc
	s_cbranch_execz .LBB141_78
; %bb.77:
	v_add_co_u32_e32 v16, vcc, 0x1000, v2
	s_nop 1
	v_addc_co_u32_e32 v17, vcc, 0, v3, vcc
	s_waitcnt lgkmcnt(1)
	global_store_dwordx2 v[16:17], v[8:9], off
.LBB141_78:
	s_or_b64 exec, exec, s[0:1]
	v_or_b32_e32 v1, 0x300, v0
	v_cmp_gt_u32_e32 vcc, s30, v1
	s_and_saveexec_b64 s[0:1], vcc
	s_cbranch_execz .LBB141_80
; %bb.79:
	v_add_co_u32_e32 v16, vcc, 0x1000, v2
	s_nop 1
	v_addc_co_u32_e32 v17, vcc, 0, v3, vcc
	s_waitcnt lgkmcnt(1)
	global_store_dwordx2 v[16:17], v[10:11], off offset:2048
.LBB141_80:
	s_or_b64 exec, exec, s[0:1]
	v_or_b32_e32 v1, 0x400, v0
	v_cmp_gt_u32_e32 vcc, s30, v1
	s_and_saveexec_b64 s[0:1], vcc
	s_cbranch_execz .LBB141_82
; %bb.81:
	v_add_co_u32_e32 v16, vcc, 0x2000, v2
	s_nop 1
	v_addc_co_u32_e32 v17, vcc, 0, v3, vcc
	s_waitcnt lgkmcnt(0)
	global_store_dwordx2 v[16:17], v[12:13], off
.LBB141_82:
	s_or_b64 exec, exec, s[0:1]
	v_or_b32_e32 v1, 0x500, v0
	v_cmp_gt_u32_e32 vcc, s30, v1
	s_and_saveexec_b64 s[0:1], vcc
	s_cbranch_execz .LBB141_84
; %bb.83:
	v_add_co_u32_e32 v2, vcc, 0x2000, v2
	s_nop 1
	v_addc_co_u32_e32 v3, vcc, 0, v3, vcc
	s_waitcnt lgkmcnt(0)
	global_store_dwordx2 v[2:3], v[14:15], off offset:2048
.LBB141_84:
	s_or_b64 exec, exec, s[0:1]
	v_cmp_lt_u64_e64 s[0:1], s[18:19], 2
	s_and_b64 vcc, exec, s[0:1]
	s_cbranch_vccnz .LBB141_104
; %bb.85:
	s_add_u32 s0, s30, -1
	s_addc_u32 s1, s31, -1
	s_mul_i32 s5, s1, 0xaaaaaaab
	s_mul_hi_u32 s6, s0, 0xaaaaaaab
	s_mul_hi_u32 s4, s1, 0xaaaaaaab
	s_add_u32 s5, s5, s6
	s_mul_i32 s3, s0, 0xaaaaaaaa
	s_addc_u32 s4, s4, 0
	s_mul_hi_u32 s2, s0, 0xaaaaaaaa
	s_add_u32 s3, s3, s5
	s_addc_u32 s2, s2, 0
	s_add_u32 s2, s4, s2
	s_addc_u32 s3, 0, 0
	s_mul_i32 s5, s1, 0xaaaaaaaa
	s_mul_hi_u32 s4, s1, 0xaaaaaaaa
	s_add_u32 s2, s5, s2
	s_addc_u32 s3, s4, s3
	v_mov_b32_e32 v1, v27
	s_lshr_b64 s[2:3], s[2:3], 2
	v_cmp_eq_u64_e32 vcc, s[2:3], v[0:1]
	s_and_saveexec_b64 s[2:3], vcc
	s_cbranch_execz .LBB141_104
; %bb.86:
	v_mul_hi_u32_u24_e32 v1, 6, v0
	v_mul_u32_u24_e32 v0, 6, v0
	v_mov_b32_e32 v2, s1
	v_sub_co_u32_e32 v0, vcc, s0, v0
	s_nop 1
	v_subb_co_u32_e32 v1, vcc, v2, v1, vcc
	v_cmp_lt_i64_e32 vcc, 2, v[0:1]
	s_and_saveexec_b64 s[0:1], vcc
	s_xor_b64 s[0:1], exec, s[0:1]
	s_cbranch_execz .LBB141_96
; %bb.87:
	v_cmp_lt_i64_e32 vcc, 3, v[0:1]
	s_and_saveexec_b64 s[2:3], vcc
	s_xor_b64 s[2:3], exec, s[2:3]
	s_cbranch_execz .LBB141_93
; %bb.88:
	;; [unrolled: 5-line block ×3, first 2 shown]
	v_mov_b32_e32 v0, 0
	s_waitcnt lgkmcnt(0)
	global_store_dwordx2 v0, v[14:15], s[14:15]
                                        ; implicit-def: $vgpr12_vgpr13_vgpr14_vgpr15
.LBB141_90:
	s_andn2_saveexec_b64 s[4:5], s[4:5]
	s_cbranch_execz .LBB141_92
; %bb.91:
	v_mov_b32_e32 v0, 0
	s_waitcnt lgkmcnt(0)
	global_store_dwordx2 v0, v[12:13], s[14:15]
.LBB141_92:
	s_or_b64 exec, exec, s[4:5]
                                        ; implicit-def: $vgpr8_vgpr9_vgpr10_vgpr11
.LBB141_93:
	s_andn2_saveexec_b64 s[2:3], s[2:3]
	s_cbranch_execz .LBB141_95
; %bb.94:
	v_mov_b32_e32 v0, 0
	s_waitcnt lgkmcnt(1)
	global_store_dwordx2 v0, v[10:11], s[14:15]
.LBB141_95:
	s_or_b64 exec, exec, s[2:3]
                                        ; implicit-def: $vgpr0_vgpr1
                                        ; implicit-def: $vgpr8_vgpr9_vgpr10_vgpr11
                                        ; implicit-def: $vgpr4_vgpr5_vgpr6_vgpr7
.LBB141_96:
	s_andn2_saveexec_b64 s[0:1], s[0:1]
	s_cbranch_execz .LBB141_104
; %bb.97:
	v_cmp_lt_i64_e32 vcc, 1, v[0:1]
	s_and_saveexec_b64 s[0:1], vcc
	s_xor_b64 s[0:1], exec, s[0:1]
	s_cbranch_execz .LBB141_99
; %bb.98:
	v_mov_b32_e32 v0, 0
	s_waitcnt lgkmcnt(1)
	global_store_dwordx2 v0, v[8:9], s[14:15]
                                        ; implicit-def: $vgpr4_vgpr5_vgpr6_vgpr7
                                        ; implicit-def: $vgpr0_vgpr1
.LBB141_99:
	s_andn2_saveexec_b64 s[0:1], s[0:1]
	s_cbranch_execz .LBB141_104
; %bb.100:
	v_cmp_ne_u64_e32 vcc, 1, v[0:1]
	s_and_saveexec_b64 s[0:1], vcc
	s_xor_b64 s[0:1], exec, s[0:1]
	s_cbranch_execz .LBB141_102
; %bb.101:
	v_mov_b32_e32 v0, 0
	s_waitcnt lgkmcnt(2)
	global_store_dwordx2 v0, v[4:5], s[14:15]
                                        ; implicit-def: $vgpr4_vgpr5_vgpr6_vgpr7
.LBB141_102:
	s_andn2_saveexec_b64 s[0:1], s[0:1]
	s_cbranch_execz .LBB141_104
; %bb.103:
	v_mov_b32_e32 v0, 0
	s_waitcnt lgkmcnt(2)
	global_store_dwordx2 v0, v[6:7], s[14:15]
.LBB141_104:
	s_endpgm
	.section	.rodata,"a",@progbits
	.p2align	6, 0x0
	.amdhsa_kernel _ZN7rocprim17ROCPRIM_400000_NS6detail17trampoline_kernelINS0_14default_configENS1_20scan_config_selectorIlEEZZNS1_9scan_implILNS1_25lookback_scan_determinismE0ELb0ELb0ES3_PlS8_lN6thrust23THRUST_200600_302600_NS4plusIvEElEEDaPvRmT3_T4_T5_mT6_P12ihipStream_tbENKUlT_T0_E_clISt17integral_constantIbLb0EESP_IbLb1EEEEDaSL_SM_EUlSL_E_NS1_11comp_targetILNS1_3genE0ELNS1_11target_archE4294967295ELNS1_3gpuE0ELNS1_3repE0EEENS1_30default_config_static_selectorELNS0_4arch9wavefront6targetE1EEEvT1_
		.amdhsa_group_segment_fixed_size 12288
		.amdhsa_private_segment_fixed_size 0
		.amdhsa_kernarg_size 104
		.amdhsa_user_sgpr_count 2
		.amdhsa_user_sgpr_dispatch_ptr 0
		.amdhsa_user_sgpr_queue_ptr 0
		.amdhsa_user_sgpr_kernarg_segment_ptr 1
		.amdhsa_user_sgpr_dispatch_id 0
		.amdhsa_user_sgpr_kernarg_preload_length 0
		.amdhsa_user_sgpr_kernarg_preload_offset 0
		.amdhsa_user_sgpr_private_segment_size 0
		.amdhsa_uses_dynamic_stack 0
		.amdhsa_enable_private_segment 0
		.amdhsa_system_sgpr_workgroup_id_x 1
		.amdhsa_system_sgpr_workgroup_id_y 0
		.amdhsa_system_sgpr_workgroup_id_z 0
		.amdhsa_system_sgpr_workgroup_info 0
		.amdhsa_system_vgpr_workitem_id 0
		.amdhsa_next_free_vgpr 52
		.amdhsa_next_free_sgpr 36
		.amdhsa_accum_offset 52
		.amdhsa_reserve_vcc 1
		.amdhsa_float_round_mode_32 0
		.amdhsa_float_round_mode_16_64 0
		.amdhsa_float_denorm_mode_32 3
		.amdhsa_float_denorm_mode_16_64 3
		.amdhsa_dx10_clamp 1
		.amdhsa_ieee_mode 1
		.amdhsa_fp16_overflow 0
		.amdhsa_tg_split 0
		.amdhsa_exception_fp_ieee_invalid_op 0
		.amdhsa_exception_fp_denorm_src 0
		.amdhsa_exception_fp_ieee_div_zero 0
		.amdhsa_exception_fp_ieee_overflow 0
		.amdhsa_exception_fp_ieee_underflow 0
		.amdhsa_exception_fp_ieee_inexact 0
		.amdhsa_exception_int_div_zero 0
	.end_amdhsa_kernel
	.section	.text._ZN7rocprim17ROCPRIM_400000_NS6detail17trampoline_kernelINS0_14default_configENS1_20scan_config_selectorIlEEZZNS1_9scan_implILNS1_25lookback_scan_determinismE0ELb0ELb0ES3_PlS8_lN6thrust23THRUST_200600_302600_NS4plusIvEElEEDaPvRmT3_T4_T5_mT6_P12ihipStream_tbENKUlT_T0_E_clISt17integral_constantIbLb0EESP_IbLb1EEEEDaSL_SM_EUlSL_E_NS1_11comp_targetILNS1_3genE0ELNS1_11target_archE4294967295ELNS1_3gpuE0ELNS1_3repE0EEENS1_30default_config_static_selectorELNS0_4arch9wavefront6targetE1EEEvT1_,"axG",@progbits,_ZN7rocprim17ROCPRIM_400000_NS6detail17trampoline_kernelINS0_14default_configENS1_20scan_config_selectorIlEEZZNS1_9scan_implILNS1_25lookback_scan_determinismE0ELb0ELb0ES3_PlS8_lN6thrust23THRUST_200600_302600_NS4plusIvEElEEDaPvRmT3_T4_T5_mT6_P12ihipStream_tbENKUlT_T0_E_clISt17integral_constantIbLb0EESP_IbLb1EEEEDaSL_SM_EUlSL_E_NS1_11comp_targetILNS1_3genE0ELNS1_11target_archE4294967295ELNS1_3gpuE0ELNS1_3repE0EEENS1_30default_config_static_selectorELNS0_4arch9wavefront6targetE1EEEvT1_,comdat
.Lfunc_end141:
	.size	_ZN7rocprim17ROCPRIM_400000_NS6detail17trampoline_kernelINS0_14default_configENS1_20scan_config_selectorIlEEZZNS1_9scan_implILNS1_25lookback_scan_determinismE0ELb0ELb0ES3_PlS8_lN6thrust23THRUST_200600_302600_NS4plusIvEElEEDaPvRmT3_T4_T5_mT6_P12ihipStream_tbENKUlT_T0_E_clISt17integral_constantIbLb0EESP_IbLb1EEEEDaSL_SM_EUlSL_E_NS1_11comp_targetILNS1_3genE0ELNS1_11target_archE4294967295ELNS1_3gpuE0ELNS1_3repE0EEENS1_30default_config_static_selectorELNS0_4arch9wavefront6targetE1EEEvT1_, .Lfunc_end141-_ZN7rocprim17ROCPRIM_400000_NS6detail17trampoline_kernelINS0_14default_configENS1_20scan_config_selectorIlEEZZNS1_9scan_implILNS1_25lookback_scan_determinismE0ELb0ELb0ES3_PlS8_lN6thrust23THRUST_200600_302600_NS4plusIvEElEEDaPvRmT3_T4_T5_mT6_P12ihipStream_tbENKUlT_T0_E_clISt17integral_constantIbLb0EESP_IbLb1EEEEDaSL_SM_EUlSL_E_NS1_11comp_targetILNS1_3genE0ELNS1_11target_archE4294967295ELNS1_3gpuE0ELNS1_3repE0EEENS1_30default_config_static_selectorELNS0_4arch9wavefront6targetE1EEEvT1_
                                        ; -- End function
	.set _ZN7rocprim17ROCPRIM_400000_NS6detail17trampoline_kernelINS0_14default_configENS1_20scan_config_selectorIlEEZZNS1_9scan_implILNS1_25lookback_scan_determinismE0ELb0ELb0ES3_PlS8_lN6thrust23THRUST_200600_302600_NS4plusIvEElEEDaPvRmT3_T4_T5_mT6_P12ihipStream_tbENKUlT_T0_E_clISt17integral_constantIbLb0EESP_IbLb1EEEEDaSL_SM_EUlSL_E_NS1_11comp_targetILNS1_3genE0ELNS1_11target_archE4294967295ELNS1_3gpuE0ELNS1_3repE0EEENS1_30default_config_static_selectorELNS0_4arch9wavefront6targetE1EEEvT1_.num_vgpr, 52
	.set _ZN7rocprim17ROCPRIM_400000_NS6detail17trampoline_kernelINS0_14default_configENS1_20scan_config_selectorIlEEZZNS1_9scan_implILNS1_25lookback_scan_determinismE0ELb0ELb0ES3_PlS8_lN6thrust23THRUST_200600_302600_NS4plusIvEElEEDaPvRmT3_T4_T5_mT6_P12ihipStream_tbENKUlT_T0_E_clISt17integral_constantIbLb0EESP_IbLb1EEEEDaSL_SM_EUlSL_E_NS1_11comp_targetILNS1_3genE0ELNS1_11target_archE4294967295ELNS1_3gpuE0ELNS1_3repE0EEENS1_30default_config_static_selectorELNS0_4arch9wavefront6targetE1EEEvT1_.num_agpr, 0
	.set _ZN7rocprim17ROCPRIM_400000_NS6detail17trampoline_kernelINS0_14default_configENS1_20scan_config_selectorIlEEZZNS1_9scan_implILNS1_25lookback_scan_determinismE0ELb0ELb0ES3_PlS8_lN6thrust23THRUST_200600_302600_NS4plusIvEElEEDaPvRmT3_T4_T5_mT6_P12ihipStream_tbENKUlT_T0_E_clISt17integral_constantIbLb0EESP_IbLb1EEEEDaSL_SM_EUlSL_E_NS1_11comp_targetILNS1_3genE0ELNS1_11target_archE4294967295ELNS1_3gpuE0ELNS1_3repE0EEENS1_30default_config_static_selectorELNS0_4arch9wavefront6targetE1EEEvT1_.numbered_sgpr, 36
	.set _ZN7rocprim17ROCPRIM_400000_NS6detail17trampoline_kernelINS0_14default_configENS1_20scan_config_selectorIlEEZZNS1_9scan_implILNS1_25lookback_scan_determinismE0ELb0ELb0ES3_PlS8_lN6thrust23THRUST_200600_302600_NS4plusIvEElEEDaPvRmT3_T4_T5_mT6_P12ihipStream_tbENKUlT_T0_E_clISt17integral_constantIbLb0EESP_IbLb1EEEEDaSL_SM_EUlSL_E_NS1_11comp_targetILNS1_3genE0ELNS1_11target_archE4294967295ELNS1_3gpuE0ELNS1_3repE0EEENS1_30default_config_static_selectorELNS0_4arch9wavefront6targetE1EEEvT1_.num_named_barrier, 0
	.set _ZN7rocprim17ROCPRIM_400000_NS6detail17trampoline_kernelINS0_14default_configENS1_20scan_config_selectorIlEEZZNS1_9scan_implILNS1_25lookback_scan_determinismE0ELb0ELb0ES3_PlS8_lN6thrust23THRUST_200600_302600_NS4plusIvEElEEDaPvRmT3_T4_T5_mT6_P12ihipStream_tbENKUlT_T0_E_clISt17integral_constantIbLb0EESP_IbLb1EEEEDaSL_SM_EUlSL_E_NS1_11comp_targetILNS1_3genE0ELNS1_11target_archE4294967295ELNS1_3gpuE0ELNS1_3repE0EEENS1_30default_config_static_selectorELNS0_4arch9wavefront6targetE1EEEvT1_.private_seg_size, 0
	.set _ZN7rocprim17ROCPRIM_400000_NS6detail17trampoline_kernelINS0_14default_configENS1_20scan_config_selectorIlEEZZNS1_9scan_implILNS1_25lookback_scan_determinismE0ELb0ELb0ES3_PlS8_lN6thrust23THRUST_200600_302600_NS4plusIvEElEEDaPvRmT3_T4_T5_mT6_P12ihipStream_tbENKUlT_T0_E_clISt17integral_constantIbLb0EESP_IbLb1EEEEDaSL_SM_EUlSL_E_NS1_11comp_targetILNS1_3genE0ELNS1_11target_archE4294967295ELNS1_3gpuE0ELNS1_3repE0EEENS1_30default_config_static_selectorELNS0_4arch9wavefront6targetE1EEEvT1_.uses_vcc, 1
	.set _ZN7rocprim17ROCPRIM_400000_NS6detail17trampoline_kernelINS0_14default_configENS1_20scan_config_selectorIlEEZZNS1_9scan_implILNS1_25lookback_scan_determinismE0ELb0ELb0ES3_PlS8_lN6thrust23THRUST_200600_302600_NS4plusIvEElEEDaPvRmT3_T4_T5_mT6_P12ihipStream_tbENKUlT_T0_E_clISt17integral_constantIbLb0EESP_IbLb1EEEEDaSL_SM_EUlSL_E_NS1_11comp_targetILNS1_3genE0ELNS1_11target_archE4294967295ELNS1_3gpuE0ELNS1_3repE0EEENS1_30default_config_static_selectorELNS0_4arch9wavefront6targetE1EEEvT1_.uses_flat_scratch, 0
	.set _ZN7rocprim17ROCPRIM_400000_NS6detail17trampoline_kernelINS0_14default_configENS1_20scan_config_selectorIlEEZZNS1_9scan_implILNS1_25lookback_scan_determinismE0ELb0ELb0ES3_PlS8_lN6thrust23THRUST_200600_302600_NS4plusIvEElEEDaPvRmT3_T4_T5_mT6_P12ihipStream_tbENKUlT_T0_E_clISt17integral_constantIbLb0EESP_IbLb1EEEEDaSL_SM_EUlSL_E_NS1_11comp_targetILNS1_3genE0ELNS1_11target_archE4294967295ELNS1_3gpuE0ELNS1_3repE0EEENS1_30default_config_static_selectorELNS0_4arch9wavefront6targetE1EEEvT1_.has_dyn_sized_stack, 0
	.set _ZN7rocprim17ROCPRIM_400000_NS6detail17trampoline_kernelINS0_14default_configENS1_20scan_config_selectorIlEEZZNS1_9scan_implILNS1_25lookback_scan_determinismE0ELb0ELb0ES3_PlS8_lN6thrust23THRUST_200600_302600_NS4plusIvEElEEDaPvRmT3_T4_T5_mT6_P12ihipStream_tbENKUlT_T0_E_clISt17integral_constantIbLb0EESP_IbLb1EEEEDaSL_SM_EUlSL_E_NS1_11comp_targetILNS1_3genE0ELNS1_11target_archE4294967295ELNS1_3gpuE0ELNS1_3repE0EEENS1_30default_config_static_selectorELNS0_4arch9wavefront6targetE1EEEvT1_.has_recursion, 0
	.set _ZN7rocprim17ROCPRIM_400000_NS6detail17trampoline_kernelINS0_14default_configENS1_20scan_config_selectorIlEEZZNS1_9scan_implILNS1_25lookback_scan_determinismE0ELb0ELb0ES3_PlS8_lN6thrust23THRUST_200600_302600_NS4plusIvEElEEDaPvRmT3_T4_T5_mT6_P12ihipStream_tbENKUlT_T0_E_clISt17integral_constantIbLb0EESP_IbLb1EEEEDaSL_SM_EUlSL_E_NS1_11comp_targetILNS1_3genE0ELNS1_11target_archE4294967295ELNS1_3gpuE0ELNS1_3repE0EEENS1_30default_config_static_selectorELNS0_4arch9wavefront6targetE1EEEvT1_.has_indirect_call, 0
	.section	.AMDGPU.csdata,"",@progbits
; Kernel info:
; codeLenInByte = 4892
; TotalNumSgprs: 42
; NumVgprs: 52
; NumAgprs: 0
; TotalNumVgprs: 52
; ScratchSize: 0
; MemoryBound: 0
; FloatMode: 240
; IeeeMode: 1
; LDSByteSize: 12288 bytes/workgroup (compile time only)
; SGPRBlocks: 5
; VGPRBlocks: 6
; NumSGPRsForWavesPerEU: 42
; NumVGPRsForWavesPerEU: 52
; AccumOffset: 52
; Occupancy: 8
; WaveLimiterHint : 1
; COMPUTE_PGM_RSRC2:SCRATCH_EN: 0
; COMPUTE_PGM_RSRC2:USER_SGPR: 2
; COMPUTE_PGM_RSRC2:TRAP_HANDLER: 0
; COMPUTE_PGM_RSRC2:TGID_X_EN: 1
; COMPUTE_PGM_RSRC2:TGID_Y_EN: 0
; COMPUTE_PGM_RSRC2:TGID_Z_EN: 0
; COMPUTE_PGM_RSRC2:TIDIG_COMP_CNT: 0
; COMPUTE_PGM_RSRC3_GFX90A:ACCUM_OFFSET: 12
; COMPUTE_PGM_RSRC3_GFX90A:TG_SPLIT: 0
	.section	.text._ZN7rocprim17ROCPRIM_400000_NS6detail17trampoline_kernelINS0_14default_configENS1_20scan_config_selectorIlEEZZNS1_9scan_implILNS1_25lookback_scan_determinismE0ELb0ELb0ES3_PlS8_lN6thrust23THRUST_200600_302600_NS4plusIvEElEEDaPvRmT3_T4_T5_mT6_P12ihipStream_tbENKUlT_T0_E_clISt17integral_constantIbLb0EESP_IbLb1EEEEDaSL_SM_EUlSL_E_NS1_11comp_targetILNS1_3genE5ELNS1_11target_archE942ELNS1_3gpuE9ELNS1_3repE0EEENS1_30default_config_static_selectorELNS0_4arch9wavefront6targetE1EEEvT1_,"axG",@progbits,_ZN7rocprim17ROCPRIM_400000_NS6detail17trampoline_kernelINS0_14default_configENS1_20scan_config_selectorIlEEZZNS1_9scan_implILNS1_25lookback_scan_determinismE0ELb0ELb0ES3_PlS8_lN6thrust23THRUST_200600_302600_NS4plusIvEElEEDaPvRmT3_T4_T5_mT6_P12ihipStream_tbENKUlT_T0_E_clISt17integral_constantIbLb0EESP_IbLb1EEEEDaSL_SM_EUlSL_E_NS1_11comp_targetILNS1_3genE5ELNS1_11target_archE942ELNS1_3gpuE9ELNS1_3repE0EEENS1_30default_config_static_selectorELNS0_4arch9wavefront6targetE1EEEvT1_,comdat
	.protected	_ZN7rocprim17ROCPRIM_400000_NS6detail17trampoline_kernelINS0_14default_configENS1_20scan_config_selectorIlEEZZNS1_9scan_implILNS1_25lookback_scan_determinismE0ELb0ELb0ES3_PlS8_lN6thrust23THRUST_200600_302600_NS4plusIvEElEEDaPvRmT3_T4_T5_mT6_P12ihipStream_tbENKUlT_T0_E_clISt17integral_constantIbLb0EESP_IbLb1EEEEDaSL_SM_EUlSL_E_NS1_11comp_targetILNS1_3genE5ELNS1_11target_archE942ELNS1_3gpuE9ELNS1_3repE0EEENS1_30default_config_static_selectorELNS0_4arch9wavefront6targetE1EEEvT1_ ; -- Begin function _ZN7rocprim17ROCPRIM_400000_NS6detail17trampoline_kernelINS0_14default_configENS1_20scan_config_selectorIlEEZZNS1_9scan_implILNS1_25lookback_scan_determinismE0ELb0ELb0ES3_PlS8_lN6thrust23THRUST_200600_302600_NS4plusIvEElEEDaPvRmT3_T4_T5_mT6_P12ihipStream_tbENKUlT_T0_E_clISt17integral_constantIbLb0EESP_IbLb1EEEEDaSL_SM_EUlSL_E_NS1_11comp_targetILNS1_3genE5ELNS1_11target_archE942ELNS1_3gpuE9ELNS1_3repE0EEENS1_30default_config_static_selectorELNS0_4arch9wavefront6targetE1EEEvT1_
	.globl	_ZN7rocprim17ROCPRIM_400000_NS6detail17trampoline_kernelINS0_14default_configENS1_20scan_config_selectorIlEEZZNS1_9scan_implILNS1_25lookback_scan_determinismE0ELb0ELb0ES3_PlS8_lN6thrust23THRUST_200600_302600_NS4plusIvEElEEDaPvRmT3_T4_T5_mT6_P12ihipStream_tbENKUlT_T0_E_clISt17integral_constantIbLb0EESP_IbLb1EEEEDaSL_SM_EUlSL_E_NS1_11comp_targetILNS1_3genE5ELNS1_11target_archE942ELNS1_3gpuE9ELNS1_3repE0EEENS1_30default_config_static_selectorELNS0_4arch9wavefront6targetE1EEEvT1_
	.p2align	8
	.type	_ZN7rocprim17ROCPRIM_400000_NS6detail17trampoline_kernelINS0_14default_configENS1_20scan_config_selectorIlEEZZNS1_9scan_implILNS1_25lookback_scan_determinismE0ELb0ELb0ES3_PlS8_lN6thrust23THRUST_200600_302600_NS4plusIvEElEEDaPvRmT3_T4_T5_mT6_P12ihipStream_tbENKUlT_T0_E_clISt17integral_constantIbLb0EESP_IbLb1EEEEDaSL_SM_EUlSL_E_NS1_11comp_targetILNS1_3genE5ELNS1_11target_archE942ELNS1_3gpuE9ELNS1_3repE0EEENS1_30default_config_static_selectorELNS0_4arch9wavefront6targetE1EEEvT1_,@function
_ZN7rocprim17ROCPRIM_400000_NS6detail17trampoline_kernelINS0_14default_configENS1_20scan_config_selectorIlEEZZNS1_9scan_implILNS1_25lookback_scan_determinismE0ELb0ELb0ES3_PlS8_lN6thrust23THRUST_200600_302600_NS4plusIvEElEEDaPvRmT3_T4_T5_mT6_P12ihipStream_tbENKUlT_T0_E_clISt17integral_constantIbLb0EESP_IbLb1EEEEDaSL_SM_EUlSL_E_NS1_11comp_targetILNS1_3genE5ELNS1_11target_archE942ELNS1_3gpuE9ELNS1_3repE0EEENS1_30default_config_static_selectorELNS0_4arch9wavefront6targetE1EEEvT1_: ; @_ZN7rocprim17ROCPRIM_400000_NS6detail17trampoline_kernelINS0_14default_configENS1_20scan_config_selectorIlEEZZNS1_9scan_implILNS1_25lookback_scan_determinismE0ELb0ELb0ES3_PlS8_lN6thrust23THRUST_200600_302600_NS4plusIvEElEEDaPvRmT3_T4_T5_mT6_P12ihipStream_tbENKUlT_T0_E_clISt17integral_constantIbLb0EESP_IbLb1EEEEDaSL_SM_EUlSL_E_NS1_11comp_targetILNS1_3genE5ELNS1_11target_archE942ELNS1_3gpuE9ELNS1_3repE0EEENS1_30default_config_static_selectorELNS0_4arch9wavefront6targetE1EEEvT1_
; %bb.0:
	.section	.rodata,"a",@progbits
	.p2align	6, 0x0
	.amdhsa_kernel _ZN7rocprim17ROCPRIM_400000_NS6detail17trampoline_kernelINS0_14default_configENS1_20scan_config_selectorIlEEZZNS1_9scan_implILNS1_25lookback_scan_determinismE0ELb0ELb0ES3_PlS8_lN6thrust23THRUST_200600_302600_NS4plusIvEElEEDaPvRmT3_T4_T5_mT6_P12ihipStream_tbENKUlT_T0_E_clISt17integral_constantIbLb0EESP_IbLb1EEEEDaSL_SM_EUlSL_E_NS1_11comp_targetILNS1_3genE5ELNS1_11target_archE942ELNS1_3gpuE9ELNS1_3repE0EEENS1_30default_config_static_selectorELNS0_4arch9wavefront6targetE1EEEvT1_
		.amdhsa_group_segment_fixed_size 0
		.amdhsa_private_segment_fixed_size 0
		.amdhsa_kernarg_size 104
		.amdhsa_user_sgpr_count 2
		.amdhsa_user_sgpr_dispatch_ptr 0
		.amdhsa_user_sgpr_queue_ptr 0
		.amdhsa_user_sgpr_kernarg_segment_ptr 1
		.amdhsa_user_sgpr_dispatch_id 0
		.amdhsa_user_sgpr_kernarg_preload_length 0
		.amdhsa_user_sgpr_kernarg_preload_offset 0
		.amdhsa_user_sgpr_private_segment_size 0
		.amdhsa_uses_dynamic_stack 0
		.amdhsa_enable_private_segment 0
		.amdhsa_system_sgpr_workgroup_id_x 1
		.amdhsa_system_sgpr_workgroup_id_y 0
		.amdhsa_system_sgpr_workgroup_id_z 0
		.amdhsa_system_sgpr_workgroup_info 0
		.amdhsa_system_vgpr_workitem_id 0
		.amdhsa_next_free_vgpr 1
		.amdhsa_next_free_sgpr 0
		.amdhsa_accum_offset 4
		.amdhsa_reserve_vcc 0
		.amdhsa_float_round_mode_32 0
		.amdhsa_float_round_mode_16_64 0
		.amdhsa_float_denorm_mode_32 3
		.amdhsa_float_denorm_mode_16_64 3
		.amdhsa_dx10_clamp 1
		.amdhsa_ieee_mode 1
		.amdhsa_fp16_overflow 0
		.amdhsa_tg_split 0
		.amdhsa_exception_fp_ieee_invalid_op 0
		.amdhsa_exception_fp_denorm_src 0
		.amdhsa_exception_fp_ieee_div_zero 0
		.amdhsa_exception_fp_ieee_overflow 0
		.amdhsa_exception_fp_ieee_underflow 0
		.amdhsa_exception_fp_ieee_inexact 0
		.amdhsa_exception_int_div_zero 0
	.end_amdhsa_kernel
	.section	.text._ZN7rocprim17ROCPRIM_400000_NS6detail17trampoline_kernelINS0_14default_configENS1_20scan_config_selectorIlEEZZNS1_9scan_implILNS1_25lookback_scan_determinismE0ELb0ELb0ES3_PlS8_lN6thrust23THRUST_200600_302600_NS4plusIvEElEEDaPvRmT3_T4_T5_mT6_P12ihipStream_tbENKUlT_T0_E_clISt17integral_constantIbLb0EESP_IbLb1EEEEDaSL_SM_EUlSL_E_NS1_11comp_targetILNS1_3genE5ELNS1_11target_archE942ELNS1_3gpuE9ELNS1_3repE0EEENS1_30default_config_static_selectorELNS0_4arch9wavefront6targetE1EEEvT1_,"axG",@progbits,_ZN7rocprim17ROCPRIM_400000_NS6detail17trampoline_kernelINS0_14default_configENS1_20scan_config_selectorIlEEZZNS1_9scan_implILNS1_25lookback_scan_determinismE0ELb0ELb0ES3_PlS8_lN6thrust23THRUST_200600_302600_NS4plusIvEElEEDaPvRmT3_T4_T5_mT6_P12ihipStream_tbENKUlT_T0_E_clISt17integral_constantIbLb0EESP_IbLb1EEEEDaSL_SM_EUlSL_E_NS1_11comp_targetILNS1_3genE5ELNS1_11target_archE942ELNS1_3gpuE9ELNS1_3repE0EEENS1_30default_config_static_selectorELNS0_4arch9wavefront6targetE1EEEvT1_,comdat
.Lfunc_end142:
	.size	_ZN7rocprim17ROCPRIM_400000_NS6detail17trampoline_kernelINS0_14default_configENS1_20scan_config_selectorIlEEZZNS1_9scan_implILNS1_25lookback_scan_determinismE0ELb0ELb0ES3_PlS8_lN6thrust23THRUST_200600_302600_NS4plusIvEElEEDaPvRmT3_T4_T5_mT6_P12ihipStream_tbENKUlT_T0_E_clISt17integral_constantIbLb0EESP_IbLb1EEEEDaSL_SM_EUlSL_E_NS1_11comp_targetILNS1_3genE5ELNS1_11target_archE942ELNS1_3gpuE9ELNS1_3repE0EEENS1_30default_config_static_selectorELNS0_4arch9wavefront6targetE1EEEvT1_, .Lfunc_end142-_ZN7rocprim17ROCPRIM_400000_NS6detail17trampoline_kernelINS0_14default_configENS1_20scan_config_selectorIlEEZZNS1_9scan_implILNS1_25lookback_scan_determinismE0ELb0ELb0ES3_PlS8_lN6thrust23THRUST_200600_302600_NS4plusIvEElEEDaPvRmT3_T4_T5_mT6_P12ihipStream_tbENKUlT_T0_E_clISt17integral_constantIbLb0EESP_IbLb1EEEEDaSL_SM_EUlSL_E_NS1_11comp_targetILNS1_3genE5ELNS1_11target_archE942ELNS1_3gpuE9ELNS1_3repE0EEENS1_30default_config_static_selectorELNS0_4arch9wavefront6targetE1EEEvT1_
                                        ; -- End function
	.set _ZN7rocprim17ROCPRIM_400000_NS6detail17trampoline_kernelINS0_14default_configENS1_20scan_config_selectorIlEEZZNS1_9scan_implILNS1_25lookback_scan_determinismE0ELb0ELb0ES3_PlS8_lN6thrust23THRUST_200600_302600_NS4plusIvEElEEDaPvRmT3_T4_T5_mT6_P12ihipStream_tbENKUlT_T0_E_clISt17integral_constantIbLb0EESP_IbLb1EEEEDaSL_SM_EUlSL_E_NS1_11comp_targetILNS1_3genE5ELNS1_11target_archE942ELNS1_3gpuE9ELNS1_3repE0EEENS1_30default_config_static_selectorELNS0_4arch9wavefront6targetE1EEEvT1_.num_vgpr, 0
	.set _ZN7rocprim17ROCPRIM_400000_NS6detail17trampoline_kernelINS0_14default_configENS1_20scan_config_selectorIlEEZZNS1_9scan_implILNS1_25lookback_scan_determinismE0ELb0ELb0ES3_PlS8_lN6thrust23THRUST_200600_302600_NS4plusIvEElEEDaPvRmT3_T4_T5_mT6_P12ihipStream_tbENKUlT_T0_E_clISt17integral_constantIbLb0EESP_IbLb1EEEEDaSL_SM_EUlSL_E_NS1_11comp_targetILNS1_3genE5ELNS1_11target_archE942ELNS1_3gpuE9ELNS1_3repE0EEENS1_30default_config_static_selectorELNS0_4arch9wavefront6targetE1EEEvT1_.num_agpr, 0
	.set _ZN7rocprim17ROCPRIM_400000_NS6detail17trampoline_kernelINS0_14default_configENS1_20scan_config_selectorIlEEZZNS1_9scan_implILNS1_25lookback_scan_determinismE0ELb0ELb0ES3_PlS8_lN6thrust23THRUST_200600_302600_NS4plusIvEElEEDaPvRmT3_T4_T5_mT6_P12ihipStream_tbENKUlT_T0_E_clISt17integral_constantIbLb0EESP_IbLb1EEEEDaSL_SM_EUlSL_E_NS1_11comp_targetILNS1_3genE5ELNS1_11target_archE942ELNS1_3gpuE9ELNS1_3repE0EEENS1_30default_config_static_selectorELNS0_4arch9wavefront6targetE1EEEvT1_.numbered_sgpr, 0
	.set _ZN7rocprim17ROCPRIM_400000_NS6detail17trampoline_kernelINS0_14default_configENS1_20scan_config_selectorIlEEZZNS1_9scan_implILNS1_25lookback_scan_determinismE0ELb0ELb0ES3_PlS8_lN6thrust23THRUST_200600_302600_NS4plusIvEElEEDaPvRmT3_T4_T5_mT6_P12ihipStream_tbENKUlT_T0_E_clISt17integral_constantIbLb0EESP_IbLb1EEEEDaSL_SM_EUlSL_E_NS1_11comp_targetILNS1_3genE5ELNS1_11target_archE942ELNS1_3gpuE9ELNS1_3repE0EEENS1_30default_config_static_selectorELNS0_4arch9wavefront6targetE1EEEvT1_.num_named_barrier, 0
	.set _ZN7rocprim17ROCPRIM_400000_NS6detail17trampoline_kernelINS0_14default_configENS1_20scan_config_selectorIlEEZZNS1_9scan_implILNS1_25lookback_scan_determinismE0ELb0ELb0ES3_PlS8_lN6thrust23THRUST_200600_302600_NS4plusIvEElEEDaPvRmT3_T4_T5_mT6_P12ihipStream_tbENKUlT_T0_E_clISt17integral_constantIbLb0EESP_IbLb1EEEEDaSL_SM_EUlSL_E_NS1_11comp_targetILNS1_3genE5ELNS1_11target_archE942ELNS1_3gpuE9ELNS1_3repE0EEENS1_30default_config_static_selectorELNS0_4arch9wavefront6targetE1EEEvT1_.private_seg_size, 0
	.set _ZN7rocprim17ROCPRIM_400000_NS6detail17trampoline_kernelINS0_14default_configENS1_20scan_config_selectorIlEEZZNS1_9scan_implILNS1_25lookback_scan_determinismE0ELb0ELb0ES3_PlS8_lN6thrust23THRUST_200600_302600_NS4plusIvEElEEDaPvRmT3_T4_T5_mT6_P12ihipStream_tbENKUlT_T0_E_clISt17integral_constantIbLb0EESP_IbLb1EEEEDaSL_SM_EUlSL_E_NS1_11comp_targetILNS1_3genE5ELNS1_11target_archE942ELNS1_3gpuE9ELNS1_3repE0EEENS1_30default_config_static_selectorELNS0_4arch9wavefront6targetE1EEEvT1_.uses_vcc, 0
	.set _ZN7rocprim17ROCPRIM_400000_NS6detail17trampoline_kernelINS0_14default_configENS1_20scan_config_selectorIlEEZZNS1_9scan_implILNS1_25lookback_scan_determinismE0ELb0ELb0ES3_PlS8_lN6thrust23THRUST_200600_302600_NS4plusIvEElEEDaPvRmT3_T4_T5_mT6_P12ihipStream_tbENKUlT_T0_E_clISt17integral_constantIbLb0EESP_IbLb1EEEEDaSL_SM_EUlSL_E_NS1_11comp_targetILNS1_3genE5ELNS1_11target_archE942ELNS1_3gpuE9ELNS1_3repE0EEENS1_30default_config_static_selectorELNS0_4arch9wavefront6targetE1EEEvT1_.uses_flat_scratch, 0
	.set _ZN7rocprim17ROCPRIM_400000_NS6detail17trampoline_kernelINS0_14default_configENS1_20scan_config_selectorIlEEZZNS1_9scan_implILNS1_25lookback_scan_determinismE0ELb0ELb0ES3_PlS8_lN6thrust23THRUST_200600_302600_NS4plusIvEElEEDaPvRmT3_T4_T5_mT6_P12ihipStream_tbENKUlT_T0_E_clISt17integral_constantIbLb0EESP_IbLb1EEEEDaSL_SM_EUlSL_E_NS1_11comp_targetILNS1_3genE5ELNS1_11target_archE942ELNS1_3gpuE9ELNS1_3repE0EEENS1_30default_config_static_selectorELNS0_4arch9wavefront6targetE1EEEvT1_.has_dyn_sized_stack, 0
	.set _ZN7rocprim17ROCPRIM_400000_NS6detail17trampoline_kernelINS0_14default_configENS1_20scan_config_selectorIlEEZZNS1_9scan_implILNS1_25lookback_scan_determinismE0ELb0ELb0ES3_PlS8_lN6thrust23THRUST_200600_302600_NS4plusIvEElEEDaPvRmT3_T4_T5_mT6_P12ihipStream_tbENKUlT_T0_E_clISt17integral_constantIbLb0EESP_IbLb1EEEEDaSL_SM_EUlSL_E_NS1_11comp_targetILNS1_3genE5ELNS1_11target_archE942ELNS1_3gpuE9ELNS1_3repE0EEENS1_30default_config_static_selectorELNS0_4arch9wavefront6targetE1EEEvT1_.has_recursion, 0
	.set _ZN7rocprim17ROCPRIM_400000_NS6detail17trampoline_kernelINS0_14default_configENS1_20scan_config_selectorIlEEZZNS1_9scan_implILNS1_25lookback_scan_determinismE0ELb0ELb0ES3_PlS8_lN6thrust23THRUST_200600_302600_NS4plusIvEElEEDaPvRmT3_T4_T5_mT6_P12ihipStream_tbENKUlT_T0_E_clISt17integral_constantIbLb0EESP_IbLb1EEEEDaSL_SM_EUlSL_E_NS1_11comp_targetILNS1_3genE5ELNS1_11target_archE942ELNS1_3gpuE9ELNS1_3repE0EEENS1_30default_config_static_selectorELNS0_4arch9wavefront6targetE1EEEvT1_.has_indirect_call, 0
	.section	.AMDGPU.csdata,"",@progbits
; Kernel info:
; codeLenInByte = 0
; TotalNumSgprs: 6
; NumVgprs: 0
; NumAgprs: 0
; TotalNumVgprs: 0
; ScratchSize: 0
; MemoryBound: 0
; FloatMode: 240
; IeeeMode: 1
; LDSByteSize: 0 bytes/workgroup (compile time only)
; SGPRBlocks: 0
; VGPRBlocks: 0
; NumSGPRsForWavesPerEU: 6
; NumVGPRsForWavesPerEU: 1
; AccumOffset: 4
; Occupancy: 8
; WaveLimiterHint : 0
; COMPUTE_PGM_RSRC2:SCRATCH_EN: 0
; COMPUTE_PGM_RSRC2:USER_SGPR: 2
; COMPUTE_PGM_RSRC2:TRAP_HANDLER: 0
; COMPUTE_PGM_RSRC2:TGID_X_EN: 1
; COMPUTE_PGM_RSRC2:TGID_Y_EN: 0
; COMPUTE_PGM_RSRC2:TGID_Z_EN: 0
; COMPUTE_PGM_RSRC2:TIDIG_COMP_CNT: 0
; COMPUTE_PGM_RSRC3_GFX90A:ACCUM_OFFSET: 0
; COMPUTE_PGM_RSRC3_GFX90A:TG_SPLIT: 0
	.section	.text._ZN7rocprim17ROCPRIM_400000_NS6detail17trampoline_kernelINS0_14default_configENS1_20scan_config_selectorIlEEZZNS1_9scan_implILNS1_25lookback_scan_determinismE0ELb0ELb0ES3_PlS8_lN6thrust23THRUST_200600_302600_NS4plusIvEElEEDaPvRmT3_T4_T5_mT6_P12ihipStream_tbENKUlT_T0_E_clISt17integral_constantIbLb0EESP_IbLb1EEEEDaSL_SM_EUlSL_E_NS1_11comp_targetILNS1_3genE4ELNS1_11target_archE910ELNS1_3gpuE8ELNS1_3repE0EEENS1_30default_config_static_selectorELNS0_4arch9wavefront6targetE1EEEvT1_,"axG",@progbits,_ZN7rocprim17ROCPRIM_400000_NS6detail17trampoline_kernelINS0_14default_configENS1_20scan_config_selectorIlEEZZNS1_9scan_implILNS1_25lookback_scan_determinismE0ELb0ELb0ES3_PlS8_lN6thrust23THRUST_200600_302600_NS4plusIvEElEEDaPvRmT3_T4_T5_mT6_P12ihipStream_tbENKUlT_T0_E_clISt17integral_constantIbLb0EESP_IbLb1EEEEDaSL_SM_EUlSL_E_NS1_11comp_targetILNS1_3genE4ELNS1_11target_archE910ELNS1_3gpuE8ELNS1_3repE0EEENS1_30default_config_static_selectorELNS0_4arch9wavefront6targetE1EEEvT1_,comdat
	.protected	_ZN7rocprim17ROCPRIM_400000_NS6detail17trampoline_kernelINS0_14default_configENS1_20scan_config_selectorIlEEZZNS1_9scan_implILNS1_25lookback_scan_determinismE0ELb0ELb0ES3_PlS8_lN6thrust23THRUST_200600_302600_NS4plusIvEElEEDaPvRmT3_T4_T5_mT6_P12ihipStream_tbENKUlT_T0_E_clISt17integral_constantIbLb0EESP_IbLb1EEEEDaSL_SM_EUlSL_E_NS1_11comp_targetILNS1_3genE4ELNS1_11target_archE910ELNS1_3gpuE8ELNS1_3repE0EEENS1_30default_config_static_selectorELNS0_4arch9wavefront6targetE1EEEvT1_ ; -- Begin function _ZN7rocprim17ROCPRIM_400000_NS6detail17trampoline_kernelINS0_14default_configENS1_20scan_config_selectorIlEEZZNS1_9scan_implILNS1_25lookback_scan_determinismE0ELb0ELb0ES3_PlS8_lN6thrust23THRUST_200600_302600_NS4plusIvEElEEDaPvRmT3_T4_T5_mT6_P12ihipStream_tbENKUlT_T0_E_clISt17integral_constantIbLb0EESP_IbLb1EEEEDaSL_SM_EUlSL_E_NS1_11comp_targetILNS1_3genE4ELNS1_11target_archE910ELNS1_3gpuE8ELNS1_3repE0EEENS1_30default_config_static_selectorELNS0_4arch9wavefront6targetE1EEEvT1_
	.globl	_ZN7rocprim17ROCPRIM_400000_NS6detail17trampoline_kernelINS0_14default_configENS1_20scan_config_selectorIlEEZZNS1_9scan_implILNS1_25lookback_scan_determinismE0ELb0ELb0ES3_PlS8_lN6thrust23THRUST_200600_302600_NS4plusIvEElEEDaPvRmT3_T4_T5_mT6_P12ihipStream_tbENKUlT_T0_E_clISt17integral_constantIbLb0EESP_IbLb1EEEEDaSL_SM_EUlSL_E_NS1_11comp_targetILNS1_3genE4ELNS1_11target_archE910ELNS1_3gpuE8ELNS1_3repE0EEENS1_30default_config_static_selectorELNS0_4arch9wavefront6targetE1EEEvT1_
	.p2align	8
	.type	_ZN7rocprim17ROCPRIM_400000_NS6detail17trampoline_kernelINS0_14default_configENS1_20scan_config_selectorIlEEZZNS1_9scan_implILNS1_25lookback_scan_determinismE0ELb0ELb0ES3_PlS8_lN6thrust23THRUST_200600_302600_NS4plusIvEElEEDaPvRmT3_T4_T5_mT6_P12ihipStream_tbENKUlT_T0_E_clISt17integral_constantIbLb0EESP_IbLb1EEEEDaSL_SM_EUlSL_E_NS1_11comp_targetILNS1_3genE4ELNS1_11target_archE910ELNS1_3gpuE8ELNS1_3repE0EEENS1_30default_config_static_selectorELNS0_4arch9wavefront6targetE1EEEvT1_,@function
_ZN7rocprim17ROCPRIM_400000_NS6detail17trampoline_kernelINS0_14default_configENS1_20scan_config_selectorIlEEZZNS1_9scan_implILNS1_25lookback_scan_determinismE0ELb0ELb0ES3_PlS8_lN6thrust23THRUST_200600_302600_NS4plusIvEElEEDaPvRmT3_T4_T5_mT6_P12ihipStream_tbENKUlT_T0_E_clISt17integral_constantIbLb0EESP_IbLb1EEEEDaSL_SM_EUlSL_E_NS1_11comp_targetILNS1_3genE4ELNS1_11target_archE910ELNS1_3gpuE8ELNS1_3repE0EEENS1_30default_config_static_selectorELNS0_4arch9wavefront6targetE1EEEvT1_: ; @_ZN7rocprim17ROCPRIM_400000_NS6detail17trampoline_kernelINS0_14default_configENS1_20scan_config_selectorIlEEZZNS1_9scan_implILNS1_25lookback_scan_determinismE0ELb0ELb0ES3_PlS8_lN6thrust23THRUST_200600_302600_NS4plusIvEElEEDaPvRmT3_T4_T5_mT6_P12ihipStream_tbENKUlT_T0_E_clISt17integral_constantIbLb0EESP_IbLb1EEEEDaSL_SM_EUlSL_E_NS1_11comp_targetILNS1_3genE4ELNS1_11target_archE910ELNS1_3gpuE8ELNS1_3repE0EEENS1_30default_config_static_selectorELNS0_4arch9wavefront6targetE1EEEvT1_
; %bb.0:
	.section	.rodata,"a",@progbits
	.p2align	6, 0x0
	.amdhsa_kernel _ZN7rocprim17ROCPRIM_400000_NS6detail17trampoline_kernelINS0_14default_configENS1_20scan_config_selectorIlEEZZNS1_9scan_implILNS1_25lookback_scan_determinismE0ELb0ELb0ES3_PlS8_lN6thrust23THRUST_200600_302600_NS4plusIvEElEEDaPvRmT3_T4_T5_mT6_P12ihipStream_tbENKUlT_T0_E_clISt17integral_constantIbLb0EESP_IbLb1EEEEDaSL_SM_EUlSL_E_NS1_11comp_targetILNS1_3genE4ELNS1_11target_archE910ELNS1_3gpuE8ELNS1_3repE0EEENS1_30default_config_static_selectorELNS0_4arch9wavefront6targetE1EEEvT1_
		.amdhsa_group_segment_fixed_size 0
		.amdhsa_private_segment_fixed_size 0
		.amdhsa_kernarg_size 104
		.amdhsa_user_sgpr_count 2
		.amdhsa_user_sgpr_dispatch_ptr 0
		.amdhsa_user_sgpr_queue_ptr 0
		.amdhsa_user_sgpr_kernarg_segment_ptr 1
		.amdhsa_user_sgpr_dispatch_id 0
		.amdhsa_user_sgpr_kernarg_preload_length 0
		.amdhsa_user_sgpr_kernarg_preload_offset 0
		.amdhsa_user_sgpr_private_segment_size 0
		.amdhsa_uses_dynamic_stack 0
		.amdhsa_enable_private_segment 0
		.amdhsa_system_sgpr_workgroup_id_x 1
		.amdhsa_system_sgpr_workgroup_id_y 0
		.amdhsa_system_sgpr_workgroup_id_z 0
		.amdhsa_system_sgpr_workgroup_info 0
		.amdhsa_system_vgpr_workitem_id 0
		.amdhsa_next_free_vgpr 1
		.amdhsa_next_free_sgpr 0
		.amdhsa_accum_offset 4
		.amdhsa_reserve_vcc 0
		.amdhsa_float_round_mode_32 0
		.amdhsa_float_round_mode_16_64 0
		.amdhsa_float_denorm_mode_32 3
		.amdhsa_float_denorm_mode_16_64 3
		.amdhsa_dx10_clamp 1
		.amdhsa_ieee_mode 1
		.amdhsa_fp16_overflow 0
		.amdhsa_tg_split 0
		.amdhsa_exception_fp_ieee_invalid_op 0
		.amdhsa_exception_fp_denorm_src 0
		.amdhsa_exception_fp_ieee_div_zero 0
		.amdhsa_exception_fp_ieee_overflow 0
		.amdhsa_exception_fp_ieee_underflow 0
		.amdhsa_exception_fp_ieee_inexact 0
		.amdhsa_exception_int_div_zero 0
	.end_amdhsa_kernel
	.section	.text._ZN7rocprim17ROCPRIM_400000_NS6detail17trampoline_kernelINS0_14default_configENS1_20scan_config_selectorIlEEZZNS1_9scan_implILNS1_25lookback_scan_determinismE0ELb0ELb0ES3_PlS8_lN6thrust23THRUST_200600_302600_NS4plusIvEElEEDaPvRmT3_T4_T5_mT6_P12ihipStream_tbENKUlT_T0_E_clISt17integral_constantIbLb0EESP_IbLb1EEEEDaSL_SM_EUlSL_E_NS1_11comp_targetILNS1_3genE4ELNS1_11target_archE910ELNS1_3gpuE8ELNS1_3repE0EEENS1_30default_config_static_selectorELNS0_4arch9wavefront6targetE1EEEvT1_,"axG",@progbits,_ZN7rocprim17ROCPRIM_400000_NS6detail17trampoline_kernelINS0_14default_configENS1_20scan_config_selectorIlEEZZNS1_9scan_implILNS1_25lookback_scan_determinismE0ELb0ELb0ES3_PlS8_lN6thrust23THRUST_200600_302600_NS4plusIvEElEEDaPvRmT3_T4_T5_mT6_P12ihipStream_tbENKUlT_T0_E_clISt17integral_constantIbLb0EESP_IbLb1EEEEDaSL_SM_EUlSL_E_NS1_11comp_targetILNS1_3genE4ELNS1_11target_archE910ELNS1_3gpuE8ELNS1_3repE0EEENS1_30default_config_static_selectorELNS0_4arch9wavefront6targetE1EEEvT1_,comdat
.Lfunc_end143:
	.size	_ZN7rocprim17ROCPRIM_400000_NS6detail17trampoline_kernelINS0_14default_configENS1_20scan_config_selectorIlEEZZNS1_9scan_implILNS1_25lookback_scan_determinismE0ELb0ELb0ES3_PlS8_lN6thrust23THRUST_200600_302600_NS4plusIvEElEEDaPvRmT3_T4_T5_mT6_P12ihipStream_tbENKUlT_T0_E_clISt17integral_constantIbLb0EESP_IbLb1EEEEDaSL_SM_EUlSL_E_NS1_11comp_targetILNS1_3genE4ELNS1_11target_archE910ELNS1_3gpuE8ELNS1_3repE0EEENS1_30default_config_static_selectorELNS0_4arch9wavefront6targetE1EEEvT1_, .Lfunc_end143-_ZN7rocprim17ROCPRIM_400000_NS6detail17trampoline_kernelINS0_14default_configENS1_20scan_config_selectorIlEEZZNS1_9scan_implILNS1_25lookback_scan_determinismE0ELb0ELb0ES3_PlS8_lN6thrust23THRUST_200600_302600_NS4plusIvEElEEDaPvRmT3_T4_T5_mT6_P12ihipStream_tbENKUlT_T0_E_clISt17integral_constantIbLb0EESP_IbLb1EEEEDaSL_SM_EUlSL_E_NS1_11comp_targetILNS1_3genE4ELNS1_11target_archE910ELNS1_3gpuE8ELNS1_3repE0EEENS1_30default_config_static_selectorELNS0_4arch9wavefront6targetE1EEEvT1_
                                        ; -- End function
	.set _ZN7rocprim17ROCPRIM_400000_NS6detail17trampoline_kernelINS0_14default_configENS1_20scan_config_selectorIlEEZZNS1_9scan_implILNS1_25lookback_scan_determinismE0ELb0ELb0ES3_PlS8_lN6thrust23THRUST_200600_302600_NS4plusIvEElEEDaPvRmT3_T4_T5_mT6_P12ihipStream_tbENKUlT_T0_E_clISt17integral_constantIbLb0EESP_IbLb1EEEEDaSL_SM_EUlSL_E_NS1_11comp_targetILNS1_3genE4ELNS1_11target_archE910ELNS1_3gpuE8ELNS1_3repE0EEENS1_30default_config_static_selectorELNS0_4arch9wavefront6targetE1EEEvT1_.num_vgpr, 0
	.set _ZN7rocprim17ROCPRIM_400000_NS6detail17trampoline_kernelINS0_14default_configENS1_20scan_config_selectorIlEEZZNS1_9scan_implILNS1_25lookback_scan_determinismE0ELb0ELb0ES3_PlS8_lN6thrust23THRUST_200600_302600_NS4plusIvEElEEDaPvRmT3_T4_T5_mT6_P12ihipStream_tbENKUlT_T0_E_clISt17integral_constantIbLb0EESP_IbLb1EEEEDaSL_SM_EUlSL_E_NS1_11comp_targetILNS1_3genE4ELNS1_11target_archE910ELNS1_3gpuE8ELNS1_3repE0EEENS1_30default_config_static_selectorELNS0_4arch9wavefront6targetE1EEEvT1_.num_agpr, 0
	.set _ZN7rocprim17ROCPRIM_400000_NS6detail17trampoline_kernelINS0_14default_configENS1_20scan_config_selectorIlEEZZNS1_9scan_implILNS1_25lookback_scan_determinismE0ELb0ELb0ES3_PlS8_lN6thrust23THRUST_200600_302600_NS4plusIvEElEEDaPvRmT3_T4_T5_mT6_P12ihipStream_tbENKUlT_T0_E_clISt17integral_constantIbLb0EESP_IbLb1EEEEDaSL_SM_EUlSL_E_NS1_11comp_targetILNS1_3genE4ELNS1_11target_archE910ELNS1_3gpuE8ELNS1_3repE0EEENS1_30default_config_static_selectorELNS0_4arch9wavefront6targetE1EEEvT1_.numbered_sgpr, 0
	.set _ZN7rocprim17ROCPRIM_400000_NS6detail17trampoline_kernelINS0_14default_configENS1_20scan_config_selectorIlEEZZNS1_9scan_implILNS1_25lookback_scan_determinismE0ELb0ELb0ES3_PlS8_lN6thrust23THRUST_200600_302600_NS4plusIvEElEEDaPvRmT3_T4_T5_mT6_P12ihipStream_tbENKUlT_T0_E_clISt17integral_constantIbLb0EESP_IbLb1EEEEDaSL_SM_EUlSL_E_NS1_11comp_targetILNS1_3genE4ELNS1_11target_archE910ELNS1_3gpuE8ELNS1_3repE0EEENS1_30default_config_static_selectorELNS0_4arch9wavefront6targetE1EEEvT1_.num_named_barrier, 0
	.set _ZN7rocprim17ROCPRIM_400000_NS6detail17trampoline_kernelINS0_14default_configENS1_20scan_config_selectorIlEEZZNS1_9scan_implILNS1_25lookback_scan_determinismE0ELb0ELb0ES3_PlS8_lN6thrust23THRUST_200600_302600_NS4plusIvEElEEDaPvRmT3_T4_T5_mT6_P12ihipStream_tbENKUlT_T0_E_clISt17integral_constantIbLb0EESP_IbLb1EEEEDaSL_SM_EUlSL_E_NS1_11comp_targetILNS1_3genE4ELNS1_11target_archE910ELNS1_3gpuE8ELNS1_3repE0EEENS1_30default_config_static_selectorELNS0_4arch9wavefront6targetE1EEEvT1_.private_seg_size, 0
	.set _ZN7rocprim17ROCPRIM_400000_NS6detail17trampoline_kernelINS0_14default_configENS1_20scan_config_selectorIlEEZZNS1_9scan_implILNS1_25lookback_scan_determinismE0ELb0ELb0ES3_PlS8_lN6thrust23THRUST_200600_302600_NS4plusIvEElEEDaPvRmT3_T4_T5_mT6_P12ihipStream_tbENKUlT_T0_E_clISt17integral_constantIbLb0EESP_IbLb1EEEEDaSL_SM_EUlSL_E_NS1_11comp_targetILNS1_3genE4ELNS1_11target_archE910ELNS1_3gpuE8ELNS1_3repE0EEENS1_30default_config_static_selectorELNS0_4arch9wavefront6targetE1EEEvT1_.uses_vcc, 0
	.set _ZN7rocprim17ROCPRIM_400000_NS6detail17trampoline_kernelINS0_14default_configENS1_20scan_config_selectorIlEEZZNS1_9scan_implILNS1_25lookback_scan_determinismE0ELb0ELb0ES3_PlS8_lN6thrust23THRUST_200600_302600_NS4plusIvEElEEDaPvRmT3_T4_T5_mT6_P12ihipStream_tbENKUlT_T0_E_clISt17integral_constantIbLb0EESP_IbLb1EEEEDaSL_SM_EUlSL_E_NS1_11comp_targetILNS1_3genE4ELNS1_11target_archE910ELNS1_3gpuE8ELNS1_3repE0EEENS1_30default_config_static_selectorELNS0_4arch9wavefront6targetE1EEEvT1_.uses_flat_scratch, 0
	.set _ZN7rocprim17ROCPRIM_400000_NS6detail17trampoline_kernelINS0_14default_configENS1_20scan_config_selectorIlEEZZNS1_9scan_implILNS1_25lookback_scan_determinismE0ELb0ELb0ES3_PlS8_lN6thrust23THRUST_200600_302600_NS4plusIvEElEEDaPvRmT3_T4_T5_mT6_P12ihipStream_tbENKUlT_T0_E_clISt17integral_constantIbLb0EESP_IbLb1EEEEDaSL_SM_EUlSL_E_NS1_11comp_targetILNS1_3genE4ELNS1_11target_archE910ELNS1_3gpuE8ELNS1_3repE0EEENS1_30default_config_static_selectorELNS0_4arch9wavefront6targetE1EEEvT1_.has_dyn_sized_stack, 0
	.set _ZN7rocprim17ROCPRIM_400000_NS6detail17trampoline_kernelINS0_14default_configENS1_20scan_config_selectorIlEEZZNS1_9scan_implILNS1_25lookback_scan_determinismE0ELb0ELb0ES3_PlS8_lN6thrust23THRUST_200600_302600_NS4plusIvEElEEDaPvRmT3_T4_T5_mT6_P12ihipStream_tbENKUlT_T0_E_clISt17integral_constantIbLb0EESP_IbLb1EEEEDaSL_SM_EUlSL_E_NS1_11comp_targetILNS1_3genE4ELNS1_11target_archE910ELNS1_3gpuE8ELNS1_3repE0EEENS1_30default_config_static_selectorELNS0_4arch9wavefront6targetE1EEEvT1_.has_recursion, 0
	.set _ZN7rocprim17ROCPRIM_400000_NS6detail17trampoline_kernelINS0_14default_configENS1_20scan_config_selectorIlEEZZNS1_9scan_implILNS1_25lookback_scan_determinismE0ELb0ELb0ES3_PlS8_lN6thrust23THRUST_200600_302600_NS4plusIvEElEEDaPvRmT3_T4_T5_mT6_P12ihipStream_tbENKUlT_T0_E_clISt17integral_constantIbLb0EESP_IbLb1EEEEDaSL_SM_EUlSL_E_NS1_11comp_targetILNS1_3genE4ELNS1_11target_archE910ELNS1_3gpuE8ELNS1_3repE0EEENS1_30default_config_static_selectorELNS0_4arch9wavefront6targetE1EEEvT1_.has_indirect_call, 0
	.section	.AMDGPU.csdata,"",@progbits
; Kernel info:
; codeLenInByte = 0
; TotalNumSgprs: 6
; NumVgprs: 0
; NumAgprs: 0
; TotalNumVgprs: 0
; ScratchSize: 0
; MemoryBound: 0
; FloatMode: 240
; IeeeMode: 1
; LDSByteSize: 0 bytes/workgroup (compile time only)
; SGPRBlocks: 0
; VGPRBlocks: 0
; NumSGPRsForWavesPerEU: 6
; NumVGPRsForWavesPerEU: 1
; AccumOffset: 4
; Occupancy: 8
; WaveLimiterHint : 0
; COMPUTE_PGM_RSRC2:SCRATCH_EN: 0
; COMPUTE_PGM_RSRC2:USER_SGPR: 2
; COMPUTE_PGM_RSRC2:TRAP_HANDLER: 0
; COMPUTE_PGM_RSRC2:TGID_X_EN: 1
; COMPUTE_PGM_RSRC2:TGID_Y_EN: 0
; COMPUTE_PGM_RSRC2:TGID_Z_EN: 0
; COMPUTE_PGM_RSRC2:TIDIG_COMP_CNT: 0
; COMPUTE_PGM_RSRC3_GFX90A:ACCUM_OFFSET: 0
; COMPUTE_PGM_RSRC3_GFX90A:TG_SPLIT: 0
	.section	.text._ZN7rocprim17ROCPRIM_400000_NS6detail17trampoline_kernelINS0_14default_configENS1_20scan_config_selectorIlEEZZNS1_9scan_implILNS1_25lookback_scan_determinismE0ELb0ELb0ES3_PlS8_lN6thrust23THRUST_200600_302600_NS4plusIvEElEEDaPvRmT3_T4_T5_mT6_P12ihipStream_tbENKUlT_T0_E_clISt17integral_constantIbLb0EESP_IbLb1EEEEDaSL_SM_EUlSL_E_NS1_11comp_targetILNS1_3genE3ELNS1_11target_archE908ELNS1_3gpuE7ELNS1_3repE0EEENS1_30default_config_static_selectorELNS0_4arch9wavefront6targetE1EEEvT1_,"axG",@progbits,_ZN7rocprim17ROCPRIM_400000_NS6detail17trampoline_kernelINS0_14default_configENS1_20scan_config_selectorIlEEZZNS1_9scan_implILNS1_25lookback_scan_determinismE0ELb0ELb0ES3_PlS8_lN6thrust23THRUST_200600_302600_NS4plusIvEElEEDaPvRmT3_T4_T5_mT6_P12ihipStream_tbENKUlT_T0_E_clISt17integral_constantIbLb0EESP_IbLb1EEEEDaSL_SM_EUlSL_E_NS1_11comp_targetILNS1_3genE3ELNS1_11target_archE908ELNS1_3gpuE7ELNS1_3repE0EEENS1_30default_config_static_selectorELNS0_4arch9wavefront6targetE1EEEvT1_,comdat
	.protected	_ZN7rocprim17ROCPRIM_400000_NS6detail17trampoline_kernelINS0_14default_configENS1_20scan_config_selectorIlEEZZNS1_9scan_implILNS1_25lookback_scan_determinismE0ELb0ELb0ES3_PlS8_lN6thrust23THRUST_200600_302600_NS4plusIvEElEEDaPvRmT3_T4_T5_mT6_P12ihipStream_tbENKUlT_T0_E_clISt17integral_constantIbLb0EESP_IbLb1EEEEDaSL_SM_EUlSL_E_NS1_11comp_targetILNS1_3genE3ELNS1_11target_archE908ELNS1_3gpuE7ELNS1_3repE0EEENS1_30default_config_static_selectorELNS0_4arch9wavefront6targetE1EEEvT1_ ; -- Begin function _ZN7rocprim17ROCPRIM_400000_NS6detail17trampoline_kernelINS0_14default_configENS1_20scan_config_selectorIlEEZZNS1_9scan_implILNS1_25lookback_scan_determinismE0ELb0ELb0ES3_PlS8_lN6thrust23THRUST_200600_302600_NS4plusIvEElEEDaPvRmT3_T4_T5_mT6_P12ihipStream_tbENKUlT_T0_E_clISt17integral_constantIbLb0EESP_IbLb1EEEEDaSL_SM_EUlSL_E_NS1_11comp_targetILNS1_3genE3ELNS1_11target_archE908ELNS1_3gpuE7ELNS1_3repE0EEENS1_30default_config_static_selectorELNS0_4arch9wavefront6targetE1EEEvT1_
	.globl	_ZN7rocprim17ROCPRIM_400000_NS6detail17trampoline_kernelINS0_14default_configENS1_20scan_config_selectorIlEEZZNS1_9scan_implILNS1_25lookback_scan_determinismE0ELb0ELb0ES3_PlS8_lN6thrust23THRUST_200600_302600_NS4plusIvEElEEDaPvRmT3_T4_T5_mT6_P12ihipStream_tbENKUlT_T0_E_clISt17integral_constantIbLb0EESP_IbLb1EEEEDaSL_SM_EUlSL_E_NS1_11comp_targetILNS1_3genE3ELNS1_11target_archE908ELNS1_3gpuE7ELNS1_3repE0EEENS1_30default_config_static_selectorELNS0_4arch9wavefront6targetE1EEEvT1_
	.p2align	8
	.type	_ZN7rocprim17ROCPRIM_400000_NS6detail17trampoline_kernelINS0_14default_configENS1_20scan_config_selectorIlEEZZNS1_9scan_implILNS1_25lookback_scan_determinismE0ELb0ELb0ES3_PlS8_lN6thrust23THRUST_200600_302600_NS4plusIvEElEEDaPvRmT3_T4_T5_mT6_P12ihipStream_tbENKUlT_T0_E_clISt17integral_constantIbLb0EESP_IbLb1EEEEDaSL_SM_EUlSL_E_NS1_11comp_targetILNS1_3genE3ELNS1_11target_archE908ELNS1_3gpuE7ELNS1_3repE0EEENS1_30default_config_static_selectorELNS0_4arch9wavefront6targetE1EEEvT1_,@function
_ZN7rocprim17ROCPRIM_400000_NS6detail17trampoline_kernelINS0_14default_configENS1_20scan_config_selectorIlEEZZNS1_9scan_implILNS1_25lookback_scan_determinismE0ELb0ELb0ES3_PlS8_lN6thrust23THRUST_200600_302600_NS4plusIvEElEEDaPvRmT3_T4_T5_mT6_P12ihipStream_tbENKUlT_T0_E_clISt17integral_constantIbLb0EESP_IbLb1EEEEDaSL_SM_EUlSL_E_NS1_11comp_targetILNS1_3genE3ELNS1_11target_archE908ELNS1_3gpuE7ELNS1_3repE0EEENS1_30default_config_static_selectorELNS0_4arch9wavefront6targetE1EEEvT1_: ; @_ZN7rocprim17ROCPRIM_400000_NS6detail17trampoline_kernelINS0_14default_configENS1_20scan_config_selectorIlEEZZNS1_9scan_implILNS1_25lookback_scan_determinismE0ELb0ELb0ES3_PlS8_lN6thrust23THRUST_200600_302600_NS4plusIvEElEEDaPvRmT3_T4_T5_mT6_P12ihipStream_tbENKUlT_T0_E_clISt17integral_constantIbLb0EESP_IbLb1EEEEDaSL_SM_EUlSL_E_NS1_11comp_targetILNS1_3genE3ELNS1_11target_archE908ELNS1_3gpuE7ELNS1_3repE0EEENS1_30default_config_static_selectorELNS0_4arch9wavefront6targetE1EEEvT1_
; %bb.0:
	.section	.rodata,"a",@progbits
	.p2align	6, 0x0
	.amdhsa_kernel _ZN7rocprim17ROCPRIM_400000_NS6detail17trampoline_kernelINS0_14default_configENS1_20scan_config_selectorIlEEZZNS1_9scan_implILNS1_25lookback_scan_determinismE0ELb0ELb0ES3_PlS8_lN6thrust23THRUST_200600_302600_NS4plusIvEElEEDaPvRmT3_T4_T5_mT6_P12ihipStream_tbENKUlT_T0_E_clISt17integral_constantIbLb0EESP_IbLb1EEEEDaSL_SM_EUlSL_E_NS1_11comp_targetILNS1_3genE3ELNS1_11target_archE908ELNS1_3gpuE7ELNS1_3repE0EEENS1_30default_config_static_selectorELNS0_4arch9wavefront6targetE1EEEvT1_
		.amdhsa_group_segment_fixed_size 0
		.amdhsa_private_segment_fixed_size 0
		.amdhsa_kernarg_size 104
		.amdhsa_user_sgpr_count 2
		.amdhsa_user_sgpr_dispatch_ptr 0
		.amdhsa_user_sgpr_queue_ptr 0
		.amdhsa_user_sgpr_kernarg_segment_ptr 1
		.amdhsa_user_sgpr_dispatch_id 0
		.amdhsa_user_sgpr_kernarg_preload_length 0
		.amdhsa_user_sgpr_kernarg_preload_offset 0
		.amdhsa_user_sgpr_private_segment_size 0
		.amdhsa_uses_dynamic_stack 0
		.amdhsa_enable_private_segment 0
		.amdhsa_system_sgpr_workgroup_id_x 1
		.amdhsa_system_sgpr_workgroup_id_y 0
		.amdhsa_system_sgpr_workgroup_id_z 0
		.amdhsa_system_sgpr_workgroup_info 0
		.amdhsa_system_vgpr_workitem_id 0
		.amdhsa_next_free_vgpr 1
		.amdhsa_next_free_sgpr 0
		.amdhsa_accum_offset 4
		.amdhsa_reserve_vcc 0
		.amdhsa_float_round_mode_32 0
		.amdhsa_float_round_mode_16_64 0
		.amdhsa_float_denorm_mode_32 3
		.amdhsa_float_denorm_mode_16_64 3
		.amdhsa_dx10_clamp 1
		.amdhsa_ieee_mode 1
		.amdhsa_fp16_overflow 0
		.amdhsa_tg_split 0
		.amdhsa_exception_fp_ieee_invalid_op 0
		.amdhsa_exception_fp_denorm_src 0
		.amdhsa_exception_fp_ieee_div_zero 0
		.amdhsa_exception_fp_ieee_overflow 0
		.amdhsa_exception_fp_ieee_underflow 0
		.amdhsa_exception_fp_ieee_inexact 0
		.amdhsa_exception_int_div_zero 0
	.end_amdhsa_kernel
	.section	.text._ZN7rocprim17ROCPRIM_400000_NS6detail17trampoline_kernelINS0_14default_configENS1_20scan_config_selectorIlEEZZNS1_9scan_implILNS1_25lookback_scan_determinismE0ELb0ELb0ES3_PlS8_lN6thrust23THRUST_200600_302600_NS4plusIvEElEEDaPvRmT3_T4_T5_mT6_P12ihipStream_tbENKUlT_T0_E_clISt17integral_constantIbLb0EESP_IbLb1EEEEDaSL_SM_EUlSL_E_NS1_11comp_targetILNS1_3genE3ELNS1_11target_archE908ELNS1_3gpuE7ELNS1_3repE0EEENS1_30default_config_static_selectorELNS0_4arch9wavefront6targetE1EEEvT1_,"axG",@progbits,_ZN7rocprim17ROCPRIM_400000_NS6detail17trampoline_kernelINS0_14default_configENS1_20scan_config_selectorIlEEZZNS1_9scan_implILNS1_25lookback_scan_determinismE0ELb0ELb0ES3_PlS8_lN6thrust23THRUST_200600_302600_NS4plusIvEElEEDaPvRmT3_T4_T5_mT6_P12ihipStream_tbENKUlT_T0_E_clISt17integral_constantIbLb0EESP_IbLb1EEEEDaSL_SM_EUlSL_E_NS1_11comp_targetILNS1_3genE3ELNS1_11target_archE908ELNS1_3gpuE7ELNS1_3repE0EEENS1_30default_config_static_selectorELNS0_4arch9wavefront6targetE1EEEvT1_,comdat
.Lfunc_end144:
	.size	_ZN7rocprim17ROCPRIM_400000_NS6detail17trampoline_kernelINS0_14default_configENS1_20scan_config_selectorIlEEZZNS1_9scan_implILNS1_25lookback_scan_determinismE0ELb0ELb0ES3_PlS8_lN6thrust23THRUST_200600_302600_NS4plusIvEElEEDaPvRmT3_T4_T5_mT6_P12ihipStream_tbENKUlT_T0_E_clISt17integral_constantIbLb0EESP_IbLb1EEEEDaSL_SM_EUlSL_E_NS1_11comp_targetILNS1_3genE3ELNS1_11target_archE908ELNS1_3gpuE7ELNS1_3repE0EEENS1_30default_config_static_selectorELNS0_4arch9wavefront6targetE1EEEvT1_, .Lfunc_end144-_ZN7rocprim17ROCPRIM_400000_NS6detail17trampoline_kernelINS0_14default_configENS1_20scan_config_selectorIlEEZZNS1_9scan_implILNS1_25lookback_scan_determinismE0ELb0ELb0ES3_PlS8_lN6thrust23THRUST_200600_302600_NS4plusIvEElEEDaPvRmT3_T4_T5_mT6_P12ihipStream_tbENKUlT_T0_E_clISt17integral_constantIbLb0EESP_IbLb1EEEEDaSL_SM_EUlSL_E_NS1_11comp_targetILNS1_3genE3ELNS1_11target_archE908ELNS1_3gpuE7ELNS1_3repE0EEENS1_30default_config_static_selectorELNS0_4arch9wavefront6targetE1EEEvT1_
                                        ; -- End function
	.set _ZN7rocprim17ROCPRIM_400000_NS6detail17trampoline_kernelINS0_14default_configENS1_20scan_config_selectorIlEEZZNS1_9scan_implILNS1_25lookback_scan_determinismE0ELb0ELb0ES3_PlS8_lN6thrust23THRUST_200600_302600_NS4plusIvEElEEDaPvRmT3_T4_T5_mT6_P12ihipStream_tbENKUlT_T0_E_clISt17integral_constantIbLb0EESP_IbLb1EEEEDaSL_SM_EUlSL_E_NS1_11comp_targetILNS1_3genE3ELNS1_11target_archE908ELNS1_3gpuE7ELNS1_3repE0EEENS1_30default_config_static_selectorELNS0_4arch9wavefront6targetE1EEEvT1_.num_vgpr, 0
	.set _ZN7rocprim17ROCPRIM_400000_NS6detail17trampoline_kernelINS0_14default_configENS1_20scan_config_selectorIlEEZZNS1_9scan_implILNS1_25lookback_scan_determinismE0ELb0ELb0ES3_PlS8_lN6thrust23THRUST_200600_302600_NS4plusIvEElEEDaPvRmT3_T4_T5_mT6_P12ihipStream_tbENKUlT_T0_E_clISt17integral_constantIbLb0EESP_IbLb1EEEEDaSL_SM_EUlSL_E_NS1_11comp_targetILNS1_3genE3ELNS1_11target_archE908ELNS1_3gpuE7ELNS1_3repE0EEENS1_30default_config_static_selectorELNS0_4arch9wavefront6targetE1EEEvT1_.num_agpr, 0
	.set _ZN7rocprim17ROCPRIM_400000_NS6detail17trampoline_kernelINS0_14default_configENS1_20scan_config_selectorIlEEZZNS1_9scan_implILNS1_25lookback_scan_determinismE0ELb0ELb0ES3_PlS8_lN6thrust23THRUST_200600_302600_NS4plusIvEElEEDaPvRmT3_T4_T5_mT6_P12ihipStream_tbENKUlT_T0_E_clISt17integral_constantIbLb0EESP_IbLb1EEEEDaSL_SM_EUlSL_E_NS1_11comp_targetILNS1_3genE3ELNS1_11target_archE908ELNS1_3gpuE7ELNS1_3repE0EEENS1_30default_config_static_selectorELNS0_4arch9wavefront6targetE1EEEvT1_.numbered_sgpr, 0
	.set _ZN7rocprim17ROCPRIM_400000_NS6detail17trampoline_kernelINS0_14default_configENS1_20scan_config_selectorIlEEZZNS1_9scan_implILNS1_25lookback_scan_determinismE0ELb0ELb0ES3_PlS8_lN6thrust23THRUST_200600_302600_NS4plusIvEElEEDaPvRmT3_T4_T5_mT6_P12ihipStream_tbENKUlT_T0_E_clISt17integral_constantIbLb0EESP_IbLb1EEEEDaSL_SM_EUlSL_E_NS1_11comp_targetILNS1_3genE3ELNS1_11target_archE908ELNS1_3gpuE7ELNS1_3repE0EEENS1_30default_config_static_selectorELNS0_4arch9wavefront6targetE1EEEvT1_.num_named_barrier, 0
	.set _ZN7rocprim17ROCPRIM_400000_NS6detail17trampoline_kernelINS0_14default_configENS1_20scan_config_selectorIlEEZZNS1_9scan_implILNS1_25lookback_scan_determinismE0ELb0ELb0ES3_PlS8_lN6thrust23THRUST_200600_302600_NS4plusIvEElEEDaPvRmT3_T4_T5_mT6_P12ihipStream_tbENKUlT_T0_E_clISt17integral_constantIbLb0EESP_IbLb1EEEEDaSL_SM_EUlSL_E_NS1_11comp_targetILNS1_3genE3ELNS1_11target_archE908ELNS1_3gpuE7ELNS1_3repE0EEENS1_30default_config_static_selectorELNS0_4arch9wavefront6targetE1EEEvT1_.private_seg_size, 0
	.set _ZN7rocprim17ROCPRIM_400000_NS6detail17trampoline_kernelINS0_14default_configENS1_20scan_config_selectorIlEEZZNS1_9scan_implILNS1_25lookback_scan_determinismE0ELb0ELb0ES3_PlS8_lN6thrust23THRUST_200600_302600_NS4plusIvEElEEDaPvRmT3_T4_T5_mT6_P12ihipStream_tbENKUlT_T0_E_clISt17integral_constantIbLb0EESP_IbLb1EEEEDaSL_SM_EUlSL_E_NS1_11comp_targetILNS1_3genE3ELNS1_11target_archE908ELNS1_3gpuE7ELNS1_3repE0EEENS1_30default_config_static_selectorELNS0_4arch9wavefront6targetE1EEEvT1_.uses_vcc, 0
	.set _ZN7rocprim17ROCPRIM_400000_NS6detail17trampoline_kernelINS0_14default_configENS1_20scan_config_selectorIlEEZZNS1_9scan_implILNS1_25lookback_scan_determinismE0ELb0ELb0ES3_PlS8_lN6thrust23THRUST_200600_302600_NS4plusIvEElEEDaPvRmT3_T4_T5_mT6_P12ihipStream_tbENKUlT_T0_E_clISt17integral_constantIbLb0EESP_IbLb1EEEEDaSL_SM_EUlSL_E_NS1_11comp_targetILNS1_3genE3ELNS1_11target_archE908ELNS1_3gpuE7ELNS1_3repE0EEENS1_30default_config_static_selectorELNS0_4arch9wavefront6targetE1EEEvT1_.uses_flat_scratch, 0
	.set _ZN7rocprim17ROCPRIM_400000_NS6detail17trampoline_kernelINS0_14default_configENS1_20scan_config_selectorIlEEZZNS1_9scan_implILNS1_25lookback_scan_determinismE0ELb0ELb0ES3_PlS8_lN6thrust23THRUST_200600_302600_NS4plusIvEElEEDaPvRmT3_T4_T5_mT6_P12ihipStream_tbENKUlT_T0_E_clISt17integral_constantIbLb0EESP_IbLb1EEEEDaSL_SM_EUlSL_E_NS1_11comp_targetILNS1_3genE3ELNS1_11target_archE908ELNS1_3gpuE7ELNS1_3repE0EEENS1_30default_config_static_selectorELNS0_4arch9wavefront6targetE1EEEvT1_.has_dyn_sized_stack, 0
	.set _ZN7rocprim17ROCPRIM_400000_NS6detail17trampoline_kernelINS0_14default_configENS1_20scan_config_selectorIlEEZZNS1_9scan_implILNS1_25lookback_scan_determinismE0ELb0ELb0ES3_PlS8_lN6thrust23THRUST_200600_302600_NS4plusIvEElEEDaPvRmT3_T4_T5_mT6_P12ihipStream_tbENKUlT_T0_E_clISt17integral_constantIbLb0EESP_IbLb1EEEEDaSL_SM_EUlSL_E_NS1_11comp_targetILNS1_3genE3ELNS1_11target_archE908ELNS1_3gpuE7ELNS1_3repE0EEENS1_30default_config_static_selectorELNS0_4arch9wavefront6targetE1EEEvT1_.has_recursion, 0
	.set _ZN7rocprim17ROCPRIM_400000_NS6detail17trampoline_kernelINS0_14default_configENS1_20scan_config_selectorIlEEZZNS1_9scan_implILNS1_25lookback_scan_determinismE0ELb0ELb0ES3_PlS8_lN6thrust23THRUST_200600_302600_NS4plusIvEElEEDaPvRmT3_T4_T5_mT6_P12ihipStream_tbENKUlT_T0_E_clISt17integral_constantIbLb0EESP_IbLb1EEEEDaSL_SM_EUlSL_E_NS1_11comp_targetILNS1_3genE3ELNS1_11target_archE908ELNS1_3gpuE7ELNS1_3repE0EEENS1_30default_config_static_selectorELNS0_4arch9wavefront6targetE1EEEvT1_.has_indirect_call, 0
	.section	.AMDGPU.csdata,"",@progbits
; Kernel info:
; codeLenInByte = 0
; TotalNumSgprs: 6
; NumVgprs: 0
; NumAgprs: 0
; TotalNumVgprs: 0
; ScratchSize: 0
; MemoryBound: 0
; FloatMode: 240
; IeeeMode: 1
; LDSByteSize: 0 bytes/workgroup (compile time only)
; SGPRBlocks: 0
; VGPRBlocks: 0
; NumSGPRsForWavesPerEU: 6
; NumVGPRsForWavesPerEU: 1
; AccumOffset: 4
; Occupancy: 8
; WaveLimiterHint : 0
; COMPUTE_PGM_RSRC2:SCRATCH_EN: 0
; COMPUTE_PGM_RSRC2:USER_SGPR: 2
; COMPUTE_PGM_RSRC2:TRAP_HANDLER: 0
; COMPUTE_PGM_RSRC2:TGID_X_EN: 1
; COMPUTE_PGM_RSRC2:TGID_Y_EN: 0
; COMPUTE_PGM_RSRC2:TGID_Z_EN: 0
; COMPUTE_PGM_RSRC2:TIDIG_COMP_CNT: 0
; COMPUTE_PGM_RSRC3_GFX90A:ACCUM_OFFSET: 0
; COMPUTE_PGM_RSRC3_GFX90A:TG_SPLIT: 0
	.section	.text._ZN7rocprim17ROCPRIM_400000_NS6detail17trampoline_kernelINS0_14default_configENS1_20scan_config_selectorIlEEZZNS1_9scan_implILNS1_25lookback_scan_determinismE0ELb0ELb0ES3_PlS8_lN6thrust23THRUST_200600_302600_NS4plusIvEElEEDaPvRmT3_T4_T5_mT6_P12ihipStream_tbENKUlT_T0_E_clISt17integral_constantIbLb0EESP_IbLb1EEEEDaSL_SM_EUlSL_E_NS1_11comp_targetILNS1_3genE2ELNS1_11target_archE906ELNS1_3gpuE6ELNS1_3repE0EEENS1_30default_config_static_selectorELNS0_4arch9wavefront6targetE1EEEvT1_,"axG",@progbits,_ZN7rocprim17ROCPRIM_400000_NS6detail17trampoline_kernelINS0_14default_configENS1_20scan_config_selectorIlEEZZNS1_9scan_implILNS1_25lookback_scan_determinismE0ELb0ELb0ES3_PlS8_lN6thrust23THRUST_200600_302600_NS4plusIvEElEEDaPvRmT3_T4_T5_mT6_P12ihipStream_tbENKUlT_T0_E_clISt17integral_constantIbLb0EESP_IbLb1EEEEDaSL_SM_EUlSL_E_NS1_11comp_targetILNS1_3genE2ELNS1_11target_archE906ELNS1_3gpuE6ELNS1_3repE0EEENS1_30default_config_static_selectorELNS0_4arch9wavefront6targetE1EEEvT1_,comdat
	.protected	_ZN7rocprim17ROCPRIM_400000_NS6detail17trampoline_kernelINS0_14default_configENS1_20scan_config_selectorIlEEZZNS1_9scan_implILNS1_25lookback_scan_determinismE0ELb0ELb0ES3_PlS8_lN6thrust23THRUST_200600_302600_NS4plusIvEElEEDaPvRmT3_T4_T5_mT6_P12ihipStream_tbENKUlT_T0_E_clISt17integral_constantIbLb0EESP_IbLb1EEEEDaSL_SM_EUlSL_E_NS1_11comp_targetILNS1_3genE2ELNS1_11target_archE906ELNS1_3gpuE6ELNS1_3repE0EEENS1_30default_config_static_selectorELNS0_4arch9wavefront6targetE1EEEvT1_ ; -- Begin function _ZN7rocprim17ROCPRIM_400000_NS6detail17trampoline_kernelINS0_14default_configENS1_20scan_config_selectorIlEEZZNS1_9scan_implILNS1_25lookback_scan_determinismE0ELb0ELb0ES3_PlS8_lN6thrust23THRUST_200600_302600_NS4plusIvEElEEDaPvRmT3_T4_T5_mT6_P12ihipStream_tbENKUlT_T0_E_clISt17integral_constantIbLb0EESP_IbLb1EEEEDaSL_SM_EUlSL_E_NS1_11comp_targetILNS1_3genE2ELNS1_11target_archE906ELNS1_3gpuE6ELNS1_3repE0EEENS1_30default_config_static_selectorELNS0_4arch9wavefront6targetE1EEEvT1_
	.globl	_ZN7rocprim17ROCPRIM_400000_NS6detail17trampoline_kernelINS0_14default_configENS1_20scan_config_selectorIlEEZZNS1_9scan_implILNS1_25lookback_scan_determinismE0ELb0ELb0ES3_PlS8_lN6thrust23THRUST_200600_302600_NS4plusIvEElEEDaPvRmT3_T4_T5_mT6_P12ihipStream_tbENKUlT_T0_E_clISt17integral_constantIbLb0EESP_IbLb1EEEEDaSL_SM_EUlSL_E_NS1_11comp_targetILNS1_3genE2ELNS1_11target_archE906ELNS1_3gpuE6ELNS1_3repE0EEENS1_30default_config_static_selectorELNS0_4arch9wavefront6targetE1EEEvT1_
	.p2align	8
	.type	_ZN7rocprim17ROCPRIM_400000_NS6detail17trampoline_kernelINS0_14default_configENS1_20scan_config_selectorIlEEZZNS1_9scan_implILNS1_25lookback_scan_determinismE0ELb0ELb0ES3_PlS8_lN6thrust23THRUST_200600_302600_NS4plusIvEElEEDaPvRmT3_T4_T5_mT6_P12ihipStream_tbENKUlT_T0_E_clISt17integral_constantIbLb0EESP_IbLb1EEEEDaSL_SM_EUlSL_E_NS1_11comp_targetILNS1_3genE2ELNS1_11target_archE906ELNS1_3gpuE6ELNS1_3repE0EEENS1_30default_config_static_selectorELNS0_4arch9wavefront6targetE1EEEvT1_,@function
_ZN7rocprim17ROCPRIM_400000_NS6detail17trampoline_kernelINS0_14default_configENS1_20scan_config_selectorIlEEZZNS1_9scan_implILNS1_25lookback_scan_determinismE0ELb0ELb0ES3_PlS8_lN6thrust23THRUST_200600_302600_NS4plusIvEElEEDaPvRmT3_T4_T5_mT6_P12ihipStream_tbENKUlT_T0_E_clISt17integral_constantIbLb0EESP_IbLb1EEEEDaSL_SM_EUlSL_E_NS1_11comp_targetILNS1_3genE2ELNS1_11target_archE906ELNS1_3gpuE6ELNS1_3repE0EEENS1_30default_config_static_selectorELNS0_4arch9wavefront6targetE1EEEvT1_: ; @_ZN7rocprim17ROCPRIM_400000_NS6detail17trampoline_kernelINS0_14default_configENS1_20scan_config_selectorIlEEZZNS1_9scan_implILNS1_25lookback_scan_determinismE0ELb0ELb0ES3_PlS8_lN6thrust23THRUST_200600_302600_NS4plusIvEElEEDaPvRmT3_T4_T5_mT6_P12ihipStream_tbENKUlT_T0_E_clISt17integral_constantIbLb0EESP_IbLb1EEEEDaSL_SM_EUlSL_E_NS1_11comp_targetILNS1_3genE2ELNS1_11target_archE906ELNS1_3gpuE6ELNS1_3repE0EEENS1_30default_config_static_selectorELNS0_4arch9wavefront6targetE1EEEvT1_
; %bb.0:
	.section	.rodata,"a",@progbits
	.p2align	6, 0x0
	.amdhsa_kernel _ZN7rocprim17ROCPRIM_400000_NS6detail17trampoline_kernelINS0_14default_configENS1_20scan_config_selectorIlEEZZNS1_9scan_implILNS1_25lookback_scan_determinismE0ELb0ELb0ES3_PlS8_lN6thrust23THRUST_200600_302600_NS4plusIvEElEEDaPvRmT3_T4_T5_mT6_P12ihipStream_tbENKUlT_T0_E_clISt17integral_constantIbLb0EESP_IbLb1EEEEDaSL_SM_EUlSL_E_NS1_11comp_targetILNS1_3genE2ELNS1_11target_archE906ELNS1_3gpuE6ELNS1_3repE0EEENS1_30default_config_static_selectorELNS0_4arch9wavefront6targetE1EEEvT1_
		.amdhsa_group_segment_fixed_size 0
		.amdhsa_private_segment_fixed_size 0
		.amdhsa_kernarg_size 104
		.amdhsa_user_sgpr_count 2
		.amdhsa_user_sgpr_dispatch_ptr 0
		.amdhsa_user_sgpr_queue_ptr 0
		.amdhsa_user_sgpr_kernarg_segment_ptr 1
		.amdhsa_user_sgpr_dispatch_id 0
		.amdhsa_user_sgpr_kernarg_preload_length 0
		.amdhsa_user_sgpr_kernarg_preload_offset 0
		.amdhsa_user_sgpr_private_segment_size 0
		.amdhsa_uses_dynamic_stack 0
		.amdhsa_enable_private_segment 0
		.amdhsa_system_sgpr_workgroup_id_x 1
		.amdhsa_system_sgpr_workgroup_id_y 0
		.amdhsa_system_sgpr_workgroup_id_z 0
		.amdhsa_system_sgpr_workgroup_info 0
		.amdhsa_system_vgpr_workitem_id 0
		.amdhsa_next_free_vgpr 1
		.amdhsa_next_free_sgpr 0
		.amdhsa_accum_offset 4
		.amdhsa_reserve_vcc 0
		.amdhsa_float_round_mode_32 0
		.amdhsa_float_round_mode_16_64 0
		.amdhsa_float_denorm_mode_32 3
		.amdhsa_float_denorm_mode_16_64 3
		.amdhsa_dx10_clamp 1
		.amdhsa_ieee_mode 1
		.amdhsa_fp16_overflow 0
		.amdhsa_tg_split 0
		.amdhsa_exception_fp_ieee_invalid_op 0
		.amdhsa_exception_fp_denorm_src 0
		.amdhsa_exception_fp_ieee_div_zero 0
		.amdhsa_exception_fp_ieee_overflow 0
		.amdhsa_exception_fp_ieee_underflow 0
		.amdhsa_exception_fp_ieee_inexact 0
		.amdhsa_exception_int_div_zero 0
	.end_amdhsa_kernel
	.section	.text._ZN7rocprim17ROCPRIM_400000_NS6detail17trampoline_kernelINS0_14default_configENS1_20scan_config_selectorIlEEZZNS1_9scan_implILNS1_25lookback_scan_determinismE0ELb0ELb0ES3_PlS8_lN6thrust23THRUST_200600_302600_NS4plusIvEElEEDaPvRmT3_T4_T5_mT6_P12ihipStream_tbENKUlT_T0_E_clISt17integral_constantIbLb0EESP_IbLb1EEEEDaSL_SM_EUlSL_E_NS1_11comp_targetILNS1_3genE2ELNS1_11target_archE906ELNS1_3gpuE6ELNS1_3repE0EEENS1_30default_config_static_selectorELNS0_4arch9wavefront6targetE1EEEvT1_,"axG",@progbits,_ZN7rocprim17ROCPRIM_400000_NS6detail17trampoline_kernelINS0_14default_configENS1_20scan_config_selectorIlEEZZNS1_9scan_implILNS1_25lookback_scan_determinismE0ELb0ELb0ES3_PlS8_lN6thrust23THRUST_200600_302600_NS4plusIvEElEEDaPvRmT3_T4_T5_mT6_P12ihipStream_tbENKUlT_T0_E_clISt17integral_constantIbLb0EESP_IbLb1EEEEDaSL_SM_EUlSL_E_NS1_11comp_targetILNS1_3genE2ELNS1_11target_archE906ELNS1_3gpuE6ELNS1_3repE0EEENS1_30default_config_static_selectorELNS0_4arch9wavefront6targetE1EEEvT1_,comdat
.Lfunc_end145:
	.size	_ZN7rocprim17ROCPRIM_400000_NS6detail17trampoline_kernelINS0_14default_configENS1_20scan_config_selectorIlEEZZNS1_9scan_implILNS1_25lookback_scan_determinismE0ELb0ELb0ES3_PlS8_lN6thrust23THRUST_200600_302600_NS4plusIvEElEEDaPvRmT3_T4_T5_mT6_P12ihipStream_tbENKUlT_T0_E_clISt17integral_constantIbLb0EESP_IbLb1EEEEDaSL_SM_EUlSL_E_NS1_11comp_targetILNS1_3genE2ELNS1_11target_archE906ELNS1_3gpuE6ELNS1_3repE0EEENS1_30default_config_static_selectorELNS0_4arch9wavefront6targetE1EEEvT1_, .Lfunc_end145-_ZN7rocprim17ROCPRIM_400000_NS6detail17trampoline_kernelINS0_14default_configENS1_20scan_config_selectorIlEEZZNS1_9scan_implILNS1_25lookback_scan_determinismE0ELb0ELb0ES3_PlS8_lN6thrust23THRUST_200600_302600_NS4plusIvEElEEDaPvRmT3_T4_T5_mT6_P12ihipStream_tbENKUlT_T0_E_clISt17integral_constantIbLb0EESP_IbLb1EEEEDaSL_SM_EUlSL_E_NS1_11comp_targetILNS1_3genE2ELNS1_11target_archE906ELNS1_3gpuE6ELNS1_3repE0EEENS1_30default_config_static_selectorELNS0_4arch9wavefront6targetE1EEEvT1_
                                        ; -- End function
	.set _ZN7rocprim17ROCPRIM_400000_NS6detail17trampoline_kernelINS0_14default_configENS1_20scan_config_selectorIlEEZZNS1_9scan_implILNS1_25lookback_scan_determinismE0ELb0ELb0ES3_PlS8_lN6thrust23THRUST_200600_302600_NS4plusIvEElEEDaPvRmT3_T4_T5_mT6_P12ihipStream_tbENKUlT_T0_E_clISt17integral_constantIbLb0EESP_IbLb1EEEEDaSL_SM_EUlSL_E_NS1_11comp_targetILNS1_3genE2ELNS1_11target_archE906ELNS1_3gpuE6ELNS1_3repE0EEENS1_30default_config_static_selectorELNS0_4arch9wavefront6targetE1EEEvT1_.num_vgpr, 0
	.set _ZN7rocprim17ROCPRIM_400000_NS6detail17trampoline_kernelINS0_14default_configENS1_20scan_config_selectorIlEEZZNS1_9scan_implILNS1_25lookback_scan_determinismE0ELb0ELb0ES3_PlS8_lN6thrust23THRUST_200600_302600_NS4plusIvEElEEDaPvRmT3_T4_T5_mT6_P12ihipStream_tbENKUlT_T0_E_clISt17integral_constantIbLb0EESP_IbLb1EEEEDaSL_SM_EUlSL_E_NS1_11comp_targetILNS1_3genE2ELNS1_11target_archE906ELNS1_3gpuE6ELNS1_3repE0EEENS1_30default_config_static_selectorELNS0_4arch9wavefront6targetE1EEEvT1_.num_agpr, 0
	.set _ZN7rocprim17ROCPRIM_400000_NS6detail17trampoline_kernelINS0_14default_configENS1_20scan_config_selectorIlEEZZNS1_9scan_implILNS1_25lookback_scan_determinismE0ELb0ELb0ES3_PlS8_lN6thrust23THRUST_200600_302600_NS4plusIvEElEEDaPvRmT3_T4_T5_mT6_P12ihipStream_tbENKUlT_T0_E_clISt17integral_constantIbLb0EESP_IbLb1EEEEDaSL_SM_EUlSL_E_NS1_11comp_targetILNS1_3genE2ELNS1_11target_archE906ELNS1_3gpuE6ELNS1_3repE0EEENS1_30default_config_static_selectorELNS0_4arch9wavefront6targetE1EEEvT1_.numbered_sgpr, 0
	.set _ZN7rocprim17ROCPRIM_400000_NS6detail17trampoline_kernelINS0_14default_configENS1_20scan_config_selectorIlEEZZNS1_9scan_implILNS1_25lookback_scan_determinismE0ELb0ELb0ES3_PlS8_lN6thrust23THRUST_200600_302600_NS4plusIvEElEEDaPvRmT3_T4_T5_mT6_P12ihipStream_tbENKUlT_T0_E_clISt17integral_constantIbLb0EESP_IbLb1EEEEDaSL_SM_EUlSL_E_NS1_11comp_targetILNS1_3genE2ELNS1_11target_archE906ELNS1_3gpuE6ELNS1_3repE0EEENS1_30default_config_static_selectorELNS0_4arch9wavefront6targetE1EEEvT1_.num_named_barrier, 0
	.set _ZN7rocprim17ROCPRIM_400000_NS6detail17trampoline_kernelINS0_14default_configENS1_20scan_config_selectorIlEEZZNS1_9scan_implILNS1_25lookback_scan_determinismE0ELb0ELb0ES3_PlS8_lN6thrust23THRUST_200600_302600_NS4plusIvEElEEDaPvRmT3_T4_T5_mT6_P12ihipStream_tbENKUlT_T0_E_clISt17integral_constantIbLb0EESP_IbLb1EEEEDaSL_SM_EUlSL_E_NS1_11comp_targetILNS1_3genE2ELNS1_11target_archE906ELNS1_3gpuE6ELNS1_3repE0EEENS1_30default_config_static_selectorELNS0_4arch9wavefront6targetE1EEEvT1_.private_seg_size, 0
	.set _ZN7rocprim17ROCPRIM_400000_NS6detail17trampoline_kernelINS0_14default_configENS1_20scan_config_selectorIlEEZZNS1_9scan_implILNS1_25lookback_scan_determinismE0ELb0ELb0ES3_PlS8_lN6thrust23THRUST_200600_302600_NS4plusIvEElEEDaPvRmT3_T4_T5_mT6_P12ihipStream_tbENKUlT_T0_E_clISt17integral_constantIbLb0EESP_IbLb1EEEEDaSL_SM_EUlSL_E_NS1_11comp_targetILNS1_3genE2ELNS1_11target_archE906ELNS1_3gpuE6ELNS1_3repE0EEENS1_30default_config_static_selectorELNS0_4arch9wavefront6targetE1EEEvT1_.uses_vcc, 0
	.set _ZN7rocprim17ROCPRIM_400000_NS6detail17trampoline_kernelINS0_14default_configENS1_20scan_config_selectorIlEEZZNS1_9scan_implILNS1_25lookback_scan_determinismE0ELb0ELb0ES3_PlS8_lN6thrust23THRUST_200600_302600_NS4plusIvEElEEDaPvRmT3_T4_T5_mT6_P12ihipStream_tbENKUlT_T0_E_clISt17integral_constantIbLb0EESP_IbLb1EEEEDaSL_SM_EUlSL_E_NS1_11comp_targetILNS1_3genE2ELNS1_11target_archE906ELNS1_3gpuE6ELNS1_3repE0EEENS1_30default_config_static_selectorELNS0_4arch9wavefront6targetE1EEEvT1_.uses_flat_scratch, 0
	.set _ZN7rocprim17ROCPRIM_400000_NS6detail17trampoline_kernelINS0_14default_configENS1_20scan_config_selectorIlEEZZNS1_9scan_implILNS1_25lookback_scan_determinismE0ELb0ELb0ES3_PlS8_lN6thrust23THRUST_200600_302600_NS4plusIvEElEEDaPvRmT3_T4_T5_mT6_P12ihipStream_tbENKUlT_T0_E_clISt17integral_constantIbLb0EESP_IbLb1EEEEDaSL_SM_EUlSL_E_NS1_11comp_targetILNS1_3genE2ELNS1_11target_archE906ELNS1_3gpuE6ELNS1_3repE0EEENS1_30default_config_static_selectorELNS0_4arch9wavefront6targetE1EEEvT1_.has_dyn_sized_stack, 0
	.set _ZN7rocprim17ROCPRIM_400000_NS6detail17trampoline_kernelINS0_14default_configENS1_20scan_config_selectorIlEEZZNS1_9scan_implILNS1_25lookback_scan_determinismE0ELb0ELb0ES3_PlS8_lN6thrust23THRUST_200600_302600_NS4plusIvEElEEDaPvRmT3_T4_T5_mT6_P12ihipStream_tbENKUlT_T0_E_clISt17integral_constantIbLb0EESP_IbLb1EEEEDaSL_SM_EUlSL_E_NS1_11comp_targetILNS1_3genE2ELNS1_11target_archE906ELNS1_3gpuE6ELNS1_3repE0EEENS1_30default_config_static_selectorELNS0_4arch9wavefront6targetE1EEEvT1_.has_recursion, 0
	.set _ZN7rocprim17ROCPRIM_400000_NS6detail17trampoline_kernelINS0_14default_configENS1_20scan_config_selectorIlEEZZNS1_9scan_implILNS1_25lookback_scan_determinismE0ELb0ELb0ES3_PlS8_lN6thrust23THRUST_200600_302600_NS4plusIvEElEEDaPvRmT3_T4_T5_mT6_P12ihipStream_tbENKUlT_T0_E_clISt17integral_constantIbLb0EESP_IbLb1EEEEDaSL_SM_EUlSL_E_NS1_11comp_targetILNS1_3genE2ELNS1_11target_archE906ELNS1_3gpuE6ELNS1_3repE0EEENS1_30default_config_static_selectorELNS0_4arch9wavefront6targetE1EEEvT1_.has_indirect_call, 0
	.section	.AMDGPU.csdata,"",@progbits
; Kernel info:
; codeLenInByte = 0
; TotalNumSgprs: 6
; NumVgprs: 0
; NumAgprs: 0
; TotalNumVgprs: 0
; ScratchSize: 0
; MemoryBound: 0
; FloatMode: 240
; IeeeMode: 1
; LDSByteSize: 0 bytes/workgroup (compile time only)
; SGPRBlocks: 0
; VGPRBlocks: 0
; NumSGPRsForWavesPerEU: 6
; NumVGPRsForWavesPerEU: 1
; AccumOffset: 4
; Occupancy: 8
; WaveLimiterHint : 0
; COMPUTE_PGM_RSRC2:SCRATCH_EN: 0
; COMPUTE_PGM_RSRC2:USER_SGPR: 2
; COMPUTE_PGM_RSRC2:TRAP_HANDLER: 0
; COMPUTE_PGM_RSRC2:TGID_X_EN: 1
; COMPUTE_PGM_RSRC2:TGID_Y_EN: 0
; COMPUTE_PGM_RSRC2:TGID_Z_EN: 0
; COMPUTE_PGM_RSRC2:TIDIG_COMP_CNT: 0
; COMPUTE_PGM_RSRC3_GFX90A:ACCUM_OFFSET: 0
; COMPUTE_PGM_RSRC3_GFX90A:TG_SPLIT: 0
	.section	.text._ZN7rocprim17ROCPRIM_400000_NS6detail17trampoline_kernelINS0_14default_configENS1_20scan_config_selectorIlEEZZNS1_9scan_implILNS1_25lookback_scan_determinismE0ELb0ELb0ES3_PlS8_lN6thrust23THRUST_200600_302600_NS4plusIvEElEEDaPvRmT3_T4_T5_mT6_P12ihipStream_tbENKUlT_T0_E_clISt17integral_constantIbLb0EESP_IbLb1EEEEDaSL_SM_EUlSL_E_NS1_11comp_targetILNS1_3genE10ELNS1_11target_archE1201ELNS1_3gpuE5ELNS1_3repE0EEENS1_30default_config_static_selectorELNS0_4arch9wavefront6targetE1EEEvT1_,"axG",@progbits,_ZN7rocprim17ROCPRIM_400000_NS6detail17trampoline_kernelINS0_14default_configENS1_20scan_config_selectorIlEEZZNS1_9scan_implILNS1_25lookback_scan_determinismE0ELb0ELb0ES3_PlS8_lN6thrust23THRUST_200600_302600_NS4plusIvEElEEDaPvRmT3_T4_T5_mT6_P12ihipStream_tbENKUlT_T0_E_clISt17integral_constantIbLb0EESP_IbLb1EEEEDaSL_SM_EUlSL_E_NS1_11comp_targetILNS1_3genE10ELNS1_11target_archE1201ELNS1_3gpuE5ELNS1_3repE0EEENS1_30default_config_static_selectorELNS0_4arch9wavefront6targetE1EEEvT1_,comdat
	.protected	_ZN7rocprim17ROCPRIM_400000_NS6detail17trampoline_kernelINS0_14default_configENS1_20scan_config_selectorIlEEZZNS1_9scan_implILNS1_25lookback_scan_determinismE0ELb0ELb0ES3_PlS8_lN6thrust23THRUST_200600_302600_NS4plusIvEElEEDaPvRmT3_T4_T5_mT6_P12ihipStream_tbENKUlT_T0_E_clISt17integral_constantIbLb0EESP_IbLb1EEEEDaSL_SM_EUlSL_E_NS1_11comp_targetILNS1_3genE10ELNS1_11target_archE1201ELNS1_3gpuE5ELNS1_3repE0EEENS1_30default_config_static_selectorELNS0_4arch9wavefront6targetE1EEEvT1_ ; -- Begin function _ZN7rocprim17ROCPRIM_400000_NS6detail17trampoline_kernelINS0_14default_configENS1_20scan_config_selectorIlEEZZNS1_9scan_implILNS1_25lookback_scan_determinismE0ELb0ELb0ES3_PlS8_lN6thrust23THRUST_200600_302600_NS4plusIvEElEEDaPvRmT3_T4_T5_mT6_P12ihipStream_tbENKUlT_T0_E_clISt17integral_constantIbLb0EESP_IbLb1EEEEDaSL_SM_EUlSL_E_NS1_11comp_targetILNS1_3genE10ELNS1_11target_archE1201ELNS1_3gpuE5ELNS1_3repE0EEENS1_30default_config_static_selectorELNS0_4arch9wavefront6targetE1EEEvT1_
	.globl	_ZN7rocprim17ROCPRIM_400000_NS6detail17trampoline_kernelINS0_14default_configENS1_20scan_config_selectorIlEEZZNS1_9scan_implILNS1_25lookback_scan_determinismE0ELb0ELb0ES3_PlS8_lN6thrust23THRUST_200600_302600_NS4plusIvEElEEDaPvRmT3_T4_T5_mT6_P12ihipStream_tbENKUlT_T0_E_clISt17integral_constantIbLb0EESP_IbLb1EEEEDaSL_SM_EUlSL_E_NS1_11comp_targetILNS1_3genE10ELNS1_11target_archE1201ELNS1_3gpuE5ELNS1_3repE0EEENS1_30default_config_static_selectorELNS0_4arch9wavefront6targetE1EEEvT1_
	.p2align	8
	.type	_ZN7rocprim17ROCPRIM_400000_NS6detail17trampoline_kernelINS0_14default_configENS1_20scan_config_selectorIlEEZZNS1_9scan_implILNS1_25lookback_scan_determinismE0ELb0ELb0ES3_PlS8_lN6thrust23THRUST_200600_302600_NS4plusIvEElEEDaPvRmT3_T4_T5_mT6_P12ihipStream_tbENKUlT_T0_E_clISt17integral_constantIbLb0EESP_IbLb1EEEEDaSL_SM_EUlSL_E_NS1_11comp_targetILNS1_3genE10ELNS1_11target_archE1201ELNS1_3gpuE5ELNS1_3repE0EEENS1_30default_config_static_selectorELNS0_4arch9wavefront6targetE1EEEvT1_,@function
_ZN7rocprim17ROCPRIM_400000_NS6detail17trampoline_kernelINS0_14default_configENS1_20scan_config_selectorIlEEZZNS1_9scan_implILNS1_25lookback_scan_determinismE0ELb0ELb0ES3_PlS8_lN6thrust23THRUST_200600_302600_NS4plusIvEElEEDaPvRmT3_T4_T5_mT6_P12ihipStream_tbENKUlT_T0_E_clISt17integral_constantIbLb0EESP_IbLb1EEEEDaSL_SM_EUlSL_E_NS1_11comp_targetILNS1_3genE10ELNS1_11target_archE1201ELNS1_3gpuE5ELNS1_3repE0EEENS1_30default_config_static_selectorELNS0_4arch9wavefront6targetE1EEEvT1_: ; @_ZN7rocprim17ROCPRIM_400000_NS6detail17trampoline_kernelINS0_14default_configENS1_20scan_config_selectorIlEEZZNS1_9scan_implILNS1_25lookback_scan_determinismE0ELb0ELb0ES3_PlS8_lN6thrust23THRUST_200600_302600_NS4plusIvEElEEDaPvRmT3_T4_T5_mT6_P12ihipStream_tbENKUlT_T0_E_clISt17integral_constantIbLb0EESP_IbLb1EEEEDaSL_SM_EUlSL_E_NS1_11comp_targetILNS1_3genE10ELNS1_11target_archE1201ELNS1_3gpuE5ELNS1_3repE0EEENS1_30default_config_static_selectorELNS0_4arch9wavefront6targetE1EEEvT1_
; %bb.0:
	.section	.rodata,"a",@progbits
	.p2align	6, 0x0
	.amdhsa_kernel _ZN7rocprim17ROCPRIM_400000_NS6detail17trampoline_kernelINS0_14default_configENS1_20scan_config_selectorIlEEZZNS1_9scan_implILNS1_25lookback_scan_determinismE0ELb0ELb0ES3_PlS8_lN6thrust23THRUST_200600_302600_NS4plusIvEElEEDaPvRmT3_T4_T5_mT6_P12ihipStream_tbENKUlT_T0_E_clISt17integral_constantIbLb0EESP_IbLb1EEEEDaSL_SM_EUlSL_E_NS1_11comp_targetILNS1_3genE10ELNS1_11target_archE1201ELNS1_3gpuE5ELNS1_3repE0EEENS1_30default_config_static_selectorELNS0_4arch9wavefront6targetE1EEEvT1_
		.amdhsa_group_segment_fixed_size 0
		.amdhsa_private_segment_fixed_size 0
		.amdhsa_kernarg_size 104
		.amdhsa_user_sgpr_count 2
		.amdhsa_user_sgpr_dispatch_ptr 0
		.amdhsa_user_sgpr_queue_ptr 0
		.amdhsa_user_sgpr_kernarg_segment_ptr 1
		.amdhsa_user_sgpr_dispatch_id 0
		.amdhsa_user_sgpr_kernarg_preload_length 0
		.amdhsa_user_sgpr_kernarg_preload_offset 0
		.amdhsa_user_sgpr_private_segment_size 0
		.amdhsa_uses_dynamic_stack 0
		.amdhsa_enable_private_segment 0
		.amdhsa_system_sgpr_workgroup_id_x 1
		.amdhsa_system_sgpr_workgroup_id_y 0
		.amdhsa_system_sgpr_workgroup_id_z 0
		.amdhsa_system_sgpr_workgroup_info 0
		.amdhsa_system_vgpr_workitem_id 0
		.amdhsa_next_free_vgpr 1
		.amdhsa_next_free_sgpr 0
		.amdhsa_accum_offset 4
		.amdhsa_reserve_vcc 0
		.amdhsa_float_round_mode_32 0
		.amdhsa_float_round_mode_16_64 0
		.amdhsa_float_denorm_mode_32 3
		.amdhsa_float_denorm_mode_16_64 3
		.amdhsa_dx10_clamp 1
		.amdhsa_ieee_mode 1
		.amdhsa_fp16_overflow 0
		.amdhsa_tg_split 0
		.amdhsa_exception_fp_ieee_invalid_op 0
		.amdhsa_exception_fp_denorm_src 0
		.amdhsa_exception_fp_ieee_div_zero 0
		.amdhsa_exception_fp_ieee_overflow 0
		.amdhsa_exception_fp_ieee_underflow 0
		.amdhsa_exception_fp_ieee_inexact 0
		.amdhsa_exception_int_div_zero 0
	.end_amdhsa_kernel
	.section	.text._ZN7rocprim17ROCPRIM_400000_NS6detail17trampoline_kernelINS0_14default_configENS1_20scan_config_selectorIlEEZZNS1_9scan_implILNS1_25lookback_scan_determinismE0ELb0ELb0ES3_PlS8_lN6thrust23THRUST_200600_302600_NS4plusIvEElEEDaPvRmT3_T4_T5_mT6_P12ihipStream_tbENKUlT_T0_E_clISt17integral_constantIbLb0EESP_IbLb1EEEEDaSL_SM_EUlSL_E_NS1_11comp_targetILNS1_3genE10ELNS1_11target_archE1201ELNS1_3gpuE5ELNS1_3repE0EEENS1_30default_config_static_selectorELNS0_4arch9wavefront6targetE1EEEvT1_,"axG",@progbits,_ZN7rocprim17ROCPRIM_400000_NS6detail17trampoline_kernelINS0_14default_configENS1_20scan_config_selectorIlEEZZNS1_9scan_implILNS1_25lookback_scan_determinismE0ELb0ELb0ES3_PlS8_lN6thrust23THRUST_200600_302600_NS4plusIvEElEEDaPvRmT3_T4_T5_mT6_P12ihipStream_tbENKUlT_T0_E_clISt17integral_constantIbLb0EESP_IbLb1EEEEDaSL_SM_EUlSL_E_NS1_11comp_targetILNS1_3genE10ELNS1_11target_archE1201ELNS1_3gpuE5ELNS1_3repE0EEENS1_30default_config_static_selectorELNS0_4arch9wavefront6targetE1EEEvT1_,comdat
.Lfunc_end146:
	.size	_ZN7rocprim17ROCPRIM_400000_NS6detail17trampoline_kernelINS0_14default_configENS1_20scan_config_selectorIlEEZZNS1_9scan_implILNS1_25lookback_scan_determinismE0ELb0ELb0ES3_PlS8_lN6thrust23THRUST_200600_302600_NS4plusIvEElEEDaPvRmT3_T4_T5_mT6_P12ihipStream_tbENKUlT_T0_E_clISt17integral_constantIbLb0EESP_IbLb1EEEEDaSL_SM_EUlSL_E_NS1_11comp_targetILNS1_3genE10ELNS1_11target_archE1201ELNS1_3gpuE5ELNS1_3repE0EEENS1_30default_config_static_selectorELNS0_4arch9wavefront6targetE1EEEvT1_, .Lfunc_end146-_ZN7rocprim17ROCPRIM_400000_NS6detail17trampoline_kernelINS0_14default_configENS1_20scan_config_selectorIlEEZZNS1_9scan_implILNS1_25lookback_scan_determinismE0ELb0ELb0ES3_PlS8_lN6thrust23THRUST_200600_302600_NS4plusIvEElEEDaPvRmT3_T4_T5_mT6_P12ihipStream_tbENKUlT_T0_E_clISt17integral_constantIbLb0EESP_IbLb1EEEEDaSL_SM_EUlSL_E_NS1_11comp_targetILNS1_3genE10ELNS1_11target_archE1201ELNS1_3gpuE5ELNS1_3repE0EEENS1_30default_config_static_selectorELNS0_4arch9wavefront6targetE1EEEvT1_
                                        ; -- End function
	.set _ZN7rocprim17ROCPRIM_400000_NS6detail17trampoline_kernelINS0_14default_configENS1_20scan_config_selectorIlEEZZNS1_9scan_implILNS1_25lookback_scan_determinismE0ELb0ELb0ES3_PlS8_lN6thrust23THRUST_200600_302600_NS4plusIvEElEEDaPvRmT3_T4_T5_mT6_P12ihipStream_tbENKUlT_T0_E_clISt17integral_constantIbLb0EESP_IbLb1EEEEDaSL_SM_EUlSL_E_NS1_11comp_targetILNS1_3genE10ELNS1_11target_archE1201ELNS1_3gpuE5ELNS1_3repE0EEENS1_30default_config_static_selectorELNS0_4arch9wavefront6targetE1EEEvT1_.num_vgpr, 0
	.set _ZN7rocprim17ROCPRIM_400000_NS6detail17trampoline_kernelINS0_14default_configENS1_20scan_config_selectorIlEEZZNS1_9scan_implILNS1_25lookback_scan_determinismE0ELb0ELb0ES3_PlS8_lN6thrust23THRUST_200600_302600_NS4plusIvEElEEDaPvRmT3_T4_T5_mT6_P12ihipStream_tbENKUlT_T0_E_clISt17integral_constantIbLb0EESP_IbLb1EEEEDaSL_SM_EUlSL_E_NS1_11comp_targetILNS1_3genE10ELNS1_11target_archE1201ELNS1_3gpuE5ELNS1_3repE0EEENS1_30default_config_static_selectorELNS0_4arch9wavefront6targetE1EEEvT1_.num_agpr, 0
	.set _ZN7rocprim17ROCPRIM_400000_NS6detail17trampoline_kernelINS0_14default_configENS1_20scan_config_selectorIlEEZZNS1_9scan_implILNS1_25lookback_scan_determinismE0ELb0ELb0ES3_PlS8_lN6thrust23THRUST_200600_302600_NS4plusIvEElEEDaPvRmT3_T4_T5_mT6_P12ihipStream_tbENKUlT_T0_E_clISt17integral_constantIbLb0EESP_IbLb1EEEEDaSL_SM_EUlSL_E_NS1_11comp_targetILNS1_3genE10ELNS1_11target_archE1201ELNS1_3gpuE5ELNS1_3repE0EEENS1_30default_config_static_selectorELNS0_4arch9wavefront6targetE1EEEvT1_.numbered_sgpr, 0
	.set _ZN7rocprim17ROCPRIM_400000_NS6detail17trampoline_kernelINS0_14default_configENS1_20scan_config_selectorIlEEZZNS1_9scan_implILNS1_25lookback_scan_determinismE0ELb0ELb0ES3_PlS8_lN6thrust23THRUST_200600_302600_NS4plusIvEElEEDaPvRmT3_T4_T5_mT6_P12ihipStream_tbENKUlT_T0_E_clISt17integral_constantIbLb0EESP_IbLb1EEEEDaSL_SM_EUlSL_E_NS1_11comp_targetILNS1_3genE10ELNS1_11target_archE1201ELNS1_3gpuE5ELNS1_3repE0EEENS1_30default_config_static_selectorELNS0_4arch9wavefront6targetE1EEEvT1_.num_named_barrier, 0
	.set _ZN7rocprim17ROCPRIM_400000_NS6detail17trampoline_kernelINS0_14default_configENS1_20scan_config_selectorIlEEZZNS1_9scan_implILNS1_25lookback_scan_determinismE0ELb0ELb0ES3_PlS8_lN6thrust23THRUST_200600_302600_NS4plusIvEElEEDaPvRmT3_T4_T5_mT6_P12ihipStream_tbENKUlT_T0_E_clISt17integral_constantIbLb0EESP_IbLb1EEEEDaSL_SM_EUlSL_E_NS1_11comp_targetILNS1_3genE10ELNS1_11target_archE1201ELNS1_3gpuE5ELNS1_3repE0EEENS1_30default_config_static_selectorELNS0_4arch9wavefront6targetE1EEEvT1_.private_seg_size, 0
	.set _ZN7rocprim17ROCPRIM_400000_NS6detail17trampoline_kernelINS0_14default_configENS1_20scan_config_selectorIlEEZZNS1_9scan_implILNS1_25lookback_scan_determinismE0ELb0ELb0ES3_PlS8_lN6thrust23THRUST_200600_302600_NS4plusIvEElEEDaPvRmT3_T4_T5_mT6_P12ihipStream_tbENKUlT_T0_E_clISt17integral_constantIbLb0EESP_IbLb1EEEEDaSL_SM_EUlSL_E_NS1_11comp_targetILNS1_3genE10ELNS1_11target_archE1201ELNS1_3gpuE5ELNS1_3repE0EEENS1_30default_config_static_selectorELNS0_4arch9wavefront6targetE1EEEvT1_.uses_vcc, 0
	.set _ZN7rocprim17ROCPRIM_400000_NS6detail17trampoline_kernelINS0_14default_configENS1_20scan_config_selectorIlEEZZNS1_9scan_implILNS1_25lookback_scan_determinismE0ELb0ELb0ES3_PlS8_lN6thrust23THRUST_200600_302600_NS4plusIvEElEEDaPvRmT3_T4_T5_mT6_P12ihipStream_tbENKUlT_T0_E_clISt17integral_constantIbLb0EESP_IbLb1EEEEDaSL_SM_EUlSL_E_NS1_11comp_targetILNS1_3genE10ELNS1_11target_archE1201ELNS1_3gpuE5ELNS1_3repE0EEENS1_30default_config_static_selectorELNS0_4arch9wavefront6targetE1EEEvT1_.uses_flat_scratch, 0
	.set _ZN7rocprim17ROCPRIM_400000_NS6detail17trampoline_kernelINS0_14default_configENS1_20scan_config_selectorIlEEZZNS1_9scan_implILNS1_25lookback_scan_determinismE0ELb0ELb0ES3_PlS8_lN6thrust23THRUST_200600_302600_NS4plusIvEElEEDaPvRmT3_T4_T5_mT6_P12ihipStream_tbENKUlT_T0_E_clISt17integral_constantIbLb0EESP_IbLb1EEEEDaSL_SM_EUlSL_E_NS1_11comp_targetILNS1_3genE10ELNS1_11target_archE1201ELNS1_3gpuE5ELNS1_3repE0EEENS1_30default_config_static_selectorELNS0_4arch9wavefront6targetE1EEEvT1_.has_dyn_sized_stack, 0
	.set _ZN7rocprim17ROCPRIM_400000_NS6detail17trampoline_kernelINS0_14default_configENS1_20scan_config_selectorIlEEZZNS1_9scan_implILNS1_25lookback_scan_determinismE0ELb0ELb0ES3_PlS8_lN6thrust23THRUST_200600_302600_NS4plusIvEElEEDaPvRmT3_T4_T5_mT6_P12ihipStream_tbENKUlT_T0_E_clISt17integral_constantIbLb0EESP_IbLb1EEEEDaSL_SM_EUlSL_E_NS1_11comp_targetILNS1_3genE10ELNS1_11target_archE1201ELNS1_3gpuE5ELNS1_3repE0EEENS1_30default_config_static_selectorELNS0_4arch9wavefront6targetE1EEEvT1_.has_recursion, 0
	.set _ZN7rocprim17ROCPRIM_400000_NS6detail17trampoline_kernelINS0_14default_configENS1_20scan_config_selectorIlEEZZNS1_9scan_implILNS1_25lookback_scan_determinismE0ELb0ELb0ES3_PlS8_lN6thrust23THRUST_200600_302600_NS4plusIvEElEEDaPvRmT3_T4_T5_mT6_P12ihipStream_tbENKUlT_T0_E_clISt17integral_constantIbLb0EESP_IbLb1EEEEDaSL_SM_EUlSL_E_NS1_11comp_targetILNS1_3genE10ELNS1_11target_archE1201ELNS1_3gpuE5ELNS1_3repE0EEENS1_30default_config_static_selectorELNS0_4arch9wavefront6targetE1EEEvT1_.has_indirect_call, 0
	.section	.AMDGPU.csdata,"",@progbits
; Kernel info:
; codeLenInByte = 0
; TotalNumSgprs: 6
; NumVgprs: 0
; NumAgprs: 0
; TotalNumVgprs: 0
; ScratchSize: 0
; MemoryBound: 0
; FloatMode: 240
; IeeeMode: 1
; LDSByteSize: 0 bytes/workgroup (compile time only)
; SGPRBlocks: 0
; VGPRBlocks: 0
; NumSGPRsForWavesPerEU: 6
; NumVGPRsForWavesPerEU: 1
; AccumOffset: 4
; Occupancy: 8
; WaveLimiterHint : 0
; COMPUTE_PGM_RSRC2:SCRATCH_EN: 0
; COMPUTE_PGM_RSRC2:USER_SGPR: 2
; COMPUTE_PGM_RSRC2:TRAP_HANDLER: 0
; COMPUTE_PGM_RSRC2:TGID_X_EN: 1
; COMPUTE_PGM_RSRC2:TGID_Y_EN: 0
; COMPUTE_PGM_RSRC2:TGID_Z_EN: 0
; COMPUTE_PGM_RSRC2:TIDIG_COMP_CNT: 0
; COMPUTE_PGM_RSRC3_GFX90A:ACCUM_OFFSET: 0
; COMPUTE_PGM_RSRC3_GFX90A:TG_SPLIT: 0
	.section	.text._ZN7rocprim17ROCPRIM_400000_NS6detail17trampoline_kernelINS0_14default_configENS1_20scan_config_selectorIlEEZZNS1_9scan_implILNS1_25lookback_scan_determinismE0ELb0ELb0ES3_PlS8_lN6thrust23THRUST_200600_302600_NS4plusIvEElEEDaPvRmT3_T4_T5_mT6_P12ihipStream_tbENKUlT_T0_E_clISt17integral_constantIbLb0EESP_IbLb1EEEEDaSL_SM_EUlSL_E_NS1_11comp_targetILNS1_3genE10ELNS1_11target_archE1200ELNS1_3gpuE4ELNS1_3repE0EEENS1_30default_config_static_selectorELNS0_4arch9wavefront6targetE1EEEvT1_,"axG",@progbits,_ZN7rocprim17ROCPRIM_400000_NS6detail17trampoline_kernelINS0_14default_configENS1_20scan_config_selectorIlEEZZNS1_9scan_implILNS1_25lookback_scan_determinismE0ELb0ELb0ES3_PlS8_lN6thrust23THRUST_200600_302600_NS4plusIvEElEEDaPvRmT3_T4_T5_mT6_P12ihipStream_tbENKUlT_T0_E_clISt17integral_constantIbLb0EESP_IbLb1EEEEDaSL_SM_EUlSL_E_NS1_11comp_targetILNS1_3genE10ELNS1_11target_archE1200ELNS1_3gpuE4ELNS1_3repE0EEENS1_30default_config_static_selectorELNS0_4arch9wavefront6targetE1EEEvT1_,comdat
	.protected	_ZN7rocprim17ROCPRIM_400000_NS6detail17trampoline_kernelINS0_14default_configENS1_20scan_config_selectorIlEEZZNS1_9scan_implILNS1_25lookback_scan_determinismE0ELb0ELb0ES3_PlS8_lN6thrust23THRUST_200600_302600_NS4plusIvEElEEDaPvRmT3_T4_T5_mT6_P12ihipStream_tbENKUlT_T0_E_clISt17integral_constantIbLb0EESP_IbLb1EEEEDaSL_SM_EUlSL_E_NS1_11comp_targetILNS1_3genE10ELNS1_11target_archE1200ELNS1_3gpuE4ELNS1_3repE0EEENS1_30default_config_static_selectorELNS0_4arch9wavefront6targetE1EEEvT1_ ; -- Begin function _ZN7rocprim17ROCPRIM_400000_NS6detail17trampoline_kernelINS0_14default_configENS1_20scan_config_selectorIlEEZZNS1_9scan_implILNS1_25lookback_scan_determinismE0ELb0ELb0ES3_PlS8_lN6thrust23THRUST_200600_302600_NS4plusIvEElEEDaPvRmT3_T4_T5_mT6_P12ihipStream_tbENKUlT_T0_E_clISt17integral_constantIbLb0EESP_IbLb1EEEEDaSL_SM_EUlSL_E_NS1_11comp_targetILNS1_3genE10ELNS1_11target_archE1200ELNS1_3gpuE4ELNS1_3repE0EEENS1_30default_config_static_selectorELNS0_4arch9wavefront6targetE1EEEvT1_
	.globl	_ZN7rocprim17ROCPRIM_400000_NS6detail17trampoline_kernelINS0_14default_configENS1_20scan_config_selectorIlEEZZNS1_9scan_implILNS1_25lookback_scan_determinismE0ELb0ELb0ES3_PlS8_lN6thrust23THRUST_200600_302600_NS4plusIvEElEEDaPvRmT3_T4_T5_mT6_P12ihipStream_tbENKUlT_T0_E_clISt17integral_constantIbLb0EESP_IbLb1EEEEDaSL_SM_EUlSL_E_NS1_11comp_targetILNS1_3genE10ELNS1_11target_archE1200ELNS1_3gpuE4ELNS1_3repE0EEENS1_30default_config_static_selectorELNS0_4arch9wavefront6targetE1EEEvT1_
	.p2align	8
	.type	_ZN7rocprim17ROCPRIM_400000_NS6detail17trampoline_kernelINS0_14default_configENS1_20scan_config_selectorIlEEZZNS1_9scan_implILNS1_25lookback_scan_determinismE0ELb0ELb0ES3_PlS8_lN6thrust23THRUST_200600_302600_NS4plusIvEElEEDaPvRmT3_T4_T5_mT6_P12ihipStream_tbENKUlT_T0_E_clISt17integral_constantIbLb0EESP_IbLb1EEEEDaSL_SM_EUlSL_E_NS1_11comp_targetILNS1_3genE10ELNS1_11target_archE1200ELNS1_3gpuE4ELNS1_3repE0EEENS1_30default_config_static_selectorELNS0_4arch9wavefront6targetE1EEEvT1_,@function
_ZN7rocprim17ROCPRIM_400000_NS6detail17trampoline_kernelINS0_14default_configENS1_20scan_config_selectorIlEEZZNS1_9scan_implILNS1_25lookback_scan_determinismE0ELb0ELb0ES3_PlS8_lN6thrust23THRUST_200600_302600_NS4plusIvEElEEDaPvRmT3_T4_T5_mT6_P12ihipStream_tbENKUlT_T0_E_clISt17integral_constantIbLb0EESP_IbLb1EEEEDaSL_SM_EUlSL_E_NS1_11comp_targetILNS1_3genE10ELNS1_11target_archE1200ELNS1_3gpuE4ELNS1_3repE0EEENS1_30default_config_static_selectorELNS0_4arch9wavefront6targetE1EEEvT1_: ; @_ZN7rocprim17ROCPRIM_400000_NS6detail17trampoline_kernelINS0_14default_configENS1_20scan_config_selectorIlEEZZNS1_9scan_implILNS1_25lookback_scan_determinismE0ELb0ELb0ES3_PlS8_lN6thrust23THRUST_200600_302600_NS4plusIvEElEEDaPvRmT3_T4_T5_mT6_P12ihipStream_tbENKUlT_T0_E_clISt17integral_constantIbLb0EESP_IbLb1EEEEDaSL_SM_EUlSL_E_NS1_11comp_targetILNS1_3genE10ELNS1_11target_archE1200ELNS1_3gpuE4ELNS1_3repE0EEENS1_30default_config_static_selectorELNS0_4arch9wavefront6targetE1EEEvT1_
; %bb.0:
	.section	.rodata,"a",@progbits
	.p2align	6, 0x0
	.amdhsa_kernel _ZN7rocprim17ROCPRIM_400000_NS6detail17trampoline_kernelINS0_14default_configENS1_20scan_config_selectorIlEEZZNS1_9scan_implILNS1_25lookback_scan_determinismE0ELb0ELb0ES3_PlS8_lN6thrust23THRUST_200600_302600_NS4plusIvEElEEDaPvRmT3_T4_T5_mT6_P12ihipStream_tbENKUlT_T0_E_clISt17integral_constantIbLb0EESP_IbLb1EEEEDaSL_SM_EUlSL_E_NS1_11comp_targetILNS1_3genE10ELNS1_11target_archE1200ELNS1_3gpuE4ELNS1_3repE0EEENS1_30default_config_static_selectorELNS0_4arch9wavefront6targetE1EEEvT1_
		.amdhsa_group_segment_fixed_size 0
		.amdhsa_private_segment_fixed_size 0
		.amdhsa_kernarg_size 104
		.amdhsa_user_sgpr_count 2
		.amdhsa_user_sgpr_dispatch_ptr 0
		.amdhsa_user_sgpr_queue_ptr 0
		.amdhsa_user_sgpr_kernarg_segment_ptr 1
		.amdhsa_user_sgpr_dispatch_id 0
		.amdhsa_user_sgpr_kernarg_preload_length 0
		.amdhsa_user_sgpr_kernarg_preload_offset 0
		.amdhsa_user_sgpr_private_segment_size 0
		.amdhsa_uses_dynamic_stack 0
		.amdhsa_enable_private_segment 0
		.amdhsa_system_sgpr_workgroup_id_x 1
		.amdhsa_system_sgpr_workgroup_id_y 0
		.amdhsa_system_sgpr_workgroup_id_z 0
		.amdhsa_system_sgpr_workgroup_info 0
		.amdhsa_system_vgpr_workitem_id 0
		.amdhsa_next_free_vgpr 1
		.amdhsa_next_free_sgpr 0
		.amdhsa_accum_offset 4
		.amdhsa_reserve_vcc 0
		.amdhsa_float_round_mode_32 0
		.amdhsa_float_round_mode_16_64 0
		.amdhsa_float_denorm_mode_32 3
		.amdhsa_float_denorm_mode_16_64 3
		.amdhsa_dx10_clamp 1
		.amdhsa_ieee_mode 1
		.amdhsa_fp16_overflow 0
		.amdhsa_tg_split 0
		.amdhsa_exception_fp_ieee_invalid_op 0
		.amdhsa_exception_fp_denorm_src 0
		.amdhsa_exception_fp_ieee_div_zero 0
		.amdhsa_exception_fp_ieee_overflow 0
		.amdhsa_exception_fp_ieee_underflow 0
		.amdhsa_exception_fp_ieee_inexact 0
		.amdhsa_exception_int_div_zero 0
	.end_amdhsa_kernel
	.section	.text._ZN7rocprim17ROCPRIM_400000_NS6detail17trampoline_kernelINS0_14default_configENS1_20scan_config_selectorIlEEZZNS1_9scan_implILNS1_25lookback_scan_determinismE0ELb0ELb0ES3_PlS8_lN6thrust23THRUST_200600_302600_NS4plusIvEElEEDaPvRmT3_T4_T5_mT6_P12ihipStream_tbENKUlT_T0_E_clISt17integral_constantIbLb0EESP_IbLb1EEEEDaSL_SM_EUlSL_E_NS1_11comp_targetILNS1_3genE10ELNS1_11target_archE1200ELNS1_3gpuE4ELNS1_3repE0EEENS1_30default_config_static_selectorELNS0_4arch9wavefront6targetE1EEEvT1_,"axG",@progbits,_ZN7rocprim17ROCPRIM_400000_NS6detail17trampoline_kernelINS0_14default_configENS1_20scan_config_selectorIlEEZZNS1_9scan_implILNS1_25lookback_scan_determinismE0ELb0ELb0ES3_PlS8_lN6thrust23THRUST_200600_302600_NS4plusIvEElEEDaPvRmT3_T4_T5_mT6_P12ihipStream_tbENKUlT_T0_E_clISt17integral_constantIbLb0EESP_IbLb1EEEEDaSL_SM_EUlSL_E_NS1_11comp_targetILNS1_3genE10ELNS1_11target_archE1200ELNS1_3gpuE4ELNS1_3repE0EEENS1_30default_config_static_selectorELNS0_4arch9wavefront6targetE1EEEvT1_,comdat
.Lfunc_end147:
	.size	_ZN7rocprim17ROCPRIM_400000_NS6detail17trampoline_kernelINS0_14default_configENS1_20scan_config_selectorIlEEZZNS1_9scan_implILNS1_25lookback_scan_determinismE0ELb0ELb0ES3_PlS8_lN6thrust23THRUST_200600_302600_NS4plusIvEElEEDaPvRmT3_T4_T5_mT6_P12ihipStream_tbENKUlT_T0_E_clISt17integral_constantIbLb0EESP_IbLb1EEEEDaSL_SM_EUlSL_E_NS1_11comp_targetILNS1_3genE10ELNS1_11target_archE1200ELNS1_3gpuE4ELNS1_3repE0EEENS1_30default_config_static_selectorELNS0_4arch9wavefront6targetE1EEEvT1_, .Lfunc_end147-_ZN7rocprim17ROCPRIM_400000_NS6detail17trampoline_kernelINS0_14default_configENS1_20scan_config_selectorIlEEZZNS1_9scan_implILNS1_25lookback_scan_determinismE0ELb0ELb0ES3_PlS8_lN6thrust23THRUST_200600_302600_NS4plusIvEElEEDaPvRmT3_T4_T5_mT6_P12ihipStream_tbENKUlT_T0_E_clISt17integral_constantIbLb0EESP_IbLb1EEEEDaSL_SM_EUlSL_E_NS1_11comp_targetILNS1_3genE10ELNS1_11target_archE1200ELNS1_3gpuE4ELNS1_3repE0EEENS1_30default_config_static_selectorELNS0_4arch9wavefront6targetE1EEEvT1_
                                        ; -- End function
	.set _ZN7rocprim17ROCPRIM_400000_NS6detail17trampoline_kernelINS0_14default_configENS1_20scan_config_selectorIlEEZZNS1_9scan_implILNS1_25lookback_scan_determinismE0ELb0ELb0ES3_PlS8_lN6thrust23THRUST_200600_302600_NS4plusIvEElEEDaPvRmT3_T4_T5_mT6_P12ihipStream_tbENKUlT_T0_E_clISt17integral_constantIbLb0EESP_IbLb1EEEEDaSL_SM_EUlSL_E_NS1_11comp_targetILNS1_3genE10ELNS1_11target_archE1200ELNS1_3gpuE4ELNS1_3repE0EEENS1_30default_config_static_selectorELNS0_4arch9wavefront6targetE1EEEvT1_.num_vgpr, 0
	.set _ZN7rocprim17ROCPRIM_400000_NS6detail17trampoline_kernelINS0_14default_configENS1_20scan_config_selectorIlEEZZNS1_9scan_implILNS1_25lookback_scan_determinismE0ELb0ELb0ES3_PlS8_lN6thrust23THRUST_200600_302600_NS4plusIvEElEEDaPvRmT3_T4_T5_mT6_P12ihipStream_tbENKUlT_T0_E_clISt17integral_constantIbLb0EESP_IbLb1EEEEDaSL_SM_EUlSL_E_NS1_11comp_targetILNS1_3genE10ELNS1_11target_archE1200ELNS1_3gpuE4ELNS1_3repE0EEENS1_30default_config_static_selectorELNS0_4arch9wavefront6targetE1EEEvT1_.num_agpr, 0
	.set _ZN7rocprim17ROCPRIM_400000_NS6detail17trampoline_kernelINS0_14default_configENS1_20scan_config_selectorIlEEZZNS1_9scan_implILNS1_25lookback_scan_determinismE0ELb0ELb0ES3_PlS8_lN6thrust23THRUST_200600_302600_NS4plusIvEElEEDaPvRmT3_T4_T5_mT6_P12ihipStream_tbENKUlT_T0_E_clISt17integral_constantIbLb0EESP_IbLb1EEEEDaSL_SM_EUlSL_E_NS1_11comp_targetILNS1_3genE10ELNS1_11target_archE1200ELNS1_3gpuE4ELNS1_3repE0EEENS1_30default_config_static_selectorELNS0_4arch9wavefront6targetE1EEEvT1_.numbered_sgpr, 0
	.set _ZN7rocprim17ROCPRIM_400000_NS6detail17trampoline_kernelINS0_14default_configENS1_20scan_config_selectorIlEEZZNS1_9scan_implILNS1_25lookback_scan_determinismE0ELb0ELb0ES3_PlS8_lN6thrust23THRUST_200600_302600_NS4plusIvEElEEDaPvRmT3_T4_T5_mT6_P12ihipStream_tbENKUlT_T0_E_clISt17integral_constantIbLb0EESP_IbLb1EEEEDaSL_SM_EUlSL_E_NS1_11comp_targetILNS1_3genE10ELNS1_11target_archE1200ELNS1_3gpuE4ELNS1_3repE0EEENS1_30default_config_static_selectorELNS0_4arch9wavefront6targetE1EEEvT1_.num_named_barrier, 0
	.set _ZN7rocprim17ROCPRIM_400000_NS6detail17trampoline_kernelINS0_14default_configENS1_20scan_config_selectorIlEEZZNS1_9scan_implILNS1_25lookback_scan_determinismE0ELb0ELb0ES3_PlS8_lN6thrust23THRUST_200600_302600_NS4plusIvEElEEDaPvRmT3_T4_T5_mT6_P12ihipStream_tbENKUlT_T0_E_clISt17integral_constantIbLb0EESP_IbLb1EEEEDaSL_SM_EUlSL_E_NS1_11comp_targetILNS1_3genE10ELNS1_11target_archE1200ELNS1_3gpuE4ELNS1_3repE0EEENS1_30default_config_static_selectorELNS0_4arch9wavefront6targetE1EEEvT1_.private_seg_size, 0
	.set _ZN7rocprim17ROCPRIM_400000_NS6detail17trampoline_kernelINS0_14default_configENS1_20scan_config_selectorIlEEZZNS1_9scan_implILNS1_25lookback_scan_determinismE0ELb0ELb0ES3_PlS8_lN6thrust23THRUST_200600_302600_NS4plusIvEElEEDaPvRmT3_T4_T5_mT6_P12ihipStream_tbENKUlT_T0_E_clISt17integral_constantIbLb0EESP_IbLb1EEEEDaSL_SM_EUlSL_E_NS1_11comp_targetILNS1_3genE10ELNS1_11target_archE1200ELNS1_3gpuE4ELNS1_3repE0EEENS1_30default_config_static_selectorELNS0_4arch9wavefront6targetE1EEEvT1_.uses_vcc, 0
	.set _ZN7rocprim17ROCPRIM_400000_NS6detail17trampoline_kernelINS0_14default_configENS1_20scan_config_selectorIlEEZZNS1_9scan_implILNS1_25lookback_scan_determinismE0ELb0ELb0ES3_PlS8_lN6thrust23THRUST_200600_302600_NS4plusIvEElEEDaPvRmT3_T4_T5_mT6_P12ihipStream_tbENKUlT_T0_E_clISt17integral_constantIbLb0EESP_IbLb1EEEEDaSL_SM_EUlSL_E_NS1_11comp_targetILNS1_3genE10ELNS1_11target_archE1200ELNS1_3gpuE4ELNS1_3repE0EEENS1_30default_config_static_selectorELNS0_4arch9wavefront6targetE1EEEvT1_.uses_flat_scratch, 0
	.set _ZN7rocprim17ROCPRIM_400000_NS6detail17trampoline_kernelINS0_14default_configENS1_20scan_config_selectorIlEEZZNS1_9scan_implILNS1_25lookback_scan_determinismE0ELb0ELb0ES3_PlS8_lN6thrust23THRUST_200600_302600_NS4plusIvEElEEDaPvRmT3_T4_T5_mT6_P12ihipStream_tbENKUlT_T0_E_clISt17integral_constantIbLb0EESP_IbLb1EEEEDaSL_SM_EUlSL_E_NS1_11comp_targetILNS1_3genE10ELNS1_11target_archE1200ELNS1_3gpuE4ELNS1_3repE0EEENS1_30default_config_static_selectorELNS0_4arch9wavefront6targetE1EEEvT1_.has_dyn_sized_stack, 0
	.set _ZN7rocprim17ROCPRIM_400000_NS6detail17trampoline_kernelINS0_14default_configENS1_20scan_config_selectorIlEEZZNS1_9scan_implILNS1_25lookback_scan_determinismE0ELb0ELb0ES3_PlS8_lN6thrust23THRUST_200600_302600_NS4plusIvEElEEDaPvRmT3_T4_T5_mT6_P12ihipStream_tbENKUlT_T0_E_clISt17integral_constantIbLb0EESP_IbLb1EEEEDaSL_SM_EUlSL_E_NS1_11comp_targetILNS1_3genE10ELNS1_11target_archE1200ELNS1_3gpuE4ELNS1_3repE0EEENS1_30default_config_static_selectorELNS0_4arch9wavefront6targetE1EEEvT1_.has_recursion, 0
	.set _ZN7rocprim17ROCPRIM_400000_NS6detail17trampoline_kernelINS0_14default_configENS1_20scan_config_selectorIlEEZZNS1_9scan_implILNS1_25lookback_scan_determinismE0ELb0ELb0ES3_PlS8_lN6thrust23THRUST_200600_302600_NS4plusIvEElEEDaPvRmT3_T4_T5_mT6_P12ihipStream_tbENKUlT_T0_E_clISt17integral_constantIbLb0EESP_IbLb1EEEEDaSL_SM_EUlSL_E_NS1_11comp_targetILNS1_3genE10ELNS1_11target_archE1200ELNS1_3gpuE4ELNS1_3repE0EEENS1_30default_config_static_selectorELNS0_4arch9wavefront6targetE1EEEvT1_.has_indirect_call, 0
	.section	.AMDGPU.csdata,"",@progbits
; Kernel info:
; codeLenInByte = 0
; TotalNumSgprs: 6
; NumVgprs: 0
; NumAgprs: 0
; TotalNumVgprs: 0
; ScratchSize: 0
; MemoryBound: 0
; FloatMode: 240
; IeeeMode: 1
; LDSByteSize: 0 bytes/workgroup (compile time only)
; SGPRBlocks: 0
; VGPRBlocks: 0
; NumSGPRsForWavesPerEU: 6
; NumVGPRsForWavesPerEU: 1
; AccumOffset: 4
; Occupancy: 8
; WaveLimiterHint : 0
; COMPUTE_PGM_RSRC2:SCRATCH_EN: 0
; COMPUTE_PGM_RSRC2:USER_SGPR: 2
; COMPUTE_PGM_RSRC2:TRAP_HANDLER: 0
; COMPUTE_PGM_RSRC2:TGID_X_EN: 1
; COMPUTE_PGM_RSRC2:TGID_Y_EN: 0
; COMPUTE_PGM_RSRC2:TGID_Z_EN: 0
; COMPUTE_PGM_RSRC2:TIDIG_COMP_CNT: 0
; COMPUTE_PGM_RSRC3_GFX90A:ACCUM_OFFSET: 0
; COMPUTE_PGM_RSRC3_GFX90A:TG_SPLIT: 0
	.section	.text._ZN7rocprim17ROCPRIM_400000_NS6detail17trampoline_kernelINS0_14default_configENS1_20scan_config_selectorIlEEZZNS1_9scan_implILNS1_25lookback_scan_determinismE0ELb0ELb0ES3_PlS8_lN6thrust23THRUST_200600_302600_NS4plusIvEElEEDaPvRmT3_T4_T5_mT6_P12ihipStream_tbENKUlT_T0_E_clISt17integral_constantIbLb0EESP_IbLb1EEEEDaSL_SM_EUlSL_E_NS1_11comp_targetILNS1_3genE9ELNS1_11target_archE1100ELNS1_3gpuE3ELNS1_3repE0EEENS1_30default_config_static_selectorELNS0_4arch9wavefront6targetE1EEEvT1_,"axG",@progbits,_ZN7rocprim17ROCPRIM_400000_NS6detail17trampoline_kernelINS0_14default_configENS1_20scan_config_selectorIlEEZZNS1_9scan_implILNS1_25lookback_scan_determinismE0ELb0ELb0ES3_PlS8_lN6thrust23THRUST_200600_302600_NS4plusIvEElEEDaPvRmT3_T4_T5_mT6_P12ihipStream_tbENKUlT_T0_E_clISt17integral_constantIbLb0EESP_IbLb1EEEEDaSL_SM_EUlSL_E_NS1_11comp_targetILNS1_3genE9ELNS1_11target_archE1100ELNS1_3gpuE3ELNS1_3repE0EEENS1_30default_config_static_selectorELNS0_4arch9wavefront6targetE1EEEvT1_,comdat
	.protected	_ZN7rocprim17ROCPRIM_400000_NS6detail17trampoline_kernelINS0_14default_configENS1_20scan_config_selectorIlEEZZNS1_9scan_implILNS1_25lookback_scan_determinismE0ELb0ELb0ES3_PlS8_lN6thrust23THRUST_200600_302600_NS4plusIvEElEEDaPvRmT3_T4_T5_mT6_P12ihipStream_tbENKUlT_T0_E_clISt17integral_constantIbLb0EESP_IbLb1EEEEDaSL_SM_EUlSL_E_NS1_11comp_targetILNS1_3genE9ELNS1_11target_archE1100ELNS1_3gpuE3ELNS1_3repE0EEENS1_30default_config_static_selectorELNS0_4arch9wavefront6targetE1EEEvT1_ ; -- Begin function _ZN7rocprim17ROCPRIM_400000_NS6detail17trampoline_kernelINS0_14default_configENS1_20scan_config_selectorIlEEZZNS1_9scan_implILNS1_25lookback_scan_determinismE0ELb0ELb0ES3_PlS8_lN6thrust23THRUST_200600_302600_NS4plusIvEElEEDaPvRmT3_T4_T5_mT6_P12ihipStream_tbENKUlT_T0_E_clISt17integral_constantIbLb0EESP_IbLb1EEEEDaSL_SM_EUlSL_E_NS1_11comp_targetILNS1_3genE9ELNS1_11target_archE1100ELNS1_3gpuE3ELNS1_3repE0EEENS1_30default_config_static_selectorELNS0_4arch9wavefront6targetE1EEEvT1_
	.globl	_ZN7rocprim17ROCPRIM_400000_NS6detail17trampoline_kernelINS0_14default_configENS1_20scan_config_selectorIlEEZZNS1_9scan_implILNS1_25lookback_scan_determinismE0ELb0ELb0ES3_PlS8_lN6thrust23THRUST_200600_302600_NS4plusIvEElEEDaPvRmT3_T4_T5_mT6_P12ihipStream_tbENKUlT_T0_E_clISt17integral_constantIbLb0EESP_IbLb1EEEEDaSL_SM_EUlSL_E_NS1_11comp_targetILNS1_3genE9ELNS1_11target_archE1100ELNS1_3gpuE3ELNS1_3repE0EEENS1_30default_config_static_selectorELNS0_4arch9wavefront6targetE1EEEvT1_
	.p2align	8
	.type	_ZN7rocprim17ROCPRIM_400000_NS6detail17trampoline_kernelINS0_14default_configENS1_20scan_config_selectorIlEEZZNS1_9scan_implILNS1_25lookback_scan_determinismE0ELb0ELb0ES3_PlS8_lN6thrust23THRUST_200600_302600_NS4plusIvEElEEDaPvRmT3_T4_T5_mT6_P12ihipStream_tbENKUlT_T0_E_clISt17integral_constantIbLb0EESP_IbLb1EEEEDaSL_SM_EUlSL_E_NS1_11comp_targetILNS1_3genE9ELNS1_11target_archE1100ELNS1_3gpuE3ELNS1_3repE0EEENS1_30default_config_static_selectorELNS0_4arch9wavefront6targetE1EEEvT1_,@function
_ZN7rocprim17ROCPRIM_400000_NS6detail17trampoline_kernelINS0_14default_configENS1_20scan_config_selectorIlEEZZNS1_9scan_implILNS1_25lookback_scan_determinismE0ELb0ELb0ES3_PlS8_lN6thrust23THRUST_200600_302600_NS4plusIvEElEEDaPvRmT3_T4_T5_mT6_P12ihipStream_tbENKUlT_T0_E_clISt17integral_constantIbLb0EESP_IbLb1EEEEDaSL_SM_EUlSL_E_NS1_11comp_targetILNS1_3genE9ELNS1_11target_archE1100ELNS1_3gpuE3ELNS1_3repE0EEENS1_30default_config_static_selectorELNS0_4arch9wavefront6targetE1EEEvT1_: ; @_ZN7rocprim17ROCPRIM_400000_NS6detail17trampoline_kernelINS0_14default_configENS1_20scan_config_selectorIlEEZZNS1_9scan_implILNS1_25lookback_scan_determinismE0ELb0ELb0ES3_PlS8_lN6thrust23THRUST_200600_302600_NS4plusIvEElEEDaPvRmT3_T4_T5_mT6_P12ihipStream_tbENKUlT_T0_E_clISt17integral_constantIbLb0EESP_IbLb1EEEEDaSL_SM_EUlSL_E_NS1_11comp_targetILNS1_3genE9ELNS1_11target_archE1100ELNS1_3gpuE3ELNS1_3repE0EEENS1_30default_config_static_selectorELNS0_4arch9wavefront6targetE1EEEvT1_
; %bb.0:
	.section	.rodata,"a",@progbits
	.p2align	6, 0x0
	.amdhsa_kernel _ZN7rocprim17ROCPRIM_400000_NS6detail17trampoline_kernelINS0_14default_configENS1_20scan_config_selectorIlEEZZNS1_9scan_implILNS1_25lookback_scan_determinismE0ELb0ELb0ES3_PlS8_lN6thrust23THRUST_200600_302600_NS4plusIvEElEEDaPvRmT3_T4_T5_mT6_P12ihipStream_tbENKUlT_T0_E_clISt17integral_constantIbLb0EESP_IbLb1EEEEDaSL_SM_EUlSL_E_NS1_11comp_targetILNS1_3genE9ELNS1_11target_archE1100ELNS1_3gpuE3ELNS1_3repE0EEENS1_30default_config_static_selectorELNS0_4arch9wavefront6targetE1EEEvT1_
		.amdhsa_group_segment_fixed_size 0
		.amdhsa_private_segment_fixed_size 0
		.amdhsa_kernarg_size 104
		.amdhsa_user_sgpr_count 2
		.amdhsa_user_sgpr_dispatch_ptr 0
		.amdhsa_user_sgpr_queue_ptr 0
		.amdhsa_user_sgpr_kernarg_segment_ptr 1
		.amdhsa_user_sgpr_dispatch_id 0
		.amdhsa_user_sgpr_kernarg_preload_length 0
		.amdhsa_user_sgpr_kernarg_preload_offset 0
		.amdhsa_user_sgpr_private_segment_size 0
		.amdhsa_uses_dynamic_stack 0
		.amdhsa_enable_private_segment 0
		.amdhsa_system_sgpr_workgroup_id_x 1
		.amdhsa_system_sgpr_workgroup_id_y 0
		.amdhsa_system_sgpr_workgroup_id_z 0
		.amdhsa_system_sgpr_workgroup_info 0
		.amdhsa_system_vgpr_workitem_id 0
		.amdhsa_next_free_vgpr 1
		.amdhsa_next_free_sgpr 0
		.amdhsa_accum_offset 4
		.amdhsa_reserve_vcc 0
		.amdhsa_float_round_mode_32 0
		.amdhsa_float_round_mode_16_64 0
		.amdhsa_float_denorm_mode_32 3
		.amdhsa_float_denorm_mode_16_64 3
		.amdhsa_dx10_clamp 1
		.amdhsa_ieee_mode 1
		.amdhsa_fp16_overflow 0
		.amdhsa_tg_split 0
		.amdhsa_exception_fp_ieee_invalid_op 0
		.amdhsa_exception_fp_denorm_src 0
		.amdhsa_exception_fp_ieee_div_zero 0
		.amdhsa_exception_fp_ieee_overflow 0
		.amdhsa_exception_fp_ieee_underflow 0
		.amdhsa_exception_fp_ieee_inexact 0
		.amdhsa_exception_int_div_zero 0
	.end_amdhsa_kernel
	.section	.text._ZN7rocprim17ROCPRIM_400000_NS6detail17trampoline_kernelINS0_14default_configENS1_20scan_config_selectorIlEEZZNS1_9scan_implILNS1_25lookback_scan_determinismE0ELb0ELb0ES3_PlS8_lN6thrust23THRUST_200600_302600_NS4plusIvEElEEDaPvRmT3_T4_T5_mT6_P12ihipStream_tbENKUlT_T0_E_clISt17integral_constantIbLb0EESP_IbLb1EEEEDaSL_SM_EUlSL_E_NS1_11comp_targetILNS1_3genE9ELNS1_11target_archE1100ELNS1_3gpuE3ELNS1_3repE0EEENS1_30default_config_static_selectorELNS0_4arch9wavefront6targetE1EEEvT1_,"axG",@progbits,_ZN7rocprim17ROCPRIM_400000_NS6detail17trampoline_kernelINS0_14default_configENS1_20scan_config_selectorIlEEZZNS1_9scan_implILNS1_25lookback_scan_determinismE0ELb0ELb0ES3_PlS8_lN6thrust23THRUST_200600_302600_NS4plusIvEElEEDaPvRmT3_T4_T5_mT6_P12ihipStream_tbENKUlT_T0_E_clISt17integral_constantIbLb0EESP_IbLb1EEEEDaSL_SM_EUlSL_E_NS1_11comp_targetILNS1_3genE9ELNS1_11target_archE1100ELNS1_3gpuE3ELNS1_3repE0EEENS1_30default_config_static_selectorELNS0_4arch9wavefront6targetE1EEEvT1_,comdat
.Lfunc_end148:
	.size	_ZN7rocprim17ROCPRIM_400000_NS6detail17trampoline_kernelINS0_14default_configENS1_20scan_config_selectorIlEEZZNS1_9scan_implILNS1_25lookback_scan_determinismE0ELb0ELb0ES3_PlS8_lN6thrust23THRUST_200600_302600_NS4plusIvEElEEDaPvRmT3_T4_T5_mT6_P12ihipStream_tbENKUlT_T0_E_clISt17integral_constantIbLb0EESP_IbLb1EEEEDaSL_SM_EUlSL_E_NS1_11comp_targetILNS1_3genE9ELNS1_11target_archE1100ELNS1_3gpuE3ELNS1_3repE0EEENS1_30default_config_static_selectorELNS0_4arch9wavefront6targetE1EEEvT1_, .Lfunc_end148-_ZN7rocprim17ROCPRIM_400000_NS6detail17trampoline_kernelINS0_14default_configENS1_20scan_config_selectorIlEEZZNS1_9scan_implILNS1_25lookback_scan_determinismE0ELb0ELb0ES3_PlS8_lN6thrust23THRUST_200600_302600_NS4plusIvEElEEDaPvRmT3_T4_T5_mT6_P12ihipStream_tbENKUlT_T0_E_clISt17integral_constantIbLb0EESP_IbLb1EEEEDaSL_SM_EUlSL_E_NS1_11comp_targetILNS1_3genE9ELNS1_11target_archE1100ELNS1_3gpuE3ELNS1_3repE0EEENS1_30default_config_static_selectorELNS0_4arch9wavefront6targetE1EEEvT1_
                                        ; -- End function
	.set _ZN7rocprim17ROCPRIM_400000_NS6detail17trampoline_kernelINS0_14default_configENS1_20scan_config_selectorIlEEZZNS1_9scan_implILNS1_25lookback_scan_determinismE0ELb0ELb0ES3_PlS8_lN6thrust23THRUST_200600_302600_NS4plusIvEElEEDaPvRmT3_T4_T5_mT6_P12ihipStream_tbENKUlT_T0_E_clISt17integral_constantIbLb0EESP_IbLb1EEEEDaSL_SM_EUlSL_E_NS1_11comp_targetILNS1_3genE9ELNS1_11target_archE1100ELNS1_3gpuE3ELNS1_3repE0EEENS1_30default_config_static_selectorELNS0_4arch9wavefront6targetE1EEEvT1_.num_vgpr, 0
	.set _ZN7rocprim17ROCPRIM_400000_NS6detail17trampoline_kernelINS0_14default_configENS1_20scan_config_selectorIlEEZZNS1_9scan_implILNS1_25lookback_scan_determinismE0ELb0ELb0ES3_PlS8_lN6thrust23THRUST_200600_302600_NS4plusIvEElEEDaPvRmT3_T4_T5_mT6_P12ihipStream_tbENKUlT_T0_E_clISt17integral_constantIbLb0EESP_IbLb1EEEEDaSL_SM_EUlSL_E_NS1_11comp_targetILNS1_3genE9ELNS1_11target_archE1100ELNS1_3gpuE3ELNS1_3repE0EEENS1_30default_config_static_selectorELNS0_4arch9wavefront6targetE1EEEvT1_.num_agpr, 0
	.set _ZN7rocprim17ROCPRIM_400000_NS6detail17trampoline_kernelINS0_14default_configENS1_20scan_config_selectorIlEEZZNS1_9scan_implILNS1_25lookback_scan_determinismE0ELb0ELb0ES3_PlS8_lN6thrust23THRUST_200600_302600_NS4plusIvEElEEDaPvRmT3_T4_T5_mT6_P12ihipStream_tbENKUlT_T0_E_clISt17integral_constantIbLb0EESP_IbLb1EEEEDaSL_SM_EUlSL_E_NS1_11comp_targetILNS1_3genE9ELNS1_11target_archE1100ELNS1_3gpuE3ELNS1_3repE0EEENS1_30default_config_static_selectorELNS0_4arch9wavefront6targetE1EEEvT1_.numbered_sgpr, 0
	.set _ZN7rocprim17ROCPRIM_400000_NS6detail17trampoline_kernelINS0_14default_configENS1_20scan_config_selectorIlEEZZNS1_9scan_implILNS1_25lookback_scan_determinismE0ELb0ELb0ES3_PlS8_lN6thrust23THRUST_200600_302600_NS4plusIvEElEEDaPvRmT3_T4_T5_mT6_P12ihipStream_tbENKUlT_T0_E_clISt17integral_constantIbLb0EESP_IbLb1EEEEDaSL_SM_EUlSL_E_NS1_11comp_targetILNS1_3genE9ELNS1_11target_archE1100ELNS1_3gpuE3ELNS1_3repE0EEENS1_30default_config_static_selectorELNS0_4arch9wavefront6targetE1EEEvT1_.num_named_barrier, 0
	.set _ZN7rocprim17ROCPRIM_400000_NS6detail17trampoline_kernelINS0_14default_configENS1_20scan_config_selectorIlEEZZNS1_9scan_implILNS1_25lookback_scan_determinismE0ELb0ELb0ES3_PlS8_lN6thrust23THRUST_200600_302600_NS4plusIvEElEEDaPvRmT3_T4_T5_mT6_P12ihipStream_tbENKUlT_T0_E_clISt17integral_constantIbLb0EESP_IbLb1EEEEDaSL_SM_EUlSL_E_NS1_11comp_targetILNS1_3genE9ELNS1_11target_archE1100ELNS1_3gpuE3ELNS1_3repE0EEENS1_30default_config_static_selectorELNS0_4arch9wavefront6targetE1EEEvT1_.private_seg_size, 0
	.set _ZN7rocprim17ROCPRIM_400000_NS6detail17trampoline_kernelINS0_14default_configENS1_20scan_config_selectorIlEEZZNS1_9scan_implILNS1_25lookback_scan_determinismE0ELb0ELb0ES3_PlS8_lN6thrust23THRUST_200600_302600_NS4plusIvEElEEDaPvRmT3_T4_T5_mT6_P12ihipStream_tbENKUlT_T0_E_clISt17integral_constantIbLb0EESP_IbLb1EEEEDaSL_SM_EUlSL_E_NS1_11comp_targetILNS1_3genE9ELNS1_11target_archE1100ELNS1_3gpuE3ELNS1_3repE0EEENS1_30default_config_static_selectorELNS0_4arch9wavefront6targetE1EEEvT1_.uses_vcc, 0
	.set _ZN7rocprim17ROCPRIM_400000_NS6detail17trampoline_kernelINS0_14default_configENS1_20scan_config_selectorIlEEZZNS1_9scan_implILNS1_25lookback_scan_determinismE0ELb0ELb0ES3_PlS8_lN6thrust23THRUST_200600_302600_NS4plusIvEElEEDaPvRmT3_T4_T5_mT6_P12ihipStream_tbENKUlT_T0_E_clISt17integral_constantIbLb0EESP_IbLb1EEEEDaSL_SM_EUlSL_E_NS1_11comp_targetILNS1_3genE9ELNS1_11target_archE1100ELNS1_3gpuE3ELNS1_3repE0EEENS1_30default_config_static_selectorELNS0_4arch9wavefront6targetE1EEEvT1_.uses_flat_scratch, 0
	.set _ZN7rocprim17ROCPRIM_400000_NS6detail17trampoline_kernelINS0_14default_configENS1_20scan_config_selectorIlEEZZNS1_9scan_implILNS1_25lookback_scan_determinismE0ELb0ELb0ES3_PlS8_lN6thrust23THRUST_200600_302600_NS4plusIvEElEEDaPvRmT3_T4_T5_mT6_P12ihipStream_tbENKUlT_T0_E_clISt17integral_constantIbLb0EESP_IbLb1EEEEDaSL_SM_EUlSL_E_NS1_11comp_targetILNS1_3genE9ELNS1_11target_archE1100ELNS1_3gpuE3ELNS1_3repE0EEENS1_30default_config_static_selectorELNS0_4arch9wavefront6targetE1EEEvT1_.has_dyn_sized_stack, 0
	.set _ZN7rocprim17ROCPRIM_400000_NS6detail17trampoline_kernelINS0_14default_configENS1_20scan_config_selectorIlEEZZNS1_9scan_implILNS1_25lookback_scan_determinismE0ELb0ELb0ES3_PlS8_lN6thrust23THRUST_200600_302600_NS4plusIvEElEEDaPvRmT3_T4_T5_mT6_P12ihipStream_tbENKUlT_T0_E_clISt17integral_constantIbLb0EESP_IbLb1EEEEDaSL_SM_EUlSL_E_NS1_11comp_targetILNS1_3genE9ELNS1_11target_archE1100ELNS1_3gpuE3ELNS1_3repE0EEENS1_30default_config_static_selectorELNS0_4arch9wavefront6targetE1EEEvT1_.has_recursion, 0
	.set _ZN7rocprim17ROCPRIM_400000_NS6detail17trampoline_kernelINS0_14default_configENS1_20scan_config_selectorIlEEZZNS1_9scan_implILNS1_25lookback_scan_determinismE0ELb0ELb0ES3_PlS8_lN6thrust23THRUST_200600_302600_NS4plusIvEElEEDaPvRmT3_T4_T5_mT6_P12ihipStream_tbENKUlT_T0_E_clISt17integral_constantIbLb0EESP_IbLb1EEEEDaSL_SM_EUlSL_E_NS1_11comp_targetILNS1_3genE9ELNS1_11target_archE1100ELNS1_3gpuE3ELNS1_3repE0EEENS1_30default_config_static_selectorELNS0_4arch9wavefront6targetE1EEEvT1_.has_indirect_call, 0
	.section	.AMDGPU.csdata,"",@progbits
; Kernel info:
; codeLenInByte = 0
; TotalNumSgprs: 6
; NumVgprs: 0
; NumAgprs: 0
; TotalNumVgprs: 0
; ScratchSize: 0
; MemoryBound: 0
; FloatMode: 240
; IeeeMode: 1
; LDSByteSize: 0 bytes/workgroup (compile time only)
; SGPRBlocks: 0
; VGPRBlocks: 0
; NumSGPRsForWavesPerEU: 6
; NumVGPRsForWavesPerEU: 1
; AccumOffset: 4
; Occupancy: 8
; WaveLimiterHint : 0
; COMPUTE_PGM_RSRC2:SCRATCH_EN: 0
; COMPUTE_PGM_RSRC2:USER_SGPR: 2
; COMPUTE_PGM_RSRC2:TRAP_HANDLER: 0
; COMPUTE_PGM_RSRC2:TGID_X_EN: 1
; COMPUTE_PGM_RSRC2:TGID_Y_EN: 0
; COMPUTE_PGM_RSRC2:TGID_Z_EN: 0
; COMPUTE_PGM_RSRC2:TIDIG_COMP_CNT: 0
; COMPUTE_PGM_RSRC3_GFX90A:ACCUM_OFFSET: 0
; COMPUTE_PGM_RSRC3_GFX90A:TG_SPLIT: 0
	.section	.text._ZN7rocprim17ROCPRIM_400000_NS6detail17trampoline_kernelINS0_14default_configENS1_20scan_config_selectorIlEEZZNS1_9scan_implILNS1_25lookback_scan_determinismE0ELb0ELb0ES3_PlS8_lN6thrust23THRUST_200600_302600_NS4plusIvEElEEDaPvRmT3_T4_T5_mT6_P12ihipStream_tbENKUlT_T0_E_clISt17integral_constantIbLb0EESP_IbLb1EEEEDaSL_SM_EUlSL_E_NS1_11comp_targetILNS1_3genE8ELNS1_11target_archE1030ELNS1_3gpuE2ELNS1_3repE0EEENS1_30default_config_static_selectorELNS0_4arch9wavefront6targetE1EEEvT1_,"axG",@progbits,_ZN7rocprim17ROCPRIM_400000_NS6detail17trampoline_kernelINS0_14default_configENS1_20scan_config_selectorIlEEZZNS1_9scan_implILNS1_25lookback_scan_determinismE0ELb0ELb0ES3_PlS8_lN6thrust23THRUST_200600_302600_NS4plusIvEElEEDaPvRmT3_T4_T5_mT6_P12ihipStream_tbENKUlT_T0_E_clISt17integral_constantIbLb0EESP_IbLb1EEEEDaSL_SM_EUlSL_E_NS1_11comp_targetILNS1_3genE8ELNS1_11target_archE1030ELNS1_3gpuE2ELNS1_3repE0EEENS1_30default_config_static_selectorELNS0_4arch9wavefront6targetE1EEEvT1_,comdat
	.protected	_ZN7rocprim17ROCPRIM_400000_NS6detail17trampoline_kernelINS0_14default_configENS1_20scan_config_selectorIlEEZZNS1_9scan_implILNS1_25lookback_scan_determinismE0ELb0ELb0ES3_PlS8_lN6thrust23THRUST_200600_302600_NS4plusIvEElEEDaPvRmT3_T4_T5_mT6_P12ihipStream_tbENKUlT_T0_E_clISt17integral_constantIbLb0EESP_IbLb1EEEEDaSL_SM_EUlSL_E_NS1_11comp_targetILNS1_3genE8ELNS1_11target_archE1030ELNS1_3gpuE2ELNS1_3repE0EEENS1_30default_config_static_selectorELNS0_4arch9wavefront6targetE1EEEvT1_ ; -- Begin function _ZN7rocprim17ROCPRIM_400000_NS6detail17trampoline_kernelINS0_14default_configENS1_20scan_config_selectorIlEEZZNS1_9scan_implILNS1_25lookback_scan_determinismE0ELb0ELb0ES3_PlS8_lN6thrust23THRUST_200600_302600_NS4plusIvEElEEDaPvRmT3_T4_T5_mT6_P12ihipStream_tbENKUlT_T0_E_clISt17integral_constantIbLb0EESP_IbLb1EEEEDaSL_SM_EUlSL_E_NS1_11comp_targetILNS1_3genE8ELNS1_11target_archE1030ELNS1_3gpuE2ELNS1_3repE0EEENS1_30default_config_static_selectorELNS0_4arch9wavefront6targetE1EEEvT1_
	.globl	_ZN7rocprim17ROCPRIM_400000_NS6detail17trampoline_kernelINS0_14default_configENS1_20scan_config_selectorIlEEZZNS1_9scan_implILNS1_25lookback_scan_determinismE0ELb0ELb0ES3_PlS8_lN6thrust23THRUST_200600_302600_NS4plusIvEElEEDaPvRmT3_T4_T5_mT6_P12ihipStream_tbENKUlT_T0_E_clISt17integral_constantIbLb0EESP_IbLb1EEEEDaSL_SM_EUlSL_E_NS1_11comp_targetILNS1_3genE8ELNS1_11target_archE1030ELNS1_3gpuE2ELNS1_3repE0EEENS1_30default_config_static_selectorELNS0_4arch9wavefront6targetE1EEEvT1_
	.p2align	8
	.type	_ZN7rocprim17ROCPRIM_400000_NS6detail17trampoline_kernelINS0_14default_configENS1_20scan_config_selectorIlEEZZNS1_9scan_implILNS1_25lookback_scan_determinismE0ELb0ELb0ES3_PlS8_lN6thrust23THRUST_200600_302600_NS4plusIvEElEEDaPvRmT3_T4_T5_mT6_P12ihipStream_tbENKUlT_T0_E_clISt17integral_constantIbLb0EESP_IbLb1EEEEDaSL_SM_EUlSL_E_NS1_11comp_targetILNS1_3genE8ELNS1_11target_archE1030ELNS1_3gpuE2ELNS1_3repE0EEENS1_30default_config_static_selectorELNS0_4arch9wavefront6targetE1EEEvT1_,@function
_ZN7rocprim17ROCPRIM_400000_NS6detail17trampoline_kernelINS0_14default_configENS1_20scan_config_selectorIlEEZZNS1_9scan_implILNS1_25lookback_scan_determinismE0ELb0ELb0ES3_PlS8_lN6thrust23THRUST_200600_302600_NS4plusIvEElEEDaPvRmT3_T4_T5_mT6_P12ihipStream_tbENKUlT_T0_E_clISt17integral_constantIbLb0EESP_IbLb1EEEEDaSL_SM_EUlSL_E_NS1_11comp_targetILNS1_3genE8ELNS1_11target_archE1030ELNS1_3gpuE2ELNS1_3repE0EEENS1_30default_config_static_selectorELNS0_4arch9wavefront6targetE1EEEvT1_: ; @_ZN7rocprim17ROCPRIM_400000_NS6detail17trampoline_kernelINS0_14default_configENS1_20scan_config_selectorIlEEZZNS1_9scan_implILNS1_25lookback_scan_determinismE0ELb0ELb0ES3_PlS8_lN6thrust23THRUST_200600_302600_NS4plusIvEElEEDaPvRmT3_T4_T5_mT6_P12ihipStream_tbENKUlT_T0_E_clISt17integral_constantIbLb0EESP_IbLb1EEEEDaSL_SM_EUlSL_E_NS1_11comp_targetILNS1_3genE8ELNS1_11target_archE1030ELNS1_3gpuE2ELNS1_3repE0EEENS1_30default_config_static_selectorELNS0_4arch9wavefront6targetE1EEEvT1_
; %bb.0:
	.section	.rodata,"a",@progbits
	.p2align	6, 0x0
	.amdhsa_kernel _ZN7rocprim17ROCPRIM_400000_NS6detail17trampoline_kernelINS0_14default_configENS1_20scan_config_selectorIlEEZZNS1_9scan_implILNS1_25lookback_scan_determinismE0ELb0ELb0ES3_PlS8_lN6thrust23THRUST_200600_302600_NS4plusIvEElEEDaPvRmT3_T4_T5_mT6_P12ihipStream_tbENKUlT_T0_E_clISt17integral_constantIbLb0EESP_IbLb1EEEEDaSL_SM_EUlSL_E_NS1_11comp_targetILNS1_3genE8ELNS1_11target_archE1030ELNS1_3gpuE2ELNS1_3repE0EEENS1_30default_config_static_selectorELNS0_4arch9wavefront6targetE1EEEvT1_
		.amdhsa_group_segment_fixed_size 0
		.amdhsa_private_segment_fixed_size 0
		.amdhsa_kernarg_size 104
		.amdhsa_user_sgpr_count 2
		.amdhsa_user_sgpr_dispatch_ptr 0
		.amdhsa_user_sgpr_queue_ptr 0
		.amdhsa_user_sgpr_kernarg_segment_ptr 1
		.amdhsa_user_sgpr_dispatch_id 0
		.amdhsa_user_sgpr_kernarg_preload_length 0
		.amdhsa_user_sgpr_kernarg_preload_offset 0
		.amdhsa_user_sgpr_private_segment_size 0
		.amdhsa_uses_dynamic_stack 0
		.amdhsa_enable_private_segment 0
		.amdhsa_system_sgpr_workgroup_id_x 1
		.amdhsa_system_sgpr_workgroup_id_y 0
		.amdhsa_system_sgpr_workgroup_id_z 0
		.amdhsa_system_sgpr_workgroup_info 0
		.amdhsa_system_vgpr_workitem_id 0
		.amdhsa_next_free_vgpr 1
		.amdhsa_next_free_sgpr 0
		.amdhsa_accum_offset 4
		.amdhsa_reserve_vcc 0
		.amdhsa_float_round_mode_32 0
		.amdhsa_float_round_mode_16_64 0
		.amdhsa_float_denorm_mode_32 3
		.amdhsa_float_denorm_mode_16_64 3
		.amdhsa_dx10_clamp 1
		.amdhsa_ieee_mode 1
		.amdhsa_fp16_overflow 0
		.amdhsa_tg_split 0
		.amdhsa_exception_fp_ieee_invalid_op 0
		.amdhsa_exception_fp_denorm_src 0
		.amdhsa_exception_fp_ieee_div_zero 0
		.amdhsa_exception_fp_ieee_overflow 0
		.amdhsa_exception_fp_ieee_underflow 0
		.amdhsa_exception_fp_ieee_inexact 0
		.amdhsa_exception_int_div_zero 0
	.end_amdhsa_kernel
	.section	.text._ZN7rocprim17ROCPRIM_400000_NS6detail17trampoline_kernelINS0_14default_configENS1_20scan_config_selectorIlEEZZNS1_9scan_implILNS1_25lookback_scan_determinismE0ELb0ELb0ES3_PlS8_lN6thrust23THRUST_200600_302600_NS4plusIvEElEEDaPvRmT3_T4_T5_mT6_P12ihipStream_tbENKUlT_T0_E_clISt17integral_constantIbLb0EESP_IbLb1EEEEDaSL_SM_EUlSL_E_NS1_11comp_targetILNS1_3genE8ELNS1_11target_archE1030ELNS1_3gpuE2ELNS1_3repE0EEENS1_30default_config_static_selectorELNS0_4arch9wavefront6targetE1EEEvT1_,"axG",@progbits,_ZN7rocprim17ROCPRIM_400000_NS6detail17trampoline_kernelINS0_14default_configENS1_20scan_config_selectorIlEEZZNS1_9scan_implILNS1_25lookback_scan_determinismE0ELb0ELb0ES3_PlS8_lN6thrust23THRUST_200600_302600_NS4plusIvEElEEDaPvRmT3_T4_T5_mT6_P12ihipStream_tbENKUlT_T0_E_clISt17integral_constantIbLb0EESP_IbLb1EEEEDaSL_SM_EUlSL_E_NS1_11comp_targetILNS1_3genE8ELNS1_11target_archE1030ELNS1_3gpuE2ELNS1_3repE0EEENS1_30default_config_static_selectorELNS0_4arch9wavefront6targetE1EEEvT1_,comdat
.Lfunc_end149:
	.size	_ZN7rocprim17ROCPRIM_400000_NS6detail17trampoline_kernelINS0_14default_configENS1_20scan_config_selectorIlEEZZNS1_9scan_implILNS1_25lookback_scan_determinismE0ELb0ELb0ES3_PlS8_lN6thrust23THRUST_200600_302600_NS4plusIvEElEEDaPvRmT3_T4_T5_mT6_P12ihipStream_tbENKUlT_T0_E_clISt17integral_constantIbLb0EESP_IbLb1EEEEDaSL_SM_EUlSL_E_NS1_11comp_targetILNS1_3genE8ELNS1_11target_archE1030ELNS1_3gpuE2ELNS1_3repE0EEENS1_30default_config_static_selectorELNS0_4arch9wavefront6targetE1EEEvT1_, .Lfunc_end149-_ZN7rocprim17ROCPRIM_400000_NS6detail17trampoline_kernelINS0_14default_configENS1_20scan_config_selectorIlEEZZNS1_9scan_implILNS1_25lookback_scan_determinismE0ELb0ELb0ES3_PlS8_lN6thrust23THRUST_200600_302600_NS4plusIvEElEEDaPvRmT3_T4_T5_mT6_P12ihipStream_tbENKUlT_T0_E_clISt17integral_constantIbLb0EESP_IbLb1EEEEDaSL_SM_EUlSL_E_NS1_11comp_targetILNS1_3genE8ELNS1_11target_archE1030ELNS1_3gpuE2ELNS1_3repE0EEENS1_30default_config_static_selectorELNS0_4arch9wavefront6targetE1EEEvT1_
                                        ; -- End function
	.set _ZN7rocprim17ROCPRIM_400000_NS6detail17trampoline_kernelINS0_14default_configENS1_20scan_config_selectorIlEEZZNS1_9scan_implILNS1_25lookback_scan_determinismE0ELb0ELb0ES3_PlS8_lN6thrust23THRUST_200600_302600_NS4plusIvEElEEDaPvRmT3_T4_T5_mT6_P12ihipStream_tbENKUlT_T0_E_clISt17integral_constantIbLb0EESP_IbLb1EEEEDaSL_SM_EUlSL_E_NS1_11comp_targetILNS1_3genE8ELNS1_11target_archE1030ELNS1_3gpuE2ELNS1_3repE0EEENS1_30default_config_static_selectorELNS0_4arch9wavefront6targetE1EEEvT1_.num_vgpr, 0
	.set _ZN7rocprim17ROCPRIM_400000_NS6detail17trampoline_kernelINS0_14default_configENS1_20scan_config_selectorIlEEZZNS1_9scan_implILNS1_25lookback_scan_determinismE0ELb0ELb0ES3_PlS8_lN6thrust23THRUST_200600_302600_NS4plusIvEElEEDaPvRmT3_T4_T5_mT6_P12ihipStream_tbENKUlT_T0_E_clISt17integral_constantIbLb0EESP_IbLb1EEEEDaSL_SM_EUlSL_E_NS1_11comp_targetILNS1_3genE8ELNS1_11target_archE1030ELNS1_3gpuE2ELNS1_3repE0EEENS1_30default_config_static_selectorELNS0_4arch9wavefront6targetE1EEEvT1_.num_agpr, 0
	.set _ZN7rocprim17ROCPRIM_400000_NS6detail17trampoline_kernelINS0_14default_configENS1_20scan_config_selectorIlEEZZNS1_9scan_implILNS1_25lookback_scan_determinismE0ELb0ELb0ES3_PlS8_lN6thrust23THRUST_200600_302600_NS4plusIvEElEEDaPvRmT3_T4_T5_mT6_P12ihipStream_tbENKUlT_T0_E_clISt17integral_constantIbLb0EESP_IbLb1EEEEDaSL_SM_EUlSL_E_NS1_11comp_targetILNS1_3genE8ELNS1_11target_archE1030ELNS1_3gpuE2ELNS1_3repE0EEENS1_30default_config_static_selectorELNS0_4arch9wavefront6targetE1EEEvT1_.numbered_sgpr, 0
	.set _ZN7rocprim17ROCPRIM_400000_NS6detail17trampoline_kernelINS0_14default_configENS1_20scan_config_selectorIlEEZZNS1_9scan_implILNS1_25lookback_scan_determinismE0ELb0ELb0ES3_PlS8_lN6thrust23THRUST_200600_302600_NS4plusIvEElEEDaPvRmT3_T4_T5_mT6_P12ihipStream_tbENKUlT_T0_E_clISt17integral_constantIbLb0EESP_IbLb1EEEEDaSL_SM_EUlSL_E_NS1_11comp_targetILNS1_3genE8ELNS1_11target_archE1030ELNS1_3gpuE2ELNS1_3repE0EEENS1_30default_config_static_selectorELNS0_4arch9wavefront6targetE1EEEvT1_.num_named_barrier, 0
	.set _ZN7rocprim17ROCPRIM_400000_NS6detail17trampoline_kernelINS0_14default_configENS1_20scan_config_selectorIlEEZZNS1_9scan_implILNS1_25lookback_scan_determinismE0ELb0ELb0ES3_PlS8_lN6thrust23THRUST_200600_302600_NS4plusIvEElEEDaPvRmT3_T4_T5_mT6_P12ihipStream_tbENKUlT_T0_E_clISt17integral_constantIbLb0EESP_IbLb1EEEEDaSL_SM_EUlSL_E_NS1_11comp_targetILNS1_3genE8ELNS1_11target_archE1030ELNS1_3gpuE2ELNS1_3repE0EEENS1_30default_config_static_selectorELNS0_4arch9wavefront6targetE1EEEvT1_.private_seg_size, 0
	.set _ZN7rocprim17ROCPRIM_400000_NS6detail17trampoline_kernelINS0_14default_configENS1_20scan_config_selectorIlEEZZNS1_9scan_implILNS1_25lookback_scan_determinismE0ELb0ELb0ES3_PlS8_lN6thrust23THRUST_200600_302600_NS4plusIvEElEEDaPvRmT3_T4_T5_mT6_P12ihipStream_tbENKUlT_T0_E_clISt17integral_constantIbLb0EESP_IbLb1EEEEDaSL_SM_EUlSL_E_NS1_11comp_targetILNS1_3genE8ELNS1_11target_archE1030ELNS1_3gpuE2ELNS1_3repE0EEENS1_30default_config_static_selectorELNS0_4arch9wavefront6targetE1EEEvT1_.uses_vcc, 0
	.set _ZN7rocprim17ROCPRIM_400000_NS6detail17trampoline_kernelINS0_14default_configENS1_20scan_config_selectorIlEEZZNS1_9scan_implILNS1_25lookback_scan_determinismE0ELb0ELb0ES3_PlS8_lN6thrust23THRUST_200600_302600_NS4plusIvEElEEDaPvRmT3_T4_T5_mT6_P12ihipStream_tbENKUlT_T0_E_clISt17integral_constantIbLb0EESP_IbLb1EEEEDaSL_SM_EUlSL_E_NS1_11comp_targetILNS1_3genE8ELNS1_11target_archE1030ELNS1_3gpuE2ELNS1_3repE0EEENS1_30default_config_static_selectorELNS0_4arch9wavefront6targetE1EEEvT1_.uses_flat_scratch, 0
	.set _ZN7rocprim17ROCPRIM_400000_NS6detail17trampoline_kernelINS0_14default_configENS1_20scan_config_selectorIlEEZZNS1_9scan_implILNS1_25lookback_scan_determinismE0ELb0ELb0ES3_PlS8_lN6thrust23THRUST_200600_302600_NS4plusIvEElEEDaPvRmT3_T4_T5_mT6_P12ihipStream_tbENKUlT_T0_E_clISt17integral_constantIbLb0EESP_IbLb1EEEEDaSL_SM_EUlSL_E_NS1_11comp_targetILNS1_3genE8ELNS1_11target_archE1030ELNS1_3gpuE2ELNS1_3repE0EEENS1_30default_config_static_selectorELNS0_4arch9wavefront6targetE1EEEvT1_.has_dyn_sized_stack, 0
	.set _ZN7rocprim17ROCPRIM_400000_NS6detail17trampoline_kernelINS0_14default_configENS1_20scan_config_selectorIlEEZZNS1_9scan_implILNS1_25lookback_scan_determinismE0ELb0ELb0ES3_PlS8_lN6thrust23THRUST_200600_302600_NS4plusIvEElEEDaPvRmT3_T4_T5_mT6_P12ihipStream_tbENKUlT_T0_E_clISt17integral_constantIbLb0EESP_IbLb1EEEEDaSL_SM_EUlSL_E_NS1_11comp_targetILNS1_3genE8ELNS1_11target_archE1030ELNS1_3gpuE2ELNS1_3repE0EEENS1_30default_config_static_selectorELNS0_4arch9wavefront6targetE1EEEvT1_.has_recursion, 0
	.set _ZN7rocprim17ROCPRIM_400000_NS6detail17trampoline_kernelINS0_14default_configENS1_20scan_config_selectorIlEEZZNS1_9scan_implILNS1_25lookback_scan_determinismE0ELb0ELb0ES3_PlS8_lN6thrust23THRUST_200600_302600_NS4plusIvEElEEDaPvRmT3_T4_T5_mT6_P12ihipStream_tbENKUlT_T0_E_clISt17integral_constantIbLb0EESP_IbLb1EEEEDaSL_SM_EUlSL_E_NS1_11comp_targetILNS1_3genE8ELNS1_11target_archE1030ELNS1_3gpuE2ELNS1_3repE0EEENS1_30default_config_static_selectorELNS0_4arch9wavefront6targetE1EEEvT1_.has_indirect_call, 0
	.section	.AMDGPU.csdata,"",@progbits
; Kernel info:
; codeLenInByte = 0
; TotalNumSgprs: 6
; NumVgprs: 0
; NumAgprs: 0
; TotalNumVgprs: 0
; ScratchSize: 0
; MemoryBound: 0
; FloatMode: 240
; IeeeMode: 1
; LDSByteSize: 0 bytes/workgroup (compile time only)
; SGPRBlocks: 0
; VGPRBlocks: 0
; NumSGPRsForWavesPerEU: 6
; NumVGPRsForWavesPerEU: 1
; AccumOffset: 4
; Occupancy: 8
; WaveLimiterHint : 0
; COMPUTE_PGM_RSRC2:SCRATCH_EN: 0
; COMPUTE_PGM_RSRC2:USER_SGPR: 2
; COMPUTE_PGM_RSRC2:TRAP_HANDLER: 0
; COMPUTE_PGM_RSRC2:TGID_X_EN: 1
; COMPUTE_PGM_RSRC2:TGID_Y_EN: 0
; COMPUTE_PGM_RSRC2:TGID_Z_EN: 0
; COMPUTE_PGM_RSRC2:TIDIG_COMP_CNT: 0
; COMPUTE_PGM_RSRC3_GFX90A:ACCUM_OFFSET: 0
; COMPUTE_PGM_RSRC3_GFX90A:TG_SPLIT: 0
	.section	.text._ZN7rocprim17ROCPRIM_400000_NS6detail17trampoline_kernelINS0_14default_configENS1_20scan_config_selectorIlEEZZNS1_9scan_implILNS1_25lookback_scan_determinismE0ELb0ELb0ES3_PlS8_lN6thrust23THRUST_200600_302600_NS4plusIvEElEEDaPvRmT3_T4_T5_mT6_P12ihipStream_tbENKUlT_T0_E_clISt17integral_constantIbLb0EESP_IbLb1EEEEDaSL_SM_EUlSL_E0_NS1_11comp_targetILNS1_3genE0ELNS1_11target_archE4294967295ELNS1_3gpuE0ELNS1_3repE0EEENS1_30default_config_static_selectorELNS0_4arch9wavefront6targetE1EEEvT1_,"axG",@progbits,_ZN7rocprim17ROCPRIM_400000_NS6detail17trampoline_kernelINS0_14default_configENS1_20scan_config_selectorIlEEZZNS1_9scan_implILNS1_25lookback_scan_determinismE0ELb0ELb0ES3_PlS8_lN6thrust23THRUST_200600_302600_NS4plusIvEElEEDaPvRmT3_T4_T5_mT6_P12ihipStream_tbENKUlT_T0_E_clISt17integral_constantIbLb0EESP_IbLb1EEEEDaSL_SM_EUlSL_E0_NS1_11comp_targetILNS1_3genE0ELNS1_11target_archE4294967295ELNS1_3gpuE0ELNS1_3repE0EEENS1_30default_config_static_selectorELNS0_4arch9wavefront6targetE1EEEvT1_,comdat
	.protected	_ZN7rocprim17ROCPRIM_400000_NS6detail17trampoline_kernelINS0_14default_configENS1_20scan_config_selectorIlEEZZNS1_9scan_implILNS1_25lookback_scan_determinismE0ELb0ELb0ES3_PlS8_lN6thrust23THRUST_200600_302600_NS4plusIvEElEEDaPvRmT3_T4_T5_mT6_P12ihipStream_tbENKUlT_T0_E_clISt17integral_constantIbLb0EESP_IbLb1EEEEDaSL_SM_EUlSL_E0_NS1_11comp_targetILNS1_3genE0ELNS1_11target_archE4294967295ELNS1_3gpuE0ELNS1_3repE0EEENS1_30default_config_static_selectorELNS0_4arch9wavefront6targetE1EEEvT1_ ; -- Begin function _ZN7rocprim17ROCPRIM_400000_NS6detail17trampoline_kernelINS0_14default_configENS1_20scan_config_selectorIlEEZZNS1_9scan_implILNS1_25lookback_scan_determinismE0ELb0ELb0ES3_PlS8_lN6thrust23THRUST_200600_302600_NS4plusIvEElEEDaPvRmT3_T4_T5_mT6_P12ihipStream_tbENKUlT_T0_E_clISt17integral_constantIbLb0EESP_IbLb1EEEEDaSL_SM_EUlSL_E0_NS1_11comp_targetILNS1_3genE0ELNS1_11target_archE4294967295ELNS1_3gpuE0ELNS1_3repE0EEENS1_30default_config_static_selectorELNS0_4arch9wavefront6targetE1EEEvT1_
	.globl	_ZN7rocprim17ROCPRIM_400000_NS6detail17trampoline_kernelINS0_14default_configENS1_20scan_config_selectorIlEEZZNS1_9scan_implILNS1_25lookback_scan_determinismE0ELb0ELb0ES3_PlS8_lN6thrust23THRUST_200600_302600_NS4plusIvEElEEDaPvRmT3_T4_T5_mT6_P12ihipStream_tbENKUlT_T0_E_clISt17integral_constantIbLb0EESP_IbLb1EEEEDaSL_SM_EUlSL_E0_NS1_11comp_targetILNS1_3genE0ELNS1_11target_archE4294967295ELNS1_3gpuE0ELNS1_3repE0EEENS1_30default_config_static_selectorELNS0_4arch9wavefront6targetE1EEEvT1_
	.p2align	8
	.type	_ZN7rocprim17ROCPRIM_400000_NS6detail17trampoline_kernelINS0_14default_configENS1_20scan_config_selectorIlEEZZNS1_9scan_implILNS1_25lookback_scan_determinismE0ELb0ELb0ES3_PlS8_lN6thrust23THRUST_200600_302600_NS4plusIvEElEEDaPvRmT3_T4_T5_mT6_P12ihipStream_tbENKUlT_T0_E_clISt17integral_constantIbLb0EESP_IbLb1EEEEDaSL_SM_EUlSL_E0_NS1_11comp_targetILNS1_3genE0ELNS1_11target_archE4294967295ELNS1_3gpuE0ELNS1_3repE0EEENS1_30default_config_static_selectorELNS0_4arch9wavefront6targetE1EEEvT1_,@function
_ZN7rocprim17ROCPRIM_400000_NS6detail17trampoline_kernelINS0_14default_configENS1_20scan_config_selectorIlEEZZNS1_9scan_implILNS1_25lookback_scan_determinismE0ELb0ELb0ES3_PlS8_lN6thrust23THRUST_200600_302600_NS4plusIvEElEEDaPvRmT3_T4_T5_mT6_P12ihipStream_tbENKUlT_T0_E_clISt17integral_constantIbLb0EESP_IbLb1EEEEDaSL_SM_EUlSL_E0_NS1_11comp_targetILNS1_3genE0ELNS1_11target_archE4294967295ELNS1_3gpuE0ELNS1_3repE0EEENS1_30default_config_static_selectorELNS0_4arch9wavefront6targetE1EEEvT1_: ; @_ZN7rocprim17ROCPRIM_400000_NS6detail17trampoline_kernelINS0_14default_configENS1_20scan_config_selectorIlEEZZNS1_9scan_implILNS1_25lookback_scan_determinismE0ELb0ELb0ES3_PlS8_lN6thrust23THRUST_200600_302600_NS4plusIvEElEEDaPvRmT3_T4_T5_mT6_P12ihipStream_tbENKUlT_T0_E_clISt17integral_constantIbLb0EESP_IbLb1EEEEDaSL_SM_EUlSL_E0_NS1_11comp_targetILNS1_3genE0ELNS1_11target_archE4294967295ELNS1_3gpuE0ELNS1_3repE0EEENS1_30default_config_static_selectorELNS0_4arch9wavefront6targetE1EEEvT1_
; %bb.0:
	s_load_dwordx4 s[12:15], s[0:1], 0x0
	v_lshlrev_b32_e32 v22, 3, v0
	s_waitcnt lgkmcnt(0)
	s_load_dwordx2 s[16:17], s[12:13], 0x0
	v_cmp_gt_u32_e32 vcc, s14, v0
	s_waitcnt lgkmcnt(0)
	v_mov_b64_e32 v[2:3], s[16:17]
	s_and_saveexec_b64 s[2:3], vcc
	s_cbranch_execz .LBB150_2
; %bb.1:
	global_load_dwordx2 v[2:3], v22, s[12:13]
.LBB150_2:
	s_or_b64 exec, exec, s[2:3]
	v_or_b32_e32 v1, 0x100, v0
	v_cmp_gt_u32_e64 s[10:11], s14, v1
	v_mov_b64_e32 v[4:5], s[16:17]
	s_and_saveexec_b64 s[2:3], s[10:11]
	s_cbranch_execz .LBB150_4
; %bb.3:
	global_load_dwordx2 v[4:5], v22, s[12:13] offset:2048
.LBB150_4:
	s_or_b64 exec, exec, s[2:3]
	v_or_b32_e32 v1, 0x200, v0
	v_cmp_gt_u32_e64 s[2:3], s14, v1
	v_mov_b64_e32 v[6:7], s[16:17]
	s_and_saveexec_b64 s[4:5], s[2:3]
	s_cbranch_execz .LBB150_6
; %bb.5:
	v_lshlrev_b32_e32 v1, 3, v1
	global_load_dwordx2 v[6:7], v1, s[12:13]
.LBB150_6:
	s_or_b64 exec, exec, s[4:5]
	v_or_b32_e32 v1, 0x300, v0
	v_cmp_gt_u32_e64 s[4:5], s14, v1
	v_mov_b64_e32 v[8:9], s[16:17]
	s_and_saveexec_b64 s[6:7], s[4:5]
	s_cbranch_execz .LBB150_8
; %bb.7:
	v_lshlrev_b32_e32 v1, 3, v1
	global_load_dwordx2 v[8:9], v1, s[12:13]
.LBB150_8:
	;; [unrolled: 10-line block ×4, first 2 shown]
	s_or_b64 exec, exec, s[14:15]
	v_mad_u32_u24 v1, v0, 40, v22
	s_waitcnt vmcnt(0)
	ds_write2st64_b64 v22, v[2:3], v[4:5] offset1:4
	ds_write2st64_b64 v22, v[6:7], v[8:9] offset0:8 offset1:12
	ds_write2st64_b64 v22, v[10:11], v[12:13] offset0:16 offset1:20
	s_waitcnt lgkmcnt(0)
	s_barrier
	ds_read_b128 v[2:5], v1
	ds_read_b128 v[18:21], v1 offset:16
	ds_read_b128 v[14:17], v1 offset:32
	v_mbcnt_lo_u32_b32 v1, -1, 0
	v_mov_b32_e32 v28, 0
	s_waitcnt lgkmcnt(2)
	v_lshl_add_u64 v[24:25], v[4:5], 0, v[2:3]
	s_waitcnt lgkmcnt(1)
	v_lshl_add_u64 v[10:11], v[24:25], 0, v[18:19]
	v_lshl_add_u64 v[12:13], v[10:11], 0, v[20:21]
	s_waitcnt lgkmcnt(0)
	v_lshl_add_u64 v[6:7], v[12:13], 0, v[14:15]
	v_lshl_add_u64 v[8:9], v[6:7], 0, v[16:17]
	v_mbcnt_hi_u32_b32 v1, -1, v1
	v_mov_b32_e32 v27, v28
	v_mov_b32_dpp v26, v8 row_shr:1 row_mask:0xf bank_mask:0xf
	v_and_b32_e32 v23, 15, v1
	v_mov_b32_dpp v29, v9 row_shr:1 row_mask:0xf bank_mask:0xf
	v_lshl_add_u64 v[26:27], v[8:9], 0, v[26:27]
	v_lshl_add_u64 v[28:29], v[28:29], 0, v[26:27]
	v_cmp_eq_u32_e64 s[12:13], 0, v23
	v_and_b32_e32 v32, 16, v1
	v_cmp_eq_u32_e64 s[14:15], 0, v32
	v_cndmask_b32_e64 v30, v26, v8, s[12:13]
	v_cndmask_b32_e64 v27, v29, v9, s[12:13]
	v_cndmask_b32_e64 v26, v28, v8, s[12:13]
	v_mov_b32_dpp v28, v30 row_shr:2 row_mask:0xf bank_mask:0xf
	v_mov_b32_dpp v29, v27 row_shr:2 row_mask:0xf bank_mask:0xf
	v_lshl_add_u64 v[28:29], v[28:29], 0, v[26:27]
	v_cmp_lt_u32_e64 s[12:13], 1, v23
	v_cmp_ne_u32_e64 s[16:17], 0, v1
	s_nop 0
	v_cndmask_b32_e64 v30, v30, v28, s[12:13]
	v_cndmask_b32_e64 v27, v27, v29, s[12:13]
	;; [unrolled: 1-line block ×3, first 2 shown]
	v_mov_b32_dpp v28, v30 row_shr:4 row_mask:0xf bank_mask:0xf
	v_mov_b32_dpp v29, v27 row_shr:4 row_mask:0xf bank_mask:0xf
	v_lshl_add_u64 v[28:29], v[28:29], 0, v[26:27]
	v_cmp_lt_u32_e64 s[12:13], 3, v23
	s_barrier
	s_nop 0
	v_cndmask_b32_e64 v30, v30, v28, s[12:13]
	v_cndmask_b32_e64 v27, v27, v29, s[12:13]
	v_cndmask_b32_e64 v26, v26, v28, s[12:13]
	v_mov_b32_dpp v28, v30 row_shr:8 row_mask:0xf bank_mask:0xf
	v_mov_b32_dpp v29, v27 row_shr:8 row_mask:0xf bank_mask:0xf
	v_lshl_add_u64 v[28:29], v[28:29], 0, v[26:27]
	v_cmp_lt_u32_e64 s[12:13], 7, v23
	s_nop 1
	v_cndmask_b32_e64 v23, v30, v28, s[12:13]
	v_cndmask_b32_e64 v29, v27, v29, s[12:13]
	;; [unrolled: 1-line block ×3, first 2 shown]
	v_mov_b32_dpp v26, v23 row_bcast:15 row_mask:0xf bank_mask:0xf
	v_mov_b32_dpp v27, v29 row_bcast:15 row_mask:0xf bank_mask:0xf
	v_lshl_add_u64 v[30:31], v[26:27], 0, v[28:29]
	v_cndmask_b32_e64 v26, v31, v29, s[14:15]
	v_cndmask_b32_e64 v23, v30, v23, s[14:15]
	v_cmp_eq_u32_e64 s[12:13], 0, v1
	v_mov_b32_dpp v32, v26 row_bcast:31 row_mask:0xf bank_mask:0xf
	v_mov_b32_dpp v23, v23 row_bcast:31 row_mask:0xf bank_mask:0xf
	v_mov_b64_e32 v[26:27], v[8:9]
	s_and_saveexec_b64 s[18:19], s[16:17]
; %bb.13:
	v_cndmask_b32_e64 v27, v31, v29, s[14:15]
	v_cndmask_b32_e64 v26, v30, v28, s[14:15]
	v_cmp_lt_u32_e64 s[14:15], 31, v1
	s_nop 1
	v_cndmask_b32_e64 v29, 0, v32, s[14:15]
	v_cndmask_b32_e64 v28, 0, v23, s[14:15]
	v_lshl_add_u64 v[26:27], v[28:29], 0, v[26:27]
; %bb.14:
	s_or_b64 exec, exec, s[18:19]
	v_or_b32_e32 v28, 63, v0
	v_lshrrev_b32_e32 v23, 6, v0
	v_cmp_eq_u32_e64 s[14:15], v0, v28
	s_and_saveexec_b64 s[16:17], s[14:15]
; %bb.15:
	v_lshlrev_b32_e32 v28, 3, v23
	ds_write_b64 v28, v[26:27]
; %bb.16:
	s_or_b64 exec, exec, s[16:17]
	v_cmp_gt_u32_e64 s[14:15], 4, v0
	s_waitcnt lgkmcnt(0)
	s_barrier
	s_and_saveexec_b64 s[18:19], s[14:15]
	s_cbranch_execz .LBB150_18
; %bb.17:
	ds_read_b64 v[28:29], v22
	v_mov_b32_e32 v30, 0
	v_mov_b32_e32 v33, v30
	v_and_b32_e32 v34, 3, v1
	v_cmp_eq_u32_e64 s[14:15], 0, v34
	s_waitcnt lgkmcnt(0)
	v_mov_b32_dpp v32, v28 row_shr:1 row_mask:0xf bank_mask:0xf
	v_mov_b32_dpp v31, v29 row_shr:1 row_mask:0xf bank_mask:0xf
	v_lshl_add_u64 v[32:33], v[28:29], 0, v[32:33]
	v_lshl_add_u64 v[30:31], v[30:31], 0, v[32:33]
	v_cndmask_b32_e64 v33, v31, v29, s[14:15]
	v_cndmask_b32_e64 v32, v32, v28, s[14:15]
	v_cmp_ne_u32_e64 s[16:17], 1, v34
	v_mov_b32_dpp v33, v33 row_shr:2 row_mask:0xf bank_mask:0xf
	v_mov_b32_dpp v32, v32 row_shr:2 row_mask:0xf bank_mask:0xf
	v_cndmask_b32_e64 v32, 0, v32, s[16:17]
	v_cndmask_b32_e64 v33, 0, v33, s[16:17]
	v_lshl_add_u64 v[30:31], v[32:33], 0, v[30:31]
	v_cndmask_b32_e64 v29, v31, v29, s[14:15]
	v_cndmask_b32_e64 v28, v30, v28, s[14:15]
	ds_write_b64 v22, v[28:29]
.LBB150_18:
	s_or_b64 exec, exec, s[18:19]
	v_cmp_lt_u32_e64 s[14:15], 63, v0
	s_waitcnt lgkmcnt(0)
	s_barrier
                                        ; implicit-def: $vgpr28_vgpr29
	s_and_saveexec_b64 s[16:17], s[14:15]
	s_cbranch_execz .LBB150_20
; %bb.19:
	v_lshl_add_u32 v23, v23, 3, -8
	ds_read_b64 v[28:29], v23
	s_waitcnt lgkmcnt(0)
	v_lshl_add_u64 v[26:27], v[28:29], 0, v[26:27]
.LBB150_20:
	s_or_b64 exec, exec, s[16:17]
	v_add_u32_e32 v23, -1, v1
	v_and_b32_e32 v30, 64, v1
	s_load_dwordx2 s[14:15], s[0:1], 0x20
	v_cmp_lt_i32_e64 s[0:1], v23, v30
	s_nop 1
	v_cndmask_b32_e64 v1, v23, v1, s[0:1]
	v_lshlrev_b32_e32 v1, 2, v1
	ds_bpermute_b32 v23, v1, v26
	ds_bpermute_b32 v26, v1, v27
	v_mul_u32_u24_e32 v1, 40, v0
	v_cmp_ne_u32_e64 s[0:1], 0, v0
	s_and_saveexec_b64 s[16:17], s[0:1]
	s_cbranch_execz .LBB150_22
; %bb.21:
	s_waitcnt lgkmcnt(0)
	v_cndmask_b32_e64 v7, v26, v29, s[12:13]
	v_cndmask_b32_e64 v6, v23, v28, s[12:13]
	v_lshl_add_u64 v[2:3], v[6:7], 0, v[2:3]
	v_lshl_add_u64 v[24:25], v[2:3], 0, v[4:5]
	;; [unrolled: 1-line block ×6, first 2 shown]
	;;#ASMSTART
	;;#ASMEND
.LBB150_22:
	s_or_b64 exec, exec, s[16:17]
	v_add_u32_e32 v0, v22, v1
	v_mov_b32_e32 v4, v24
	v_mov_b32_e32 v5, v25
	s_waitcnt lgkmcnt(0)
	s_barrier
	ds_write_b128 v0, v[2:5]
	ds_write_b128 v0, v[10:13] offset:16
	ds_write_b128 v0, v[6:9] offset:32
	s_waitcnt lgkmcnt(0)
	s_barrier
	ds_read2st64_b64 v[4:7], v22 offset0:4 offset1:8
	ds_read2st64_b64 v[0:3], v22 offset0:12 offset1:16
	ds_read_b64 v[8:9], v22 offset:10240
	v_mov_b32_e32 v23, 0
	v_lshl_add_u64 v[10:11], s[14:15], 0, v[22:23]
	s_and_saveexec_b64 s[0:1], vcc
	s_cbranch_execnz .LBB150_29
; %bb.23:
	s_or_b64 exec, exec, s[0:1]
	s_and_saveexec_b64 s[0:1], s[10:11]
	s_cbranch_execnz .LBB150_30
.LBB150_24:
	s_or_b64 exec, exec, s[0:1]
	s_and_saveexec_b64 s[0:1], s[2:3]
	s_cbranch_execnz .LBB150_31
.LBB150_25:
	s_or_b64 exec, exec, s[0:1]
	s_and_saveexec_b64 s[0:1], s[4:5]
	s_cbranch_execnz .LBB150_32
.LBB150_26:
	s_or_b64 exec, exec, s[0:1]
	s_and_saveexec_b64 s[0:1], s[6:7]
	s_cbranch_execnz .LBB150_33
.LBB150_27:
	s_or_b64 exec, exec, s[0:1]
	s_and_saveexec_b64 s[0:1], s[8:9]
	s_cbranch_execnz .LBB150_34
.LBB150_28:
	s_endpgm
.LBB150_29:
	ds_read_b64 v[12:13], v22
	s_waitcnt lgkmcnt(0)
	global_store_dwordx2 v[10:11], v[12:13], off
	s_or_b64 exec, exec, s[0:1]
	s_and_saveexec_b64 s[0:1], s[10:11]
	s_cbranch_execz .LBB150_24
.LBB150_30:
	s_waitcnt lgkmcnt(2)
	global_store_dwordx2 v[10:11], v[4:5], off offset:2048
	s_or_b64 exec, exec, s[0:1]
	s_and_saveexec_b64 s[0:1], s[2:3]
	s_cbranch_execz .LBB150_25
.LBB150_31:
	s_waitcnt lgkmcnt(2)
	v_add_co_u32_e32 v4, vcc, 0x1000, v10
	s_nop 1
	v_addc_co_u32_e32 v5, vcc, 0, v11, vcc
	global_store_dwordx2 v[4:5], v[6:7], off
	s_or_b64 exec, exec, s[0:1]
	s_and_saveexec_b64 s[0:1], s[4:5]
	s_cbranch_execz .LBB150_26
.LBB150_32:
	s_waitcnt lgkmcnt(2)
	v_add_co_u32_e32 v4, vcc, 0x1000, v10
	s_nop 1
	v_addc_co_u32_e32 v5, vcc, 0, v11, vcc
	s_waitcnt lgkmcnt(1)
	global_store_dwordx2 v[4:5], v[0:1], off offset:2048
	s_or_b64 exec, exec, s[0:1]
	s_and_saveexec_b64 s[0:1], s[6:7]
	s_cbranch_execz .LBB150_27
.LBB150_33:
	s_waitcnt lgkmcnt(1)
	v_add_co_u32_e32 v0, vcc, 0x2000, v10
	s_nop 1
	v_addc_co_u32_e32 v1, vcc, 0, v11, vcc
	global_store_dwordx2 v[0:1], v[2:3], off
	s_or_b64 exec, exec, s[0:1]
	s_and_saveexec_b64 s[0:1], s[8:9]
	s_cbranch_execz .LBB150_28
.LBB150_34:
	s_waitcnt lgkmcnt(1)
	v_add_co_u32_e32 v0, vcc, 0x2000, v10
	s_nop 1
	v_addc_co_u32_e32 v1, vcc, 0, v11, vcc
	s_waitcnt lgkmcnt(0)
	global_store_dwordx2 v[0:1], v[8:9], off offset:2048
	s_endpgm
	.section	.rodata,"a",@progbits
	.p2align	6, 0x0
	.amdhsa_kernel _ZN7rocprim17ROCPRIM_400000_NS6detail17trampoline_kernelINS0_14default_configENS1_20scan_config_selectorIlEEZZNS1_9scan_implILNS1_25lookback_scan_determinismE0ELb0ELb0ES3_PlS8_lN6thrust23THRUST_200600_302600_NS4plusIvEElEEDaPvRmT3_T4_T5_mT6_P12ihipStream_tbENKUlT_T0_E_clISt17integral_constantIbLb0EESP_IbLb1EEEEDaSL_SM_EUlSL_E0_NS1_11comp_targetILNS1_3genE0ELNS1_11target_archE4294967295ELNS1_3gpuE0ELNS1_3repE0EEENS1_30default_config_static_selectorELNS0_4arch9wavefront6targetE1EEEvT1_
		.amdhsa_group_segment_fixed_size 12288
		.amdhsa_private_segment_fixed_size 0
		.amdhsa_kernarg_size 40
		.amdhsa_user_sgpr_count 2
		.amdhsa_user_sgpr_dispatch_ptr 0
		.amdhsa_user_sgpr_queue_ptr 0
		.amdhsa_user_sgpr_kernarg_segment_ptr 1
		.amdhsa_user_sgpr_dispatch_id 0
		.amdhsa_user_sgpr_kernarg_preload_length 0
		.amdhsa_user_sgpr_kernarg_preload_offset 0
		.amdhsa_user_sgpr_private_segment_size 0
		.amdhsa_uses_dynamic_stack 0
		.amdhsa_enable_private_segment 0
		.amdhsa_system_sgpr_workgroup_id_x 1
		.amdhsa_system_sgpr_workgroup_id_y 0
		.amdhsa_system_sgpr_workgroup_id_z 0
		.amdhsa_system_sgpr_workgroup_info 0
		.amdhsa_system_vgpr_workitem_id 0
		.amdhsa_next_free_vgpr 35
		.amdhsa_next_free_sgpr 20
		.amdhsa_accum_offset 36
		.amdhsa_reserve_vcc 1
		.amdhsa_float_round_mode_32 0
		.amdhsa_float_round_mode_16_64 0
		.amdhsa_float_denorm_mode_32 3
		.amdhsa_float_denorm_mode_16_64 3
		.amdhsa_dx10_clamp 1
		.amdhsa_ieee_mode 1
		.amdhsa_fp16_overflow 0
		.amdhsa_tg_split 0
		.amdhsa_exception_fp_ieee_invalid_op 0
		.amdhsa_exception_fp_denorm_src 0
		.amdhsa_exception_fp_ieee_div_zero 0
		.amdhsa_exception_fp_ieee_overflow 0
		.amdhsa_exception_fp_ieee_underflow 0
		.amdhsa_exception_fp_ieee_inexact 0
		.amdhsa_exception_int_div_zero 0
	.end_amdhsa_kernel
	.section	.text._ZN7rocprim17ROCPRIM_400000_NS6detail17trampoline_kernelINS0_14default_configENS1_20scan_config_selectorIlEEZZNS1_9scan_implILNS1_25lookback_scan_determinismE0ELb0ELb0ES3_PlS8_lN6thrust23THRUST_200600_302600_NS4plusIvEElEEDaPvRmT3_T4_T5_mT6_P12ihipStream_tbENKUlT_T0_E_clISt17integral_constantIbLb0EESP_IbLb1EEEEDaSL_SM_EUlSL_E0_NS1_11comp_targetILNS1_3genE0ELNS1_11target_archE4294967295ELNS1_3gpuE0ELNS1_3repE0EEENS1_30default_config_static_selectorELNS0_4arch9wavefront6targetE1EEEvT1_,"axG",@progbits,_ZN7rocprim17ROCPRIM_400000_NS6detail17trampoline_kernelINS0_14default_configENS1_20scan_config_selectorIlEEZZNS1_9scan_implILNS1_25lookback_scan_determinismE0ELb0ELb0ES3_PlS8_lN6thrust23THRUST_200600_302600_NS4plusIvEElEEDaPvRmT3_T4_T5_mT6_P12ihipStream_tbENKUlT_T0_E_clISt17integral_constantIbLb0EESP_IbLb1EEEEDaSL_SM_EUlSL_E0_NS1_11comp_targetILNS1_3genE0ELNS1_11target_archE4294967295ELNS1_3gpuE0ELNS1_3repE0EEENS1_30default_config_static_selectorELNS0_4arch9wavefront6targetE1EEEvT1_,comdat
.Lfunc_end150:
	.size	_ZN7rocprim17ROCPRIM_400000_NS6detail17trampoline_kernelINS0_14default_configENS1_20scan_config_selectorIlEEZZNS1_9scan_implILNS1_25lookback_scan_determinismE0ELb0ELb0ES3_PlS8_lN6thrust23THRUST_200600_302600_NS4plusIvEElEEDaPvRmT3_T4_T5_mT6_P12ihipStream_tbENKUlT_T0_E_clISt17integral_constantIbLb0EESP_IbLb1EEEEDaSL_SM_EUlSL_E0_NS1_11comp_targetILNS1_3genE0ELNS1_11target_archE4294967295ELNS1_3gpuE0ELNS1_3repE0EEENS1_30default_config_static_selectorELNS0_4arch9wavefront6targetE1EEEvT1_, .Lfunc_end150-_ZN7rocprim17ROCPRIM_400000_NS6detail17trampoline_kernelINS0_14default_configENS1_20scan_config_selectorIlEEZZNS1_9scan_implILNS1_25lookback_scan_determinismE0ELb0ELb0ES3_PlS8_lN6thrust23THRUST_200600_302600_NS4plusIvEElEEDaPvRmT3_T4_T5_mT6_P12ihipStream_tbENKUlT_T0_E_clISt17integral_constantIbLb0EESP_IbLb1EEEEDaSL_SM_EUlSL_E0_NS1_11comp_targetILNS1_3genE0ELNS1_11target_archE4294967295ELNS1_3gpuE0ELNS1_3repE0EEENS1_30default_config_static_selectorELNS0_4arch9wavefront6targetE1EEEvT1_
                                        ; -- End function
	.set _ZN7rocprim17ROCPRIM_400000_NS6detail17trampoline_kernelINS0_14default_configENS1_20scan_config_selectorIlEEZZNS1_9scan_implILNS1_25lookback_scan_determinismE0ELb0ELb0ES3_PlS8_lN6thrust23THRUST_200600_302600_NS4plusIvEElEEDaPvRmT3_T4_T5_mT6_P12ihipStream_tbENKUlT_T0_E_clISt17integral_constantIbLb0EESP_IbLb1EEEEDaSL_SM_EUlSL_E0_NS1_11comp_targetILNS1_3genE0ELNS1_11target_archE4294967295ELNS1_3gpuE0ELNS1_3repE0EEENS1_30default_config_static_selectorELNS0_4arch9wavefront6targetE1EEEvT1_.num_vgpr, 35
	.set _ZN7rocprim17ROCPRIM_400000_NS6detail17trampoline_kernelINS0_14default_configENS1_20scan_config_selectorIlEEZZNS1_9scan_implILNS1_25lookback_scan_determinismE0ELb0ELb0ES3_PlS8_lN6thrust23THRUST_200600_302600_NS4plusIvEElEEDaPvRmT3_T4_T5_mT6_P12ihipStream_tbENKUlT_T0_E_clISt17integral_constantIbLb0EESP_IbLb1EEEEDaSL_SM_EUlSL_E0_NS1_11comp_targetILNS1_3genE0ELNS1_11target_archE4294967295ELNS1_3gpuE0ELNS1_3repE0EEENS1_30default_config_static_selectorELNS0_4arch9wavefront6targetE1EEEvT1_.num_agpr, 0
	.set _ZN7rocprim17ROCPRIM_400000_NS6detail17trampoline_kernelINS0_14default_configENS1_20scan_config_selectorIlEEZZNS1_9scan_implILNS1_25lookback_scan_determinismE0ELb0ELb0ES3_PlS8_lN6thrust23THRUST_200600_302600_NS4plusIvEElEEDaPvRmT3_T4_T5_mT6_P12ihipStream_tbENKUlT_T0_E_clISt17integral_constantIbLb0EESP_IbLb1EEEEDaSL_SM_EUlSL_E0_NS1_11comp_targetILNS1_3genE0ELNS1_11target_archE4294967295ELNS1_3gpuE0ELNS1_3repE0EEENS1_30default_config_static_selectorELNS0_4arch9wavefront6targetE1EEEvT1_.numbered_sgpr, 20
	.set _ZN7rocprim17ROCPRIM_400000_NS6detail17trampoline_kernelINS0_14default_configENS1_20scan_config_selectorIlEEZZNS1_9scan_implILNS1_25lookback_scan_determinismE0ELb0ELb0ES3_PlS8_lN6thrust23THRUST_200600_302600_NS4plusIvEElEEDaPvRmT3_T4_T5_mT6_P12ihipStream_tbENKUlT_T0_E_clISt17integral_constantIbLb0EESP_IbLb1EEEEDaSL_SM_EUlSL_E0_NS1_11comp_targetILNS1_3genE0ELNS1_11target_archE4294967295ELNS1_3gpuE0ELNS1_3repE0EEENS1_30default_config_static_selectorELNS0_4arch9wavefront6targetE1EEEvT1_.num_named_barrier, 0
	.set _ZN7rocprim17ROCPRIM_400000_NS6detail17trampoline_kernelINS0_14default_configENS1_20scan_config_selectorIlEEZZNS1_9scan_implILNS1_25lookback_scan_determinismE0ELb0ELb0ES3_PlS8_lN6thrust23THRUST_200600_302600_NS4plusIvEElEEDaPvRmT3_T4_T5_mT6_P12ihipStream_tbENKUlT_T0_E_clISt17integral_constantIbLb0EESP_IbLb1EEEEDaSL_SM_EUlSL_E0_NS1_11comp_targetILNS1_3genE0ELNS1_11target_archE4294967295ELNS1_3gpuE0ELNS1_3repE0EEENS1_30default_config_static_selectorELNS0_4arch9wavefront6targetE1EEEvT1_.private_seg_size, 0
	.set _ZN7rocprim17ROCPRIM_400000_NS6detail17trampoline_kernelINS0_14default_configENS1_20scan_config_selectorIlEEZZNS1_9scan_implILNS1_25lookback_scan_determinismE0ELb0ELb0ES3_PlS8_lN6thrust23THRUST_200600_302600_NS4plusIvEElEEDaPvRmT3_T4_T5_mT6_P12ihipStream_tbENKUlT_T0_E_clISt17integral_constantIbLb0EESP_IbLb1EEEEDaSL_SM_EUlSL_E0_NS1_11comp_targetILNS1_3genE0ELNS1_11target_archE4294967295ELNS1_3gpuE0ELNS1_3repE0EEENS1_30default_config_static_selectorELNS0_4arch9wavefront6targetE1EEEvT1_.uses_vcc, 1
	.set _ZN7rocprim17ROCPRIM_400000_NS6detail17trampoline_kernelINS0_14default_configENS1_20scan_config_selectorIlEEZZNS1_9scan_implILNS1_25lookback_scan_determinismE0ELb0ELb0ES3_PlS8_lN6thrust23THRUST_200600_302600_NS4plusIvEElEEDaPvRmT3_T4_T5_mT6_P12ihipStream_tbENKUlT_T0_E_clISt17integral_constantIbLb0EESP_IbLb1EEEEDaSL_SM_EUlSL_E0_NS1_11comp_targetILNS1_3genE0ELNS1_11target_archE4294967295ELNS1_3gpuE0ELNS1_3repE0EEENS1_30default_config_static_selectorELNS0_4arch9wavefront6targetE1EEEvT1_.uses_flat_scratch, 0
	.set _ZN7rocprim17ROCPRIM_400000_NS6detail17trampoline_kernelINS0_14default_configENS1_20scan_config_selectorIlEEZZNS1_9scan_implILNS1_25lookback_scan_determinismE0ELb0ELb0ES3_PlS8_lN6thrust23THRUST_200600_302600_NS4plusIvEElEEDaPvRmT3_T4_T5_mT6_P12ihipStream_tbENKUlT_T0_E_clISt17integral_constantIbLb0EESP_IbLb1EEEEDaSL_SM_EUlSL_E0_NS1_11comp_targetILNS1_3genE0ELNS1_11target_archE4294967295ELNS1_3gpuE0ELNS1_3repE0EEENS1_30default_config_static_selectorELNS0_4arch9wavefront6targetE1EEEvT1_.has_dyn_sized_stack, 0
	.set _ZN7rocprim17ROCPRIM_400000_NS6detail17trampoline_kernelINS0_14default_configENS1_20scan_config_selectorIlEEZZNS1_9scan_implILNS1_25lookback_scan_determinismE0ELb0ELb0ES3_PlS8_lN6thrust23THRUST_200600_302600_NS4plusIvEElEEDaPvRmT3_T4_T5_mT6_P12ihipStream_tbENKUlT_T0_E_clISt17integral_constantIbLb0EESP_IbLb1EEEEDaSL_SM_EUlSL_E0_NS1_11comp_targetILNS1_3genE0ELNS1_11target_archE4294967295ELNS1_3gpuE0ELNS1_3repE0EEENS1_30default_config_static_selectorELNS0_4arch9wavefront6targetE1EEEvT1_.has_recursion, 0
	.set _ZN7rocprim17ROCPRIM_400000_NS6detail17trampoline_kernelINS0_14default_configENS1_20scan_config_selectorIlEEZZNS1_9scan_implILNS1_25lookback_scan_determinismE0ELb0ELb0ES3_PlS8_lN6thrust23THRUST_200600_302600_NS4plusIvEElEEDaPvRmT3_T4_T5_mT6_P12ihipStream_tbENKUlT_T0_E_clISt17integral_constantIbLb0EESP_IbLb1EEEEDaSL_SM_EUlSL_E0_NS1_11comp_targetILNS1_3genE0ELNS1_11target_archE4294967295ELNS1_3gpuE0ELNS1_3repE0EEENS1_30default_config_static_selectorELNS0_4arch9wavefront6targetE1EEEvT1_.has_indirect_call, 0
	.section	.AMDGPU.csdata,"",@progbits
; Kernel info:
; codeLenInByte = 1612
; TotalNumSgprs: 26
; NumVgprs: 35
; NumAgprs: 0
; TotalNumVgprs: 35
; ScratchSize: 0
; MemoryBound: 0
; FloatMode: 240
; IeeeMode: 1
; LDSByteSize: 12288 bytes/workgroup (compile time only)
; SGPRBlocks: 3
; VGPRBlocks: 4
; NumSGPRsForWavesPerEU: 26
; NumVGPRsForWavesPerEU: 35
; AccumOffset: 36
; Occupancy: 8
; WaveLimiterHint : 0
; COMPUTE_PGM_RSRC2:SCRATCH_EN: 0
; COMPUTE_PGM_RSRC2:USER_SGPR: 2
; COMPUTE_PGM_RSRC2:TRAP_HANDLER: 0
; COMPUTE_PGM_RSRC2:TGID_X_EN: 1
; COMPUTE_PGM_RSRC2:TGID_Y_EN: 0
; COMPUTE_PGM_RSRC2:TGID_Z_EN: 0
; COMPUTE_PGM_RSRC2:TIDIG_COMP_CNT: 0
; COMPUTE_PGM_RSRC3_GFX90A:ACCUM_OFFSET: 8
; COMPUTE_PGM_RSRC3_GFX90A:TG_SPLIT: 0
	.section	.text._ZN7rocprim17ROCPRIM_400000_NS6detail17trampoline_kernelINS0_14default_configENS1_20scan_config_selectorIlEEZZNS1_9scan_implILNS1_25lookback_scan_determinismE0ELb0ELb0ES3_PlS8_lN6thrust23THRUST_200600_302600_NS4plusIvEElEEDaPvRmT3_T4_T5_mT6_P12ihipStream_tbENKUlT_T0_E_clISt17integral_constantIbLb0EESP_IbLb1EEEEDaSL_SM_EUlSL_E0_NS1_11comp_targetILNS1_3genE5ELNS1_11target_archE942ELNS1_3gpuE9ELNS1_3repE0EEENS1_30default_config_static_selectorELNS0_4arch9wavefront6targetE1EEEvT1_,"axG",@progbits,_ZN7rocprim17ROCPRIM_400000_NS6detail17trampoline_kernelINS0_14default_configENS1_20scan_config_selectorIlEEZZNS1_9scan_implILNS1_25lookback_scan_determinismE0ELb0ELb0ES3_PlS8_lN6thrust23THRUST_200600_302600_NS4plusIvEElEEDaPvRmT3_T4_T5_mT6_P12ihipStream_tbENKUlT_T0_E_clISt17integral_constantIbLb0EESP_IbLb1EEEEDaSL_SM_EUlSL_E0_NS1_11comp_targetILNS1_3genE5ELNS1_11target_archE942ELNS1_3gpuE9ELNS1_3repE0EEENS1_30default_config_static_selectorELNS0_4arch9wavefront6targetE1EEEvT1_,comdat
	.protected	_ZN7rocprim17ROCPRIM_400000_NS6detail17trampoline_kernelINS0_14default_configENS1_20scan_config_selectorIlEEZZNS1_9scan_implILNS1_25lookback_scan_determinismE0ELb0ELb0ES3_PlS8_lN6thrust23THRUST_200600_302600_NS4plusIvEElEEDaPvRmT3_T4_T5_mT6_P12ihipStream_tbENKUlT_T0_E_clISt17integral_constantIbLb0EESP_IbLb1EEEEDaSL_SM_EUlSL_E0_NS1_11comp_targetILNS1_3genE5ELNS1_11target_archE942ELNS1_3gpuE9ELNS1_3repE0EEENS1_30default_config_static_selectorELNS0_4arch9wavefront6targetE1EEEvT1_ ; -- Begin function _ZN7rocprim17ROCPRIM_400000_NS6detail17trampoline_kernelINS0_14default_configENS1_20scan_config_selectorIlEEZZNS1_9scan_implILNS1_25lookback_scan_determinismE0ELb0ELb0ES3_PlS8_lN6thrust23THRUST_200600_302600_NS4plusIvEElEEDaPvRmT3_T4_T5_mT6_P12ihipStream_tbENKUlT_T0_E_clISt17integral_constantIbLb0EESP_IbLb1EEEEDaSL_SM_EUlSL_E0_NS1_11comp_targetILNS1_3genE5ELNS1_11target_archE942ELNS1_3gpuE9ELNS1_3repE0EEENS1_30default_config_static_selectorELNS0_4arch9wavefront6targetE1EEEvT1_
	.globl	_ZN7rocprim17ROCPRIM_400000_NS6detail17trampoline_kernelINS0_14default_configENS1_20scan_config_selectorIlEEZZNS1_9scan_implILNS1_25lookback_scan_determinismE0ELb0ELb0ES3_PlS8_lN6thrust23THRUST_200600_302600_NS4plusIvEElEEDaPvRmT3_T4_T5_mT6_P12ihipStream_tbENKUlT_T0_E_clISt17integral_constantIbLb0EESP_IbLb1EEEEDaSL_SM_EUlSL_E0_NS1_11comp_targetILNS1_3genE5ELNS1_11target_archE942ELNS1_3gpuE9ELNS1_3repE0EEENS1_30default_config_static_selectorELNS0_4arch9wavefront6targetE1EEEvT1_
	.p2align	8
	.type	_ZN7rocprim17ROCPRIM_400000_NS6detail17trampoline_kernelINS0_14default_configENS1_20scan_config_selectorIlEEZZNS1_9scan_implILNS1_25lookback_scan_determinismE0ELb0ELb0ES3_PlS8_lN6thrust23THRUST_200600_302600_NS4plusIvEElEEDaPvRmT3_T4_T5_mT6_P12ihipStream_tbENKUlT_T0_E_clISt17integral_constantIbLb0EESP_IbLb1EEEEDaSL_SM_EUlSL_E0_NS1_11comp_targetILNS1_3genE5ELNS1_11target_archE942ELNS1_3gpuE9ELNS1_3repE0EEENS1_30default_config_static_selectorELNS0_4arch9wavefront6targetE1EEEvT1_,@function
_ZN7rocprim17ROCPRIM_400000_NS6detail17trampoline_kernelINS0_14default_configENS1_20scan_config_selectorIlEEZZNS1_9scan_implILNS1_25lookback_scan_determinismE0ELb0ELb0ES3_PlS8_lN6thrust23THRUST_200600_302600_NS4plusIvEElEEDaPvRmT3_T4_T5_mT6_P12ihipStream_tbENKUlT_T0_E_clISt17integral_constantIbLb0EESP_IbLb1EEEEDaSL_SM_EUlSL_E0_NS1_11comp_targetILNS1_3genE5ELNS1_11target_archE942ELNS1_3gpuE9ELNS1_3repE0EEENS1_30default_config_static_selectorELNS0_4arch9wavefront6targetE1EEEvT1_: ; @_ZN7rocprim17ROCPRIM_400000_NS6detail17trampoline_kernelINS0_14default_configENS1_20scan_config_selectorIlEEZZNS1_9scan_implILNS1_25lookback_scan_determinismE0ELb0ELb0ES3_PlS8_lN6thrust23THRUST_200600_302600_NS4plusIvEElEEDaPvRmT3_T4_T5_mT6_P12ihipStream_tbENKUlT_T0_E_clISt17integral_constantIbLb0EESP_IbLb1EEEEDaSL_SM_EUlSL_E0_NS1_11comp_targetILNS1_3genE5ELNS1_11target_archE942ELNS1_3gpuE9ELNS1_3repE0EEENS1_30default_config_static_selectorELNS0_4arch9wavefront6targetE1EEEvT1_
; %bb.0:
	.section	.rodata,"a",@progbits
	.p2align	6, 0x0
	.amdhsa_kernel _ZN7rocprim17ROCPRIM_400000_NS6detail17trampoline_kernelINS0_14default_configENS1_20scan_config_selectorIlEEZZNS1_9scan_implILNS1_25lookback_scan_determinismE0ELb0ELb0ES3_PlS8_lN6thrust23THRUST_200600_302600_NS4plusIvEElEEDaPvRmT3_T4_T5_mT6_P12ihipStream_tbENKUlT_T0_E_clISt17integral_constantIbLb0EESP_IbLb1EEEEDaSL_SM_EUlSL_E0_NS1_11comp_targetILNS1_3genE5ELNS1_11target_archE942ELNS1_3gpuE9ELNS1_3repE0EEENS1_30default_config_static_selectorELNS0_4arch9wavefront6targetE1EEEvT1_
		.amdhsa_group_segment_fixed_size 0
		.amdhsa_private_segment_fixed_size 0
		.amdhsa_kernarg_size 40
		.amdhsa_user_sgpr_count 2
		.amdhsa_user_sgpr_dispatch_ptr 0
		.amdhsa_user_sgpr_queue_ptr 0
		.amdhsa_user_sgpr_kernarg_segment_ptr 1
		.amdhsa_user_sgpr_dispatch_id 0
		.amdhsa_user_sgpr_kernarg_preload_length 0
		.amdhsa_user_sgpr_kernarg_preload_offset 0
		.amdhsa_user_sgpr_private_segment_size 0
		.amdhsa_uses_dynamic_stack 0
		.amdhsa_enable_private_segment 0
		.amdhsa_system_sgpr_workgroup_id_x 1
		.amdhsa_system_sgpr_workgroup_id_y 0
		.amdhsa_system_sgpr_workgroup_id_z 0
		.amdhsa_system_sgpr_workgroup_info 0
		.amdhsa_system_vgpr_workitem_id 0
		.amdhsa_next_free_vgpr 1
		.amdhsa_next_free_sgpr 0
		.amdhsa_accum_offset 4
		.amdhsa_reserve_vcc 0
		.amdhsa_float_round_mode_32 0
		.amdhsa_float_round_mode_16_64 0
		.amdhsa_float_denorm_mode_32 3
		.amdhsa_float_denorm_mode_16_64 3
		.amdhsa_dx10_clamp 1
		.amdhsa_ieee_mode 1
		.amdhsa_fp16_overflow 0
		.amdhsa_tg_split 0
		.amdhsa_exception_fp_ieee_invalid_op 0
		.amdhsa_exception_fp_denorm_src 0
		.amdhsa_exception_fp_ieee_div_zero 0
		.amdhsa_exception_fp_ieee_overflow 0
		.amdhsa_exception_fp_ieee_underflow 0
		.amdhsa_exception_fp_ieee_inexact 0
		.amdhsa_exception_int_div_zero 0
	.end_amdhsa_kernel
	.section	.text._ZN7rocprim17ROCPRIM_400000_NS6detail17trampoline_kernelINS0_14default_configENS1_20scan_config_selectorIlEEZZNS1_9scan_implILNS1_25lookback_scan_determinismE0ELb0ELb0ES3_PlS8_lN6thrust23THRUST_200600_302600_NS4plusIvEElEEDaPvRmT3_T4_T5_mT6_P12ihipStream_tbENKUlT_T0_E_clISt17integral_constantIbLb0EESP_IbLb1EEEEDaSL_SM_EUlSL_E0_NS1_11comp_targetILNS1_3genE5ELNS1_11target_archE942ELNS1_3gpuE9ELNS1_3repE0EEENS1_30default_config_static_selectorELNS0_4arch9wavefront6targetE1EEEvT1_,"axG",@progbits,_ZN7rocprim17ROCPRIM_400000_NS6detail17trampoline_kernelINS0_14default_configENS1_20scan_config_selectorIlEEZZNS1_9scan_implILNS1_25lookback_scan_determinismE0ELb0ELb0ES3_PlS8_lN6thrust23THRUST_200600_302600_NS4plusIvEElEEDaPvRmT3_T4_T5_mT6_P12ihipStream_tbENKUlT_T0_E_clISt17integral_constantIbLb0EESP_IbLb1EEEEDaSL_SM_EUlSL_E0_NS1_11comp_targetILNS1_3genE5ELNS1_11target_archE942ELNS1_3gpuE9ELNS1_3repE0EEENS1_30default_config_static_selectorELNS0_4arch9wavefront6targetE1EEEvT1_,comdat
.Lfunc_end151:
	.size	_ZN7rocprim17ROCPRIM_400000_NS6detail17trampoline_kernelINS0_14default_configENS1_20scan_config_selectorIlEEZZNS1_9scan_implILNS1_25lookback_scan_determinismE0ELb0ELb0ES3_PlS8_lN6thrust23THRUST_200600_302600_NS4plusIvEElEEDaPvRmT3_T4_T5_mT6_P12ihipStream_tbENKUlT_T0_E_clISt17integral_constantIbLb0EESP_IbLb1EEEEDaSL_SM_EUlSL_E0_NS1_11comp_targetILNS1_3genE5ELNS1_11target_archE942ELNS1_3gpuE9ELNS1_3repE0EEENS1_30default_config_static_selectorELNS0_4arch9wavefront6targetE1EEEvT1_, .Lfunc_end151-_ZN7rocprim17ROCPRIM_400000_NS6detail17trampoline_kernelINS0_14default_configENS1_20scan_config_selectorIlEEZZNS1_9scan_implILNS1_25lookback_scan_determinismE0ELb0ELb0ES3_PlS8_lN6thrust23THRUST_200600_302600_NS4plusIvEElEEDaPvRmT3_T4_T5_mT6_P12ihipStream_tbENKUlT_T0_E_clISt17integral_constantIbLb0EESP_IbLb1EEEEDaSL_SM_EUlSL_E0_NS1_11comp_targetILNS1_3genE5ELNS1_11target_archE942ELNS1_3gpuE9ELNS1_3repE0EEENS1_30default_config_static_selectorELNS0_4arch9wavefront6targetE1EEEvT1_
                                        ; -- End function
	.set _ZN7rocprim17ROCPRIM_400000_NS6detail17trampoline_kernelINS0_14default_configENS1_20scan_config_selectorIlEEZZNS1_9scan_implILNS1_25lookback_scan_determinismE0ELb0ELb0ES3_PlS8_lN6thrust23THRUST_200600_302600_NS4plusIvEElEEDaPvRmT3_T4_T5_mT6_P12ihipStream_tbENKUlT_T0_E_clISt17integral_constantIbLb0EESP_IbLb1EEEEDaSL_SM_EUlSL_E0_NS1_11comp_targetILNS1_3genE5ELNS1_11target_archE942ELNS1_3gpuE9ELNS1_3repE0EEENS1_30default_config_static_selectorELNS0_4arch9wavefront6targetE1EEEvT1_.num_vgpr, 0
	.set _ZN7rocprim17ROCPRIM_400000_NS6detail17trampoline_kernelINS0_14default_configENS1_20scan_config_selectorIlEEZZNS1_9scan_implILNS1_25lookback_scan_determinismE0ELb0ELb0ES3_PlS8_lN6thrust23THRUST_200600_302600_NS4plusIvEElEEDaPvRmT3_T4_T5_mT6_P12ihipStream_tbENKUlT_T0_E_clISt17integral_constantIbLb0EESP_IbLb1EEEEDaSL_SM_EUlSL_E0_NS1_11comp_targetILNS1_3genE5ELNS1_11target_archE942ELNS1_3gpuE9ELNS1_3repE0EEENS1_30default_config_static_selectorELNS0_4arch9wavefront6targetE1EEEvT1_.num_agpr, 0
	.set _ZN7rocprim17ROCPRIM_400000_NS6detail17trampoline_kernelINS0_14default_configENS1_20scan_config_selectorIlEEZZNS1_9scan_implILNS1_25lookback_scan_determinismE0ELb0ELb0ES3_PlS8_lN6thrust23THRUST_200600_302600_NS4plusIvEElEEDaPvRmT3_T4_T5_mT6_P12ihipStream_tbENKUlT_T0_E_clISt17integral_constantIbLb0EESP_IbLb1EEEEDaSL_SM_EUlSL_E0_NS1_11comp_targetILNS1_3genE5ELNS1_11target_archE942ELNS1_3gpuE9ELNS1_3repE0EEENS1_30default_config_static_selectorELNS0_4arch9wavefront6targetE1EEEvT1_.numbered_sgpr, 0
	.set _ZN7rocprim17ROCPRIM_400000_NS6detail17trampoline_kernelINS0_14default_configENS1_20scan_config_selectorIlEEZZNS1_9scan_implILNS1_25lookback_scan_determinismE0ELb0ELb0ES3_PlS8_lN6thrust23THRUST_200600_302600_NS4plusIvEElEEDaPvRmT3_T4_T5_mT6_P12ihipStream_tbENKUlT_T0_E_clISt17integral_constantIbLb0EESP_IbLb1EEEEDaSL_SM_EUlSL_E0_NS1_11comp_targetILNS1_3genE5ELNS1_11target_archE942ELNS1_3gpuE9ELNS1_3repE0EEENS1_30default_config_static_selectorELNS0_4arch9wavefront6targetE1EEEvT1_.num_named_barrier, 0
	.set _ZN7rocprim17ROCPRIM_400000_NS6detail17trampoline_kernelINS0_14default_configENS1_20scan_config_selectorIlEEZZNS1_9scan_implILNS1_25lookback_scan_determinismE0ELb0ELb0ES3_PlS8_lN6thrust23THRUST_200600_302600_NS4plusIvEElEEDaPvRmT3_T4_T5_mT6_P12ihipStream_tbENKUlT_T0_E_clISt17integral_constantIbLb0EESP_IbLb1EEEEDaSL_SM_EUlSL_E0_NS1_11comp_targetILNS1_3genE5ELNS1_11target_archE942ELNS1_3gpuE9ELNS1_3repE0EEENS1_30default_config_static_selectorELNS0_4arch9wavefront6targetE1EEEvT1_.private_seg_size, 0
	.set _ZN7rocprim17ROCPRIM_400000_NS6detail17trampoline_kernelINS0_14default_configENS1_20scan_config_selectorIlEEZZNS1_9scan_implILNS1_25lookback_scan_determinismE0ELb0ELb0ES3_PlS8_lN6thrust23THRUST_200600_302600_NS4plusIvEElEEDaPvRmT3_T4_T5_mT6_P12ihipStream_tbENKUlT_T0_E_clISt17integral_constantIbLb0EESP_IbLb1EEEEDaSL_SM_EUlSL_E0_NS1_11comp_targetILNS1_3genE5ELNS1_11target_archE942ELNS1_3gpuE9ELNS1_3repE0EEENS1_30default_config_static_selectorELNS0_4arch9wavefront6targetE1EEEvT1_.uses_vcc, 0
	.set _ZN7rocprim17ROCPRIM_400000_NS6detail17trampoline_kernelINS0_14default_configENS1_20scan_config_selectorIlEEZZNS1_9scan_implILNS1_25lookback_scan_determinismE0ELb0ELb0ES3_PlS8_lN6thrust23THRUST_200600_302600_NS4plusIvEElEEDaPvRmT3_T4_T5_mT6_P12ihipStream_tbENKUlT_T0_E_clISt17integral_constantIbLb0EESP_IbLb1EEEEDaSL_SM_EUlSL_E0_NS1_11comp_targetILNS1_3genE5ELNS1_11target_archE942ELNS1_3gpuE9ELNS1_3repE0EEENS1_30default_config_static_selectorELNS0_4arch9wavefront6targetE1EEEvT1_.uses_flat_scratch, 0
	.set _ZN7rocprim17ROCPRIM_400000_NS6detail17trampoline_kernelINS0_14default_configENS1_20scan_config_selectorIlEEZZNS1_9scan_implILNS1_25lookback_scan_determinismE0ELb0ELb0ES3_PlS8_lN6thrust23THRUST_200600_302600_NS4plusIvEElEEDaPvRmT3_T4_T5_mT6_P12ihipStream_tbENKUlT_T0_E_clISt17integral_constantIbLb0EESP_IbLb1EEEEDaSL_SM_EUlSL_E0_NS1_11comp_targetILNS1_3genE5ELNS1_11target_archE942ELNS1_3gpuE9ELNS1_3repE0EEENS1_30default_config_static_selectorELNS0_4arch9wavefront6targetE1EEEvT1_.has_dyn_sized_stack, 0
	.set _ZN7rocprim17ROCPRIM_400000_NS6detail17trampoline_kernelINS0_14default_configENS1_20scan_config_selectorIlEEZZNS1_9scan_implILNS1_25lookback_scan_determinismE0ELb0ELb0ES3_PlS8_lN6thrust23THRUST_200600_302600_NS4plusIvEElEEDaPvRmT3_T4_T5_mT6_P12ihipStream_tbENKUlT_T0_E_clISt17integral_constantIbLb0EESP_IbLb1EEEEDaSL_SM_EUlSL_E0_NS1_11comp_targetILNS1_3genE5ELNS1_11target_archE942ELNS1_3gpuE9ELNS1_3repE0EEENS1_30default_config_static_selectorELNS0_4arch9wavefront6targetE1EEEvT1_.has_recursion, 0
	.set _ZN7rocprim17ROCPRIM_400000_NS6detail17trampoline_kernelINS0_14default_configENS1_20scan_config_selectorIlEEZZNS1_9scan_implILNS1_25lookback_scan_determinismE0ELb0ELb0ES3_PlS8_lN6thrust23THRUST_200600_302600_NS4plusIvEElEEDaPvRmT3_T4_T5_mT6_P12ihipStream_tbENKUlT_T0_E_clISt17integral_constantIbLb0EESP_IbLb1EEEEDaSL_SM_EUlSL_E0_NS1_11comp_targetILNS1_3genE5ELNS1_11target_archE942ELNS1_3gpuE9ELNS1_3repE0EEENS1_30default_config_static_selectorELNS0_4arch9wavefront6targetE1EEEvT1_.has_indirect_call, 0
	.section	.AMDGPU.csdata,"",@progbits
; Kernel info:
; codeLenInByte = 0
; TotalNumSgprs: 6
; NumVgprs: 0
; NumAgprs: 0
; TotalNumVgprs: 0
; ScratchSize: 0
; MemoryBound: 0
; FloatMode: 240
; IeeeMode: 1
; LDSByteSize: 0 bytes/workgroup (compile time only)
; SGPRBlocks: 0
; VGPRBlocks: 0
; NumSGPRsForWavesPerEU: 6
; NumVGPRsForWavesPerEU: 1
; AccumOffset: 4
; Occupancy: 8
; WaveLimiterHint : 0
; COMPUTE_PGM_RSRC2:SCRATCH_EN: 0
; COMPUTE_PGM_RSRC2:USER_SGPR: 2
; COMPUTE_PGM_RSRC2:TRAP_HANDLER: 0
; COMPUTE_PGM_RSRC2:TGID_X_EN: 1
; COMPUTE_PGM_RSRC2:TGID_Y_EN: 0
; COMPUTE_PGM_RSRC2:TGID_Z_EN: 0
; COMPUTE_PGM_RSRC2:TIDIG_COMP_CNT: 0
; COMPUTE_PGM_RSRC3_GFX90A:ACCUM_OFFSET: 0
; COMPUTE_PGM_RSRC3_GFX90A:TG_SPLIT: 0
	.section	.text._ZN7rocprim17ROCPRIM_400000_NS6detail17trampoline_kernelINS0_14default_configENS1_20scan_config_selectorIlEEZZNS1_9scan_implILNS1_25lookback_scan_determinismE0ELb0ELb0ES3_PlS8_lN6thrust23THRUST_200600_302600_NS4plusIvEElEEDaPvRmT3_T4_T5_mT6_P12ihipStream_tbENKUlT_T0_E_clISt17integral_constantIbLb0EESP_IbLb1EEEEDaSL_SM_EUlSL_E0_NS1_11comp_targetILNS1_3genE4ELNS1_11target_archE910ELNS1_3gpuE8ELNS1_3repE0EEENS1_30default_config_static_selectorELNS0_4arch9wavefront6targetE1EEEvT1_,"axG",@progbits,_ZN7rocprim17ROCPRIM_400000_NS6detail17trampoline_kernelINS0_14default_configENS1_20scan_config_selectorIlEEZZNS1_9scan_implILNS1_25lookback_scan_determinismE0ELb0ELb0ES3_PlS8_lN6thrust23THRUST_200600_302600_NS4plusIvEElEEDaPvRmT3_T4_T5_mT6_P12ihipStream_tbENKUlT_T0_E_clISt17integral_constantIbLb0EESP_IbLb1EEEEDaSL_SM_EUlSL_E0_NS1_11comp_targetILNS1_3genE4ELNS1_11target_archE910ELNS1_3gpuE8ELNS1_3repE0EEENS1_30default_config_static_selectorELNS0_4arch9wavefront6targetE1EEEvT1_,comdat
	.protected	_ZN7rocprim17ROCPRIM_400000_NS6detail17trampoline_kernelINS0_14default_configENS1_20scan_config_selectorIlEEZZNS1_9scan_implILNS1_25lookback_scan_determinismE0ELb0ELb0ES3_PlS8_lN6thrust23THRUST_200600_302600_NS4plusIvEElEEDaPvRmT3_T4_T5_mT6_P12ihipStream_tbENKUlT_T0_E_clISt17integral_constantIbLb0EESP_IbLb1EEEEDaSL_SM_EUlSL_E0_NS1_11comp_targetILNS1_3genE4ELNS1_11target_archE910ELNS1_3gpuE8ELNS1_3repE0EEENS1_30default_config_static_selectorELNS0_4arch9wavefront6targetE1EEEvT1_ ; -- Begin function _ZN7rocprim17ROCPRIM_400000_NS6detail17trampoline_kernelINS0_14default_configENS1_20scan_config_selectorIlEEZZNS1_9scan_implILNS1_25lookback_scan_determinismE0ELb0ELb0ES3_PlS8_lN6thrust23THRUST_200600_302600_NS4plusIvEElEEDaPvRmT3_T4_T5_mT6_P12ihipStream_tbENKUlT_T0_E_clISt17integral_constantIbLb0EESP_IbLb1EEEEDaSL_SM_EUlSL_E0_NS1_11comp_targetILNS1_3genE4ELNS1_11target_archE910ELNS1_3gpuE8ELNS1_3repE0EEENS1_30default_config_static_selectorELNS0_4arch9wavefront6targetE1EEEvT1_
	.globl	_ZN7rocprim17ROCPRIM_400000_NS6detail17trampoline_kernelINS0_14default_configENS1_20scan_config_selectorIlEEZZNS1_9scan_implILNS1_25lookback_scan_determinismE0ELb0ELb0ES3_PlS8_lN6thrust23THRUST_200600_302600_NS4plusIvEElEEDaPvRmT3_T4_T5_mT6_P12ihipStream_tbENKUlT_T0_E_clISt17integral_constantIbLb0EESP_IbLb1EEEEDaSL_SM_EUlSL_E0_NS1_11comp_targetILNS1_3genE4ELNS1_11target_archE910ELNS1_3gpuE8ELNS1_3repE0EEENS1_30default_config_static_selectorELNS0_4arch9wavefront6targetE1EEEvT1_
	.p2align	8
	.type	_ZN7rocprim17ROCPRIM_400000_NS6detail17trampoline_kernelINS0_14default_configENS1_20scan_config_selectorIlEEZZNS1_9scan_implILNS1_25lookback_scan_determinismE0ELb0ELb0ES3_PlS8_lN6thrust23THRUST_200600_302600_NS4plusIvEElEEDaPvRmT3_T4_T5_mT6_P12ihipStream_tbENKUlT_T0_E_clISt17integral_constantIbLb0EESP_IbLb1EEEEDaSL_SM_EUlSL_E0_NS1_11comp_targetILNS1_3genE4ELNS1_11target_archE910ELNS1_3gpuE8ELNS1_3repE0EEENS1_30default_config_static_selectorELNS0_4arch9wavefront6targetE1EEEvT1_,@function
_ZN7rocprim17ROCPRIM_400000_NS6detail17trampoline_kernelINS0_14default_configENS1_20scan_config_selectorIlEEZZNS1_9scan_implILNS1_25lookback_scan_determinismE0ELb0ELb0ES3_PlS8_lN6thrust23THRUST_200600_302600_NS4plusIvEElEEDaPvRmT3_T4_T5_mT6_P12ihipStream_tbENKUlT_T0_E_clISt17integral_constantIbLb0EESP_IbLb1EEEEDaSL_SM_EUlSL_E0_NS1_11comp_targetILNS1_3genE4ELNS1_11target_archE910ELNS1_3gpuE8ELNS1_3repE0EEENS1_30default_config_static_selectorELNS0_4arch9wavefront6targetE1EEEvT1_: ; @_ZN7rocprim17ROCPRIM_400000_NS6detail17trampoline_kernelINS0_14default_configENS1_20scan_config_selectorIlEEZZNS1_9scan_implILNS1_25lookback_scan_determinismE0ELb0ELb0ES3_PlS8_lN6thrust23THRUST_200600_302600_NS4plusIvEElEEDaPvRmT3_T4_T5_mT6_P12ihipStream_tbENKUlT_T0_E_clISt17integral_constantIbLb0EESP_IbLb1EEEEDaSL_SM_EUlSL_E0_NS1_11comp_targetILNS1_3genE4ELNS1_11target_archE910ELNS1_3gpuE8ELNS1_3repE0EEENS1_30default_config_static_selectorELNS0_4arch9wavefront6targetE1EEEvT1_
; %bb.0:
	.section	.rodata,"a",@progbits
	.p2align	6, 0x0
	.amdhsa_kernel _ZN7rocprim17ROCPRIM_400000_NS6detail17trampoline_kernelINS0_14default_configENS1_20scan_config_selectorIlEEZZNS1_9scan_implILNS1_25lookback_scan_determinismE0ELb0ELb0ES3_PlS8_lN6thrust23THRUST_200600_302600_NS4plusIvEElEEDaPvRmT3_T4_T5_mT6_P12ihipStream_tbENKUlT_T0_E_clISt17integral_constantIbLb0EESP_IbLb1EEEEDaSL_SM_EUlSL_E0_NS1_11comp_targetILNS1_3genE4ELNS1_11target_archE910ELNS1_3gpuE8ELNS1_3repE0EEENS1_30default_config_static_selectorELNS0_4arch9wavefront6targetE1EEEvT1_
		.amdhsa_group_segment_fixed_size 0
		.amdhsa_private_segment_fixed_size 0
		.amdhsa_kernarg_size 40
		.amdhsa_user_sgpr_count 2
		.amdhsa_user_sgpr_dispatch_ptr 0
		.amdhsa_user_sgpr_queue_ptr 0
		.amdhsa_user_sgpr_kernarg_segment_ptr 1
		.amdhsa_user_sgpr_dispatch_id 0
		.amdhsa_user_sgpr_kernarg_preload_length 0
		.amdhsa_user_sgpr_kernarg_preload_offset 0
		.amdhsa_user_sgpr_private_segment_size 0
		.amdhsa_uses_dynamic_stack 0
		.amdhsa_enable_private_segment 0
		.amdhsa_system_sgpr_workgroup_id_x 1
		.amdhsa_system_sgpr_workgroup_id_y 0
		.amdhsa_system_sgpr_workgroup_id_z 0
		.amdhsa_system_sgpr_workgroup_info 0
		.amdhsa_system_vgpr_workitem_id 0
		.amdhsa_next_free_vgpr 1
		.amdhsa_next_free_sgpr 0
		.amdhsa_accum_offset 4
		.amdhsa_reserve_vcc 0
		.amdhsa_float_round_mode_32 0
		.amdhsa_float_round_mode_16_64 0
		.amdhsa_float_denorm_mode_32 3
		.amdhsa_float_denorm_mode_16_64 3
		.amdhsa_dx10_clamp 1
		.amdhsa_ieee_mode 1
		.amdhsa_fp16_overflow 0
		.amdhsa_tg_split 0
		.amdhsa_exception_fp_ieee_invalid_op 0
		.amdhsa_exception_fp_denorm_src 0
		.amdhsa_exception_fp_ieee_div_zero 0
		.amdhsa_exception_fp_ieee_overflow 0
		.amdhsa_exception_fp_ieee_underflow 0
		.amdhsa_exception_fp_ieee_inexact 0
		.amdhsa_exception_int_div_zero 0
	.end_amdhsa_kernel
	.section	.text._ZN7rocprim17ROCPRIM_400000_NS6detail17trampoline_kernelINS0_14default_configENS1_20scan_config_selectorIlEEZZNS1_9scan_implILNS1_25lookback_scan_determinismE0ELb0ELb0ES3_PlS8_lN6thrust23THRUST_200600_302600_NS4plusIvEElEEDaPvRmT3_T4_T5_mT6_P12ihipStream_tbENKUlT_T0_E_clISt17integral_constantIbLb0EESP_IbLb1EEEEDaSL_SM_EUlSL_E0_NS1_11comp_targetILNS1_3genE4ELNS1_11target_archE910ELNS1_3gpuE8ELNS1_3repE0EEENS1_30default_config_static_selectorELNS0_4arch9wavefront6targetE1EEEvT1_,"axG",@progbits,_ZN7rocprim17ROCPRIM_400000_NS6detail17trampoline_kernelINS0_14default_configENS1_20scan_config_selectorIlEEZZNS1_9scan_implILNS1_25lookback_scan_determinismE0ELb0ELb0ES3_PlS8_lN6thrust23THRUST_200600_302600_NS4plusIvEElEEDaPvRmT3_T4_T5_mT6_P12ihipStream_tbENKUlT_T0_E_clISt17integral_constantIbLb0EESP_IbLb1EEEEDaSL_SM_EUlSL_E0_NS1_11comp_targetILNS1_3genE4ELNS1_11target_archE910ELNS1_3gpuE8ELNS1_3repE0EEENS1_30default_config_static_selectorELNS0_4arch9wavefront6targetE1EEEvT1_,comdat
.Lfunc_end152:
	.size	_ZN7rocprim17ROCPRIM_400000_NS6detail17trampoline_kernelINS0_14default_configENS1_20scan_config_selectorIlEEZZNS1_9scan_implILNS1_25lookback_scan_determinismE0ELb0ELb0ES3_PlS8_lN6thrust23THRUST_200600_302600_NS4plusIvEElEEDaPvRmT3_T4_T5_mT6_P12ihipStream_tbENKUlT_T0_E_clISt17integral_constantIbLb0EESP_IbLb1EEEEDaSL_SM_EUlSL_E0_NS1_11comp_targetILNS1_3genE4ELNS1_11target_archE910ELNS1_3gpuE8ELNS1_3repE0EEENS1_30default_config_static_selectorELNS0_4arch9wavefront6targetE1EEEvT1_, .Lfunc_end152-_ZN7rocprim17ROCPRIM_400000_NS6detail17trampoline_kernelINS0_14default_configENS1_20scan_config_selectorIlEEZZNS1_9scan_implILNS1_25lookback_scan_determinismE0ELb0ELb0ES3_PlS8_lN6thrust23THRUST_200600_302600_NS4plusIvEElEEDaPvRmT3_T4_T5_mT6_P12ihipStream_tbENKUlT_T0_E_clISt17integral_constantIbLb0EESP_IbLb1EEEEDaSL_SM_EUlSL_E0_NS1_11comp_targetILNS1_3genE4ELNS1_11target_archE910ELNS1_3gpuE8ELNS1_3repE0EEENS1_30default_config_static_selectorELNS0_4arch9wavefront6targetE1EEEvT1_
                                        ; -- End function
	.set _ZN7rocprim17ROCPRIM_400000_NS6detail17trampoline_kernelINS0_14default_configENS1_20scan_config_selectorIlEEZZNS1_9scan_implILNS1_25lookback_scan_determinismE0ELb0ELb0ES3_PlS8_lN6thrust23THRUST_200600_302600_NS4plusIvEElEEDaPvRmT3_T4_T5_mT6_P12ihipStream_tbENKUlT_T0_E_clISt17integral_constantIbLb0EESP_IbLb1EEEEDaSL_SM_EUlSL_E0_NS1_11comp_targetILNS1_3genE4ELNS1_11target_archE910ELNS1_3gpuE8ELNS1_3repE0EEENS1_30default_config_static_selectorELNS0_4arch9wavefront6targetE1EEEvT1_.num_vgpr, 0
	.set _ZN7rocprim17ROCPRIM_400000_NS6detail17trampoline_kernelINS0_14default_configENS1_20scan_config_selectorIlEEZZNS1_9scan_implILNS1_25lookback_scan_determinismE0ELb0ELb0ES3_PlS8_lN6thrust23THRUST_200600_302600_NS4plusIvEElEEDaPvRmT3_T4_T5_mT6_P12ihipStream_tbENKUlT_T0_E_clISt17integral_constantIbLb0EESP_IbLb1EEEEDaSL_SM_EUlSL_E0_NS1_11comp_targetILNS1_3genE4ELNS1_11target_archE910ELNS1_3gpuE8ELNS1_3repE0EEENS1_30default_config_static_selectorELNS0_4arch9wavefront6targetE1EEEvT1_.num_agpr, 0
	.set _ZN7rocprim17ROCPRIM_400000_NS6detail17trampoline_kernelINS0_14default_configENS1_20scan_config_selectorIlEEZZNS1_9scan_implILNS1_25lookback_scan_determinismE0ELb0ELb0ES3_PlS8_lN6thrust23THRUST_200600_302600_NS4plusIvEElEEDaPvRmT3_T4_T5_mT6_P12ihipStream_tbENKUlT_T0_E_clISt17integral_constantIbLb0EESP_IbLb1EEEEDaSL_SM_EUlSL_E0_NS1_11comp_targetILNS1_3genE4ELNS1_11target_archE910ELNS1_3gpuE8ELNS1_3repE0EEENS1_30default_config_static_selectorELNS0_4arch9wavefront6targetE1EEEvT1_.numbered_sgpr, 0
	.set _ZN7rocprim17ROCPRIM_400000_NS6detail17trampoline_kernelINS0_14default_configENS1_20scan_config_selectorIlEEZZNS1_9scan_implILNS1_25lookback_scan_determinismE0ELb0ELb0ES3_PlS8_lN6thrust23THRUST_200600_302600_NS4plusIvEElEEDaPvRmT3_T4_T5_mT6_P12ihipStream_tbENKUlT_T0_E_clISt17integral_constantIbLb0EESP_IbLb1EEEEDaSL_SM_EUlSL_E0_NS1_11comp_targetILNS1_3genE4ELNS1_11target_archE910ELNS1_3gpuE8ELNS1_3repE0EEENS1_30default_config_static_selectorELNS0_4arch9wavefront6targetE1EEEvT1_.num_named_barrier, 0
	.set _ZN7rocprim17ROCPRIM_400000_NS6detail17trampoline_kernelINS0_14default_configENS1_20scan_config_selectorIlEEZZNS1_9scan_implILNS1_25lookback_scan_determinismE0ELb0ELb0ES3_PlS8_lN6thrust23THRUST_200600_302600_NS4plusIvEElEEDaPvRmT3_T4_T5_mT6_P12ihipStream_tbENKUlT_T0_E_clISt17integral_constantIbLb0EESP_IbLb1EEEEDaSL_SM_EUlSL_E0_NS1_11comp_targetILNS1_3genE4ELNS1_11target_archE910ELNS1_3gpuE8ELNS1_3repE0EEENS1_30default_config_static_selectorELNS0_4arch9wavefront6targetE1EEEvT1_.private_seg_size, 0
	.set _ZN7rocprim17ROCPRIM_400000_NS6detail17trampoline_kernelINS0_14default_configENS1_20scan_config_selectorIlEEZZNS1_9scan_implILNS1_25lookback_scan_determinismE0ELb0ELb0ES3_PlS8_lN6thrust23THRUST_200600_302600_NS4plusIvEElEEDaPvRmT3_T4_T5_mT6_P12ihipStream_tbENKUlT_T0_E_clISt17integral_constantIbLb0EESP_IbLb1EEEEDaSL_SM_EUlSL_E0_NS1_11comp_targetILNS1_3genE4ELNS1_11target_archE910ELNS1_3gpuE8ELNS1_3repE0EEENS1_30default_config_static_selectorELNS0_4arch9wavefront6targetE1EEEvT1_.uses_vcc, 0
	.set _ZN7rocprim17ROCPRIM_400000_NS6detail17trampoline_kernelINS0_14default_configENS1_20scan_config_selectorIlEEZZNS1_9scan_implILNS1_25lookback_scan_determinismE0ELb0ELb0ES3_PlS8_lN6thrust23THRUST_200600_302600_NS4plusIvEElEEDaPvRmT3_T4_T5_mT6_P12ihipStream_tbENKUlT_T0_E_clISt17integral_constantIbLb0EESP_IbLb1EEEEDaSL_SM_EUlSL_E0_NS1_11comp_targetILNS1_3genE4ELNS1_11target_archE910ELNS1_3gpuE8ELNS1_3repE0EEENS1_30default_config_static_selectorELNS0_4arch9wavefront6targetE1EEEvT1_.uses_flat_scratch, 0
	.set _ZN7rocprim17ROCPRIM_400000_NS6detail17trampoline_kernelINS0_14default_configENS1_20scan_config_selectorIlEEZZNS1_9scan_implILNS1_25lookback_scan_determinismE0ELb0ELb0ES3_PlS8_lN6thrust23THRUST_200600_302600_NS4plusIvEElEEDaPvRmT3_T4_T5_mT6_P12ihipStream_tbENKUlT_T0_E_clISt17integral_constantIbLb0EESP_IbLb1EEEEDaSL_SM_EUlSL_E0_NS1_11comp_targetILNS1_3genE4ELNS1_11target_archE910ELNS1_3gpuE8ELNS1_3repE0EEENS1_30default_config_static_selectorELNS0_4arch9wavefront6targetE1EEEvT1_.has_dyn_sized_stack, 0
	.set _ZN7rocprim17ROCPRIM_400000_NS6detail17trampoline_kernelINS0_14default_configENS1_20scan_config_selectorIlEEZZNS1_9scan_implILNS1_25lookback_scan_determinismE0ELb0ELb0ES3_PlS8_lN6thrust23THRUST_200600_302600_NS4plusIvEElEEDaPvRmT3_T4_T5_mT6_P12ihipStream_tbENKUlT_T0_E_clISt17integral_constantIbLb0EESP_IbLb1EEEEDaSL_SM_EUlSL_E0_NS1_11comp_targetILNS1_3genE4ELNS1_11target_archE910ELNS1_3gpuE8ELNS1_3repE0EEENS1_30default_config_static_selectorELNS0_4arch9wavefront6targetE1EEEvT1_.has_recursion, 0
	.set _ZN7rocprim17ROCPRIM_400000_NS6detail17trampoline_kernelINS0_14default_configENS1_20scan_config_selectorIlEEZZNS1_9scan_implILNS1_25lookback_scan_determinismE0ELb0ELb0ES3_PlS8_lN6thrust23THRUST_200600_302600_NS4plusIvEElEEDaPvRmT3_T4_T5_mT6_P12ihipStream_tbENKUlT_T0_E_clISt17integral_constantIbLb0EESP_IbLb1EEEEDaSL_SM_EUlSL_E0_NS1_11comp_targetILNS1_3genE4ELNS1_11target_archE910ELNS1_3gpuE8ELNS1_3repE0EEENS1_30default_config_static_selectorELNS0_4arch9wavefront6targetE1EEEvT1_.has_indirect_call, 0
	.section	.AMDGPU.csdata,"",@progbits
; Kernel info:
; codeLenInByte = 0
; TotalNumSgprs: 6
; NumVgprs: 0
; NumAgprs: 0
; TotalNumVgprs: 0
; ScratchSize: 0
; MemoryBound: 0
; FloatMode: 240
; IeeeMode: 1
; LDSByteSize: 0 bytes/workgroup (compile time only)
; SGPRBlocks: 0
; VGPRBlocks: 0
; NumSGPRsForWavesPerEU: 6
; NumVGPRsForWavesPerEU: 1
; AccumOffset: 4
; Occupancy: 8
; WaveLimiterHint : 0
; COMPUTE_PGM_RSRC2:SCRATCH_EN: 0
; COMPUTE_PGM_RSRC2:USER_SGPR: 2
; COMPUTE_PGM_RSRC2:TRAP_HANDLER: 0
; COMPUTE_PGM_RSRC2:TGID_X_EN: 1
; COMPUTE_PGM_RSRC2:TGID_Y_EN: 0
; COMPUTE_PGM_RSRC2:TGID_Z_EN: 0
; COMPUTE_PGM_RSRC2:TIDIG_COMP_CNT: 0
; COMPUTE_PGM_RSRC3_GFX90A:ACCUM_OFFSET: 0
; COMPUTE_PGM_RSRC3_GFX90A:TG_SPLIT: 0
	.section	.text._ZN7rocprim17ROCPRIM_400000_NS6detail17trampoline_kernelINS0_14default_configENS1_20scan_config_selectorIlEEZZNS1_9scan_implILNS1_25lookback_scan_determinismE0ELb0ELb0ES3_PlS8_lN6thrust23THRUST_200600_302600_NS4plusIvEElEEDaPvRmT3_T4_T5_mT6_P12ihipStream_tbENKUlT_T0_E_clISt17integral_constantIbLb0EESP_IbLb1EEEEDaSL_SM_EUlSL_E0_NS1_11comp_targetILNS1_3genE3ELNS1_11target_archE908ELNS1_3gpuE7ELNS1_3repE0EEENS1_30default_config_static_selectorELNS0_4arch9wavefront6targetE1EEEvT1_,"axG",@progbits,_ZN7rocprim17ROCPRIM_400000_NS6detail17trampoline_kernelINS0_14default_configENS1_20scan_config_selectorIlEEZZNS1_9scan_implILNS1_25lookback_scan_determinismE0ELb0ELb0ES3_PlS8_lN6thrust23THRUST_200600_302600_NS4plusIvEElEEDaPvRmT3_T4_T5_mT6_P12ihipStream_tbENKUlT_T0_E_clISt17integral_constantIbLb0EESP_IbLb1EEEEDaSL_SM_EUlSL_E0_NS1_11comp_targetILNS1_3genE3ELNS1_11target_archE908ELNS1_3gpuE7ELNS1_3repE0EEENS1_30default_config_static_selectorELNS0_4arch9wavefront6targetE1EEEvT1_,comdat
	.protected	_ZN7rocprim17ROCPRIM_400000_NS6detail17trampoline_kernelINS0_14default_configENS1_20scan_config_selectorIlEEZZNS1_9scan_implILNS1_25lookback_scan_determinismE0ELb0ELb0ES3_PlS8_lN6thrust23THRUST_200600_302600_NS4plusIvEElEEDaPvRmT3_T4_T5_mT6_P12ihipStream_tbENKUlT_T0_E_clISt17integral_constantIbLb0EESP_IbLb1EEEEDaSL_SM_EUlSL_E0_NS1_11comp_targetILNS1_3genE3ELNS1_11target_archE908ELNS1_3gpuE7ELNS1_3repE0EEENS1_30default_config_static_selectorELNS0_4arch9wavefront6targetE1EEEvT1_ ; -- Begin function _ZN7rocprim17ROCPRIM_400000_NS6detail17trampoline_kernelINS0_14default_configENS1_20scan_config_selectorIlEEZZNS1_9scan_implILNS1_25lookback_scan_determinismE0ELb0ELb0ES3_PlS8_lN6thrust23THRUST_200600_302600_NS4plusIvEElEEDaPvRmT3_T4_T5_mT6_P12ihipStream_tbENKUlT_T0_E_clISt17integral_constantIbLb0EESP_IbLb1EEEEDaSL_SM_EUlSL_E0_NS1_11comp_targetILNS1_3genE3ELNS1_11target_archE908ELNS1_3gpuE7ELNS1_3repE0EEENS1_30default_config_static_selectorELNS0_4arch9wavefront6targetE1EEEvT1_
	.globl	_ZN7rocprim17ROCPRIM_400000_NS6detail17trampoline_kernelINS0_14default_configENS1_20scan_config_selectorIlEEZZNS1_9scan_implILNS1_25lookback_scan_determinismE0ELb0ELb0ES3_PlS8_lN6thrust23THRUST_200600_302600_NS4plusIvEElEEDaPvRmT3_T4_T5_mT6_P12ihipStream_tbENKUlT_T0_E_clISt17integral_constantIbLb0EESP_IbLb1EEEEDaSL_SM_EUlSL_E0_NS1_11comp_targetILNS1_3genE3ELNS1_11target_archE908ELNS1_3gpuE7ELNS1_3repE0EEENS1_30default_config_static_selectorELNS0_4arch9wavefront6targetE1EEEvT1_
	.p2align	8
	.type	_ZN7rocprim17ROCPRIM_400000_NS6detail17trampoline_kernelINS0_14default_configENS1_20scan_config_selectorIlEEZZNS1_9scan_implILNS1_25lookback_scan_determinismE0ELb0ELb0ES3_PlS8_lN6thrust23THRUST_200600_302600_NS4plusIvEElEEDaPvRmT3_T4_T5_mT6_P12ihipStream_tbENKUlT_T0_E_clISt17integral_constantIbLb0EESP_IbLb1EEEEDaSL_SM_EUlSL_E0_NS1_11comp_targetILNS1_3genE3ELNS1_11target_archE908ELNS1_3gpuE7ELNS1_3repE0EEENS1_30default_config_static_selectorELNS0_4arch9wavefront6targetE1EEEvT1_,@function
_ZN7rocprim17ROCPRIM_400000_NS6detail17trampoline_kernelINS0_14default_configENS1_20scan_config_selectorIlEEZZNS1_9scan_implILNS1_25lookback_scan_determinismE0ELb0ELb0ES3_PlS8_lN6thrust23THRUST_200600_302600_NS4plusIvEElEEDaPvRmT3_T4_T5_mT6_P12ihipStream_tbENKUlT_T0_E_clISt17integral_constantIbLb0EESP_IbLb1EEEEDaSL_SM_EUlSL_E0_NS1_11comp_targetILNS1_3genE3ELNS1_11target_archE908ELNS1_3gpuE7ELNS1_3repE0EEENS1_30default_config_static_selectorELNS0_4arch9wavefront6targetE1EEEvT1_: ; @_ZN7rocprim17ROCPRIM_400000_NS6detail17trampoline_kernelINS0_14default_configENS1_20scan_config_selectorIlEEZZNS1_9scan_implILNS1_25lookback_scan_determinismE0ELb0ELb0ES3_PlS8_lN6thrust23THRUST_200600_302600_NS4plusIvEElEEDaPvRmT3_T4_T5_mT6_P12ihipStream_tbENKUlT_T0_E_clISt17integral_constantIbLb0EESP_IbLb1EEEEDaSL_SM_EUlSL_E0_NS1_11comp_targetILNS1_3genE3ELNS1_11target_archE908ELNS1_3gpuE7ELNS1_3repE0EEENS1_30default_config_static_selectorELNS0_4arch9wavefront6targetE1EEEvT1_
; %bb.0:
	.section	.rodata,"a",@progbits
	.p2align	6, 0x0
	.amdhsa_kernel _ZN7rocprim17ROCPRIM_400000_NS6detail17trampoline_kernelINS0_14default_configENS1_20scan_config_selectorIlEEZZNS1_9scan_implILNS1_25lookback_scan_determinismE0ELb0ELb0ES3_PlS8_lN6thrust23THRUST_200600_302600_NS4plusIvEElEEDaPvRmT3_T4_T5_mT6_P12ihipStream_tbENKUlT_T0_E_clISt17integral_constantIbLb0EESP_IbLb1EEEEDaSL_SM_EUlSL_E0_NS1_11comp_targetILNS1_3genE3ELNS1_11target_archE908ELNS1_3gpuE7ELNS1_3repE0EEENS1_30default_config_static_selectorELNS0_4arch9wavefront6targetE1EEEvT1_
		.amdhsa_group_segment_fixed_size 0
		.amdhsa_private_segment_fixed_size 0
		.amdhsa_kernarg_size 40
		.amdhsa_user_sgpr_count 2
		.amdhsa_user_sgpr_dispatch_ptr 0
		.amdhsa_user_sgpr_queue_ptr 0
		.amdhsa_user_sgpr_kernarg_segment_ptr 1
		.amdhsa_user_sgpr_dispatch_id 0
		.amdhsa_user_sgpr_kernarg_preload_length 0
		.amdhsa_user_sgpr_kernarg_preload_offset 0
		.amdhsa_user_sgpr_private_segment_size 0
		.amdhsa_uses_dynamic_stack 0
		.amdhsa_enable_private_segment 0
		.amdhsa_system_sgpr_workgroup_id_x 1
		.amdhsa_system_sgpr_workgroup_id_y 0
		.amdhsa_system_sgpr_workgroup_id_z 0
		.amdhsa_system_sgpr_workgroup_info 0
		.amdhsa_system_vgpr_workitem_id 0
		.amdhsa_next_free_vgpr 1
		.amdhsa_next_free_sgpr 0
		.amdhsa_accum_offset 4
		.amdhsa_reserve_vcc 0
		.amdhsa_float_round_mode_32 0
		.amdhsa_float_round_mode_16_64 0
		.amdhsa_float_denorm_mode_32 3
		.amdhsa_float_denorm_mode_16_64 3
		.amdhsa_dx10_clamp 1
		.amdhsa_ieee_mode 1
		.amdhsa_fp16_overflow 0
		.amdhsa_tg_split 0
		.amdhsa_exception_fp_ieee_invalid_op 0
		.amdhsa_exception_fp_denorm_src 0
		.amdhsa_exception_fp_ieee_div_zero 0
		.amdhsa_exception_fp_ieee_overflow 0
		.amdhsa_exception_fp_ieee_underflow 0
		.amdhsa_exception_fp_ieee_inexact 0
		.amdhsa_exception_int_div_zero 0
	.end_amdhsa_kernel
	.section	.text._ZN7rocprim17ROCPRIM_400000_NS6detail17trampoline_kernelINS0_14default_configENS1_20scan_config_selectorIlEEZZNS1_9scan_implILNS1_25lookback_scan_determinismE0ELb0ELb0ES3_PlS8_lN6thrust23THRUST_200600_302600_NS4plusIvEElEEDaPvRmT3_T4_T5_mT6_P12ihipStream_tbENKUlT_T0_E_clISt17integral_constantIbLb0EESP_IbLb1EEEEDaSL_SM_EUlSL_E0_NS1_11comp_targetILNS1_3genE3ELNS1_11target_archE908ELNS1_3gpuE7ELNS1_3repE0EEENS1_30default_config_static_selectorELNS0_4arch9wavefront6targetE1EEEvT1_,"axG",@progbits,_ZN7rocprim17ROCPRIM_400000_NS6detail17trampoline_kernelINS0_14default_configENS1_20scan_config_selectorIlEEZZNS1_9scan_implILNS1_25lookback_scan_determinismE0ELb0ELb0ES3_PlS8_lN6thrust23THRUST_200600_302600_NS4plusIvEElEEDaPvRmT3_T4_T5_mT6_P12ihipStream_tbENKUlT_T0_E_clISt17integral_constantIbLb0EESP_IbLb1EEEEDaSL_SM_EUlSL_E0_NS1_11comp_targetILNS1_3genE3ELNS1_11target_archE908ELNS1_3gpuE7ELNS1_3repE0EEENS1_30default_config_static_selectorELNS0_4arch9wavefront6targetE1EEEvT1_,comdat
.Lfunc_end153:
	.size	_ZN7rocprim17ROCPRIM_400000_NS6detail17trampoline_kernelINS0_14default_configENS1_20scan_config_selectorIlEEZZNS1_9scan_implILNS1_25lookback_scan_determinismE0ELb0ELb0ES3_PlS8_lN6thrust23THRUST_200600_302600_NS4plusIvEElEEDaPvRmT3_T4_T5_mT6_P12ihipStream_tbENKUlT_T0_E_clISt17integral_constantIbLb0EESP_IbLb1EEEEDaSL_SM_EUlSL_E0_NS1_11comp_targetILNS1_3genE3ELNS1_11target_archE908ELNS1_3gpuE7ELNS1_3repE0EEENS1_30default_config_static_selectorELNS0_4arch9wavefront6targetE1EEEvT1_, .Lfunc_end153-_ZN7rocprim17ROCPRIM_400000_NS6detail17trampoline_kernelINS0_14default_configENS1_20scan_config_selectorIlEEZZNS1_9scan_implILNS1_25lookback_scan_determinismE0ELb0ELb0ES3_PlS8_lN6thrust23THRUST_200600_302600_NS4plusIvEElEEDaPvRmT3_T4_T5_mT6_P12ihipStream_tbENKUlT_T0_E_clISt17integral_constantIbLb0EESP_IbLb1EEEEDaSL_SM_EUlSL_E0_NS1_11comp_targetILNS1_3genE3ELNS1_11target_archE908ELNS1_3gpuE7ELNS1_3repE0EEENS1_30default_config_static_selectorELNS0_4arch9wavefront6targetE1EEEvT1_
                                        ; -- End function
	.set _ZN7rocprim17ROCPRIM_400000_NS6detail17trampoline_kernelINS0_14default_configENS1_20scan_config_selectorIlEEZZNS1_9scan_implILNS1_25lookback_scan_determinismE0ELb0ELb0ES3_PlS8_lN6thrust23THRUST_200600_302600_NS4plusIvEElEEDaPvRmT3_T4_T5_mT6_P12ihipStream_tbENKUlT_T0_E_clISt17integral_constantIbLb0EESP_IbLb1EEEEDaSL_SM_EUlSL_E0_NS1_11comp_targetILNS1_3genE3ELNS1_11target_archE908ELNS1_3gpuE7ELNS1_3repE0EEENS1_30default_config_static_selectorELNS0_4arch9wavefront6targetE1EEEvT1_.num_vgpr, 0
	.set _ZN7rocprim17ROCPRIM_400000_NS6detail17trampoline_kernelINS0_14default_configENS1_20scan_config_selectorIlEEZZNS1_9scan_implILNS1_25lookback_scan_determinismE0ELb0ELb0ES3_PlS8_lN6thrust23THRUST_200600_302600_NS4plusIvEElEEDaPvRmT3_T4_T5_mT6_P12ihipStream_tbENKUlT_T0_E_clISt17integral_constantIbLb0EESP_IbLb1EEEEDaSL_SM_EUlSL_E0_NS1_11comp_targetILNS1_3genE3ELNS1_11target_archE908ELNS1_3gpuE7ELNS1_3repE0EEENS1_30default_config_static_selectorELNS0_4arch9wavefront6targetE1EEEvT1_.num_agpr, 0
	.set _ZN7rocprim17ROCPRIM_400000_NS6detail17trampoline_kernelINS0_14default_configENS1_20scan_config_selectorIlEEZZNS1_9scan_implILNS1_25lookback_scan_determinismE0ELb0ELb0ES3_PlS8_lN6thrust23THRUST_200600_302600_NS4plusIvEElEEDaPvRmT3_T4_T5_mT6_P12ihipStream_tbENKUlT_T0_E_clISt17integral_constantIbLb0EESP_IbLb1EEEEDaSL_SM_EUlSL_E0_NS1_11comp_targetILNS1_3genE3ELNS1_11target_archE908ELNS1_3gpuE7ELNS1_3repE0EEENS1_30default_config_static_selectorELNS0_4arch9wavefront6targetE1EEEvT1_.numbered_sgpr, 0
	.set _ZN7rocprim17ROCPRIM_400000_NS6detail17trampoline_kernelINS0_14default_configENS1_20scan_config_selectorIlEEZZNS1_9scan_implILNS1_25lookback_scan_determinismE0ELb0ELb0ES3_PlS8_lN6thrust23THRUST_200600_302600_NS4plusIvEElEEDaPvRmT3_T4_T5_mT6_P12ihipStream_tbENKUlT_T0_E_clISt17integral_constantIbLb0EESP_IbLb1EEEEDaSL_SM_EUlSL_E0_NS1_11comp_targetILNS1_3genE3ELNS1_11target_archE908ELNS1_3gpuE7ELNS1_3repE0EEENS1_30default_config_static_selectorELNS0_4arch9wavefront6targetE1EEEvT1_.num_named_barrier, 0
	.set _ZN7rocprim17ROCPRIM_400000_NS6detail17trampoline_kernelINS0_14default_configENS1_20scan_config_selectorIlEEZZNS1_9scan_implILNS1_25lookback_scan_determinismE0ELb0ELb0ES3_PlS8_lN6thrust23THRUST_200600_302600_NS4plusIvEElEEDaPvRmT3_T4_T5_mT6_P12ihipStream_tbENKUlT_T0_E_clISt17integral_constantIbLb0EESP_IbLb1EEEEDaSL_SM_EUlSL_E0_NS1_11comp_targetILNS1_3genE3ELNS1_11target_archE908ELNS1_3gpuE7ELNS1_3repE0EEENS1_30default_config_static_selectorELNS0_4arch9wavefront6targetE1EEEvT1_.private_seg_size, 0
	.set _ZN7rocprim17ROCPRIM_400000_NS6detail17trampoline_kernelINS0_14default_configENS1_20scan_config_selectorIlEEZZNS1_9scan_implILNS1_25lookback_scan_determinismE0ELb0ELb0ES3_PlS8_lN6thrust23THRUST_200600_302600_NS4plusIvEElEEDaPvRmT3_T4_T5_mT6_P12ihipStream_tbENKUlT_T0_E_clISt17integral_constantIbLb0EESP_IbLb1EEEEDaSL_SM_EUlSL_E0_NS1_11comp_targetILNS1_3genE3ELNS1_11target_archE908ELNS1_3gpuE7ELNS1_3repE0EEENS1_30default_config_static_selectorELNS0_4arch9wavefront6targetE1EEEvT1_.uses_vcc, 0
	.set _ZN7rocprim17ROCPRIM_400000_NS6detail17trampoline_kernelINS0_14default_configENS1_20scan_config_selectorIlEEZZNS1_9scan_implILNS1_25lookback_scan_determinismE0ELb0ELb0ES3_PlS8_lN6thrust23THRUST_200600_302600_NS4plusIvEElEEDaPvRmT3_T4_T5_mT6_P12ihipStream_tbENKUlT_T0_E_clISt17integral_constantIbLb0EESP_IbLb1EEEEDaSL_SM_EUlSL_E0_NS1_11comp_targetILNS1_3genE3ELNS1_11target_archE908ELNS1_3gpuE7ELNS1_3repE0EEENS1_30default_config_static_selectorELNS0_4arch9wavefront6targetE1EEEvT1_.uses_flat_scratch, 0
	.set _ZN7rocprim17ROCPRIM_400000_NS6detail17trampoline_kernelINS0_14default_configENS1_20scan_config_selectorIlEEZZNS1_9scan_implILNS1_25lookback_scan_determinismE0ELb0ELb0ES3_PlS8_lN6thrust23THRUST_200600_302600_NS4plusIvEElEEDaPvRmT3_T4_T5_mT6_P12ihipStream_tbENKUlT_T0_E_clISt17integral_constantIbLb0EESP_IbLb1EEEEDaSL_SM_EUlSL_E0_NS1_11comp_targetILNS1_3genE3ELNS1_11target_archE908ELNS1_3gpuE7ELNS1_3repE0EEENS1_30default_config_static_selectorELNS0_4arch9wavefront6targetE1EEEvT1_.has_dyn_sized_stack, 0
	.set _ZN7rocprim17ROCPRIM_400000_NS6detail17trampoline_kernelINS0_14default_configENS1_20scan_config_selectorIlEEZZNS1_9scan_implILNS1_25lookback_scan_determinismE0ELb0ELb0ES3_PlS8_lN6thrust23THRUST_200600_302600_NS4plusIvEElEEDaPvRmT3_T4_T5_mT6_P12ihipStream_tbENKUlT_T0_E_clISt17integral_constantIbLb0EESP_IbLb1EEEEDaSL_SM_EUlSL_E0_NS1_11comp_targetILNS1_3genE3ELNS1_11target_archE908ELNS1_3gpuE7ELNS1_3repE0EEENS1_30default_config_static_selectorELNS0_4arch9wavefront6targetE1EEEvT1_.has_recursion, 0
	.set _ZN7rocprim17ROCPRIM_400000_NS6detail17trampoline_kernelINS0_14default_configENS1_20scan_config_selectorIlEEZZNS1_9scan_implILNS1_25lookback_scan_determinismE0ELb0ELb0ES3_PlS8_lN6thrust23THRUST_200600_302600_NS4plusIvEElEEDaPvRmT3_T4_T5_mT6_P12ihipStream_tbENKUlT_T0_E_clISt17integral_constantIbLb0EESP_IbLb1EEEEDaSL_SM_EUlSL_E0_NS1_11comp_targetILNS1_3genE3ELNS1_11target_archE908ELNS1_3gpuE7ELNS1_3repE0EEENS1_30default_config_static_selectorELNS0_4arch9wavefront6targetE1EEEvT1_.has_indirect_call, 0
	.section	.AMDGPU.csdata,"",@progbits
; Kernel info:
; codeLenInByte = 0
; TotalNumSgprs: 6
; NumVgprs: 0
; NumAgprs: 0
; TotalNumVgprs: 0
; ScratchSize: 0
; MemoryBound: 0
; FloatMode: 240
; IeeeMode: 1
; LDSByteSize: 0 bytes/workgroup (compile time only)
; SGPRBlocks: 0
; VGPRBlocks: 0
; NumSGPRsForWavesPerEU: 6
; NumVGPRsForWavesPerEU: 1
; AccumOffset: 4
; Occupancy: 8
; WaveLimiterHint : 0
; COMPUTE_PGM_RSRC2:SCRATCH_EN: 0
; COMPUTE_PGM_RSRC2:USER_SGPR: 2
; COMPUTE_PGM_RSRC2:TRAP_HANDLER: 0
; COMPUTE_PGM_RSRC2:TGID_X_EN: 1
; COMPUTE_PGM_RSRC2:TGID_Y_EN: 0
; COMPUTE_PGM_RSRC2:TGID_Z_EN: 0
; COMPUTE_PGM_RSRC2:TIDIG_COMP_CNT: 0
; COMPUTE_PGM_RSRC3_GFX90A:ACCUM_OFFSET: 0
; COMPUTE_PGM_RSRC3_GFX90A:TG_SPLIT: 0
	.section	.text._ZN7rocprim17ROCPRIM_400000_NS6detail17trampoline_kernelINS0_14default_configENS1_20scan_config_selectorIlEEZZNS1_9scan_implILNS1_25lookback_scan_determinismE0ELb0ELb0ES3_PlS8_lN6thrust23THRUST_200600_302600_NS4plusIvEElEEDaPvRmT3_T4_T5_mT6_P12ihipStream_tbENKUlT_T0_E_clISt17integral_constantIbLb0EESP_IbLb1EEEEDaSL_SM_EUlSL_E0_NS1_11comp_targetILNS1_3genE2ELNS1_11target_archE906ELNS1_3gpuE6ELNS1_3repE0EEENS1_30default_config_static_selectorELNS0_4arch9wavefront6targetE1EEEvT1_,"axG",@progbits,_ZN7rocprim17ROCPRIM_400000_NS6detail17trampoline_kernelINS0_14default_configENS1_20scan_config_selectorIlEEZZNS1_9scan_implILNS1_25lookback_scan_determinismE0ELb0ELb0ES3_PlS8_lN6thrust23THRUST_200600_302600_NS4plusIvEElEEDaPvRmT3_T4_T5_mT6_P12ihipStream_tbENKUlT_T0_E_clISt17integral_constantIbLb0EESP_IbLb1EEEEDaSL_SM_EUlSL_E0_NS1_11comp_targetILNS1_3genE2ELNS1_11target_archE906ELNS1_3gpuE6ELNS1_3repE0EEENS1_30default_config_static_selectorELNS0_4arch9wavefront6targetE1EEEvT1_,comdat
	.protected	_ZN7rocprim17ROCPRIM_400000_NS6detail17trampoline_kernelINS0_14default_configENS1_20scan_config_selectorIlEEZZNS1_9scan_implILNS1_25lookback_scan_determinismE0ELb0ELb0ES3_PlS8_lN6thrust23THRUST_200600_302600_NS4plusIvEElEEDaPvRmT3_T4_T5_mT6_P12ihipStream_tbENKUlT_T0_E_clISt17integral_constantIbLb0EESP_IbLb1EEEEDaSL_SM_EUlSL_E0_NS1_11comp_targetILNS1_3genE2ELNS1_11target_archE906ELNS1_3gpuE6ELNS1_3repE0EEENS1_30default_config_static_selectorELNS0_4arch9wavefront6targetE1EEEvT1_ ; -- Begin function _ZN7rocprim17ROCPRIM_400000_NS6detail17trampoline_kernelINS0_14default_configENS1_20scan_config_selectorIlEEZZNS1_9scan_implILNS1_25lookback_scan_determinismE0ELb0ELb0ES3_PlS8_lN6thrust23THRUST_200600_302600_NS4plusIvEElEEDaPvRmT3_T4_T5_mT6_P12ihipStream_tbENKUlT_T0_E_clISt17integral_constantIbLb0EESP_IbLb1EEEEDaSL_SM_EUlSL_E0_NS1_11comp_targetILNS1_3genE2ELNS1_11target_archE906ELNS1_3gpuE6ELNS1_3repE0EEENS1_30default_config_static_selectorELNS0_4arch9wavefront6targetE1EEEvT1_
	.globl	_ZN7rocprim17ROCPRIM_400000_NS6detail17trampoline_kernelINS0_14default_configENS1_20scan_config_selectorIlEEZZNS1_9scan_implILNS1_25lookback_scan_determinismE0ELb0ELb0ES3_PlS8_lN6thrust23THRUST_200600_302600_NS4plusIvEElEEDaPvRmT3_T4_T5_mT6_P12ihipStream_tbENKUlT_T0_E_clISt17integral_constantIbLb0EESP_IbLb1EEEEDaSL_SM_EUlSL_E0_NS1_11comp_targetILNS1_3genE2ELNS1_11target_archE906ELNS1_3gpuE6ELNS1_3repE0EEENS1_30default_config_static_selectorELNS0_4arch9wavefront6targetE1EEEvT1_
	.p2align	8
	.type	_ZN7rocprim17ROCPRIM_400000_NS6detail17trampoline_kernelINS0_14default_configENS1_20scan_config_selectorIlEEZZNS1_9scan_implILNS1_25lookback_scan_determinismE0ELb0ELb0ES3_PlS8_lN6thrust23THRUST_200600_302600_NS4plusIvEElEEDaPvRmT3_T4_T5_mT6_P12ihipStream_tbENKUlT_T0_E_clISt17integral_constantIbLb0EESP_IbLb1EEEEDaSL_SM_EUlSL_E0_NS1_11comp_targetILNS1_3genE2ELNS1_11target_archE906ELNS1_3gpuE6ELNS1_3repE0EEENS1_30default_config_static_selectorELNS0_4arch9wavefront6targetE1EEEvT1_,@function
_ZN7rocprim17ROCPRIM_400000_NS6detail17trampoline_kernelINS0_14default_configENS1_20scan_config_selectorIlEEZZNS1_9scan_implILNS1_25lookback_scan_determinismE0ELb0ELb0ES3_PlS8_lN6thrust23THRUST_200600_302600_NS4plusIvEElEEDaPvRmT3_T4_T5_mT6_P12ihipStream_tbENKUlT_T0_E_clISt17integral_constantIbLb0EESP_IbLb1EEEEDaSL_SM_EUlSL_E0_NS1_11comp_targetILNS1_3genE2ELNS1_11target_archE906ELNS1_3gpuE6ELNS1_3repE0EEENS1_30default_config_static_selectorELNS0_4arch9wavefront6targetE1EEEvT1_: ; @_ZN7rocprim17ROCPRIM_400000_NS6detail17trampoline_kernelINS0_14default_configENS1_20scan_config_selectorIlEEZZNS1_9scan_implILNS1_25lookback_scan_determinismE0ELb0ELb0ES3_PlS8_lN6thrust23THRUST_200600_302600_NS4plusIvEElEEDaPvRmT3_T4_T5_mT6_P12ihipStream_tbENKUlT_T0_E_clISt17integral_constantIbLb0EESP_IbLb1EEEEDaSL_SM_EUlSL_E0_NS1_11comp_targetILNS1_3genE2ELNS1_11target_archE906ELNS1_3gpuE6ELNS1_3repE0EEENS1_30default_config_static_selectorELNS0_4arch9wavefront6targetE1EEEvT1_
; %bb.0:
	.section	.rodata,"a",@progbits
	.p2align	6, 0x0
	.amdhsa_kernel _ZN7rocprim17ROCPRIM_400000_NS6detail17trampoline_kernelINS0_14default_configENS1_20scan_config_selectorIlEEZZNS1_9scan_implILNS1_25lookback_scan_determinismE0ELb0ELb0ES3_PlS8_lN6thrust23THRUST_200600_302600_NS4plusIvEElEEDaPvRmT3_T4_T5_mT6_P12ihipStream_tbENKUlT_T0_E_clISt17integral_constantIbLb0EESP_IbLb1EEEEDaSL_SM_EUlSL_E0_NS1_11comp_targetILNS1_3genE2ELNS1_11target_archE906ELNS1_3gpuE6ELNS1_3repE0EEENS1_30default_config_static_selectorELNS0_4arch9wavefront6targetE1EEEvT1_
		.amdhsa_group_segment_fixed_size 0
		.amdhsa_private_segment_fixed_size 0
		.amdhsa_kernarg_size 40
		.amdhsa_user_sgpr_count 2
		.amdhsa_user_sgpr_dispatch_ptr 0
		.amdhsa_user_sgpr_queue_ptr 0
		.amdhsa_user_sgpr_kernarg_segment_ptr 1
		.amdhsa_user_sgpr_dispatch_id 0
		.amdhsa_user_sgpr_kernarg_preload_length 0
		.amdhsa_user_sgpr_kernarg_preload_offset 0
		.amdhsa_user_sgpr_private_segment_size 0
		.amdhsa_uses_dynamic_stack 0
		.amdhsa_enable_private_segment 0
		.amdhsa_system_sgpr_workgroup_id_x 1
		.amdhsa_system_sgpr_workgroup_id_y 0
		.amdhsa_system_sgpr_workgroup_id_z 0
		.amdhsa_system_sgpr_workgroup_info 0
		.amdhsa_system_vgpr_workitem_id 0
		.amdhsa_next_free_vgpr 1
		.amdhsa_next_free_sgpr 0
		.amdhsa_accum_offset 4
		.amdhsa_reserve_vcc 0
		.amdhsa_float_round_mode_32 0
		.amdhsa_float_round_mode_16_64 0
		.amdhsa_float_denorm_mode_32 3
		.amdhsa_float_denorm_mode_16_64 3
		.amdhsa_dx10_clamp 1
		.amdhsa_ieee_mode 1
		.amdhsa_fp16_overflow 0
		.amdhsa_tg_split 0
		.amdhsa_exception_fp_ieee_invalid_op 0
		.amdhsa_exception_fp_denorm_src 0
		.amdhsa_exception_fp_ieee_div_zero 0
		.amdhsa_exception_fp_ieee_overflow 0
		.amdhsa_exception_fp_ieee_underflow 0
		.amdhsa_exception_fp_ieee_inexact 0
		.amdhsa_exception_int_div_zero 0
	.end_amdhsa_kernel
	.section	.text._ZN7rocprim17ROCPRIM_400000_NS6detail17trampoline_kernelINS0_14default_configENS1_20scan_config_selectorIlEEZZNS1_9scan_implILNS1_25lookback_scan_determinismE0ELb0ELb0ES3_PlS8_lN6thrust23THRUST_200600_302600_NS4plusIvEElEEDaPvRmT3_T4_T5_mT6_P12ihipStream_tbENKUlT_T0_E_clISt17integral_constantIbLb0EESP_IbLb1EEEEDaSL_SM_EUlSL_E0_NS1_11comp_targetILNS1_3genE2ELNS1_11target_archE906ELNS1_3gpuE6ELNS1_3repE0EEENS1_30default_config_static_selectorELNS0_4arch9wavefront6targetE1EEEvT1_,"axG",@progbits,_ZN7rocprim17ROCPRIM_400000_NS6detail17trampoline_kernelINS0_14default_configENS1_20scan_config_selectorIlEEZZNS1_9scan_implILNS1_25lookback_scan_determinismE0ELb0ELb0ES3_PlS8_lN6thrust23THRUST_200600_302600_NS4plusIvEElEEDaPvRmT3_T4_T5_mT6_P12ihipStream_tbENKUlT_T0_E_clISt17integral_constantIbLb0EESP_IbLb1EEEEDaSL_SM_EUlSL_E0_NS1_11comp_targetILNS1_3genE2ELNS1_11target_archE906ELNS1_3gpuE6ELNS1_3repE0EEENS1_30default_config_static_selectorELNS0_4arch9wavefront6targetE1EEEvT1_,comdat
.Lfunc_end154:
	.size	_ZN7rocprim17ROCPRIM_400000_NS6detail17trampoline_kernelINS0_14default_configENS1_20scan_config_selectorIlEEZZNS1_9scan_implILNS1_25lookback_scan_determinismE0ELb0ELb0ES3_PlS8_lN6thrust23THRUST_200600_302600_NS4plusIvEElEEDaPvRmT3_T4_T5_mT6_P12ihipStream_tbENKUlT_T0_E_clISt17integral_constantIbLb0EESP_IbLb1EEEEDaSL_SM_EUlSL_E0_NS1_11comp_targetILNS1_3genE2ELNS1_11target_archE906ELNS1_3gpuE6ELNS1_3repE0EEENS1_30default_config_static_selectorELNS0_4arch9wavefront6targetE1EEEvT1_, .Lfunc_end154-_ZN7rocprim17ROCPRIM_400000_NS6detail17trampoline_kernelINS0_14default_configENS1_20scan_config_selectorIlEEZZNS1_9scan_implILNS1_25lookback_scan_determinismE0ELb0ELb0ES3_PlS8_lN6thrust23THRUST_200600_302600_NS4plusIvEElEEDaPvRmT3_T4_T5_mT6_P12ihipStream_tbENKUlT_T0_E_clISt17integral_constantIbLb0EESP_IbLb1EEEEDaSL_SM_EUlSL_E0_NS1_11comp_targetILNS1_3genE2ELNS1_11target_archE906ELNS1_3gpuE6ELNS1_3repE0EEENS1_30default_config_static_selectorELNS0_4arch9wavefront6targetE1EEEvT1_
                                        ; -- End function
	.set _ZN7rocprim17ROCPRIM_400000_NS6detail17trampoline_kernelINS0_14default_configENS1_20scan_config_selectorIlEEZZNS1_9scan_implILNS1_25lookback_scan_determinismE0ELb0ELb0ES3_PlS8_lN6thrust23THRUST_200600_302600_NS4plusIvEElEEDaPvRmT3_T4_T5_mT6_P12ihipStream_tbENKUlT_T0_E_clISt17integral_constantIbLb0EESP_IbLb1EEEEDaSL_SM_EUlSL_E0_NS1_11comp_targetILNS1_3genE2ELNS1_11target_archE906ELNS1_3gpuE6ELNS1_3repE0EEENS1_30default_config_static_selectorELNS0_4arch9wavefront6targetE1EEEvT1_.num_vgpr, 0
	.set _ZN7rocprim17ROCPRIM_400000_NS6detail17trampoline_kernelINS0_14default_configENS1_20scan_config_selectorIlEEZZNS1_9scan_implILNS1_25lookback_scan_determinismE0ELb0ELb0ES3_PlS8_lN6thrust23THRUST_200600_302600_NS4plusIvEElEEDaPvRmT3_T4_T5_mT6_P12ihipStream_tbENKUlT_T0_E_clISt17integral_constantIbLb0EESP_IbLb1EEEEDaSL_SM_EUlSL_E0_NS1_11comp_targetILNS1_3genE2ELNS1_11target_archE906ELNS1_3gpuE6ELNS1_3repE0EEENS1_30default_config_static_selectorELNS0_4arch9wavefront6targetE1EEEvT1_.num_agpr, 0
	.set _ZN7rocprim17ROCPRIM_400000_NS6detail17trampoline_kernelINS0_14default_configENS1_20scan_config_selectorIlEEZZNS1_9scan_implILNS1_25lookback_scan_determinismE0ELb0ELb0ES3_PlS8_lN6thrust23THRUST_200600_302600_NS4plusIvEElEEDaPvRmT3_T4_T5_mT6_P12ihipStream_tbENKUlT_T0_E_clISt17integral_constantIbLb0EESP_IbLb1EEEEDaSL_SM_EUlSL_E0_NS1_11comp_targetILNS1_3genE2ELNS1_11target_archE906ELNS1_3gpuE6ELNS1_3repE0EEENS1_30default_config_static_selectorELNS0_4arch9wavefront6targetE1EEEvT1_.numbered_sgpr, 0
	.set _ZN7rocprim17ROCPRIM_400000_NS6detail17trampoline_kernelINS0_14default_configENS1_20scan_config_selectorIlEEZZNS1_9scan_implILNS1_25lookback_scan_determinismE0ELb0ELb0ES3_PlS8_lN6thrust23THRUST_200600_302600_NS4plusIvEElEEDaPvRmT3_T4_T5_mT6_P12ihipStream_tbENKUlT_T0_E_clISt17integral_constantIbLb0EESP_IbLb1EEEEDaSL_SM_EUlSL_E0_NS1_11comp_targetILNS1_3genE2ELNS1_11target_archE906ELNS1_3gpuE6ELNS1_3repE0EEENS1_30default_config_static_selectorELNS0_4arch9wavefront6targetE1EEEvT1_.num_named_barrier, 0
	.set _ZN7rocprim17ROCPRIM_400000_NS6detail17trampoline_kernelINS0_14default_configENS1_20scan_config_selectorIlEEZZNS1_9scan_implILNS1_25lookback_scan_determinismE0ELb0ELb0ES3_PlS8_lN6thrust23THRUST_200600_302600_NS4plusIvEElEEDaPvRmT3_T4_T5_mT6_P12ihipStream_tbENKUlT_T0_E_clISt17integral_constantIbLb0EESP_IbLb1EEEEDaSL_SM_EUlSL_E0_NS1_11comp_targetILNS1_3genE2ELNS1_11target_archE906ELNS1_3gpuE6ELNS1_3repE0EEENS1_30default_config_static_selectorELNS0_4arch9wavefront6targetE1EEEvT1_.private_seg_size, 0
	.set _ZN7rocprim17ROCPRIM_400000_NS6detail17trampoline_kernelINS0_14default_configENS1_20scan_config_selectorIlEEZZNS1_9scan_implILNS1_25lookback_scan_determinismE0ELb0ELb0ES3_PlS8_lN6thrust23THRUST_200600_302600_NS4plusIvEElEEDaPvRmT3_T4_T5_mT6_P12ihipStream_tbENKUlT_T0_E_clISt17integral_constantIbLb0EESP_IbLb1EEEEDaSL_SM_EUlSL_E0_NS1_11comp_targetILNS1_3genE2ELNS1_11target_archE906ELNS1_3gpuE6ELNS1_3repE0EEENS1_30default_config_static_selectorELNS0_4arch9wavefront6targetE1EEEvT1_.uses_vcc, 0
	.set _ZN7rocprim17ROCPRIM_400000_NS6detail17trampoline_kernelINS0_14default_configENS1_20scan_config_selectorIlEEZZNS1_9scan_implILNS1_25lookback_scan_determinismE0ELb0ELb0ES3_PlS8_lN6thrust23THRUST_200600_302600_NS4plusIvEElEEDaPvRmT3_T4_T5_mT6_P12ihipStream_tbENKUlT_T0_E_clISt17integral_constantIbLb0EESP_IbLb1EEEEDaSL_SM_EUlSL_E0_NS1_11comp_targetILNS1_3genE2ELNS1_11target_archE906ELNS1_3gpuE6ELNS1_3repE0EEENS1_30default_config_static_selectorELNS0_4arch9wavefront6targetE1EEEvT1_.uses_flat_scratch, 0
	.set _ZN7rocprim17ROCPRIM_400000_NS6detail17trampoline_kernelINS0_14default_configENS1_20scan_config_selectorIlEEZZNS1_9scan_implILNS1_25lookback_scan_determinismE0ELb0ELb0ES3_PlS8_lN6thrust23THRUST_200600_302600_NS4plusIvEElEEDaPvRmT3_T4_T5_mT6_P12ihipStream_tbENKUlT_T0_E_clISt17integral_constantIbLb0EESP_IbLb1EEEEDaSL_SM_EUlSL_E0_NS1_11comp_targetILNS1_3genE2ELNS1_11target_archE906ELNS1_3gpuE6ELNS1_3repE0EEENS1_30default_config_static_selectorELNS0_4arch9wavefront6targetE1EEEvT1_.has_dyn_sized_stack, 0
	.set _ZN7rocprim17ROCPRIM_400000_NS6detail17trampoline_kernelINS0_14default_configENS1_20scan_config_selectorIlEEZZNS1_9scan_implILNS1_25lookback_scan_determinismE0ELb0ELb0ES3_PlS8_lN6thrust23THRUST_200600_302600_NS4plusIvEElEEDaPvRmT3_T4_T5_mT6_P12ihipStream_tbENKUlT_T0_E_clISt17integral_constantIbLb0EESP_IbLb1EEEEDaSL_SM_EUlSL_E0_NS1_11comp_targetILNS1_3genE2ELNS1_11target_archE906ELNS1_3gpuE6ELNS1_3repE0EEENS1_30default_config_static_selectorELNS0_4arch9wavefront6targetE1EEEvT1_.has_recursion, 0
	.set _ZN7rocprim17ROCPRIM_400000_NS6detail17trampoline_kernelINS0_14default_configENS1_20scan_config_selectorIlEEZZNS1_9scan_implILNS1_25lookback_scan_determinismE0ELb0ELb0ES3_PlS8_lN6thrust23THRUST_200600_302600_NS4plusIvEElEEDaPvRmT3_T4_T5_mT6_P12ihipStream_tbENKUlT_T0_E_clISt17integral_constantIbLb0EESP_IbLb1EEEEDaSL_SM_EUlSL_E0_NS1_11comp_targetILNS1_3genE2ELNS1_11target_archE906ELNS1_3gpuE6ELNS1_3repE0EEENS1_30default_config_static_selectorELNS0_4arch9wavefront6targetE1EEEvT1_.has_indirect_call, 0
	.section	.AMDGPU.csdata,"",@progbits
; Kernel info:
; codeLenInByte = 0
; TotalNumSgprs: 6
; NumVgprs: 0
; NumAgprs: 0
; TotalNumVgprs: 0
; ScratchSize: 0
; MemoryBound: 0
; FloatMode: 240
; IeeeMode: 1
; LDSByteSize: 0 bytes/workgroup (compile time only)
; SGPRBlocks: 0
; VGPRBlocks: 0
; NumSGPRsForWavesPerEU: 6
; NumVGPRsForWavesPerEU: 1
; AccumOffset: 4
; Occupancy: 8
; WaveLimiterHint : 0
; COMPUTE_PGM_RSRC2:SCRATCH_EN: 0
; COMPUTE_PGM_RSRC2:USER_SGPR: 2
; COMPUTE_PGM_RSRC2:TRAP_HANDLER: 0
; COMPUTE_PGM_RSRC2:TGID_X_EN: 1
; COMPUTE_PGM_RSRC2:TGID_Y_EN: 0
; COMPUTE_PGM_RSRC2:TGID_Z_EN: 0
; COMPUTE_PGM_RSRC2:TIDIG_COMP_CNT: 0
; COMPUTE_PGM_RSRC3_GFX90A:ACCUM_OFFSET: 0
; COMPUTE_PGM_RSRC3_GFX90A:TG_SPLIT: 0
	.section	.text._ZN7rocprim17ROCPRIM_400000_NS6detail17trampoline_kernelINS0_14default_configENS1_20scan_config_selectorIlEEZZNS1_9scan_implILNS1_25lookback_scan_determinismE0ELb0ELb0ES3_PlS8_lN6thrust23THRUST_200600_302600_NS4plusIvEElEEDaPvRmT3_T4_T5_mT6_P12ihipStream_tbENKUlT_T0_E_clISt17integral_constantIbLb0EESP_IbLb1EEEEDaSL_SM_EUlSL_E0_NS1_11comp_targetILNS1_3genE10ELNS1_11target_archE1201ELNS1_3gpuE5ELNS1_3repE0EEENS1_30default_config_static_selectorELNS0_4arch9wavefront6targetE1EEEvT1_,"axG",@progbits,_ZN7rocprim17ROCPRIM_400000_NS6detail17trampoline_kernelINS0_14default_configENS1_20scan_config_selectorIlEEZZNS1_9scan_implILNS1_25lookback_scan_determinismE0ELb0ELb0ES3_PlS8_lN6thrust23THRUST_200600_302600_NS4plusIvEElEEDaPvRmT3_T4_T5_mT6_P12ihipStream_tbENKUlT_T0_E_clISt17integral_constantIbLb0EESP_IbLb1EEEEDaSL_SM_EUlSL_E0_NS1_11comp_targetILNS1_3genE10ELNS1_11target_archE1201ELNS1_3gpuE5ELNS1_3repE0EEENS1_30default_config_static_selectorELNS0_4arch9wavefront6targetE1EEEvT1_,comdat
	.protected	_ZN7rocprim17ROCPRIM_400000_NS6detail17trampoline_kernelINS0_14default_configENS1_20scan_config_selectorIlEEZZNS1_9scan_implILNS1_25lookback_scan_determinismE0ELb0ELb0ES3_PlS8_lN6thrust23THRUST_200600_302600_NS4plusIvEElEEDaPvRmT3_T4_T5_mT6_P12ihipStream_tbENKUlT_T0_E_clISt17integral_constantIbLb0EESP_IbLb1EEEEDaSL_SM_EUlSL_E0_NS1_11comp_targetILNS1_3genE10ELNS1_11target_archE1201ELNS1_3gpuE5ELNS1_3repE0EEENS1_30default_config_static_selectorELNS0_4arch9wavefront6targetE1EEEvT1_ ; -- Begin function _ZN7rocprim17ROCPRIM_400000_NS6detail17trampoline_kernelINS0_14default_configENS1_20scan_config_selectorIlEEZZNS1_9scan_implILNS1_25lookback_scan_determinismE0ELb0ELb0ES3_PlS8_lN6thrust23THRUST_200600_302600_NS4plusIvEElEEDaPvRmT3_T4_T5_mT6_P12ihipStream_tbENKUlT_T0_E_clISt17integral_constantIbLb0EESP_IbLb1EEEEDaSL_SM_EUlSL_E0_NS1_11comp_targetILNS1_3genE10ELNS1_11target_archE1201ELNS1_3gpuE5ELNS1_3repE0EEENS1_30default_config_static_selectorELNS0_4arch9wavefront6targetE1EEEvT1_
	.globl	_ZN7rocprim17ROCPRIM_400000_NS6detail17trampoline_kernelINS0_14default_configENS1_20scan_config_selectorIlEEZZNS1_9scan_implILNS1_25lookback_scan_determinismE0ELb0ELb0ES3_PlS8_lN6thrust23THRUST_200600_302600_NS4plusIvEElEEDaPvRmT3_T4_T5_mT6_P12ihipStream_tbENKUlT_T0_E_clISt17integral_constantIbLb0EESP_IbLb1EEEEDaSL_SM_EUlSL_E0_NS1_11comp_targetILNS1_3genE10ELNS1_11target_archE1201ELNS1_3gpuE5ELNS1_3repE0EEENS1_30default_config_static_selectorELNS0_4arch9wavefront6targetE1EEEvT1_
	.p2align	8
	.type	_ZN7rocprim17ROCPRIM_400000_NS6detail17trampoline_kernelINS0_14default_configENS1_20scan_config_selectorIlEEZZNS1_9scan_implILNS1_25lookback_scan_determinismE0ELb0ELb0ES3_PlS8_lN6thrust23THRUST_200600_302600_NS4plusIvEElEEDaPvRmT3_T4_T5_mT6_P12ihipStream_tbENKUlT_T0_E_clISt17integral_constantIbLb0EESP_IbLb1EEEEDaSL_SM_EUlSL_E0_NS1_11comp_targetILNS1_3genE10ELNS1_11target_archE1201ELNS1_3gpuE5ELNS1_3repE0EEENS1_30default_config_static_selectorELNS0_4arch9wavefront6targetE1EEEvT1_,@function
_ZN7rocprim17ROCPRIM_400000_NS6detail17trampoline_kernelINS0_14default_configENS1_20scan_config_selectorIlEEZZNS1_9scan_implILNS1_25lookback_scan_determinismE0ELb0ELb0ES3_PlS8_lN6thrust23THRUST_200600_302600_NS4plusIvEElEEDaPvRmT3_T4_T5_mT6_P12ihipStream_tbENKUlT_T0_E_clISt17integral_constantIbLb0EESP_IbLb1EEEEDaSL_SM_EUlSL_E0_NS1_11comp_targetILNS1_3genE10ELNS1_11target_archE1201ELNS1_3gpuE5ELNS1_3repE0EEENS1_30default_config_static_selectorELNS0_4arch9wavefront6targetE1EEEvT1_: ; @_ZN7rocprim17ROCPRIM_400000_NS6detail17trampoline_kernelINS0_14default_configENS1_20scan_config_selectorIlEEZZNS1_9scan_implILNS1_25lookback_scan_determinismE0ELb0ELb0ES3_PlS8_lN6thrust23THRUST_200600_302600_NS4plusIvEElEEDaPvRmT3_T4_T5_mT6_P12ihipStream_tbENKUlT_T0_E_clISt17integral_constantIbLb0EESP_IbLb1EEEEDaSL_SM_EUlSL_E0_NS1_11comp_targetILNS1_3genE10ELNS1_11target_archE1201ELNS1_3gpuE5ELNS1_3repE0EEENS1_30default_config_static_selectorELNS0_4arch9wavefront6targetE1EEEvT1_
; %bb.0:
	.section	.rodata,"a",@progbits
	.p2align	6, 0x0
	.amdhsa_kernel _ZN7rocprim17ROCPRIM_400000_NS6detail17trampoline_kernelINS0_14default_configENS1_20scan_config_selectorIlEEZZNS1_9scan_implILNS1_25lookback_scan_determinismE0ELb0ELb0ES3_PlS8_lN6thrust23THRUST_200600_302600_NS4plusIvEElEEDaPvRmT3_T4_T5_mT6_P12ihipStream_tbENKUlT_T0_E_clISt17integral_constantIbLb0EESP_IbLb1EEEEDaSL_SM_EUlSL_E0_NS1_11comp_targetILNS1_3genE10ELNS1_11target_archE1201ELNS1_3gpuE5ELNS1_3repE0EEENS1_30default_config_static_selectorELNS0_4arch9wavefront6targetE1EEEvT1_
		.amdhsa_group_segment_fixed_size 0
		.amdhsa_private_segment_fixed_size 0
		.amdhsa_kernarg_size 40
		.amdhsa_user_sgpr_count 2
		.amdhsa_user_sgpr_dispatch_ptr 0
		.amdhsa_user_sgpr_queue_ptr 0
		.amdhsa_user_sgpr_kernarg_segment_ptr 1
		.amdhsa_user_sgpr_dispatch_id 0
		.amdhsa_user_sgpr_kernarg_preload_length 0
		.amdhsa_user_sgpr_kernarg_preload_offset 0
		.amdhsa_user_sgpr_private_segment_size 0
		.amdhsa_uses_dynamic_stack 0
		.amdhsa_enable_private_segment 0
		.amdhsa_system_sgpr_workgroup_id_x 1
		.amdhsa_system_sgpr_workgroup_id_y 0
		.amdhsa_system_sgpr_workgroup_id_z 0
		.amdhsa_system_sgpr_workgroup_info 0
		.amdhsa_system_vgpr_workitem_id 0
		.amdhsa_next_free_vgpr 1
		.amdhsa_next_free_sgpr 0
		.amdhsa_accum_offset 4
		.amdhsa_reserve_vcc 0
		.amdhsa_float_round_mode_32 0
		.amdhsa_float_round_mode_16_64 0
		.amdhsa_float_denorm_mode_32 3
		.amdhsa_float_denorm_mode_16_64 3
		.amdhsa_dx10_clamp 1
		.amdhsa_ieee_mode 1
		.amdhsa_fp16_overflow 0
		.amdhsa_tg_split 0
		.amdhsa_exception_fp_ieee_invalid_op 0
		.amdhsa_exception_fp_denorm_src 0
		.amdhsa_exception_fp_ieee_div_zero 0
		.amdhsa_exception_fp_ieee_overflow 0
		.amdhsa_exception_fp_ieee_underflow 0
		.amdhsa_exception_fp_ieee_inexact 0
		.amdhsa_exception_int_div_zero 0
	.end_amdhsa_kernel
	.section	.text._ZN7rocprim17ROCPRIM_400000_NS6detail17trampoline_kernelINS0_14default_configENS1_20scan_config_selectorIlEEZZNS1_9scan_implILNS1_25lookback_scan_determinismE0ELb0ELb0ES3_PlS8_lN6thrust23THRUST_200600_302600_NS4plusIvEElEEDaPvRmT3_T4_T5_mT6_P12ihipStream_tbENKUlT_T0_E_clISt17integral_constantIbLb0EESP_IbLb1EEEEDaSL_SM_EUlSL_E0_NS1_11comp_targetILNS1_3genE10ELNS1_11target_archE1201ELNS1_3gpuE5ELNS1_3repE0EEENS1_30default_config_static_selectorELNS0_4arch9wavefront6targetE1EEEvT1_,"axG",@progbits,_ZN7rocprim17ROCPRIM_400000_NS6detail17trampoline_kernelINS0_14default_configENS1_20scan_config_selectorIlEEZZNS1_9scan_implILNS1_25lookback_scan_determinismE0ELb0ELb0ES3_PlS8_lN6thrust23THRUST_200600_302600_NS4plusIvEElEEDaPvRmT3_T4_T5_mT6_P12ihipStream_tbENKUlT_T0_E_clISt17integral_constantIbLb0EESP_IbLb1EEEEDaSL_SM_EUlSL_E0_NS1_11comp_targetILNS1_3genE10ELNS1_11target_archE1201ELNS1_3gpuE5ELNS1_3repE0EEENS1_30default_config_static_selectorELNS0_4arch9wavefront6targetE1EEEvT1_,comdat
.Lfunc_end155:
	.size	_ZN7rocprim17ROCPRIM_400000_NS6detail17trampoline_kernelINS0_14default_configENS1_20scan_config_selectorIlEEZZNS1_9scan_implILNS1_25lookback_scan_determinismE0ELb0ELb0ES3_PlS8_lN6thrust23THRUST_200600_302600_NS4plusIvEElEEDaPvRmT3_T4_T5_mT6_P12ihipStream_tbENKUlT_T0_E_clISt17integral_constantIbLb0EESP_IbLb1EEEEDaSL_SM_EUlSL_E0_NS1_11comp_targetILNS1_3genE10ELNS1_11target_archE1201ELNS1_3gpuE5ELNS1_3repE0EEENS1_30default_config_static_selectorELNS0_4arch9wavefront6targetE1EEEvT1_, .Lfunc_end155-_ZN7rocprim17ROCPRIM_400000_NS6detail17trampoline_kernelINS0_14default_configENS1_20scan_config_selectorIlEEZZNS1_9scan_implILNS1_25lookback_scan_determinismE0ELb0ELb0ES3_PlS8_lN6thrust23THRUST_200600_302600_NS4plusIvEElEEDaPvRmT3_T4_T5_mT6_P12ihipStream_tbENKUlT_T0_E_clISt17integral_constantIbLb0EESP_IbLb1EEEEDaSL_SM_EUlSL_E0_NS1_11comp_targetILNS1_3genE10ELNS1_11target_archE1201ELNS1_3gpuE5ELNS1_3repE0EEENS1_30default_config_static_selectorELNS0_4arch9wavefront6targetE1EEEvT1_
                                        ; -- End function
	.set _ZN7rocprim17ROCPRIM_400000_NS6detail17trampoline_kernelINS0_14default_configENS1_20scan_config_selectorIlEEZZNS1_9scan_implILNS1_25lookback_scan_determinismE0ELb0ELb0ES3_PlS8_lN6thrust23THRUST_200600_302600_NS4plusIvEElEEDaPvRmT3_T4_T5_mT6_P12ihipStream_tbENKUlT_T0_E_clISt17integral_constantIbLb0EESP_IbLb1EEEEDaSL_SM_EUlSL_E0_NS1_11comp_targetILNS1_3genE10ELNS1_11target_archE1201ELNS1_3gpuE5ELNS1_3repE0EEENS1_30default_config_static_selectorELNS0_4arch9wavefront6targetE1EEEvT1_.num_vgpr, 0
	.set _ZN7rocprim17ROCPRIM_400000_NS6detail17trampoline_kernelINS0_14default_configENS1_20scan_config_selectorIlEEZZNS1_9scan_implILNS1_25lookback_scan_determinismE0ELb0ELb0ES3_PlS8_lN6thrust23THRUST_200600_302600_NS4plusIvEElEEDaPvRmT3_T4_T5_mT6_P12ihipStream_tbENKUlT_T0_E_clISt17integral_constantIbLb0EESP_IbLb1EEEEDaSL_SM_EUlSL_E0_NS1_11comp_targetILNS1_3genE10ELNS1_11target_archE1201ELNS1_3gpuE5ELNS1_3repE0EEENS1_30default_config_static_selectorELNS0_4arch9wavefront6targetE1EEEvT1_.num_agpr, 0
	.set _ZN7rocprim17ROCPRIM_400000_NS6detail17trampoline_kernelINS0_14default_configENS1_20scan_config_selectorIlEEZZNS1_9scan_implILNS1_25lookback_scan_determinismE0ELb0ELb0ES3_PlS8_lN6thrust23THRUST_200600_302600_NS4plusIvEElEEDaPvRmT3_T4_T5_mT6_P12ihipStream_tbENKUlT_T0_E_clISt17integral_constantIbLb0EESP_IbLb1EEEEDaSL_SM_EUlSL_E0_NS1_11comp_targetILNS1_3genE10ELNS1_11target_archE1201ELNS1_3gpuE5ELNS1_3repE0EEENS1_30default_config_static_selectorELNS0_4arch9wavefront6targetE1EEEvT1_.numbered_sgpr, 0
	.set _ZN7rocprim17ROCPRIM_400000_NS6detail17trampoline_kernelINS0_14default_configENS1_20scan_config_selectorIlEEZZNS1_9scan_implILNS1_25lookback_scan_determinismE0ELb0ELb0ES3_PlS8_lN6thrust23THRUST_200600_302600_NS4plusIvEElEEDaPvRmT3_T4_T5_mT6_P12ihipStream_tbENKUlT_T0_E_clISt17integral_constantIbLb0EESP_IbLb1EEEEDaSL_SM_EUlSL_E0_NS1_11comp_targetILNS1_3genE10ELNS1_11target_archE1201ELNS1_3gpuE5ELNS1_3repE0EEENS1_30default_config_static_selectorELNS0_4arch9wavefront6targetE1EEEvT1_.num_named_barrier, 0
	.set _ZN7rocprim17ROCPRIM_400000_NS6detail17trampoline_kernelINS0_14default_configENS1_20scan_config_selectorIlEEZZNS1_9scan_implILNS1_25lookback_scan_determinismE0ELb0ELb0ES3_PlS8_lN6thrust23THRUST_200600_302600_NS4plusIvEElEEDaPvRmT3_T4_T5_mT6_P12ihipStream_tbENKUlT_T0_E_clISt17integral_constantIbLb0EESP_IbLb1EEEEDaSL_SM_EUlSL_E0_NS1_11comp_targetILNS1_3genE10ELNS1_11target_archE1201ELNS1_3gpuE5ELNS1_3repE0EEENS1_30default_config_static_selectorELNS0_4arch9wavefront6targetE1EEEvT1_.private_seg_size, 0
	.set _ZN7rocprim17ROCPRIM_400000_NS6detail17trampoline_kernelINS0_14default_configENS1_20scan_config_selectorIlEEZZNS1_9scan_implILNS1_25lookback_scan_determinismE0ELb0ELb0ES3_PlS8_lN6thrust23THRUST_200600_302600_NS4plusIvEElEEDaPvRmT3_T4_T5_mT6_P12ihipStream_tbENKUlT_T0_E_clISt17integral_constantIbLb0EESP_IbLb1EEEEDaSL_SM_EUlSL_E0_NS1_11comp_targetILNS1_3genE10ELNS1_11target_archE1201ELNS1_3gpuE5ELNS1_3repE0EEENS1_30default_config_static_selectorELNS0_4arch9wavefront6targetE1EEEvT1_.uses_vcc, 0
	.set _ZN7rocprim17ROCPRIM_400000_NS6detail17trampoline_kernelINS0_14default_configENS1_20scan_config_selectorIlEEZZNS1_9scan_implILNS1_25lookback_scan_determinismE0ELb0ELb0ES3_PlS8_lN6thrust23THRUST_200600_302600_NS4plusIvEElEEDaPvRmT3_T4_T5_mT6_P12ihipStream_tbENKUlT_T0_E_clISt17integral_constantIbLb0EESP_IbLb1EEEEDaSL_SM_EUlSL_E0_NS1_11comp_targetILNS1_3genE10ELNS1_11target_archE1201ELNS1_3gpuE5ELNS1_3repE0EEENS1_30default_config_static_selectorELNS0_4arch9wavefront6targetE1EEEvT1_.uses_flat_scratch, 0
	.set _ZN7rocprim17ROCPRIM_400000_NS6detail17trampoline_kernelINS0_14default_configENS1_20scan_config_selectorIlEEZZNS1_9scan_implILNS1_25lookback_scan_determinismE0ELb0ELb0ES3_PlS8_lN6thrust23THRUST_200600_302600_NS4plusIvEElEEDaPvRmT3_T4_T5_mT6_P12ihipStream_tbENKUlT_T0_E_clISt17integral_constantIbLb0EESP_IbLb1EEEEDaSL_SM_EUlSL_E0_NS1_11comp_targetILNS1_3genE10ELNS1_11target_archE1201ELNS1_3gpuE5ELNS1_3repE0EEENS1_30default_config_static_selectorELNS0_4arch9wavefront6targetE1EEEvT1_.has_dyn_sized_stack, 0
	.set _ZN7rocprim17ROCPRIM_400000_NS6detail17trampoline_kernelINS0_14default_configENS1_20scan_config_selectorIlEEZZNS1_9scan_implILNS1_25lookback_scan_determinismE0ELb0ELb0ES3_PlS8_lN6thrust23THRUST_200600_302600_NS4plusIvEElEEDaPvRmT3_T4_T5_mT6_P12ihipStream_tbENKUlT_T0_E_clISt17integral_constantIbLb0EESP_IbLb1EEEEDaSL_SM_EUlSL_E0_NS1_11comp_targetILNS1_3genE10ELNS1_11target_archE1201ELNS1_3gpuE5ELNS1_3repE0EEENS1_30default_config_static_selectorELNS0_4arch9wavefront6targetE1EEEvT1_.has_recursion, 0
	.set _ZN7rocprim17ROCPRIM_400000_NS6detail17trampoline_kernelINS0_14default_configENS1_20scan_config_selectorIlEEZZNS1_9scan_implILNS1_25lookback_scan_determinismE0ELb0ELb0ES3_PlS8_lN6thrust23THRUST_200600_302600_NS4plusIvEElEEDaPvRmT3_T4_T5_mT6_P12ihipStream_tbENKUlT_T0_E_clISt17integral_constantIbLb0EESP_IbLb1EEEEDaSL_SM_EUlSL_E0_NS1_11comp_targetILNS1_3genE10ELNS1_11target_archE1201ELNS1_3gpuE5ELNS1_3repE0EEENS1_30default_config_static_selectorELNS0_4arch9wavefront6targetE1EEEvT1_.has_indirect_call, 0
	.section	.AMDGPU.csdata,"",@progbits
; Kernel info:
; codeLenInByte = 0
; TotalNumSgprs: 6
; NumVgprs: 0
; NumAgprs: 0
; TotalNumVgprs: 0
; ScratchSize: 0
; MemoryBound: 0
; FloatMode: 240
; IeeeMode: 1
; LDSByteSize: 0 bytes/workgroup (compile time only)
; SGPRBlocks: 0
; VGPRBlocks: 0
; NumSGPRsForWavesPerEU: 6
; NumVGPRsForWavesPerEU: 1
; AccumOffset: 4
; Occupancy: 8
; WaveLimiterHint : 0
; COMPUTE_PGM_RSRC2:SCRATCH_EN: 0
; COMPUTE_PGM_RSRC2:USER_SGPR: 2
; COMPUTE_PGM_RSRC2:TRAP_HANDLER: 0
; COMPUTE_PGM_RSRC2:TGID_X_EN: 1
; COMPUTE_PGM_RSRC2:TGID_Y_EN: 0
; COMPUTE_PGM_RSRC2:TGID_Z_EN: 0
; COMPUTE_PGM_RSRC2:TIDIG_COMP_CNT: 0
; COMPUTE_PGM_RSRC3_GFX90A:ACCUM_OFFSET: 0
; COMPUTE_PGM_RSRC3_GFX90A:TG_SPLIT: 0
	.section	.text._ZN7rocprim17ROCPRIM_400000_NS6detail17trampoline_kernelINS0_14default_configENS1_20scan_config_selectorIlEEZZNS1_9scan_implILNS1_25lookback_scan_determinismE0ELb0ELb0ES3_PlS8_lN6thrust23THRUST_200600_302600_NS4plusIvEElEEDaPvRmT3_T4_T5_mT6_P12ihipStream_tbENKUlT_T0_E_clISt17integral_constantIbLb0EESP_IbLb1EEEEDaSL_SM_EUlSL_E0_NS1_11comp_targetILNS1_3genE10ELNS1_11target_archE1200ELNS1_3gpuE4ELNS1_3repE0EEENS1_30default_config_static_selectorELNS0_4arch9wavefront6targetE1EEEvT1_,"axG",@progbits,_ZN7rocprim17ROCPRIM_400000_NS6detail17trampoline_kernelINS0_14default_configENS1_20scan_config_selectorIlEEZZNS1_9scan_implILNS1_25lookback_scan_determinismE0ELb0ELb0ES3_PlS8_lN6thrust23THRUST_200600_302600_NS4plusIvEElEEDaPvRmT3_T4_T5_mT6_P12ihipStream_tbENKUlT_T0_E_clISt17integral_constantIbLb0EESP_IbLb1EEEEDaSL_SM_EUlSL_E0_NS1_11comp_targetILNS1_3genE10ELNS1_11target_archE1200ELNS1_3gpuE4ELNS1_3repE0EEENS1_30default_config_static_selectorELNS0_4arch9wavefront6targetE1EEEvT1_,comdat
	.protected	_ZN7rocprim17ROCPRIM_400000_NS6detail17trampoline_kernelINS0_14default_configENS1_20scan_config_selectorIlEEZZNS1_9scan_implILNS1_25lookback_scan_determinismE0ELb0ELb0ES3_PlS8_lN6thrust23THRUST_200600_302600_NS4plusIvEElEEDaPvRmT3_T4_T5_mT6_P12ihipStream_tbENKUlT_T0_E_clISt17integral_constantIbLb0EESP_IbLb1EEEEDaSL_SM_EUlSL_E0_NS1_11comp_targetILNS1_3genE10ELNS1_11target_archE1200ELNS1_3gpuE4ELNS1_3repE0EEENS1_30default_config_static_selectorELNS0_4arch9wavefront6targetE1EEEvT1_ ; -- Begin function _ZN7rocprim17ROCPRIM_400000_NS6detail17trampoline_kernelINS0_14default_configENS1_20scan_config_selectorIlEEZZNS1_9scan_implILNS1_25lookback_scan_determinismE0ELb0ELb0ES3_PlS8_lN6thrust23THRUST_200600_302600_NS4plusIvEElEEDaPvRmT3_T4_T5_mT6_P12ihipStream_tbENKUlT_T0_E_clISt17integral_constantIbLb0EESP_IbLb1EEEEDaSL_SM_EUlSL_E0_NS1_11comp_targetILNS1_3genE10ELNS1_11target_archE1200ELNS1_3gpuE4ELNS1_3repE0EEENS1_30default_config_static_selectorELNS0_4arch9wavefront6targetE1EEEvT1_
	.globl	_ZN7rocprim17ROCPRIM_400000_NS6detail17trampoline_kernelINS0_14default_configENS1_20scan_config_selectorIlEEZZNS1_9scan_implILNS1_25lookback_scan_determinismE0ELb0ELb0ES3_PlS8_lN6thrust23THRUST_200600_302600_NS4plusIvEElEEDaPvRmT3_T4_T5_mT6_P12ihipStream_tbENKUlT_T0_E_clISt17integral_constantIbLb0EESP_IbLb1EEEEDaSL_SM_EUlSL_E0_NS1_11comp_targetILNS1_3genE10ELNS1_11target_archE1200ELNS1_3gpuE4ELNS1_3repE0EEENS1_30default_config_static_selectorELNS0_4arch9wavefront6targetE1EEEvT1_
	.p2align	8
	.type	_ZN7rocprim17ROCPRIM_400000_NS6detail17trampoline_kernelINS0_14default_configENS1_20scan_config_selectorIlEEZZNS1_9scan_implILNS1_25lookback_scan_determinismE0ELb0ELb0ES3_PlS8_lN6thrust23THRUST_200600_302600_NS4plusIvEElEEDaPvRmT3_T4_T5_mT6_P12ihipStream_tbENKUlT_T0_E_clISt17integral_constantIbLb0EESP_IbLb1EEEEDaSL_SM_EUlSL_E0_NS1_11comp_targetILNS1_3genE10ELNS1_11target_archE1200ELNS1_3gpuE4ELNS1_3repE0EEENS1_30default_config_static_selectorELNS0_4arch9wavefront6targetE1EEEvT1_,@function
_ZN7rocprim17ROCPRIM_400000_NS6detail17trampoline_kernelINS0_14default_configENS1_20scan_config_selectorIlEEZZNS1_9scan_implILNS1_25lookback_scan_determinismE0ELb0ELb0ES3_PlS8_lN6thrust23THRUST_200600_302600_NS4plusIvEElEEDaPvRmT3_T4_T5_mT6_P12ihipStream_tbENKUlT_T0_E_clISt17integral_constantIbLb0EESP_IbLb1EEEEDaSL_SM_EUlSL_E0_NS1_11comp_targetILNS1_3genE10ELNS1_11target_archE1200ELNS1_3gpuE4ELNS1_3repE0EEENS1_30default_config_static_selectorELNS0_4arch9wavefront6targetE1EEEvT1_: ; @_ZN7rocprim17ROCPRIM_400000_NS6detail17trampoline_kernelINS0_14default_configENS1_20scan_config_selectorIlEEZZNS1_9scan_implILNS1_25lookback_scan_determinismE0ELb0ELb0ES3_PlS8_lN6thrust23THRUST_200600_302600_NS4plusIvEElEEDaPvRmT3_T4_T5_mT6_P12ihipStream_tbENKUlT_T0_E_clISt17integral_constantIbLb0EESP_IbLb1EEEEDaSL_SM_EUlSL_E0_NS1_11comp_targetILNS1_3genE10ELNS1_11target_archE1200ELNS1_3gpuE4ELNS1_3repE0EEENS1_30default_config_static_selectorELNS0_4arch9wavefront6targetE1EEEvT1_
; %bb.0:
	.section	.rodata,"a",@progbits
	.p2align	6, 0x0
	.amdhsa_kernel _ZN7rocprim17ROCPRIM_400000_NS6detail17trampoline_kernelINS0_14default_configENS1_20scan_config_selectorIlEEZZNS1_9scan_implILNS1_25lookback_scan_determinismE0ELb0ELb0ES3_PlS8_lN6thrust23THRUST_200600_302600_NS4plusIvEElEEDaPvRmT3_T4_T5_mT6_P12ihipStream_tbENKUlT_T0_E_clISt17integral_constantIbLb0EESP_IbLb1EEEEDaSL_SM_EUlSL_E0_NS1_11comp_targetILNS1_3genE10ELNS1_11target_archE1200ELNS1_3gpuE4ELNS1_3repE0EEENS1_30default_config_static_selectorELNS0_4arch9wavefront6targetE1EEEvT1_
		.amdhsa_group_segment_fixed_size 0
		.amdhsa_private_segment_fixed_size 0
		.amdhsa_kernarg_size 40
		.amdhsa_user_sgpr_count 2
		.amdhsa_user_sgpr_dispatch_ptr 0
		.amdhsa_user_sgpr_queue_ptr 0
		.amdhsa_user_sgpr_kernarg_segment_ptr 1
		.amdhsa_user_sgpr_dispatch_id 0
		.amdhsa_user_sgpr_kernarg_preload_length 0
		.amdhsa_user_sgpr_kernarg_preload_offset 0
		.amdhsa_user_sgpr_private_segment_size 0
		.amdhsa_uses_dynamic_stack 0
		.amdhsa_enable_private_segment 0
		.amdhsa_system_sgpr_workgroup_id_x 1
		.amdhsa_system_sgpr_workgroup_id_y 0
		.amdhsa_system_sgpr_workgroup_id_z 0
		.amdhsa_system_sgpr_workgroup_info 0
		.amdhsa_system_vgpr_workitem_id 0
		.amdhsa_next_free_vgpr 1
		.amdhsa_next_free_sgpr 0
		.amdhsa_accum_offset 4
		.amdhsa_reserve_vcc 0
		.amdhsa_float_round_mode_32 0
		.amdhsa_float_round_mode_16_64 0
		.amdhsa_float_denorm_mode_32 3
		.amdhsa_float_denorm_mode_16_64 3
		.amdhsa_dx10_clamp 1
		.amdhsa_ieee_mode 1
		.amdhsa_fp16_overflow 0
		.amdhsa_tg_split 0
		.amdhsa_exception_fp_ieee_invalid_op 0
		.amdhsa_exception_fp_denorm_src 0
		.amdhsa_exception_fp_ieee_div_zero 0
		.amdhsa_exception_fp_ieee_overflow 0
		.amdhsa_exception_fp_ieee_underflow 0
		.amdhsa_exception_fp_ieee_inexact 0
		.amdhsa_exception_int_div_zero 0
	.end_amdhsa_kernel
	.section	.text._ZN7rocprim17ROCPRIM_400000_NS6detail17trampoline_kernelINS0_14default_configENS1_20scan_config_selectorIlEEZZNS1_9scan_implILNS1_25lookback_scan_determinismE0ELb0ELb0ES3_PlS8_lN6thrust23THRUST_200600_302600_NS4plusIvEElEEDaPvRmT3_T4_T5_mT6_P12ihipStream_tbENKUlT_T0_E_clISt17integral_constantIbLb0EESP_IbLb1EEEEDaSL_SM_EUlSL_E0_NS1_11comp_targetILNS1_3genE10ELNS1_11target_archE1200ELNS1_3gpuE4ELNS1_3repE0EEENS1_30default_config_static_selectorELNS0_4arch9wavefront6targetE1EEEvT1_,"axG",@progbits,_ZN7rocprim17ROCPRIM_400000_NS6detail17trampoline_kernelINS0_14default_configENS1_20scan_config_selectorIlEEZZNS1_9scan_implILNS1_25lookback_scan_determinismE0ELb0ELb0ES3_PlS8_lN6thrust23THRUST_200600_302600_NS4plusIvEElEEDaPvRmT3_T4_T5_mT6_P12ihipStream_tbENKUlT_T0_E_clISt17integral_constantIbLb0EESP_IbLb1EEEEDaSL_SM_EUlSL_E0_NS1_11comp_targetILNS1_3genE10ELNS1_11target_archE1200ELNS1_3gpuE4ELNS1_3repE0EEENS1_30default_config_static_selectorELNS0_4arch9wavefront6targetE1EEEvT1_,comdat
.Lfunc_end156:
	.size	_ZN7rocprim17ROCPRIM_400000_NS6detail17trampoline_kernelINS0_14default_configENS1_20scan_config_selectorIlEEZZNS1_9scan_implILNS1_25lookback_scan_determinismE0ELb0ELb0ES3_PlS8_lN6thrust23THRUST_200600_302600_NS4plusIvEElEEDaPvRmT3_T4_T5_mT6_P12ihipStream_tbENKUlT_T0_E_clISt17integral_constantIbLb0EESP_IbLb1EEEEDaSL_SM_EUlSL_E0_NS1_11comp_targetILNS1_3genE10ELNS1_11target_archE1200ELNS1_3gpuE4ELNS1_3repE0EEENS1_30default_config_static_selectorELNS0_4arch9wavefront6targetE1EEEvT1_, .Lfunc_end156-_ZN7rocprim17ROCPRIM_400000_NS6detail17trampoline_kernelINS0_14default_configENS1_20scan_config_selectorIlEEZZNS1_9scan_implILNS1_25lookback_scan_determinismE0ELb0ELb0ES3_PlS8_lN6thrust23THRUST_200600_302600_NS4plusIvEElEEDaPvRmT3_T4_T5_mT6_P12ihipStream_tbENKUlT_T0_E_clISt17integral_constantIbLb0EESP_IbLb1EEEEDaSL_SM_EUlSL_E0_NS1_11comp_targetILNS1_3genE10ELNS1_11target_archE1200ELNS1_3gpuE4ELNS1_3repE0EEENS1_30default_config_static_selectorELNS0_4arch9wavefront6targetE1EEEvT1_
                                        ; -- End function
	.set _ZN7rocprim17ROCPRIM_400000_NS6detail17trampoline_kernelINS0_14default_configENS1_20scan_config_selectorIlEEZZNS1_9scan_implILNS1_25lookback_scan_determinismE0ELb0ELb0ES3_PlS8_lN6thrust23THRUST_200600_302600_NS4plusIvEElEEDaPvRmT3_T4_T5_mT6_P12ihipStream_tbENKUlT_T0_E_clISt17integral_constantIbLb0EESP_IbLb1EEEEDaSL_SM_EUlSL_E0_NS1_11comp_targetILNS1_3genE10ELNS1_11target_archE1200ELNS1_3gpuE4ELNS1_3repE0EEENS1_30default_config_static_selectorELNS0_4arch9wavefront6targetE1EEEvT1_.num_vgpr, 0
	.set _ZN7rocprim17ROCPRIM_400000_NS6detail17trampoline_kernelINS0_14default_configENS1_20scan_config_selectorIlEEZZNS1_9scan_implILNS1_25lookback_scan_determinismE0ELb0ELb0ES3_PlS8_lN6thrust23THRUST_200600_302600_NS4plusIvEElEEDaPvRmT3_T4_T5_mT6_P12ihipStream_tbENKUlT_T0_E_clISt17integral_constantIbLb0EESP_IbLb1EEEEDaSL_SM_EUlSL_E0_NS1_11comp_targetILNS1_3genE10ELNS1_11target_archE1200ELNS1_3gpuE4ELNS1_3repE0EEENS1_30default_config_static_selectorELNS0_4arch9wavefront6targetE1EEEvT1_.num_agpr, 0
	.set _ZN7rocprim17ROCPRIM_400000_NS6detail17trampoline_kernelINS0_14default_configENS1_20scan_config_selectorIlEEZZNS1_9scan_implILNS1_25lookback_scan_determinismE0ELb0ELb0ES3_PlS8_lN6thrust23THRUST_200600_302600_NS4plusIvEElEEDaPvRmT3_T4_T5_mT6_P12ihipStream_tbENKUlT_T0_E_clISt17integral_constantIbLb0EESP_IbLb1EEEEDaSL_SM_EUlSL_E0_NS1_11comp_targetILNS1_3genE10ELNS1_11target_archE1200ELNS1_3gpuE4ELNS1_3repE0EEENS1_30default_config_static_selectorELNS0_4arch9wavefront6targetE1EEEvT1_.numbered_sgpr, 0
	.set _ZN7rocprim17ROCPRIM_400000_NS6detail17trampoline_kernelINS0_14default_configENS1_20scan_config_selectorIlEEZZNS1_9scan_implILNS1_25lookback_scan_determinismE0ELb0ELb0ES3_PlS8_lN6thrust23THRUST_200600_302600_NS4plusIvEElEEDaPvRmT3_T4_T5_mT6_P12ihipStream_tbENKUlT_T0_E_clISt17integral_constantIbLb0EESP_IbLb1EEEEDaSL_SM_EUlSL_E0_NS1_11comp_targetILNS1_3genE10ELNS1_11target_archE1200ELNS1_3gpuE4ELNS1_3repE0EEENS1_30default_config_static_selectorELNS0_4arch9wavefront6targetE1EEEvT1_.num_named_barrier, 0
	.set _ZN7rocprim17ROCPRIM_400000_NS6detail17trampoline_kernelINS0_14default_configENS1_20scan_config_selectorIlEEZZNS1_9scan_implILNS1_25lookback_scan_determinismE0ELb0ELb0ES3_PlS8_lN6thrust23THRUST_200600_302600_NS4plusIvEElEEDaPvRmT3_T4_T5_mT6_P12ihipStream_tbENKUlT_T0_E_clISt17integral_constantIbLb0EESP_IbLb1EEEEDaSL_SM_EUlSL_E0_NS1_11comp_targetILNS1_3genE10ELNS1_11target_archE1200ELNS1_3gpuE4ELNS1_3repE0EEENS1_30default_config_static_selectorELNS0_4arch9wavefront6targetE1EEEvT1_.private_seg_size, 0
	.set _ZN7rocprim17ROCPRIM_400000_NS6detail17trampoline_kernelINS0_14default_configENS1_20scan_config_selectorIlEEZZNS1_9scan_implILNS1_25lookback_scan_determinismE0ELb0ELb0ES3_PlS8_lN6thrust23THRUST_200600_302600_NS4plusIvEElEEDaPvRmT3_T4_T5_mT6_P12ihipStream_tbENKUlT_T0_E_clISt17integral_constantIbLb0EESP_IbLb1EEEEDaSL_SM_EUlSL_E0_NS1_11comp_targetILNS1_3genE10ELNS1_11target_archE1200ELNS1_3gpuE4ELNS1_3repE0EEENS1_30default_config_static_selectorELNS0_4arch9wavefront6targetE1EEEvT1_.uses_vcc, 0
	.set _ZN7rocprim17ROCPRIM_400000_NS6detail17trampoline_kernelINS0_14default_configENS1_20scan_config_selectorIlEEZZNS1_9scan_implILNS1_25lookback_scan_determinismE0ELb0ELb0ES3_PlS8_lN6thrust23THRUST_200600_302600_NS4plusIvEElEEDaPvRmT3_T4_T5_mT6_P12ihipStream_tbENKUlT_T0_E_clISt17integral_constantIbLb0EESP_IbLb1EEEEDaSL_SM_EUlSL_E0_NS1_11comp_targetILNS1_3genE10ELNS1_11target_archE1200ELNS1_3gpuE4ELNS1_3repE0EEENS1_30default_config_static_selectorELNS0_4arch9wavefront6targetE1EEEvT1_.uses_flat_scratch, 0
	.set _ZN7rocprim17ROCPRIM_400000_NS6detail17trampoline_kernelINS0_14default_configENS1_20scan_config_selectorIlEEZZNS1_9scan_implILNS1_25lookback_scan_determinismE0ELb0ELb0ES3_PlS8_lN6thrust23THRUST_200600_302600_NS4plusIvEElEEDaPvRmT3_T4_T5_mT6_P12ihipStream_tbENKUlT_T0_E_clISt17integral_constantIbLb0EESP_IbLb1EEEEDaSL_SM_EUlSL_E0_NS1_11comp_targetILNS1_3genE10ELNS1_11target_archE1200ELNS1_3gpuE4ELNS1_3repE0EEENS1_30default_config_static_selectorELNS0_4arch9wavefront6targetE1EEEvT1_.has_dyn_sized_stack, 0
	.set _ZN7rocprim17ROCPRIM_400000_NS6detail17trampoline_kernelINS0_14default_configENS1_20scan_config_selectorIlEEZZNS1_9scan_implILNS1_25lookback_scan_determinismE0ELb0ELb0ES3_PlS8_lN6thrust23THRUST_200600_302600_NS4plusIvEElEEDaPvRmT3_T4_T5_mT6_P12ihipStream_tbENKUlT_T0_E_clISt17integral_constantIbLb0EESP_IbLb1EEEEDaSL_SM_EUlSL_E0_NS1_11comp_targetILNS1_3genE10ELNS1_11target_archE1200ELNS1_3gpuE4ELNS1_3repE0EEENS1_30default_config_static_selectorELNS0_4arch9wavefront6targetE1EEEvT1_.has_recursion, 0
	.set _ZN7rocprim17ROCPRIM_400000_NS6detail17trampoline_kernelINS0_14default_configENS1_20scan_config_selectorIlEEZZNS1_9scan_implILNS1_25lookback_scan_determinismE0ELb0ELb0ES3_PlS8_lN6thrust23THRUST_200600_302600_NS4plusIvEElEEDaPvRmT3_T4_T5_mT6_P12ihipStream_tbENKUlT_T0_E_clISt17integral_constantIbLb0EESP_IbLb1EEEEDaSL_SM_EUlSL_E0_NS1_11comp_targetILNS1_3genE10ELNS1_11target_archE1200ELNS1_3gpuE4ELNS1_3repE0EEENS1_30default_config_static_selectorELNS0_4arch9wavefront6targetE1EEEvT1_.has_indirect_call, 0
	.section	.AMDGPU.csdata,"",@progbits
; Kernel info:
; codeLenInByte = 0
; TotalNumSgprs: 6
; NumVgprs: 0
; NumAgprs: 0
; TotalNumVgprs: 0
; ScratchSize: 0
; MemoryBound: 0
; FloatMode: 240
; IeeeMode: 1
; LDSByteSize: 0 bytes/workgroup (compile time only)
; SGPRBlocks: 0
; VGPRBlocks: 0
; NumSGPRsForWavesPerEU: 6
; NumVGPRsForWavesPerEU: 1
; AccumOffset: 4
; Occupancy: 8
; WaveLimiterHint : 0
; COMPUTE_PGM_RSRC2:SCRATCH_EN: 0
; COMPUTE_PGM_RSRC2:USER_SGPR: 2
; COMPUTE_PGM_RSRC2:TRAP_HANDLER: 0
; COMPUTE_PGM_RSRC2:TGID_X_EN: 1
; COMPUTE_PGM_RSRC2:TGID_Y_EN: 0
; COMPUTE_PGM_RSRC2:TGID_Z_EN: 0
; COMPUTE_PGM_RSRC2:TIDIG_COMP_CNT: 0
; COMPUTE_PGM_RSRC3_GFX90A:ACCUM_OFFSET: 0
; COMPUTE_PGM_RSRC3_GFX90A:TG_SPLIT: 0
	.section	.text._ZN7rocprim17ROCPRIM_400000_NS6detail17trampoline_kernelINS0_14default_configENS1_20scan_config_selectorIlEEZZNS1_9scan_implILNS1_25lookback_scan_determinismE0ELb0ELb0ES3_PlS8_lN6thrust23THRUST_200600_302600_NS4plusIvEElEEDaPvRmT3_T4_T5_mT6_P12ihipStream_tbENKUlT_T0_E_clISt17integral_constantIbLb0EESP_IbLb1EEEEDaSL_SM_EUlSL_E0_NS1_11comp_targetILNS1_3genE9ELNS1_11target_archE1100ELNS1_3gpuE3ELNS1_3repE0EEENS1_30default_config_static_selectorELNS0_4arch9wavefront6targetE1EEEvT1_,"axG",@progbits,_ZN7rocprim17ROCPRIM_400000_NS6detail17trampoline_kernelINS0_14default_configENS1_20scan_config_selectorIlEEZZNS1_9scan_implILNS1_25lookback_scan_determinismE0ELb0ELb0ES3_PlS8_lN6thrust23THRUST_200600_302600_NS4plusIvEElEEDaPvRmT3_T4_T5_mT6_P12ihipStream_tbENKUlT_T0_E_clISt17integral_constantIbLb0EESP_IbLb1EEEEDaSL_SM_EUlSL_E0_NS1_11comp_targetILNS1_3genE9ELNS1_11target_archE1100ELNS1_3gpuE3ELNS1_3repE0EEENS1_30default_config_static_selectorELNS0_4arch9wavefront6targetE1EEEvT1_,comdat
	.protected	_ZN7rocprim17ROCPRIM_400000_NS6detail17trampoline_kernelINS0_14default_configENS1_20scan_config_selectorIlEEZZNS1_9scan_implILNS1_25lookback_scan_determinismE0ELb0ELb0ES3_PlS8_lN6thrust23THRUST_200600_302600_NS4plusIvEElEEDaPvRmT3_T4_T5_mT6_P12ihipStream_tbENKUlT_T0_E_clISt17integral_constantIbLb0EESP_IbLb1EEEEDaSL_SM_EUlSL_E0_NS1_11comp_targetILNS1_3genE9ELNS1_11target_archE1100ELNS1_3gpuE3ELNS1_3repE0EEENS1_30default_config_static_selectorELNS0_4arch9wavefront6targetE1EEEvT1_ ; -- Begin function _ZN7rocprim17ROCPRIM_400000_NS6detail17trampoline_kernelINS0_14default_configENS1_20scan_config_selectorIlEEZZNS1_9scan_implILNS1_25lookback_scan_determinismE0ELb0ELb0ES3_PlS8_lN6thrust23THRUST_200600_302600_NS4plusIvEElEEDaPvRmT3_T4_T5_mT6_P12ihipStream_tbENKUlT_T0_E_clISt17integral_constantIbLb0EESP_IbLb1EEEEDaSL_SM_EUlSL_E0_NS1_11comp_targetILNS1_3genE9ELNS1_11target_archE1100ELNS1_3gpuE3ELNS1_3repE0EEENS1_30default_config_static_selectorELNS0_4arch9wavefront6targetE1EEEvT1_
	.globl	_ZN7rocprim17ROCPRIM_400000_NS6detail17trampoline_kernelINS0_14default_configENS1_20scan_config_selectorIlEEZZNS1_9scan_implILNS1_25lookback_scan_determinismE0ELb0ELb0ES3_PlS8_lN6thrust23THRUST_200600_302600_NS4plusIvEElEEDaPvRmT3_T4_T5_mT6_P12ihipStream_tbENKUlT_T0_E_clISt17integral_constantIbLb0EESP_IbLb1EEEEDaSL_SM_EUlSL_E0_NS1_11comp_targetILNS1_3genE9ELNS1_11target_archE1100ELNS1_3gpuE3ELNS1_3repE0EEENS1_30default_config_static_selectorELNS0_4arch9wavefront6targetE1EEEvT1_
	.p2align	8
	.type	_ZN7rocprim17ROCPRIM_400000_NS6detail17trampoline_kernelINS0_14default_configENS1_20scan_config_selectorIlEEZZNS1_9scan_implILNS1_25lookback_scan_determinismE0ELb0ELb0ES3_PlS8_lN6thrust23THRUST_200600_302600_NS4plusIvEElEEDaPvRmT3_T4_T5_mT6_P12ihipStream_tbENKUlT_T0_E_clISt17integral_constantIbLb0EESP_IbLb1EEEEDaSL_SM_EUlSL_E0_NS1_11comp_targetILNS1_3genE9ELNS1_11target_archE1100ELNS1_3gpuE3ELNS1_3repE0EEENS1_30default_config_static_selectorELNS0_4arch9wavefront6targetE1EEEvT1_,@function
_ZN7rocprim17ROCPRIM_400000_NS6detail17trampoline_kernelINS0_14default_configENS1_20scan_config_selectorIlEEZZNS1_9scan_implILNS1_25lookback_scan_determinismE0ELb0ELb0ES3_PlS8_lN6thrust23THRUST_200600_302600_NS4plusIvEElEEDaPvRmT3_T4_T5_mT6_P12ihipStream_tbENKUlT_T0_E_clISt17integral_constantIbLb0EESP_IbLb1EEEEDaSL_SM_EUlSL_E0_NS1_11comp_targetILNS1_3genE9ELNS1_11target_archE1100ELNS1_3gpuE3ELNS1_3repE0EEENS1_30default_config_static_selectorELNS0_4arch9wavefront6targetE1EEEvT1_: ; @_ZN7rocprim17ROCPRIM_400000_NS6detail17trampoline_kernelINS0_14default_configENS1_20scan_config_selectorIlEEZZNS1_9scan_implILNS1_25lookback_scan_determinismE0ELb0ELb0ES3_PlS8_lN6thrust23THRUST_200600_302600_NS4plusIvEElEEDaPvRmT3_T4_T5_mT6_P12ihipStream_tbENKUlT_T0_E_clISt17integral_constantIbLb0EESP_IbLb1EEEEDaSL_SM_EUlSL_E0_NS1_11comp_targetILNS1_3genE9ELNS1_11target_archE1100ELNS1_3gpuE3ELNS1_3repE0EEENS1_30default_config_static_selectorELNS0_4arch9wavefront6targetE1EEEvT1_
; %bb.0:
	.section	.rodata,"a",@progbits
	.p2align	6, 0x0
	.amdhsa_kernel _ZN7rocprim17ROCPRIM_400000_NS6detail17trampoline_kernelINS0_14default_configENS1_20scan_config_selectorIlEEZZNS1_9scan_implILNS1_25lookback_scan_determinismE0ELb0ELb0ES3_PlS8_lN6thrust23THRUST_200600_302600_NS4plusIvEElEEDaPvRmT3_T4_T5_mT6_P12ihipStream_tbENKUlT_T0_E_clISt17integral_constantIbLb0EESP_IbLb1EEEEDaSL_SM_EUlSL_E0_NS1_11comp_targetILNS1_3genE9ELNS1_11target_archE1100ELNS1_3gpuE3ELNS1_3repE0EEENS1_30default_config_static_selectorELNS0_4arch9wavefront6targetE1EEEvT1_
		.amdhsa_group_segment_fixed_size 0
		.amdhsa_private_segment_fixed_size 0
		.amdhsa_kernarg_size 40
		.amdhsa_user_sgpr_count 2
		.amdhsa_user_sgpr_dispatch_ptr 0
		.amdhsa_user_sgpr_queue_ptr 0
		.amdhsa_user_sgpr_kernarg_segment_ptr 1
		.amdhsa_user_sgpr_dispatch_id 0
		.amdhsa_user_sgpr_kernarg_preload_length 0
		.amdhsa_user_sgpr_kernarg_preload_offset 0
		.amdhsa_user_sgpr_private_segment_size 0
		.amdhsa_uses_dynamic_stack 0
		.amdhsa_enable_private_segment 0
		.amdhsa_system_sgpr_workgroup_id_x 1
		.amdhsa_system_sgpr_workgroup_id_y 0
		.amdhsa_system_sgpr_workgroup_id_z 0
		.amdhsa_system_sgpr_workgroup_info 0
		.amdhsa_system_vgpr_workitem_id 0
		.amdhsa_next_free_vgpr 1
		.amdhsa_next_free_sgpr 0
		.amdhsa_accum_offset 4
		.amdhsa_reserve_vcc 0
		.amdhsa_float_round_mode_32 0
		.amdhsa_float_round_mode_16_64 0
		.amdhsa_float_denorm_mode_32 3
		.amdhsa_float_denorm_mode_16_64 3
		.amdhsa_dx10_clamp 1
		.amdhsa_ieee_mode 1
		.amdhsa_fp16_overflow 0
		.amdhsa_tg_split 0
		.amdhsa_exception_fp_ieee_invalid_op 0
		.amdhsa_exception_fp_denorm_src 0
		.amdhsa_exception_fp_ieee_div_zero 0
		.amdhsa_exception_fp_ieee_overflow 0
		.amdhsa_exception_fp_ieee_underflow 0
		.amdhsa_exception_fp_ieee_inexact 0
		.amdhsa_exception_int_div_zero 0
	.end_amdhsa_kernel
	.section	.text._ZN7rocprim17ROCPRIM_400000_NS6detail17trampoline_kernelINS0_14default_configENS1_20scan_config_selectorIlEEZZNS1_9scan_implILNS1_25lookback_scan_determinismE0ELb0ELb0ES3_PlS8_lN6thrust23THRUST_200600_302600_NS4plusIvEElEEDaPvRmT3_T4_T5_mT6_P12ihipStream_tbENKUlT_T0_E_clISt17integral_constantIbLb0EESP_IbLb1EEEEDaSL_SM_EUlSL_E0_NS1_11comp_targetILNS1_3genE9ELNS1_11target_archE1100ELNS1_3gpuE3ELNS1_3repE0EEENS1_30default_config_static_selectorELNS0_4arch9wavefront6targetE1EEEvT1_,"axG",@progbits,_ZN7rocprim17ROCPRIM_400000_NS6detail17trampoline_kernelINS0_14default_configENS1_20scan_config_selectorIlEEZZNS1_9scan_implILNS1_25lookback_scan_determinismE0ELb0ELb0ES3_PlS8_lN6thrust23THRUST_200600_302600_NS4plusIvEElEEDaPvRmT3_T4_T5_mT6_P12ihipStream_tbENKUlT_T0_E_clISt17integral_constantIbLb0EESP_IbLb1EEEEDaSL_SM_EUlSL_E0_NS1_11comp_targetILNS1_3genE9ELNS1_11target_archE1100ELNS1_3gpuE3ELNS1_3repE0EEENS1_30default_config_static_selectorELNS0_4arch9wavefront6targetE1EEEvT1_,comdat
.Lfunc_end157:
	.size	_ZN7rocprim17ROCPRIM_400000_NS6detail17trampoline_kernelINS0_14default_configENS1_20scan_config_selectorIlEEZZNS1_9scan_implILNS1_25lookback_scan_determinismE0ELb0ELb0ES3_PlS8_lN6thrust23THRUST_200600_302600_NS4plusIvEElEEDaPvRmT3_T4_T5_mT6_P12ihipStream_tbENKUlT_T0_E_clISt17integral_constantIbLb0EESP_IbLb1EEEEDaSL_SM_EUlSL_E0_NS1_11comp_targetILNS1_3genE9ELNS1_11target_archE1100ELNS1_3gpuE3ELNS1_3repE0EEENS1_30default_config_static_selectorELNS0_4arch9wavefront6targetE1EEEvT1_, .Lfunc_end157-_ZN7rocprim17ROCPRIM_400000_NS6detail17trampoline_kernelINS0_14default_configENS1_20scan_config_selectorIlEEZZNS1_9scan_implILNS1_25lookback_scan_determinismE0ELb0ELb0ES3_PlS8_lN6thrust23THRUST_200600_302600_NS4plusIvEElEEDaPvRmT3_T4_T5_mT6_P12ihipStream_tbENKUlT_T0_E_clISt17integral_constantIbLb0EESP_IbLb1EEEEDaSL_SM_EUlSL_E0_NS1_11comp_targetILNS1_3genE9ELNS1_11target_archE1100ELNS1_3gpuE3ELNS1_3repE0EEENS1_30default_config_static_selectorELNS0_4arch9wavefront6targetE1EEEvT1_
                                        ; -- End function
	.set _ZN7rocprim17ROCPRIM_400000_NS6detail17trampoline_kernelINS0_14default_configENS1_20scan_config_selectorIlEEZZNS1_9scan_implILNS1_25lookback_scan_determinismE0ELb0ELb0ES3_PlS8_lN6thrust23THRUST_200600_302600_NS4plusIvEElEEDaPvRmT3_T4_T5_mT6_P12ihipStream_tbENKUlT_T0_E_clISt17integral_constantIbLb0EESP_IbLb1EEEEDaSL_SM_EUlSL_E0_NS1_11comp_targetILNS1_3genE9ELNS1_11target_archE1100ELNS1_3gpuE3ELNS1_3repE0EEENS1_30default_config_static_selectorELNS0_4arch9wavefront6targetE1EEEvT1_.num_vgpr, 0
	.set _ZN7rocprim17ROCPRIM_400000_NS6detail17trampoline_kernelINS0_14default_configENS1_20scan_config_selectorIlEEZZNS1_9scan_implILNS1_25lookback_scan_determinismE0ELb0ELb0ES3_PlS8_lN6thrust23THRUST_200600_302600_NS4plusIvEElEEDaPvRmT3_T4_T5_mT6_P12ihipStream_tbENKUlT_T0_E_clISt17integral_constantIbLb0EESP_IbLb1EEEEDaSL_SM_EUlSL_E0_NS1_11comp_targetILNS1_3genE9ELNS1_11target_archE1100ELNS1_3gpuE3ELNS1_3repE0EEENS1_30default_config_static_selectorELNS0_4arch9wavefront6targetE1EEEvT1_.num_agpr, 0
	.set _ZN7rocprim17ROCPRIM_400000_NS6detail17trampoline_kernelINS0_14default_configENS1_20scan_config_selectorIlEEZZNS1_9scan_implILNS1_25lookback_scan_determinismE0ELb0ELb0ES3_PlS8_lN6thrust23THRUST_200600_302600_NS4plusIvEElEEDaPvRmT3_T4_T5_mT6_P12ihipStream_tbENKUlT_T0_E_clISt17integral_constantIbLb0EESP_IbLb1EEEEDaSL_SM_EUlSL_E0_NS1_11comp_targetILNS1_3genE9ELNS1_11target_archE1100ELNS1_3gpuE3ELNS1_3repE0EEENS1_30default_config_static_selectorELNS0_4arch9wavefront6targetE1EEEvT1_.numbered_sgpr, 0
	.set _ZN7rocprim17ROCPRIM_400000_NS6detail17trampoline_kernelINS0_14default_configENS1_20scan_config_selectorIlEEZZNS1_9scan_implILNS1_25lookback_scan_determinismE0ELb0ELb0ES3_PlS8_lN6thrust23THRUST_200600_302600_NS4plusIvEElEEDaPvRmT3_T4_T5_mT6_P12ihipStream_tbENKUlT_T0_E_clISt17integral_constantIbLb0EESP_IbLb1EEEEDaSL_SM_EUlSL_E0_NS1_11comp_targetILNS1_3genE9ELNS1_11target_archE1100ELNS1_3gpuE3ELNS1_3repE0EEENS1_30default_config_static_selectorELNS0_4arch9wavefront6targetE1EEEvT1_.num_named_barrier, 0
	.set _ZN7rocprim17ROCPRIM_400000_NS6detail17trampoline_kernelINS0_14default_configENS1_20scan_config_selectorIlEEZZNS1_9scan_implILNS1_25lookback_scan_determinismE0ELb0ELb0ES3_PlS8_lN6thrust23THRUST_200600_302600_NS4plusIvEElEEDaPvRmT3_T4_T5_mT6_P12ihipStream_tbENKUlT_T0_E_clISt17integral_constantIbLb0EESP_IbLb1EEEEDaSL_SM_EUlSL_E0_NS1_11comp_targetILNS1_3genE9ELNS1_11target_archE1100ELNS1_3gpuE3ELNS1_3repE0EEENS1_30default_config_static_selectorELNS0_4arch9wavefront6targetE1EEEvT1_.private_seg_size, 0
	.set _ZN7rocprim17ROCPRIM_400000_NS6detail17trampoline_kernelINS0_14default_configENS1_20scan_config_selectorIlEEZZNS1_9scan_implILNS1_25lookback_scan_determinismE0ELb0ELb0ES3_PlS8_lN6thrust23THRUST_200600_302600_NS4plusIvEElEEDaPvRmT3_T4_T5_mT6_P12ihipStream_tbENKUlT_T0_E_clISt17integral_constantIbLb0EESP_IbLb1EEEEDaSL_SM_EUlSL_E0_NS1_11comp_targetILNS1_3genE9ELNS1_11target_archE1100ELNS1_3gpuE3ELNS1_3repE0EEENS1_30default_config_static_selectorELNS0_4arch9wavefront6targetE1EEEvT1_.uses_vcc, 0
	.set _ZN7rocprim17ROCPRIM_400000_NS6detail17trampoline_kernelINS0_14default_configENS1_20scan_config_selectorIlEEZZNS1_9scan_implILNS1_25lookback_scan_determinismE0ELb0ELb0ES3_PlS8_lN6thrust23THRUST_200600_302600_NS4plusIvEElEEDaPvRmT3_T4_T5_mT6_P12ihipStream_tbENKUlT_T0_E_clISt17integral_constantIbLb0EESP_IbLb1EEEEDaSL_SM_EUlSL_E0_NS1_11comp_targetILNS1_3genE9ELNS1_11target_archE1100ELNS1_3gpuE3ELNS1_3repE0EEENS1_30default_config_static_selectorELNS0_4arch9wavefront6targetE1EEEvT1_.uses_flat_scratch, 0
	.set _ZN7rocprim17ROCPRIM_400000_NS6detail17trampoline_kernelINS0_14default_configENS1_20scan_config_selectorIlEEZZNS1_9scan_implILNS1_25lookback_scan_determinismE0ELb0ELb0ES3_PlS8_lN6thrust23THRUST_200600_302600_NS4plusIvEElEEDaPvRmT3_T4_T5_mT6_P12ihipStream_tbENKUlT_T0_E_clISt17integral_constantIbLb0EESP_IbLb1EEEEDaSL_SM_EUlSL_E0_NS1_11comp_targetILNS1_3genE9ELNS1_11target_archE1100ELNS1_3gpuE3ELNS1_3repE0EEENS1_30default_config_static_selectorELNS0_4arch9wavefront6targetE1EEEvT1_.has_dyn_sized_stack, 0
	.set _ZN7rocprim17ROCPRIM_400000_NS6detail17trampoline_kernelINS0_14default_configENS1_20scan_config_selectorIlEEZZNS1_9scan_implILNS1_25lookback_scan_determinismE0ELb0ELb0ES3_PlS8_lN6thrust23THRUST_200600_302600_NS4plusIvEElEEDaPvRmT3_T4_T5_mT6_P12ihipStream_tbENKUlT_T0_E_clISt17integral_constantIbLb0EESP_IbLb1EEEEDaSL_SM_EUlSL_E0_NS1_11comp_targetILNS1_3genE9ELNS1_11target_archE1100ELNS1_3gpuE3ELNS1_3repE0EEENS1_30default_config_static_selectorELNS0_4arch9wavefront6targetE1EEEvT1_.has_recursion, 0
	.set _ZN7rocprim17ROCPRIM_400000_NS6detail17trampoline_kernelINS0_14default_configENS1_20scan_config_selectorIlEEZZNS1_9scan_implILNS1_25lookback_scan_determinismE0ELb0ELb0ES3_PlS8_lN6thrust23THRUST_200600_302600_NS4plusIvEElEEDaPvRmT3_T4_T5_mT6_P12ihipStream_tbENKUlT_T0_E_clISt17integral_constantIbLb0EESP_IbLb1EEEEDaSL_SM_EUlSL_E0_NS1_11comp_targetILNS1_3genE9ELNS1_11target_archE1100ELNS1_3gpuE3ELNS1_3repE0EEENS1_30default_config_static_selectorELNS0_4arch9wavefront6targetE1EEEvT1_.has_indirect_call, 0
	.section	.AMDGPU.csdata,"",@progbits
; Kernel info:
; codeLenInByte = 0
; TotalNumSgprs: 6
; NumVgprs: 0
; NumAgprs: 0
; TotalNumVgprs: 0
; ScratchSize: 0
; MemoryBound: 0
; FloatMode: 240
; IeeeMode: 1
; LDSByteSize: 0 bytes/workgroup (compile time only)
; SGPRBlocks: 0
; VGPRBlocks: 0
; NumSGPRsForWavesPerEU: 6
; NumVGPRsForWavesPerEU: 1
; AccumOffset: 4
; Occupancy: 8
; WaveLimiterHint : 0
; COMPUTE_PGM_RSRC2:SCRATCH_EN: 0
; COMPUTE_PGM_RSRC2:USER_SGPR: 2
; COMPUTE_PGM_RSRC2:TRAP_HANDLER: 0
; COMPUTE_PGM_RSRC2:TGID_X_EN: 1
; COMPUTE_PGM_RSRC2:TGID_Y_EN: 0
; COMPUTE_PGM_RSRC2:TGID_Z_EN: 0
; COMPUTE_PGM_RSRC2:TIDIG_COMP_CNT: 0
; COMPUTE_PGM_RSRC3_GFX90A:ACCUM_OFFSET: 0
; COMPUTE_PGM_RSRC3_GFX90A:TG_SPLIT: 0
	.section	.text._ZN7rocprim17ROCPRIM_400000_NS6detail17trampoline_kernelINS0_14default_configENS1_20scan_config_selectorIlEEZZNS1_9scan_implILNS1_25lookback_scan_determinismE0ELb0ELb0ES3_PlS8_lN6thrust23THRUST_200600_302600_NS4plusIvEElEEDaPvRmT3_T4_T5_mT6_P12ihipStream_tbENKUlT_T0_E_clISt17integral_constantIbLb0EESP_IbLb1EEEEDaSL_SM_EUlSL_E0_NS1_11comp_targetILNS1_3genE8ELNS1_11target_archE1030ELNS1_3gpuE2ELNS1_3repE0EEENS1_30default_config_static_selectorELNS0_4arch9wavefront6targetE1EEEvT1_,"axG",@progbits,_ZN7rocprim17ROCPRIM_400000_NS6detail17trampoline_kernelINS0_14default_configENS1_20scan_config_selectorIlEEZZNS1_9scan_implILNS1_25lookback_scan_determinismE0ELb0ELb0ES3_PlS8_lN6thrust23THRUST_200600_302600_NS4plusIvEElEEDaPvRmT3_T4_T5_mT6_P12ihipStream_tbENKUlT_T0_E_clISt17integral_constantIbLb0EESP_IbLb1EEEEDaSL_SM_EUlSL_E0_NS1_11comp_targetILNS1_3genE8ELNS1_11target_archE1030ELNS1_3gpuE2ELNS1_3repE0EEENS1_30default_config_static_selectorELNS0_4arch9wavefront6targetE1EEEvT1_,comdat
	.protected	_ZN7rocprim17ROCPRIM_400000_NS6detail17trampoline_kernelINS0_14default_configENS1_20scan_config_selectorIlEEZZNS1_9scan_implILNS1_25lookback_scan_determinismE0ELb0ELb0ES3_PlS8_lN6thrust23THRUST_200600_302600_NS4plusIvEElEEDaPvRmT3_T4_T5_mT6_P12ihipStream_tbENKUlT_T0_E_clISt17integral_constantIbLb0EESP_IbLb1EEEEDaSL_SM_EUlSL_E0_NS1_11comp_targetILNS1_3genE8ELNS1_11target_archE1030ELNS1_3gpuE2ELNS1_3repE0EEENS1_30default_config_static_selectorELNS0_4arch9wavefront6targetE1EEEvT1_ ; -- Begin function _ZN7rocprim17ROCPRIM_400000_NS6detail17trampoline_kernelINS0_14default_configENS1_20scan_config_selectorIlEEZZNS1_9scan_implILNS1_25lookback_scan_determinismE0ELb0ELb0ES3_PlS8_lN6thrust23THRUST_200600_302600_NS4plusIvEElEEDaPvRmT3_T4_T5_mT6_P12ihipStream_tbENKUlT_T0_E_clISt17integral_constantIbLb0EESP_IbLb1EEEEDaSL_SM_EUlSL_E0_NS1_11comp_targetILNS1_3genE8ELNS1_11target_archE1030ELNS1_3gpuE2ELNS1_3repE0EEENS1_30default_config_static_selectorELNS0_4arch9wavefront6targetE1EEEvT1_
	.globl	_ZN7rocprim17ROCPRIM_400000_NS6detail17trampoline_kernelINS0_14default_configENS1_20scan_config_selectorIlEEZZNS1_9scan_implILNS1_25lookback_scan_determinismE0ELb0ELb0ES3_PlS8_lN6thrust23THRUST_200600_302600_NS4plusIvEElEEDaPvRmT3_T4_T5_mT6_P12ihipStream_tbENKUlT_T0_E_clISt17integral_constantIbLb0EESP_IbLb1EEEEDaSL_SM_EUlSL_E0_NS1_11comp_targetILNS1_3genE8ELNS1_11target_archE1030ELNS1_3gpuE2ELNS1_3repE0EEENS1_30default_config_static_selectorELNS0_4arch9wavefront6targetE1EEEvT1_
	.p2align	8
	.type	_ZN7rocprim17ROCPRIM_400000_NS6detail17trampoline_kernelINS0_14default_configENS1_20scan_config_selectorIlEEZZNS1_9scan_implILNS1_25lookback_scan_determinismE0ELb0ELb0ES3_PlS8_lN6thrust23THRUST_200600_302600_NS4plusIvEElEEDaPvRmT3_T4_T5_mT6_P12ihipStream_tbENKUlT_T0_E_clISt17integral_constantIbLb0EESP_IbLb1EEEEDaSL_SM_EUlSL_E0_NS1_11comp_targetILNS1_3genE8ELNS1_11target_archE1030ELNS1_3gpuE2ELNS1_3repE0EEENS1_30default_config_static_selectorELNS0_4arch9wavefront6targetE1EEEvT1_,@function
_ZN7rocprim17ROCPRIM_400000_NS6detail17trampoline_kernelINS0_14default_configENS1_20scan_config_selectorIlEEZZNS1_9scan_implILNS1_25lookback_scan_determinismE0ELb0ELb0ES3_PlS8_lN6thrust23THRUST_200600_302600_NS4plusIvEElEEDaPvRmT3_T4_T5_mT6_P12ihipStream_tbENKUlT_T0_E_clISt17integral_constantIbLb0EESP_IbLb1EEEEDaSL_SM_EUlSL_E0_NS1_11comp_targetILNS1_3genE8ELNS1_11target_archE1030ELNS1_3gpuE2ELNS1_3repE0EEENS1_30default_config_static_selectorELNS0_4arch9wavefront6targetE1EEEvT1_: ; @_ZN7rocprim17ROCPRIM_400000_NS6detail17trampoline_kernelINS0_14default_configENS1_20scan_config_selectorIlEEZZNS1_9scan_implILNS1_25lookback_scan_determinismE0ELb0ELb0ES3_PlS8_lN6thrust23THRUST_200600_302600_NS4plusIvEElEEDaPvRmT3_T4_T5_mT6_P12ihipStream_tbENKUlT_T0_E_clISt17integral_constantIbLb0EESP_IbLb1EEEEDaSL_SM_EUlSL_E0_NS1_11comp_targetILNS1_3genE8ELNS1_11target_archE1030ELNS1_3gpuE2ELNS1_3repE0EEENS1_30default_config_static_selectorELNS0_4arch9wavefront6targetE1EEEvT1_
; %bb.0:
	.section	.rodata,"a",@progbits
	.p2align	6, 0x0
	.amdhsa_kernel _ZN7rocprim17ROCPRIM_400000_NS6detail17trampoline_kernelINS0_14default_configENS1_20scan_config_selectorIlEEZZNS1_9scan_implILNS1_25lookback_scan_determinismE0ELb0ELb0ES3_PlS8_lN6thrust23THRUST_200600_302600_NS4plusIvEElEEDaPvRmT3_T4_T5_mT6_P12ihipStream_tbENKUlT_T0_E_clISt17integral_constantIbLb0EESP_IbLb1EEEEDaSL_SM_EUlSL_E0_NS1_11comp_targetILNS1_3genE8ELNS1_11target_archE1030ELNS1_3gpuE2ELNS1_3repE0EEENS1_30default_config_static_selectorELNS0_4arch9wavefront6targetE1EEEvT1_
		.amdhsa_group_segment_fixed_size 0
		.amdhsa_private_segment_fixed_size 0
		.amdhsa_kernarg_size 40
		.amdhsa_user_sgpr_count 2
		.amdhsa_user_sgpr_dispatch_ptr 0
		.amdhsa_user_sgpr_queue_ptr 0
		.amdhsa_user_sgpr_kernarg_segment_ptr 1
		.amdhsa_user_sgpr_dispatch_id 0
		.amdhsa_user_sgpr_kernarg_preload_length 0
		.amdhsa_user_sgpr_kernarg_preload_offset 0
		.amdhsa_user_sgpr_private_segment_size 0
		.amdhsa_uses_dynamic_stack 0
		.amdhsa_enable_private_segment 0
		.amdhsa_system_sgpr_workgroup_id_x 1
		.amdhsa_system_sgpr_workgroup_id_y 0
		.amdhsa_system_sgpr_workgroup_id_z 0
		.amdhsa_system_sgpr_workgroup_info 0
		.amdhsa_system_vgpr_workitem_id 0
		.amdhsa_next_free_vgpr 1
		.amdhsa_next_free_sgpr 0
		.amdhsa_accum_offset 4
		.amdhsa_reserve_vcc 0
		.amdhsa_float_round_mode_32 0
		.amdhsa_float_round_mode_16_64 0
		.amdhsa_float_denorm_mode_32 3
		.amdhsa_float_denorm_mode_16_64 3
		.amdhsa_dx10_clamp 1
		.amdhsa_ieee_mode 1
		.amdhsa_fp16_overflow 0
		.amdhsa_tg_split 0
		.amdhsa_exception_fp_ieee_invalid_op 0
		.amdhsa_exception_fp_denorm_src 0
		.amdhsa_exception_fp_ieee_div_zero 0
		.amdhsa_exception_fp_ieee_overflow 0
		.amdhsa_exception_fp_ieee_underflow 0
		.amdhsa_exception_fp_ieee_inexact 0
		.amdhsa_exception_int_div_zero 0
	.end_amdhsa_kernel
	.section	.text._ZN7rocprim17ROCPRIM_400000_NS6detail17trampoline_kernelINS0_14default_configENS1_20scan_config_selectorIlEEZZNS1_9scan_implILNS1_25lookback_scan_determinismE0ELb0ELb0ES3_PlS8_lN6thrust23THRUST_200600_302600_NS4plusIvEElEEDaPvRmT3_T4_T5_mT6_P12ihipStream_tbENKUlT_T0_E_clISt17integral_constantIbLb0EESP_IbLb1EEEEDaSL_SM_EUlSL_E0_NS1_11comp_targetILNS1_3genE8ELNS1_11target_archE1030ELNS1_3gpuE2ELNS1_3repE0EEENS1_30default_config_static_selectorELNS0_4arch9wavefront6targetE1EEEvT1_,"axG",@progbits,_ZN7rocprim17ROCPRIM_400000_NS6detail17trampoline_kernelINS0_14default_configENS1_20scan_config_selectorIlEEZZNS1_9scan_implILNS1_25lookback_scan_determinismE0ELb0ELb0ES3_PlS8_lN6thrust23THRUST_200600_302600_NS4plusIvEElEEDaPvRmT3_T4_T5_mT6_P12ihipStream_tbENKUlT_T0_E_clISt17integral_constantIbLb0EESP_IbLb1EEEEDaSL_SM_EUlSL_E0_NS1_11comp_targetILNS1_3genE8ELNS1_11target_archE1030ELNS1_3gpuE2ELNS1_3repE0EEENS1_30default_config_static_selectorELNS0_4arch9wavefront6targetE1EEEvT1_,comdat
.Lfunc_end158:
	.size	_ZN7rocprim17ROCPRIM_400000_NS6detail17trampoline_kernelINS0_14default_configENS1_20scan_config_selectorIlEEZZNS1_9scan_implILNS1_25lookback_scan_determinismE0ELb0ELb0ES3_PlS8_lN6thrust23THRUST_200600_302600_NS4plusIvEElEEDaPvRmT3_T4_T5_mT6_P12ihipStream_tbENKUlT_T0_E_clISt17integral_constantIbLb0EESP_IbLb1EEEEDaSL_SM_EUlSL_E0_NS1_11comp_targetILNS1_3genE8ELNS1_11target_archE1030ELNS1_3gpuE2ELNS1_3repE0EEENS1_30default_config_static_selectorELNS0_4arch9wavefront6targetE1EEEvT1_, .Lfunc_end158-_ZN7rocprim17ROCPRIM_400000_NS6detail17trampoline_kernelINS0_14default_configENS1_20scan_config_selectorIlEEZZNS1_9scan_implILNS1_25lookback_scan_determinismE0ELb0ELb0ES3_PlS8_lN6thrust23THRUST_200600_302600_NS4plusIvEElEEDaPvRmT3_T4_T5_mT6_P12ihipStream_tbENKUlT_T0_E_clISt17integral_constantIbLb0EESP_IbLb1EEEEDaSL_SM_EUlSL_E0_NS1_11comp_targetILNS1_3genE8ELNS1_11target_archE1030ELNS1_3gpuE2ELNS1_3repE0EEENS1_30default_config_static_selectorELNS0_4arch9wavefront6targetE1EEEvT1_
                                        ; -- End function
	.set _ZN7rocprim17ROCPRIM_400000_NS6detail17trampoline_kernelINS0_14default_configENS1_20scan_config_selectorIlEEZZNS1_9scan_implILNS1_25lookback_scan_determinismE0ELb0ELb0ES3_PlS8_lN6thrust23THRUST_200600_302600_NS4plusIvEElEEDaPvRmT3_T4_T5_mT6_P12ihipStream_tbENKUlT_T0_E_clISt17integral_constantIbLb0EESP_IbLb1EEEEDaSL_SM_EUlSL_E0_NS1_11comp_targetILNS1_3genE8ELNS1_11target_archE1030ELNS1_3gpuE2ELNS1_3repE0EEENS1_30default_config_static_selectorELNS0_4arch9wavefront6targetE1EEEvT1_.num_vgpr, 0
	.set _ZN7rocprim17ROCPRIM_400000_NS6detail17trampoline_kernelINS0_14default_configENS1_20scan_config_selectorIlEEZZNS1_9scan_implILNS1_25lookback_scan_determinismE0ELb0ELb0ES3_PlS8_lN6thrust23THRUST_200600_302600_NS4plusIvEElEEDaPvRmT3_T4_T5_mT6_P12ihipStream_tbENKUlT_T0_E_clISt17integral_constantIbLb0EESP_IbLb1EEEEDaSL_SM_EUlSL_E0_NS1_11comp_targetILNS1_3genE8ELNS1_11target_archE1030ELNS1_3gpuE2ELNS1_3repE0EEENS1_30default_config_static_selectorELNS0_4arch9wavefront6targetE1EEEvT1_.num_agpr, 0
	.set _ZN7rocprim17ROCPRIM_400000_NS6detail17trampoline_kernelINS0_14default_configENS1_20scan_config_selectorIlEEZZNS1_9scan_implILNS1_25lookback_scan_determinismE0ELb0ELb0ES3_PlS8_lN6thrust23THRUST_200600_302600_NS4plusIvEElEEDaPvRmT3_T4_T5_mT6_P12ihipStream_tbENKUlT_T0_E_clISt17integral_constantIbLb0EESP_IbLb1EEEEDaSL_SM_EUlSL_E0_NS1_11comp_targetILNS1_3genE8ELNS1_11target_archE1030ELNS1_3gpuE2ELNS1_3repE0EEENS1_30default_config_static_selectorELNS0_4arch9wavefront6targetE1EEEvT1_.numbered_sgpr, 0
	.set _ZN7rocprim17ROCPRIM_400000_NS6detail17trampoline_kernelINS0_14default_configENS1_20scan_config_selectorIlEEZZNS1_9scan_implILNS1_25lookback_scan_determinismE0ELb0ELb0ES3_PlS8_lN6thrust23THRUST_200600_302600_NS4plusIvEElEEDaPvRmT3_T4_T5_mT6_P12ihipStream_tbENKUlT_T0_E_clISt17integral_constantIbLb0EESP_IbLb1EEEEDaSL_SM_EUlSL_E0_NS1_11comp_targetILNS1_3genE8ELNS1_11target_archE1030ELNS1_3gpuE2ELNS1_3repE0EEENS1_30default_config_static_selectorELNS0_4arch9wavefront6targetE1EEEvT1_.num_named_barrier, 0
	.set _ZN7rocprim17ROCPRIM_400000_NS6detail17trampoline_kernelINS0_14default_configENS1_20scan_config_selectorIlEEZZNS1_9scan_implILNS1_25lookback_scan_determinismE0ELb0ELb0ES3_PlS8_lN6thrust23THRUST_200600_302600_NS4plusIvEElEEDaPvRmT3_T4_T5_mT6_P12ihipStream_tbENKUlT_T0_E_clISt17integral_constantIbLb0EESP_IbLb1EEEEDaSL_SM_EUlSL_E0_NS1_11comp_targetILNS1_3genE8ELNS1_11target_archE1030ELNS1_3gpuE2ELNS1_3repE0EEENS1_30default_config_static_selectorELNS0_4arch9wavefront6targetE1EEEvT1_.private_seg_size, 0
	.set _ZN7rocprim17ROCPRIM_400000_NS6detail17trampoline_kernelINS0_14default_configENS1_20scan_config_selectorIlEEZZNS1_9scan_implILNS1_25lookback_scan_determinismE0ELb0ELb0ES3_PlS8_lN6thrust23THRUST_200600_302600_NS4plusIvEElEEDaPvRmT3_T4_T5_mT6_P12ihipStream_tbENKUlT_T0_E_clISt17integral_constantIbLb0EESP_IbLb1EEEEDaSL_SM_EUlSL_E0_NS1_11comp_targetILNS1_3genE8ELNS1_11target_archE1030ELNS1_3gpuE2ELNS1_3repE0EEENS1_30default_config_static_selectorELNS0_4arch9wavefront6targetE1EEEvT1_.uses_vcc, 0
	.set _ZN7rocprim17ROCPRIM_400000_NS6detail17trampoline_kernelINS0_14default_configENS1_20scan_config_selectorIlEEZZNS1_9scan_implILNS1_25lookback_scan_determinismE0ELb0ELb0ES3_PlS8_lN6thrust23THRUST_200600_302600_NS4plusIvEElEEDaPvRmT3_T4_T5_mT6_P12ihipStream_tbENKUlT_T0_E_clISt17integral_constantIbLb0EESP_IbLb1EEEEDaSL_SM_EUlSL_E0_NS1_11comp_targetILNS1_3genE8ELNS1_11target_archE1030ELNS1_3gpuE2ELNS1_3repE0EEENS1_30default_config_static_selectorELNS0_4arch9wavefront6targetE1EEEvT1_.uses_flat_scratch, 0
	.set _ZN7rocprim17ROCPRIM_400000_NS6detail17trampoline_kernelINS0_14default_configENS1_20scan_config_selectorIlEEZZNS1_9scan_implILNS1_25lookback_scan_determinismE0ELb0ELb0ES3_PlS8_lN6thrust23THRUST_200600_302600_NS4plusIvEElEEDaPvRmT3_T4_T5_mT6_P12ihipStream_tbENKUlT_T0_E_clISt17integral_constantIbLb0EESP_IbLb1EEEEDaSL_SM_EUlSL_E0_NS1_11comp_targetILNS1_3genE8ELNS1_11target_archE1030ELNS1_3gpuE2ELNS1_3repE0EEENS1_30default_config_static_selectorELNS0_4arch9wavefront6targetE1EEEvT1_.has_dyn_sized_stack, 0
	.set _ZN7rocprim17ROCPRIM_400000_NS6detail17trampoline_kernelINS0_14default_configENS1_20scan_config_selectorIlEEZZNS1_9scan_implILNS1_25lookback_scan_determinismE0ELb0ELb0ES3_PlS8_lN6thrust23THRUST_200600_302600_NS4plusIvEElEEDaPvRmT3_T4_T5_mT6_P12ihipStream_tbENKUlT_T0_E_clISt17integral_constantIbLb0EESP_IbLb1EEEEDaSL_SM_EUlSL_E0_NS1_11comp_targetILNS1_3genE8ELNS1_11target_archE1030ELNS1_3gpuE2ELNS1_3repE0EEENS1_30default_config_static_selectorELNS0_4arch9wavefront6targetE1EEEvT1_.has_recursion, 0
	.set _ZN7rocprim17ROCPRIM_400000_NS6detail17trampoline_kernelINS0_14default_configENS1_20scan_config_selectorIlEEZZNS1_9scan_implILNS1_25lookback_scan_determinismE0ELb0ELb0ES3_PlS8_lN6thrust23THRUST_200600_302600_NS4plusIvEElEEDaPvRmT3_T4_T5_mT6_P12ihipStream_tbENKUlT_T0_E_clISt17integral_constantIbLb0EESP_IbLb1EEEEDaSL_SM_EUlSL_E0_NS1_11comp_targetILNS1_3genE8ELNS1_11target_archE1030ELNS1_3gpuE2ELNS1_3repE0EEENS1_30default_config_static_selectorELNS0_4arch9wavefront6targetE1EEEvT1_.has_indirect_call, 0
	.section	.AMDGPU.csdata,"",@progbits
; Kernel info:
; codeLenInByte = 0
; TotalNumSgprs: 6
; NumVgprs: 0
; NumAgprs: 0
; TotalNumVgprs: 0
; ScratchSize: 0
; MemoryBound: 0
; FloatMode: 240
; IeeeMode: 1
; LDSByteSize: 0 bytes/workgroup (compile time only)
; SGPRBlocks: 0
; VGPRBlocks: 0
; NumSGPRsForWavesPerEU: 6
; NumVGPRsForWavesPerEU: 1
; AccumOffset: 4
; Occupancy: 8
; WaveLimiterHint : 0
; COMPUTE_PGM_RSRC2:SCRATCH_EN: 0
; COMPUTE_PGM_RSRC2:USER_SGPR: 2
; COMPUTE_PGM_RSRC2:TRAP_HANDLER: 0
; COMPUTE_PGM_RSRC2:TGID_X_EN: 1
; COMPUTE_PGM_RSRC2:TGID_Y_EN: 0
; COMPUTE_PGM_RSRC2:TGID_Z_EN: 0
; COMPUTE_PGM_RSRC2:TIDIG_COMP_CNT: 0
; COMPUTE_PGM_RSRC3_GFX90A:ACCUM_OFFSET: 0
; COMPUTE_PGM_RSRC3_GFX90A:TG_SPLIT: 0
	.section	.text._ZN6thrust23THRUST_200600_302600_NS11hip_rocprim14__parallel_for6kernelILj256ENS1_11__transform17unary_transform_fIPlNS0_20permutation_iteratorIS6_PKlEENS4_14no_stencil_tagENS1_8identityENS4_21always_true_predicateEEElLj1EEEvT0_T1_SG_,"axG",@progbits,_ZN6thrust23THRUST_200600_302600_NS11hip_rocprim14__parallel_for6kernelILj256ENS1_11__transform17unary_transform_fIPlNS0_20permutation_iteratorIS6_PKlEENS4_14no_stencil_tagENS1_8identityENS4_21always_true_predicateEEElLj1EEEvT0_T1_SG_,comdat
	.protected	_ZN6thrust23THRUST_200600_302600_NS11hip_rocprim14__parallel_for6kernelILj256ENS1_11__transform17unary_transform_fIPlNS0_20permutation_iteratorIS6_PKlEENS4_14no_stencil_tagENS1_8identityENS4_21always_true_predicateEEElLj1EEEvT0_T1_SG_ ; -- Begin function _ZN6thrust23THRUST_200600_302600_NS11hip_rocprim14__parallel_for6kernelILj256ENS1_11__transform17unary_transform_fIPlNS0_20permutation_iteratorIS6_PKlEENS4_14no_stencil_tagENS1_8identityENS4_21always_true_predicateEEElLj1EEEvT0_T1_SG_
	.globl	_ZN6thrust23THRUST_200600_302600_NS11hip_rocprim14__parallel_for6kernelILj256ENS1_11__transform17unary_transform_fIPlNS0_20permutation_iteratorIS6_PKlEENS4_14no_stencil_tagENS1_8identityENS4_21always_true_predicateEEElLj1EEEvT0_T1_SG_
	.p2align	8
	.type	_ZN6thrust23THRUST_200600_302600_NS11hip_rocprim14__parallel_for6kernelILj256ENS1_11__transform17unary_transform_fIPlNS0_20permutation_iteratorIS6_PKlEENS4_14no_stencil_tagENS1_8identityENS4_21always_true_predicateEEElLj1EEEvT0_T1_SG_,@function
_ZN6thrust23THRUST_200600_302600_NS11hip_rocprim14__parallel_for6kernelILj256ENS1_11__transform17unary_transform_fIPlNS0_20permutation_iteratorIS6_PKlEENS4_14no_stencil_tagENS1_8identityENS4_21always_true_predicateEEElLj1EEEvT0_T1_SG_: ; @_ZN6thrust23THRUST_200600_302600_NS11hip_rocprim14__parallel_for6kernelILj256ENS1_11__transform17unary_transform_fIPlNS0_20permutation_iteratorIS6_PKlEENS4_14no_stencil_tagENS1_8identityENS4_21always_true_predicateEEElLj1EEEvT0_T1_SG_
; %bb.0:
	s_load_dwordx4 s[4:7], s[0:1], 0x20
	s_lshl_b32 s2, s2, 8
	v_mov_b64_e32 v[2:3], 0x100
	s_waitcnt lgkmcnt(0)
	s_add_u32 s2, s6, s2
	s_addc_u32 s3, s7, 0
	s_sub_u32 s4, s4, s2
	s_subb_u32 s5, s5, s3
	v_cmp_lt_i64_e32 vcc, s[4:5], v[2:3]
	s_and_b64 s[6:7], vcc, exec
	s_cselect_b32 s6, s4, 0x100
	s_cmpk_eq_i32 s6, 0x100
	s_cselect_b64 s[4:5], -1, 0
	v_cmp_gt_u32_e32 vcc, s6, v0
	s_or_b64 s[4:5], s[4:5], vcc
	s_and_saveexec_b64 s[6:7], s[4:5]
	s_cbranch_execz .LBB159_2
; %bb.1:
	s_load_dwordx4 s[4:7], s[0:1], 0x0
	s_load_dwordx2 s[8:9], s[0:1], 0x10
	v_mov_b32_e32 v1, 0
	v_lshl_add_u64 v[0:1], s[2:3], 0, v[0:1]
	v_lshlrev_b64 v[0:1], 3, v[0:1]
	s_waitcnt lgkmcnt(0)
	v_lshl_add_u64 v[2:3], s[4:5], 0, v[0:1]
	v_lshl_add_u64 v[0:1], s[6:7], 0, v[0:1]
	global_load_dwordx2 v[4:5], v[0:1], off
	global_load_dwordx2 v[6:7], v[2:3], off
	s_waitcnt vmcnt(1)
	v_lshl_add_u64 v[0:1], v[4:5], 3, s[8:9]
	s_waitcnt vmcnt(0)
	global_store_dwordx2 v[0:1], v[6:7], off
.LBB159_2:
	s_endpgm
	.section	.rodata,"a",@progbits
	.p2align	6, 0x0
	.amdhsa_kernel _ZN6thrust23THRUST_200600_302600_NS11hip_rocprim14__parallel_for6kernelILj256ENS1_11__transform17unary_transform_fIPlNS0_20permutation_iteratorIS6_PKlEENS4_14no_stencil_tagENS1_8identityENS4_21always_true_predicateEEElLj1EEEvT0_T1_SG_
		.amdhsa_group_segment_fixed_size 0
		.amdhsa_private_segment_fixed_size 0
		.amdhsa_kernarg_size 48
		.amdhsa_user_sgpr_count 2
		.amdhsa_user_sgpr_dispatch_ptr 0
		.amdhsa_user_sgpr_queue_ptr 0
		.amdhsa_user_sgpr_kernarg_segment_ptr 1
		.amdhsa_user_sgpr_dispatch_id 0
		.amdhsa_user_sgpr_kernarg_preload_length 0
		.amdhsa_user_sgpr_kernarg_preload_offset 0
		.amdhsa_user_sgpr_private_segment_size 0
		.amdhsa_uses_dynamic_stack 0
		.amdhsa_enable_private_segment 0
		.amdhsa_system_sgpr_workgroup_id_x 1
		.amdhsa_system_sgpr_workgroup_id_y 0
		.amdhsa_system_sgpr_workgroup_id_z 0
		.amdhsa_system_sgpr_workgroup_info 0
		.amdhsa_system_vgpr_workitem_id 0
		.amdhsa_next_free_vgpr 8
		.amdhsa_next_free_sgpr 10
		.amdhsa_accum_offset 8
		.amdhsa_reserve_vcc 1
		.amdhsa_float_round_mode_32 0
		.amdhsa_float_round_mode_16_64 0
		.amdhsa_float_denorm_mode_32 3
		.amdhsa_float_denorm_mode_16_64 3
		.amdhsa_dx10_clamp 1
		.amdhsa_ieee_mode 1
		.amdhsa_fp16_overflow 0
		.amdhsa_tg_split 0
		.amdhsa_exception_fp_ieee_invalid_op 0
		.amdhsa_exception_fp_denorm_src 0
		.amdhsa_exception_fp_ieee_div_zero 0
		.amdhsa_exception_fp_ieee_overflow 0
		.amdhsa_exception_fp_ieee_underflow 0
		.amdhsa_exception_fp_ieee_inexact 0
		.amdhsa_exception_int_div_zero 0
	.end_amdhsa_kernel
	.section	.text._ZN6thrust23THRUST_200600_302600_NS11hip_rocprim14__parallel_for6kernelILj256ENS1_11__transform17unary_transform_fIPlNS0_20permutation_iteratorIS6_PKlEENS4_14no_stencil_tagENS1_8identityENS4_21always_true_predicateEEElLj1EEEvT0_T1_SG_,"axG",@progbits,_ZN6thrust23THRUST_200600_302600_NS11hip_rocprim14__parallel_for6kernelILj256ENS1_11__transform17unary_transform_fIPlNS0_20permutation_iteratorIS6_PKlEENS4_14no_stencil_tagENS1_8identityENS4_21always_true_predicateEEElLj1EEEvT0_T1_SG_,comdat
.Lfunc_end159:
	.size	_ZN6thrust23THRUST_200600_302600_NS11hip_rocprim14__parallel_for6kernelILj256ENS1_11__transform17unary_transform_fIPlNS0_20permutation_iteratorIS6_PKlEENS4_14no_stencil_tagENS1_8identityENS4_21always_true_predicateEEElLj1EEEvT0_T1_SG_, .Lfunc_end159-_ZN6thrust23THRUST_200600_302600_NS11hip_rocprim14__parallel_for6kernelILj256ENS1_11__transform17unary_transform_fIPlNS0_20permutation_iteratorIS6_PKlEENS4_14no_stencil_tagENS1_8identityENS4_21always_true_predicateEEElLj1EEEvT0_T1_SG_
                                        ; -- End function
	.set _ZN6thrust23THRUST_200600_302600_NS11hip_rocprim14__parallel_for6kernelILj256ENS1_11__transform17unary_transform_fIPlNS0_20permutation_iteratorIS6_PKlEENS4_14no_stencil_tagENS1_8identityENS4_21always_true_predicateEEElLj1EEEvT0_T1_SG_.num_vgpr, 8
	.set _ZN6thrust23THRUST_200600_302600_NS11hip_rocprim14__parallel_for6kernelILj256ENS1_11__transform17unary_transform_fIPlNS0_20permutation_iteratorIS6_PKlEENS4_14no_stencil_tagENS1_8identityENS4_21always_true_predicateEEElLj1EEEvT0_T1_SG_.num_agpr, 0
	.set _ZN6thrust23THRUST_200600_302600_NS11hip_rocprim14__parallel_for6kernelILj256ENS1_11__transform17unary_transform_fIPlNS0_20permutation_iteratorIS6_PKlEENS4_14no_stencil_tagENS1_8identityENS4_21always_true_predicateEEElLj1EEEvT0_T1_SG_.numbered_sgpr, 10
	.set _ZN6thrust23THRUST_200600_302600_NS11hip_rocprim14__parallel_for6kernelILj256ENS1_11__transform17unary_transform_fIPlNS0_20permutation_iteratorIS6_PKlEENS4_14no_stencil_tagENS1_8identityENS4_21always_true_predicateEEElLj1EEEvT0_T1_SG_.num_named_barrier, 0
	.set _ZN6thrust23THRUST_200600_302600_NS11hip_rocprim14__parallel_for6kernelILj256ENS1_11__transform17unary_transform_fIPlNS0_20permutation_iteratorIS6_PKlEENS4_14no_stencil_tagENS1_8identityENS4_21always_true_predicateEEElLj1EEEvT0_T1_SG_.private_seg_size, 0
	.set _ZN6thrust23THRUST_200600_302600_NS11hip_rocprim14__parallel_for6kernelILj256ENS1_11__transform17unary_transform_fIPlNS0_20permutation_iteratorIS6_PKlEENS4_14no_stencil_tagENS1_8identityENS4_21always_true_predicateEEElLj1EEEvT0_T1_SG_.uses_vcc, 1
	.set _ZN6thrust23THRUST_200600_302600_NS11hip_rocprim14__parallel_for6kernelILj256ENS1_11__transform17unary_transform_fIPlNS0_20permutation_iteratorIS6_PKlEENS4_14no_stencil_tagENS1_8identityENS4_21always_true_predicateEEElLj1EEEvT0_T1_SG_.uses_flat_scratch, 0
	.set _ZN6thrust23THRUST_200600_302600_NS11hip_rocprim14__parallel_for6kernelILj256ENS1_11__transform17unary_transform_fIPlNS0_20permutation_iteratorIS6_PKlEENS4_14no_stencil_tagENS1_8identityENS4_21always_true_predicateEEElLj1EEEvT0_T1_SG_.has_dyn_sized_stack, 0
	.set _ZN6thrust23THRUST_200600_302600_NS11hip_rocprim14__parallel_for6kernelILj256ENS1_11__transform17unary_transform_fIPlNS0_20permutation_iteratorIS6_PKlEENS4_14no_stencil_tagENS1_8identityENS4_21always_true_predicateEEElLj1EEEvT0_T1_SG_.has_recursion, 0
	.set _ZN6thrust23THRUST_200600_302600_NS11hip_rocprim14__parallel_for6kernelILj256ENS1_11__transform17unary_transform_fIPlNS0_20permutation_iteratorIS6_PKlEENS4_14no_stencil_tagENS1_8identityENS4_21always_true_predicateEEElLj1EEEvT0_T1_SG_.has_indirect_call, 0
	.section	.AMDGPU.csdata,"",@progbits
; Kernel info:
; codeLenInByte = 180
; TotalNumSgprs: 16
; NumVgprs: 8
; NumAgprs: 0
; TotalNumVgprs: 8
; ScratchSize: 0
; MemoryBound: 0
; FloatMode: 240
; IeeeMode: 1
; LDSByteSize: 0 bytes/workgroup (compile time only)
; SGPRBlocks: 1
; VGPRBlocks: 0
; NumSGPRsForWavesPerEU: 16
; NumVGPRsForWavesPerEU: 8
; AccumOffset: 8
; Occupancy: 8
; WaveLimiterHint : 1
; COMPUTE_PGM_RSRC2:SCRATCH_EN: 0
; COMPUTE_PGM_RSRC2:USER_SGPR: 2
; COMPUTE_PGM_RSRC2:TRAP_HANDLER: 0
; COMPUTE_PGM_RSRC2:TGID_X_EN: 1
; COMPUTE_PGM_RSRC2:TGID_Y_EN: 0
; COMPUTE_PGM_RSRC2:TGID_Z_EN: 0
; COMPUTE_PGM_RSRC2:TIDIG_COMP_CNT: 0
; COMPUTE_PGM_RSRC3_GFX90A:ACCUM_OFFSET: 1
; COMPUTE_PGM_RSRC3_GFX90A:TG_SPLIT: 0
	.section	.text._ZN7rocprim17ROCPRIM_400000_NS6detail31init_lookback_scan_state_kernelINS1_19lookback_scan_stateIjLb0ELb1EEENS1_16block_id_wrapperIjLb0EEEEEvT_jT0_jPNS7_10value_typeE,"axG",@progbits,_ZN7rocprim17ROCPRIM_400000_NS6detail31init_lookback_scan_state_kernelINS1_19lookback_scan_stateIjLb0ELb1EEENS1_16block_id_wrapperIjLb0EEEEEvT_jT0_jPNS7_10value_typeE,comdat
	.protected	_ZN7rocprim17ROCPRIM_400000_NS6detail31init_lookback_scan_state_kernelINS1_19lookback_scan_stateIjLb0ELb1EEENS1_16block_id_wrapperIjLb0EEEEEvT_jT0_jPNS7_10value_typeE ; -- Begin function _ZN7rocprim17ROCPRIM_400000_NS6detail31init_lookback_scan_state_kernelINS1_19lookback_scan_stateIjLb0ELb1EEENS1_16block_id_wrapperIjLb0EEEEEvT_jT0_jPNS7_10value_typeE
	.globl	_ZN7rocprim17ROCPRIM_400000_NS6detail31init_lookback_scan_state_kernelINS1_19lookback_scan_stateIjLb0ELb1EEENS1_16block_id_wrapperIjLb0EEEEEvT_jT0_jPNS7_10value_typeE
	.p2align	8
	.type	_ZN7rocprim17ROCPRIM_400000_NS6detail31init_lookback_scan_state_kernelINS1_19lookback_scan_stateIjLb0ELb1EEENS1_16block_id_wrapperIjLb0EEEEEvT_jT0_jPNS7_10value_typeE,@function
_ZN7rocprim17ROCPRIM_400000_NS6detail31init_lookback_scan_state_kernelINS1_19lookback_scan_stateIjLb0ELb1EEENS1_16block_id_wrapperIjLb0EEEEEvT_jT0_jPNS7_10value_typeE: ; @_ZN7rocprim17ROCPRIM_400000_NS6detail31init_lookback_scan_state_kernelINS1_19lookback_scan_stateIjLb0ELb1EEENS1_16block_id_wrapperIjLb0EEEEEvT_jT0_jPNS7_10value_typeE
; %bb.0:
	s_load_dword s3, s[0:1], 0x2c
	s_load_dwordx2 s[6:7], s[0:1], 0x18
	s_load_dwordx2 s[4:5], s[0:1], 0x0
	s_load_dword s8, s[0:1], 0x8
	s_waitcnt lgkmcnt(0)
	s_and_b32 s3, s3, 0xffff
	s_mul_i32 s2, s2, s3
	s_cmp_eq_u64 s[6:7], 0
	v_add_u32_e32 v0, s2, v0
	s_cbranch_scc1 .LBB160_6
; %bb.1:
	s_load_dword s2, s[0:1], 0x10
	s_mov_b32 s3, 0
	s_waitcnt lgkmcnt(0)
	s_cmp_lt_u32 s2, s8
	s_cselect_b32 s0, s2, 0
	v_cmp_eq_u32_e32 vcc, s0, v0
	s_and_saveexec_b64 s[0:1], vcc
	s_cbranch_execz .LBB160_5
; %bb.2:
	s_add_i32 s2, s2, 64
	s_lshl_b64 s[2:3], s[2:3], 3
	s_add_u32 s2, s4, s2
	s_addc_u32 s3, s5, s3
	v_mov_b32_e32 v4, 0
	global_load_dwordx2 v[2:3], v4, s[2:3] sc1
	s_waitcnt vmcnt(0)
	v_and_b32_e32 v5, 0xff, v3
	v_cmp_ne_u64_e32 vcc, 0, v[4:5]
	s_cbranch_vccnz .LBB160_4
.LBB160_3:                              ; =>This Inner Loop Header: Depth=1
	global_load_dwordx2 v[2:3], v4, s[2:3] sc1
	s_waitcnt vmcnt(0)
	v_and_b32_e32 v5, 0xff, v3
	v_cmp_eq_u64_e32 vcc, 0, v[4:5]
	s_cbranch_vccnz .LBB160_3
.LBB160_4:
	v_mov_b32_e32 v1, 0
	global_store_dword v1, v2, s[6:7]
.LBB160_5:
	s_or_b64 exec, exec, s[0:1]
.LBB160_6:
	v_cmp_gt_u32_e32 vcc, s8, v0
	s_and_saveexec_b64 s[0:1], vcc
	s_cbranch_execnz .LBB160_9
; %bb.7:
	s_or_b64 exec, exec, s[0:1]
	v_cmp_gt_u32_e32 vcc, 64, v0
	s_and_saveexec_b64 s[0:1], vcc
	s_cbranch_execnz .LBB160_10
.LBB160_8:
	s_endpgm
.LBB160_9:
	v_add_u32_e32 v2, 64, v0
	v_mov_b32_e32 v3, 0
	v_lshl_add_u64 v[4:5], v[2:3], 3, s[4:5]
	v_mov_b32_e32 v2, v3
	global_store_dwordx2 v[4:5], v[2:3], off
	s_or_b64 exec, exec, s[0:1]
	v_cmp_gt_u32_e32 vcc, 64, v0
	s_and_saveexec_b64 s[0:1], vcc
	s_cbranch_execz .LBB160_8
.LBB160_10:
	v_mov_b32_e32 v1, 0
	v_lshl_add_u64 v[2:3], v[0:1], 3, s[4:5]
	v_mov_b32_e32 v5, 0xff
	v_mov_b32_e32 v4, v1
	global_store_dwordx2 v[2:3], v[4:5], off
	s_endpgm
	.section	.rodata,"a",@progbits
	.p2align	6, 0x0
	.amdhsa_kernel _ZN7rocprim17ROCPRIM_400000_NS6detail31init_lookback_scan_state_kernelINS1_19lookback_scan_stateIjLb0ELb1EEENS1_16block_id_wrapperIjLb0EEEEEvT_jT0_jPNS7_10value_typeE
		.amdhsa_group_segment_fixed_size 0
		.amdhsa_private_segment_fixed_size 0
		.amdhsa_kernarg_size 288
		.amdhsa_user_sgpr_count 2
		.amdhsa_user_sgpr_dispatch_ptr 0
		.amdhsa_user_sgpr_queue_ptr 0
		.amdhsa_user_sgpr_kernarg_segment_ptr 1
		.amdhsa_user_sgpr_dispatch_id 0
		.amdhsa_user_sgpr_kernarg_preload_length 0
		.amdhsa_user_sgpr_kernarg_preload_offset 0
		.amdhsa_user_sgpr_private_segment_size 0
		.amdhsa_uses_dynamic_stack 0
		.amdhsa_enable_private_segment 0
		.amdhsa_system_sgpr_workgroup_id_x 1
		.amdhsa_system_sgpr_workgroup_id_y 0
		.amdhsa_system_sgpr_workgroup_id_z 0
		.amdhsa_system_sgpr_workgroup_info 0
		.amdhsa_system_vgpr_workitem_id 0
		.amdhsa_next_free_vgpr 6
		.amdhsa_next_free_sgpr 9
		.amdhsa_accum_offset 8
		.amdhsa_reserve_vcc 1
		.amdhsa_float_round_mode_32 0
		.amdhsa_float_round_mode_16_64 0
		.amdhsa_float_denorm_mode_32 3
		.amdhsa_float_denorm_mode_16_64 3
		.amdhsa_dx10_clamp 1
		.amdhsa_ieee_mode 1
		.amdhsa_fp16_overflow 0
		.amdhsa_tg_split 0
		.amdhsa_exception_fp_ieee_invalid_op 0
		.amdhsa_exception_fp_denorm_src 0
		.amdhsa_exception_fp_ieee_div_zero 0
		.amdhsa_exception_fp_ieee_overflow 0
		.amdhsa_exception_fp_ieee_underflow 0
		.amdhsa_exception_fp_ieee_inexact 0
		.amdhsa_exception_int_div_zero 0
	.end_amdhsa_kernel
	.section	.text._ZN7rocprim17ROCPRIM_400000_NS6detail31init_lookback_scan_state_kernelINS1_19lookback_scan_stateIjLb0ELb1EEENS1_16block_id_wrapperIjLb0EEEEEvT_jT0_jPNS7_10value_typeE,"axG",@progbits,_ZN7rocprim17ROCPRIM_400000_NS6detail31init_lookback_scan_state_kernelINS1_19lookback_scan_stateIjLb0ELb1EEENS1_16block_id_wrapperIjLb0EEEEEvT_jT0_jPNS7_10value_typeE,comdat
.Lfunc_end160:
	.size	_ZN7rocprim17ROCPRIM_400000_NS6detail31init_lookback_scan_state_kernelINS1_19lookback_scan_stateIjLb0ELb1EEENS1_16block_id_wrapperIjLb0EEEEEvT_jT0_jPNS7_10value_typeE, .Lfunc_end160-_ZN7rocprim17ROCPRIM_400000_NS6detail31init_lookback_scan_state_kernelINS1_19lookback_scan_stateIjLb0ELb1EEENS1_16block_id_wrapperIjLb0EEEEEvT_jT0_jPNS7_10value_typeE
                                        ; -- End function
	.set _ZN7rocprim17ROCPRIM_400000_NS6detail31init_lookback_scan_state_kernelINS1_19lookback_scan_stateIjLb0ELb1EEENS1_16block_id_wrapperIjLb0EEEEEvT_jT0_jPNS7_10value_typeE.num_vgpr, 6
	.set _ZN7rocprim17ROCPRIM_400000_NS6detail31init_lookback_scan_state_kernelINS1_19lookback_scan_stateIjLb0ELb1EEENS1_16block_id_wrapperIjLb0EEEEEvT_jT0_jPNS7_10value_typeE.num_agpr, 0
	.set _ZN7rocprim17ROCPRIM_400000_NS6detail31init_lookback_scan_state_kernelINS1_19lookback_scan_stateIjLb0ELb1EEENS1_16block_id_wrapperIjLb0EEEEEvT_jT0_jPNS7_10value_typeE.numbered_sgpr, 9
	.set _ZN7rocprim17ROCPRIM_400000_NS6detail31init_lookback_scan_state_kernelINS1_19lookback_scan_stateIjLb0ELb1EEENS1_16block_id_wrapperIjLb0EEEEEvT_jT0_jPNS7_10value_typeE.num_named_barrier, 0
	.set _ZN7rocprim17ROCPRIM_400000_NS6detail31init_lookback_scan_state_kernelINS1_19lookback_scan_stateIjLb0ELb1EEENS1_16block_id_wrapperIjLb0EEEEEvT_jT0_jPNS7_10value_typeE.private_seg_size, 0
	.set _ZN7rocprim17ROCPRIM_400000_NS6detail31init_lookback_scan_state_kernelINS1_19lookback_scan_stateIjLb0ELb1EEENS1_16block_id_wrapperIjLb0EEEEEvT_jT0_jPNS7_10value_typeE.uses_vcc, 1
	.set _ZN7rocprim17ROCPRIM_400000_NS6detail31init_lookback_scan_state_kernelINS1_19lookback_scan_stateIjLb0ELb1EEENS1_16block_id_wrapperIjLb0EEEEEvT_jT0_jPNS7_10value_typeE.uses_flat_scratch, 0
	.set _ZN7rocprim17ROCPRIM_400000_NS6detail31init_lookback_scan_state_kernelINS1_19lookback_scan_stateIjLb0ELb1EEENS1_16block_id_wrapperIjLb0EEEEEvT_jT0_jPNS7_10value_typeE.has_dyn_sized_stack, 0
	.set _ZN7rocprim17ROCPRIM_400000_NS6detail31init_lookback_scan_state_kernelINS1_19lookback_scan_stateIjLb0ELb1EEENS1_16block_id_wrapperIjLb0EEEEEvT_jT0_jPNS7_10value_typeE.has_recursion, 0
	.set _ZN7rocprim17ROCPRIM_400000_NS6detail31init_lookback_scan_state_kernelINS1_19lookback_scan_stateIjLb0ELb1EEENS1_16block_id_wrapperIjLb0EEEEEvT_jT0_jPNS7_10value_typeE.has_indirect_call, 0
	.section	.AMDGPU.csdata,"",@progbits
; Kernel info:
; codeLenInByte = 300
; TotalNumSgprs: 15
; NumVgprs: 6
; NumAgprs: 0
; TotalNumVgprs: 6
; ScratchSize: 0
; MemoryBound: 0
; FloatMode: 240
; IeeeMode: 1
; LDSByteSize: 0 bytes/workgroup (compile time only)
; SGPRBlocks: 1
; VGPRBlocks: 0
; NumSGPRsForWavesPerEU: 15
; NumVGPRsForWavesPerEU: 6
; AccumOffset: 8
; Occupancy: 8
; WaveLimiterHint : 0
; COMPUTE_PGM_RSRC2:SCRATCH_EN: 0
; COMPUTE_PGM_RSRC2:USER_SGPR: 2
; COMPUTE_PGM_RSRC2:TRAP_HANDLER: 0
; COMPUTE_PGM_RSRC2:TGID_X_EN: 1
; COMPUTE_PGM_RSRC2:TGID_Y_EN: 0
; COMPUTE_PGM_RSRC2:TGID_Z_EN: 0
; COMPUTE_PGM_RSRC2:TIDIG_COMP_CNT: 0
; COMPUTE_PGM_RSRC3_GFX90A:ACCUM_OFFSET: 1
; COMPUTE_PGM_RSRC3_GFX90A:TG_SPLIT: 0
	.section	.text._ZN7rocprim17ROCPRIM_400000_NS6detail17trampoline_kernelINS0_14default_configENS1_25partition_config_selectorILNS1_17partition_subalgoE8ElNS0_10empty_typeEbEEZZNS1_14partition_implILS5_8ELb0ES3_jPlPS6_PKS6_NS0_5tupleIJS9_S6_EEENSD_IJSA_SA_EEENS0_18inequality_wrapperIZN2at6native12_GLOBAL__N_124unique_dim_cuda_templateIhEESt5tupleIJNSH_6TensorESM_SM_EERKSM_lbbbEUlllE0_EEPmJS6_EEE10hipError_tPvRmT3_T4_T5_T6_T7_T9_mT8_P12ihipStream_tbDpT10_ENKUlT_T0_E_clISt17integral_constantIbLb0EES1C_EEDaS17_S18_EUlS17_E_NS1_11comp_targetILNS1_3genE0ELNS1_11target_archE4294967295ELNS1_3gpuE0ELNS1_3repE0EEENS1_30default_config_static_selectorELNS0_4arch9wavefront6targetE1EEEvT1_,"axG",@progbits,_ZN7rocprim17ROCPRIM_400000_NS6detail17trampoline_kernelINS0_14default_configENS1_25partition_config_selectorILNS1_17partition_subalgoE8ElNS0_10empty_typeEbEEZZNS1_14partition_implILS5_8ELb0ES3_jPlPS6_PKS6_NS0_5tupleIJS9_S6_EEENSD_IJSA_SA_EEENS0_18inequality_wrapperIZN2at6native12_GLOBAL__N_124unique_dim_cuda_templateIhEESt5tupleIJNSH_6TensorESM_SM_EERKSM_lbbbEUlllE0_EEPmJS6_EEE10hipError_tPvRmT3_T4_T5_T6_T7_T9_mT8_P12ihipStream_tbDpT10_ENKUlT_T0_E_clISt17integral_constantIbLb0EES1C_EEDaS17_S18_EUlS17_E_NS1_11comp_targetILNS1_3genE0ELNS1_11target_archE4294967295ELNS1_3gpuE0ELNS1_3repE0EEENS1_30default_config_static_selectorELNS0_4arch9wavefront6targetE1EEEvT1_,comdat
	.globl	_ZN7rocprim17ROCPRIM_400000_NS6detail17trampoline_kernelINS0_14default_configENS1_25partition_config_selectorILNS1_17partition_subalgoE8ElNS0_10empty_typeEbEEZZNS1_14partition_implILS5_8ELb0ES3_jPlPS6_PKS6_NS0_5tupleIJS9_S6_EEENSD_IJSA_SA_EEENS0_18inequality_wrapperIZN2at6native12_GLOBAL__N_124unique_dim_cuda_templateIhEESt5tupleIJNSH_6TensorESM_SM_EERKSM_lbbbEUlllE0_EEPmJS6_EEE10hipError_tPvRmT3_T4_T5_T6_T7_T9_mT8_P12ihipStream_tbDpT10_ENKUlT_T0_E_clISt17integral_constantIbLb0EES1C_EEDaS17_S18_EUlS17_E_NS1_11comp_targetILNS1_3genE0ELNS1_11target_archE4294967295ELNS1_3gpuE0ELNS1_3repE0EEENS1_30default_config_static_selectorELNS0_4arch9wavefront6targetE1EEEvT1_ ; -- Begin function _ZN7rocprim17ROCPRIM_400000_NS6detail17trampoline_kernelINS0_14default_configENS1_25partition_config_selectorILNS1_17partition_subalgoE8ElNS0_10empty_typeEbEEZZNS1_14partition_implILS5_8ELb0ES3_jPlPS6_PKS6_NS0_5tupleIJS9_S6_EEENSD_IJSA_SA_EEENS0_18inequality_wrapperIZN2at6native12_GLOBAL__N_124unique_dim_cuda_templateIhEESt5tupleIJNSH_6TensorESM_SM_EERKSM_lbbbEUlllE0_EEPmJS6_EEE10hipError_tPvRmT3_T4_T5_T6_T7_T9_mT8_P12ihipStream_tbDpT10_ENKUlT_T0_E_clISt17integral_constantIbLb0EES1C_EEDaS17_S18_EUlS17_E_NS1_11comp_targetILNS1_3genE0ELNS1_11target_archE4294967295ELNS1_3gpuE0ELNS1_3repE0EEENS1_30default_config_static_selectorELNS0_4arch9wavefront6targetE1EEEvT1_
	.p2align	8
	.type	_ZN7rocprim17ROCPRIM_400000_NS6detail17trampoline_kernelINS0_14default_configENS1_25partition_config_selectorILNS1_17partition_subalgoE8ElNS0_10empty_typeEbEEZZNS1_14partition_implILS5_8ELb0ES3_jPlPS6_PKS6_NS0_5tupleIJS9_S6_EEENSD_IJSA_SA_EEENS0_18inequality_wrapperIZN2at6native12_GLOBAL__N_124unique_dim_cuda_templateIhEESt5tupleIJNSH_6TensorESM_SM_EERKSM_lbbbEUlllE0_EEPmJS6_EEE10hipError_tPvRmT3_T4_T5_T6_T7_T9_mT8_P12ihipStream_tbDpT10_ENKUlT_T0_E_clISt17integral_constantIbLb0EES1C_EEDaS17_S18_EUlS17_E_NS1_11comp_targetILNS1_3genE0ELNS1_11target_archE4294967295ELNS1_3gpuE0ELNS1_3repE0EEENS1_30default_config_static_selectorELNS0_4arch9wavefront6targetE1EEEvT1_,@function
_ZN7rocprim17ROCPRIM_400000_NS6detail17trampoline_kernelINS0_14default_configENS1_25partition_config_selectorILNS1_17partition_subalgoE8ElNS0_10empty_typeEbEEZZNS1_14partition_implILS5_8ELb0ES3_jPlPS6_PKS6_NS0_5tupleIJS9_S6_EEENSD_IJSA_SA_EEENS0_18inequality_wrapperIZN2at6native12_GLOBAL__N_124unique_dim_cuda_templateIhEESt5tupleIJNSH_6TensorESM_SM_EERKSM_lbbbEUlllE0_EEPmJS6_EEE10hipError_tPvRmT3_T4_T5_T6_T7_T9_mT8_P12ihipStream_tbDpT10_ENKUlT_T0_E_clISt17integral_constantIbLb0EES1C_EEDaS17_S18_EUlS17_E_NS1_11comp_targetILNS1_3genE0ELNS1_11target_archE4294967295ELNS1_3gpuE0ELNS1_3repE0EEENS1_30default_config_static_selectorELNS0_4arch9wavefront6targetE1EEEvT1_: ; @_ZN7rocprim17ROCPRIM_400000_NS6detail17trampoline_kernelINS0_14default_configENS1_25partition_config_selectorILNS1_17partition_subalgoE8ElNS0_10empty_typeEbEEZZNS1_14partition_implILS5_8ELb0ES3_jPlPS6_PKS6_NS0_5tupleIJS9_S6_EEENSD_IJSA_SA_EEENS0_18inequality_wrapperIZN2at6native12_GLOBAL__N_124unique_dim_cuda_templateIhEESt5tupleIJNSH_6TensorESM_SM_EERKSM_lbbbEUlllE0_EEPmJS6_EEE10hipError_tPvRmT3_T4_T5_T6_T7_T9_mT8_P12ihipStream_tbDpT10_ENKUlT_T0_E_clISt17integral_constantIbLb0EES1C_EEDaS17_S18_EUlS17_E_NS1_11comp_targetILNS1_3genE0ELNS1_11target_archE4294967295ELNS1_3gpuE0ELNS1_3repE0EEENS1_30default_config_static_selectorELNS0_4arch9wavefront6targetE1EEEvT1_
; %bb.0:
	s_load_dwordx4 s[4:7], s[0:1], 0x8
	s_load_dwordx8 s[24:31], s[0:1], 0x40
	s_load_dwordx4 s[20:23], s[0:1], 0x60
	s_load_dword s3, s[0:1], 0x70
	v_lshlrev_b32_e32 v18, 3, v0
	s_waitcnt lgkmcnt(0)
	s_lshl_b64 s[8:9], s[6:7], 3
	s_add_u32 s12, s4, s8
	s_addc_u32 s13, s5, s9
	s_mul_i32 s8, s3, 0xe00
	s_add_i32 s10, s3, -1
	s_add_i32 s3, s8, s6
	s_sub_i32 s3, s28, s3
	s_add_u32 s8, s6, s8
	s_addc_u32 s9, s7, 0
	v_mov_b64_e32 v[2:3], s[8:9]
	s_cmp_eq_u32 s2, s10
	s_load_dwordx2 s[26:27], s[26:27], 0x0
	v_cmp_le_u64_e32 vcc, s[28:29], v[2:3]
	s_cselect_b64 s[28:29], -1, 0
	s_mul_i32 s4, s2, 0xe00
	s_mov_b32 s5, 0
	s_and_b64 s[8:9], s[28:29], vcc
	s_xor_b64 s[34:35], s[8:9], -1
	s_lshl_b64 s[4:5], s[4:5], 3
	s_add_u32 s4, s12, s4
	s_mov_b64 s[10:11], -1
	s_addc_u32 s5, s13, s5
	s_and_b64 vcc, exec, s[34:35]
	s_cbranch_vccz .LBB161_2
; %bb.1:
	v_lshlrev_b32_e32 v2, 3, v0
	v_mov_b32_e32 v3, 0
	v_lshl_add_u64 v[4:5], s[4:5], 0, v[2:3]
	v_add_co_u32_e32 v8, vcc, 0x1000, v4
	global_load_dwordx2 v[6:7], v2, s[4:5]
	s_nop 0
	v_addc_co_u32_e32 v9, vcc, 0, v5, vcc
	v_add_co_u32_e32 v10, vcc, 0x2000, v4
	s_mov_b64 s[10:11], 0
	s_nop 0
	v_addc_co_u32_e32 v11, vcc, 0, v5, vcc
	v_add_co_u32_e32 v12, vcc, 0x3000, v4
	s_nop 1
	v_addc_co_u32_e32 v13, vcc, 0, v5, vcc
	v_add_co_u32_e32 v14, vcc, 0x4000, v4
	s_nop 1
	v_addc_co_u32_e32 v15, vcc, 0, v5, vcc
	global_load_dwordx2 v[16:17], v[8:9], off
	global_load_dwordx2 v[20:21], v[10:11], off
	;; [unrolled: 1-line block ×4, first 2 shown]
	v_add_co_u32_e32 v8, vcc, 0x5000, v4
	s_nop 1
	v_addc_co_u32_e32 v9, vcc, 0, v5, vcc
	v_add_co_u32_e32 v4, vcc, 0x6000, v4
	s_nop 1
	v_addc_co_u32_e32 v5, vcc, 0, v5, vcc
	global_load_dwordx2 v[10:11], v[8:9], off
	global_load_dwordx2 v[12:13], v[4:5], off
	s_waitcnt vmcnt(5)
	ds_write2st64_b64 v2, v[6:7], v[16:17] offset1:8
	s_waitcnt vmcnt(3)
	ds_write2st64_b64 v2, v[20:21], v[22:23] offset0:16 offset1:24
	s_waitcnt vmcnt(1)
	ds_write2st64_b64 v2, v[24:25], v[10:11] offset0:32 offset1:40
	s_waitcnt vmcnt(0)
	ds_write_b64 v2, v[12:13] offset:24576
	s_waitcnt lgkmcnt(0)
	s_barrier
.LBB161_2:
	s_andn2_b64 vcc, exec, s[10:11]
	s_addk_i32 s3, 0xe00
	s_cbranch_vccnz .LBB161_18
; %bb.3:
	v_mov_b32_e32 v2, 0
	v_cmp_gt_u32_e32 vcc, s3, v0
	v_mov_b32_e32 v3, v2
	v_mov_b32_e32 v4, v2
	;; [unrolled: 1-line block ×13, first 2 shown]
	s_and_saveexec_b64 s[10:11], vcc
	s_cbranch_execz .LBB161_5
; %bb.4:
	v_lshlrev_b32_e32 v1, 3, v0
	global_load_dwordx2 v[4:5], v1, s[4:5]
	v_mov_b32_e32 v6, v2
	v_mov_b32_e32 v7, v2
	;; [unrolled: 1-line block ×12, first 2 shown]
	s_waitcnt vmcnt(0)
	v_mov_b64_e32 v[2:3], v[4:5]
	v_mov_b64_e32 v[4:5], v[6:7]
	;; [unrolled: 1-line block ×8, first 2 shown]
.LBB161_5:
	s_or_b64 exec, exec, s[10:11]
	v_or_b32_e32 v1, 0x200, v0
	v_cmp_gt_u32_e32 vcc, s3, v1
	s_and_saveexec_b64 s[10:11], vcc
	s_cbranch_execz .LBB161_7
; %bb.6:
	v_lshlrev_b32_e32 v1, 3, v1
	global_load_dwordx2 v[4:5], v1, s[4:5]
.LBB161_7:
	s_or_b64 exec, exec, s[10:11]
	v_or_b32_e32 v1, 0x400, v0
	v_cmp_gt_u32_e32 vcc, s3, v1
	s_and_saveexec_b64 s[10:11], vcc
	s_cbranch_execz .LBB161_9
; %bb.8:
	v_lshlrev_b32_e32 v1, 3, v1
	global_load_dwordx2 v[6:7], v1, s[4:5]
.LBB161_9:
	;; [unrolled: 9-line block ×6, first 2 shown]
	s_or_b64 exec, exec, s[10:11]
	v_lshlrev_b32_e32 v1, 3, v0
	s_waitcnt vmcnt(0)
	ds_write2st64_b64 v1, v[2:3], v[4:5] offset1:8
	ds_write2st64_b64 v1, v[6:7], v[8:9] offset0:16 offset1:24
	ds_write2st64_b64 v1, v[10:11], v[12:13] offset0:32 offset1:40
	ds_write_b64 v1, v[14:15] offset:24576
	s_waitcnt lgkmcnt(0)
	s_barrier
.LBB161_18:
	v_mul_u32_u24_e32 v1, 7, v0
	v_lshlrev_b32_e32 v24, 3, v1
	s_waitcnt lgkmcnt(0)
	ds_read2_b64 v[10:13], v24 offset1:1
	ds_read2_b64 v[6:9], v24 offset0:2 offset1:3
	ds_read2_b64 v[2:5], v24 offset0:4 offset1:5
	ds_read_b64 v[14:15], v24 offset:48
	s_cmp_lg_u32 s2, 0
	s_cselect_b64 s[16:17], -1, 0
	s_cmp_lg_u64 s[6:7], 0
	s_cselect_b64 s[6:7], -1, 0
	s_or_b64 s[6:7], s[16:17], s[6:7]
	s_mov_b64 s[10:11], 0
	s_and_b64 vcc, exec, s[6:7]
	v_cmp_gt_i64_e64 s[12:13], s[30:31], 0
	s_waitcnt lgkmcnt(0)
	s_barrier
	s_cbranch_vccz .LBB161_34
; %bb.19:
	s_add_u32 s4, s4, -8
	s_addc_u32 s5, s5, -1
	s_load_dwordx2 s[10:11], s[4:5], 0x0
	v_cndmask_b32_e64 v16, 0, 1, s[12:13]
	v_lshlrev_b32_e32 v25, 3, v0
	s_mov_b64 s[6:7], 0
	s_and_b64 vcc, exec, s[34:35]
	v_cmp_ne_u32_e64 s[4:5], 1, v16
	ds_write_b64 v25, v[14:15]
	s_cbranch_vccz .LBB161_36
; %bb.20:
	s_and_b64 vcc, exec, s[4:5]
	s_cbranch_vccnz .LBB161_37
; %bb.21:
	v_mov_b64_e32 v[20:21], s[20:21]
	v_mad_u64_u32 v[16:17], s[6:7], v4, s30, v[20:21]
	v_mul_lo_u32 v19, v4, s31
	v_mul_lo_u32 v22, v5, s30
	s_add_u32 s14, s30, -1
	v_add3_u32 v17, v22, v17, v19
	v_mad_u64_u32 v[20:21], s[6:7], v14, s30, v[20:21]
	v_mul_lo_u32 v19, v14, s31
	v_mul_lo_u32 v22, v15, s30
	s_addc_u32 s15, s31, -1
	v_add3_u32 v21, v22, v21, v19
	s_mov_b64 s[18:19], 0
	s_mov_b64 s[36:37], s[14:15]
	v_mov_b64_e32 v[22:23], v[16:17]
                                        ; implicit-def: $sgpr12_sgpr13
.LBB161_22:                             ; =>This Inner Loop Header: Depth=1
	global_load_ubyte v19, v[22:23], off
	global_load_ubyte v26, v[20:21], off
	s_add_u32 s6, s36, -1
	s_addc_u32 s7, s37, -1
	s_cmp_eq_u64 s[36:37], 0
	s_mov_b64 s[36:37], s[6:7]
	s_cselect_b64 s[38:39], -1, 0
	v_lshl_add_u64 v[22:23], v[22:23], 0, 1
	v_lshl_add_u64 v[20:21], v[20:21], 0, 1
	s_waitcnt vmcnt(0)
	v_cmp_ne_u16_e64 s[6:7], v19, v26
	s_or_b64 s[6:7], s[6:7], s[38:39]
	s_and_b64 s[6:7], exec, s[6:7]
	v_cmp_eq_u16_e32 vcc, v19, v26
	s_or_b64 s[18:19], s[6:7], s[18:19]
	s_andn2_b64 s[6:7], s[12:13], exec
	s_and_b64 s[12:13], vcc, exec
	s_or_b64 s[12:13], s[6:7], s[12:13]
	s_andn2_b64 exec, exec, s[18:19]
	s_cbranch_execnz .LBB161_22
; %bb.23:
	s_or_b64 exec, exec, s[18:19]
	v_mov_b64_e32 v[20:21], s[20:21]
	v_mad_u64_u32 v[20:21], s[6:7], v2, s30, v[20:21]
	v_mul_lo_u32 v19, v2, s31
	v_mul_lo_u32 v22, v3, s30
	v_add3_u32 v21, v22, v21, v19
	s_mov_b64 s[36:37], 0
	s_mov_b64 s[38:39], s[14:15]
	v_mov_b64_e32 v[22:23], v[20:21]
                                        ; implicit-def: $sgpr18_sgpr19
.LBB161_24:                             ; =>This Inner Loop Header: Depth=1
	global_load_ubyte v19, v[22:23], off
	global_load_ubyte v26, v[16:17], off
	s_add_u32 s6, s38, -1
	s_addc_u32 s7, s39, -1
	s_cmp_eq_u64 s[38:39], 0
	s_mov_b64 s[38:39], s[6:7]
	s_cselect_b64 s[40:41], -1, 0
	v_lshl_add_u64 v[22:23], v[22:23], 0, 1
	v_lshl_add_u64 v[16:17], v[16:17], 0, 1
	s_waitcnt vmcnt(0)
	v_cmp_ne_u16_e64 s[6:7], v19, v26
	s_or_b64 s[6:7], s[6:7], s[40:41]
	s_and_b64 s[6:7], exec, s[6:7]
	v_cmp_eq_u16_e32 vcc, v19, v26
	s_or_b64 s[36:37], s[6:7], s[36:37]
	s_andn2_b64 s[6:7], s[18:19], exec
	s_and_b64 s[18:19], vcc, exec
	s_or_b64 s[18:19], s[6:7], s[18:19]
	s_andn2_b64 exec, exec, s[36:37]
	s_cbranch_execnz .LBB161_24
; %bb.25:
	s_or_b64 exec, exec, s[36:37]
	v_mov_b64_e32 v[16:17], s[20:21]
	v_mad_u64_u32 v[16:17], s[6:7], v8, s30, v[16:17]
	v_mul_lo_u32 v19, v8, s31
	v_mul_lo_u32 v22, v9, s30
	v_add3_u32 v17, v22, v17, v19
	s_mov_b64 s[38:39], 0
	s_mov_b64 s[40:41], s[14:15]
	v_mov_b64_e32 v[22:23], v[16:17]
                                        ; implicit-def: $sgpr36_sgpr37
.LBB161_26:                             ; =>This Inner Loop Header: Depth=1
	global_load_ubyte v19, v[22:23], off
	global_load_ubyte v26, v[20:21], off
	s_add_u32 s6, s40, -1
	s_addc_u32 s7, s41, -1
	s_cmp_eq_u64 s[40:41], 0
	s_mov_b64 s[40:41], s[6:7]
	s_cselect_b64 s[42:43], -1, 0
	v_lshl_add_u64 v[22:23], v[22:23], 0, 1
	v_lshl_add_u64 v[20:21], v[20:21], 0, 1
	s_waitcnt vmcnt(0)
	v_cmp_ne_u16_e64 s[6:7], v19, v26
	s_or_b64 s[6:7], s[6:7], s[42:43]
	s_and_b64 s[6:7], exec, s[6:7]
	v_cmp_eq_u16_e32 vcc, v19, v26
	s_or_b64 s[38:39], s[6:7], s[38:39]
	s_andn2_b64 s[6:7], s[36:37], exec
	s_and_b64 s[36:37], vcc, exec
	s_or_b64 s[36:37], s[6:7], s[36:37]
	s_andn2_b64 exec, exec, s[38:39]
	s_cbranch_execnz .LBB161_26
; %bb.27:
	s_or_b64 exec, exec, s[38:39]
	v_mov_b64_e32 v[20:21], s[20:21]
	v_mad_u64_u32 v[20:21], s[6:7], v6, s30, v[20:21]
	v_mul_lo_u32 v19, v6, s31
	v_mul_lo_u32 v22, v7, s30
	v_add3_u32 v21, v22, v21, v19
	s_mov_b64 s[40:41], 0
	s_mov_b64 s[42:43], s[14:15]
	v_mov_b64_e32 v[22:23], v[20:21]
                                        ; implicit-def: $sgpr38_sgpr39
.LBB161_28:                             ; =>This Inner Loop Header: Depth=1
	global_load_ubyte v19, v[22:23], off
	global_load_ubyte v26, v[16:17], off
	s_add_u32 s6, s42, -1
	s_addc_u32 s7, s43, -1
	s_cmp_eq_u64 s[42:43], 0
	s_mov_b64 s[42:43], s[6:7]
	s_cselect_b64 s[44:45], -1, 0
	v_lshl_add_u64 v[22:23], v[22:23], 0, 1
	v_lshl_add_u64 v[16:17], v[16:17], 0, 1
	s_waitcnt vmcnt(0)
	v_cmp_ne_u16_e64 s[6:7], v19, v26
	s_or_b64 s[6:7], s[6:7], s[44:45]
	s_and_b64 s[6:7], exec, s[6:7]
	v_cmp_eq_u16_e32 vcc, v19, v26
	s_or_b64 s[40:41], s[6:7], s[40:41]
	s_andn2_b64 s[6:7], s[38:39], exec
	s_and_b64 s[38:39], vcc, exec
	s_or_b64 s[38:39], s[6:7], s[38:39]
	s_andn2_b64 exec, exec, s[40:41]
	s_cbranch_execnz .LBB161_28
; %bb.29:
	s_or_b64 exec, exec, s[40:41]
	v_mov_b64_e32 v[16:17], s[20:21]
	v_mad_u64_u32 v[16:17], s[6:7], v12, s30, v[16:17]
	v_mul_lo_u32 v19, v12, s31
	v_mul_lo_u32 v22, v13, s30
	v_add3_u32 v17, v22, v17, v19
	s_mov_b64 s[42:43], 0
	s_mov_b64 s[44:45], s[14:15]
	v_mov_b64_e32 v[22:23], v[16:17]
                                        ; implicit-def: $sgpr40_sgpr41
.LBB161_30:                             ; =>This Inner Loop Header: Depth=1
	global_load_ubyte v19, v[22:23], off
	global_load_ubyte v26, v[20:21], off
	s_add_u32 s6, s44, -1
	s_addc_u32 s7, s45, -1
	s_cmp_eq_u64 s[44:45], 0
	s_mov_b64 s[44:45], s[6:7]
	s_cselect_b64 s[46:47], -1, 0
	v_lshl_add_u64 v[22:23], v[22:23], 0, 1
	v_lshl_add_u64 v[20:21], v[20:21], 0, 1
	s_waitcnt vmcnt(0)
	v_cmp_ne_u16_e64 s[6:7], v19, v26
	s_or_b64 s[6:7], s[6:7], s[46:47]
	s_and_b64 s[6:7], exec, s[6:7]
	v_cmp_eq_u16_e32 vcc, v19, v26
	s_or_b64 s[42:43], s[6:7], s[42:43]
	s_andn2_b64 s[6:7], s[40:41], exec
	s_and_b64 s[40:41], vcc, exec
	s_or_b64 s[40:41], s[6:7], s[40:41]
	s_andn2_b64 exec, exec, s[42:43]
	s_cbranch_execnz .LBB161_30
; %bb.31:
	s_or_b64 exec, exec, s[42:43]
	v_mov_b64_e32 v[20:21], s[20:21]
	v_mad_u64_u32 v[20:21], s[6:7], v10, s30, v[20:21]
	v_mul_lo_u32 v19, v10, s31
	v_mul_lo_u32 v22, v11, s30
	v_add3_u32 v21, v22, v21, v19
	s_mov_b64 s[44:45], 0
                                        ; implicit-def: $sgpr42_sgpr43
.LBB161_32:                             ; =>This Inner Loop Header: Depth=1
	global_load_ubyte v19, v[20:21], off
	global_load_ubyte v22, v[16:17], off
	s_add_u32 s6, s14, -1
	s_addc_u32 s7, s15, -1
	s_cmp_eq_u64 s[14:15], 0
	s_mov_b64 s[14:15], s[6:7]
	s_cselect_b64 s[46:47], -1, 0
	v_lshl_add_u64 v[20:21], v[20:21], 0, 1
	v_lshl_add_u64 v[16:17], v[16:17], 0, 1
	s_waitcnt vmcnt(0)
	v_cmp_ne_u16_e64 s[6:7], v19, v22
	s_or_b64 s[6:7], s[6:7], s[46:47]
	s_and_b64 s[6:7], exec, s[6:7]
	v_cmp_eq_u16_e32 vcc, v19, v22
	s_or_b64 s[44:45], s[6:7], s[44:45]
	s_andn2_b64 s[6:7], s[42:43], exec
	s_and_b64 s[42:43], vcc, exec
	s_or_b64 s[42:43], s[6:7], s[42:43]
	s_andn2_b64 exec, exec, s[44:45]
	s_cbranch_execnz .LBB161_32
; %bb.33:
	s_or_b64 exec, exec, s[44:45]
	s_xor_b64 s[6:7], s[18:19], -1
	v_cndmask_b32_e64 v40, 0, 1, s[6:7]
	s_xor_b64 s[6:7], s[38:39], -1
	v_cndmask_b32_e64 v16, 0, 1, s[6:7]
	v_lshlrev_b16_e32 v16, 8, v16
	s_xor_b64 s[6:7], s[12:13], -1
	v_lshrrev_b32_e32 v16, 8, v16
	v_mov_b32_e32 v20, 1
	s_xor_b64 s[12:13], s[40:41], -1
	v_cndmask_b32_e64 v19, 0, 1, s[6:7]
	s_xor_b64 s[6:7], s[36:37], -1
	v_and_b32_sdwa v16, v16, v20 dst_sel:BYTE_1 dst_unused:UNUSED_PAD src0_sel:DWORD src1_sel:DWORD
	v_cndmask_b32_e64 v20, 0, 1, s[12:13]
	v_cndmask_b32_e64 v17, 0, 1, s[6:7]
	s_xor_b64 s[6:7], s[42:43], -1
	v_or_b32_sdwa v20, v20, v16 dst_sel:WORD_1 dst_unused:UNUSED_PAD src0_sel:DWORD src1_sel:DWORD
	s_branch .LBB161_38
.LBB161_34:
                                        ; implicit-def: $sgpr6_sgpr7
                                        ; implicit-def: $vgpr19
                                        ; implicit-def: $vgpr40
                                        ; implicit-def: $vgpr17
                                        ; implicit-def: $vgpr21
	s_branch .LBB161_91
.LBB161_35:
                                        ; implicit-def: $vgpr42
                                        ; implicit-def: $vgpr41
                                        ; implicit-def: $vgpr20
	s_branch .LBB161_160
.LBB161_36:
                                        ; implicit-def: $sgpr6_sgpr7
                                        ; implicit-def: $vgpr19
                                        ; implicit-def: $vgpr40
                                        ; implicit-def: $vgpr17
                                        ; implicit-def: $vgpr21
	s_cbranch_execnz .LBB161_45
	s_branch .LBB161_90
.LBB161_37:
	v_mov_b32_e32 v20, 0
	v_mov_b32_e32 v19, 0
	;; [unrolled: 1-line block ×4, first 2 shown]
.LBB161_38:
	v_cmp_ne_u32_e32 vcc, 0, v0
	s_waitcnt lgkmcnt(0)
	v_mov_b64_e32 v[22:23], s[10:11]
	s_barrier
	s_and_saveexec_b64 s[12:13], vcc
; %bb.39:
	v_add_u32_e32 v16, -8, v25
	ds_read_b64 v[22:23], v16
; %bb.40:
	s_or_b64 exec, exec, s[12:13]
	v_cndmask_b32_e64 v21, 0, 1, s[6:7]
	v_lshrrev_b32_e32 v16, 16, v20
	s_mov_b32 s6, 0xc0c0304
	v_perm_b32 v16, v16, v20, s6
	v_lshlrev_b16_e32 v21, 8, v21
	s_movk_i32 s6, 0xff
	v_bitop3_b16 v20, v20, v21, s6 bitop3:0xec
	v_and_b32_e32 v26, 0xffff, v20
	s_mov_b64 s[12:13], 0
	s_and_b64 vcc, exec, s[4:5]
	s_mov_b64 s[6:7], 0
	s_cbranch_vccnz .LBB161_44
; %bb.41:
	v_mov_b64_e32 v[28:29], s[20:21]
	s_waitcnt lgkmcnt(0)
	v_mad_u64_u32 v[20:21], s[6:7], v22, s30, v[28:29]
	v_mul_lo_u32 v22, v22, s31
	v_mul_lo_u32 v23, v23, s30
	v_add3_u32 v21, v23, v21, v22
	v_mad_u64_u32 v[22:23], s[6:7], v10, s30, v[28:29]
	v_mul_lo_u32 v27, v10, s31
	v_mul_lo_u32 v28, v11, s30
	s_add_u32 s36, s30, -1
	v_add3_u32 v23, v28, v23, v27
	s_addc_u32 s37, s31, -1
	s_mov_b64 s[14:15], 0
                                        ; implicit-def: $sgpr18_sgpr19
.LBB161_42:                             ; =>This Inner Loop Header: Depth=1
	global_load_ubyte v27, v[20:21], off
	global_load_ubyte v28, v[22:23], off
	s_add_u32 s6, s36, -1
	s_addc_u32 s7, s37, -1
	s_cmp_eq_u64 s[36:37], 0
	s_mov_b64 s[36:37], s[6:7]
	s_cselect_b64 s[38:39], -1, 0
	v_lshl_add_u64 v[20:21], v[20:21], 0, 1
	v_lshl_add_u64 v[22:23], v[22:23], 0, 1
	s_waitcnt vmcnt(0)
	v_cmp_ne_u16_e64 s[6:7], v27, v28
	s_or_b64 s[6:7], s[6:7], s[38:39]
	s_and_b64 s[6:7], exec, s[6:7]
	v_cmp_eq_u16_e32 vcc, v27, v28
	s_or_b64 s[14:15], s[6:7], s[14:15]
	s_andn2_b64 s[6:7], s[18:19], exec
	s_and_b64 s[18:19], vcc, exec
	s_or_b64 s[18:19], s[6:7], s[18:19]
	s_andn2_b64 exec, exec, s[14:15]
	s_cbranch_execnz .LBB161_42
; %bb.43:
	s_or_b64 exec, exec, s[14:15]
	s_xor_b64 s[6:7], s[18:19], -1
.LBB161_44:
	v_lshl_or_b32 v21, v16, 16, v26
	s_and_b64 vcc, exec, s[12:13]
	s_cbranch_vccz .LBB161_90
.LBB161_45:
	v_add_u32_e32 v16, 6, v1
	v_cmp_gt_u32_e32 vcc, s3, v16
	s_mov_b64 s[14:15], 0
	s_mov_b64 s[12:13], 0
	s_and_saveexec_b64 s[18:19], vcc
	s_cbranch_execz .LBB161_51
; %bb.46:
	s_and_b64 vcc, exec, s[4:5]
	s_mov_b64 s[6:7], 0
	s_cbranch_vccnz .LBB161_50
; %bb.47:
	v_mov_b64_e32 v[20:21], s[20:21]
	v_mad_u64_u32 v[16:17], s[6:7], v4, s30, v[20:21]
	v_mul_lo_u32 v19, v4, s31
	s_waitcnt lgkmcnt(0)
	v_mul_lo_u32 v22, v5, s30
	v_add3_u32 v17, v22, v17, v19
	v_mad_u64_u32 v[20:21], s[6:7], v14, s30, v[20:21]
	v_mul_lo_u32 v19, v14, s31
	v_mul_lo_u32 v22, v15, s30
	s_add_u32 s38, s30, -1
	v_add3_u32 v21, v22, v21, v19
	s_addc_u32 s39, s31, -1
                                        ; implicit-def: $sgpr36_sgpr37
.LBB161_48:                             ; =>This Inner Loop Header: Depth=1
	global_load_ubyte v19, v[16:17], off
	global_load_ubyte v22, v[20:21], off
	s_add_u32 s6, s38, -1
	s_addc_u32 s7, s39, -1
	s_cmp_eq_u64 s[38:39], 0
	s_mov_b64 s[38:39], s[6:7]
	s_cselect_b64 s[40:41], -1, 0
	v_lshl_add_u64 v[16:17], v[16:17], 0, 1
	v_lshl_add_u64 v[20:21], v[20:21], 0, 1
	s_waitcnt vmcnt(0)
	v_cmp_ne_u16_e64 s[6:7], v19, v22
	s_or_b64 s[6:7], s[6:7], s[40:41]
	s_and_b64 s[6:7], exec, s[6:7]
	v_cmp_eq_u16_e32 vcc, v19, v22
	s_or_b64 s[12:13], s[6:7], s[12:13]
	s_andn2_b64 s[6:7], s[36:37], exec
	s_and_b64 s[36:37], vcc, exec
	s_or_b64 s[36:37], s[6:7], s[36:37]
	s_andn2_b64 exec, exec, s[12:13]
	s_cbranch_execnz .LBB161_48
; %bb.49:
	s_or_b64 exec, exec, s[12:13]
	s_xor_b64 s[6:7], s[36:37], -1
.LBB161_50:
	s_and_b64 s[12:13], s[6:7], exec
.LBB161_51:
	s_or_b64 exec, exec, s[18:19]
	v_add_u32_e32 v16, 5, v1
	v_cmp_gt_u32_e32 vcc, s3, v16
	s_and_saveexec_b64 s[18:19], vcc
	s_cbranch_execz .LBB161_57
; %bb.52:
	s_and_b64 vcc, exec, s[4:5]
	s_mov_b64 s[6:7], 0
	s_cbranch_vccnz .LBB161_56
; %bb.53:
	v_mov_b64_e32 v[20:21], s[20:21]
	v_mad_u64_u32 v[16:17], s[6:7], v2, s30, v[20:21]
	v_mul_lo_u32 v19, v2, s31
	s_waitcnt lgkmcnt(0)
	v_mul_lo_u32 v22, v3, s30
	v_add3_u32 v17, v22, v17, v19
	v_mad_u64_u32 v[20:21], s[6:7], v4, s30, v[20:21]
	v_mul_lo_u32 v19, v4, s31
	v_mul_lo_u32 v22, v5, s30
	s_add_u32 s38, s30, -1
	v_add3_u32 v21, v22, v21, v19
	s_addc_u32 s39, s31, -1
	s_mov_b64 s[14:15], 0
                                        ; implicit-def: $sgpr36_sgpr37
.LBB161_54:                             ; =>This Inner Loop Header: Depth=1
	global_load_ubyte v19, v[16:17], off
	global_load_ubyte v22, v[20:21], off
	s_add_u32 s6, s38, -1
	s_addc_u32 s7, s39, -1
	s_cmp_eq_u64 s[38:39], 0
	s_mov_b64 s[38:39], s[6:7]
	s_cselect_b64 s[40:41], -1, 0
	v_lshl_add_u64 v[16:17], v[16:17], 0, 1
	v_lshl_add_u64 v[20:21], v[20:21], 0, 1
	s_waitcnt vmcnt(0)
	v_cmp_ne_u16_e64 s[6:7], v19, v22
	s_or_b64 s[6:7], s[6:7], s[40:41]
	s_and_b64 s[6:7], exec, s[6:7]
	v_cmp_eq_u16_e32 vcc, v19, v22
	s_or_b64 s[14:15], s[6:7], s[14:15]
	s_andn2_b64 s[6:7], s[36:37], exec
	s_and_b64 s[36:37], vcc, exec
	s_or_b64 s[36:37], s[6:7], s[36:37]
	s_andn2_b64 exec, exec, s[14:15]
	s_cbranch_execnz .LBB161_54
; %bb.55:
	s_or_b64 exec, exec, s[14:15]
	s_xor_b64 s[6:7], s[36:37], -1
.LBB161_56:
	s_and_b64 s[14:15], s[6:7], exec
.LBB161_57:
	s_or_b64 exec, exec, s[18:19]
	v_add_u32_e32 v16, 4, v1
	v_cmp_gt_u32_e32 vcc, s3, v16
	s_mov_b64 s[36:37], 0
	s_mov_b64 s[18:19], 0
	s_and_saveexec_b64 s[38:39], vcc
	s_cbranch_execz .LBB161_63
; %bb.58:
	s_and_b64 vcc, exec, s[4:5]
	s_mov_b64 s[6:7], 0
	s_cbranch_vccnz .LBB161_62
; %bb.59:
	v_mov_b64_e32 v[20:21], s[20:21]
	v_mad_u64_u32 v[16:17], s[6:7], v8, s30, v[20:21]
	v_mul_lo_u32 v19, v8, s31
	s_waitcnt lgkmcnt(0)
	v_mul_lo_u32 v22, v9, s30
	v_add3_u32 v17, v22, v17, v19
	v_mad_u64_u32 v[20:21], s[6:7], v2, s30, v[20:21]
	v_mul_lo_u32 v19, v2, s31
	v_mul_lo_u32 v22, v3, s30
	s_add_u32 s42, s30, -1
	v_add3_u32 v21, v22, v21, v19
	s_addc_u32 s43, s31, -1
                                        ; implicit-def: $sgpr40_sgpr41
.LBB161_60:                             ; =>This Inner Loop Header: Depth=1
	global_load_ubyte v19, v[16:17], off
	global_load_ubyte v22, v[20:21], off
	s_add_u32 s6, s42, -1
	s_addc_u32 s7, s43, -1
	s_cmp_eq_u64 s[42:43], 0
	s_mov_b64 s[42:43], s[6:7]
	s_cselect_b64 s[44:45], -1, 0
	v_lshl_add_u64 v[16:17], v[16:17], 0, 1
	v_lshl_add_u64 v[20:21], v[20:21], 0, 1
	s_waitcnt vmcnt(0)
	v_cmp_ne_u16_e64 s[6:7], v19, v22
	s_or_b64 s[6:7], s[6:7], s[44:45]
	s_and_b64 s[6:7], exec, s[6:7]
	v_cmp_eq_u16_e32 vcc, v19, v22
	s_or_b64 s[18:19], s[6:7], s[18:19]
	s_andn2_b64 s[6:7], s[40:41], exec
	s_and_b64 s[40:41], vcc, exec
	s_or_b64 s[40:41], s[6:7], s[40:41]
	s_andn2_b64 exec, exec, s[18:19]
	s_cbranch_execnz .LBB161_60
; %bb.61:
	s_or_b64 exec, exec, s[18:19]
	s_xor_b64 s[6:7], s[40:41], -1
.LBB161_62:
	s_and_b64 s[18:19], s[6:7], exec
.LBB161_63:
	s_or_b64 exec, exec, s[38:39]
	v_add_u32_e32 v16, 3, v1
	v_cmp_gt_u32_e32 vcc, s3, v16
	s_and_saveexec_b64 s[38:39], vcc
	s_cbranch_execz .LBB161_69
; %bb.64:
	s_and_b64 vcc, exec, s[4:5]
	s_mov_b64 s[6:7], 0
	s_cbranch_vccnz .LBB161_68
; %bb.65:
	v_mov_b64_e32 v[20:21], s[20:21]
	v_mad_u64_u32 v[16:17], s[6:7], v6, s30, v[20:21]
	v_mul_lo_u32 v19, v6, s31
	s_waitcnt lgkmcnt(0)
	v_mul_lo_u32 v22, v7, s30
	v_add3_u32 v17, v22, v17, v19
	v_mad_u64_u32 v[20:21], s[6:7], v8, s30, v[20:21]
	v_mul_lo_u32 v19, v8, s31
	v_mul_lo_u32 v22, v9, s30
	s_add_u32 s42, s30, -1
	v_add3_u32 v21, v22, v21, v19
	s_addc_u32 s43, s31, -1
	s_mov_b64 s[36:37], 0
                                        ; implicit-def: $sgpr40_sgpr41
.LBB161_66:                             ; =>This Inner Loop Header: Depth=1
	global_load_ubyte v19, v[16:17], off
	global_load_ubyte v22, v[20:21], off
	s_add_u32 s6, s42, -1
	s_addc_u32 s7, s43, -1
	s_cmp_eq_u64 s[42:43], 0
	s_mov_b64 s[42:43], s[6:7]
	s_cselect_b64 s[44:45], -1, 0
	v_lshl_add_u64 v[16:17], v[16:17], 0, 1
	v_lshl_add_u64 v[20:21], v[20:21], 0, 1
	s_waitcnt vmcnt(0)
	v_cmp_ne_u16_e64 s[6:7], v19, v22
	s_or_b64 s[6:7], s[6:7], s[44:45]
	s_and_b64 s[6:7], exec, s[6:7]
	v_cmp_eq_u16_e32 vcc, v19, v22
	s_or_b64 s[36:37], s[6:7], s[36:37]
	s_andn2_b64 s[6:7], s[40:41], exec
	s_and_b64 s[40:41], vcc, exec
	s_or_b64 s[40:41], s[6:7], s[40:41]
	s_andn2_b64 exec, exec, s[36:37]
	s_cbranch_execnz .LBB161_66
; %bb.67:
	s_or_b64 exec, exec, s[36:37]
	s_xor_b64 s[6:7], s[40:41], -1
.LBB161_68:
	s_and_b64 s[36:37], s[6:7], exec
.LBB161_69:
	s_or_b64 exec, exec, s[38:39]
	v_add_u32_e32 v16, 2, v1
	v_cmp_gt_u32_e32 vcc, s3, v16
	s_mov_b64 s[38:39], 0
	s_mov_b64 s[40:41], 0
	s_and_saveexec_b64 s[42:43], vcc
	s_cbranch_execz .LBB161_75
; %bb.70:
	s_and_b64 vcc, exec, s[4:5]
	s_mov_b64 s[6:7], 0
	s_cbranch_vccnz .LBB161_74
; %bb.71:
	v_mov_b64_e32 v[20:21], s[20:21]
	v_mad_u64_u32 v[16:17], s[6:7], v12, s30, v[20:21]
	v_mul_lo_u32 v19, v12, s31
	s_waitcnt lgkmcnt(0)
	v_mul_lo_u32 v22, v13, s30
	v_add3_u32 v17, v22, v17, v19
	v_mad_u64_u32 v[20:21], s[6:7], v6, s30, v[20:21]
	v_mul_lo_u32 v19, v6, s31
	v_mul_lo_u32 v22, v7, s30
	s_add_u32 s46, s30, -1
	v_add3_u32 v21, v22, v21, v19
	s_addc_u32 s47, s31, -1
                                        ; implicit-def: $sgpr44_sgpr45
.LBB161_72:                             ; =>This Inner Loop Header: Depth=1
	global_load_ubyte v19, v[16:17], off
	global_load_ubyte v22, v[20:21], off
	s_add_u32 s6, s46, -1
	s_addc_u32 s7, s47, -1
	s_cmp_eq_u64 s[46:47], 0
	s_mov_b64 s[46:47], s[6:7]
	s_cselect_b64 s[48:49], -1, 0
	v_lshl_add_u64 v[16:17], v[16:17], 0, 1
	v_lshl_add_u64 v[20:21], v[20:21], 0, 1
	s_waitcnt vmcnt(0)
	v_cmp_ne_u16_e64 s[6:7], v19, v22
	s_or_b64 s[6:7], s[6:7], s[48:49]
	s_and_b64 s[6:7], exec, s[6:7]
	v_cmp_eq_u16_e32 vcc, v19, v22
	s_or_b64 s[40:41], s[6:7], s[40:41]
	s_andn2_b64 s[6:7], s[44:45], exec
	s_and_b64 s[44:45], vcc, exec
	s_or_b64 s[44:45], s[6:7], s[44:45]
	s_andn2_b64 exec, exec, s[40:41]
	s_cbranch_execnz .LBB161_72
; %bb.73:
	s_or_b64 exec, exec, s[40:41]
	s_xor_b64 s[6:7], s[44:45], -1
.LBB161_74:
	s_and_b64 s[40:41], s[6:7], exec
.LBB161_75:
	s_or_b64 exec, exec, s[42:43]
	v_add_u32_e32 v16, 1, v1
	v_cmp_gt_u32_e32 vcc, s3, v16
	s_and_saveexec_b64 s[42:43], vcc
	s_cbranch_execz .LBB161_81
; %bb.76:
	s_and_b64 vcc, exec, s[4:5]
	s_mov_b64 s[6:7], 0
	s_cbranch_vccnz .LBB161_80
; %bb.77:
	v_mov_b64_e32 v[20:21], s[20:21]
	v_mad_u64_u32 v[16:17], s[6:7], v10, s30, v[20:21]
	v_mul_lo_u32 v19, v10, s31
	s_waitcnt lgkmcnt(0)
	v_mul_lo_u32 v22, v11, s30
	v_add3_u32 v17, v22, v17, v19
	v_mad_u64_u32 v[20:21], s[6:7], v12, s30, v[20:21]
	v_mul_lo_u32 v19, v12, s31
	v_mul_lo_u32 v22, v13, s30
	s_add_u32 s46, s30, -1
	v_add3_u32 v21, v22, v21, v19
	s_addc_u32 s47, s31, -1
	s_mov_b64 s[38:39], 0
                                        ; implicit-def: $sgpr44_sgpr45
.LBB161_78:                             ; =>This Inner Loop Header: Depth=1
	global_load_ubyte v19, v[16:17], off
	global_load_ubyte v22, v[20:21], off
	s_add_u32 s6, s46, -1
	s_addc_u32 s7, s47, -1
	s_cmp_eq_u64 s[46:47], 0
	s_mov_b64 s[46:47], s[6:7]
	s_cselect_b64 s[48:49], -1, 0
	v_lshl_add_u64 v[16:17], v[16:17], 0, 1
	v_lshl_add_u64 v[20:21], v[20:21], 0, 1
	s_waitcnt vmcnt(0)
	v_cmp_ne_u16_e64 s[6:7], v19, v22
	s_or_b64 s[6:7], s[6:7], s[48:49]
	s_and_b64 s[6:7], exec, s[6:7]
	v_cmp_eq_u16_e32 vcc, v19, v22
	s_or_b64 s[38:39], s[6:7], s[38:39]
	s_andn2_b64 s[6:7], s[44:45], exec
	s_and_b64 s[44:45], vcc, exec
	s_or_b64 s[44:45], s[6:7], s[44:45]
	s_andn2_b64 exec, exec, s[38:39]
	s_cbranch_execnz .LBB161_78
; %bb.79:
	s_or_b64 exec, exec, s[38:39]
	s_xor_b64 s[6:7], s[44:45], -1
.LBB161_80:
	s_and_b64 s[38:39], s[6:7], exec
.LBB161_81:
	s_or_b64 exec, exec, s[42:43]
	v_cmp_ne_u32_e32 vcc, 0, v0
	s_waitcnt lgkmcnt(0)
	v_mov_b64_e32 v[20:21], s[10:11]
	s_barrier
	s_and_saveexec_b64 s[6:7], vcc
; %bb.82:
	v_add_u32_e32 v16, -8, v25
	ds_read_b64 v[20:21], v16
; %bb.83:
	s_or_b64 exec, exec, s[6:7]
	v_cndmask_b32_e64 v17, 0, 1, s[36:37]
	v_cndmask_b32_e64 v16, 0, 1, s[40:41]
	;; [unrolled: 1-line block ×3, first 2 shown]
	v_lshlrev_b16_e32 v17, 8, v17
	v_cmp_gt_u32_e32 vcc, s3, v1
	v_lshlrev_b16_e32 v22, 8, v19
	v_or_b32_sdwa v23, v16, v17 dst_sel:WORD_1 dst_unused:UNUSED_PAD src0_sel:DWORD src1_sel:DWORD
	s_mov_b64 s[6:7], 0
	s_and_saveexec_b64 s[10:11], vcc
	s_cbranch_execz .LBB161_89
; %bb.84:
	s_and_b64 vcc, exec, s[4:5]
	s_mov_b64 s[4:5], 0
	s_cbranch_vccnz .LBB161_88
; %bb.85:
	v_mov_b64_e32 v[26:27], s[20:21]
	s_waitcnt lgkmcnt(0)
	v_mad_u64_u32 v[16:17], s[4:5], v20, s30, v[26:27]
	v_mul_lo_u32 v19, v20, s31
	v_mul_lo_u32 v20, v21, s30
	v_add3_u32 v17, v20, v17, v19
	v_mad_u64_u32 v[20:21], s[4:5], v10, s30, v[26:27]
	v_mul_lo_u32 v19, v10, s31
	v_mul_lo_u32 v25, v11, s30
	s_add_u32 s38, s30, -1
	v_add3_u32 v21, v25, v21, v19
	s_addc_u32 s39, s31, -1
                                        ; implicit-def: $sgpr36_sgpr37
.LBB161_86:                             ; =>This Inner Loop Header: Depth=1
	global_load_ubyte v19, v[16:17], off
	global_load_ubyte v25, v[20:21], off
	s_add_u32 s4, s38, -1
	s_addc_u32 s5, s39, -1
	s_cmp_eq_u64 s[38:39], 0
	s_mov_b64 s[38:39], s[4:5]
	s_cselect_b64 s[40:41], -1, 0
	v_lshl_add_u64 v[16:17], v[16:17], 0, 1
	v_lshl_add_u64 v[20:21], v[20:21], 0, 1
	s_waitcnt vmcnt(0)
	v_cmp_ne_u16_e64 s[4:5], v19, v25
	s_or_b64 s[4:5], s[4:5], s[40:41]
	s_and_b64 s[4:5], exec, s[4:5]
	v_cmp_eq_u16_e32 vcc, v19, v25
	s_or_b64 s[6:7], s[4:5], s[6:7]
	s_andn2_b64 s[4:5], s[36:37], exec
	s_and_b64 s[36:37], vcc, exec
	s_or_b64 s[36:37], s[4:5], s[36:37]
	s_andn2_b64 exec, exec, s[6:7]
	s_cbranch_execnz .LBB161_86
; %bb.87:
	s_or_b64 exec, exec, s[6:7]
	s_xor_b64 s[4:5], s[36:37], -1
.LBB161_88:
	s_and_b64 s[6:7], s[4:5], exec
.LBB161_89:
	s_or_b64 exec, exec, s[10:11]
	v_cndmask_b32_e64 v17, 0, 1, s[18:19]
	v_cndmask_b32_e64 v40, 0, 1, s[14:15]
	;; [unrolled: 1-line block ×3, first 2 shown]
	s_waitcnt lgkmcnt(0)
	v_or_b32_e32 v21, v22, v23
.LBB161_90:
	s_waitcnt lgkmcnt(0)
	s_mov_b64 s[10:11], -1
	s_cbranch_execnz .LBB161_35
.LBB161_91:
	s_movk_i32 s4, 0xffd0
	v_mad_i32_i24 v26, v0, s4, v24
	s_mov_b64 s[6:7], 0
	v_cmp_gt_i64_e64 s[12:13], s[30:31], 0
	s_and_b64 vcc, exec, s[34:35]
	ds_write_b64 v26, v[14:15]
	s_cbranch_vccz .LBB161_106
; %bb.92:
	v_cndmask_b32_e64 v16, 0, 1, s[12:13]
	v_cmp_ne_u32_e64 s[4:5], 1, v16
	s_andn2_b64 vcc, exec, s[12:13]
	s_cbranch_vccnz .LBB161_107
; %bb.93:
	v_mov_b64_e32 v[20:21], s[20:21]
	v_mad_u64_u32 v[16:17], s[6:7], v4, s30, v[20:21]
	v_mul_lo_u32 v19, v4, s31
	v_mul_lo_u32 v22, v5, s30
	s_add_u32 s18, s30, -1
	v_add3_u32 v17, v22, v17, v19
	v_mad_u64_u32 v[20:21], s[6:7], v14, s30, v[20:21]
	v_mul_lo_u32 v19, v14, s31
	v_mul_lo_u32 v22, v15, s30
	s_addc_u32 s19, s31, -1
	v_add3_u32 v21, v22, v21, v19
	s_mov_b64 s[36:37], 0
	s_mov_b64 s[38:39], s[18:19]
	v_mov_b64_e32 v[22:23], v[16:17]
                                        ; implicit-def: $sgpr14_sgpr15
.LBB161_94:                             ; =>This Inner Loop Header: Depth=1
	global_load_ubyte v19, v[22:23], off
	global_load_ubyte v24, v[20:21], off
	s_add_u32 s6, s38, -1
	s_addc_u32 s7, s39, -1
	s_cmp_eq_u64 s[38:39], 0
	s_mov_b64 s[38:39], s[6:7]
	s_cselect_b64 s[40:41], -1, 0
	v_lshl_add_u64 v[22:23], v[22:23], 0, 1
	v_lshl_add_u64 v[20:21], v[20:21], 0, 1
	s_waitcnt vmcnt(0)
	v_cmp_ne_u16_e64 s[6:7], v19, v24
	s_or_b64 s[6:7], s[6:7], s[40:41]
	s_and_b64 s[6:7], exec, s[6:7]
	v_cmp_eq_u16_e32 vcc, v19, v24
	s_or_b64 s[36:37], s[6:7], s[36:37]
	s_andn2_b64 s[6:7], s[14:15], exec
	s_and_b64 s[14:15], vcc, exec
	s_or_b64 s[14:15], s[6:7], s[14:15]
	s_andn2_b64 exec, exec, s[36:37]
	s_cbranch_execnz .LBB161_94
; %bb.95:
	s_or_b64 exec, exec, s[36:37]
	v_mov_b64_e32 v[20:21], s[20:21]
	v_mad_u64_u32 v[20:21], s[6:7], v2, s30, v[20:21]
	v_mul_lo_u32 v19, v2, s31
	v_mul_lo_u32 v22, v3, s30
	v_add3_u32 v21, v22, v21, v19
	s_mov_b64 s[38:39], 0
	s_mov_b64 s[40:41], s[18:19]
	v_mov_b64_e32 v[22:23], v[20:21]
                                        ; implicit-def: $sgpr36_sgpr37
.LBB161_96:                             ; =>This Inner Loop Header: Depth=1
	global_load_ubyte v19, v[22:23], off
	global_load_ubyte v24, v[16:17], off
	s_add_u32 s6, s40, -1
	s_addc_u32 s7, s41, -1
	s_cmp_eq_u64 s[40:41], 0
	s_mov_b64 s[40:41], s[6:7]
	s_cselect_b64 s[42:43], -1, 0
	v_lshl_add_u64 v[22:23], v[22:23], 0, 1
	v_lshl_add_u64 v[16:17], v[16:17], 0, 1
	s_waitcnt vmcnt(0)
	v_cmp_ne_u16_e64 s[6:7], v19, v24
	s_or_b64 s[6:7], s[6:7], s[42:43]
	s_and_b64 s[6:7], exec, s[6:7]
	v_cmp_eq_u16_e32 vcc, v19, v24
	s_or_b64 s[38:39], s[6:7], s[38:39]
	s_andn2_b64 s[6:7], s[36:37], exec
	s_and_b64 s[36:37], vcc, exec
	s_or_b64 s[36:37], s[6:7], s[36:37]
	s_andn2_b64 exec, exec, s[38:39]
	s_cbranch_execnz .LBB161_96
; %bb.97:
	s_or_b64 exec, exec, s[38:39]
	v_mov_b64_e32 v[16:17], s[20:21]
	v_mad_u64_u32 v[16:17], s[6:7], v8, s30, v[16:17]
	v_mul_lo_u32 v19, v8, s31
	v_mul_lo_u32 v22, v9, s30
	v_add3_u32 v17, v22, v17, v19
	s_mov_b64 s[40:41], 0
	s_mov_b64 s[42:43], s[18:19]
	v_mov_b64_e32 v[22:23], v[16:17]
                                        ; implicit-def: $sgpr38_sgpr39
.LBB161_98:                             ; =>This Inner Loop Header: Depth=1
	global_load_ubyte v19, v[22:23], off
	global_load_ubyte v24, v[20:21], off
	s_add_u32 s6, s42, -1
	s_addc_u32 s7, s43, -1
	s_cmp_eq_u64 s[42:43], 0
	s_mov_b64 s[42:43], s[6:7]
	s_cselect_b64 s[44:45], -1, 0
	v_lshl_add_u64 v[22:23], v[22:23], 0, 1
	v_lshl_add_u64 v[20:21], v[20:21], 0, 1
	s_waitcnt vmcnt(0)
	v_cmp_ne_u16_e64 s[6:7], v19, v24
	s_or_b64 s[6:7], s[6:7], s[44:45]
	s_and_b64 s[6:7], exec, s[6:7]
	v_cmp_eq_u16_e32 vcc, v19, v24
	s_or_b64 s[40:41], s[6:7], s[40:41]
	s_andn2_b64 s[6:7], s[38:39], exec
	s_and_b64 s[38:39], vcc, exec
	s_or_b64 s[38:39], s[6:7], s[38:39]
	s_andn2_b64 exec, exec, s[40:41]
	s_cbranch_execnz .LBB161_98
; %bb.99:
	s_or_b64 exec, exec, s[40:41]
	v_mov_b64_e32 v[20:21], s[20:21]
	v_mad_u64_u32 v[20:21], s[6:7], v6, s30, v[20:21]
	v_mul_lo_u32 v19, v6, s31
	v_mul_lo_u32 v22, v7, s30
	v_add3_u32 v21, v22, v21, v19
	s_mov_b64 s[42:43], 0
	s_mov_b64 s[44:45], s[18:19]
	v_mov_b64_e32 v[22:23], v[20:21]
                                        ; implicit-def: $sgpr40_sgpr41
.LBB161_100:                            ; =>This Inner Loop Header: Depth=1
	global_load_ubyte v19, v[22:23], off
	global_load_ubyte v24, v[16:17], off
	s_add_u32 s6, s44, -1
	s_addc_u32 s7, s45, -1
	s_cmp_eq_u64 s[44:45], 0
	s_mov_b64 s[44:45], s[6:7]
	s_cselect_b64 s[46:47], -1, 0
	v_lshl_add_u64 v[22:23], v[22:23], 0, 1
	v_lshl_add_u64 v[16:17], v[16:17], 0, 1
	s_waitcnt vmcnt(0)
	v_cmp_ne_u16_e64 s[6:7], v19, v24
	s_or_b64 s[6:7], s[6:7], s[46:47]
	s_and_b64 s[6:7], exec, s[6:7]
	v_cmp_eq_u16_e32 vcc, v19, v24
	s_or_b64 s[42:43], s[6:7], s[42:43]
	s_andn2_b64 s[6:7], s[40:41], exec
	s_and_b64 s[40:41], vcc, exec
	s_or_b64 s[40:41], s[6:7], s[40:41]
	s_andn2_b64 exec, exec, s[42:43]
	s_cbranch_execnz .LBB161_100
; %bb.101:
	s_or_b64 exec, exec, s[42:43]
	v_mov_b64_e32 v[16:17], s[20:21]
	v_mad_u64_u32 v[16:17], s[6:7], v12, s30, v[16:17]
	v_mul_lo_u32 v19, v12, s31
	v_mul_lo_u32 v22, v13, s30
	v_add3_u32 v17, v22, v17, v19
	s_mov_b64 s[44:45], 0
	s_mov_b64 s[46:47], s[18:19]
	v_mov_b64_e32 v[22:23], v[16:17]
                                        ; implicit-def: $sgpr42_sgpr43
.LBB161_102:                            ; =>This Inner Loop Header: Depth=1
	global_load_ubyte v19, v[22:23], off
	global_load_ubyte v24, v[20:21], off
	s_add_u32 s6, s46, -1
	s_addc_u32 s7, s47, -1
	s_cmp_eq_u64 s[46:47], 0
	s_mov_b64 s[46:47], s[6:7]
	s_cselect_b64 s[48:49], -1, 0
	v_lshl_add_u64 v[22:23], v[22:23], 0, 1
	v_lshl_add_u64 v[20:21], v[20:21], 0, 1
	s_waitcnt vmcnt(0)
	v_cmp_ne_u16_e64 s[6:7], v19, v24
	s_or_b64 s[6:7], s[6:7], s[48:49]
	s_and_b64 s[6:7], exec, s[6:7]
	v_cmp_eq_u16_e32 vcc, v19, v24
	s_or_b64 s[44:45], s[6:7], s[44:45]
	s_andn2_b64 s[6:7], s[42:43], exec
	s_and_b64 s[42:43], vcc, exec
	s_or_b64 s[42:43], s[6:7], s[42:43]
	s_andn2_b64 exec, exec, s[44:45]
	s_cbranch_execnz .LBB161_102
; %bb.103:
	s_or_b64 exec, exec, s[44:45]
	v_mov_b64_e32 v[20:21], s[20:21]
	v_mad_u64_u32 v[20:21], s[6:7], v10, s30, v[20:21]
	v_mul_lo_u32 v19, v10, s31
	v_mul_lo_u32 v22, v11, s30
	v_add3_u32 v21, v22, v21, v19
	s_mov_b64 s[46:47], 0
                                        ; implicit-def: $sgpr44_sgpr45
.LBB161_104:                            ; =>This Inner Loop Header: Depth=1
	global_load_ubyte v19, v[20:21], off
	global_load_ubyte v22, v[16:17], off
	s_add_u32 s6, s18, -1
	s_addc_u32 s7, s19, -1
	s_cmp_eq_u64 s[18:19], 0
	s_mov_b64 s[18:19], s[6:7]
	s_cselect_b64 s[48:49], -1, 0
	v_lshl_add_u64 v[20:21], v[20:21], 0, 1
	v_lshl_add_u64 v[16:17], v[16:17], 0, 1
	s_waitcnt vmcnt(0)
	v_cmp_ne_u16_e64 s[6:7], v19, v22
	s_or_b64 s[6:7], s[6:7], s[48:49]
	s_and_b64 s[6:7], exec, s[6:7]
	v_cmp_eq_u16_e32 vcc, v19, v22
	s_or_b64 s[46:47], s[6:7], s[46:47]
	s_andn2_b64 s[6:7], s[44:45], exec
	s_and_b64 s[44:45], vcc, exec
	s_or_b64 s[44:45], s[6:7], s[44:45]
	s_andn2_b64 exec, exec, s[46:47]
	s_cbranch_execnz .LBB161_104
; %bb.105:
	s_or_b64 exec, exec, s[46:47]
	s_xor_b64 s[6:7], s[36:37], -1
	v_cndmask_b32_e64 v40, 0, 1, s[6:7]
	s_xor_b64 s[6:7], s[40:41], -1
	v_cndmask_b32_e64 v16, 0, 1, s[6:7]
	v_lshlrev_b16_e32 v16, 8, v16
	s_xor_b64 s[6:7], s[14:15], -1
	v_lshrrev_b32_e32 v16, 8, v16
	v_mov_b32_e32 v20, 1
	s_xor_b64 s[14:15], s[42:43], -1
	v_cndmask_b32_e64 v19, 0, 1, s[6:7]
	s_xor_b64 s[6:7], s[38:39], -1
	v_and_b32_sdwa v16, v16, v20 dst_sel:BYTE_1 dst_unused:UNUSED_PAD src0_sel:DWORD src1_sel:DWORD
	v_cndmask_b32_e64 v20, 0, 1, s[14:15]
	v_cndmask_b32_e64 v17, 0, 1, s[6:7]
	s_xor_b64 s[6:7], s[44:45], -1
	v_or_b32_sdwa v16, v20, v16 dst_sel:WORD_1 dst_unused:UNUSED_PAD src0_sel:DWORD src1_sel:DWORD
	s_branch .LBB161_108
.LBB161_106:
                                        ; implicit-def: $sgpr6_sgpr7
                                        ; implicit-def: $vgpr19
                                        ; implicit-def: $vgpr40
                                        ; implicit-def: $vgpr17
                                        ; implicit-def: $vgpr21
                                        ; implicit-def: $vgpr42
                                        ; implicit-def: $vgpr41
                                        ; implicit-def: $vgpr20
	s_cbranch_execnz .LBB161_115
	s_branch .LBB161_160
.LBB161_107:
	v_mov_b32_e32 v16, 0
	v_mov_b32_e32 v19, 0
	;; [unrolled: 1-line block ×4, first 2 shown]
.LBB161_108:
	v_lshrrev_b32_e32 v41, 16, v16
	v_lshrrev_b32_e32 v20, 24, v16
	v_cndmask_b32_e64 v42, 0, 1, s[6:7]
	v_mov_b32_e32 v16, 1
	v_cmp_ne_u32_e32 vcc, 0, v0
	s_waitcnt lgkmcnt(0)
	s_barrier
                                        ; implicit-def: $sgpr6_sgpr7
                                        ; implicit-def: $vgpr21
	s_and_saveexec_b64 s[14:15], vcc
	s_xor_b64 s[14:15], exec, s[14:15]
	s_cbranch_execz .LBB161_114
; %bb.109:
	v_lshlrev_b16_e32 v21, 8, v20
	s_movk_i32 s6, 0xff
	v_bitop3_b16 v21, v41, v21, s6 bitop3:0xec
	v_lshlrev_b16_e32 v22, 8, v42
	v_lshlrev_b32_e32 v21, 16, v21
	v_or_b32_e32 v22, 1, v22
	v_or_b32_sdwa v21, v22, v21 dst_sel:DWORD dst_unused:UNUSED_PAD src0_sel:WORD_0 src1_sel:DWORD
	s_mov_b32 s33, 0x3020104
	s_and_b64 vcc, exec, s[4:5]
	s_mov_b64 s[6:7], 0
	s_cbranch_vccnz .LBB161_113
; %bb.110:
	v_add_u32_e32 v22, -8, v26
	ds_read_b64 v[22:23], v22
	v_mov_b64_e32 v[24:25], s[20:21]
	s_add_u32 s36, s30, -1
	s_addc_u32 s37, s31, -1
                                        ; implicit-def: $sgpr18_sgpr19
	s_waitcnt lgkmcnt(0)
	v_mul_lo_u32 v27, v22, s31
	v_mul_lo_u32 v28, v23, s30
	v_mad_u64_u32 v[22:23], s[4:5], v22, s30, v[24:25]
	v_add3_u32 v23, v28, v23, v27
	v_mad_u64_u32 v[24:25], s[4:5], v10, s30, v[24:25]
	v_mul_lo_u32 v27, v10, s31
	v_mul_lo_u32 v28, v11, s30
	v_add3_u32 v25, v28, v25, v27
.LBB161_111:                            ; =>This Inner Loop Header: Depth=1
	global_load_ubyte v27, v[22:23], off
	global_load_ubyte v28, v[24:25], off
	s_add_u32 s4, s36, -1
	s_addc_u32 s5, s37, -1
	s_cmp_eq_u64 s[36:37], 0
	s_mov_b64 s[36:37], s[4:5]
	s_cselect_b64 s[38:39], -1, 0
	v_lshl_add_u64 v[22:23], v[22:23], 0, 1
	v_lshl_add_u64 v[24:25], v[24:25], 0, 1
	s_waitcnt vmcnt(0)
	v_cmp_ne_u16_e64 s[4:5], v27, v28
	s_or_b64 s[4:5], s[4:5], s[38:39]
	s_and_b64 s[4:5], exec, s[4:5]
	v_cmp_eq_u16_e32 vcc, v27, v28
	s_or_b64 s[6:7], s[4:5], s[6:7]
	s_andn2_b64 s[4:5], s[18:19], exec
	s_and_b64 s[18:19], vcc, exec
	s_or_b64 s[18:19], s[4:5], s[18:19]
	s_andn2_b64 exec, exec, s[6:7]
	s_cbranch_execnz .LBB161_111
; %bb.112:
	s_or_b64 exec, exec, s[6:7]
	s_xor_b64 s[6:7], s[18:19], -1
.LBB161_113:
	v_perm_b32 v21, v21, v21, s33
	s_or_b64 s[10:11], s[10:11], exec
.LBB161_114:
	s_or_b64 exec, exec, s[14:15]
	s_branch .LBB161_160
.LBB161_115:
	v_add_u32_e32 v16, 6, v1
	v_cmp_gt_u32_e32 vcc, s3, v16
	s_mov_b64 s[14:15], 0
	s_mov_b64 s[6:7], 0
	s_and_saveexec_b64 s[18:19], vcc
	s_cbranch_execz .LBB161_121
; %bb.116:
	s_andn2_b64 vcc, exec, s[12:13]
	s_mov_b64 s[4:5], 0
	s_cbranch_vccnz .LBB161_120
; %bb.117:
	v_mov_b64_e32 v[20:21], s[20:21]
	v_mad_u64_u32 v[16:17], s[4:5], v4, s30, v[20:21]
	v_mul_lo_u32 v19, v4, s31
	v_mul_lo_u32 v22, v5, s30
	v_add3_u32 v17, v22, v17, v19
	v_mad_u64_u32 v[20:21], s[4:5], v14, s30, v[20:21]
	v_mul_lo_u32 v19, v14, s31
	v_mul_lo_u32 v22, v15, s30
	s_add_u32 s38, s30, -1
	v_add3_u32 v21, v22, v21, v19
	s_addc_u32 s39, s31, -1
                                        ; implicit-def: $sgpr36_sgpr37
.LBB161_118:                            ; =>This Inner Loop Header: Depth=1
	global_load_ubyte v19, v[16:17], off
	global_load_ubyte v22, v[20:21], off
	s_add_u32 s4, s38, -1
	s_addc_u32 s5, s39, -1
	s_cmp_eq_u64 s[38:39], 0
	s_mov_b64 s[38:39], s[4:5]
	s_cselect_b64 s[40:41], -1, 0
	v_lshl_add_u64 v[16:17], v[16:17], 0, 1
	v_lshl_add_u64 v[20:21], v[20:21], 0, 1
	s_waitcnt vmcnt(0)
	v_cmp_ne_u16_e64 s[4:5], v19, v22
	s_or_b64 s[4:5], s[4:5], s[40:41]
	s_and_b64 s[4:5], exec, s[4:5]
	v_cmp_eq_u16_e32 vcc, v19, v22
	s_or_b64 s[6:7], s[4:5], s[6:7]
	s_andn2_b64 s[4:5], s[36:37], exec
	s_and_b64 s[36:37], vcc, exec
	s_or_b64 s[36:37], s[4:5], s[36:37]
	s_andn2_b64 exec, exec, s[6:7]
	s_cbranch_execnz .LBB161_118
; %bb.119:
	s_or_b64 exec, exec, s[6:7]
	s_xor_b64 s[4:5], s[36:37], -1
.LBB161_120:
	s_and_b64 s[6:7], s[4:5], exec
.LBB161_121:
	s_or_b64 exec, exec, s[18:19]
	v_add_u32_e32 v16, 5, v1
	v_cmp_gt_u32_e32 vcc, s3, v16
	s_and_saveexec_b64 s[18:19], vcc
	s_cbranch_execz .LBB161_127
; %bb.122:
	s_andn2_b64 vcc, exec, s[12:13]
	s_mov_b64 s[4:5], 0
	s_cbranch_vccnz .LBB161_126
; %bb.123:
	v_mov_b64_e32 v[20:21], s[20:21]
	v_mad_u64_u32 v[16:17], s[4:5], v2, s30, v[20:21]
	v_mul_lo_u32 v19, v2, s31
	v_mul_lo_u32 v22, v3, s30
	v_add3_u32 v17, v22, v17, v19
	v_mad_u64_u32 v[20:21], s[4:5], v4, s30, v[20:21]
	v_mul_lo_u32 v19, v4, s31
	v_mul_lo_u32 v22, v5, s30
	s_add_u32 s38, s30, -1
	v_add3_u32 v21, v22, v21, v19
	s_addc_u32 s39, s31, -1
	s_mov_b64 s[14:15], 0
                                        ; implicit-def: $sgpr36_sgpr37
.LBB161_124:                            ; =>This Inner Loop Header: Depth=1
	global_load_ubyte v19, v[16:17], off
	global_load_ubyte v22, v[20:21], off
	s_add_u32 s4, s38, -1
	s_addc_u32 s5, s39, -1
	s_cmp_eq_u64 s[38:39], 0
	s_mov_b64 s[38:39], s[4:5]
	s_cselect_b64 s[40:41], -1, 0
	v_lshl_add_u64 v[16:17], v[16:17], 0, 1
	v_lshl_add_u64 v[20:21], v[20:21], 0, 1
	s_waitcnt vmcnt(0)
	v_cmp_ne_u16_e64 s[4:5], v19, v22
	s_or_b64 s[4:5], s[4:5], s[40:41]
	s_and_b64 s[4:5], exec, s[4:5]
	v_cmp_eq_u16_e32 vcc, v19, v22
	s_or_b64 s[14:15], s[4:5], s[14:15]
	s_andn2_b64 s[4:5], s[36:37], exec
	s_and_b64 s[36:37], vcc, exec
	s_or_b64 s[36:37], s[4:5], s[36:37]
	s_andn2_b64 exec, exec, s[14:15]
	s_cbranch_execnz .LBB161_124
; %bb.125:
	s_or_b64 exec, exec, s[14:15]
	s_xor_b64 s[4:5], s[36:37], -1
.LBB161_126:
	s_and_b64 s[14:15], s[4:5], exec
.LBB161_127:
	s_or_b64 exec, exec, s[18:19]
	v_add_u32_e32 v16, 4, v1
	v_cmp_gt_u32_e32 vcc, s3, v16
	s_mov_b64 s[18:19], 0
	s_mov_b64 s[36:37], 0
	s_and_saveexec_b64 s[38:39], vcc
	s_cbranch_execz .LBB161_133
; %bb.128:
	s_andn2_b64 vcc, exec, s[12:13]
	s_mov_b64 s[4:5], 0
	s_cbranch_vccnz .LBB161_132
; %bb.129:
	v_mov_b64_e32 v[20:21], s[20:21]
	v_mad_u64_u32 v[16:17], s[4:5], v8, s30, v[20:21]
	v_mul_lo_u32 v19, v8, s31
	v_mul_lo_u32 v22, v9, s30
	v_add3_u32 v17, v22, v17, v19
	v_mad_u64_u32 v[20:21], s[4:5], v2, s30, v[20:21]
	v_mul_lo_u32 v19, v2, s31
	v_mul_lo_u32 v22, v3, s30
	s_add_u32 s42, s30, -1
	v_add3_u32 v21, v22, v21, v19
	s_addc_u32 s43, s31, -1
                                        ; implicit-def: $sgpr40_sgpr41
.LBB161_130:                            ; =>This Inner Loop Header: Depth=1
	global_load_ubyte v19, v[16:17], off
	global_load_ubyte v22, v[20:21], off
	s_add_u32 s4, s42, -1
	s_addc_u32 s5, s43, -1
	s_cmp_eq_u64 s[42:43], 0
	s_mov_b64 s[42:43], s[4:5]
	s_cselect_b64 s[44:45], -1, 0
	v_lshl_add_u64 v[16:17], v[16:17], 0, 1
	v_lshl_add_u64 v[20:21], v[20:21], 0, 1
	s_waitcnt vmcnt(0)
	v_cmp_ne_u16_e64 s[4:5], v19, v22
	s_or_b64 s[4:5], s[4:5], s[44:45]
	s_and_b64 s[4:5], exec, s[4:5]
	v_cmp_eq_u16_e32 vcc, v19, v22
	s_or_b64 s[36:37], s[4:5], s[36:37]
	s_andn2_b64 s[4:5], s[40:41], exec
	s_and_b64 s[40:41], vcc, exec
	s_or_b64 s[40:41], s[4:5], s[40:41]
	s_andn2_b64 exec, exec, s[36:37]
	s_cbranch_execnz .LBB161_130
; %bb.131:
	s_or_b64 exec, exec, s[36:37]
	s_xor_b64 s[4:5], s[40:41], -1
.LBB161_132:
	s_and_b64 s[36:37], s[4:5], exec
.LBB161_133:
	s_or_b64 exec, exec, s[38:39]
	v_add_u32_e32 v16, 3, v1
	v_cmp_gt_u32_e32 vcc, s3, v16
	s_and_saveexec_b64 s[38:39], vcc
	s_cbranch_execz .LBB161_139
; %bb.134:
	s_andn2_b64 vcc, exec, s[12:13]
	s_mov_b64 s[4:5], 0
	s_cbranch_vccnz .LBB161_138
; %bb.135:
	v_mov_b64_e32 v[20:21], s[20:21]
	v_mad_u64_u32 v[16:17], s[4:5], v6, s30, v[20:21]
	v_mul_lo_u32 v19, v6, s31
	v_mul_lo_u32 v22, v7, s30
	v_add3_u32 v17, v22, v17, v19
	v_mad_u64_u32 v[20:21], s[4:5], v8, s30, v[20:21]
	v_mul_lo_u32 v19, v8, s31
	v_mul_lo_u32 v22, v9, s30
	s_add_u32 s42, s30, -1
	v_add3_u32 v21, v22, v21, v19
	s_addc_u32 s43, s31, -1
	s_mov_b64 s[18:19], 0
                                        ; implicit-def: $sgpr40_sgpr41
.LBB161_136:                            ; =>This Inner Loop Header: Depth=1
	global_load_ubyte v19, v[16:17], off
	global_load_ubyte v22, v[20:21], off
	s_add_u32 s4, s42, -1
	s_addc_u32 s5, s43, -1
	s_cmp_eq_u64 s[42:43], 0
	s_mov_b64 s[42:43], s[4:5]
	s_cselect_b64 s[44:45], -1, 0
	v_lshl_add_u64 v[16:17], v[16:17], 0, 1
	v_lshl_add_u64 v[20:21], v[20:21], 0, 1
	s_waitcnt vmcnt(0)
	v_cmp_ne_u16_e64 s[4:5], v19, v22
	s_or_b64 s[4:5], s[4:5], s[44:45]
	s_and_b64 s[4:5], exec, s[4:5]
	v_cmp_eq_u16_e32 vcc, v19, v22
	s_or_b64 s[18:19], s[4:5], s[18:19]
	s_andn2_b64 s[4:5], s[40:41], exec
	s_and_b64 s[40:41], vcc, exec
	s_or_b64 s[40:41], s[4:5], s[40:41]
	s_andn2_b64 exec, exec, s[18:19]
	s_cbranch_execnz .LBB161_136
; %bb.137:
	s_or_b64 exec, exec, s[18:19]
	s_xor_b64 s[4:5], s[40:41], -1
.LBB161_138:
	s_and_b64 s[18:19], s[4:5], exec
.LBB161_139:
	s_or_b64 exec, exec, s[38:39]
	v_add_u32_e32 v16, 2, v1
	v_cmp_gt_u32_e32 vcc, s3, v16
	s_mov_b64 s[38:39], 0
	s_mov_b64 s[40:41], 0
	s_and_saveexec_b64 s[42:43], vcc
	s_cbranch_execz .LBB161_145
; %bb.140:
	s_andn2_b64 vcc, exec, s[12:13]
	s_mov_b64 s[4:5], 0
	s_cbranch_vccnz .LBB161_144
; %bb.141:
	v_mov_b64_e32 v[20:21], s[20:21]
	v_mad_u64_u32 v[16:17], s[4:5], v12, s30, v[20:21]
	v_mul_lo_u32 v19, v12, s31
	v_mul_lo_u32 v22, v13, s30
	v_add3_u32 v17, v22, v17, v19
	v_mad_u64_u32 v[20:21], s[4:5], v6, s30, v[20:21]
	v_mul_lo_u32 v19, v6, s31
	v_mul_lo_u32 v22, v7, s30
	s_add_u32 s46, s30, -1
	v_add3_u32 v21, v22, v21, v19
	s_addc_u32 s47, s31, -1
                                        ; implicit-def: $sgpr44_sgpr45
.LBB161_142:                            ; =>This Inner Loop Header: Depth=1
	global_load_ubyte v19, v[16:17], off
	global_load_ubyte v22, v[20:21], off
	s_add_u32 s4, s46, -1
	s_addc_u32 s5, s47, -1
	s_cmp_eq_u64 s[46:47], 0
	s_mov_b64 s[46:47], s[4:5]
	s_cselect_b64 s[48:49], -1, 0
	v_lshl_add_u64 v[16:17], v[16:17], 0, 1
	v_lshl_add_u64 v[20:21], v[20:21], 0, 1
	s_waitcnt vmcnt(0)
	v_cmp_ne_u16_e64 s[4:5], v19, v22
	s_or_b64 s[4:5], s[4:5], s[48:49]
	s_and_b64 s[4:5], exec, s[4:5]
	v_cmp_eq_u16_e32 vcc, v19, v22
	s_or_b64 s[40:41], s[4:5], s[40:41]
	s_andn2_b64 s[4:5], s[44:45], exec
	s_and_b64 s[44:45], vcc, exec
	s_or_b64 s[44:45], s[4:5], s[44:45]
	s_andn2_b64 exec, exec, s[40:41]
	s_cbranch_execnz .LBB161_142
; %bb.143:
	s_or_b64 exec, exec, s[40:41]
	s_xor_b64 s[4:5], s[44:45], -1
.LBB161_144:
	s_and_b64 s[40:41], s[4:5], exec
.LBB161_145:
	s_or_b64 exec, exec, s[42:43]
	v_add_u32_e32 v16, 1, v1
	v_cmp_gt_u32_e32 vcc, s3, v16
	s_and_saveexec_b64 s[42:43], vcc
	s_cbranch_execz .LBB161_151
; %bb.146:
	s_andn2_b64 vcc, exec, s[12:13]
	s_mov_b64 s[4:5], 0
	s_cbranch_vccnz .LBB161_150
; %bb.147:
	v_mov_b64_e32 v[20:21], s[20:21]
	v_mad_u64_u32 v[16:17], s[4:5], v10, s30, v[20:21]
	v_mul_lo_u32 v19, v10, s31
	v_mul_lo_u32 v22, v11, s30
	v_add3_u32 v17, v22, v17, v19
	v_mad_u64_u32 v[20:21], s[4:5], v12, s30, v[20:21]
	v_mul_lo_u32 v19, v12, s31
	v_mul_lo_u32 v22, v13, s30
	s_add_u32 s46, s30, -1
	v_add3_u32 v21, v22, v21, v19
	s_addc_u32 s47, s31, -1
	s_mov_b64 s[38:39], 0
                                        ; implicit-def: $sgpr44_sgpr45
.LBB161_148:                            ; =>This Inner Loop Header: Depth=1
	global_load_ubyte v19, v[16:17], off
	global_load_ubyte v22, v[20:21], off
	s_add_u32 s4, s46, -1
	s_addc_u32 s5, s47, -1
	s_cmp_eq_u64 s[46:47], 0
	s_mov_b64 s[46:47], s[4:5]
	s_cselect_b64 s[48:49], -1, 0
	v_lshl_add_u64 v[16:17], v[16:17], 0, 1
	v_lshl_add_u64 v[20:21], v[20:21], 0, 1
	s_waitcnt vmcnt(0)
	v_cmp_ne_u16_e64 s[4:5], v19, v22
	s_or_b64 s[4:5], s[4:5], s[48:49]
	s_and_b64 s[4:5], exec, s[4:5]
	v_cmp_eq_u16_e32 vcc, v19, v22
	s_or_b64 s[38:39], s[4:5], s[38:39]
	s_andn2_b64 s[4:5], s[44:45], exec
	s_and_b64 s[44:45], vcc, exec
	s_or_b64 s[44:45], s[4:5], s[44:45]
	s_andn2_b64 exec, exec, s[38:39]
	s_cbranch_execnz .LBB161_148
; %bb.149:
	s_or_b64 exec, exec, s[38:39]
	s_xor_b64 s[4:5], s[44:45], -1
.LBB161_150:
	s_and_b64 s[38:39], s[4:5], exec
.LBB161_151:
	s_or_b64 exec, exec, s[42:43]
	v_cndmask_b32_e64 v17, 0, 1, s[36:37]
	v_cndmask_b32_e64 v40, 0, 1, s[14:15]
	;; [unrolled: 1-line block ×6, first 2 shown]
	v_mov_b32_e32 v16, 1
	v_cmp_ne_u32_e32 vcc, 0, v0
	s_waitcnt lgkmcnt(0)
	s_barrier
                                        ; implicit-def: $sgpr6_sgpr7
                                        ; implicit-def: $vgpr21
	s_and_saveexec_b64 s[14:15], vcc
	s_cbranch_execz .LBB161_159
; %bb.152:
	v_lshlrev_b16_e32 v21, 8, v42
	v_lshlrev_b16_e32 v22, 8, v20
	v_or_b32_e32 v21, 1, v21
	v_or_b32_sdwa v22, v41, v22 dst_sel:WORD_1 dst_unused:UNUSED_PAD src0_sel:DWORD src1_sel:DWORD
	v_cmp_gt_u32_e32 vcc, s3, v1
	v_or_b32_sdwa v21, v21, v22 dst_sel:DWORD dst_unused:UNUSED_PAD src0_sel:WORD_0 src1_sel:DWORD
	s_mov_b32 s33, 0x3020104
	s_mov_b64 s[6:7], 0
	s_and_saveexec_b64 s[18:19], vcc
	s_cbranch_execz .LBB161_158
; %bb.153:
	s_andn2_b64 vcc, exec, s[12:13]
	s_mov_b64 s[4:5], 0
	s_cbranch_vccnz .LBB161_157
; %bb.154:
	v_add_u32_e32 v22, -8, v26
	ds_read_b64 v[22:23], v22
	v_mov_b64_e32 v[24:25], s[20:21]
	s_add_u32 s20, s30, -1
	s_addc_u32 s21, s31, -1
                                        ; implicit-def: $sgpr12_sgpr13
	s_waitcnt lgkmcnt(0)
	v_mul_lo_u32 v26, v22, s31
	v_mul_lo_u32 v27, v23, s30
	v_mad_u64_u32 v[22:23], s[4:5], v22, s30, v[24:25]
	v_add3_u32 v23, v27, v23, v26
	v_mad_u64_u32 v[24:25], s[4:5], v10, s30, v[24:25]
	v_mul_lo_u32 v26, v10, s31
	v_mul_lo_u32 v27, v11, s30
	v_add3_u32 v25, v27, v25, v26
.LBB161_155:                            ; =>This Inner Loop Header: Depth=1
	global_load_ubyte v26, v[22:23], off
	global_load_ubyte v27, v[24:25], off
	s_add_u32 s4, s20, -1
	s_addc_u32 s5, s21, -1
	s_cmp_eq_u64 s[20:21], 0
	s_mov_b64 s[20:21], s[4:5]
	s_cselect_b64 s[30:31], -1, 0
	v_lshl_add_u64 v[22:23], v[22:23], 0, 1
	v_lshl_add_u64 v[24:25], v[24:25], 0, 1
	s_waitcnt vmcnt(0)
	v_cmp_ne_u16_e64 s[4:5], v26, v27
	s_or_b64 s[4:5], s[4:5], s[30:31]
	s_and_b64 s[4:5], exec, s[4:5]
	v_cmp_eq_u16_e32 vcc, v26, v27
	s_or_b64 s[6:7], s[4:5], s[6:7]
	s_andn2_b64 s[4:5], s[12:13], exec
	s_and_b64 s[12:13], vcc, exec
	s_or_b64 s[12:13], s[4:5], s[12:13]
	s_andn2_b64 exec, exec, s[6:7]
	s_cbranch_execnz .LBB161_155
; %bb.156:
	s_or_b64 exec, exec, s[6:7]
	s_xor_b64 s[4:5], s[12:13], -1
.LBB161_157:
	s_and_b64 s[6:7], s[4:5], exec
.LBB161_158:
	s_or_b64 exec, exec, s[18:19]
	v_perm_b32 v21, v21, v21, s33
	s_or_b64 s[10:11], s[10:11], exec
.LBB161_159:
	s_or_b64 exec, exec, s[14:15]
.LBB161_160:
	s_and_saveexec_b64 s[4:5], s[10:11]
; %bb.161:
	v_lshrrev_b32_e32 v20, 24, v21
	v_lshrrev_b32_e32 v41, 16, v21
	;; [unrolled: 1-line block ×3, first 2 shown]
	v_cndmask_b32_e64 v16, 0, 1, s[6:7]
; %bb.162:
	s_or_b64 exec, exec, s[4:5]
	s_andn2_b64 vcc, exec, s[8:9]
	s_cbranch_vccnz .LBB161_166
; %bb.163:
	s_mov_b32 s4, 0xc0c0004
	v_perm_b32 v20, v41, v20, s4
	v_perm_b32 v16, v16, v42, s4
	v_lshlrev_b32_e32 v20, 16, v20
	v_or_b32_e32 v16, v16, v20
	v_cmp_gt_u32_e32 vcc, s3, v1
	v_add_u32_e32 v22, 1, v1
	v_perm_b32 v17, v17, v40, s4
	v_cndmask_b32_e32 v20, v20, v16, vcc
	v_and_b32_e32 v20, 0xffff00ff, v20
	v_cmp_gt_u32_e32 vcc, s3, v22
	v_add_u32_e32 v22, 2, v1
	s_mov_b32 s4, 0x40c0100
	v_cndmask_b32_e32 v20, v20, v16, vcc
	v_lshrrev_b32_e32 v23, 24, v20
	v_and_b32_e32 v19, 0xff, v19
	v_perm_b32 v20, v23, v20, s4
	v_cmp_gt_u32_e32 vcc, s3, v22
	v_lshlrev_b32_e32 v19, 16, v19
	v_add_u32_e32 v22, 3, v1
	v_cndmask_b32_e32 v20, v20, v16, vcc
	s_mov_b32 s4, 0xffff00
	v_or_b32_e32 v21, v17, v19
	v_and_b32_e32 v20, 0xffffff, v20
	v_cmp_gt_u32_e32 vcc, s3, v22
	v_bitop3_b32 v17, v17, s4, v19 bitop3:0xc8
	v_add_u32_e32 v19, 4, v1
	v_cndmask_b32_e32 v20, v20, v16, vcc
	v_cmp_gt_u32_e32 vcc, s3, v19
	v_add_u32_e32 v19, 5, v1
	v_cmp_gt_u32_e64 s[4:5], s3, v19
	v_cndmask_b32_e32 v17, v17, v21, vcc
	v_and_b32_e32 v17, 0xffff00ff, v17
	s_or_b64 vcc, s[4:5], vcc
	v_cndmask_b32_e64 v17, v17, v21, s[4:5]
	v_cndmask_b32_e32 v16, v20, v16, vcc
	v_add_u32_e32 v1, 6, v1
	v_lshrrev_b32_e32 v41, 16, v16
	v_lshrrev_b32_e32 v42, 8, v16
	v_lshrrev_b64 v[20:21], 24, v[16:17]
	v_lshrrev_b32_e32 v19, 16, v17
	v_lshrrev_b32_e32 v40, 8, v17
	v_cmp_le_u32_e32 vcc, s3, v1
	s_and_saveexec_b64 s[4:5], vcc
; %bb.164:
	v_mov_b32_e32 v19, 0
; %bb.165:
	s_or_b64 exec, exec, s[4:5]
.LBB161_166:
	v_and_b32_e32 v1, 0xff, v16
	v_and_b32_e32 v21, 0xff, v42
	;; [unrolled: 1-line block ×5, first 2 shown]
	v_add3_u32 v23, v21, v1, v33
	v_and_b32_e32 v39, 0xff, v40
	v_and_b32_e32 v22, 0xff, v19
	v_add3_u32 v23, v23, v35, v37
	v_add3_u32 v45, v23, v39, v22
	v_mbcnt_lo_u32_b32 v22, -1, 0
	v_mbcnt_hi_u32_b32 v43, -1, v22
	v_and_b32_e32 v22, 15, v43
	v_cmp_eq_u32_e64 s[14:15], 0, v22
	v_cmp_lt_u32_e64 s[12:13], 1, v22
	v_cmp_lt_u32_e64 s[10:11], 3, v22
	;; [unrolled: 1-line block ×3, first 2 shown]
	v_and_b32_e32 v22, 16, v43
	v_cmp_eq_u32_e64 s[6:7], 0, v22
	v_or_b32_e32 v22, 63, v0
	v_cmp_lt_u32_e64 s[18:19], 31, v43
	v_lshrrev_b32_e32 v44, 6, v0
	v_cmp_eq_u32_e64 s[4:5], v0, v22
	s_and_b64 vcc, exec, s[16:17]
	s_waitcnt lgkmcnt(0)
	s_barrier
	s_cbranch_vccz .LBB161_188
; %bb.167:
	v_mov_b32_dpp v22, v45 row_shr:1 row_mask:0xf bank_mask:0xf
	v_cndmask_b32_e64 v22, v22, 0, s[14:15]
	v_add_u32_e32 v22, v22, v45
	s_nop 1
	v_mov_b32_dpp v23, v22 row_shr:2 row_mask:0xf bank_mask:0xf
	v_cndmask_b32_e64 v23, 0, v23, s[12:13]
	v_add_u32_e32 v22, v22, v23
	s_nop 1
	;; [unrolled: 4-line block ×4, first 2 shown]
	v_mov_b32_dpp v23, v22 row_bcast:15 row_mask:0xf bank_mask:0xf
	v_cndmask_b32_e64 v23, v23, 0, s[6:7]
	v_add_u32_e32 v22, v22, v23
	s_nop 1
	v_mov_b32_dpp v23, v22 row_bcast:31 row_mask:0xf bank_mask:0xf
	v_cndmask_b32_e64 v23, 0, v23, s[18:19]
	v_add_u32_e32 v22, v22, v23
	s_and_saveexec_b64 s[16:17], s[4:5]
; %bb.168:
	v_lshlrev_b32_e32 v23, 2, v44
	ds_write_b32 v23, v22
; %bb.169:
	s_or_b64 exec, exec, s[16:17]
	v_cmp_gt_u32_e32 vcc, 8, v0
	s_waitcnt lgkmcnt(0)
	s_barrier
	s_and_saveexec_b64 s[16:17], vcc
	s_cbranch_execz .LBB161_171
; %bb.170:
	v_lshlrev_b32_e32 v23, 2, v0
	ds_read_b32 v24, v23
	v_and_b32_e32 v25, 7, v43
	v_cmp_ne_u32_e32 vcc, 0, v25
	s_waitcnt lgkmcnt(0)
	v_mov_b32_dpp v26, v24 row_shr:1 row_mask:0xf bank_mask:0xf
	v_cndmask_b32_e32 v26, 0, v26, vcc
	v_add_u32_e32 v24, v26, v24
	v_cmp_lt_u32_e32 vcc, 1, v25
	s_nop 0
	v_mov_b32_dpp v26, v24 row_shr:2 row_mask:0xf bank_mask:0xf
	v_cndmask_b32_e32 v26, 0, v26, vcc
	v_add_u32_e32 v24, v24, v26
	v_cmp_lt_u32_e32 vcc, 3, v25
	s_nop 0
	v_mov_b32_dpp v26, v24 row_shr:4 row_mask:0xf bank_mask:0xf
	v_cndmask_b32_e32 v25, 0, v26, vcc
	v_add_u32_e32 v24, v24, v25
	ds_write_b32 v23, v24
.LBB161_171:
	s_or_b64 exec, exec, s[16:17]
	v_cmp_gt_u32_e32 vcc, 64, v0
	v_cmp_lt_u32_e64 s[16:17], 63, v0
	s_waitcnt lgkmcnt(0)
	s_barrier
                                        ; implicit-def: $vgpr32
	s_and_saveexec_b64 s[20:21], s[16:17]
	s_cbranch_execz .LBB161_173
; %bb.172:
	v_lshl_add_u32 v23, v44, 2, -4
	ds_read_b32 v32, v23
	s_waitcnt lgkmcnt(0)
	v_add_u32_e32 v22, v32, v22
.LBB161_173:
	s_or_b64 exec, exec, s[20:21]
	v_subrev_co_u32_e64 v23, s[16:17], 1, v43
	v_and_b32_e32 v24, 64, v43
	v_cmp_lt_i32_e64 s[20:21], v23, v24
	s_nop 1
	v_cndmask_b32_e64 v23, v23, v43, s[20:21]
	v_lshlrev_b32_e32 v23, 2, v23
	ds_bpermute_b32 v34, v23, v22
	s_and_saveexec_b64 s[20:21], vcc
	s_cbranch_execz .LBB161_193
; %bb.174:
	v_mov_b32_e32 v29, 0
	ds_read_b32 v22, v29 offset:28
	s_and_saveexec_b64 s[30:31], s[16:17]
	s_cbranch_execz .LBB161_176
; %bb.175:
	s_add_i32 s36, s2, 64
	s_mov_b32 s37, 0
	s_lshl_b64 s[36:37], s[36:37], 3
	s_add_u32 s36, s22, s36
	v_mov_b32_e32 v23, 1
	s_addc_u32 s37, s23, s37
	s_waitcnt lgkmcnt(0)
	global_store_dwordx2 v29, v[22:23], s[36:37] sc1
.LBB161_176:
	s_or_b64 exec, exec, s[30:31]
	v_xad_u32 v24, v43, -1, s2
	v_add_u32_e32 v28, 64, v24
	v_lshl_add_u64 v[30:31], v[28:29], 3, s[22:23]
	global_load_dwordx2 v[26:27], v[30:31], off sc1
	s_waitcnt vmcnt(0)
	v_cmp_eq_u16_sdwa s[36:37], v27, v29 src0_sel:BYTE_0 src1_sel:DWORD
	s_and_saveexec_b64 s[30:31], s[36:37]
	s_cbranch_execz .LBB161_180
; %bb.177:
	s_mov_b64 s[36:37], 0
	v_mov_b32_e32 v23, 0
.LBB161_178:                            ; =>This Inner Loop Header: Depth=1
	global_load_dwordx2 v[26:27], v[30:31], off sc1
	s_waitcnt vmcnt(0)
	v_cmp_ne_u16_sdwa s[38:39], v27, v23 src0_sel:BYTE_0 src1_sel:DWORD
	s_or_b64 s[36:37], s[38:39], s[36:37]
	s_andn2_b64 exec, exec, s[36:37]
	s_cbranch_execnz .LBB161_178
; %bb.179:
	s_or_b64 exec, exec, s[36:37]
.LBB161_180:
	s_or_b64 exec, exec, s[30:31]
	v_and_b32_e32 v38, 63, v43
	v_mov_b32_e32 v36, 2
	v_cmp_ne_u32_e32 vcc, 63, v38
	v_cmp_eq_u16_sdwa s[30:31], v27, v36 src0_sel:BYTE_0 src1_sel:DWORD
	v_lshlrev_b64 v[28:29], v43, -1
	v_addc_co_u32_e32 v30, vcc, 0, v43, vcc
	v_and_b32_e32 v23, s31, v29
	v_lshlrev_b32_e32 v46, 2, v30
	v_or_b32_e32 v23, 0x80000000, v23
	ds_bpermute_b32 v30, v46, v26
	v_and_b32_e32 v25, s30, v28
	v_ffbl_b32_e32 v23, v23
	v_add_u32_e32 v23, 32, v23
	v_ffbl_b32_e32 v25, v25
	v_min_u32_e32 v23, v25, v23
	v_cmp_lt_u32_e32 vcc, v38, v23
	v_add_u32_e32 v48, 2, v38
	v_add_u32_e32 v50, 4, v38
	s_waitcnt lgkmcnt(0)
	v_cndmask_b32_e32 v25, 0, v30, vcc
	v_cmp_gt_u32_e32 vcc, 62, v38
	v_add_u32_e32 v25, v25, v26
	v_add_u32_e32 v52, 8, v38
	v_cndmask_b32_e64 v26, 0, 2, vcc
	v_add_lshl_u32 v47, v26, v43, 2
	ds_bpermute_b32 v26, v47, v25
	v_cmp_le_u32_e32 vcc, v48, v23
	v_add_u32_e32 v54, 16, v38
	v_add_u32_e32 v56, 32, v38
	s_waitcnt lgkmcnt(0)
	v_cndmask_b32_e32 v26, 0, v26, vcc
	v_cmp_gt_u32_e32 vcc, 60, v38
	v_add_u32_e32 v25, v25, v26
	s_nop 0
	v_cndmask_b32_e64 v26, 0, 4, vcc
	v_add_lshl_u32 v49, v26, v43, 2
	ds_bpermute_b32 v26, v49, v25
	v_cmp_le_u32_e32 vcc, v50, v23
	s_waitcnt lgkmcnt(0)
	s_nop 0
	v_cndmask_b32_e32 v26, 0, v26, vcc
	v_cmp_gt_u32_e32 vcc, 56, v38
	v_add_u32_e32 v25, v25, v26
	s_nop 0
	v_cndmask_b32_e64 v26, 0, 8, vcc
	v_add_lshl_u32 v51, v26, v43, 2
	ds_bpermute_b32 v26, v51, v25
	v_cmp_le_u32_e32 vcc, v52, v23
	s_waitcnt lgkmcnt(0)
	s_nop 0
	;; [unrolled: 10-line block ×3, first 2 shown]
	v_cndmask_b32_e32 v26, 0, v26, vcc
	v_add_u32_e32 v25, v25, v26
	v_mov_b32_e32 v26, 0x80
	v_lshl_or_b32 v55, v43, 2, v26
	ds_bpermute_b32 v26, v55, v25
	v_cmp_le_u32_e32 vcc, v56, v23
	s_waitcnt lgkmcnt(0)
	s_nop 0
	v_cndmask_b32_e32 v23, 0, v26, vcc
	v_add_u32_e32 v26, v25, v23
	v_mov_b32_e32 v25, 0
	s_branch .LBB161_183
.LBB161_181:                            ;   in Loop: Header=BB161_183 Depth=1
	s_or_b64 exec, exec, s[30:31]
	v_cmp_eq_u16_sdwa s[30:31], v27, v36 src0_sel:BYTE_0 src1_sel:DWORD
	ds_bpermute_b32 v57, v46, v26
	v_subrev_u32_e32 v24, 64, v24
	v_and_b32_e32 v30, s31, v29
	v_or_b32_e32 v30, 0x80000000, v30
	v_and_b32_e32 v31, s30, v28
	v_ffbl_b32_e32 v30, v30
	v_add_u32_e32 v30, 32, v30
	v_ffbl_b32_e32 v31, v31
	v_min_u32_e32 v30, v31, v30
	v_cmp_lt_u32_e32 vcc, v38, v30
	s_mov_b64 s[30:31], 0
	s_waitcnt lgkmcnt(0)
	v_cndmask_b32_e32 v31, 0, v57, vcc
	v_add_u32_e32 v26, v31, v26
	ds_bpermute_b32 v31, v47, v26
	v_cmp_le_u32_e32 vcc, v48, v30
	s_waitcnt lgkmcnt(0)
	s_nop 0
	v_cndmask_b32_e32 v31, 0, v31, vcc
	v_add_u32_e32 v26, v26, v31
	ds_bpermute_b32 v31, v49, v26
	v_cmp_le_u32_e32 vcc, v50, v30
	s_waitcnt lgkmcnt(0)
	s_nop 0
	;; [unrolled: 6-line block ×5, first 2 shown]
	v_cndmask_b32_e32 v30, 0, v31, vcc
	v_add3_u32 v26, v30, v23, v26
.LBB161_182:                            ;   in Loop: Header=BB161_183 Depth=1
	s_and_b64 vcc, exec, s[30:31]
	s_cbranch_vccnz .LBB161_189
.LBB161_183:                            ; =>This Loop Header: Depth=1
                                        ;     Child Loop BB161_186 Depth 2
	v_cmp_ne_u16_sdwa s[30:31], v27, v36 src0_sel:BYTE_0 src1_sel:DWORD
	v_mov_b32_e32 v23, v26
	s_cmp_lg_u64 s[30:31], exec
	s_mov_b64 s[30:31], -1
                                        ; implicit-def: $vgpr26
                                        ; implicit-def: $vgpr27
	s_cbranch_scc1 .LBB161_182
; %bb.184:                              ;   in Loop: Header=BB161_183 Depth=1
	v_lshl_add_u64 v[30:31], v[24:25], 3, s[22:23]
	global_load_dwordx2 v[26:27], v[30:31], off sc1
	s_waitcnt vmcnt(0)
	v_cmp_eq_u16_sdwa s[36:37], v27, v25 src0_sel:BYTE_0 src1_sel:DWORD
	s_and_saveexec_b64 s[30:31], s[36:37]
	s_cbranch_execz .LBB161_181
; %bb.185:                              ;   in Loop: Header=BB161_183 Depth=1
	s_mov_b64 s[36:37], 0
.LBB161_186:                            ;   Parent Loop BB161_183 Depth=1
                                        ; =>  This Inner Loop Header: Depth=2
	global_load_dwordx2 v[26:27], v[30:31], off sc1
	s_waitcnt vmcnt(0)
	v_cmp_ne_u16_sdwa s[38:39], v27, v25 src0_sel:BYTE_0 src1_sel:DWORD
	s_or_b64 s[36:37], s[38:39], s[36:37]
	s_andn2_b64 exec, exec, s[36:37]
	s_cbranch_execnz .LBB161_186
; %bb.187:                              ;   in Loop: Header=BB161_183 Depth=1
	s_or_b64 exec, exec, s[36:37]
	s_branch .LBB161_181
.LBB161_188:
                                        ; implicit-def: $vgpr26
                                        ; implicit-def: $vgpr28
                                        ; implicit-def: $vgpr30
                                        ; implicit-def: $vgpr32
                                        ; implicit-def: $vgpr34
                                        ; implicit-def: $vgpr36
                                        ; implicit-def: $vgpr38
                                        ; implicit-def: $vgpr24
                                        ; implicit-def: $vgpr22
	s_load_dwordx2 s[2:3], s[0:1], 0x28
	s_cbranch_execnz .LBB161_194
	s_branch .LBB161_203
.LBB161_189:
	s_and_saveexec_b64 s[30:31], s[16:17]
	s_cbranch_execz .LBB161_191
; %bb.190:
	s_add_i32 s2, s2, 64
	s_mov_b32 s3, 0
	s_lshl_b64 s[2:3], s[2:3], 3
	s_add_u32 s2, s22, s2
	v_add_u32_e32 v24, v23, v22
	v_mov_b32_e32 v25, 2
	s_addc_u32 s3, s23, s3
	v_mov_b32_e32 v26, 0
	global_store_dwordx2 v26, v[24:25], s[2:3] sc1
	ds_write_b64 v26, v[22:23] offset:28672
.LBB161_191:
	s_or_b64 exec, exec, s[30:31]
	v_cmp_eq_u32_e32 vcc, 0, v0
	s_and_b64 exec, exec, vcc
; %bb.192:
	v_mov_b32_e32 v22, 0
	ds_write_b32 v22, v23 offset:28
.LBB161_193:
	s_or_b64 exec, exec, s[20:21]
	v_mov_b32_e32 v22, 0
	s_waitcnt lgkmcnt(0)
	s_barrier
	ds_read_b32 v23, v22 offset:28
	v_cndmask_b32_e64 v24, v34, v32, s[16:17]
	v_cmp_ne_u32_e32 vcc, 0, v0
	s_waitcnt lgkmcnt(0)
	s_barrier
	v_cndmask_b32_e32 v24, 0, v24, vcc
	v_add_u32_e32 v38, v23, v24
	v_add_u32_e32 v36, v38, v1
	ds_read_b64 v[22:23], v22 offset:28672
	v_add_u32_e32 v34, v36, v21
	v_add_u32_e32 v32, v34, v33
	;; [unrolled: 1-line block ×5, first 2 shown]
	s_waitcnt lgkmcnt(0)
	v_mov_b32_e32 v24, v23
	s_load_dwordx2 s[2:3], s[0:1], 0x28
	s_branch .LBB161_203
.LBB161_194:
	v_mov_b32_dpp v22, v45 row_shr:1 row_mask:0xf bank_mask:0xf
	v_cndmask_b32_e64 v22, v22, 0, s[14:15]
	v_add_u32_e32 v22, v22, v45
	s_nop 1
	v_mov_b32_dpp v23, v22 row_shr:2 row_mask:0xf bank_mask:0xf
	v_cndmask_b32_e64 v23, 0, v23, s[12:13]
	v_add_u32_e32 v22, v22, v23
	s_nop 1
	;; [unrolled: 4-line block ×4, first 2 shown]
	v_mov_b32_dpp v23, v22 row_bcast:15 row_mask:0xf bank_mask:0xf
	v_cndmask_b32_e64 v23, v23, 0, s[6:7]
	v_add_u32_e32 v22, v22, v23
	s_nop 1
	v_mov_b32_dpp v23, v22 row_bcast:31 row_mask:0xf bank_mask:0xf
	v_cndmask_b32_e64 v23, 0, v23, s[18:19]
	v_add_u32_e32 v22, v22, v23
	s_and_saveexec_b64 s[0:1], s[4:5]
; %bb.195:
	v_lshlrev_b32_e32 v23, 2, v44
	ds_write_b32 v23, v22
; %bb.196:
	s_or_b64 exec, exec, s[0:1]
	v_cmp_gt_u32_e32 vcc, 8, v0
	s_waitcnt lgkmcnt(0)
	s_barrier
	s_and_saveexec_b64 s[0:1], vcc
	s_cbranch_execz .LBB161_198
; %bb.197:
	v_lshlrev_b32_e32 v23, 2, v0
	ds_read_b32 v24, v23
	v_and_b32_e32 v25, 7, v43
	v_cmp_ne_u32_e32 vcc, 0, v25
	s_waitcnt lgkmcnt(0)
	v_mov_b32_dpp v26, v24 row_shr:1 row_mask:0xf bank_mask:0xf
	v_cndmask_b32_e32 v26, 0, v26, vcc
	v_add_u32_e32 v24, v26, v24
	v_cmp_lt_u32_e32 vcc, 1, v25
	s_nop 0
	v_mov_b32_dpp v26, v24 row_shr:2 row_mask:0xf bank_mask:0xf
	v_cndmask_b32_e32 v26, 0, v26, vcc
	v_add_u32_e32 v24, v24, v26
	v_cmp_lt_u32_e32 vcc, 3, v25
	s_nop 0
	v_mov_b32_dpp v26, v24 row_shr:4 row_mask:0xf bank_mask:0xf
	v_cndmask_b32_e32 v25, 0, v26, vcc
	v_add_u32_e32 v24, v24, v25
	ds_write_b32 v23, v24
.LBB161_198:
	s_or_b64 exec, exec, s[0:1]
	v_cmp_lt_u32_e32 vcc, 63, v0
	v_mov_b32_e32 v23, 0
	v_mov_b32_e32 v24, 0
	s_waitcnt lgkmcnt(0)
	s_barrier
	s_and_saveexec_b64 s[0:1], vcc
; %bb.199:
	v_lshl_add_u32 v24, v44, 2, -4
	ds_read_b32 v24, v24
; %bb.200:
	s_or_b64 exec, exec, s[0:1]
	v_subrev_co_u32_e32 v25, vcc, 1, v43
	v_and_b32_e32 v26, 64, v43
	v_cmp_lt_i32_e64 s[0:1], v25, v26
	s_waitcnt lgkmcnt(0)
	v_add_u32_e32 v22, v24, v22
	v_cndmask_b32_e64 v25, v25, v43, s[0:1]
	v_lshlrev_b32_e32 v25, 2, v25
	ds_bpermute_b32 v25, v25, v22
	ds_read_b32 v22, v23 offset:28
	v_cmp_eq_u32_e64 s[0:1], 0, v0
	s_and_saveexec_b64 s[4:5], s[0:1]
	s_cbranch_execz .LBB161_202
; %bb.201:
	v_mov_b32_e32 v26, 0
	v_mov_b32_e32 v23, 2
	s_waitcnt lgkmcnt(0)
	global_store_dwordx2 v26, v[22:23], s[22:23] offset:512 sc1
.LBB161_202:
	s_or_b64 exec, exec, s[4:5]
	s_waitcnt lgkmcnt(1)
	v_cndmask_b32_e32 v23, v25, v24, vcc
	v_cndmask_b32_e64 v38, v23, 0, s[0:1]
	v_add_u32_e32 v36, v38, v1
	v_add_u32_e32 v34, v36, v21
	;; [unrolled: 1-line block ×6, first 2 shown]
	s_waitcnt lgkmcnt(0)
	s_barrier
	v_mov_b32_e32 v24, 0
.LBB161_203:
	s_movk_i32 s0, 0x201
	v_cmp_gt_u32_e32 vcc, s0, v22
	v_and_b32_e32 v1, 1, v16
	s_mov_b64 s[4:5], -1
	v_cmp_eq_u32_e64 s[0:1], 1, v1
	s_cbranch_vccnz .LBB161_207
; %bb.204:
	s_and_b64 vcc, exec, s[4:5]
	s_cbranch_vccnz .LBB161_222
.LBB161_205:
	v_cmp_eq_u32_e32 vcc, 0, v0
	s_and_b64 s[0:1], vcc, s[28:29]
	s_waitcnt lgkmcnt(0)
	s_and_saveexec_b64 s[2:3], s[0:1]
	s_cbranch_execnz .LBB161_239
.LBB161_206:
	s_endpgm
.LBB161_207:
	v_add_u32_e32 v16, v24, v22
	v_cmp_lt_u32_e32 vcc, v38, v16
	s_or_b64 s[4:5], s[34:35], vcc
	s_and_b64 s[4:5], s[4:5], s[0:1]
	s_and_saveexec_b64 s[0:1], s[4:5]
	s_cbranch_execz .LBB161_209
; %bb.208:
	s_lshl_b64 s[4:5], s[26:27], 3
	s_waitcnt lgkmcnt(0)
	s_add_u32 s4, s2, s4
	s_addc_u32 s5, s3, s5
	v_mov_b32_e32 v39, 0
	v_lshl_add_u64 v[44:45], v[38:39], 3, s[4:5]
	global_store_dwordx2 v[44:45], v[10:11], off
.LBB161_209:
	s_or_b64 exec, exec, s[0:1]
	v_cmp_lt_u32_e32 vcc, v36, v16
	v_and_b32_e32 v21, 1, v42
	s_or_b64 s[0:1], s[34:35], vcc
	v_cmp_eq_u32_e32 vcc, 1, v21
	s_and_b64 s[4:5], s[0:1], vcc
	s_and_saveexec_b64 s[0:1], s[4:5]
	s_cbranch_execz .LBB161_211
; %bb.210:
	s_lshl_b64 s[4:5], s[26:27], 3
	s_waitcnt lgkmcnt(0)
	s_add_u32 s4, s2, s4
	s_addc_u32 s5, s3, s5
	v_mov_b32_e32 v37, 0
	v_lshl_add_u64 v[44:45], v[36:37], 3, s[4:5]
	global_store_dwordx2 v[44:45], v[12:13], off
.LBB161_211:
	s_or_b64 exec, exec, s[0:1]
	v_cmp_lt_u32_e32 vcc, v34, v16
	v_and_b32_e32 v21, 1, v41
	s_or_b64 s[0:1], s[34:35], vcc
	v_cmp_eq_u32_e32 vcc, 1, v21
	s_and_b64 s[4:5], s[0:1], vcc
	;; [unrolled: 17-line block ×6, first 2 shown]
	s_and_saveexec_b64 s[0:1], s[4:5]
	s_cbranch_execz .LBB161_221
; %bb.220:
	s_lshl_b64 s[4:5], s[26:27], 3
	s_waitcnt lgkmcnt(0)
	s_add_u32 s4, s2, s4
	s_addc_u32 s5, s3, s5
	v_mov_b32_e32 v27, 0
	v_lshl_add_u64 v[44:45], v[26:27], 3, s[4:5]
	global_store_dwordx2 v[44:45], v[14:15], off
.LBB161_221:
	s_or_b64 exec, exec, s[0:1]
	s_branch .LBB161_205
.LBB161_222:
	v_cmp_eq_u32_e32 vcc, 1, v1
	s_and_saveexec_b64 s[0:1], vcc
; %bb.223:
	v_sub_u32_e32 v1, v38, v24
	v_lshlrev_b32_e32 v1, 3, v1
	ds_write_b64 v1, v[10:11]
; %bb.224:
	s_or_b64 exec, exec, s[0:1]
	v_and_b32_e32 v1, 1, v42
	v_cmp_eq_u32_e32 vcc, 1, v1
	s_and_saveexec_b64 s[0:1], vcc
; %bb.225:
	v_sub_u32_e32 v1, v36, v24
	v_lshlrev_b32_e32 v1, 3, v1
	ds_write_b64 v1, v[12:13]
; %bb.226:
	s_or_b64 exec, exec, s[0:1]
	v_and_b32_e32 v1, 1, v41
	;; [unrolled: 9-line block ×6, first 2 shown]
	v_cmp_eq_u32_e32 vcc, 1, v1
	s_and_saveexec_b64 s[0:1], vcc
; %bb.235:
	v_sub_u32_e32 v1, v26, v24
	v_lshlrev_b32_e32 v1, 3, v1
	ds_write_b64 v1, v[14:15]
; %bb.236:
	s_or_b64 exec, exec, s[0:1]
	v_mov_b32_e32 v25, 0
	s_lshl_b64 s[0:1], s[26:27], 3
	v_lshlrev_b64 v[2:3], 3, v[24:25]
	v_lshl_add_u64 v[2:3], s[0:1], 0, v[2:3]
	v_mov_b32_e32 v19, v25
	s_waitcnt lgkmcnt(0)
	v_lshl_add_u64 v[2:3], s[2:3], 0, v[2:3]
	v_lshl_add_u64 v[2:3], v[2:3], 0, v[18:19]
	s_mov_b64 s[0:1], 0
	s_mov_b64 s[2:3], 0x1000
	v_mov_b32_e32 v1, v0
	s_barrier
.LBB161_237:                            ; =>This Inner Loop Header: Depth=1
	ds_read_b64 v[4:5], v18
	v_add_u32_e32 v1, 0x200, v1
	v_cmp_ge_u32_e32 vcc, v1, v22
	v_add_u32_e32 v18, 0x1000, v18
	s_or_b64 s[0:1], vcc, s[0:1]
	s_waitcnt lgkmcnt(0)
	global_store_dwordx2 v[2:3], v[4:5], off
	v_lshl_add_u64 v[2:3], v[2:3], 0, s[2:3]
	s_andn2_b64 exec, exec, s[0:1]
	s_cbranch_execnz .LBB161_237
; %bb.238:
	s_or_b64 exec, exec, s[0:1]
	v_cmp_eq_u32_e32 vcc, 0, v0
	s_and_b64 s[0:1], vcc, s[28:29]
	s_and_saveexec_b64 s[2:3], s[0:1]
	s_cbranch_execz .LBB161_206
.LBB161_239:
	v_mov_b32_e32 v23, 0
	v_lshl_add_u64 v[0:1], s[26:27], 0, v[22:23]
	v_mov_b32_e32 v25, v23
	v_lshl_add_u64 v[0:1], v[0:1], 0, v[24:25]
	global_store_dwordx2 v23, v[0:1], s[24:25]
	s_endpgm
	.section	.rodata,"a",@progbits
	.p2align	6, 0x0
	.amdhsa_kernel _ZN7rocprim17ROCPRIM_400000_NS6detail17trampoline_kernelINS0_14default_configENS1_25partition_config_selectorILNS1_17partition_subalgoE8ElNS0_10empty_typeEbEEZZNS1_14partition_implILS5_8ELb0ES3_jPlPS6_PKS6_NS0_5tupleIJS9_S6_EEENSD_IJSA_SA_EEENS0_18inequality_wrapperIZN2at6native12_GLOBAL__N_124unique_dim_cuda_templateIhEESt5tupleIJNSH_6TensorESM_SM_EERKSM_lbbbEUlllE0_EEPmJS6_EEE10hipError_tPvRmT3_T4_T5_T6_T7_T9_mT8_P12ihipStream_tbDpT10_ENKUlT_T0_E_clISt17integral_constantIbLb0EES1C_EEDaS17_S18_EUlS17_E_NS1_11comp_targetILNS1_3genE0ELNS1_11target_archE4294967295ELNS1_3gpuE0ELNS1_3repE0EEENS1_30default_config_static_selectorELNS0_4arch9wavefront6targetE1EEEvT1_
		.amdhsa_group_segment_fixed_size 28680
		.amdhsa_private_segment_fixed_size 0
		.amdhsa_kernarg_size 120
		.amdhsa_user_sgpr_count 2
		.amdhsa_user_sgpr_dispatch_ptr 0
		.amdhsa_user_sgpr_queue_ptr 0
		.amdhsa_user_sgpr_kernarg_segment_ptr 1
		.amdhsa_user_sgpr_dispatch_id 0
		.amdhsa_user_sgpr_kernarg_preload_length 0
		.amdhsa_user_sgpr_kernarg_preload_offset 0
		.amdhsa_user_sgpr_private_segment_size 0
		.amdhsa_uses_dynamic_stack 0
		.amdhsa_enable_private_segment 0
		.amdhsa_system_sgpr_workgroup_id_x 1
		.amdhsa_system_sgpr_workgroup_id_y 0
		.amdhsa_system_sgpr_workgroup_id_z 0
		.amdhsa_system_sgpr_workgroup_info 0
		.amdhsa_system_vgpr_workitem_id 0
		.amdhsa_next_free_vgpr 58
		.amdhsa_next_free_sgpr 50
		.amdhsa_accum_offset 60
		.amdhsa_reserve_vcc 1
		.amdhsa_float_round_mode_32 0
		.amdhsa_float_round_mode_16_64 0
		.amdhsa_float_denorm_mode_32 3
		.amdhsa_float_denorm_mode_16_64 3
		.amdhsa_dx10_clamp 1
		.amdhsa_ieee_mode 1
		.amdhsa_fp16_overflow 0
		.amdhsa_tg_split 0
		.amdhsa_exception_fp_ieee_invalid_op 0
		.amdhsa_exception_fp_denorm_src 0
		.amdhsa_exception_fp_ieee_div_zero 0
		.amdhsa_exception_fp_ieee_overflow 0
		.amdhsa_exception_fp_ieee_underflow 0
		.amdhsa_exception_fp_ieee_inexact 0
		.amdhsa_exception_int_div_zero 0
	.end_amdhsa_kernel
	.section	.text._ZN7rocprim17ROCPRIM_400000_NS6detail17trampoline_kernelINS0_14default_configENS1_25partition_config_selectorILNS1_17partition_subalgoE8ElNS0_10empty_typeEbEEZZNS1_14partition_implILS5_8ELb0ES3_jPlPS6_PKS6_NS0_5tupleIJS9_S6_EEENSD_IJSA_SA_EEENS0_18inequality_wrapperIZN2at6native12_GLOBAL__N_124unique_dim_cuda_templateIhEESt5tupleIJNSH_6TensorESM_SM_EERKSM_lbbbEUlllE0_EEPmJS6_EEE10hipError_tPvRmT3_T4_T5_T6_T7_T9_mT8_P12ihipStream_tbDpT10_ENKUlT_T0_E_clISt17integral_constantIbLb0EES1C_EEDaS17_S18_EUlS17_E_NS1_11comp_targetILNS1_3genE0ELNS1_11target_archE4294967295ELNS1_3gpuE0ELNS1_3repE0EEENS1_30default_config_static_selectorELNS0_4arch9wavefront6targetE1EEEvT1_,"axG",@progbits,_ZN7rocprim17ROCPRIM_400000_NS6detail17trampoline_kernelINS0_14default_configENS1_25partition_config_selectorILNS1_17partition_subalgoE8ElNS0_10empty_typeEbEEZZNS1_14partition_implILS5_8ELb0ES3_jPlPS6_PKS6_NS0_5tupleIJS9_S6_EEENSD_IJSA_SA_EEENS0_18inequality_wrapperIZN2at6native12_GLOBAL__N_124unique_dim_cuda_templateIhEESt5tupleIJNSH_6TensorESM_SM_EERKSM_lbbbEUlllE0_EEPmJS6_EEE10hipError_tPvRmT3_T4_T5_T6_T7_T9_mT8_P12ihipStream_tbDpT10_ENKUlT_T0_E_clISt17integral_constantIbLb0EES1C_EEDaS17_S18_EUlS17_E_NS1_11comp_targetILNS1_3genE0ELNS1_11target_archE4294967295ELNS1_3gpuE0ELNS1_3repE0EEENS1_30default_config_static_selectorELNS0_4arch9wavefront6targetE1EEEvT1_,comdat
.Lfunc_end161:
	.size	_ZN7rocprim17ROCPRIM_400000_NS6detail17trampoline_kernelINS0_14default_configENS1_25partition_config_selectorILNS1_17partition_subalgoE8ElNS0_10empty_typeEbEEZZNS1_14partition_implILS5_8ELb0ES3_jPlPS6_PKS6_NS0_5tupleIJS9_S6_EEENSD_IJSA_SA_EEENS0_18inequality_wrapperIZN2at6native12_GLOBAL__N_124unique_dim_cuda_templateIhEESt5tupleIJNSH_6TensorESM_SM_EERKSM_lbbbEUlllE0_EEPmJS6_EEE10hipError_tPvRmT3_T4_T5_T6_T7_T9_mT8_P12ihipStream_tbDpT10_ENKUlT_T0_E_clISt17integral_constantIbLb0EES1C_EEDaS17_S18_EUlS17_E_NS1_11comp_targetILNS1_3genE0ELNS1_11target_archE4294967295ELNS1_3gpuE0ELNS1_3repE0EEENS1_30default_config_static_selectorELNS0_4arch9wavefront6targetE1EEEvT1_, .Lfunc_end161-_ZN7rocprim17ROCPRIM_400000_NS6detail17trampoline_kernelINS0_14default_configENS1_25partition_config_selectorILNS1_17partition_subalgoE8ElNS0_10empty_typeEbEEZZNS1_14partition_implILS5_8ELb0ES3_jPlPS6_PKS6_NS0_5tupleIJS9_S6_EEENSD_IJSA_SA_EEENS0_18inequality_wrapperIZN2at6native12_GLOBAL__N_124unique_dim_cuda_templateIhEESt5tupleIJNSH_6TensorESM_SM_EERKSM_lbbbEUlllE0_EEPmJS6_EEE10hipError_tPvRmT3_T4_T5_T6_T7_T9_mT8_P12ihipStream_tbDpT10_ENKUlT_T0_E_clISt17integral_constantIbLb0EES1C_EEDaS17_S18_EUlS17_E_NS1_11comp_targetILNS1_3genE0ELNS1_11target_archE4294967295ELNS1_3gpuE0ELNS1_3repE0EEENS1_30default_config_static_selectorELNS0_4arch9wavefront6targetE1EEEvT1_
                                        ; -- End function
	.set _ZN7rocprim17ROCPRIM_400000_NS6detail17trampoline_kernelINS0_14default_configENS1_25partition_config_selectorILNS1_17partition_subalgoE8ElNS0_10empty_typeEbEEZZNS1_14partition_implILS5_8ELb0ES3_jPlPS6_PKS6_NS0_5tupleIJS9_S6_EEENSD_IJSA_SA_EEENS0_18inequality_wrapperIZN2at6native12_GLOBAL__N_124unique_dim_cuda_templateIhEESt5tupleIJNSH_6TensorESM_SM_EERKSM_lbbbEUlllE0_EEPmJS6_EEE10hipError_tPvRmT3_T4_T5_T6_T7_T9_mT8_P12ihipStream_tbDpT10_ENKUlT_T0_E_clISt17integral_constantIbLb0EES1C_EEDaS17_S18_EUlS17_E_NS1_11comp_targetILNS1_3genE0ELNS1_11target_archE4294967295ELNS1_3gpuE0ELNS1_3repE0EEENS1_30default_config_static_selectorELNS0_4arch9wavefront6targetE1EEEvT1_.num_vgpr, 58
	.set _ZN7rocprim17ROCPRIM_400000_NS6detail17trampoline_kernelINS0_14default_configENS1_25partition_config_selectorILNS1_17partition_subalgoE8ElNS0_10empty_typeEbEEZZNS1_14partition_implILS5_8ELb0ES3_jPlPS6_PKS6_NS0_5tupleIJS9_S6_EEENSD_IJSA_SA_EEENS0_18inequality_wrapperIZN2at6native12_GLOBAL__N_124unique_dim_cuda_templateIhEESt5tupleIJNSH_6TensorESM_SM_EERKSM_lbbbEUlllE0_EEPmJS6_EEE10hipError_tPvRmT3_T4_T5_T6_T7_T9_mT8_P12ihipStream_tbDpT10_ENKUlT_T0_E_clISt17integral_constantIbLb0EES1C_EEDaS17_S18_EUlS17_E_NS1_11comp_targetILNS1_3genE0ELNS1_11target_archE4294967295ELNS1_3gpuE0ELNS1_3repE0EEENS1_30default_config_static_selectorELNS0_4arch9wavefront6targetE1EEEvT1_.num_agpr, 0
	.set _ZN7rocprim17ROCPRIM_400000_NS6detail17trampoline_kernelINS0_14default_configENS1_25partition_config_selectorILNS1_17partition_subalgoE8ElNS0_10empty_typeEbEEZZNS1_14partition_implILS5_8ELb0ES3_jPlPS6_PKS6_NS0_5tupleIJS9_S6_EEENSD_IJSA_SA_EEENS0_18inequality_wrapperIZN2at6native12_GLOBAL__N_124unique_dim_cuda_templateIhEESt5tupleIJNSH_6TensorESM_SM_EERKSM_lbbbEUlllE0_EEPmJS6_EEE10hipError_tPvRmT3_T4_T5_T6_T7_T9_mT8_P12ihipStream_tbDpT10_ENKUlT_T0_E_clISt17integral_constantIbLb0EES1C_EEDaS17_S18_EUlS17_E_NS1_11comp_targetILNS1_3genE0ELNS1_11target_archE4294967295ELNS1_3gpuE0ELNS1_3repE0EEENS1_30default_config_static_selectorELNS0_4arch9wavefront6targetE1EEEvT1_.numbered_sgpr, 50
	.set _ZN7rocprim17ROCPRIM_400000_NS6detail17trampoline_kernelINS0_14default_configENS1_25partition_config_selectorILNS1_17partition_subalgoE8ElNS0_10empty_typeEbEEZZNS1_14partition_implILS5_8ELb0ES3_jPlPS6_PKS6_NS0_5tupleIJS9_S6_EEENSD_IJSA_SA_EEENS0_18inequality_wrapperIZN2at6native12_GLOBAL__N_124unique_dim_cuda_templateIhEESt5tupleIJNSH_6TensorESM_SM_EERKSM_lbbbEUlllE0_EEPmJS6_EEE10hipError_tPvRmT3_T4_T5_T6_T7_T9_mT8_P12ihipStream_tbDpT10_ENKUlT_T0_E_clISt17integral_constantIbLb0EES1C_EEDaS17_S18_EUlS17_E_NS1_11comp_targetILNS1_3genE0ELNS1_11target_archE4294967295ELNS1_3gpuE0ELNS1_3repE0EEENS1_30default_config_static_selectorELNS0_4arch9wavefront6targetE1EEEvT1_.num_named_barrier, 0
	.set _ZN7rocprim17ROCPRIM_400000_NS6detail17trampoline_kernelINS0_14default_configENS1_25partition_config_selectorILNS1_17partition_subalgoE8ElNS0_10empty_typeEbEEZZNS1_14partition_implILS5_8ELb0ES3_jPlPS6_PKS6_NS0_5tupleIJS9_S6_EEENSD_IJSA_SA_EEENS0_18inequality_wrapperIZN2at6native12_GLOBAL__N_124unique_dim_cuda_templateIhEESt5tupleIJNSH_6TensorESM_SM_EERKSM_lbbbEUlllE0_EEPmJS6_EEE10hipError_tPvRmT3_T4_T5_T6_T7_T9_mT8_P12ihipStream_tbDpT10_ENKUlT_T0_E_clISt17integral_constantIbLb0EES1C_EEDaS17_S18_EUlS17_E_NS1_11comp_targetILNS1_3genE0ELNS1_11target_archE4294967295ELNS1_3gpuE0ELNS1_3repE0EEENS1_30default_config_static_selectorELNS0_4arch9wavefront6targetE1EEEvT1_.private_seg_size, 0
	.set _ZN7rocprim17ROCPRIM_400000_NS6detail17trampoline_kernelINS0_14default_configENS1_25partition_config_selectorILNS1_17partition_subalgoE8ElNS0_10empty_typeEbEEZZNS1_14partition_implILS5_8ELb0ES3_jPlPS6_PKS6_NS0_5tupleIJS9_S6_EEENSD_IJSA_SA_EEENS0_18inequality_wrapperIZN2at6native12_GLOBAL__N_124unique_dim_cuda_templateIhEESt5tupleIJNSH_6TensorESM_SM_EERKSM_lbbbEUlllE0_EEPmJS6_EEE10hipError_tPvRmT3_T4_T5_T6_T7_T9_mT8_P12ihipStream_tbDpT10_ENKUlT_T0_E_clISt17integral_constantIbLb0EES1C_EEDaS17_S18_EUlS17_E_NS1_11comp_targetILNS1_3genE0ELNS1_11target_archE4294967295ELNS1_3gpuE0ELNS1_3repE0EEENS1_30default_config_static_selectorELNS0_4arch9wavefront6targetE1EEEvT1_.uses_vcc, 1
	.set _ZN7rocprim17ROCPRIM_400000_NS6detail17trampoline_kernelINS0_14default_configENS1_25partition_config_selectorILNS1_17partition_subalgoE8ElNS0_10empty_typeEbEEZZNS1_14partition_implILS5_8ELb0ES3_jPlPS6_PKS6_NS0_5tupleIJS9_S6_EEENSD_IJSA_SA_EEENS0_18inequality_wrapperIZN2at6native12_GLOBAL__N_124unique_dim_cuda_templateIhEESt5tupleIJNSH_6TensorESM_SM_EERKSM_lbbbEUlllE0_EEPmJS6_EEE10hipError_tPvRmT3_T4_T5_T6_T7_T9_mT8_P12ihipStream_tbDpT10_ENKUlT_T0_E_clISt17integral_constantIbLb0EES1C_EEDaS17_S18_EUlS17_E_NS1_11comp_targetILNS1_3genE0ELNS1_11target_archE4294967295ELNS1_3gpuE0ELNS1_3repE0EEENS1_30default_config_static_selectorELNS0_4arch9wavefront6targetE1EEEvT1_.uses_flat_scratch, 0
	.set _ZN7rocprim17ROCPRIM_400000_NS6detail17trampoline_kernelINS0_14default_configENS1_25partition_config_selectorILNS1_17partition_subalgoE8ElNS0_10empty_typeEbEEZZNS1_14partition_implILS5_8ELb0ES3_jPlPS6_PKS6_NS0_5tupleIJS9_S6_EEENSD_IJSA_SA_EEENS0_18inequality_wrapperIZN2at6native12_GLOBAL__N_124unique_dim_cuda_templateIhEESt5tupleIJNSH_6TensorESM_SM_EERKSM_lbbbEUlllE0_EEPmJS6_EEE10hipError_tPvRmT3_T4_T5_T6_T7_T9_mT8_P12ihipStream_tbDpT10_ENKUlT_T0_E_clISt17integral_constantIbLb0EES1C_EEDaS17_S18_EUlS17_E_NS1_11comp_targetILNS1_3genE0ELNS1_11target_archE4294967295ELNS1_3gpuE0ELNS1_3repE0EEENS1_30default_config_static_selectorELNS0_4arch9wavefront6targetE1EEEvT1_.has_dyn_sized_stack, 0
	.set _ZN7rocprim17ROCPRIM_400000_NS6detail17trampoline_kernelINS0_14default_configENS1_25partition_config_selectorILNS1_17partition_subalgoE8ElNS0_10empty_typeEbEEZZNS1_14partition_implILS5_8ELb0ES3_jPlPS6_PKS6_NS0_5tupleIJS9_S6_EEENSD_IJSA_SA_EEENS0_18inequality_wrapperIZN2at6native12_GLOBAL__N_124unique_dim_cuda_templateIhEESt5tupleIJNSH_6TensorESM_SM_EERKSM_lbbbEUlllE0_EEPmJS6_EEE10hipError_tPvRmT3_T4_T5_T6_T7_T9_mT8_P12ihipStream_tbDpT10_ENKUlT_T0_E_clISt17integral_constantIbLb0EES1C_EEDaS17_S18_EUlS17_E_NS1_11comp_targetILNS1_3genE0ELNS1_11target_archE4294967295ELNS1_3gpuE0ELNS1_3repE0EEENS1_30default_config_static_selectorELNS0_4arch9wavefront6targetE1EEEvT1_.has_recursion, 0
	.set _ZN7rocprim17ROCPRIM_400000_NS6detail17trampoline_kernelINS0_14default_configENS1_25partition_config_selectorILNS1_17partition_subalgoE8ElNS0_10empty_typeEbEEZZNS1_14partition_implILS5_8ELb0ES3_jPlPS6_PKS6_NS0_5tupleIJS9_S6_EEENSD_IJSA_SA_EEENS0_18inequality_wrapperIZN2at6native12_GLOBAL__N_124unique_dim_cuda_templateIhEESt5tupleIJNSH_6TensorESM_SM_EERKSM_lbbbEUlllE0_EEPmJS6_EEE10hipError_tPvRmT3_T4_T5_T6_T7_T9_mT8_P12ihipStream_tbDpT10_ENKUlT_T0_E_clISt17integral_constantIbLb0EES1C_EEDaS17_S18_EUlS17_E_NS1_11comp_targetILNS1_3genE0ELNS1_11target_archE4294967295ELNS1_3gpuE0ELNS1_3repE0EEENS1_30default_config_static_selectorELNS0_4arch9wavefront6targetE1EEEvT1_.has_indirect_call, 0
	.section	.AMDGPU.csdata,"",@progbits
; Kernel info:
; codeLenInByte = 10560
; TotalNumSgprs: 56
; NumVgprs: 58
; NumAgprs: 0
; TotalNumVgprs: 58
; ScratchSize: 0
; MemoryBound: 0
; FloatMode: 240
; IeeeMode: 1
; LDSByteSize: 28680 bytes/workgroup (compile time only)
; SGPRBlocks: 6
; VGPRBlocks: 7
; NumSGPRsForWavesPerEU: 56
; NumVGPRsForWavesPerEU: 58
; AccumOffset: 60
; Occupancy: 8
; WaveLimiterHint : 1
; COMPUTE_PGM_RSRC2:SCRATCH_EN: 0
; COMPUTE_PGM_RSRC2:USER_SGPR: 2
; COMPUTE_PGM_RSRC2:TRAP_HANDLER: 0
; COMPUTE_PGM_RSRC2:TGID_X_EN: 1
; COMPUTE_PGM_RSRC2:TGID_Y_EN: 0
; COMPUTE_PGM_RSRC2:TGID_Z_EN: 0
; COMPUTE_PGM_RSRC2:TIDIG_COMP_CNT: 0
; COMPUTE_PGM_RSRC3_GFX90A:ACCUM_OFFSET: 14
; COMPUTE_PGM_RSRC3_GFX90A:TG_SPLIT: 0
	.section	.text._ZN7rocprim17ROCPRIM_400000_NS6detail17trampoline_kernelINS0_14default_configENS1_25partition_config_selectorILNS1_17partition_subalgoE8ElNS0_10empty_typeEbEEZZNS1_14partition_implILS5_8ELb0ES3_jPlPS6_PKS6_NS0_5tupleIJS9_S6_EEENSD_IJSA_SA_EEENS0_18inequality_wrapperIZN2at6native12_GLOBAL__N_124unique_dim_cuda_templateIhEESt5tupleIJNSH_6TensorESM_SM_EERKSM_lbbbEUlllE0_EEPmJS6_EEE10hipError_tPvRmT3_T4_T5_T6_T7_T9_mT8_P12ihipStream_tbDpT10_ENKUlT_T0_E_clISt17integral_constantIbLb0EES1C_EEDaS17_S18_EUlS17_E_NS1_11comp_targetILNS1_3genE5ELNS1_11target_archE942ELNS1_3gpuE9ELNS1_3repE0EEENS1_30default_config_static_selectorELNS0_4arch9wavefront6targetE1EEEvT1_,"axG",@progbits,_ZN7rocprim17ROCPRIM_400000_NS6detail17trampoline_kernelINS0_14default_configENS1_25partition_config_selectorILNS1_17partition_subalgoE8ElNS0_10empty_typeEbEEZZNS1_14partition_implILS5_8ELb0ES3_jPlPS6_PKS6_NS0_5tupleIJS9_S6_EEENSD_IJSA_SA_EEENS0_18inequality_wrapperIZN2at6native12_GLOBAL__N_124unique_dim_cuda_templateIhEESt5tupleIJNSH_6TensorESM_SM_EERKSM_lbbbEUlllE0_EEPmJS6_EEE10hipError_tPvRmT3_T4_T5_T6_T7_T9_mT8_P12ihipStream_tbDpT10_ENKUlT_T0_E_clISt17integral_constantIbLb0EES1C_EEDaS17_S18_EUlS17_E_NS1_11comp_targetILNS1_3genE5ELNS1_11target_archE942ELNS1_3gpuE9ELNS1_3repE0EEENS1_30default_config_static_selectorELNS0_4arch9wavefront6targetE1EEEvT1_,comdat
	.globl	_ZN7rocprim17ROCPRIM_400000_NS6detail17trampoline_kernelINS0_14default_configENS1_25partition_config_selectorILNS1_17partition_subalgoE8ElNS0_10empty_typeEbEEZZNS1_14partition_implILS5_8ELb0ES3_jPlPS6_PKS6_NS0_5tupleIJS9_S6_EEENSD_IJSA_SA_EEENS0_18inequality_wrapperIZN2at6native12_GLOBAL__N_124unique_dim_cuda_templateIhEESt5tupleIJNSH_6TensorESM_SM_EERKSM_lbbbEUlllE0_EEPmJS6_EEE10hipError_tPvRmT3_T4_T5_T6_T7_T9_mT8_P12ihipStream_tbDpT10_ENKUlT_T0_E_clISt17integral_constantIbLb0EES1C_EEDaS17_S18_EUlS17_E_NS1_11comp_targetILNS1_3genE5ELNS1_11target_archE942ELNS1_3gpuE9ELNS1_3repE0EEENS1_30default_config_static_selectorELNS0_4arch9wavefront6targetE1EEEvT1_ ; -- Begin function _ZN7rocprim17ROCPRIM_400000_NS6detail17trampoline_kernelINS0_14default_configENS1_25partition_config_selectorILNS1_17partition_subalgoE8ElNS0_10empty_typeEbEEZZNS1_14partition_implILS5_8ELb0ES3_jPlPS6_PKS6_NS0_5tupleIJS9_S6_EEENSD_IJSA_SA_EEENS0_18inequality_wrapperIZN2at6native12_GLOBAL__N_124unique_dim_cuda_templateIhEESt5tupleIJNSH_6TensorESM_SM_EERKSM_lbbbEUlllE0_EEPmJS6_EEE10hipError_tPvRmT3_T4_T5_T6_T7_T9_mT8_P12ihipStream_tbDpT10_ENKUlT_T0_E_clISt17integral_constantIbLb0EES1C_EEDaS17_S18_EUlS17_E_NS1_11comp_targetILNS1_3genE5ELNS1_11target_archE942ELNS1_3gpuE9ELNS1_3repE0EEENS1_30default_config_static_selectorELNS0_4arch9wavefront6targetE1EEEvT1_
	.p2align	8
	.type	_ZN7rocprim17ROCPRIM_400000_NS6detail17trampoline_kernelINS0_14default_configENS1_25partition_config_selectorILNS1_17partition_subalgoE8ElNS0_10empty_typeEbEEZZNS1_14partition_implILS5_8ELb0ES3_jPlPS6_PKS6_NS0_5tupleIJS9_S6_EEENSD_IJSA_SA_EEENS0_18inequality_wrapperIZN2at6native12_GLOBAL__N_124unique_dim_cuda_templateIhEESt5tupleIJNSH_6TensorESM_SM_EERKSM_lbbbEUlllE0_EEPmJS6_EEE10hipError_tPvRmT3_T4_T5_T6_T7_T9_mT8_P12ihipStream_tbDpT10_ENKUlT_T0_E_clISt17integral_constantIbLb0EES1C_EEDaS17_S18_EUlS17_E_NS1_11comp_targetILNS1_3genE5ELNS1_11target_archE942ELNS1_3gpuE9ELNS1_3repE0EEENS1_30default_config_static_selectorELNS0_4arch9wavefront6targetE1EEEvT1_,@function
_ZN7rocprim17ROCPRIM_400000_NS6detail17trampoline_kernelINS0_14default_configENS1_25partition_config_selectorILNS1_17partition_subalgoE8ElNS0_10empty_typeEbEEZZNS1_14partition_implILS5_8ELb0ES3_jPlPS6_PKS6_NS0_5tupleIJS9_S6_EEENSD_IJSA_SA_EEENS0_18inequality_wrapperIZN2at6native12_GLOBAL__N_124unique_dim_cuda_templateIhEESt5tupleIJNSH_6TensorESM_SM_EERKSM_lbbbEUlllE0_EEPmJS6_EEE10hipError_tPvRmT3_T4_T5_T6_T7_T9_mT8_P12ihipStream_tbDpT10_ENKUlT_T0_E_clISt17integral_constantIbLb0EES1C_EEDaS17_S18_EUlS17_E_NS1_11comp_targetILNS1_3genE5ELNS1_11target_archE942ELNS1_3gpuE9ELNS1_3repE0EEENS1_30default_config_static_selectorELNS0_4arch9wavefront6targetE1EEEvT1_: ; @_ZN7rocprim17ROCPRIM_400000_NS6detail17trampoline_kernelINS0_14default_configENS1_25partition_config_selectorILNS1_17partition_subalgoE8ElNS0_10empty_typeEbEEZZNS1_14partition_implILS5_8ELb0ES3_jPlPS6_PKS6_NS0_5tupleIJS9_S6_EEENSD_IJSA_SA_EEENS0_18inequality_wrapperIZN2at6native12_GLOBAL__N_124unique_dim_cuda_templateIhEESt5tupleIJNSH_6TensorESM_SM_EERKSM_lbbbEUlllE0_EEPmJS6_EEE10hipError_tPvRmT3_T4_T5_T6_T7_T9_mT8_P12ihipStream_tbDpT10_ENKUlT_T0_E_clISt17integral_constantIbLb0EES1C_EEDaS17_S18_EUlS17_E_NS1_11comp_targetILNS1_3genE5ELNS1_11target_archE942ELNS1_3gpuE9ELNS1_3repE0EEENS1_30default_config_static_selectorELNS0_4arch9wavefront6targetE1EEEvT1_
; %bb.0:
	.section	.rodata,"a",@progbits
	.p2align	6, 0x0
	.amdhsa_kernel _ZN7rocprim17ROCPRIM_400000_NS6detail17trampoline_kernelINS0_14default_configENS1_25partition_config_selectorILNS1_17partition_subalgoE8ElNS0_10empty_typeEbEEZZNS1_14partition_implILS5_8ELb0ES3_jPlPS6_PKS6_NS0_5tupleIJS9_S6_EEENSD_IJSA_SA_EEENS0_18inequality_wrapperIZN2at6native12_GLOBAL__N_124unique_dim_cuda_templateIhEESt5tupleIJNSH_6TensorESM_SM_EERKSM_lbbbEUlllE0_EEPmJS6_EEE10hipError_tPvRmT3_T4_T5_T6_T7_T9_mT8_P12ihipStream_tbDpT10_ENKUlT_T0_E_clISt17integral_constantIbLb0EES1C_EEDaS17_S18_EUlS17_E_NS1_11comp_targetILNS1_3genE5ELNS1_11target_archE942ELNS1_3gpuE9ELNS1_3repE0EEENS1_30default_config_static_selectorELNS0_4arch9wavefront6targetE1EEEvT1_
		.amdhsa_group_segment_fixed_size 0
		.amdhsa_private_segment_fixed_size 0
		.amdhsa_kernarg_size 120
		.amdhsa_user_sgpr_count 2
		.amdhsa_user_sgpr_dispatch_ptr 0
		.amdhsa_user_sgpr_queue_ptr 0
		.amdhsa_user_sgpr_kernarg_segment_ptr 1
		.amdhsa_user_sgpr_dispatch_id 0
		.amdhsa_user_sgpr_kernarg_preload_length 0
		.amdhsa_user_sgpr_kernarg_preload_offset 0
		.amdhsa_user_sgpr_private_segment_size 0
		.amdhsa_uses_dynamic_stack 0
		.amdhsa_enable_private_segment 0
		.amdhsa_system_sgpr_workgroup_id_x 1
		.amdhsa_system_sgpr_workgroup_id_y 0
		.amdhsa_system_sgpr_workgroup_id_z 0
		.amdhsa_system_sgpr_workgroup_info 0
		.amdhsa_system_vgpr_workitem_id 0
		.amdhsa_next_free_vgpr 1
		.amdhsa_next_free_sgpr 0
		.amdhsa_accum_offset 4
		.amdhsa_reserve_vcc 0
		.amdhsa_float_round_mode_32 0
		.amdhsa_float_round_mode_16_64 0
		.amdhsa_float_denorm_mode_32 3
		.amdhsa_float_denorm_mode_16_64 3
		.amdhsa_dx10_clamp 1
		.amdhsa_ieee_mode 1
		.amdhsa_fp16_overflow 0
		.amdhsa_tg_split 0
		.amdhsa_exception_fp_ieee_invalid_op 0
		.amdhsa_exception_fp_denorm_src 0
		.amdhsa_exception_fp_ieee_div_zero 0
		.amdhsa_exception_fp_ieee_overflow 0
		.amdhsa_exception_fp_ieee_underflow 0
		.amdhsa_exception_fp_ieee_inexact 0
		.amdhsa_exception_int_div_zero 0
	.end_amdhsa_kernel
	.section	.text._ZN7rocprim17ROCPRIM_400000_NS6detail17trampoline_kernelINS0_14default_configENS1_25partition_config_selectorILNS1_17partition_subalgoE8ElNS0_10empty_typeEbEEZZNS1_14partition_implILS5_8ELb0ES3_jPlPS6_PKS6_NS0_5tupleIJS9_S6_EEENSD_IJSA_SA_EEENS0_18inequality_wrapperIZN2at6native12_GLOBAL__N_124unique_dim_cuda_templateIhEESt5tupleIJNSH_6TensorESM_SM_EERKSM_lbbbEUlllE0_EEPmJS6_EEE10hipError_tPvRmT3_T4_T5_T6_T7_T9_mT8_P12ihipStream_tbDpT10_ENKUlT_T0_E_clISt17integral_constantIbLb0EES1C_EEDaS17_S18_EUlS17_E_NS1_11comp_targetILNS1_3genE5ELNS1_11target_archE942ELNS1_3gpuE9ELNS1_3repE0EEENS1_30default_config_static_selectorELNS0_4arch9wavefront6targetE1EEEvT1_,"axG",@progbits,_ZN7rocprim17ROCPRIM_400000_NS6detail17trampoline_kernelINS0_14default_configENS1_25partition_config_selectorILNS1_17partition_subalgoE8ElNS0_10empty_typeEbEEZZNS1_14partition_implILS5_8ELb0ES3_jPlPS6_PKS6_NS0_5tupleIJS9_S6_EEENSD_IJSA_SA_EEENS0_18inequality_wrapperIZN2at6native12_GLOBAL__N_124unique_dim_cuda_templateIhEESt5tupleIJNSH_6TensorESM_SM_EERKSM_lbbbEUlllE0_EEPmJS6_EEE10hipError_tPvRmT3_T4_T5_T6_T7_T9_mT8_P12ihipStream_tbDpT10_ENKUlT_T0_E_clISt17integral_constantIbLb0EES1C_EEDaS17_S18_EUlS17_E_NS1_11comp_targetILNS1_3genE5ELNS1_11target_archE942ELNS1_3gpuE9ELNS1_3repE0EEENS1_30default_config_static_selectorELNS0_4arch9wavefront6targetE1EEEvT1_,comdat
.Lfunc_end162:
	.size	_ZN7rocprim17ROCPRIM_400000_NS6detail17trampoline_kernelINS0_14default_configENS1_25partition_config_selectorILNS1_17partition_subalgoE8ElNS0_10empty_typeEbEEZZNS1_14partition_implILS5_8ELb0ES3_jPlPS6_PKS6_NS0_5tupleIJS9_S6_EEENSD_IJSA_SA_EEENS0_18inequality_wrapperIZN2at6native12_GLOBAL__N_124unique_dim_cuda_templateIhEESt5tupleIJNSH_6TensorESM_SM_EERKSM_lbbbEUlllE0_EEPmJS6_EEE10hipError_tPvRmT3_T4_T5_T6_T7_T9_mT8_P12ihipStream_tbDpT10_ENKUlT_T0_E_clISt17integral_constantIbLb0EES1C_EEDaS17_S18_EUlS17_E_NS1_11comp_targetILNS1_3genE5ELNS1_11target_archE942ELNS1_3gpuE9ELNS1_3repE0EEENS1_30default_config_static_selectorELNS0_4arch9wavefront6targetE1EEEvT1_, .Lfunc_end162-_ZN7rocprim17ROCPRIM_400000_NS6detail17trampoline_kernelINS0_14default_configENS1_25partition_config_selectorILNS1_17partition_subalgoE8ElNS0_10empty_typeEbEEZZNS1_14partition_implILS5_8ELb0ES3_jPlPS6_PKS6_NS0_5tupleIJS9_S6_EEENSD_IJSA_SA_EEENS0_18inequality_wrapperIZN2at6native12_GLOBAL__N_124unique_dim_cuda_templateIhEESt5tupleIJNSH_6TensorESM_SM_EERKSM_lbbbEUlllE0_EEPmJS6_EEE10hipError_tPvRmT3_T4_T5_T6_T7_T9_mT8_P12ihipStream_tbDpT10_ENKUlT_T0_E_clISt17integral_constantIbLb0EES1C_EEDaS17_S18_EUlS17_E_NS1_11comp_targetILNS1_3genE5ELNS1_11target_archE942ELNS1_3gpuE9ELNS1_3repE0EEENS1_30default_config_static_selectorELNS0_4arch9wavefront6targetE1EEEvT1_
                                        ; -- End function
	.set _ZN7rocprim17ROCPRIM_400000_NS6detail17trampoline_kernelINS0_14default_configENS1_25partition_config_selectorILNS1_17partition_subalgoE8ElNS0_10empty_typeEbEEZZNS1_14partition_implILS5_8ELb0ES3_jPlPS6_PKS6_NS0_5tupleIJS9_S6_EEENSD_IJSA_SA_EEENS0_18inequality_wrapperIZN2at6native12_GLOBAL__N_124unique_dim_cuda_templateIhEESt5tupleIJNSH_6TensorESM_SM_EERKSM_lbbbEUlllE0_EEPmJS6_EEE10hipError_tPvRmT3_T4_T5_T6_T7_T9_mT8_P12ihipStream_tbDpT10_ENKUlT_T0_E_clISt17integral_constantIbLb0EES1C_EEDaS17_S18_EUlS17_E_NS1_11comp_targetILNS1_3genE5ELNS1_11target_archE942ELNS1_3gpuE9ELNS1_3repE0EEENS1_30default_config_static_selectorELNS0_4arch9wavefront6targetE1EEEvT1_.num_vgpr, 0
	.set _ZN7rocprim17ROCPRIM_400000_NS6detail17trampoline_kernelINS0_14default_configENS1_25partition_config_selectorILNS1_17partition_subalgoE8ElNS0_10empty_typeEbEEZZNS1_14partition_implILS5_8ELb0ES3_jPlPS6_PKS6_NS0_5tupleIJS9_S6_EEENSD_IJSA_SA_EEENS0_18inequality_wrapperIZN2at6native12_GLOBAL__N_124unique_dim_cuda_templateIhEESt5tupleIJNSH_6TensorESM_SM_EERKSM_lbbbEUlllE0_EEPmJS6_EEE10hipError_tPvRmT3_T4_T5_T6_T7_T9_mT8_P12ihipStream_tbDpT10_ENKUlT_T0_E_clISt17integral_constantIbLb0EES1C_EEDaS17_S18_EUlS17_E_NS1_11comp_targetILNS1_3genE5ELNS1_11target_archE942ELNS1_3gpuE9ELNS1_3repE0EEENS1_30default_config_static_selectorELNS0_4arch9wavefront6targetE1EEEvT1_.num_agpr, 0
	.set _ZN7rocprim17ROCPRIM_400000_NS6detail17trampoline_kernelINS0_14default_configENS1_25partition_config_selectorILNS1_17partition_subalgoE8ElNS0_10empty_typeEbEEZZNS1_14partition_implILS5_8ELb0ES3_jPlPS6_PKS6_NS0_5tupleIJS9_S6_EEENSD_IJSA_SA_EEENS0_18inequality_wrapperIZN2at6native12_GLOBAL__N_124unique_dim_cuda_templateIhEESt5tupleIJNSH_6TensorESM_SM_EERKSM_lbbbEUlllE0_EEPmJS6_EEE10hipError_tPvRmT3_T4_T5_T6_T7_T9_mT8_P12ihipStream_tbDpT10_ENKUlT_T0_E_clISt17integral_constantIbLb0EES1C_EEDaS17_S18_EUlS17_E_NS1_11comp_targetILNS1_3genE5ELNS1_11target_archE942ELNS1_3gpuE9ELNS1_3repE0EEENS1_30default_config_static_selectorELNS0_4arch9wavefront6targetE1EEEvT1_.numbered_sgpr, 0
	.set _ZN7rocprim17ROCPRIM_400000_NS6detail17trampoline_kernelINS0_14default_configENS1_25partition_config_selectorILNS1_17partition_subalgoE8ElNS0_10empty_typeEbEEZZNS1_14partition_implILS5_8ELb0ES3_jPlPS6_PKS6_NS0_5tupleIJS9_S6_EEENSD_IJSA_SA_EEENS0_18inequality_wrapperIZN2at6native12_GLOBAL__N_124unique_dim_cuda_templateIhEESt5tupleIJNSH_6TensorESM_SM_EERKSM_lbbbEUlllE0_EEPmJS6_EEE10hipError_tPvRmT3_T4_T5_T6_T7_T9_mT8_P12ihipStream_tbDpT10_ENKUlT_T0_E_clISt17integral_constantIbLb0EES1C_EEDaS17_S18_EUlS17_E_NS1_11comp_targetILNS1_3genE5ELNS1_11target_archE942ELNS1_3gpuE9ELNS1_3repE0EEENS1_30default_config_static_selectorELNS0_4arch9wavefront6targetE1EEEvT1_.num_named_barrier, 0
	.set _ZN7rocprim17ROCPRIM_400000_NS6detail17trampoline_kernelINS0_14default_configENS1_25partition_config_selectorILNS1_17partition_subalgoE8ElNS0_10empty_typeEbEEZZNS1_14partition_implILS5_8ELb0ES3_jPlPS6_PKS6_NS0_5tupleIJS9_S6_EEENSD_IJSA_SA_EEENS0_18inequality_wrapperIZN2at6native12_GLOBAL__N_124unique_dim_cuda_templateIhEESt5tupleIJNSH_6TensorESM_SM_EERKSM_lbbbEUlllE0_EEPmJS6_EEE10hipError_tPvRmT3_T4_T5_T6_T7_T9_mT8_P12ihipStream_tbDpT10_ENKUlT_T0_E_clISt17integral_constantIbLb0EES1C_EEDaS17_S18_EUlS17_E_NS1_11comp_targetILNS1_3genE5ELNS1_11target_archE942ELNS1_3gpuE9ELNS1_3repE0EEENS1_30default_config_static_selectorELNS0_4arch9wavefront6targetE1EEEvT1_.private_seg_size, 0
	.set _ZN7rocprim17ROCPRIM_400000_NS6detail17trampoline_kernelINS0_14default_configENS1_25partition_config_selectorILNS1_17partition_subalgoE8ElNS0_10empty_typeEbEEZZNS1_14partition_implILS5_8ELb0ES3_jPlPS6_PKS6_NS0_5tupleIJS9_S6_EEENSD_IJSA_SA_EEENS0_18inequality_wrapperIZN2at6native12_GLOBAL__N_124unique_dim_cuda_templateIhEESt5tupleIJNSH_6TensorESM_SM_EERKSM_lbbbEUlllE0_EEPmJS6_EEE10hipError_tPvRmT3_T4_T5_T6_T7_T9_mT8_P12ihipStream_tbDpT10_ENKUlT_T0_E_clISt17integral_constantIbLb0EES1C_EEDaS17_S18_EUlS17_E_NS1_11comp_targetILNS1_3genE5ELNS1_11target_archE942ELNS1_3gpuE9ELNS1_3repE0EEENS1_30default_config_static_selectorELNS0_4arch9wavefront6targetE1EEEvT1_.uses_vcc, 0
	.set _ZN7rocprim17ROCPRIM_400000_NS6detail17trampoline_kernelINS0_14default_configENS1_25partition_config_selectorILNS1_17partition_subalgoE8ElNS0_10empty_typeEbEEZZNS1_14partition_implILS5_8ELb0ES3_jPlPS6_PKS6_NS0_5tupleIJS9_S6_EEENSD_IJSA_SA_EEENS0_18inequality_wrapperIZN2at6native12_GLOBAL__N_124unique_dim_cuda_templateIhEESt5tupleIJNSH_6TensorESM_SM_EERKSM_lbbbEUlllE0_EEPmJS6_EEE10hipError_tPvRmT3_T4_T5_T6_T7_T9_mT8_P12ihipStream_tbDpT10_ENKUlT_T0_E_clISt17integral_constantIbLb0EES1C_EEDaS17_S18_EUlS17_E_NS1_11comp_targetILNS1_3genE5ELNS1_11target_archE942ELNS1_3gpuE9ELNS1_3repE0EEENS1_30default_config_static_selectorELNS0_4arch9wavefront6targetE1EEEvT1_.uses_flat_scratch, 0
	.set _ZN7rocprim17ROCPRIM_400000_NS6detail17trampoline_kernelINS0_14default_configENS1_25partition_config_selectorILNS1_17partition_subalgoE8ElNS0_10empty_typeEbEEZZNS1_14partition_implILS5_8ELb0ES3_jPlPS6_PKS6_NS0_5tupleIJS9_S6_EEENSD_IJSA_SA_EEENS0_18inequality_wrapperIZN2at6native12_GLOBAL__N_124unique_dim_cuda_templateIhEESt5tupleIJNSH_6TensorESM_SM_EERKSM_lbbbEUlllE0_EEPmJS6_EEE10hipError_tPvRmT3_T4_T5_T6_T7_T9_mT8_P12ihipStream_tbDpT10_ENKUlT_T0_E_clISt17integral_constantIbLb0EES1C_EEDaS17_S18_EUlS17_E_NS1_11comp_targetILNS1_3genE5ELNS1_11target_archE942ELNS1_3gpuE9ELNS1_3repE0EEENS1_30default_config_static_selectorELNS0_4arch9wavefront6targetE1EEEvT1_.has_dyn_sized_stack, 0
	.set _ZN7rocprim17ROCPRIM_400000_NS6detail17trampoline_kernelINS0_14default_configENS1_25partition_config_selectorILNS1_17partition_subalgoE8ElNS0_10empty_typeEbEEZZNS1_14partition_implILS5_8ELb0ES3_jPlPS6_PKS6_NS0_5tupleIJS9_S6_EEENSD_IJSA_SA_EEENS0_18inequality_wrapperIZN2at6native12_GLOBAL__N_124unique_dim_cuda_templateIhEESt5tupleIJNSH_6TensorESM_SM_EERKSM_lbbbEUlllE0_EEPmJS6_EEE10hipError_tPvRmT3_T4_T5_T6_T7_T9_mT8_P12ihipStream_tbDpT10_ENKUlT_T0_E_clISt17integral_constantIbLb0EES1C_EEDaS17_S18_EUlS17_E_NS1_11comp_targetILNS1_3genE5ELNS1_11target_archE942ELNS1_3gpuE9ELNS1_3repE0EEENS1_30default_config_static_selectorELNS0_4arch9wavefront6targetE1EEEvT1_.has_recursion, 0
	.set _ZN7rocprim17ROCPRIM_400000_NS6detail17trampoline_kernelINS0_14default_configENS1_25partition_config_selectorILNS1_17partition_subalgoE8ElNS0_10empty_typeEbEEZZNS1_14partition_implILS5_8ELb0ES3_jPlPS6_PKS6_NS0_5tupleIJS9_S6_EEENSD_IJSA_SA_EEENS0_18inequality_wrapperIZN2at6native12_GLOBAL__N_124unique_dim_cuda_templateIhEESt5tupleIJNSH_6TensorESM_SM_EERKSM_lbbbEUlllE0_EEPmJS6_EEE10hipError_tPvRmT3_T4_T5_T6_T7_T9_mT8_P12ihipStream_tbDpT10_ENKUlT_T0_E_clISt17integral_constantIbLb0EES1C_EEDaS17_S18_EUlS17_E_NS1_11comp_targetILNS1_3genE5ELNS1_11target_archE942ELNS1_3gpuE9ELNS1_3repE0EEENS1_30default_config_static_selectorELNS0_4arch9wavefront6targetE1EEEvT1_.has_indirect_call, 0
	.section	.AMDGPU.csdata,"",@progbits
; Kernel info:
; codeLenInByte = 0
; TotalNumSgprs: 6
; NumVgprs: 0
; NumAgprs: 0
; TotalNumVgprs: 0
; ScratchSize: 0
; MemoryBound: 0
; FloatMode: 240
; IeeeMode: 1
; LDSByteSize: 0 bytes/workgroup (compile time only)
; SGPRBlocks: 0
; VGPRBlocks: 0
; NumSGPRsForWavesPerEU: 6
; NumVGPRsForWavesPerEU: 1
; AccumOffset: 4
; Occupancy: 8
; WaveLimiterHint : 0
; COMPUTE_PGM_RSRC2:SCRATCH_EN: 0
; COMPUTE_PGM_RSRC2:USER_SGPR: 2
; COMPUTE_PGM_RSRC2:TRAP_HANDLER: 0
; COMPUTE_PGM_RSRC2:TGID_X_EN: 1
; COMPUTE_PGM_RSRC2:TGID_Y_EN: 0
; COMPUTE_PGM_RSRC2:TGID_Z_EN: 0
; COMPUTE_PGM_RSRC2:TIDIG_COMP_CNT: 0
; COMPUTE_PGM_RSRC3_GFX90A:ACCUM_OFFSET: 0
; COMPUTE_PGM_RSRC3_GFX90A:TG_SPLIT: 0
	.section	.text._ZN7rocprim17ROCPRIM_400000_NS6detail17trampoline_kernelINS0_14default_configENS1_25partition_config_selectorILNS1_17partition_subalgoE8ElNS0_10empty_typeEbEEZZNS1_14partition_implILS5_8ELb0ES3_jPlPS6_PKS6_NS0_5tupleIJS9_S6_EEENSD_IJSA_SA_EEENS0_18inequality_wrapperIZN2at6native12_GLOBAL__N_124unique_dim_cuda_templateIhEESt5tupleIJNSH_6TensorESM_SM_EERKSM_lbbbEUlllE0_EEPmJS6_EEE10hipError_tPvRmT3_T4_T5_T6_T7_T9_mT8_P12ihipStream_tbDpT10_ENKUlT_T0_E_clISt17integral_constantIbLb0EES1C_EEDaS17_S18_EUlS17_E_NS1_11comp_targetILNS1_3genE4ELNS1_11target_archE910ELNS1_3gpuE8ELNS1_3repE0EEENS1_30default_config_static_selectorELNS0_4arch9wavefront6targetE1EEEvT1_,"axG",@progbits,_ZN7rocprim17ROCPRIM_400000_NS6detail17trampoline_kernelINS0_14default_configENS1_25partition_config_selectorILNS1_17partition_subalgoE8ElNS0_10empty_typeEbEEZZNS1_14partition_implILS5_8ELb0ES3_jPlPS6_PKS6_NS0_5tupleIJS9_S6_EEENSD_IJSA_SA_EEENS0_18inequality_wrapperIZN2at6native12_GLOBAL__N_124unique_dim_cuda_templateIhEESt5tupleIJNSH_6TensorESM_SM_EERKSM_lbbbEUlllE0_EEPmJS6_EEE10hipError_tPvRmT3_T4_T5_T6_T7_T9_mT8_P12ihipStream_tbDpT10_ENKUlT_T0_E_clISt17integral_constantIbLb0EES1C_EEDaS17_S18_EUlS17_E_NS1_11comp_targetILNS1_3genE4ELNS1_11target_archE910ELNS1_3gpuE8ELNS1_3repE0EEENS1_30default_config_static_selectorELNS0_4arch9wavefront6targetE1EEEvT1_,comdat
	.globl	_ZN7rocprim17ROCPRIM_400000_NS6detail17trampoline_kernelINS0_14default_configENS1_25partition_config_selectorILNS1_17partition_subalgoE8ElNS0_10empty_typeEbEEZZNS1_14partition_implILS5_8ELb0ES3_jPlPS6_PKS6_NS0_5tupleIJS9_S6_EEENSD_IJSA_SA_EEENS0_18inequality_wrapperIZN2at6native12_GLOBAL__N_124unique_dim_cuda_templateIhEESt5tupleIJNSH_6TensorESM_SM_EERKSM_lbbbEUlllE0_EEPmJS6_EEE10hipError_tPvRmT3_T4_T5_T6_T7_T9_mT8_P12ihipStream_tbDpT10_ENKUlT_T0_E_clISt17integral_constantIbLb0EES1C_EEDaS17_S18_EUlS17_E_NS1_11comp_targetILNS1_3genE4ELNS1_11target_archE910ELNS1_3gpuE8ELNS1_3repE0EEENS1_30default_config_static_selectorELNS0_4arch9wavefront6targetE1EEEvT1_ ; -- Begin function _ZN7rocprim17ROCPRIM_400000_NS6detail17trampoline_kernelINS0_14default_configENS1_25partition_config_selectorILNS1_17partition_subalgoE8ElNS0_10empty_typeEbEEZZNS1_14partition_implILS5_8ELb0ES3_jPlPS6_PKS6_NS0_5tupleIJS9_S6_EEENSD_IJSA_SA_EEENS0_18inequality_wrapperIZN2at6native12_GLOBAL__N_124unique_dim_cuda_templateIhEESt5tupleIJNSH_6TensorESM_SM_EERKSM_lbbbEUlllE0_EEPmJS6_EEE10hipError_tPvRmT3_T4_T5_T6_T7_T9_mT8_P12ihipStream_tbDpT10_ENKUlT_T0_E_clISt17integral_constantIbLb0EES1C_EEDaS17_S18_EUlS17_E_NS1_11comp_targetILNS1_3genE4ELNS1_11target_archE910ELNS1_3gpuE8ELNS1_3repE0EEENS1_30default_config_static_selectorELNS0_4arch9wavefront6targetE1EEEvT1_
	.p2align	8
	.type	_ZN7rocprim17ROCPRIM_400000_NS6detail17trampoline_kernelINS0_14default_configENS1_25partition_config_selectorILNS1_17partition_subalgoE8ElNS0_10empty_typeEbEEZZNS1_14partition_implILS5_8ELb0ES3_jPlPS6_PKS6_NS0_5tupleIJS9_S6_EEENSD_IJSA_SA_EEENS0_18inequality_wrapperIZN2at6native12_GLOBAL__N_124unique_dim_cuda_templateIhEESt5tupleIJNSH_6TensorESM_SM_EERKSM_lbbbEUlllE0_EEPmJS6_EEE10hipError_tPvRmT3_T4_T5_T6_T7_T9_mT8_P12ihipStream_tbDpT10_ENKUlT_T0_E_clISt17integral_constantIbLb0EES1C_EEDaS17_S18_EUlS17_E_NS1_11comp_targetILNS1_3genE4ELNS1_11target_archE910ELNS1_3gpuE8ELNS1_3repE0EEENS1_30default_config_static_selectorELNS0_4arch9wavefront6targetE1EEEvT1_,@function
_ZN7rocprim17ROCPRIM_400000_NS6detail17trampoline_kernelINS0_14default_configENS1_25partition_config_selectorILNS1_17partition_subalgoE8ElNS0_10empty_typeEbEEZZNS1_14partition_implILS5_8ELb0ES3_jPlPS6_PKS6_NS0_5tupleIJS9_S6_EEENSD_IJSA_SA_EEENS0_18inequality_wrapperIZN2at6native12_GLOBAL__N_124unique_dim_cuda_templateIhEESt5tupleIJNSH_6TensorESM_SM_EERKSM_lbbbEUlllE0_EEPmJS6_EEE10hipError_tPvRmT3_T4_T5_T6_T7_T9_mT8_P12ihipStream_tbDpT10_ENKUlT_T0_E_clISt17integral_constantIbLb0EES1C_EEDaS17_S18_EUlS17_E_NS1_11comp_targetILNS1_3genE4ELNS1_11target_archE910ELNS1_3gpuE8ELNS1_3repE0EEENS1_30default_config_static_selectorELNS0_4arch9wavefront6targetE1EEEvT1_: ; @_ZN7rocprim17ROCPRIM_400000_NS6detail17trampoline_kernelINS0_14default_configENS1_25partition_config_selectorILNS1_17partition_subalgoE8ElNS0_10empty_typeEbEEZZNS1_14partition_implILS5_8ELb0ES3_jPlPS6_PKS6_NS0_5tupleIJS9_S6_EEENSD_IJSA_SA_EEENS0_18inequality_wrapperIZN2at6native12_GLOBAL__N_124unique_dim_cuda_templateIhEESt5tupleIJNSH_6TensorESM_SM_EERKSM_lbbbEUlllE0_EEPmJS6_EEE10hipError_tPvRmT3_T4_T5_T6_T7_T9_mT8_P12ihipStream_tbDpT10_ENKUlT_T0_E_clISt17integral_constantIbLb0EES1C_EEDaS17_S18_EUlS17_E_NS1_11comp_targetILNS1_3genE4ELNS1_11target_archE910ELNS1_3gpuE8ELNS1_3repE0EEENS1_30default_config_static_selectorELNS0_4arch9wavefront6targetE1EEEvT1_
; %bb.0:
	.section	.rodata,"a",@progbits
	.p2align	6, 0x0
	.amdhsa_kernel _ZN7rocprim17ROCPRIM_400000_NS6detail17trampoline_kernelINS0_14default_configENS1_25partition_config_selectorILNS1_17partition_subalgoE8ElNS0_10empty_typeEbEEZZNS1_14partition_implILS5_8ELb0ES3_jPlPS6_PKS6_NS0_5tupleIJS9_S6_EEENSD_IJSA_SA_EEENS0_18inequality_wrapperIZN2at6native12_GLOBAL__N_124unique_dim_cuda_templateIhEESt5tupleIJNSH_6TensorESM_SM_EERKSM_lbbbEUlllE0_EEPmJS6_EEE10hipError_tPvRmT3_T4_T5_T6_T7_T9_mT8_P12ihipStream_tbDpT10_ENKUlT_T0_E_clISt17integral_constantIbLb0EES1C_EEDaS17_S18_EUlS17_E_NS1_11comp_targetILNS1_3genE4ELNS1_11target_archE910ELNS1_3gpuE8ELNS1_3repE0EEENS1_30default_config_static_selectorELNS0_4arch9wavefront6targetE1EEEvT1_
		.amdhsa_group_segment_fixed_size 0
		.amdhsa_private_segment_fixed_size 0
		.amdhsa_kernarg_size 120
		.amdhsa_user_sgpr_count 2
		.amdhsa_user_sgpr_dispatch_ptr 0
		.amdhsa_user_sgpr_queue_ptr 0
		.amdhsa_user_sgpr_kernarg_segment_ptr 1
		.amdhsa_user_sgpr_dispatch_id 0
		.amdhsa_user_sgpr_kernarg_preload_length 0
		.amdhsa_user_sgpr_kernarg_preload_offset 0
		.amdhsa_user_sgpr_private_segment_size 0
		.amdhsa_uses_dynamic_stack 0
		.amdhsa_enable_private_segment 0
		.amdhsa_system_sgpr_workgroup_id_x 1
		.amdhsa_system_sgpr_workgroup_id_y 0
		.amdhsa_system_sgpr_workgroup_id_z 0
		.amdhsa_system_sgpr_workgroup_info 0
		.amdhsa_system_vgpr_workitem_id 0
		.amdhsa_next_free_vgpr 1
		.amdhsa_next_free_sgpr 0
		.amdhsa_accum_offset 4
		.amdhsa_reserve_vcc 0
		.amdhsa_float_round_mode_32 0
		.amdhsa_float_round_mode_16_64 0
		.amdhsa_float_denorm_mode_32 3
		.amdhsa_float_denorm_mode_16_64 3
		.amdhsa_dx10_clamp 1
		.amdhsa_ieee_mode 1
		.amdhsa_fp16_overflow 0
		.amdhsa_tg_split 0
		.amdhsa_exception_fp_ieee_invalid_op 0
		.amdhsa_exception_fp_denorm_src 0
		.amdhsa_exception_fp_ieee_div_zero 0
		.amdhsa_exception_fp_ieee_overflow 0
		.amdhsa_exception_fp_ieee_underflow 0
		.amdhsa_exception_fp_ieee_inexact 0
		.amdhsa_exception_int_div_zero 0
	.end_amdhsa_kernel
	.section	.text._ZN7rocprim17ROCPRIM_400000_NS6detail17trampoline_kernelINS0_14default_configENS1_25partition_config_selectorILNS1_17partition_subalgoE8ElNS0_10empty_typeEbEEZZNS1_14partition_implILS5_8ELb0ES3_jPlPS6_PKS6_NS0_5tupleIJS9_S6_EEENSD_IJSA_SA_EEENS0_18inequality_wrapperIZN2at6native12_GLOBAL__N_124unique_dim_cuda_templateIhEESt5tupleIJNSH_6TensorESM_SM_EERKSM_lbbbEUlllE0_EEPmJS6_EEE10hipError_tPvRmT3_T4_T5_T6_T7_T9_mT8_P12ihipStream_tbDpT10_ENKUlT_T0_E_clISt17integral_constantIbLb0EES1C_EEDaS17_S18_EUlS17_E_NS1_11comp_targetILNS1_3genE4ELNS1_11target_archE910ELNS1_3gpuE8ELNS1_3repE0EEENS1_30default_config_static_selectorELNS0_4arch9wavefront6targetE1EEEvT1_,"axG",@progbits,_ZN7rocprim17ROCPRIM_400000_NS6detail17trampoline_kernelINS0_14default_configENS1_25partition_config_selectorILNS1_17partition_subalgoE8ElNS0_10empty_typeEbEEZZNS1_14partition_implILS5_8ELb0ES3_jPlPS6_PKS6_NS0_5tupleIJS9_S6_EEENSD_IJSA_SA_EEENS0_18inequality_wrapperIZN2at6native12_GLOBAL__N_124unique_dim_cuda_templateIhEESt5tupleIJNSH_6TensorESM_SM_EERKSM_lbbbEUlllE0_EEPmJS6_EEE10hipError_tPvRmT3_T4_T5_T6_T7_T9_mT8_P12ihipStream_tbDpT10_ENKUlT_T0_E_clISt17integral_constantIbLb0EES1C_EEDaS17_S18_EUlS17_E_NS1_11comp_targetILNS1_3genE4ELNS1_11target_archE910ELNS1_3gpuE8ELNS1_3repE0EEENS1_30default_config_static_selectorELNS0_4arch9wavefront6targetE1EEEvT1_,comdat
.Lfunc_end163:
	.size	_ZN7rocprim17ROCPRIM_400000_NS6detail17trampoline_kernelINS0_14default_configENS1_25partition_config_selectorILNS1_17partition_subalgoE8ElNS0_10empty_typeEbEEZZNS1_14partition_implILS5_8ELb0ES3_jPlPS6_PKS6_NS0_5tupleIJS9_S6_EEENSD_IJSA_SA_EEENS0_18inequality_wrapperIZN2at6native12_GLOBAL__N_124unique_dim_cuda_templateIhEESt5tupleIJNSH_6TensorESM_SM_EERKSM_lbbbEUlllE0_EEPmJS6_EEE10hipError_tPvRmT3_T4_T5_T6_T7_T9_mT8_P12ihipStream_tbDpT10_ENKUlT_T0_E_clISt17integral_constantIbLb0EES1C_EEDaS17_S18_EUlS17_E_NS1_11comp_targetILNS1_3genE4ELNS1_11target_archE910ELNS1_3gpuE8ELNS1_3repE0EEENS1_30default_config_static_selectorELNS0_4arch9wavefront6targetE1EEEvT1_, .Lfunc_end163-_ZN7rocprim17ROCPRIM_400000_NS6detail17trampoline_kernelINS0_14default_configENS1_25partition_config_selectorILNS1_17partition_subalgoE8ElNS0_10empty_typeEbEEZZNS1_14partition_implILS5_8ELb0ES3_jPlPS6_PKS6_NS0_5tupleIJS9_S6_EEENSD_IJSA_SA_EEENS0_18inequality_wrapperIZN2at6native12_GLOBAL__N_124unique_dim_cuda_templateIhEESt5tupleIJNSH_6TensorESM_SM_EERKSM_lbbbEUlllE0_EEPmJS6_EEE10hipError_tPvRmT3_T4_T5_T6_T7_T9_mT8_P12ihipStream_tbDpT10_ENKUlT_T0_E_clISt17integral_constantIbLb0EES1C_EEDaS17_S18_EUlS17_E_NS1_11comp_targetILNS1_3genE4ELNS1_11target_archE910ELNS1_3gpuE8ELNS1_3repE0EEENS1_30default_config_static_selectorELNS0_4arch9wavefront6targetE1EEEvT1_
                                        ; -- End function
	.set _ZN7rocprim17ROCPRIM_400000_NS6detail17trampoline_kernelINS0_14default_configENS1_25partition_config_selectorILNS1_17partition_subalgoE8ElNS0_10empty_typeEbEEZZNS1_14partition_implILS5_8ELb0ES3_jPlPS6_PKS6_NS0_5tupleIJS9_S6_EEENSD_IJSA_SA_EEENS0_18inequality_wrapperIZN2at6native12_GLOBAL__N_124unique_dim_cuda_templateIhEESt5tupleIJNSH_6TensorESM_SM_EERKSM_lbbbEUlllE0_EEPmJS6_EEE10hipError_tPvRmT3_T4_T5_T6_T7_T9_mT8_P12ihipStream_tbDpT10_ENKUlT_T0_E_clISt17integral_constantIbLb0EES1C_EEDaS17_S18_EUlS17_E_NS1_11comp_targetILNS1_3genE4ELNS1_11target_archE910ELNS1_3gpuE8ELNS1_3repE0EEENS1_30default_config_static_selectorELNS0_4arch9wavefront6targetE1EEEvT1_.num_vgpr, 0
	.set _ZN7rocprim17ROCPRIM_400000_NS6detail17trampoline_kernelINS0_14default_configENS1_25partition_config_selectorILNS1_17partition_subalgoE8ElNS0_10empty_typeEbEEZZNS1_14partition_implILS5_8ELb0ES3_jPlPS6_PKS6_NS0_5tupleIJS9_S6_EEENSD_IJSA_SA_EEENS0_18inequality_wrapperIZN2at6native12_GLOBAL__N_124unique_dim_cuda_templateIhEESt5tupleIJNSH_6TensorESM_SM_EERKSM_lbbbEUlllE0_EEPmJS6_EEE10hipError_tPvRmT3_T4_T5_T6_T7_T9_mT8_P12ihipStream_tbDpT10_ENKUlT_T0_E_clISt17integral_constantIbLb0EES1C_EEDaS17_S18_EUlS17_E_NS1_11comp_targetILNS1_3genE4ELNS1_11target_archE910ELNS1_3gpuE8ELNS1_3repE0EEENS1_30default_config_static_selectorELNS0_4arch9wavefront6targetE1EEEvT1_.num_agpr, 0
	.set _ZN7rocprim17ROCPRIM_400000_NS6detail17trampoline_kernelINS0_14default_configENS1_25partition_config_selectorILNS1_17partition_subalgoE8ElNS0_10empty_typeEbEEZZNS1_14partition_implILS5_8ELb0ES3_jPlPS6_PKS6_NS0_5tupleIJS9_S6_EEENSD_IJSA_SA_EEENS0_18inequality_wrapperIZN2at6native12_GLOBAL__N_124unique_dim_cuda_templateIhEESt5tupleIJNSH_6TensorESM_SM_EERKSM_lbbbEUlllE0_EEPmJS6_EEE10hipError_tPvRmT3_T4_T5_T6_T7_T9_mT8_P12ihipStream_tbDpT10_ENKUlT_T0_E_clISt17integral_constantIbLb0EES1C_EEDaS17_S18_EUlS17_E_NS1_11comp_targetILNS1_3genE4ELNS1_11target_archE910ELNS1_3gpuE8ELNS1_3repE0EEENS1_30default_config_static_selectorELNS0_4arch9wavefront6targetE1EEEvT1_.numbered_sgpr, 0
	.set _ZN7rocprim17ROCPRIM_400000_NS6detail17trampoline_kernelINS0_14default_configENS1_25partition_config_selectorILNS1_17partition_subalgoE8ElNS0_10empty_typeEbEEZZNS1_14partition_implILS5_8ELb0ES3_jPlPS6_PKS6_NS0_5tupleIJS9_S6_EEENSD_IJSA_SA_EEENS0_18inequality_wrapperIZN2at6native12_GLOBAL__N_124unique_dim_cuda_templateIhEESt5tupleIJNSH_6TensorESM_SM_EERKSM_lbbbEUlllE0_EEPmJS6_EEE10hipError_tPvRmT3_T4_T5_T6_T7_T9_mT8_P12ihipStream_tbDpT10_ENKUlT_T0_E_clISt17integral_constantIbLb0EES1C_EEDaS17_S18_EUlS17_E_NS1_11comp_targetILNS1_3genE4ELNS1_11target_archE910ELNS1_3gpuE8ELNS1_3repE0EEENS1_30default_config_static_selectorELNS0_4arch9wavefront6targetE1EEEvT1_.num_named_barrier, 0
	.set _ZN7rocprim17ROCPRIM_400000_NS6detail17trampoline_kernelINS0_14default_configENS1_25partition_config_selectorILNS1_17partition_subalgoE8ElNS0_10empty_typeEbEEZZNS1_14partition_implILS5_8ELb0ES3_jPlPS6_PKS6_NS0_5tupleIJS9_S6_EEENSD_IJSA_SA_EEENS0_18inequality_wrapperIZN2at6native12_GLOBAL__N_124unique_dim_cuda_templateIhEESt5tupleIJNSH_6TensorESM_SM_EERKSM_lbbbEUlllE0_EEPmJS6_EEE10hipError_tPvRmT3_T4_T5_T6_T7_T9_mT8_P12ihipStream_tbDpT10_ENKUlT_T0_E_clISt17integral_constantIbLb0EES1C_EEDaS17_S18_EUlS17_E_NS1_11comp_targetILNS1_3genE4ELNS1_11target_archE910ELNS1_3gpuE8ELNS1_3repE0EEENS1_30default_config_static_selectorELNS0_4arch9wavefront6targetE1EEEvT1_.private_seg_size, 0
	.set _ZN7rocprim17ROCPRIM_400000_NS6detail17trampoline_kernelINS0_14default_configENS1_25partition_config_selectorILNS1_17partition_subalgoE8ElNS0_10empty_typeEbEEZZNS1_14partition_implILS5_8ELb0ES3_jPlPS6_PKS6_NS0_5tupleIJS9_S6_EEENSD_IJSA_SA_EEENS0_18inequality_wrapperIZN2at6native12_GLOBAL__N_124unique_dim_cuda_templateIhEESt5tupleIJNSH_6TensorESM_SM_EERKSM_lbbbEUlllE0_EEPmJS6_EEE10hipError_tPvRmT3_T4_T5_T6_T7_T9_mT8_P12ihipStream_tbDpT10_ENKUlT_T0_E_clISt17integral_constantIbLb0EES1C_EEDaS17_S18_EUlS17_E_NS1_11comp_targetILNS1_3genE4ELNS1_11target_archE910ELNS1_3gpuE8ELNS1_3repE0EEENS1_30default_config_static_selectorELNS0_4arch9wavefront6targetE1EEEvT1_.uses_vcc, 0
	.set _ZN7rocprim17ROCPRIM_400000_NS6detail17trampoline_kernelINS0_14default_configENS1_25partition_config_selectorILNS1_17partition_subalgoE8ElNS0_10empty_typeEbEEZZNS1_14partition_implILS5_8ELb0ES3_jPlPS6_PKS6_NS0_5tupleIJS9_S6_EEENSD_IJSA_SA_EEENS0_18inequality_wrapperIZN2at6native12_GLOBAL__N_124unique_dim_cuda_templateIhEESt5tupleIJNSH_6TensorESM_SM_EERKSM_lbbbEUlllE0_EEPmJS6_EEE10hipError_tPvRmT3_T4_T5_T6_T7_T9_mT8_P12ihipStream_tbDpT10_ENKUlT_T0_E_clISt17integral_constantIbLb0EES1C_EEDaS17_S18_EUlS17_E_NS1_11comp_targetILNS1_3genE4ELNS1_11target_archE910ELNS1_3gpuE8ELNS1_3repE0EEENS1_30default_config_static_selectorELNS0_4arch9wavefront6targetE1EEEvT1_.uses_flat_scratch, 0
	.set _ZN7rocprim17ROCPRIM_400000_NS6detail17trampoline_kernelINS0_14default_configENS1_25partition_config_selectorILNS1_17partition_subalgoE8ElNS0_10empty_typeEbEEZZNS1_14partition_implILS5_8ELb0ES3_jPlPS6_PKS6_NS0_5tupleIJS9_S6_EEENSD_IJSA_SA_EEENS0_18inequality_wrapperIZN2at6native12_GLOBAL__N_124unique_dim_cuda_templateIhEESt5tupleIJNSH_6TensorESM_SM_EERKSM_lbbbEUlllE0_EEPmJS6_EEE10hipError_tPvRmT3_T4_T5_T6_T7_T9_mT8_P12ihipStream_tbDpT10_ENKUlT_T0_E_clISt17integral_constantIbLb0EES1C_EEDaS17_S18_EUlS17_E_NS1_11comp_targetILNS1_3genE4ELNS1_11target_archE910ELNS1_3gpuE8ELNS1_3repE0EEENS1_30default_config_static_selectorELNS0_4arch9wavefront6targetE1EEEvT1_.has_dyn_sized_stack, 0
	.set _ZN7rocprim17ROCPRIM_400000_NS6detail17trampoline_kernelINS0_14default_configENS1_25partition_config_selectorILNS1_17partition_subalgoE8ElNS0_10empty_typeEbEEZZNS1_14partition_implILS5_8ELb0ES3_jPlPS6_PKS6_NS0_5tupleIJS9_S6_EEENSD_IJSA_SA_EEENS0_18inequality_wrapperIZN2at6native12_GLOBAL__N_124unique_dim_cuda_templateIhEESt5tupleIJNSH_6TensorESM_SM_EERKSM_lbbbEUlllE0_EEPmJS6_EEE10hipError_tPvRmT3_T4_T5_T6_T7_T9_mT8_P12ihipStream_tbDpT10_ENKUlT_T0_E_clISt17integral_constantIbLb0EES1C_EEDaS17_S18_EUlS17_E_NS1_11comp_targetILNS1_3genE4ELNS1_11target_archE910ELNS1_3gpuE8ELNS1_3repE0EEENS1_30default_config_static_selectorELNS0_4arch9wavefront6targetE1EEEvT1_.has_recursion, 0
	.set _ZN7rocprim17ROCPRIM_400000_NS6detail17trampoline_kernelINS0_14default_configENS1_25partition_config_selectorILNS1_17partition_subalgoE8ElNS0_10empty_typeEbEEZZNS1_14partition_implILS5_8ELb0ES3_jPlPS6_PKS6_NS0_5tupleIJS9_S6_EEENSD_IJSA_SA_EEENS0_18inequality_wrapperIZN2at6native12_GLOBAL__N_124unique_dim_cuda_templateIhEESt5tupleIJNSH_6TensorESM_SM_EERKSM_lbbbEUlllE0_EEPmJS6_EEE10hipError_tPvRmT3_T4_T5_T6_T7_T9_mT8_P12ihipStream_tbDpT10_ENKUlT_T0_E_clISt17integral_constantIbLb0EES1C_EEDaS17_S18_EUlS17_E_NS1_11comp_targetILNS1_3genE4ELNS1_11target_archE910ELNS1_3gpuE8ELNS1_3repE0EEENS1_30default_config_static_selectorELNS0_4arch9wavefront6targetE1EEEvT1_.has_indirect_call, 0
	.section	.AMDGPU.csdata,"",@progbits
; Kernel info:
; codeLenInByte = 0
; TotalNumSgprs: 6
; NumVgprs: 0
; NumAgprs: 0
; TotalNumVgprs: 0
; ScratchSize: 0
; MemoryBound: 0
; FloatMode: 240
; IeeeMode: 1
; LDSByteSize: 0 bytes/workgroup (compile time only)
; SGPRBlocks: 0
; VGPRBlocks: 0
; NumSGPRsForWavesPerEU: 6
; NumVGPRsForWavesPerEU: 1
; AccumOffset: 4
; Occupancy: 8
; WaveLimiterHint : 0
; COMPUTE_PGM_RSRC2:SCRATCH_EN: 0
; COMPUTE_PGM_RSRC2:USER_SGPR: 2
; COMPUTE_PGM_RSRC2:TRAP_HANDLER: 0
; COMPUTE_PGM_RSRC2:TGID_X_EN: 1
; COMPUTE_PGM_RSRC2:TGID_Y_EN: 0
; COMPUTE_PGM_RSRC2:TGID_Z_EN: 0
; COMPUTE_PGM_RSRC2:TIDIG_COMP_CNT: 0
; COMPUTE_PGM_RSRC3_GFX90A:ACCUM_OFFSET: 0
; COMPUTE_PGM_RSRC3_GFX90A:TG_SPLIT: 0
	.section	.text._ZN7rocprim17ROCPRIM_400000_NS6detail17trampoline_kernelINS0_14default_configENS1_25partition_config_selectorILNS1_17partition_subalgoE8ElNS0_10empty_typeEbEEZZNS1_14partition_implILS5_8ELb0ES3_jPlPS6_PKS6_NS0_5tupleIJS9_S6_EEENSD_IJSA_SA_EEENS0_18inequality_wrapperIZN2at6native12_GLOBAL__N_124unique_dim_cuda_templateIhEESt5tupleIJNSH_6TensorESM_SM_EERKSM_lbbbEUlllE0_EEPmJS6_EEE10hipError_tPvRmT3_T4_T5_T6_T7_T9_mT8_P12ihipStream_tbDpT10_ENKUlT_T0_E_clISt17integral_constantIbLb0EES1C_EEDaS17_S18_EUlS17_E_NS1_11comp_targetILNS1_3genE3ELNS1_11target_archE908ELNS1_3gpuE7ELNS1_3repE0EEENS1_30default_config_static_selectorELNS0_4arch9wavefront6targetE1EEEvT1_,"axG",@progbits,_ZN7rocprim17ROCPRIM_400000_NS6detail17trampoline_kernelINS0_14default_configENS1_25partition_config_selectorILNS1_17partition_subalgoE8ElNS0_10empty_typeEbEEZZNS1_14partition_implILS5_8ELb0ES3_jPlPS6_PKS6_NS0_5tupleIJS9_S6_EEENSD_IJSA_SA_EEENS0_18inequality_wrapperIZN2at6native12_GLOBAL__N_124unique_dim_cuda_templateIhEESt5tupleIJNSH_6TensorESM_SM_EERKSM_lbbbEUlllE0_EEPmJS6_EEE10hipError_tPvRmT3_T4_T5_T6_T7_T9_mT8_P12ihipStream_tbDpT10_ENKUlT_T0_E_clISt17integral_constantIbLb0EES1C_EEDaS17_S18_EUlS17_E_NS1_11comp_targetILNS1_3genE3ELNS1_11target_archE908ELNS1_3gpuE7ELNS1_3repE0EEENS1_30default_config_static_selectorELNS0_4arch9wavefront6targetE1EEEvT1_,comdat
	.globl	_ZN7rocprim17ROCPRIM_400000_NS6detail17trampoline_kernelINS0_14default_configENS1_25partition_config_selectorILNS1_17partition_subalgoE8ElNS0_10empty_typeEbEEZZNS1_14partition_implILS5_8ELb0ES3_jPlPS6_PKS6_NS0_5tupleIJS9_S6_EEENSD_IJSA_SA_EEENS0_18inequality_wrapperIZN2at6native12_GLOBAL__N_124unique_dim_cuda_templateIhEESt5tupleIJNSH_6TensorESM_SM_EERKSM_lbbbEUlllE0_EEPmJS6_EEE10hipError_tPvRmT3_T4_T5_T6_T7_T9_mT8_P12ihipStream_tbDpT10_ENKUlT_T0_E_clISt17integral_constantIbLb0EES1C_EEDaS17_S18_EUlS17_E_NS1_11comp_targetILNS1_3genE3ELNS1_11target_archE908ELNS1_3gpuE7ELNS1_3repE0EEENS1_30default_config_static_selectorELNS0_4arch9wavefront6targetE1EEEvT1_ ; -- Begin function _ZN7rocprim17ROCPRIM_400000_NS6detail17trampoline_kernelINS0_14default_configENS1_25partition_config_selectorILNS1_17partition_subalgoE8ElNS0_10empty_typeEbEEZZNS1_14partition_implILS5_8ELb0ES3_jPlPS6_PKS6_NS0_5tupleIJS9_S6_EEENSD_IJSA_SA_EEENS0_18inequality_wrapperIZN2at6native12_GLOBAL__N_124unique_dim_cuda_templateIhEESt5tupleIJNSH_6TensorESM_SM_EERKSM_lbbbEUlllE0_EEPmJS6_EEE10hipError_tPvRmT3_T4_T5_T6_T7_T9_mT8_P12ihipStream_tbDpT10_ENKUlT_T0_E_clISt17integral_constantIbLb0EES1C_EEDaS17_S18_EUlS17_E_NS1_11comp_targetILNS1_3genE3ELNS1_11target_archE908ELNS1_3gpuE7ELNS1_3repE0EEENS1_30default_config_static_selectorELNS0_4arch9wavefront6targetE1EEEvT1_
	.p2align	8
	.type	_ZN7rocprim17ROCPRIM_400000_NS6detail17trampoline_kernelINS0_14default_configENS1_25partition_config_selectorILNS1_17partition_subalgoE8ElNS0_10empty_typeEbEEZZNS1_14partition_implILS5_8ELb0ES3_jPlPS6_PKS6_NS0_5tupleIJS9_S6_EEENSD_IJSA_SA_EEENS0_18inequality_wrapperIZN2at6native12_GLOBAL__N_124unique_dim_cuda_templateIhEESt5tupleIJNSH_6TensorESM_SM_EERKSM_lbbbEUlllE0_EEPmJS6_EEE10hipError_tPvRmT3_T4_T5_T6_T7_T9_mT8_P12ihipStream_tbDpT10_ENKUlT_T0_E_clISt17integral_constantIbLb0EES1C_EEDaS17_S18_EUlS17_E_NS1_11comp_targetILNS1_3genE3ELNS1_11target_archE908ELNS1_3gpuE7ELNS1_3repE0EEENS1_30default_config_static_selectorELNS0_4arch9wavefront6targetE1EEEvT1_,@function
_ZN7rocprim17ROCPRIM_400000_NS6detail17trampoline_kernelINS0_14default_configENS1_25partition_config_selectorILNS1_17partition_subalgoE8ElNS0_10empty_typeEbEEZZNS1_14partition_implILS5_8ELb0ES3_jPlPS6_PKS6_NS0_5tupleIJS9_S6_EEENSD_IJSA_SA_EEENS0_18inequality_wrapperIZN2at6native12_GLOBAL__N_124unique_dim_cuda_templateIhEESt5tupleIJNSH_6TensorESM_SM_EERKSM_lbbbEUlllE0_EEPmJS6_EEE10hipError_tPvRmT3_T4_T5_T6_T7_T9_mT8_P12ihipStream_tbDpT10_ENKUlT_T0_E_clISt17integral_constantIbLb0EES1C_EEDaS17_S18_EUlS17_E_NS1_11comp_targetILNS1_3genE3ELNS1_11target_archE908ELNS1_3gpuE7ELNS1_3repE0EEENS1_30default_config_static_selectorELNS0_4arch9wavefront6targetE1EEEvT1_: ; @_ZN7rocprim17ROCPRIM_400000_NS6detail17trampoline_kernelINS0_14default_configENS1_25partition_config_selectorILNS1_17partition_subalgoE8ElNS0_10empty_typeEbEEZZNS1_14partition_implILS5_8ELb0ES3_jPlPS6_PKS6_NS0_5tupleIJS9_S6_EEENSD_IJSA_SA_EEENS0_18inequality_wrapperIZN2at6native12_GLOBAL__N_124unique_dim_cuda_templateIhEESt5tupleIJNSH_6TensorESM_SM_EERKSM_lbbbEUlllE0_EEPmJS6_EEE10hipError_tPvRmT3_T4_T5_T6_T7_T9_mT8_P12ihipStream_tbDpT10_ENKUlT_T0_E_clISt17integral_constantIbLb0EES1C_EEDaS17_S18_EUlS17_E_NS1_11comp_targetILNS1_3genE3ELNS1_11target_archE908ELNS1_3gpuE7ELNS1_3repE0EEENS1_30default_config_static_selectorELNS0_4arch9wavefront6targetE1EEEvT1_
; %bb.0:
	.section	.rodata,"a",@progbits
	.p2align	6, 0x0
	.amdhsa_kernel _ZN7rocprim17ROCPRIM_400000_NS6detail17trampoline_kernelINS0_14default_configENS1_25partition_config_selectorILNS1_17partition_subalgoE8ElNS0_10empty_typeEbEEZZNS1_14partition_implILS5_8ELb0ES3_jPlPS6_PKS6_NS0_5tupleIJS9_S6_EEENSD_IJSA_SA_EEENS0_18inequality_wrapperIZN2at6native12_GLOBAL__N_124unique_dim_cuda_templateIhEESt5tupleIJNSH_6TensorESM_SM_EERKSM_lbbbEUlllE0_EEPmJS6_EEE10hipError_tPvRmT3_T4_T5_T6_T7_T9_mT8_P12ihipStream_tbDpT10_ENKUlT_T0_E_clISt17integral_constantIbLb0EES1C_EEDaS17_S18_EUlS17_E_NS1_11comp_targetILNS1_3genE3ELNS1_11target_archE908ELNS1_3gpuE7ELNS1_3repE0EEENS1_30default_config_static_selectorELNS0_4arch9wavefront6targetE1EEEvT1_
		.amdhsa_group_segment_fixed_size 0
		.amdhsa_private_segment_fixed_size 0
		.amdhsa_kernarg_size 120
		.amdhsa_user_sgpr_count 2
		.amdhsa_user_sgpr_dispatch_ptr 0
		.amdhsa_user_sgpr_queue_ptr 0
		.amdhsa_user_sgpr_kernarg_segment_ptr 1
		.amdhsa_user_sgpr_dispatch_id 0
		.amdhsa_user_sgpr_kernarg_preload_length 0
		.amdhsa_user_sgpr_kernarg_preload_offset 0
		.amdhsa_user_sgpr_private_segment_size 0
		.amdhsa_uses_dynamic_stack 0
		.amdhsa_enable_private_segment 0
		.amdhsa_system_sgpr_workgroup_id_x 1
		.amdhsa_system_sgpr_workgroup_id_y 0
		.amdhsa_system_sgpr_workgroup_id_z 0
		.amdhsa_system_sgpr_workgroup_info 0
		.amdhsa_system_vgpr_workitem_id 0
		.amdhsa_next_free_vgpr 1
		.amdhsa_next_free_sgpr 0
		.amdhsa_accum_offset 4
		.amdhsa_reserve_vcc 0
		.amdhsa_float_round_mode_32 0
		.amdhsa_float_round_mode_16_64 0
		.amdhsa_float_denorm_mode_32 3
		.amdhsa_float_denorm_mode_16_64 3
		.amdhsa_dx10_clamp 1
		.amdhsa_ieee_mode 1
		.amdhsa_fp16_overflow 0
		.amdhsa_tg_split 0
		.amdhsa_exception_fp_ieee_invalid_op 0
		.amdhsa_exception_fp_denorm_src 0
		.amdhsa_exception_fp_ieee_div_zero 0
		.amdhsa_exception_fp_ieee_overflow 0
		.amdhsa_exception_fp_ieee_underflow 0
		.amdhsa_exception_fp_ieee_inexact 0
		.amdhsa_exception_int_div_zero 0
	.end_amdhsa_kernel
	.section	.text._ZN7rocprim17ROCPRIM_400000_NS6detail17trampoline_kernelINS0_14default_configENS1_25partition_config_selectorILNS1_17partition_subalgoE8ElNS0_10empty_typeEbEEZZNS1_14partition_implILS5_8ELb0ES3_jPlPS6_PKS6_NS0_5tupleIJS9_S6_EEENSD_IJSA_SA_EEENS0_18inequality_wrapperIZN2at6native12_GLOBAL__N_124unique_dim_cuda_templateIhEESt5tupleIJNSH_6TensorESM_SM_EERKSM_lbbbEUlllE0_EEPmJS6_EEE10hipError_tPvRmT3_T4_T5_T6_T7_T9_mT8_P12ihipStream_tbDpT10_ENKUlT_T0_E_clISt17integral_constantIbLb0EES1C_EEDaS17_S18_EUlS17_E_NS1_11comp_targetILNS1_3genE3ELNS1_11target_archE908ELNS1_3gpuE7ELNS1_3repE0EEENS1_30default_config_static_selectorELNS0_4arch9wavefront6targetE1EEEvT1_,"axG",@progbits,_ZN7rocprim17ROCPRIM_400000_NS6detail17trampoline_kernelINS0_14default_configENS1_25partition_config_selectorILNS1_17partition_subalgoE8ElNS0_10empty_typeEbEEZZNS1_14partition_implILS5_8ELb0ES3_jPlPS6_PKS6_NS0_5tupleIJS9_S6_EEENSD_IJSA_SA_EEENS0_18inequality_wrapperIZN2at6native12_GLOBAL__N_124unique_dim_cuda_templateIhEESt5tupleIJNSH_6TensorESM_SM_EERKSM_lbbbEUlllE0_EEPmJS6_EEE10hipError_tPvRmT3_T4_T5_T6_T7_T9_mT8_P12ihipStream_tbDpT10_ENKUlT_T0_E_clISt17integral_constantIbLb0EES1C_EEDaS17_S18_EUlS17_E_NS1_11comp_targetILNS1_3genE3ELNS1_11target_archE908ELNS1_3gpuE7ELNS1_3repE0EEENS1_30default_config_static_selectorELNS0_4arch9wavefront6targetE1EEEvT1_,comdat
.Lfunc_end164:
	.size	_ZN7rocprim17ROCPRIM_400000_NS6detail17trampoline_kernelINS0_14default_configENS1_25partition_config_selectorILNS1_17partition_subalgoE8ElNS0_10empty_typeEbEEZZNS1_14partition_implILS5_8ELb0ES3_jPlPS6_PKS6_NS0_5tupleIJS9_S6_EEENSD_IJSA_SA_EEENS0_18inequality_wrapperIZN2at6native12_GLOBAL__N_124unique_dim_cuda_templateIhEESt5tupleIJNSH_6TensorESM_SM_EERKSM_lbbbEUlllE0_EEPmJS6_EEE10hipError_tPvRmT3_T4_T5_T6_T7_T9_mT8_P12ihipStream_tbDpT10_ENKUlT_T0_E_clISt17integral_constantIbLb0EES1C_EEDaS17_S18_EUlS17_E_NS1_11comp_targetILNS1_3genE3ELNS1_11target_archE908ELNS1_3gpuE7ELNS1_3repE0EEENS1_30default_config_static_selectorELNS0_4arch9wavefront6targetE1EEEvT1_, .Lfunc_end164-_ZN7rocprim17ROCPRIM_400000_NS6detail17trampoline_kernelINS0_14default_configENS1_25partition_config_selectorILNS1_17partition_subalgoE8ElNS0_10empty_typeEbEEZZNS1_14partition_implILS5_8ELb0ES3_jPlPS6_PKS6_NS0_5tupleIJS9_S6_EEENSD_IJSA_SA_EEENS0_18inequality_wrapperIZN2at6native12_GLOBAL__N_124unique_dim_cuda_templateIhEESt5tupleIJNSH_6TensorESM_SM_EERKSM_lbbbEUlllE0_EEPmJS6_EEE10hipError_tPvRmT3_T4_T5_T6_T7_T9_mT8_P12ihipStream_tbDpT10_ENKUlT_T0_E_clISt17integral_constantIbLb0EES1C_EEDaS17_S18_EUlS17_E_NS1_11comp_targetILNS1_3genE3ELNS1_11target_archE908ELNS1_3gpuE7ELNS1_3repE0EEENS1_30default_config_static_selectorELNS0_4arch9wavefront6targetE1EEEvT1_
                                        ; -- End function
	.set _ZN7rocprim17ROCPRIM_400000_NS6detail17trampoline_kernelINS0_14default_configENS1_25partition_config_selectorILNS1_17partition_subalgoE8ElNS0_10empty_typeEbEEZZNS1_14partition_implILS5_8ELb0ES3_jPlPS6_PKS6_NS0_5tupleIJS9_S6_EEENSD_IJSA_SA_EEENS0_18inequality_wrapperIZN2at6native12_GLOBAL__N_124unique_dim_cuda_templateIhEESt5tupleIJNSH_6TensorESM_SM_EERKSM_lbbbEUlllE0_EEPmJS6_EEE10hipError_tPvRmT3_T4_T5_T6_T7_T9_mT8_P12ihipStream_tbDpT10_ENKUlT_T0_E_clISt17integral_constantIbLb0EES1C_EEDaS17_S18_EUlS17_E_NS1_11comp_targetILNS1_3genE3ELNS1_11target_archE908ELNS1_3gpuE7ELNS1_3repE0EEENS1_30default_config_static_selectorELNS0_4arch9wavefront6targetE1EEEvT1_.num_vgpr, 0
	.set _ZN7rocprim17ROCPRIM_400000_NS6detail17trampoline_kernelINS0_14default_configENS1_25partition_config_selectorILNS1_17partition_subalgoE8ElNS0_10empty_typeEbEEZZNS1_14partition_implILS5_8ELb0ES3_jPlPS6_PKS6_NS0_5tupleIJS9_S6_EEENSD_IJSA_SA_EEENS0_18inequality_wrapperIZN2at6native12_GLOBAL__N_124unique_dim_cuda_templateIhEESt5tupleIJNSH_6TensorESM_SM_EERKSM_lbbbEUlllE0_EEPmJS6_EEE10hipError_tPvRmT3_T4_T5_T6_T7_T9_mT8_P12ihipStream_tbDpT10_ENKUlT_T0_E_clISt17integral_constantIbLb0EES1C_EEDaS17_S18_EUlS17_E_NS1_11comp_targetILNS1_3genE3ELNS1_11target_archE908ELNS1_3gpuE7ELNS1_3repE0EEENS1_30default_config_static_selectorELNS0_4arch9wavefront6targetE1EEEvT1_.num_agpr, 0
	.set _ZN7rocprim17ROCPRIM_400000_NS6detail17trampoline_kernelINS0_14default_configENS1_25partition_config_selectorILNS1_17partition_subalgoE8ElNS0_10empty_typeEbEEZZNS1_14partition_implILS5_8ELb0ES3_jPlPS6_PKS6_NS0_5tupleIJS9_S6_EEENSD_IJSA_SA_EEENS0_18inequality_wrapperIZN2at6native12_GLOBAL__N_124unique_dim_cuda_templateIhEESt5tupleIJNSH_6TensorESM_SM_EERKSM_lbbbEUlllE0_EEPmJS6_EEE10hipError_tPvRmT3_T4_T5_T6_T7_T9_mT8_P12ihipStream_tbDpT10_ENKUlT_T0_E_clISt17integral_constantIbLb0EES1C_EEDaS17_S18_EUlS17_E_NS1_11comp_targetILNS1_3genE3ELNS1_11target_archE908ELNS1_3gpuE7ELNS1_3repE0EEENS1_30default_config_static_selectorELNS0_4arch9wavefront6targetE1EEEvT1_.numbered_sgpr, 0
	.set _ZN7rocprim17ROCPRIM_400000_NS6detail17trampoline_kernelINS0_14default_configENS1_25partition_config_selectorILNS1_17partition_subalgoE8ElNS0_10empty_typeEbEEZZNS1_14partition_implILS5_8ELb0ES3_jPlPS6_PKS6_NS0_5tupleIJS9_S6_EEENSD_IJSA_SA_EEENS0_18inequality_wrapperIZN2at6native12_GLOBAL__N_124unique_dim_cuda_templateIhEESt5tupleIJNSH_6TensorESM_SM_EERKSM_lbbbEUlllE0_EEPmJS6_EEE10hipError_tPvRmT3_T4_T5_T6_T7_T9_mT8_P12ihipStream_tbDpT10_ENKUlT_T0_E_clISt17integral_constantIbLb0EES1C_EEDaS17_S18_EUlS17_E_NS1_11comp_targetILNS1_3genE3ELNS1_11target_archE908ELNS1_3gpuE7ELNS1_3repE0EEENS1_30default_config_static_selectorELNS0_4arch9wavefront6targetE1EEEvT1_.num_named_barrier, 0
	.set _ZN7rocprim17ROCPRIM_400000_NS6detail17trampoline_kernelINS0_14default_configENS1_25partition_config_selectorILNS1_17partition_subalgoE8ElNS0_10empty_typeEbEEZZNS1_14partition_implILS5_8ELb0ES3_jPlPS6_PKS6_NS0_5tupleIJS9_S6_EEENSD_IJSA_SA_EEENS0_18inequality_wrapperIZN2at6native12_GLOBAL__N_124unique_dim_cuda_templateIhEESt5tupleIJNSH_6TensorESM_SM_EERKSM_lbbbEUlllE0_EEPmJS6_EEE10hipError_tPvRmT3_T4_T5_T6_T7_T9_mT8_P12ihipStream_tbDpT10_ENKUlT_T0_E_clISt17integral_constantIbLb0EES1C_EEDaS17_S18_EUlS17_E_NS1_11comp_targetILNS1_3genE3ELNS1_11target_archE908ELNS1_3gpuE7ELNS1_3repE0EEENS1_30default_config_static_selectorELNS0_4arch9wavefront6targetE1EEEvT1_.private_seg_size, 0
	.set _ZN7rocprim17ROCPRIM_400000_NS6detail17trampoline_kernelINS0_14default_configENS1_25partition_config_selectorILNS1_17partition_subalgoE8ElNS0_10empty_typeEbEEZZNS1_14partition_implILS5_8ELb0ES3_jPlPS6_PKS6_NS0_5tupleIJS9_S6_EEENSD_IJSA_SA_EEENS0_18inequality_wrapperIZN2at6native12_GLOBAL__N_124unique_dim_cuda_templateIhEESt5tupleIJNSH_6TensorESM_SM_EERKSM_lbbbEUlllE0_EEPmJS6_EEE10hipError_tPvRmT3_T4_T5_T6_T7_T9_mT8_P12ihipStream_tbDpT10_ENKUlT_T0_E_clISt17integral_constantIbLb0EES1C_EEDaS17_S18_EUlS17_E_NS1_11comp_targetILNS1_3genE3ELNS1_11target_archE908ELNS1_3gpuE7ELNS1_3repE0EEENS1_30default_config_static_selectorELNS0_4arch9wavefront6targetE1EEEvT1_.uses_vcc, 0
	.set _ZN7rocprim17ROCPRIM_400000_NS6detail17trampoline_kernelINS0_14default_configENS1_25partition_config_selectorILNS1_17partition_subalgoE8ElNS0_10empty_typeEbEEZZNS1_14partition_implILS5_8ELb0ES3_jPlPS6_PKS6_NS0_5tupleIJS9_S6_EEENSD_IJSA_SA_EEENS0_18inequality_wrapperIZN2at6native12_GLOBAL__N_124unique_dim_cuda_templateIhEESt5tupleIJNSH_6TensorESM_SM_EERKSM_lbbbEUlllE0_EEPmJS6_EEE10hipError_tPvRmT3_T4_T5_T6_T7_T9_mT8_P12ihipStream_tbDpT10_ENKUlT_T0_E_clISt17integral_constantIbLb0EES1C_EEDaS17_S18_EUlS17_E_NS1_11comp_targetILNS1_3genE3ELNS1_11target_archE908ELNS1_3gpuE7ELNS1_3repE0EEENS1_30default_config_static_selectorELNS0_4arch9wavefront6targetE1EEEvT1_.uses_flat_scratch, 0
	.set _ZN7rocprim17ROCPRIM_400000_NS6detail17trampoline_kernelINS0_14default_configENS1_25partition_config_selectorILNS1_17partition_subalgoE8ElNS0_10empty_typeEbEEZZNS1_14partition_implILS5_8ELb0ES3_jPlPS6_PKS6_NS0_5tupleIJS9_S6_EEENSD_IJSA_SA_EEENS0_18inequality_wrapperIZN2at6native12_GLOBAL__N_124unique_dim_cuda_templateIhEESt5tupleIJNSH_6TensorESM_SM_EERKSM_lbbbEUlllE0_EEPmJS6_EEE10hipError_tPvRmT3_T4_T5_T6_T7_T9_mT8_P12ihipStream_tbDpT10_ENKUlT_T0_E_clISt17integral_constantIbLb0EES1C_EEDaS17_S18_EUlS17_E_NS1_11comp_targetILNS1_3genE3ELNS1_11target_archE908ELNS1_3gpuE7ELNS1_3repE0EEENS1_30default_config_static_selectorELNS0_4arch9wavefront6targetE1EEEvT1_.has_dyn_sized_stack, 0
	.set _ZN7rocprim17ROCPRIM_400000_NS6detail17trampoline_kernelINS0_14default_configENS1_25partition_config_selectorILNS1_17partition_subalgoE8ElNS0_10empty_typeEbEEZZNS1_14partition_implILS5_8ELb0ES3_jPlPS6_PKS6_NS0_5tupleIJS9_S6_EEENSD_IJSA_SA_EEENS0_18inequality_wrapperIZN2at6native12_GLOBAL__N_124unique_dim_cuda_templateIhEESt5tupleIJNSH_6TensorESM_SM_EERKSM_lbbbEUlllE0_EEPmJS6_EEE10hipError_tPvRmT3_T4_T5_T6_T7_T9_mT8_P12ihipStream_tbDpT10_ENKUlT_T0_E_clISt17integral_constantIbLb0EES1C_EEDaS17_S18_EUlS17_E_NS1_11comp_targetILNS1_3genE3ELNS1_11target_archE908ELNS1_3gpuE7ELNS1_3repE0EEENS1_30default_config_static_selectorELNS0_4arch9wavefront6targetE1EEEvT1_.has_recursion, 0
	.set _ZN7rocprim17ROCPRIM_400000_NS6detail17trampoline_kernelINS0_14default_configENS1_25partition_config_selectorILNS1_17partition_subalgoE8ElNS0_10empty_typeEbEEZZNS1_14partition_implILS5_8ELb0ES3_jPlPS6_PKS6_NS0_5tupleIJS9_S6_EEENSD_IJSA_SA_EEENS0_18inequality_wrapperIZN2at6native12_GLOBAL__N_124unique_dim_cuda_templateIhEESt5tupleIJNSH_6TensorESM_SM_EERKSM_lbbbEUlllE0_EEPmJS6_EEE10hipError_tPvRmT3_T4_T5_T6_T7_T9_mT8_P12ihipStream_tbDpT10_ENKUlT_T0_E_clISt17integral_constantIbLb0EES1C_EEDaS17_S18_EUlS17_E_NS1_11comp_targetILNS1_3genE3ELNS1_11target_archE908ELNS1_3gpuE7ELNS1_3repE0EEENS1_30default_config_static_selectorELNS0_4arch9wavefront6targetE1EEEvT1_.has_indirect_call, 0
	.section	.AMDGPU.csdata,"",@progbits
; Kernel info:
; codeLenInByte = 0
; TotalNumSgprs: 6
; NumVgprs: 0
; NumAgprs: 0
; TotalNumVgprs: 0
; ScratchSize: 0
; MemoryBound: 0
; FloatMode: 240
; IeeeMode: 1
; LDSByteSize: 0 bytes/workgroup (compile time only)
; SGPRBlocks: 0
; VGPRBlocks: 0
; NumSGPRsForWavesPerEU: 6
; NumVGPRsForWavesPerEU: 1
; AccumOffset: 4
; Occupancy: 8
; WaveLimiterHint : 0
; COMPUTE_PGM_RSRC2:SCRATCH_EN: 0
; COMPUTE_PGM_RSRC2:USER_SGPR: 2
; COMPUTE_PGM_RSRC2:TRAP_HANDLER: 0
; COMPUTE_PGM_RSRC2:TGID_X_EN: 1
; COMPUTE_PGM_RSRC2:TGID_Y_EN: 0
; COMPUTE_PGM_RSRC2:TGID_Z_EN: 0
; COMPUTE_PGM_RSRC2:TIDIG_COMP_CNT: 0
; COMPUTE_PGM_RSRC3_GFX90A:ACCUM_OFFSET: 0
; COMPUTE_PGM_RSRC3_GFX90A:TG_SPLIT: 0
	.section	.text._ZN7rocprim17ROCPRIM_400000_NS6detail17trampoline_kernelINS0_14default_configENS1_25partition_config_selectorILNS1_17partition_subalgoE8ElNS0_10empty_typeEbEEZZNS1_14partition_implILS5_8ELb0ES3_jPlPS6_PKS6_NS0_5tupleIJS9_S6_EEENSD_IJSA_SA_EEENS0_18inequality_wrapperIZN2at6native12_GLOBAL__N_124unique_dim_cuda_templateIhEESt5tupleIJNSH_6TensorESM_SM_EERKSM_lbbbEUlllE0_EEPmJS6_EEE10hipError_tPvRmT3_T4_T5_T6_T7_T9_mT8_P12ihipStream_tbDpT10_ENKUlT_T0_E_clISt17integral_constantIbLb0EES1C_EEDaS17_S18_EUlS17_E_NS1_11comp_targetILNS1_3genE2ELNS1_11target_archE906ELNS1_3gpuE6ELNS1_3repE0EEENS1_30default_config_static_selectorELNS0_4arch9wavefront6targetE1EEEvT1_,"axG",@progbits,_ZN7rocprim17ROCPRIM_400000_NS6detail17trampoline_kernelINS0_14default_configENS1_25partition_config_selectorILNS1_17partition_subalgoE8ElNS0_10empty_typeEbEEZZNS1_14partition_implILS5_8ELb0ES3_jPlPS6_PKS6_NS0_5tupleIJS9_S6_EEENSD_IJSA_SA_EEENS0_18inequality_wrapperIZN2at6native12_GLOBAL__N_124unique_dim_cuda_templateIhEESt5tupleIJNSH_6TensorESM_SM_EERKSM_lbbbEUlllE0_EEPmJS6_EEE10hipError_tPvRmT3_T4_T5_T6_T7_T9_mT8_P12ihipStream_tbDpT10_ENKUlT_T0_E_clISt17integral_constantIbLb0EES1C_EEDaS17_S18_EUlS17_E_NS1_11comp_targetILNS1_3genE2ELNS1_11target_archE906ELNS1_3gpuE6ELNS1_3repE0EEENS1_30default_config_static_selectorELNS0_4arch9wavefront6targetE1EEEvT1_,comdat
	.globl	_ZN7rocprim17ROCPRIM_400000_NS6detail17trampoline_kernelINS0_14default_configENS1_25partition_config_selectorILNS1_17partition_subalgoE8ElNS0_10empty_typeEbEEZZNS1_14partition_implILS5_8ELb0ES3_jPlPS6_PKS6_NS0_5tupleIJS9_S6_EEENSD_IJSA_SA_EEENS0_18inequality_wrapperIZN2at6native12_GLOBAL__N_124unique_dim_cuda_templateIhEESt5tupleIJNSH_6TensorESM_SM_EERKSM_lbbbEUlllE0_EEPmJS6_EEE10hipError_tPvRmT3_T4_T5_T6_T7_T9_mT8_P12ihipStream_tbDpT10_ENKUlT_T0_E_clISt17integral_constantIbLb0EES1C_EEDaS17_S18_EUlS17_E_NS1_11comp_targetILNS1_3genE2ELNS1_11target_archE906ELNS1_3gpuE6ELNS1_3repE0EEENS1_30default_config_static_selectorELNS0_4arch9wavefront6targetE1EEEvT1_ ; -- Begin function _ZN7rocprim17ROCPRIM_400000_NS6detail17trampoline_kernelINS0_14default_configENS1_25partition_config_selectorILNS1_17partition_subalgoE8ElNS0_10empty_typeEbEEZZNS1_14partition_implILS5_8ELb0ES3_jPlPS6_PKS6_NS0_5tupleIJS9_S6_EEENSD_IJSA_SA_EEENS0_18inequality_wrapperIZN2at6native12_GLOBAL__N_124unique_dim_cuda_templateIhEESt5tupleIJNSH_6TensorESM_SM_EERKSM_lbbbEUlllE0_EEPmJS6_EEE10hipError_tPvRmT3_T4_T5_T6_T7_T9_mT8_P12ihipStream_tbDpT10_ENKUlT_T0_E_clISt17integral_constantIbLb0EES1C_EEDaS17_S18_EUlS17_E_NS1_11comp_targetILNS1_3genE2ELNS1_11target_archE906ELNS1_3gpuE6ELNS1_3repE0EEENS1_30default_config_static_selectorELNS0_4arch9wavefront6targetE1EEEvT1_
	.p2align	8
	.type	_ZN7rocprim17ROCPRIM_400000_NS6detail17trampoline_kernelINS0_14default_configENS1_25partition_config_selectorILNS1_17partition_subalgoE8ElNS0_10empty_typeEbEEZZNS1_14partition_implILS5_8ELb0ES3_jPlPS6_PKS6_NS0_5tupleIJS9_S6_EEENSD_IJSA_SA_EEENS0_18inequality_wrapperIZN2at6native12_GLOBAL__N_124unique_dim_cuda_templateIhEESt5tupleIJNSH_6TensorESM_SM_EERKSM_lbbbEUlllE0_EEPmJS6_EEE10hipError_tPvRmT3_T4_T5_T6_T7_T9_mT8_P12ihipStream_tbDpT10_ENKUlT_T0_E_clISt17integral_constantIbLb0EES1C_EEDaS17_S18_EUlS17_E_NS1_11comp_targetILNS1_3genE2ELNS1_11target_archE906ELNS1_3gpuE6ELNS1_3repE0EEENS1_30default_config_static_selectorELNS0_4arch9wavefront6targetE1EEEvT1_,@function
_ZN7rocprim17ROCPRIM_400000_NS6detail17trampoline_kernelINS0_14default_configENS1_25partition_config_selectorILNS1_17partition_subalgoE8ElNS0_10empty_typeEbEEZZNS1_14partition_implILS5_8ELb0ES3_jPlPS6_PKS6_NS0_5tupleIJS9_S6_EEENSD_IJSA_SA_EEENS0_18inequality_wrapperIZN2at6native12_GLOBAL__N_124unique_dim_cuda_templateIhEESt5tupleIJNSH_6TensorESM_SM_EERKSM_lbbbEUlllE0_EEPmJS6_EEE10hipError_tPvRmT3_T4_T5_T6_T7_T9_mT8_P12ihipStream_tbDpT10_ENKUlT_T0_E_clISt17integral_constantIbLb0EES1C_EEDaS17_S18_EUlS17_E_NS1_11comp_targetILNS1_3genE2ELNS1_11target_archE906ELNS1_3gpuE6ELNS1_3repE0EEENS1_30default_config_static_selectorELNS0_4arch9wavefront6targetE1EEEvT1_: ; @_ZN7rocprim17ROCPRIM_400000_NS6detail17trampoline_kernelINS0_14default_configENS1_25partition_config_selectorILNS1_17partition_subalgoE8ElNS0_10empty_typeEbEEZZNS1_14partition_implILS5_8ELb0ES3_jPlPS6_PKS6_NS0_5tupleIJS9_S6_EEENSD_IJSA_SA_EEENS0_18inequality_wrapperIZN2at6native12_GLOBAL__N_124unique_dim_cuda_templateIhEESt5tupleIJNSH_6TensorESM_SM_EERKSM_lbbbEUlllE0_EEPmJS6_EEE10hipError_tPvRmT3_T4_T5_T6_T7_T9_mT8_P12ihipStream_tbDpT10_ENKUlT_T0_E_clISt17integral_constantIbLb0EES1C_EEDaS17_S18_EUlS17_E_NS1_11comp_targetILNS1_3genE2ELNS1_11target_archE906ELNS1_3gpuE6ELNS1_3repE0EEENS1_30default_config_static_selectorELNS0_4arch9wavefront6targetE1EEEvT1_
; %bb.0:
	.section	.rodata,"a",@progbits
	.p2align	6, 0x0
	.amdhsa_kernel _ZN7rocprim17ROCPRIM_400000_NS6detail17trampoline_kernelINS0_14default_configENS1_25partition_config_selectorILNS1_17partition_subalgoE8ElNS0_10empty_typeEbEEZZNS1_14partition_implILS5_8ELb0ES3_jPlPS6_PKS6_NS0_5tupleIJS9_S6_EEENSD_IJSA_SA_EEENS0_18inequality_wrapperIZN2at6native12_GLOBAL__N_124unique_dim_cuda_templateIhEESt5tupleIJNSH_6TensorESM_SM_EERKSM_lbbbEUlllE0_EEPmJS6_EEE10hipError_tPvRmT3_T4_T5_T6_T7_T9_mT8_P12ihipStream_tbDpT10_ENKUlT_T0_E_clISt17integral_constantIbLb0EES1C_EEDaS17_S18_EUlS17_E_NS1_11comp_targetILNS1_3genE2ELNS1_11target_archE906ELNS1_3gpuE6ELNS1_3repE0EEENS1_30default_config_static_selectorELNS0_4arch9wavefront6targetE1EEEvT1_
		.amdhsa_group_segment_fixed_size 0
		.amdhsa_private_segment_fixed_size 0
		.amdhsa_kernarg_size 120
		.amdhsa_user_sgpr_count 2
		.amdhsa_user_sgpr_dispatch_ptr 0
		.amdhsa_user_sgpr_queue_ptr 0
		.amdhsa_user_sgpr_kernarg_segment_ptr 1
		.amdhsa_user_sgpr_dispatch_id 0
		.amdhsa_user_sgpr_kernarg_preload_length 0
		.amdhsa_user_sgpr_kernarg_preload_offset 0
		.amdhsa_user_sgpr_private_segment_size 0
		.amdhsa_uses_dynamic_stack 0
		.amdhsa_enable_private_segment 0
		.amdhsa_system_sgpr_workgroup_id_x 1
		.amdhsa_system_sgpr_workgroup_id_y 0
		.amdhsa_system_sgpr_workgroup_id_z 0
		.amdhsa_system_sgpr_workgroup_info 0
		.amdhsa_system_vgpr_workitem_id 0
		.amdhsa_next_free_vgpr 1
		.amdhsa_next_free_sgpr 0
		.amdhsa_accum_offset 4
		.amdhsa_reserve_vcc 0
		.amdhsa_float_round_mode_32 0
		.amdhsa_float_round_mode_16_64 0
		.amdhsa_float_denorm_mode_32 3
		.amdhsa_float_denorm_mode_16_64 3
		.amdhsa_dx10_clamp 1
		.amdhsa_ieee_mode 1
		.amdhsa_fp16_overflow 0
		.amdhsa_tg_split 0
		.amdhsa_exception_fp_ieee_invalid_op 0
		.amdhsa_exception_fp_denorm_src 0
		.amdhsa_exception_fp_ieee_div_zero 0
		.amdhsa_exception_fp_ieee_overflow 0
		.amdhsa_exception_fp_ieee_underflow 0
		.amdhsa_exception_fp_ieee_inexact 0
		.amdhsa_exception_int_div_zero 0
	.end_amdhsa_kernel
	.section	.text._ZN7rocprim17ROCPRIM_400000_NS6detail17trampoline_kernelINS0_14default_configENS1_25partition_config_selectorILNS1_17partition_subalgoE8ElNS0_10empty_typeEbEEZZNS1_14partition_implILS5_8ELb0ES3_jPlPS6_PKS6_NS0_5tupleIJS9_S6_EEENSD_IJSA_SA_EEENS0_18inequality_wrapperIZN2at6native12_GLOBAL__N_124unique_dim_cuda_templateIhEESt5tupleIJNSH_6TensorESM_SM_EERKSM_lbbbEUlllE0_EEPmJS6_EEE10hipError_tPvRmT3_T4_T5_T6_T7_T9_mT8_P12ihipStream_tbDpT10_ENKUlT_T0_E_clISt17integral_constantIbLb0EES1C_EEDaS17_S18_EUlS17_E_NS1_11comp_targetILNS1_3genE2ELNS1_11target_archE906ELNS1_3gpuE6ELNS1_3repE0EEENS1_30default_config_static_selectorELNS0_4arch9wavefront6targetE1EEEvT1_,"axG",@progbits,_ZN7rocprim17ROCPRIM_400000_NS6detail17trampoline_kernelINS0_14default_configENS1_25partition_config_selectorILNS1_17partition_subalgoE8ElNS0_10empty_typeEbEEZZNS1_14partition_implILS5_8ELb0ES3_jPlPS6_PKS6_NS0_5tupleIJS9_S6_EEENSD_IJSA_SA_EEENS0_18inequality_wrapperIZN2at6native12_GLOBAL__N_124unique_dim_cuda_templateIhEESt5tupleIJNSH_6TensorESM_SM_EERKSM_lbbbEUlllE0_EEPmJS6_EEE10hipError_tPvRmT3_T4_T5_T6_T7_T9_mT8_P12ihipStream_tbDpT10_ENKUlT_T0_E_clISt17integral_constantIbLb0EES1C_EEDaS17_S18_EUlS17_E_NS1_11comp_targetILNS1_3genE2ELNS1_11target_archE906ELNS1_3gpuE6ELNS1_3repE0EEENS1_30default_config_static_selectorELNS0_4arch9wavefront6targetE1EEEvT1_,comdat
.Lfunc_end165:
	.size	_ZN7rocprim17ROCPRIM_400000_NS6detail17trampoline_kernelINS0_14default_configENS1_25partition_config_selectorILNS1_17partition_subalgoE8ElNS0_10empty_typeEbEEZZNS1_14partition_implILS5_8ELb0ES3_jPlPS6_PKS6_NS0_5tupleIJS9_S6_EEENSD_IJSA_SA_EEENS0_18inequality_wrapperIZN2at6native12_GLOBAL__N_124unique_dim_cuda_templateIhEESt5tupleIJNSH_6TensorESM_SM_EERKSM_lbbbEUlllE0_EEPmJS6_EEE10hipError_tPvRmT3_T4_T5_T6_T7_T9_mT8_P12ihipStream_tbDpT10_ENKUlT_T0_E_clISt17integral_constantIbLb0EES1C_EEDaS17_S18_EUlS17_E_NS1_11comp_targetILNS1_3genE2ELNS1_11target_archE906ELNS1_3gpuE6ELNS1_3repE0EEENS1_30default_config_static_selectorELNS0_4arch9wavefront6targetE1EEEvT1_, .Lfunc_end165-_ZN7rocprim17ROCPRIM_400000_NS6detail17trampoline_kernelINS0_14default_configENS1_25partition_config_selectorILNS1_17partition_subalgoE8ElNS0_10empty_typeEbEEZZNS1_14partition_implILS5_8ELb0ES3_jPlPS6_PKS6_NS0_5tupleIJS9_S6_EEENSD_IJSA_SA_EEENS0_18inequality_wrapperIZN2at6native12_GLOBAL__N_124unique_dim_cuda_templateIhEESt5tupleIJNSH_6TensorESM_SM_EERKSM_lbbbEUlllE0_EEPmJS6_EEE10hipError_tPvRmT3_T4_T5_T6_T7_T9_mT8_P12ihipStream_tbDpT10_ENKUlT_T0_E_clISt17integral_constantIbLb0EES1C_EEDaS17_S18_EUlS17_E_NS1_11comp_targetILNS1_3genE2ELNS1_11target_archE906ELNS1_3gpuE6ELNS1_3repE0EEENS1_30default_config_static_selectorELNS0_4arch9wavefront6targetE1EEEvT1_
                                        ; -- End function
	.set _ZN7rocprim17ROCPRIM_400000_NS6detail17trampoline_kernelINS0_14default_configENS1_25partition_config_selectorILNS1_17partition_subalgoE8ElNS0_10empty_typeEbEEZZNS1_14partition_implILS5_8ELb0ES3_jPlPS6_PKS6_NS0_5tupleIJS9_S6_EEENSD_IJSA_SA_EEENS0_18inequality_wrapperIZN2at6native12_GLOBAL__N_124unique_dim_cuda_templateIhEESt5tupleIJNSH_6TensorESM_SM_EERKSM_lbbbEUlllE0_EEPmJS6_EEE10hipError_tPvRmT3_T4_T5_T6_T7_T9_mT8_P12ihipStream_tbDpT10_ENKUlT_T0_E_clISt17integral_constantIbLb0EES1C_EEDaS17_S18_EUlS17_E_NS1_11comp_targetILNS1_3genE2ELNS1_11target_archE906ELNS1_3gpuE6ELNS1_3repE0EEENS1_30default_config_static_selectorELNS0_4arch9wavefront6targetE1EEEvT1_.num_vgpr, 0
	.set _ZN7rocprim17ROCPRIM_400000_NS6detail17trampoline_kernelINS0_14default_configENS1_25partition_config_selectorILNS1_17partition_subalgoE8ElNS0_10empty_typeEbEEZZNS1_14partition_implILS5_8ELb0ES3_jPlPS6_PKS6_NS0_5tupleIJS9_S6_EEENSD_IJSA_SA_EEENS0_18inequality_wrapperIZN2at6native12_GLOBAL__N_124unique_dim_cuda_templateIhEESt5tupleIJNSH_6TensorESM_SM_EERKSM_lbbbEUlllE0_EEPmJS6_EEE10hipError_tPvRmT3_T4_T5_T6_T7_T9_mT8_P12ihipStream_tbDpT10_ENKUlT_T0_E_clISt17integral_constantIbLb0EES1C_EEDaS17_S18_EUlS17_E_NS1_11comp_targetILNS1_3genE2ELNS1_11target_archE906ELNS1_3gpuE6ELNS1_3repE0EEENS1_30default_config_static_selectorELNS0_4arch9wavefront6targetE1EEEvT1_.num_agpr, 0
	.set _ZN7rocprim17ROCPRIM_400000_NS6detail17trampoline_kernelINS0_14default_configENS1_25partition_config_selectorILNS1_17partition_subalgoE8ElNS0_10empty_typeEbEEZZNS1_14partition_implILS5_8ELb0ES3_jPlPS6_PKS6_NS0_5tupleIJS9_S6_EEENSD_IJSA_SA_EEENS0_18inequality_wrapperIZN2at6native12_GLOBAL__N_124unique_dim_cuda_templateIhEESt5tupleIJNSH_6TensorESM_SM_EERKSM_lbbbEUlllE0_EEPmJS6_EEE10hipError_tPvRmT3_T4_T5_T6_T7_T9_mT8_P12ihipStream_tbDpT10_ENKUlT_T0_E_clISt17integral_constantIbLb0EES1C_EEDaS17_S18_EUlS17_E_NS1_11comp_targetILNS1_3genE2ELNS1_11target_archE906ELNS1_3gpuE6ELNS1_3repE0EEENS1_30default_config_static_selectorELNS0_4arch9wavefront6targetE1EEEvT1_.numbered_sgpr, 0
	.set _ZN7rocprim17ROCPRIM_400000_NS6detail17trampoline_kernelINS0_14default_configENS1_25partition_config_selectorILNS1_17partition_subalgoE8ElNS0_10empty_typeEbEEZZNS1_14partition_implILS5_8ELb0ES3_jPlPS6_PKS6_NS0_5tupleIJS9_S6_EEENSD_IJSA_SA_EEENS0_18inequality_wrapperIZN2at6native12_GLOBAL__N_124unique_dim_cuda_templateIhEESt5tupleIJNSH_6TensorESM_SM_EERKSM_lbbbEUlllE0_EEPmJS6_EEE10hipError_tPvRmT3_T4_T5_T6_T7_T9_mT8_P12ihipStream_tbDpT10_ENKUlT_T0_E_clISt17integral_constantIbLb0EES1C_EEDaS17_S18_EUlS17_E_NS1_11comp_targetILNS1_3genE2ELNS1_11target_archE906ELNS1_3gpuE6ELNS1_3repE0EEENS1_30default_config_static_selectorELNS0_4arch9wavefront6targetE1EEEvT1_.num_named_barrier, 0
	.set _ZN7rocprim17ROCPRIM_400000_NS6detail17trampoline_kernelINS0_14default_configENS1_25partition_config_selectorILNS1_17partition_subalgoE8ElNS0_10empty_typeEbEEZZNS1_14partition_implILS5_8ELb0ES3_jPlPS6_PKS6_NS0_5tupleIJS9_S6_EEENSD_IJSA_SA_EEENS0_18inequality_wrapperIZN2at6native12_GLOBAL__N_124unique_dim_cuda_templateIhEESt5tupleIJNSH_6TensorESM_SM_EERKSM_lbbbEUlllE0_EEPmJS6_EEE10hipError_tPvRmT3_T4_T5_T6_T7_T9_mT8_P12ihipStream_tbDpT10_ENKUlT_T0_E_clISt17integral_constantIbLb0EES1C_EEDaS17_S18_EUlS17_E_NS1_11comp_targetILNS1_3genE2ELNS1_11target_archE906ELNS1_3gpuE6ELNS1_3repE0EEENS1_30default_config_static_selectorELNS0_4arch9wavefront6targetE1EEEvT1_.private_seg_size, 0
	.set _ZN7rocprim17ROCPRIM_400000_NS6detail17trampoline_kernelINS0_14default_configENS1_25partition_config_selectorILNS1_17partition_subalgoE8ElNS0_10empty_typeEbEEZZNS1_14partition_implILS5_8ELb0ES3_jPlPS6_PKS6_NS0_5tupleIJS9_S6_EEENSD_IJSA_SA_EEENS0_18inequality_wrapperIZN2at6native12_GLOBAL__N_124unique_dim_cuda_templateIhEESt5tupleIJNSH_6TensorESM_SM_EERKSM_lbbbEUlllE0_EEPmJS6_EEE10hipError_tPvRmT3_T4_T5_T6_T7_T9_mT8_P12ihipStream_tbDpT10_ENKUlT_T0_E_clISt17integral_constantIbLb0EES1C_EEDaS17_S18_EUlS17_E_NS1_11comp_targetILNS1_3genE2ELNS1_11target_archE906ELNS1_3gpuE6ELNS1_3repE0EEENS1_30default_config_static_selectorELNS0_4arch9wavefront6targetE1EEEvT1_.uses_vcc, 0
	.set _ZN7rocprim17ROCPRIM_400000_NS6detail17trampoline_kernelINS0_14default_configENS1_25partition_config_selectorILNS1_17partition_subalgoE8ElNS0_10empty_typeEbEEZZNS1_14partition_implILS5_8ELb0ES3_jPlPS6_PKS6_NS0_5tupleIJS9_S6_EEENSD_IJSA_SA_EEENS0_18inequality_wrapperIZN2at6native12_GLOBAL__N_124unique_dim_cuda_templateIhEESt5tupleIJNSH_6TensorESM_SM_EERKSM_lbbbEUlllE0_EEPmJS6_EEE10hipError_tPvRmT3_T4_T5_T6_T7_T9_mT8_P12ihipStream_tbDpT10_ENKUlT_T0_E_clISt17integral_constantIbLb0EES1C_EEDaS17_S18_EUlS17_E_NS1_11comp_targetILNS1_3genE2ELNS1_11target_archE906ELNS1_3gpuE6ELNS1_3repE0EEENS1_30default_config_static_selectorELNS0_4arch9wavefront6targetE1EEEvT1_.uses_flat_scratch, 0
	.set _ZN7rocprim17ROCPRIM_400000_NS6detail17trampoline_kernelINS0_14default_configENS1_25partition_config_selectorILNS1_17partition_subalgoE8ElNS0_10empty_typeEbEEZZNS1_14partition_implILS5_8ELb0ES3_jPlPS6_PKS6_NS0_5tupleIJS9_S6_EEENSD_IJSA_SA_EEENS0_18inequality_wrapperIZN2at6native12_GLOBAL__N_124unique_dim_cuda_templateIhEESt5tupleIJNSH_6TensorESM_SM_EERKSM_lbbbEUlllE0_EEPmJS6_EEE10hipError_tPvRmT3_T4_T5_T6_T7_T9_mT8_P12ihipStream_tbDpT10_ENKUlT_T0_E_clISt17integral_constantIbLb0EES1C_EEDaS17_S18_EUlS17_E_NS1_11comp_targetILNS1_3genE2ELNS1_11target_archE906ELNS1_3gpuE6ELNS1_3repE0EEENS1_30default_config_static_selectorELNS0_4arch9wavefront6targetE1EEEvT1_.has_dyn_sized_stack, 0
	.set _ZN7rocprim17ROCPRIM_400000_NS6detail17trampoline_kernelINS0_14default_configENS1_25partition_config_selectorILNS1_17partition_subalgoE8ElNS0_10empty_typeEbEEZZNS1_14partition_implILS5_8ELb0ES3_jPlPS6_PKS6_NS0_5tupleIJS9_S6_EEENSD_IJSA_SA_EEENS0_18inequality_wrapperIZN2at6native12_GLOBAL__N_124unique_dim_cuda_templateIhEESt5tupleIJNSH_6TensorESM_SM_EERKSM_lbbbEUlllE0_EEPmJS6_EEE10hipError_tPvRmT3_T4_T5_T6_T7_T9_mT8_P12ihipStream_tbDpT10_ENKUlT_T0_E_clISt17integral_constantIbLb0EES1C_EEDaS17_S18_EUlS17_E_NS1_11comp_targetILNS1_3genE2ELNS1_11target_archE906ELNS1_3gpuE6ELNS1_3repE0EEENS1_30default_config_static_selectorELNS0_4arch9wavefront6targetE1EEEvT1_.has_recursion, 0
	.set _ZN7rocprim17ROCPRIM_400000_NS6detail17trampoline_kernelINS0_14default_configENS1_25partition_config_selectorILNS1_17partition_subalgoE8ElNS0_10empty_typeEbEEZZNS1_14partition_implILS5_8ELb0ES3_jPlPS6_PKS6_NS0_5tupleIJS9_S6_EEENSD_IJSA_SA_EEENS0_18inequality_wrapperIZN2at6native12_GLOBAL__N_124unique_dim_cuda_templateIhEESt5tupleIJNSH_6TensorESM_SM_EERKSM_lbbbEUlllE0_EEPmJS6_EEE10hipError_tPvRmT3_T4_T5_T6_T7_T9_mT8_P12ihipStream_tbDpT10_ENKUlT_T0_E_clISt17integral_constantIbLb0EES1C_EEDaS17_S18_EUlS17_E_NS1_11comp_targetILNS1_3genE2ELNS1_11target_archE906ELNS1_3gpuE6ELNS1_3repE0EEENS1_30default_config_static_selectorELNS0_4arch9wavefront6targetE1EEEvT1_.has_indirect_call, 0
	.section	.AMDGPU.csdata,"",@progbits
; Kernel info:
; codeLenInByte = 0
; TotalNumSgprs: 6
; NumVgprs: 0
; NumAgprs: 0
; TotalNumVgprs: 0
; ScratchSize: 0
; MemoryBound: 0
; FloatMode: 240
; IeeeMode: 1
; LDSByteSize: 0 bytes/workgroup (compile time only)
; SGPRBlocks: 0
; VGPRBlocks: 0
; NumSGPRsForWavesPerEU: 6
; NumVGPRsForWavesPerEU: 1
; AccumOffset: 4
; Occupancy: 8
; WaveLimiterHint : 0
; COMPUTE_PGM_RSRC2:SCRATCH_EN: 0
; COMPUTE_PGM_RSRC2:USER_SGPR: 2
; COMPUTE_PGM_RSRC2:TRAP_HANDLER: 0
; COMPUTE_PGM_RSRC2:TGID_X_EN: 1
; COMPUTE_PGM_RSRC2:TGID_Y_EN: 0
; COMPUTE_PGM_RSRC2:TGID_Z_EN: 0
; COMPUTE_PGM_RSRC2:TIDIG_COMP_CNT: 0
; COMPUTE_PGM_RSRC3_GFX90A:ACCUM_OFFSET: 0
; COMPUTE_PGM_RSRC3_GFX90A:TG_SPLIT: 0
	.section	.text._ZN7rocprim17ROCPRIM_400000_NS6detail17trampoline_kernelINS0_14default_configENS1_25partition_config_selectorILNS1_17partition_subalgoE8ElNS0_10empty_typeEbEEZZNS1_14partition_implILS5_8ELb0ES3_jPlPS6_PKS6_NS0_5tupleIJS9_S6_EEENSD_IJSA_SA_EEENS0_18inequality_wrapperIZN2at6native12_GLOBAL__N_124unique_dim_cuda_templateIhEESt5tupleIJNSH_6TensorESM_SM_EERKSM_lbbbEUlllE0_EEPmJS6_EEE10hipError_tPvRmT3_T4_T5_T6_T7_T9_mT8_P12ihipStream_tbDpT10_ENKUlT_T0_E_clISt17integral_constantIbLb0EES1C_EEDaS17_S18_EUlS17_E_NS1_11comp_targetILNS1_3genE10ELNS1_11target_archE1200ELNS1_3gpuE4ELNS1_3repE0EEENS1_30default_config_static_selectorELNS0_4arch9wavefront6targetE1EEEvT1_,"axG",@progbits,_ZN7rocprim17ROCPRIM_400000_NS6detail17trampoline_kernelINS0_14default_configENS1_25partition_config_selectorILNS1_17partition_subalgoE8ElNS0_10empty_typeEbEEZZNS1_14partition_implILS5_8ELb0ES3_jPlPS6_PKS6_NS0_5tupleIJS9_S6_EEENSD_IJSA_SA_EEENS0_18inequality_wrapperIZN2at6native12_GLOBAL__N_124unique_dim_cuda_templateIhEESt5tupleIJNSH_6TensorESM_SM_EERKSM_lbbbEUlllE0_EEPmJS6_EEE10hipError_tPvRmT3_T4_T5_T6_T7_T9_mT8_P12ihipStream_tbDpT10_ENKUlT_T0_E_clISt17integral_constantIbLb0EES1C_EEDaS17_S18_EUlS17_E_NS1_11comp_targetILNS1_3genE10ELNS1_11target_archE1200ELNS1_3gpuE4ELNS1_3repE0EEENS1_30default_config_static_selectorELNS0_4arch9wavefront6targetE1EEEvT1_,comdat
	.globl	_ZN7rocprim17ROCPRIM_400000_NS6detail17trampoline_kernelINS0_14default_configENS1_25partition_config_selectorILNS1_17partition_subalgoE8ElNS0_10empty_typeEbEEZZNS1_14partition_implILS5_8ELb0ES3_jPlPS6_PKS6_NS0_5tupleIJS9_S6_EEENSD_IJSA_SA_EEENS0_18inequality_wrapperIZN2at6native12_GLOBAL__N_124unique_dim_cuda_templateIhEESt5tupleIJNSH_6TensorESM_SM_EERKSM_lbbbEUlllE0_EEPmJS6_EEE10hipError_tPvRmT3_T4_T5_T6_T7_T9_mT8_P12ihipStream_tbDpT10_ENKUlT_T0_E_clISt17integral_constantIbLb0EES1C_EEDaS17_S18_EUlS17_E_NS1_11comp_targetILNS1_3genE10ELNS1_11target_archE1200ELNS1_3gpuE4ELNS1_3repE0EEENS1_30default_config_static_selectorELNS0_4arch9wavefront6targetE1EEEvT1_ ; -- Begin function _ZN7rocprim17ROCPRIM_400000_NS6detail17trampoline_kernelINS0_14default_configENS1_25partition_config_selectorILNS1_17partition_subalgoE8ElNS0_10empty_typeEbEEZZNS1_14partition_implILS5_8ELb0ES3_jPlPS6_PKS6_NS0_5tupleIJS9_S6_EEENSD_IJSA_SA_EEENS0_18inequality_wrapperIZN2at6native12_GLOBAL__N_124unique_dim_cuda_templateIhEESt5tupleIJNSH_6TensorESM_SM_EERKSM_lbbbEUlllE0_EEPmJS6_EEE10hipError_tPvRmT3_T4_T5_T6_T7_T9_mT8_P12ihipStream_tbDpT10_ENKUlT_T0_E_clISt17integral_constantIbLb0EES1C_EEDaS17_S18_EUlS17_E_NS1_11comp_targetILNS1_3genE10ELNS1_11target_archE1200ELNS1_3gpuE4ELNS1_3repE0EEENS1_30default_config_static_selectorELNS0_4arch9wavefront6targetE1EEEvT1_
	.p2align	8
	.type	_ZN7rocprim17ROCPRIM_400000_NS6detail17trampoline_kernelINS0_14default_configENS1_25partition_config_selectorILNS1_17partition_subalgoE8ElNS0_10empty_typeEbEEZZNS1_14partition_implILS5_8ELb0ES3_jPlPS6_PKS6_NS0_5tupleIJS9_S6_EEENSD_IJSA_SA_EEENS0_18inequality_wrapperIZN2at6native12_GLOBAL__N_124unique_dim_cuda_templateIhEESt5tupleIJNSH_6TensorESM_SM_EERKSM_lbbbEUlllE0_EEPmJS6_EEE10hipError_tPvRmT3_T4_T5_T6_T7_T9_mT8_P12ihipStream_tbDpT10_ENKUlT_T0_E_clISt17integral_constantIbLb0EES1C_EEDaS17_S18_EUlS17_E_NS1_11comp_targetILNS1_3genE10ELNS1_11target_archE1200ELNS1_3gpuE4ELNS1_3repE0EEENS1_30default_config_static_selectorELNS0_4arch9wavefront6targetE1EEEvT1_,@function
_ZN7rocprim17ROCPRIM_400000_NS6detail17trampoline_kernelINS0_14default_configENS1_25partition_config_selectorILNS1_17partition_subalgoE8ElNS0_10empty_typeEbEEZZNS1_14partition_implILS5_8ELb0ES3_jPlPS6_PKS6_NS0_5tupleIJS9_S6_EEENSD_IJSA_SA_EEENS0_18inequality_wrapperIZN2at6native12_GLOBAL__N_124unique_dim_cuda_templateIhEESt5tupleIJNSH_6TensorESM_SM_EERKSM_lbbbEUlllE0_EEPmJS6_EEE10hipError_tPvRmT3_T4_T5_T6_T7_T9_mT8_P12ihipStream_tbDpT10_ENKUlT_T0_E_clISt17integral_constantIbLb0EES1C_EEDaS17_S18_EUlS17_E_NS1_11comp_targetILNS1_3genE10ELNS1_11target_archE1200ELNS1_3gpuE4ELNS1_3repE0EEENS1_30default_config_static_selectorELNS0_4arch9wavefront6targetE1EEEvT1_: ; @_ZN7rocprim17ROCPRIM_400000_NS6detail17trampoline_kernelINS0_14default_configENS1_25partition_config_selectorILNS1_17partition_subalgoE8ElNS0_10empty_typeEbEEZZNS1_14partition_implILS5_8ELb0ES3_jPlPS6_PKS6_NS0_5tupleIJS9_S6_EEENSD_IJSA_SA_EEENS0_18inequality_wrapperIZN2at6native12_GLOBAL__N_124unique_dim_cuda_templateIhEESt5tupleIJNSH_6TensorESM_SM_EERKSM_lbbbEUlllE0_EEPmJS6_EEE10hipError_tPvRmT3_T4_T5_T6_T7_T9_mT8_P12ihipStream_tbDpT10_ENKUlT_T0_E_clISt17integral_constantIbLb0EES1C_EEDaS17_S18_EUlS17_E_NS1_11comp_targetILNS1_3genE10ELNS1_11target_archE1200ELNS1_3gpuE4ELNS1_3repE0EEENS1_30default_config_static_selectorELNS0_4arch9wavefront6targetE1EEEvT1_
; %bb.0:
	.section	.rodata,"a",@progbits
	.p2align	6, 0x0
	.amdhsa_kernel _ZN7rocprim17ROCPRIM_400000_NS6detail17trampoline_kernelINS0_14default_configENS1_25partition_config_selectorILNS1_17partition_subalgoE8ElNS0_10empty_typeEbEEZZNS1_14partition_implILS5_8ELb0ES3_jPlPS6_PKS6_NS0_5tupleIJS9_S6_EEENSD_IJSA_SA_EEENS0_18inequality_wrapperIZN2at6native12_GLOBAL__N_124unique_dim_cuda_templateIhEESt5tupleIJNSH_6TensorESM_SM_EERKSM_lbbbEUlllE0_EEPmJS6_EEE10hipError_tPvRmT3_T4_T5_T6_T7_T9_mT8_P12ihipStream_tbDpT10_ENKUlT_T0_E_clISt17integral_constantIbLb0EES1C_EEDaS17_S18_EUlS17_E_NS1_11comp_targetILNS1_3genE10ELNS1_11target_archE1200ELNS1_3gpuE4ELNS1_3repE0EEENS1_30default_config_static_selectorELNS0_4arch9wavefront6targetE1EEEvT1_
		.amdhsa_group_segment_fixed_size 0
		.amdhsa_private_segment_fixed_size 0
		.amdhsa_kernarg_size 120
		.amdhsa_user_sgpr_count 2
		.amdhsa_user_sgpr_dispatch_ptr 0
		.amdhsa_user_sgpr_queue_ptr 0
		.amdhsa_user_sgpr_kernarg_segment_ptr 1
		.amdhsa_user_sgpr_dispatch_id 0
		.amdhsa_user_sgpr_kernarg_preload_length 0
		.amdhsa_user_sgpr_kernarg_preload_offset 0
		.amdhsa_user_sgpr_private_segment_size 0
		.amdhsa_uses_dynamic_stack 0
		.amdhsa_enable_private_segment 0
		.amdhsa_system_sgpr_workgroup_id_x 1
		.amdhsa_system_sgpr_workgroup_id_y 0
		.amdhsa_system_sgpr_workgroup_id_z 0
		.amdhsa_system_sgpr_workgroup_info 0
		.amdhsa_system_vgpr_workitem_id 0
		.amdhsa_next_free_vgpr 1
		.amdhsa_next_free_sgpr 0
		.amdhsa_accum_offset 4
		.amdhsa_reserve_vcc 0
		.amdhsa_float_round_mode_32 0
		.amdhsa_float_round_mode_16_64 0
		.amdhsa_float_denorm_mode_32 3
		.amdhsa_float_denorm_mode_16_64 3
		.amdhsa_dx10_clamp 1
		.amdhsa_ieee_mode 1
		.amdhsa_fp16_overflow 0
		.amdhsa_tg_split 0
		.amdhsa_exception_fp_ieee_invalid_op 0
		.amdhsa_exception_fp_denorm_src 0
		.amdhsa_exception_fp_ieee_div_zero 0
		.amdhsa_exception_fp_ieee_overflow 0
		.amdhsa_exception_fp_ieee_underflow 0
		.amdhsa_exception_fp_ieee_inexact 0
		.amdhsa_exception_int_div_zero 0
	.end_amdhsa_kernel
	.section	.text._ZN7rocprim17ROCPRIM_400000_NS6detail17trampoline_kernelINS0_14default_configENS1_25partition_config_selectorILNS1_17partition_subalgoE8ElNS0_10empty_typeEbEEZZNS1_14partition_implILS5_8ELb0ES3_jPlPS6_PKS6_NS0_5tupleIJS9_S6_EEENSD_IJSA_SA_EEENS0_18inequality_wrapperIZN2at6native12_GLOBAL__N_124unique_dim_cuda_templateIhEESt5tupleIJNSH_6TensorESM_SM_EERKSM_lbbbEUlllE0_EEPmJS6_EEE10hipError_tPvRmT3_T4_T5_T6_T7_T9_mT8_P12ihipStream_tbDpT10_ENKUlT_T0_E_clISt17integral_constantIbLb0EES1C_EEDaS17_S18_EUlS17_E_NS1_11comp_targetILNS1_3genE10ELNS1_11target_archE1200ELNS1_3gpuE4ELNS1_3repE0EEENS1_30default_config_static_selectorELNS0_4arch9wavefront6targetE1EEEvT1_,"axG",@progbits,_ZN7rocprim17ROCPRIM_400000_NS6detail17trampoline_kernelINS0_14default_configENS1_25partition_config_selectorILNS1_17partition_subalgoE8ElNS0_10empty_typeEbEEZZNS1_14partition_implILS5_8ELb0ES3_jPlPS6_PKS6_NS0_5tupleIJS9_S6_EEENSD_IJSA_SA_EEENS0_18inequality_wrapperIZN2at6native12_GLOBAL__N_124unique_dim_cuda_templateIhEESt5tupleIJNSH_6TensorESM_SM_EERKSM_lbbbEUlllE0_EEPmJS6_EEE10hipError_tPvRmT3_T4_T5_T6_T7_T9_mT8_P12ihipStream_tbDpT10_ENKUlT_T0_E_clISt17integral_constantIbLb0EES1C_EEDaS17_S18_EUlS17_E_NS1_11comp_targetILNS1_3genE10ELNS1_11target_archE1200ELNS1_3gpuE4ELNS1_3repE0EEENS1_30default_config_static_selectorELNS0_4arch9wavefront6targetE1EEEvT1_,comdat
.Lfunc_end166:
	.size	_ZN7rocprim17ROCPRIM_400000_NS6detail17trampoline_kernelINS0_14default_configENS1_25partition_config_selectorILNS1_17partition_subalgoE8ElNS0_10empty_typeEbEEZZNS1_14partition_implILS5_8ELb0ES3_jPlPS6_PKS6_NS0_5tupleIJS9_S6_EEENSD_IJSA_SA_EEENS0_18inequality_wrapperIZN2at6native12_GLOBAL__N_124unique_dim_cuda_templateIhEESt5tupleIJNSH_6TensorESM_SM_EERKSM_lbbbEUlllE0_EEPmJS6_EEE10hipError_tPvRmT3_T4_T5_T6_T7_T9_mT8_P12ihipStream_tbDpT10_ENKUlT_T0_E_clISt17integral_constantIbLb0EES1C_EEDaS17_S18_EUlS17_E_NS1_11comp_targetILNS1_3genE10ELNS1_11target_archE1200ELNS1_3gpuE4ELNS1_3repE0EEENS1_30default_config_static_selectorELNS0_4arch9wavefront6targetE1EEEvT1_, .Lfunc_end166-_ZN7rocprim17ROCPRIM_400000_NS6detail17trampoline_kernelINS0_14default_configENS1_25partition_config_selectorILNS1_17partition_subalgoE8ElNS0_10empty_typeEbEEZZNS1_14partition_implILS5_8ELb0ES3_jPlPS6_PKS6_NS0_5tupleIJS9_S6_EEENSD_IJSA_SA_EEENS0_18inequality_wrapperIZN2at6native12_GLOBAL__N_124unique_dim_cuda_templateIhEESt5tupleIJNSH_6TensorESM_SM_EERKSM_lbbbEUlllE0_EEPmJS6_EEE10hipError_tPvRmT3_T4_T5_T6_T7_T9_mT8_P12ihipStream_tbDpT10_ENKUlT_T0_E_clISt17integral_constantIbLb0EES1C_EEDaS17_S18_EUlS17_E_NS1_11comp_targetILNS1_3genE10ELNS1_11target_archE1200ELNS1_3gpuE4ELNS1_3repE0EEENS1_30default_config_static_selectorELNS0_4arch9wavefront6targetE1EEEvT1_
                                        ; -- End function
	.set _ZN7rocprim17ROCPRIM_400000_NS6detail17trampoline_kernelINS0_14default_configENS1_25partition_config_selectorILNS1_17partition_subalgoE8ElNS0_10empty_typeEbEEZZNS1_14partition_implILS5_8ELb0ES3_jPlPS6_PKS6_NS0_5tupleIJS9_S6_EEENSD_IJSA_SA_EEENS0_18inequality_wrapperIZN2at6native12_GLOBAL__N_124unique_dim_cuda_templateIhEESt5tupleIJNSH_6TensorESM_SM_EERKSM_lbbbEUlllE0_EEPmJS6_EEE10hipError_tPvRmT3_T4_T5_T6_T7_T9_mT8_P12ihipStream_tbDpT10_ENKUlT_T0_E_clISt17integral_constantIbLb0EES1C_EEDaS17_S18_EUlS17_E_NS1_11comp_targetILNS1_3genE10ELNS1_11target_archE1200ELNS1_3gpuE4ELNS1_3repE0EEENS1_30default_config_static_selectorELNS0_4arch9wavefront6targetE1EEEvT1_.num_vgpr, 0
	.set _ZN7rocprim17ROCPRIM_400000_NS6detail17trampoline_kernelINS0_14default_configENS1_25partition_config_selectorILNS1_17partition_subalgoE8ElNS0_10empty_typeEbEEZZNS1_14partition_implILS5_8ELb0ES3_jPlPS6_PKS6_NS0_5tupleIJS9_S6_EEENSD_IJSA_SA_EEENS0_18inequality_wrapperIZN2at6native12_GLOBAL__N_124unique_dim_cuda_templateIhEESt5tupleIJNSH_6TensorESM_SM_EERKSM_lbbbEUlllE0_EEPmJS6_EEE10hipError_tPvRmT3_T4_T5_T6_T7_T9_mT8_P12ihipStream_tbDpT10_ENKUlT_T0_E_clISt17integral_constantIbLb0EES1C_EEDaS17_S18_EUlS17_E_NS1_11comp_targetILNS1_3genE10ELNS1_11target_archE1200ELNS1_3gpuE4ELNS1_3repE0EEENS1_30default_config_static_selectorELNS0_4arch9wavefront6targetE1EEEvT1_.num_agpr, 0
	.set _ZN7rocprim17ROCPRIM_400000_NS6detail17trampoline_kernelINS0_14default_configENS1_25partition_config_selectorILNS1_17partition_subalgoE8ElNS0_10empty_typeEbEEZZNS1_14partition_implILS5_8ELb0ES3_jPlPS6_PKS6_NS0_5tupleIJS9_S6_EEENSD_IJSA_SA_EEENS0_18inequality_wrapperIZN2at6native12_GLOBAL__N_124unique_dim_cuda_templateIhEESt5tupleIJNSH_6TensorESM_SM_EERKSM_lbbbEUlllE0_EEPmJS6_EEE10hipError_tPvRmT3_T4_T5_T6_T7_T9_mT8_P12ihipStream_tbDpT10_ENKUlT_T0_E_clISt17integral_constantIbLb0EES1C_EEDaS17_S18_EUlS17_E_NS1_11comp_targetILNS1_3genE10ELNS1_11target_archE1200ELNS1_3gpuE4ELNS1_3repE0EEENS1_30default_config_static_selectorELNS0_4arch9wavefront6targetE1EEEvT1_.numbered_sgpr, 0
	.set _ZN7rocprim17ROCPRIM_400000_NS6detail17trampoline_kernelINS0_14default_configENS1_25partition_config_selectorILNS1_17partition_subalgoE8ElNS0_10empty_typeEbEEZZNS1_14partition_implILS5_8ELb0ES3_jPlPS6_PKS6_NS0_5tupleIJS9_S6_EEENSD_IJSA_SA_EEENS0_18inequality_wrapperIZN2at6native12_GLOBAL__N_124unique_dim_cuda_templateIhEESt5tupleIJNSH_6TensorESM_SM_EERKSM_lbbbEUlllE0_EEPmJS6_EEE10hipError_tPvRmT3_T4_T5_T6_T7_T9_mT8_P12ihipStream_tbDpT10_ENKUlT_T0_E_clISt17integral_constantIbLb0EES1C_EEDaS17_S18_EUlS17_E_NS1_11comp_targetILNS1_3genE10ELNS1_11target_archE1200ELNS1_3gpuE4ELNS1_3repE0EEENS1_30default_config_static_selectorELNS0_4arch9wavefront6targetE1EEEvT1_.num_named_barrier, 0
	.set _ZN7rocprim17ROCPRIM_400000_NS6detail17trampoline_kernelINS0_14default_configENS1_25partition_config_selectorILNS1_17partition_subalgoE8ElNS0_10empty_typeEbEEZZNS1_14partition_implILS5_8ELb0ES3_jPlPS6_PKS6_NS0_5tupleIJS9_S6_EEENSD_IJSA_SA_EEENS0_18inequality_wrapperIZN2at6native12_GLOBAL__N_124unique_dim_cuda_templateIhEESt5tupleIJNSH_6TensorESM_SM_EERKSM_lbbbEUlllE0_EEPmJS6_EEE10hipError_tPvRmT3_T4_T5_T6_T7_T9_mT8_P12ihipStream_tbDpT10_ENKUlT_T0_E_clISt17integral_constantIbLb0EES1C_EEDaS17_S18_EUlS17_E_NS1_11comp_targetILNS1_3genE10ELNS1_11target_archE1200ELNS1_3gpuE4ELNS1_3repE0EEENS1_30default_config_static_selectorELNS0_4arch9wavefront6targetE1EEEvT1_.private_seg_size, 0
	.set _ZN7rocprim17ROCPRIM_400000_NS6detail17trampoline_kernelINS0_14default_configENS1_25partition_config_selectorILNS1_17partition_subalgoE8ElNS0_10empty_typeEbEEZZNS1_14partition_implILS5_8ELb0ES3_jPlPS6_PKS6_NS0_5tupleIJS9_S6_EEENSD_IJSA_SA_EEENS0_18inequality_wrapperIZN2at6native12_GLOBAL__N_124unique_dim_cuda_templateIhEESt5tupleIJNSH_6TensorESM_SM_EERKSM_lbbbEUlllE0_EEPmJS6_EEE10hipError_tPvRmT3_T4_T5_T6_T7_T9_mT8_P12ihipStream_tbDpT10_ENKUlT_T0_E_clISt17integral_constantIbLb0EES1C_EEDaS17_S18_EUlS17_E_NS1_11comp_targetILNS1_3genE10ELNS1_11target_archE1200ELNS1_3gpuE4ELNS1_3repE0EEENS1_30default_config_static_selectorELNS0_4arch9wavefront6targetE1EEEvT1_.uses_vcc, 0
	.set _ZN7rocprim17ROCPRIM_400000_NS6detail17trampoline_kernelINS0_14default_configENS1_25partition_config_selectorILNS1_17partition_subalgoE8ElNS0_10empty_typeEbEEZZNS1_14partition_implILS5_8ELb0ES3_jPlPS6_PKS6_NS0_5tupleIJS9_S6_EEENSD_IJSA_SA_EEENS0_18inequality_wrapperIZN2at6native12_GLOBAL__N_124unique_dim_cuda_templateIhEESt5tupleIJNSH_6TensorESM_SM_EERKSM_lbbbEUlllE0_EEPmJS6_EEE10hipError_tPvRmT3_T4_T5_T6_T7_T9_mT8_P12ihipStream_tbDpT10_ENKUlT_T0_E_clISt17integral_constantIbLb0EES1C_EEDaS17_S18_EUlS17_E_NS1_11comp_targetILNS1_3genE10ELNS1_11target_archE1200ELNS1_3gpuE4ELNS1_3repE0EEENS1_30default_config_static_selectorELNS0_4arch9wavefront6targetE1EEEvT1_.uses_flat_scratch, 0
	.set _ZN7rocprim17ROCPRIM_400000_NS6detail17trampoline_kernelINS0_14default_configENS1_25partition_config_selectorILNS1_17partition_subalgoE8ElNS0_10empty_typeEbEEZZNS1_14partition_implILS5_8ELb0ES3_jPlPS6_PKS6_NS0_5tupleIJS9_S6_EEENSD_IJSA_SA_EEENS0_18inequality_wrapperIZN2at6native12_GLOBAL__N_124unique_dim_cuda_templateIhEESt5tupleIJNSH_6TensorESM_SM_EERKSM_lbbbEUlllE0_EEPmJS6_EEE10hipError_tPvRmT3_T4_T5_T6_T7_T9_mT8_P12ihipStream_tbDpT10_ENKUlT_T0_E_clISt17integral_constantIbLb0EES1C_EEDaS17_S18_EUlS17_E_NS1_11comp_targetILNS1_3genE10ELNS1_11target_archE1200ELNS1_3gpuE4ELNS1_3repE0EEENS1_30default_config_static_selectorELNS0_4arch9wavefront6targetE1EEEvT1_.has_dyn_sized_stack, 0
	.set _ZN7rocprim17ROCPRIM_400000_NS6detail17trampoline_kernelINS0_14default_configENS1_25partition_config_selectorILNS1_17partition_subalgoE8ElNS0_10empty_typeEbEEZZNS1_14partition_implILS5_8ELb0ES3_jPlPS6_PKS6_NS0_5tupleIJS9_S6_EEENSD_IJSA_SA_EEENS0_18inequality_wrapperIZN2at6native12_GLOBAL__N_124unique_dim_cuda_templateIhEESt5tupleIJNSH_6TensorESM_SM_EERKSM_lbbbEUlllE0_EEPmJS6_EEE10hipError_tPvRmT3_T4_T5_T6_T7_T9_mT8_P12ihipStream_tbDpT10_ENKUlT_T0_E_clISt17integral_constantIbLb0EES1C_EEDaS17_S18_EUlS17_E_NS1_11comp_targetILNS1_3genE10ELNS1_11target_archE1200ELNS1_3gpuE4ELNS1_3repE0EEENS1_30default_config_static_selectorELNS0_4arch9wavefront6targetE1EEEvT1_.has_recursion, 0
	.set _ZN7rocprim17ROCPRIM_400000_NS6detail17trampoline_kernelINS0_14default_configENS1_25partition_config_selectorILNS1_17partition_subalgoE8ElNS0_10empty_typeEbEEZZNS1_14partition_implILS5_8ELb0ES3_jPlPS6_PKS6_NS0_5tupleIJS9_S6_EEENSD_IJSA_SA_EEENS0_18inequality_wrapperIZN2at6native12_GLOBAL__N_124unique_dim_cuda_templateIhEESt5tupleIJNSH_6TensorESM_SM_EERKSM_lbbbEUlllE0_EEPmJS6_EEE10hipError_tPvRmT3_T4_T5_T6_T7_T9_mT8_P12ihipStream_tbDpT10_ENKUlT_T0_E_clISt17integral_constantIbLb0EES1C_EEDaS17_S18_EUlS17_E_NS1_11comp_targetILNS1_3genE10ELNS1_11target_archE1200ELNS1_3gpuE4ELNS1_3repE0EEENS1_30default_config_static_selectorELNS0_4arch9wavefront6targetE1EEEvT1_.has_indirect_call, 0
	.section	.AMDGPU.csdata,"",@progbits
; Kernel info:
; codeLenInByte = 0
; TotalNumSgprs: 6
; NumVgprs: 0
; NumAgprs: 0
; TotalNumVgprs: 0
; ScratchSize: 0
; MemoryBound: 0
; FloatMode: 240
; IeeeMode: 1
; LDSByteSize: 0 bytes/workgroup (compile time only)
; SGPRBlocks: 0
; VGPRBlocks: 0
; NumSGPRsForWavesPerEU: 6
; NumVGPRsForWavesPerEU: 1
; AccumOffset: 4
; Occupancy: 8
; WaveLimiterHint : 0
; COMPUTE_PGM_RSRC2:SCRATCH_EN: 0
; COMPUTE_PGM_RSRC2:USER_SGPR: 2
; COMPUTE_PGM_RSRC2:TRAP_HANDLER: 0
; COMPUTE_PGM_RSRC2:TGID_X_EN: 1
; COMPUTE_PGM_RSRC2:TGID_Y_EN: 0
; COMPUTE_PGM_RSRC2:TGID_Z_EN: 0
; COMPUTE_PGM_RSRC2:TIDIG_COMP_CNT: 0
; COMPUTE_PGM_RSRC3_GFX90A:ACCUM_OFFSET: 0
; COMPUTE_PGM_RSRC3_GFX90A:TG_SPLIT: 0
	.section	.text._ZN7rocprim17ROCPRIM_400000_NS6detail17trampoline_kernelINS0_14default_configENS1_25partition_config_selectorILNS1_17partition_subalgoE8ElNS0_10empty_typeEbEEZZNS1_14partition_implILS5_8ELb0ES3_jPlPS6_PKS6_NS0_5tupleIJS9_S6_EEENSD_IJSA_SA_EEENS0_18inequality_wrapperIZN2at6native12_GLOBAL__N_124unique_dim_cuda_templateIhEESt5tupleIJNSH_6TensorESM_SM_EERKSM_lbbbEUlllE0_EEPmJS6_EEE10hipError_tPvRmT3_T4_T5_T6_T7_T9_mT8_P12ihipStream_tbDpT10_ENKUlT_T0_E_clISt17integral_constantIbLb0EES1C_EEDaS17_S18_EUlS17_E_NS1_11comp_targetILNS1_3genE9ELNS1_11target_archE1100ELNS1_3gpuE3ELNS1_3repE0EEENS1_30default_config_static_selectorELNS0_4arch9wavefront6targetE1EEEvT1_,"axG",@progbits,_ZN7rocprim17ROCPRIM_400000_NS6detail17trampoline_kernelINS0_14default_configENS1_25partition_config_selectorILNS1_17partition_subalgoE8ElNS0_10empty_typeEbEEZZNS1_14partition_implILS5_8ELb0ES3_jPlPS6_PKS6_NS0_5tupleIJS9_S6_EEENSD_IJSA_SA_EEENS0_18inequality_wrapperIZN2at6native12_GLOBAL__N_124unique_dim_cuda_templateIhEESt5tupleIJNSH_6TensorESM_SM_EERKSM_lbbbEUlllE0_EEPmJS6_EEE10hipError_tPvRmT3_T4_T5_T6_T7_T9_mT8_P12ihipStream_tbDpT10_ENKUlT_T0_E_clISt17integral_constantIbLb0EES1C_EEDaS17_S18_EUlS17_E_NS1_11comp_targetILNS1_3genE9ELNS1_11target_archE1100ELNS1_3gpuE3ELNS1_3repE0EEENS1_30default_config_static_selectorELNS0_4arch9wavefront6targetE1EEEvT1_,comdat
	.globl	_ZN7rocprim17ROCPRIM_400000_NS6detail17trampoline_kernelINS0_14default_configENS1_25partition_config_selectorILNS1_17partition_subalgoE8ElNS0_10empty_typeEbEEZZNS1_14partition_implILS5_8ELb0ES3_jPlPS6_PKS6_NS0_5tupleIJS9_S6_EEENSD_IJSA_SA_EEENS0_18inequality_wrapperIZN2at6native12_GLOBAL__N_124unique_dim_cuda_templateIhEESt5tupleIJNSH_6TensorESM_SM_EERKSM_lbbbEUlllE0_EEPmJS6_EEE10hipError_tPvRmT3_T4_T5_T6_T7_T9_mT8_P12ihipStream_tbDpT10_ENKUlT_T0_E_clISt17integral_constantIbLb0EES1C_EEDaS17_S18_EUlS17_E_NS1_11comp_targetILNS1_3genE9ELNS1_11target_archE1100ELNS1_3gpuE3ELNS1_3repE0EEENS1_30default_config_static_selectorELNS0_4arch9wavefront6targetE1EEEvT1_ ; -- Begin function _ZN7rocprim17ROCPRIM_400000_NS6detail17trampoline_kernelINS0_14default_configENS1_25partition_config_selectorILNS1_17partition_subalgoE8ElNS0_10empty_typeEbEEZZNS1_14partition_implILS5_8ELb0ES3_jPlPS6_PKS6_NS0_5tupleIJS9_S6_EEENSD_IJSA_SA_EEENS0_18inequality_wrapperIZN2at6native12_GLOBAL__N_124unique_dim_cuda_templateIhEESt5tupleIJNSH_6TensorESM_SM_EERKSM_lbbbEUlllE0_EEPmJS6_EEE10hipError_tPvRmT3_T4_T5_T6_T7_T9_mT8_P12ihipStream_tbDpT10_ENKUlT_T0_E_clISt17integral_constantIbLb0EES1C_EEDaS17_S18_EUlS17_E_NS1_11comp_targetILNS1_3genE9ELNS1_11target_archE1100ELNS1_3gpuE3ELNS1_3repE0EEENS1_30default_config_static_selectorELNS0_4arch9wavefront6targetE1EEEvT1_
	.p2align	8
	.type	_ZN7rocprim17ROCPRIM_400000_NS6detail17trampoline_kernelINS0_14default_configENS1_25partition_config_selectorILNS1_17partition_subalgoE8ElNS0_10empty_typeEbEEZZNS1_14partition_implILS5_8ELb0ES3_jPlPS6_PKS6_NS0_5tupleIJS9_S6_EEENSD_IJSA_SA_EEENS0_18inequality_wrapperIZN2at6native12_GLOBAL__N_124unique_dim_cuda_templateIhEESt5tupleIJNSH_6TensorESM_SM_EERKSM_lbbbEUlllE0_EEPmJS6_EEE10hipError_tPvRmT3_T4_T5_T6_T7_T9_mT8_P12ihipStream_tbDpT10_ENKUlT_T0_E_clISt17integral_constantIbLb0EES1C_EEDaS17_S18_EUlS17_E_NS1_11comp_targetILNS1_3genE9ELNS1_11target_archE1100ELNS1_3gpuE3ELNS1_3repE0EEENS1_30default_config_static_selectorELNS0_4arch9wavefront6targetE1EEEvT1_,@function
_ZN7rocprim17ROCPRIM_400000_NS6detail17trampoline_kernelINS0_14default_configENS1_25partition_config_selectorILNS1_17partition_subalgoE8ElNS0_10empty_typeEbEEZZNS1_14partition_implILS5_8ELb0ES3_jPlPS6_PKS6_NS0_5tupleIJS9_S6_EEENSD_IJSA_SA_EEENS0_18inequality_wrapperIZN2at6native12_GLOBAL__N_124unique_dim_cuda_templateIhEESt5tupleIJNSH_6TensorESM_SM_EERKSM_lbbbEUlllE0_EEPmJS6_EEE10hipError_tPvRmT3_T4_T5_T6_T7_T9_mT8_P12ihipStream_tbDpT10_ENKUlT_T0_E_clISt17integral_constantIbLb0EES1C_EEDaS17_S18_EUlS17_E_NS1_11comp_targetILNS1_3genE9ELNS1_11target_archE1100ELNS1_3gpuE3ELNS1_3repE0EEENS1_30default_config_static_selectorELNS0_4arch9wavefront6targetE1EEEvT1_: ; @_ZN7rocprim17ROCPRIM_400000_NS6detail17trampoline_kernelINS0_14default_configENS1_25partition_config_selectorILNS1_17partition_subalgoE8ElNS0_10empty_typeEbEEZZNS1_14partition_implILS5_8ELb0ES3_jPlPS6_PKS6_NS0_5tupleIJS9_S6_EEENSD_IJSA_SA_EEENS0_18inequality_wrapperIZN2at6native12_GLOBAL__N_124unique_dim_cuda_templateIhEESt5tupleIJNSH_6TensorESM_SM_EERKSM_lbbbEUlllE0_EEPmJS6_EEE10hipError_tPvRmT3_T4_T5_T6_T7_T9_mT8_P12ihipStream_tbDpT10_ENKUlT_T0_E_clISt17integral_constantIbLb0EES1C_EEDaS17_S18_EUlS17_E_NS1_11comp_targetILNS1_3genE9ELNS1_11target_archE1100ELNS1_3gpuE3ELNS1_3repE0EEENS1_30default_config_static_selectorELNS0_4arch9wavefront6targetE1EEEvT1_
; %bb.0:
	.section	.rodata,"a",@progbits
	.p2align	6, 0x0
	.amdhsa_kernel _ZN7rocprim17ROCPRIM_400000_NS6detail17trampoline_kernelINS0_14default_configENS1_25partition_config_selectorILNS1_17partition_subalgoE8ElNS0_10empty_typeEbEEZZNS1_14partition_implILS5_8ELb0ES3_jPlPS6_PKS6_NS0_5tupleIJS9_S6_EEENSD_IJSA_SA_EEENS0_18inequality_wrapperIZN2at6native12_GLOBAL__N_124unique_dim_cuda_templateIhEESt5tupleIJNSH_6TensorESM_SM_EERKSM_lbbbEUlllE0_EEPmJS6_EEE10hipError_tPvRmT3_T4_T5_T6_T7_T9_mT8_P12ihipStream_tbDpT10_ENKUlT_T0_E_clISt17integral_constantIbLb0EES1C_EEDaS17_S18_EUlS17_E_NS1_11comp_targetILNS1_3genE9ELNS1_11target_archE1100ELNS1_3gpuE3ELNS1_3repE0EEENS1_30default_config_static_selectorELNS0_4arch9wavefront6targetE1EEEvT1_
		.amdhsa_group_segment_fixed_size 0
		.amdhsa_private_segment_fixed_size 0
		.amdhsa_kernarg_size 120
		.amdhsa_user_sgpr_count 2
		.amdhsa_user_sgpr_dispatch_ptr 0
		.amdhsa_user_sgpr_queue_ptr 0
		.amdhsa_user_sgpr_kernarg_segment_ptr 1
		.amdhsa_user_sgpr_dispatch_id 0
		.amdhsa_user_sgpr_kernarg_preload_length 0
		.amdhsa_user_sgpr_kernarg_preload_offset 0
		.amdhsa_user_sgpr_private_segment_size 0
		.amdhsa_uses_dynamic_stack 0
		.amdhsa_enable_private_segment 0
		.amdhsa_system_sgpr_workgroup_id_x 1
		.amdhsa_system_sgpr_workgroup_id_y 0
		.amdhsa_system_sgpr_workgroup_id_z 0
		.amdhsa_system_sgpr_workgroup_info 0
		.amdhsa_system_vgpr_workitem_id 0
		.amdhsa_next_free_vgpr 1
		.amdhsa_next_free_sgpr 0
		.amdhsa_accum_offset 4
		.amdhsa_reserve_vcc 0
		.amdhsa_float_round_mode_32 0
		.amdhsa_float_round_mode_16_64 0
		.amdhsa_float_denorm_mode_32 3
		.amdhsa_float_denorm_mode_16_64 3
		.amdhsa_dx10_clamp 1
		.amdhsa_ieee_mode 1
		.amdhsa_fp16_overflow 0
		.amdhsa_tg_split 0
		.amdhsa_exception_fp_ieee_invalid_op 0
		.amdhsa_exception_fp_denorm_src 0
		.amdhsa_exception_fp_ieee_div_zero 0
		.amdhsa_exception_fp_ieee_overflow 0
		.amdhsa_exception_fp_ieee_underflow 0
		.amdhsa_exception_fp_ieee_inexact 0
		.amdhsa_exception_int_div_zero 0
	.end_amdhsa_kernel
	.section	.text._ZN7rocprim17ROCPRIM_400000_NS6detail17trampoline_kernelINS0_14default_configENS1_25partition_config_selectorILNS1_17partition_subalgoE8ElNS0_10empty_typeEbEEZZNS1_14partition_implILS5_8ELb0ES3_jPlPS6_PKS6_NS0_5tupleIJS9_S6_EEENSD_IJSA_SA_EEENS0_18inequality_wrapperIZN2at6native12_GLOBAL__N_124unique_dim_cuda_templateIhEESt5tupleIJNSH_6TensorESM_SM_EERKSM_lbbbEUlllE0_EEPmJS6_EEE10hipError_tPvRmT3_T4_T5_T6_T7_T9_mT8_P12ihipStream_tbDpT10_ENKUlT_T0_E_clISt17integral_constantIbLb0EES1C_EEDaS17_S18_EUlS17_E_NS1_11comp_targetILNS1_3genE9ELNS1_11target_archE1100ELNS1_3gpuE3ELNS1_3repE0EEENS1_30default_config_static_selectorELNS0_4arch9wavefront6targetE1EEEvT1_,"axG",@progbits,_ZN7rocprim17ROCPRIM_400000_NS6detail17trampoline_kernelINS0_14default_configENS1_25partition_config_selectorILNS1_17partition_subalgoE8ElNS0_10empty_typeEbEEZZNS1_14partition_implILS5_8ELb0ES3_jPlPS6_PKS6_NS0_5tupleIJS9_S6_EEENSD_IJSA_SA_EEENS0_18inequality_wrapperIZN2at6native12_GLOBAL__N_124unique_dim_cuda_templateIhEESt5tupleIJNSH_6TensorESM_SM_EERKSM_lbbbEUlllE0_EEPmJS6_EEE10hipError_tPvRmT3_T4_T5_T6_T7_T9_mT8_P12ihipStream_tbDpT10_ENKUlT_T0_E_clISt17integral_constantIbLb0EES1C_EEDaS17_S18_EUlS17_E_NS1_11comp_targetILNS1_3genE9ELNS1_11target_archE1100ELNS1_3gpuE3ELNS1_3repE0EEENS1_30default_config_static_selectorELNS0_4arch9wavefront6targetE1EEEvT1_,comdat
.Lfunc_end167:
	.size	_ZN7rocprim17ROCPRIM_400000_NS6detail17trampoline_kernelINS0_14default_configENS1_25partition_config_selectorILNS1_17partition_subalgoE8ElNS0_10empty_typeEbEEZZNS1_14partition_implILS5_8ELb0ES3_jPlPS6_PKS6_NS0_5tupleIJS9_S6_EEENSD_IJSA_SA_EEENS0_18inequality_wrapperIZN2at6native12_GLOBAL__N_124unique_dim_cuda_templateIhEESt5tupleIJNSH_6TensorESM_SM_EERKSM_lbbbEUlllE0_EEPmJS6_EEE10hipError_tPvRmT3_T4_T5_T6_T7_T9_mT8_P12ihipStream_tbDpT10_ENKUlT_T0_E_clISt17integral_constantIbLb0EES1C_EEDaS17_S18_EUlS17_E_NS1_11comp_targetILNS1_3genE9ELNS1_11target_archE1100ELNS1_3gpuE3ELNS1_3repE0EEENS1_30default_config_static_selectorELNS0_4arch9wavefront6targetE1EEEvT1_, .Lfunc_end167-_ZN7rocprim17ROCPRIM_400000_NS6detail17trampoline_kernelINS0_14default_configENS1_25partition_config_selectorILNS1_17partition_subalgoE8ElNS0_10empty_typeEbEEZZNS1_14partition_implILS5_8ELb0ES3_jPlPS6_PKS6_NS0_5tupleIJS9_S6_EEENSD_IJSA_SA_EEENS0_18inequality_wrapperIZN2at6native12_GLOBAL__N_124unique_dim_cuda_templateIhEESt5tupleIJNSH_6TensorESM_SM_EERKSM_lbbbEUlllE0_EEPmJS6_EEE10hipError_tPvRmT3_T4_T5_T6_T7_T9_mT8_P12ihipStream_tbDpT10_ENKUlT_T0_E_clISt17integral_constantIbLb0EES1C_EEDaS17_S18_EUlS17_E_NS1_11comp_targetILNS1_3genE9ELNS1_11target_archE1100ELNS1_3gpuE3ELNS1_3repE0EEENS1_30default_config_static_selectorELNS0_4arch9wavefront6targetE1EEEvT1_
                                        ; -- End function
	.set _ZN7rocprim17ROCPRIM_400000_NS6detail17trampoline_kernelINS0_14default_configENS1_25partition_config_selectorILNS1_17partition_subalgoE8ElNS0_10empty_typeEbEEZZNS1_14partition_implILS5_8ELb0ES3_jPlPS6_PKS6_NS0_5tupleIJS9_S6_EEENSD_IJSA_SA_EEENS0_18inequality_wrapperIZN2at6native12_GLOBAL__N_124unique_dim_cuda_templateIhEESt5tupleIJNSH_6TensorESM_SM_EERKSM_lbbbEUlllE0_EEPmJS6_EEE10hipError_tPvRmT3_T4_T5_T6_T7_T9_mT8_P12ihipStream_tbDpT10_ENKUlT_T0_E_clISt17integral_constantIbLb0EES1C_EEDaS17_S18_EUlS17_E_NS1_11comp_targetILNS1_3genE9ELNS1_11target_archE1100ELNS1_3gpuE3ELNS1_3repE0EEENS1_30default_config_static_selectorELNS0_4arch9wavefront6targetE1EEEvT1_.num_vgpr, 0
	.set _ZN7rocprim17ROCPRIM_400000_NS6detail17trampoline_kernelINS0_14default_configENS1_25partition_config_selectorILNS1_17partition_subalgoE8ElNS0_10empty_typeEbEEZZNS1_14partition_implILS5_8ELb0ES3_jPlPS6_PKS6_NS0_5tupleIJS9_S6_EEENSD_IJSA_SA_EEENS0_18inequality_wrapperIZN2at6native12_GLOBAL__N_124unique_dim_cuda_templateIhEESt5tupleIJNSH_6TensorESM_SM_EERKSM_lbbbEUlllE0_EEPmJS6_EEE10hipError_tPvRmT3_T4_T5_T6_T7_T9_mT8_P12ihipStream_tbDpT10_ENKUlT_T0_E_clISt17integral_constantIbLb0EES1C_EEDaS17_S18_EUlS17_E_NS1_11comp_targetILNS1_3genE9ELNS1_11target_archE1100ELNS1_3gpuE3ELNS1_3repE0EEENS1_30default_config_static_selectorELNS0_4arch9wavefront6targetE1EEEvT1_.num_agpr, 0
	.set _ZN7rocprim17ROCPRIM_400000_NS6detail17trampoline_kernelINS0_14default_configENS1_25partition_config_selectorILNS1_17partition_subalgoE8ElNS0_10empty_typeEbEEZZNS1_14partition_implILS5_8ELb0ES3_jPlPS6_PKS6_NS0_5tupleIJS9_S6_EEENSD_IJSA_SA_EEENS0_18inequality_wrapperIZN2at6native12_GLOBAL__N_124unique_dim_cuda_templateIhEESt5tupleIJNSH_6TensorESM_SM_EERKSM_lbbbEUlllE0_EEPmJS6_EEE10hipError_tPvRmT3_T4_T5_T6_T7_T9_mT8_P12ihipStream_tbDpT10_ENKUlT_T0_E_clISt17integral_constantIbLb0EES1C_EEDaS17_S18_EUlS17_E_NS1_11comp_targetILNS1_3genE9ELNS1_11target_archE1100ELNS1_3gpuE3ELNS1_3repE0EEENS1_30default_config_static_selectorELNS0_4arch9wavefront6targetE1EEEvT1_.numbered_sgpr, 0
	.set _ZN7rocprim17ROCPRIM_400000_NS6detail17trampoline_kernelINS0_14default_configENS1_25partition_config_selectorILNS1_17partition_subalgoE8ElNS0_10empty_typeEbEEZZNS1_14partition_implILS5_8ELb0ES3_jPlPS6_PKS6_NS0_5tupleIJS9_S6_EEENSD_IJSA_SA_EEENS0_18inequality_wrapperIZN2at6native12_GLOBAL__N_124unique_dim_cuda_templateIhEESt5tupleIJNSH_6TensorESM_SM_EERKSM_lbbbEUlllE0_EEPmJS6_EEE10hipError_tPvRmT3_T4_T5_T6_T7_T9_mT8_P12ihipStream_tbDpT10_ENKUlT_T0_E_clISt17integral_constantIbLb0EES1C_EEDaS17_S18_EUlS17_E_NS1_11comp_targetILNS1_3genE9ELNS1_11target_archE1100ELNS1_3gpuE3ELNS1_3repE0EEENS1_30default_config_static_selectorELNS0_4arch9wavefront6targetE1EEEvT1_.num_named_barrier, 0
	.set _ZN7rocprim17ROCPRIM_400000_NS6detail17trampoline_kernelINS0_14default_configENS1_25partition_config_selectorILNS1_17partition_subalgoE8ElNS0_10empty_typeEbEEZZNS1_14partition_implILS5_8ELb0ES3_jPlPS6_PKS6_NS0_5tupleIJS9_S6_EEENSD_IJSA_SA_EEENS0_18inequality_wrapperIZN2at6native12_GLOBAL__N_124unique_dim_cuda_templateIhEESt5tupleIJNSH_6TensorESM_SM_EERKSM_lbbbEUlllE0_EEPmJS6_EEE10hipError_tPvRmT3_T4_T5_T6_T7_T9_mT8_P12ihipStream_tbDpT10_ENKUlT_T0_E_clISt17integral_constantIbLb0EES1C_EEDaS17_S18_EUlS17_E_NS1_11comp_targetILNS1_3genE9ELNS1_11target_archE1100ELNS1_3gpuE3ELNS1_3repE0EEENS1_30default_config_static_selectorELNS0_4arch9wavefront6targetE1EEEvT1_.private_seg_size, 0
	.set _ZN7rocprim17ROCPRIM_400000_NS6detail17trampoline_kernelINS0_14default_configENS1_25partition_config_selectorILNS1_17partition_subalgoE8ElNS0_10empty_typeEbEEZZNS1_14partition_implILS5_8ELb0ES3_jPlPS6_PKS6_NS0_5tupleIJS9_S6_EEENSD_IJSA_SA_EEENS0_18inequality_wrapperIZN2at6native12_GLOBAL__N_124unique_dim_cuda_templateIhEESt5tupleIJNSH_6TensorESM_SM_EERKSM_lbbbEUlllE0_EEPmJS6_EEE10hipError_tPvRmT3_T4_T5_T6_T7_T9_mT8_P12ihipStream_tbDpT10_ENKUlT_T0_E_clISt17integral_constantIbLb0EES1C_EEDaS17_S18_EUlS17_E_NS1_11comp_targetILNS1_3genE9ELNS1_11target_archE1100ELNS1_3gpuE3ELNS1_3repE0EEENS1_30default_config_static_selectorELNS0_4arch9wavefront6targetE1EEEvT1_.uses_vcc, 0
	.set _ZN7rocprim17ROCPRIM_400000_NS6detail17trampoline_kernelINS0_14default_configENS1_25partition_config_selectorILNS1_17partition_subalgoE8ElNS0_10empty_typeEbEEZZNS1_14partition_implILS5_8ELb0ES3_jPlPS6_PKS6_NS0_5tupleIJS9_S6_EEENSD_IJSA_SA_EEENS0_18inequality_wrapperIZN2at6native12_GLOBAL__N_124unique_dim_cuda_templateIhEESt5tupleIJNSH_6TensorESM_SM_EERKSM_lbbbEUlllE0_EEPmJS6_EEE10hipError_tPvRmT3_T4_T5_T6_T7_T9_mT8_P12ihipStream_tbDpT10_ENKUlT_T0_E_clISt17integral_constantIbLb0EES1C_EEDaS17_S18_EUlS17_E_NS1_11comp_targetILNS1_3genE9ELNS1_11target_archE1100ELNS1_3gpuE3ELNS1_3repE0EEENS1_30default_config_static_selectorELNS0_4arch9wavefront6targetE1EEEvT1_.uses_flat_scratch, 0
	.set _ZN7rocprim17ROCPRIM_400000_NS6detail17trampoline_kernelINS0_14default_configENS1_25partition_config_selectorILNS1_17partition_subalgoE8ElNS0_10empty_typeEbEEZZNS1_14partition_implILS5_8ELb0ES3_jPlPS6_PKS6_NS0_5tupleIJS9_S6_EEENSD_IJSA_SA_EEENS0_18inequality_wrapperIZN2at6native12_GLOBAL__N_124unique_dim_cuda_templateIhEESt5tupleIJNSH_6TensorESM_SM_EERKSM_lbbbEUlllE0_EEPmJS6_EEE10hipError_tPvRmT3_T4_T5_T6_T7_T9_mT8_P12ihipStream_tbDpT10_ENKUlT_T0_E_clISt17integral_constantIbLb0EES1C_EEDaS17_S18_EUlS17_E_NS1_11comp_targetILNS1_3genE9ELNS1_11target_archE1100ELNS1_3gpuE3ELNS1_3repE0EEENS1_30default_config_static_selectorELNS0_4arch9wavefront6targetE1EEEvT1_.has_dyn_sized_stack, 0
	.set _ZN7rocprim17ROCPRIM_400000_NS6detail17trampoline_kernelINS0_14default_configENS1_25partition_config_selectorILNS1_17partition_subalgoE8ElNS0_10empty_typeEbEEZZNS1_14partition_implILS5_8ELb0ES3_jPlPS6_PKS6_NS0_5tupleIJS9_S6_EEENSD_IJSA_SA_EEENS0_18inequality_wrapperIZN2at6native12_GLOBAL__N_124unique_dim_cuda_templateIhEESt5tupleIJNSH_6TensorESM_SM_EERKSM_lbbbEUlllE0_EEPmJS6_EEE10hipError_tPvRmT3_T4_T5_T6_T7_T9_mT8_P12ihipStream_tbDpT10_ENKUlT_T0_E_clISt17integral_constantIbLb0EES1C_EEDaS17_S18_EUlS17_E_NS1_11comp_targetILNS1_3genE9ELNS1_11target_archE1100ELNS1_3gpuE3ELNS1_3repE0EEENS1_30default_config_static_selectorELNS0_4arch9wavefront6targetE1EEEvT1_.has_recursion, 0
	.set _ZN7rocprim17ROCPRIM_400000_NS6detail17trampoline_kernelINS0_14default_configENS1_25partition_config_selectorILNS1_17partition_subalgoE8ElNS0_10empty_typeEbEEZZNS1_14partition_implILS5_8ELb0ES3_jPlPS6_PKS6_NS0_5tupleIJS9_S6_EEENSD_IJSA_SA_EEENS0_18inequality_wrapperIZN2at6native12_GLOBAL__N_124unique_dim_cuda_templateIhEESt5tupleIJNSH_6TensorESM_SM_EERKSM_lbbbEUlllE0_EEPmJS6_EEE10hipError_tPvRmT3_T4_T5_T6_T7_T9_mT8_P12ihipStream_tbDpT10_ENKUlT_T0_E_clISt17integral_constantIbLb0EES1C_EEDaS17_S18_EUlS17_E_NS1_11comp_targetILNS1_3genE9ELNS1_11target_archE1100ELNS1_3gpuE3ELNS1_3repE0EEENS1_30default_config_static_selectorELNS0_4arch9wavefront6targetE1EEEvT1_.has_indirect_call, 0
	.section	.AMDGPU.csdata,"",@progbits
; Kernel info:
; codeLenInByte = 0
; TotalNumSgprs: 6
; NumVgprs: 0
; NumAgprs: 0
; TotalNumVgprs: 0
; ScratchSize: 0
; MemoryBound: 0
; FloatMode: 240
; IeeeMode: 1
; LDSByteSize: 0 bytes/workgroup (compile time only)
; SGPRBlocks: 0
; VGPRBlocks: 0
; NumSGPRsForWavesPerEU: 6
; NumVGPRsForWavesPerEU: 1
; AccumOffset: 4
; Occupancy: 8
; WaveLimiterHint : 0
; COMPUTE_PGM_RSRC2:SCRATCH_EN: 0
; COMPUTE_PGM_RSRC2:USER_SGPR: 2
; COMPUTE_PGM_RSRC2:TRAP_HANDLER: 0
; COMPUTE_PGM_RSRC2:TGID_X_EN: 1
; COMPUTE_PGM_RSRC2:TGID_Y_EN: 0
; COMPUTE_PGM_RSRC2:TGID_Z_EN: 0
; COMPUTE_PGM_RSRC2:TIDIG_COMP_CNT: 0
; COMPUTE_PGM_RSRC3_GFX90A:ACCUM_OFFSET: 0
; COMPUTE_PGM_RSRC3_GFX90A:TG_SPLIT: 0
	.section	.text._ZN7rocprim17ROCPRIM_400000_NS6detail17trampoline_kernelINS0_14default_configENS1_25partition_config_selectorILNS1_17partition_subalgoE8ElNS0_10empty_typeEbEEZZNS1_14partition_implILS5_8ELb0ES3_jPlPS6_PKS6_NS0_5tupleIJS9_S6_EEENSD_IJSA_SA_EEENS0_18inequality_wrapperIZN2at6native12_GLOBAL__N_124unique_dim_cuda_templateIhEESt5tupleIJNSH_6TensorESM_SM_EERKSM_lbbbEUlllE0_EEPmJS6_EEE10hipError_tPvRmT3_T4_T5_T6_T7_T9_mT8_P12ihipStream_tbDpT10_ENKUlT_T0_E_clISt17integral_constantIbLb0EES1C_EEDaS17_S18_EUlS17_E_NS1_11comp_targetILNS1_3genE8ELNS1_11target_archE1030ELNS1_3gpuE2ELNS1_3repE0EEENS1_30default_config_static_selectorELNS0_4arch9wavefront6targetE1EEEvT1_,"axG",@progbits,_ZN7rocprim17ROCPRIM_400000_NS6detail17trampoline_kernelINS0_14default_configENS1_25partition_config_selectorILNS1_17partition_subalgoE8ElNS0_10empty_typeEbEEZZNS1_14partition_implILS5_8ELb0ES3_jPlPS6_PKS6_NS0_5tupleIJS9_S6_EEENSD_IJSA_SA_EEENS0_18inequality_wrapperIZN2at6native12_GLOBAL__N_124unique_dim_cuda_templateIhEESt5tupleIJNSH_6TensorESM_SM_EERKSM_lbbbEUlllE0_EEPmJS6_EEE10hipError_tPvRmT3_T4_T5_T6_T7_T9_mT8_P12ihipStream_tbDpT10_ENKUlT_T0_E_clISt17integral_constantIbLb0EES1C_EEDaS17_S18_EUlS17_E_NS1_11comp_targetILNS1_3genE8ELNS1_11target_archE1030ELNS1_3gpuE2ELNS1_3repE0EEENS1_30default_config_static_selectorELNS0_4arch9wavefront6targetE1EEEvT1_,comdat
	.globl	_ZN7rocprim17ROCPRIM_400000_NS6detail17trampoline_kernelINS0_14default_configENS1_25partition_config_selectorILNS1_17partition_subalgoE8ElNS0_10empty_typeEbEEZZNS1_14partition_implILS5_8ELb0ES3_jPlPS6_PKS6_NS0_5tupleIJS9_S6_EEENSD_IJSA_SA_EEENS0_18inequality_wrapperIZN2at6native12_GLOBAL__N_124unique_dim_cuda_templateIhEESt5tupleIJNSH_6TensorESM_SM_EERKSM_lbbbEUlllE0_EEPmJS6_EEE10hipError_tPvRmT3_T4_T5_T6_T7_T9_mT8_P12ihipStream_tbDpT10_ENKUlT_T0_E_clISt17integral_constantIbLb0EES1C_EEDaS17_S18_EUlS17_E_NS1_11comp_targetILNS1_3genE8ELNS1_11target_archE1030ELNS1_3gpuE2ELNS1_3repE0EEENS1_30default_config_static_selectorELNS0_4arch9wavefront6targetE1EEEvT1_ ; -- Begin function _ZN7rocprim17ROCPRIM_400000_NS6detail17trampoline_kernelINS0_14default_configENS1_25partition_config_selectorILNS1_17partition_subalgoE8ElNS0_10empty_typeEbEEZZNS1_14partition_implILS5_8ELb0ES3_jPlPS6_PKS6_NS0_5tupleIJS9_S6_EEENSD_IJSA_SA_EEENS0_18inequality_wrapperIZN2at6native12_GLOBAL__N_124unique_dim_cuda_templateIhEESt5tupleIJNSH_6TensorESM_SM_EERKSM_lbbbEUlllE0_EEPmJS6_EEE10hipError_tPvRmT3_T4_T5_T6_T7_T9_mT8_P12ihipStream_tbDpT10_ENKUlT_T0_E_clISt17integral_constantIbLb0EES1C_EEDaS17_S18_EUlS17_E_NS1_11comp_targetILNS1_3genE8ELNS1_11target_archE1030ELNS1_3gpuE2ELNS1_3repE0EEENS1_30default_config_static_selectorELNS0_4arch9wavefront6targetE1EEEvT1_
	.p2align	8
	.type	_ZN7rocprim17ROCPRIM_400000_NS6detail17trampoline_kernelINS0_14default_configENS1_25partition_config_selectorILNS1_17partition_subalgoE8ElNS0_10empty_typeEbEEZZNS1_14partition_implILS5_8ELb0ES3_jPlPS6_PKS6_NS0_5tupleIJS9_S6_EEENSD_IJSA_SA_EEENS0_18inequality_wrapperIZN2at6native12_GLOBAL__N_124unique_dim_cuda_templateIhEESt5tupleIJNSH_6TensorESM_SM_EERKSM_lbbbEUlllE0_EEPmJS6_EEE10hipError_tPvRmT3_T4_T5_T6_T7_T9_mT8_P12ihipStream_tbDpT10_ENKUlT_T0_E_clISt17integral_constantIbLb0EES1C_EEDaS17_S18_EUlS17_E_NS1_11comp_targetILNS1_3genE8ELNS1_11target_archE1030ELNS1_3gpuE2ELNS1_3repE0EEENS1_30default_config_static_selectorELNS0_4arch9wavefront6targetE1EEEvT1_,@function
_ZN7rocprim17ROCPRIM_400000_NS6detail17trampoline_kernelINS0_14default_configENS1_25partition_config_selectorILNS1_17partition_subalgoE8ElNS0_10empty_typeEbEEZZNS1_14partition_implILS5_8ELb0ES3_jPlPS6_PKS6_NS0_5tupleIJS9_S6_EEENSD_IJSA_SA_EEENS0_18inequality_wrapperIZN2at6native12_GLOBAL__N_124unique_dim_cuda_templateIhEESt5tupleIJNSH_6TensorESM_SM_EERKSM_lbbbEUlllE0_EEPmJS6_EEE10hipError_tPvRmT3_T4_T5_T6_T7_T9_mT8_P12ihipStream_tbDpT10_ENKUlT_T0_E_clISt17integral_constantIbLb0EES1C_EEDaS17_S18_EUlS17_E_NS1_11comp_targetILNS1_3genE8ELNS1_11target_archE1030ELNS1_3gpuE2ELNS1_3repE0EEENS1_30default_config_static_selectorELNS0_4arch9wavefront6targetE1EEEvT1_: ; @_ZN7rocprim17ROCPRIM_400000_NS6detail17trampoline_kernelINS0_14default_configENS1_25partition_config_selectorILNS1_17partition_subalgoE8ElNS0_10empty_typeEbEEZZNS1_14partition_implILS5_8ELb0ES3_jPlPS6_PKS6_NS0_5tupleIJS9_S6_EEENSD_IJSA_SA_EEENS0_18inequality_wrapperIZN2at6native12_GLOBAL__N_124unique_dim_cuda_templateIhEESt5tupleIJNSH_6TensorESM_SM_EERKSM_lbbbEUlllE0_EEPmJS6_EEE10hipError_tPvRmT3_T4_T5_T6_T7_T9_mT8_P12ihipStream_tbDpT10_ENKUlT_T0_E_clISt17integral_constantIbLb0EES1C_EEDaS17_S18_EUlS17_E_NS1_11comp_targetILNS1_3genE8ELNS1_11target_archE1030ELNS1_3gpuE2ELNS1_3repE0EEENS1_30default_config_static_selectorELNS0_4arch9wavefront6targetE1EEEvT1_
; %bb.0:
	.section	.rodata,"a",@progbits
	.p2align	6, 0x0
	.amdhsa_kernel _ZN7rocprim17ROCPRIM_400000_NS6detail17trampoline_kernelINS0_14default_configENS1_25partition_config_selectorILNS1_17partition_subalgoE8ElNS0_10empty_typeEbEEZZNS1_14partition_implILS5_8ELb0ES3_jPlPS6_PKS6_NS0_5tupleIJS9_S6_EEENSD_IJSA_SA_EEENS0_18inequality_wrapperIZN2at6native12_GLOBAL__N_124unique_dim_cuda_templateIhEESt5tupleIJNSH_6TensorESM_SM_EERKSM_lbbbEUlllE0_EEPmJS6_EEE10hipError_tPvRmT3_T4_T5_T6_T7_T9_mT8_P12ihipStream_tbDpT10_ENKUlT_T0_E_clISt17integral_constantIbLb0EES1C_EEDaS17_S18_EUlS17_E_NS1_11comp_targetILNS1_3genE8ELNS1_11target_archE1030ELNS1_3gpuE2ELNS1_3repE0EEENS1_30default_config_static_selectorELNS0_4arch9wavefront6targetE1EEEvT1_
		.amdhsa_group_segment_fixed_size 0
		.amdhsa_private_segment_fixed_size 0
		.amdhsa_kernarg_size 120
		.amdhsa_user_sgpr_count 2
		.amdhsa_user_sgpr_dispatch_ptr 0
		.amdhsa_user_sgpr_queue_ptr 0
		.amdhsa_user_sgpr_kernarg_segment_ptr 1
		.amdhsa_user_sgpr_dispatch_id 0
		.amdhsa_user_sgpr_kernarg_preload_length 0
		.amdhsa_user_sgpr_kernarg_preload_offset 0
		.amdhsa_user_sgpr_private_segment_size 0
		.amdhsa_uses_dynamic_stack 0
		.amdhsa_enable_private_segment 0
		.amdhsa_system_sgpr_workgroup_id_x 1
		.amdhsa_system_sgpr_workgroup_id_y 0
		.amdhsa_system_sgpr_workgroup_id_z 0
		.amdhsa_system_sgpr_workgroup_info 0
		.amdhsa_system_vgpr_workitem_id 0
		.amdhsa_next_free_vgpr 1
		.amdhsa_next_free_sgpr 0
		.amdhsa_accum_offset 4
		.amdhsa_reserve_vcc 0
		.amdhsa_float_round_mode_32 0
		.amdhsa_float_round_mode_16_64 0
		.amdhsa_float_denorm_mode_32 3
		.amdhsa_float_denorm_mode_16_64 3
		.amdhsa_dx10_clamp 1
		.amdhsa_ieee_mode 1
		.amdhsa_fp16_overflow 0
		.amdhsa_tg_split 0
		.amdhsa_exception_fp_ieee_invalid_op 0
		.amdhsa_exception_fp_denorm_src 0
		.amdhsa_exception_fp_ieee_div_zero 0
		.amdhsa_exception_fp_ieee_overflow 0
		.amdhsa_exception_fp_ieee_underflow 0
		.amdhsa_exception_fp_ieee_inexact 0
		.amdhsa_exception_int_div_zero 0
	.end_amdhsa_kernel
	.section	.text._ZN7rocprim17ROCPRIM_400000_NS6detail17trampoline_kernelINS0_14default_configENS1_25partition_config_selectorILNS1_17partition_subalgoE8ElNS0_10empty_typeEbEEZZNS1_14partition_implILS5_8ELb0ES3_jPlPS6_PKS6_NS0_5tupleIJS9_S6_EEENSD_IJSA_SA_EEENS0_18inequality_wrapperIZN2at6native12_GLOBAL__N_124unique_dim_cuda_templateIhEESt5tupleIJNSH_6TensorESM_SM_EERKSM_lbbbEUlllE0_EEPmJS6_EEE10hipError_tPvRmT3_T4_T5_T6_T7_T9_mT8_P12ihipStream_tbDpT10_ENKUlT_T0_E_clISt17integral_constantIbLb0EES1C_EEDaS17_S18_EUlS17_E_NS1_11comp_targetILNS1_3genE8ELNS1_11target_archE1030ELNS1_3gpuE2ELNS1_3repE0EEENS1_30default_config_static_selectorELNS0_4arch9wavefront6targetE1EEEvT1_,"axG",@progbits,_ZN7rocprim17ROCPRIM_400000_NS6detail17trampoline_kernelINS0_14default_configENS1_25partition_config_selectorILNS1_17partition_subalgoE8ElNS0_10empty_typeEbEEZZNS1_14partition_implILS5_8ELb0ES3_jPlPS6_PKS6_NS0_5tupleIJS9_S6_EEENSD_IJSA_SA_EEENS0_18inequality_wrapperIZN2at6native12_GLOBAL__N_124unique_dim_cuda_templateIhEESt5tupleIJNSH_6TensorESM_SM_EERKSM_lbbbEUlllE0_EEPmJS6_EEE10hipError_tPvRmT3_T4_T5_T6_T7_T9_mT8_P12ihipStream_tbDpT10_ENKUlT_T0_E_clISt17integral_constantIbLb0EES1C_EEDaS17_S18_EUlS17_E_NS1_11comp_targetILNS1_3genE8ELNS1_11target_archE1030ELNS1_3gpuE2ELNS1_3repE0EEENS1_30default_config_static_selectorELNS0_4arch9wavefront6targetE1EEEvT1_,comdat
.Lfunc_end168:
	.size	_ZN7rocprim17ROCPRIM_400000_NS6detail17trampoline_kernelINS0_14default_configENS1_25partition_config_selectorILNS1_17partition_subalgoE8ElNS0_10empty_typeEbEEZZNS1_14partition_implILS5_8ELb0ES3_jPlPS6_PKS6_NS0_5tupleIJS9_S6_EEENSD_IJSA_SA_EEENS0_18inequality_wrapperIZN2at6native12_GLOBAL__N_124unique_dim_cuda_templateIhEESt5tupleIJNSH_6TensorESM_SM_EERKSM_lbbbEUlllE0_EEPmJS6_EEE10hipError_tPvRmT3_T4_T5_T6_T7_T9_mT8_P12ihipStream_tbDpT10_ENKUlT_T0_E_clISt17integral_constantIbLb0EES1C_EEDaS17_S18_EUlS17_E_NS1_11comp_targetILNS1_3genE8ELNS1_11target_archE1030ELNS1_3gpuE2ELNS1_3repE0EEENS1_30default_config_static_selectorELNS0_4arch9wavefront6targetE1EEEvT1_, .Lfunc_end168-_ZN7rocprim17ROCPRIM_400000_NS6detail17trampoline_kernelINS0_14default_configENS1_25partition_config_selectorILNS1_17partition_subalgoE8ElNS0_10empty_typeEbEEZZNS1_14partition_implILS5_8ELb0ES3_jPlPS6_PKS6_NS0_5tupleIJS9_S6_EEENSD_IJSA_SA_EEENS0_18inequality_wrapperIZN2at6native12_GLOBAL__N_124unique_dim_cuda_templateIhEESt5tupleIJNSH_6TensorESM_SM_EERKSM_lbbbEUlllE0_EEPmJS6_EEE10hipError_tPvRmT3_T4_T5_T6_T7_T9_mT8_P12ihipStream_tbDpT10_ENKUlT_T0_E_clISt17integral_constantIbLb0EES1C_EEDaS17_S18_EUlS17_E_NS1_11comp_targetILNS1_3genE8ELNS1_11target_archE1030ELNS1_3gpuE2ELNS1_3repE0EEENS1_30default_config_static_selectorELNS0_4arch9wavefront6targetE1EEEvT1_
                                        ; -- End function
	.set _ZN7rocprim17ROCPRIM_400000_NS6detail17trampoline_kernelINS0_14default_configENS1_25partition_config_selectorILNS1_17partition_subalgoE8ElNS0_10empty_typeEbEEZZNS1_14partition_implILS5_8ELb0ES3_jPlPS6_PKS6_NS0_5tupleIJS9_S6_EEENSD_IJSA_SA_EEENS0_18inequality_wrapperIZN2at6native12_GLOBAL__N_124unique_dim_cuda_templateIhEESt5tupleIJNSH_6TensorESM_SM_EERKSM_lbbbEUlllE0_EEPmJS6_EEE10hipError_tPvRmT3_T4_T5_T6_T7_T9_mT8_P12ihipStream_tbDpT10_ENKUlT_T0_E_clISt17integral_constantIbLb0EES1C_EEDaS17_S18_EUlS17_E_NS1_11comp_targetILNS1_3genE8ELNS1_11target_archE1030ELNS1_3gpuE2ELNS1_3repE0EEENS1_30default_config_static_selectorELNS0_4arch9wavefront6targetE1EEEvT1_.num_vgpr, 0
	.set _ZN7rocprim17ROCPRIM_400000_NS6detail17trampoline_kernelINS0_14default_configENS1_25partition_config_selectorILNS1_17partition_subalgoE8ElNS0_10empty_typeEbEEZZNS1_14partition_implILS5_8ELb0ES3_jPlPS6_PKS6_NS0_5tupleIJS9_S6_EEENSD_IJSA_SA_EEENS0_18inequality_wrapperIZN2at6native12_GLOBAL__N_124unique_dim_cuda_templateIhEESt5tupleIJNSH_6TensorESM_SM_EERKSM_lbbbEUlllE0_EEPmJS6_EEE10hipError_tPvRmT3_T4_T5_T6_T7_T9_mT8_P12ihipStream_tbDpT10_ENKUlT_T0_E_clISt17integral_constantIbLb0EES1C_EEDaS17_S18_EUlS17_E_NS1_11comp_targetILNS1_3genE8ELNS1_11target_archE1030ELNS1_3gpuE2ELNS1_3repE0EEENS1_30default_config_static_selectorELNS0_4arch9wavefront6targetE1EEEvT1_.num_agpr, 0
	.set _ZN7rocprim17ROCPRIM_400000_NS6detail17trampoline_kernelINS0_14default_configENS1_25partition_config_selectorILNS1_17partition_subalgoE8ElNS0_10empty_typeEbEEZZNS1_14partition_implILS5_8ELb0ES3_jPlPS6_PKS6_NS0_5tupleIJS9_S6_EEENSD_IJSA_SA_EEENS0_18inequality_wrapperIZN2at6native12_GLOBAL__N_124unique_dim_cuda_templateIhEESt5tupleIJNSH_6TensorESM_SM_EERKSM_lbbbEUlllE0_EEPmJS6_EEE10hipError_tPvRmT3_T4_T5_T6_T7_T9_mT8_P12ihipStream_tbDpT10_ENKUlT_T0_E_clISt17integral_constantIbLb0EES1C_EEDaS17_S18_EUlS17_E_NS1_11comp_targetILNS1_3genE8ELNS1_11target_archE1030ELNS1_3gpuE2ELNS1_3repE0EEENS1_30default_config_static_selectorELNS0_4arch9wavefront6targetE1EEEvT1_.numbered_sgpr, 0
	.set _ZN7rocprim17ROCPRIM_400000_NS6detail17trampoline_kernelINS0_14default_configENS1_25partition_config_selectorILNS1_17partition_subalgoE8ElNS0_10empty_typeEbEEZZNS1_14partition_implILS5_8ELb0ES3_jPlPS6_PKS6_NS0_5tupleIJS9_S6_EEENSD_IJSA_SA_EEENS0_18inequality_wrapperIZN2at6native12_GLOBAL__N_124unique_dim_cuda_templateIhEESt5tupleIJNSH_6TensorESM_SM_EERKSM_lbbbEUlllE0_EEPmJS6_EEE10hipError_tPvRmT3_T4_T5_T6_T7_T9_mT8_P12ihipStream_tbDpT10_ENKUlT_T0_E_clISt17integral_constantIbLb0EES1C_EEDaS17_S18_EUlS17_E_NS1_11comp_targetILNS1_3genE8ELNS1_11target_archE1030ELNS1_3gpuE2ELNS1_3repE0EEENS1_30default_config_static_selectorELNS0_4arch9wavefront6targetE1EEEvT1_.num_named_barrier, 0
	.set _ZN7rocprim17ROCPRIM_400000_NS6detail17trampoline_kernelINS0_14default_configENS1_25partition_config_selectorILNS1_17partition_subalgoE8ElNS0_10empty_typeEbEEZZNS1_14partition_implILS5_8ELb0ES3_jPlPS6_PKS6_NS0_5tupleIJS9_S6_EEENSD_IJSA_SA_EEENS0_18inequality_wrapperIZN2at6native12_GLOBAL__N_124unique_dim_cuda_templateIhEESt5tupleIJNSH_6TensorESM_SM_EERKSM_lbbbEUlllE0_EEPmJS6_EEE10hipError_tPvRmT3_T4_T5_T6_T7_T9_mT8_P12ihipStream_tbDpT10_ENKUlT_T0_E_clISt17integral_constantIbLb0EES1C_EEDaS17_S18_EUlS17_E_NS1_11comp_targetILNS1_3genE8ELNS1_11target_archE1030ELNS1_3gpuE2ELNS1_3repE0EEENS1_30default_config_static_selectorELNS0_4arch9wavefront6targetE1EEEvT1_.private_seg_size, 0
	.set _ZN7rocprim17ROCPRIM_400000_NS6detail17trampoline_kernelINS0_14default_configENS1_25partition_config_selectorILNS1_17partition_subalgoE8ElNS0_10empty_typeEbEEZZNS1_14partition_implILS5_8ELb0ES3_jPlPS6_PKS6_NS0_5tupleIJS9_S6_EEENSD_IJSA_SA_EEENS0_18inequality_wrapperIZN2at6native12_GLOBAL__N_124unique_dim_cuda_templateIhEESt5tupleIJNSH_6TensorESM_SM_EERKSM_lbbbEUlllE0_EEPmJS6_EEE10hipError_tPvRmT3_T4_T5_T6_T7_T9_mT8_P12ihipStream_tbDpT10_ENKUlT_T0_E_clISt17integral_constantIbLb0EES1C_EEDaS17_S18_EUlS17_E_NS1_11comp_targetILNS1_3genE8ELNS1_11target_archE1030ELNS1_3gpuE2ELNS1_3repE0EEENS1_30default_config_static_selectorELNS0_4arch9wavefront6targetE1EEEvT1_.uses_vcc, 0
	.set _ZN7rocprim17ROCPRIM_400000_NS6detail17trampoline_kernelINS0_14default_configENS1_25partition_config_selectorILNS1_17partition_subalgoE8ElNS0_10empty_typeEbEEZZNS1_14partition_implILS5_8ELb0ES3_jPlPS6_PKS6_NS0_5tupleIJS9_S6_EEENSD_IJSA_SA_EEENS0_18inequality_wrapperIZN2at6native12_GLOBAL__N_124unique_dim_cuda_templateIhEESt5tupleIJNSH_6TensorESM_SM_EERKSM_lbbbEUlllE0_EEPmJS6_EEE10hipError_tPvRmT3_T4_T5_T6_T7_T9_mT8_P12ihipStream_tbDpT10_ENKUlT_T0_E_clISt17integral_constantIbLb0EES1C_EEDaS17_S18_EUlS17_E_NS1_11comp_targetILNS1_3genE8ELNS1_11target_archE1030ELNS1_3gpuE2ELNS1_3repE0EEENS1_30default_config_static_selectorELNS0_4arch9wavefront6targetE1EEEvT1_.uses_flat_scratch, 0
	.set _ZN7rocprim17ROCPRIM_400000_NS6detail17trampoline_kernelINS0_14default_configENS1_25partition_config_selectorILNS1_17partition_subalgoE8ElNS0_10empty_typeEbEEZZNS1_14partition_implILS5_8ELb0ES3_jPlPS6_PKS6_NS0_5tupleIJS9_S6_EEENSD_IJSA_SA_EEENS0_18inequality_wrapperIZN2at6native12_GLOBAL__N_124unique_dim_cuda_templateIhEESt5tupleIJNSH_6TensorESM_SM_EERKSM_lbbbEUlllE0_EEPmJS6_EEE10hipError_tPvRmT3_T4_T5_T6_T7_T9_mT8_P12ihipStream_tbDpT10_ENKUlT_T0_E_clISt17integral_constantIbLb0EES1C_EEDaS17_S18_EUlS17_E_NS1_11comp_targetILNS1_3genE8ELNS1_11target_archE1030ELNS1_3gpuE2ELNS1_3repE0EEENS1_30default_config_static_selectorELNS0_4arch9wavefront6targetE1EEEvT1_.has_dyn_sized_stack, 0
	.set _ZN7rocprim17ROCPRIM_400000_NS6detail17trampoline_kernelINS0_14default_configENS1_25partition_config_selectorILNS1_17partition_subalgoE8ElNS0_10empty_typeEbEEZZNS1_14partition_implILS5_8ELb0ES3_jPlPS6_PKS6_NS0_5tupleIJS9_S6_EEENSD_IJSA_SA_EEENS0_18inequality_wrapperIZN2at6native12_GLOBAL__N_124unique_dim_cuda_templateIhEESt5tupleIJNSH_6TensorESM_SM_EERKSM_lbbbEUlllE0_EEPmJS6_EEE10hipError_tPvRmT3_T4_T5_T6_T7_T9_mT8_P12ihipStream_tbDpT10_ENKUlT_T0_E_clISt17integral_constantIbLb0EES1C_EEDaS17_S18_EUlS17_E_NS1_11comp_targetILNS1_3genE8ELNS1_11target_archE1030ELNS1_3gpuE2ELNS1_3repE0EEENS1_30default_config_static_selectorELNS0_4arch9wavefront6targetE1EEEvT1_.has_recursion, 0
	.set _ZN7rocprim17ROCPRIM_400000_NS6detail17trampoline_kernelINS0_14default_configENS1_25partition_config_selectorILNS1_17partition_subalgoE8ElNS0_10empty_typeEbEEZZNS1_14partition_implILS5_8ELb0ES3_jPlPS6_PKS6_NS0_5tupleIJS9_S6_EEENSD_IJSA_SA_EEENS0_18inequality_wrapperIZN2at6native12_GLOBAL__N_124unique_dim_cuda_templateIhEESt5tupleIJNSH_6TensorESM_SM_EERKSM_lbbbEUlllE0_EEPmJS6_EEE10hipError_tPvRmT3_T4_T5_T6_T7_T9_mT8_P12ihipStream_tbDpT10_ENKUlT_T0_E_clISt17integral_constantIbLb0EES1C_EEDaS17_S18_EUlS17_E_NS1_11comp_targetILNS1_3genE8ELNS1_11target_archE1030ELNS1_3gpuE2ELNS1_3repE0EEENS1_30default_config_static_selectorELNS0_4arch9wavefront6targetE1EEEvT1_.has_indirect_call, 0
	.section	.AMDGPU.csdata,"",@progbits
; Kernel info:
; codeLenInByte = 0
; TotalNumSgprs: 6
; NumVgprs: 0
; NumAgprs: 0
; TotalNumVgprs: 0
; ScratchSize: 0
; MemoryBound: 0
; FloatMode: 240
; IeeeMode: 1
; LDSByteSize: 0 bytes/workgroup (compile time only)
; SGPRBlocks: 0
; VGPRBlocks: 0
; NumSGPRsForWavesPerEU: 6
; NumVGPRsForWavesPerEU: 1
; AccumOffset: 4
; Occupancy: 8
; WaveLimiterHint : 0
; COMPUTE_PGM_RSRC2:SCRATCH_EN: 0
; COMPUTE_PGM_RSRC2:USER_SGPR: 2
; COMPUTE_PGM_RSRC2:TRAP_HANDLER: 0
; COMPUTE_PGM_RSRC2:TGID_X_EN: 1
; COMPUTE_PGM_RSRC2:TGID_Y_EN: 0
; COMPUTE_PGM_RSRC2:TGID_Z_EN: 0
; COMPUTE_PGM_RSRC2:TIDIG_COMP_CNT: 0
; COMPUTE_PGM_RSRC3_GFX90A:ACCUM_OFFSET: 0
; COMPUTE_PGM_RSRC3_GFX90A:TG_SPLIT: 0
	.section	.text._ZN7rocprim17ROCPRIM_400000_NS6detail17trampoline_kernelINS0_14default_configENS1_25transform_config_selectorImLb1EEEZNS1_14transform_implILb1ES3_S5_PmS7_NS0_8identityIvEEEE10hipError_tT2_T3_mT4_P12ihipStream_tbEUlT_E_NS1_11comp_targetILNS1_3genE0ELNS1_11target_archE4294967295ELNS1_3gpuE0ELNS1_3repE0EEENS1_30default_config_static_selectorELNS0_4arch9wavefront6targetE1EEEvT1_,"axG",@progbits,_ZN7rocprim17ROCPRIM_400000_NS6detail17trampoline_kernelINS0_14default_configENS1_25transform_config_selectorImLb1EEEZNS1_14transform_implILb1ES3_S5_PmS7_NS0_8identityIvEEEE10hipError_tT2_T3_mT4_P12ihipStream_tbEUlT_E_NS1_11comp_targetILNS1_3genE0ELNS1_11target_archE4294967295ELNS1_3gpuE0ELNS1_3repE0EEENS1_30default_config_static_selectorELNS0_4arch9wavefront6targetE1EEEvT1_,comdat
	.protected	_ZN7rocprim17ROCPRIM_400000_NS6detail17trampoline_kernelINS0_14default_configENS1_25transform_config_selectorImLb1EEEZNS1_14transform_implILb1ES3_S5_PmS7_NS0_8identityIvEEEE10hipError_tT2_T3_mT4_P12ihipStream_tbEUlT_E_NS1_11comp_targetILNS1_3genE0ELNS1_11target_archE4294967295ELNS1_3gpuE0ELNS1_3repE0EEENS1_30default_config_static_selectorELNS0_4arch9wavefront6targetE1EEEvT1_ ; -- Begin function _ZN7rocprim17ROCPRIM_400000_NS6detail17trampoline_kernelINS0_14default_configENS1_25transform_config_selectorImLb1EEEZNS1_14transform_implILb1ES3_S5_PmS7_NS0_8identityIvEEEE10hipError_tT2_T3_mT4_P12ihipStream_tbEUlT_E_NS1_11comp_targetILNS1_3genE0ELNS1_11target_archE4294967295ELNS1_3gpuE0ELNS1_3repE0EEENS1_30default_config_static_selectorELNS0_4arch9wavefront6targetE1EEEvT1_
	.globl	_ZN7rocprim17ROCPRIM_400000_NS6detail17trampoline_kernelINS0_14default_configENS1_25transform_config_selectorImLb1EEEZNS1_14transform_implILb1ES3_S5_PmS7_NS0_8identityIvEEEE10hipError_tT2_T3_mT4_P12ihipStream_tbEUlT_E_NS1_11comp_targetILNS1_3genE0ELNS1_11target_archE4294967295ELNS1_3gpuE0ELNS1_3repE0EEENS1_30default_config_static_selectorELNS0_4arch9wavefront6targetE1EEEvT1_
	.p2align	8
	.type	_ZN7rocprim17ROCPRIM_400000_NS6detail17trampoline_kernelINS0_14default_configENS1_25transform_config_selectorImLb1EEEZNS1_14transform_implILb1ES3_S5_PmS7_NS0_8identityIvEEEE10hipError_tT2_T3_mT4_P12ihipStream_tbEUlT_E_NS1_11comp_targetILNS1_3genE0ELNS1_11target_archE4294967295ELNS1_3gpuE0ELNS1_3repE0EEENS1_30default_config_static_selectorELNS0_4arch9wavefront6targetE1EEEvT1_,@function
_ZN7rocprim17ROCPRIM_400000_NS6detail17trampoline_kernelINS0_14default_configENS1_25transform_config_selectorImLb1EEEZNS1_14transform_implILb1ES3_S5_PmS7_NS0_8identityIvEEEE10hipError_tT2_T3_mT4_P12ihipStream_tbEUlT_E_NS1_11comp_targetILNS1_3genE0ELNS1_11target_archE4294967295ELNS1_3gpuE0ELNS1_3repE0EEENS1_30default_config_static_selectorELNS0_4arch9wavefront6targetE1EEEvT1_: ; @_ZN7rocprim17ROCPRIM_400000_NS6detail17trampoline_kernelINS0_14default_configENS1_25transform_config_selectorImLb1EEEZNS1_14transform_implILb1ES3_S5_PmS7_NS0_8identityIvEEEE10hipError_tT2_T3_mT4_P12ihipStream_tbEUlT_E_NS1_11comp_targetILNS1_3genE0ELNS1_11target_archE4294967295ELNS1_3gpuE0ELNS1_3repE0EEENS1_30default_config_static_selectorELNS0_4arch9wavefront6targetE1EEEvT1_
; %bb.0:
	s_load_dword s3, s[0:1], 0x28
	s_load_dword s5, s[0:1], 0x10
	s_lshl_b32 s4, s2, 7
	s_waitcnt lgkmcnt(0)
	s_add_i32 s3, s3, -1
	s_cmp_lg_u32 s2, s3
	s_cselect_b64 s[2:3], -1, 0
	s_sub_i32 s5, s5, s4
	v_cmp_gt_u32_e32 vcc, s5, v0
	s_or_b64 s[2:3], vcc, s[2:3]
	s_and_saveexec_b64 s[6:7], s[2:3]
	s_cbranch_execz .LBB169_2
; %bb.1:
	s_load_dwordx4 s[8:11], s[0:1], 0x0
	s_load_dwordx2 s[2:3], s[0:1], 0x18
	s_mov_b32 s5, 0
	v_lshlrev_b32_e32 v2, 3, v0
	s_waitcnt lgkmcnt(0)
	s_lshl_b64 s[0:1], s[10:11], 3
	s_add_u32 s6, s8, s0
	s_addc_u32 s7, s9, s1
	s_lshl_b64 s[4:5], s[4:5], 3
	s_add_u32 s6, s6, s4
	s_addc_u32 s7, s7, s5
	global_load_dwordx2 v[0:1], v2, s[6:7]
	s_add_u32 s0, s2, s0
	s_addc_u32 s1, s3, s1
	s_add_u32 s0, s0, s4
	s_addc_u32 s1, s1, s5
	s_waitcnt vmcnt(0)
	global_store_dwordx2 v2, v[0:1], s[0:1]
.LBB169_2:
	s_endpgm
	.section	.rodata,"a",@progbits
	.p2align	6, 0x0
	.amdhsa_kernel _ZN7rocprim17ROCPRIM_400000_NS6detail17trampoline_kernelINS0_14default_configENS1_25transform_config_selectorImLb1EEEZNS1_14transform_implILb1ES3_S5_PmS7_NS0_8identityIvEEEE10hipError_tT2_T3_mT4_P12ihipStream_tbEUlT_E_NS1_11comp_targetILNS1_3genE0ELNS1_11target_archE4294967295ELNS1_3gpuE0ELNS1_3repE0EEENS1_30default_config_static_selectorELNS0_4arch9wavefront6targetE1EEEvT1_
		.amdhsa_group_segment_fixed_size 0
		.amdhsa_private_segment_fixed_size 0
		.amdhsa_kernarg_size 296
		.amdhsa_user_sgpr_count 2
		.amdhsa_user_sgpr_dispatch_ptr 0
		.amdhsa_user_sgpr_queue_ptr 0
		.amdhsa_user_sgpr_kernarg_segment_ptr 1
		.amdhsa_user_sgpr_dispatch_id 0
		.amdhsa_user_sgpr_kernarg_preload_length 0
		.amdhsa_user_sgpr_kernarg_preload_offset 0
		.amdhsa_user_sgpr_private_segment_size 0
		.amdhsa_uses_dynamic_stack 0
		.amdhsa_enable_private_segment 0
		.amdhsa_system_sgpr_workgroup_id_x 1
		.amdhsa_system_sgpr_workgroup_id_y 0
		.amdhsa_system_sgpr_workgroup_id_z 0
		.amdhsa_system_sgpr_workgroup_info 0
		.amdhsa_system_vgpr_workitem_id 0
		.amdhsa_next_free_vgpr 3
		.amdhsa_next_free_sgpr 12
		.amdhsa_accum_offset 4
		.amdhsa_reserve_vcc 1
		.amdhsa_float_round_mode_32 0
		.amdhsa_float_round_mode_16_64 0
		.amdhsa_float_denorm_mode_32 3
		.amdhsa_float_denorm_mode_16_64 3
		.amdhsa_dx10_clamp 1
		.amdhsa_ieee_mode 1
		.amdhsa_fp16_overflow 0
		.amdhsa_tg_split 0
		.amdhsa_exception_fp_ieee_invalid_op 0
		.amdhsa_exception_fp_denorm_src 0
		.amdhsa_exception_fp_ieee_div_zero 0
		.amdhsa_exception_fp_ieee_overflow 0
		.amdhsa_exception_fp_ieee_underflow 0
		.amdhsa_exception_fp_ieee_inexact 0
		.amdhsa_exception_int_div_zero 0
	.end_amdhsa_kernel
	.section	.text._ZN7rocprim17ROCPRIM_400000_NS6detail17trampoline_kernelINS0_14default_configENS1_25transform_config_selectorImLb1EEEZNS1_14transform_implILb1ES3_S5_PmS7_NS0_8identityIvEEEE10hipError_tT2_T3_mT4_P12ihipStream_tbEUlT_E_NS1_11comp_targetILNS1_3genE0ELNS1_11target_archE4294967295ELNS1_3gpuE0ELNS1_3repE0EEENS1_30default_config_static_selectorELNS0_4arch9wavefront6targetE1EEEvT1_,"axG",@progbits,_ZN7rocprim17ROCPRIM_400000_NS6detail17trampoline_kernelINS0_14default_configENS1_25transform_config_selectorImLb1EEEZNS1_14transform_implILb1ES3_S5_PmS7_NS0_8identityIvEEEE10hipError_tT2_T3_mT4_P12ihipStream_tbEUlT_E_NS1_11comp_targetILNS1_3genE0ELNS1_11target_archE4294967295ELNS1_3gpuE0ELNS1_3repE0EEENS1_30default_config_static_selectorELNS0_4arch9wavefront6targetE1EEEvT1_,comdat
.Lfunc_end169:
	.size	_ZN7rocprim17ROCPRIM_400000_NS6detail17trampoline_kernelINS0_14default_configENS1_25transform_config_selectorImLb1EEEZNS1_14transform_implILb1ES3_S5_PmS7_NS0_8identityIvEEEE10hipError_tT2_T3_mT4_P12ihipStream_tbEUlT_E_NS1_11comp_targetILNS1_3genE0ELNS1_11target_archE4294967295ELNS1_3gpuE0ELNS1_3repE0EEENS1_30default_config_static_selectorELNS0_4arch9wavefront6targetE1EEEvT1_, .Lfunc_end169-_ZN7rocprim17ROCPRIM_400000_NS6detail17trampoline_kernelINS0_14default_configENS1_25transform_config_selectorImLb1EEEZNS1_14transform_implILb1ES3_S5_PmS7_NS0_8identityIvEEEE10hipError_tT2_T3_mT4_P12ihipStream_tbEUlT_E_NS1_11comp_targetILNS1_3genE0ELNS1_11target_archE4294967295ELNS1_3gpuE0ELNS1_3repE0EEENS1_30default_config_static_selectorELNS0_4arch9wavefront6targetE1EEEvT1_
                                        ; -- End function
	.set _ZN7rocprim17ROCPRIM_400000_NS6detail17trampoline_kernelINS0_14default_configENS1_25transform_config_selectorImLb1EEEZNS1_14transform_implILb1ES3_S5_PmS7_NS0_8identityIvEEEE10hipError_tT2_T3_mT4_P12ihipStream_tbEUlT_E_NS1_11comp_targetILNS1_3genE0ELNS1_11target_archE4294967295ELNS1_3gpuE0ELNS1_3repE0EEENS1_30default_config_static_selectorELNS0_4arch9wavefront6targetE1EEEvT1_.num_vgpr, 3
	.set _ZN7rocprim17ROCPRIM_400000_NS6detail17trampoline_kernelINS0_14default_configENS1_25transform_config_selectorImLb1EEEZNS1_14transform_implILb1ES3_S5_PmS7_NS0_8identityIvEEEE10hipError_tT2_T3_mT4_P12ihipStream_tbEUlT_E_NS1_11comp_targetILNS1_3genE0ELNS1_11target_archE4294967295ELNS1_3gpuE0ELNS1_3repE0EEENS1_30default_config_static_selectorELNS0_4arch9wavefront6targetE1EEEvT1_.num_agpr, 0
	.set _ZN7rocprim17ROCPRIM_400000_NS6detail17trampoline_kernelINS0_14default_configENS1_25transform_config_selectorImLb1EEEZNS1_14transform_implILb1ES3_S5_PmS7_NS0_8identityIvEEEE10hipError_tT2_T3_mT4_P12ihipStream_tbEUlT_E_NS1_11comp_targetILNS1_3genE0ELNS1_11target_archE4294967295ELNS1_3gpuE0ELNS1_3repE0EEENS1_30default_config_static_selectorELNS0_4arch9wavefront6targetE1EEEvT1_.numbered_sgpr, 12
	.set _ZN7rocprim17ROCPRIM_400000_NS6detail17trampoline_kernelINS0_14default_configENS1_25transform_config_selectorImLb1EEEZNS1_14transform_implILb1ES3_S5_PmS7_NS0_8identityIvEEEE10hipError_tT2_T3_mT4_P12ihipStream_tbEUlT_E_NS1_11comp_targetILNS1_3genE0ELNS1_11target_archE4294967295ELNS1_3gpuE0ELNS1_3repE0EEENS1_30default_config_static_selectorELNS0_4arch9wavefront6targetE1EEEvT1_.num_named_barrier, 0
	.set _ZN7rocprim17ROCPRIM_400000_NS6detail17trampoline_kernelINS0_14default_configENS1_25transform_config_selectorImLb1EEEZNS1_14transform_implILb1ES3_S5_PmS7_NS0_8identityIvEEEE10hipError_tT2_T3_mT4_P12ihipStream_tbEUlT_E_NS1_11comp_targetILNS1_3genE0ELNS1_11target_archE4294967295ELNS1_3gpuE0ELNS1_3repE0EEENS1_30default_config_static_selectorELNS0_4arch9wavefront6targetE1EEEvT1_.private_seg_size, 0
	.set _ZN7rocprim17ROCPRIM_400000_NS6detail17trampoline_kernelINS0_14default_configENS1_25transform_config_selectorImLb1EEEZNS1_14transform_implILb1ES3_S5_PmS7_NS0_8identityIvEEEE10hipError_tT2_T3_mT4_P12ihipStream_tbEUlT_E_NS1_11comp_targetILNS1_3genE0ELNS1_11target_archE4294967295ELNS1_3gpuE0ELNS1_3repE0EEENS1_30default_config_static_selectorELNS0_4arch9wavefront6targetE1EEEvT1_.uses_vcc, 1
	.set _ZN7rocprim17ROCPRIM_400000_NS6detail17trampoline_kernelINS0_14default_configENS1_25transform_config_selectorImLb1EEEZNS1_14transform_implILb1ES3_S5_PmS7_NS0_8identityIvEEEE10hipError_tT2_T3_mT4_P12ihipStream_tbEUlT_E_NS1_11comp_targetILNS1_3genE0ELNS1_11target_archE4294967295ELNS1_3gpuE0ELNS1_3repE0EEENS1_30default_config_static_selectorELNS0_4arch9wavefront6targetE1EEEvT1_.uses_flat_scratch, 0
	.set _ZN7rocprim17ROCPRIM_400000_NS6detail17trampoline_kernelINS0_14default_configENS1_25transform_config_selectorImLb1EEEZNS1_14transform_implILb1ES3_S5_PmS7_NS0_8identityIvEEEE10hipError_tT2_T3_mT4_P12ihipStream_tbEUlT_E_NS1_11comp_targetILNS1_3genE0ELNS1_11target_archE4294967295ELNS1_3gpuE0ELNS1_3repE0EEENS1_30default_config_static_selectorELNS0_4arch9wavefront6targetE1EEEvT1_.has_dyn_sized_stack, 0
	.set _ZN7rocprim17ROCPRIM_400000_NS6detail17trampoline_kernelINS0_14default_configENS1_25transform_config_selectorImLb1EEEZNS1_14transform_implILb1ES3_S5_PmS7_NS0_8identityIvEEEE10hipError_tT2_T3_mT4_P12ihipStream_tbEUlT_E_NS1_11comp_targetILNS1_3genE0ELNS1_11target_archE4294967295ELNS1_3gpuE0ELNS1_3repE0EEENS1_30default_config_static_selectorELNS0_4arch9wavefront6targetE1EEEvT1_.has_recursion, 0
	.set _ZN7rocprim17ROCPRIM_400000_NS6detail17trampoline_kernelINS0_14default_configENS1_25transform_config_selectorImLb1EEEZNS1_14transform_implILb1ES3_S5_PmS7_NS0_8identityIvEEEE10hipError_tT2_T3_mT4_P12ihipStream_tbEUlT_E_NS1_11comp_targetILNS1_3genE0ELNS1_11target_archE4294967295ELNS1_3gpuE0ELNS1_3repE0EEENS1_30default_config_static_selectorELNS0_4arch9wavefront6targetE1EEEvT1_.has_indirect_call, 0
	.section	.AMDGPU.csdata,"",@progbits
; Kernel info:
; codeLenInByte = 148
; TotalNumSgprs: 18
; NumVgprs: 3
; NumAgprs: 0
; TotalNumVgprs: 3
; ScratchSize: 0
; MemoryBound: 0
; FloatMode: 240
; IeeeMode: 1
; LDSByteSize: 0 bytes/workgroup (compile time only)
; SGPRBlocks: 2
; VGPRBlocks: 0
; NumSGPRsForWavesPerEU: 18
; NumVGPRsForWavesPerEU: 3
; AccumOffset: 4
; Occupancy: 8
; WaveLimiterHint : 0
; COMPUTE_PGM_RSRC2:SCRATCH_EN: 0
; COMPUTE_PGM_RSRC2:USER_SGPR: 2
; COMPUTE_PGM_RSRC2:TRAP_HANDLER: 0
; COMPUTE_PGM_RSRC2:TGID_X_EN: 1
; COMPUTE_PGM_RSRC2:TGID_Y_EN: 0
; COMPUTE_PGM_RSRC2:TGID_Z_EN: 0
; COMPUTE_PGM_RSRC2:TIDIG_COMP_CNT: 0
; COMPUTE_PGM_RSRC3_GFX90A:ACCUM_OFFSET: 0
; COMPUTE_PGM_RSRC3_GFX90A:TG_SPLIT: 0
	.section	.text._ZN7rocprim17ROCPRIM_400000_NS6detail17trampoline_kernelINS0_14default_configENS1_25transform_config_selectorImLb1EEEZNS1_14transform_implILb1ES3_S5_PmS7_NS0_8identityIvEEEE10hipError_tT2_T3_mT4_P12ihipStream_tbEUlT_E_NS1_11comp_targetILNS1_3genE10ELNS1_11target_archE1201ELNS1_3gpuE5ELNS1_3repE0EEENS1_30default_config_static_selectorELNS0_4arch9wavefront6targetE1EEEvT1_,"axG",@progbits,_ZN7rocprim17ROCPRIM_400000_NS6detail17trampoline_kernelINS0_14default_configENS1_25transform_config_selectorImLb1EEEZNS1_14transform_implILb1ES3_S5_PmS7_NS0_8identityIvEEEE10hipError_tT2_T3_mT4_P12ihipStream_tbEUlT_E_NS1_11comp_targetILNS1_3genE10ELNS1_11target_archE1201ELNS1_3gpuE5ELNS1_3repE0EEENS1_30default_config_static_selectorELNS0_4arch9wavefront6targetE1EEEvT1_,comdat
	.protected	_ZN7rocprim17ROCPRIM_400000_NS6detail17trampoline_kernelINS0_14default_configENS1_25transform_config_selectorImLb1EEEZNS1_14transform_implILb1ES3_S5_PmS7_NS0_8identityIvEEEE10hipError_tT2_T3_mT4_P12ihipStream_tbEUlT_E_NS1_11comp_targetILNS1_3genE10ELNS1_11target_archE1201ELNS1_3gpuE5ELNS1_3repE0EEENS1_30default_config_static_selectorELNS0_4arch9wavefront6targetE1EEEvT1_ ; -- Begin function _ZN7rocprim17ROCPRIM_400000_NS6detail17trampoline_kernelINS0_14default_configENS1_25transform_config_selectorImLb1EEEZNS1_14transform_implILb1ES3_S5_PmS7_NS0_8identityIvEEEE10hipError_tT2_T3_mT4_P12ihipStream_tbEUlT_E_NS1_11comp_targetILNS1_3genE10ELNS1_11target_archE1201ELNS1_3gpuE5ELNS1_3repE0EEENS1_30default_config_static_selectorELNS0_4arch9wavefront6targetE1EEEvT1_
	.globl	_ZN7rocprim17ROCPRIM_400000_NS6detail17trampoline_kernelINS0_14default_configENS1_25transform_config_selectorImLb1EEEZNS1_14transform_implILb1ES3_S5_PmS7_NS0_8identityIvEEEE10hipError_tT2_T3_mT4_P12ihipStream_tbEUlT_E_NS1_11comp_targetILNS1_3genE10ELNS1_11target_archE1201ELNS1_3gpuE5ELNS1_3repE0EEENS1_30default_config_static_selectorELNS0_4arch9wavefront6targetE1EEEvT1_
	.p2align	8
	.type	_ZN7rocprim17ROCPRIM_400000_NS6detail17trampoline_kernelINS0_14default_configENS1_25transform_config_selectorImLb1EEEZNS1_14transform_implILb1ES3_S5_PmS7_NS0_8identityIvEEEE10hipError_tT2_T3_mT4_P12ihipStream_tbEUlT_E_NS1_11comp_targetILNS1_3genE10ELNS1_11target_archE1201ELNS1_3gpuE5ELNS1_3repE0EEENS1_30default_config_static_selectorELNS0_4arch9wavefront6targetE1EEEvT1_,@function
_ZN7rocprim17ROCPRIM_400000_NS6detail17trampoline_kernelINS0_14default_configENS1_25transform_config_selectorImLb1EEEZNS1_14transform_implILb1ES3_S5_PmS7_NS0_8identityIvEEEE10hipError_tT2_T3_mT4_P12ihipStream_tbEUlT_E_NS1_11comp_targetILNS1_3genE10ELNS1_11target_archE1201ELNS1_3gpuE5ELNS1_3repE0EEENS1_30default_config_static_selectorELNS0_4arch9wavefront6targetE1EEEvT1_: ; @_ZN7rocprim17ROCPRIM_400000_NS6detail17trampoline_kernelINS0_14default_configENS1_25transform_config_selectorImLb1EEEZNS1_14transform_implILb1ES3_S5_PmS7_NS0_8identityIvEEEE10hipError_tT2_T3_mT4_P12ihipStream_tbEUlT_E_NS1_11comp_targetILNS1_3genE10ELNS1_11target_archE1201ELNS1_3gpuE5ELNS1_3repE0EEENS1_30default_config_static_selectorELNS0_4arch9wavefront6targetE1EEEvT1_
; %bb.0:
	.section	.rodata,"a",@progbits
	.p2align	6, 0x0
	.amdhsa_kernel _ZN7rocprim17ROCPRIM_400000_NS6detail17trampoline_kernelINS0_14default_configENS1_25transform_config_selectorImLb1EEEZNS1_14transform_implILb1ES3_S5_PmS7_NS0_8identityIvEEEE10hipError_tT2_T3_mT4_P12ihipStream_tbEUlT_E_NS1_11comp_targetILNS1_3genE10ELNS1_11target_archE1201ELNS1_3gpuE5ELNS1_3repE0EEENS1_30default_config_static_selectorELNS0_4arch9wavefront6targetE1EEEvT1_
		.amdhsa_group_segment_fixed_size 0
		.amdhsa_private_segment_fixed_size 0
		.amdhsa_kernarg_size 40
		.amdhsa_user_sgpr_count 2
		.amdhsa_user_sgpr_dispatch_ptr 0
		.amdhsa_user_sgpr_queue_ptr 0
		.amdhsa_user_sgpr_kernarg_segment_ptr 1
		.amdhsa_user_sgpr_dispatch_id 0
		.amdhsa_user_sgpr_kernarg_preload_length 0
		.amdhsa_user_sgpr_kernarg_preload_offset 0
		.amdhsa_user_sgpr_private_segment_size 0
		.amdhsa_uses_dynamic_stack 0
		.amdhsa_enable_private_segment 0
		.amdhsa_system_sgpr_workgroup_id_x 1
		.amdhsa_system_sgpr_workgroup_id_y 0
		.amdhsa_system_sgpr_workgroup_id_z 0
		.amdhsa_system_sgpr_workgroup_info 0
		.amdhsa_system_vgpr_workitem_id 0
		.amdhsa_next_free_vgpr 1
		.amdhsa_next_free_sgpr 0
		.amdhsa_accum_offset 4
		.amdhsa_reserve_vcc 0
		.amdhsa_float_round_mode_32 0
		.amdhsa_float_round_mode_16_64 0
		.amdhsa_float_denorm_mode_32 3
		.amdhsa_float_denorm_mode_16_64 3
		.amdhsa_dx10_clamp 1
		.amdhsa_ieee_mode 1
		.amdhsa_fp16_overflow 0
		.amdhsa_tg_split 0
		.amdhsa_exception_fp_ieee_invalid_op 0
		.amdhsa_exception_fp_denorm_src 0
		.amdhsa_exception_fp_ieee_div_zero 0
		.amdhsa_exception_fp_ieee_overflow 0
		.amdhsa_exception_fp_ieee_underflow 0
		.amdhsa_exception_fp_ieee_inexact 0
		.amdhsa_exception_int_div_zero 0
	.end_amdhsa_kernel
	.section	.text._ZN7rocprim17ROCPRIM_400000_NS6detail17trampoline_kernelINS0_14default_configENS1_25transform_config_selectorImLb1EEEZNS1_14transform_implILb1ES3_S5_PmS7_NS0_8identityIvEEEE10hipError_tT2_T3_mT4_P12ihipStream_tbEUlT_E_NS1_11comp_targetILNS1_3genE10ELNS1_11target_archE1201ELNS1_3gpuE5ELNS1_3repE0EEENS1_30default_config_static_selectorELNS0_4arch9wavefront6targetE1EEEvT1_,"axG",@progbits,_ZN7rocprim17ROCPRIM_400000_NS6detail17trampoline_kernelINS0_14default_configENS1_25transform_config_selectorImLb1EEEZNS1_14transform_implILb1ES3_S5_PmS7_NS0_8identityIvEEEE10hipError_tT2_T3_mT4_P12ihipStream_tbEUlT_E_NS1_11comp_targetILNS1_3genE10ELNS1_11target_archE1201ELNS1_3gpuE5ELNS1_3repE0EEENS1_30default_config_static_selectorELNS0_4arch9wavefront6targetE1EEEvT1_,comdat
.Lfunc_end170:
	.size	_ZN7rocprim17ROCPRIM_400000_NS6detail17trampoline_kernelINS0_14default_configENS1_25transform_config_selectorImLb1EEEZNS1_14transform_implILb1ES3_S5_PmS7_NS0_8identityIvEEEE10hipError_tT2_T3_mT4_P12ihipStream_tbEUlT_E_NS1_11comp_targetILNS1_3genE10ELNS1_11target_archE1201ELNS1_3gpuE5ELNS1_3repE0EEENS1_30default_config_static_selectorELNS0_4arch9wavefront6targetE1EEEvT1_, .Lfunc_end170-_ZN7rocprim17ROCPRIM_400000_NS6detail17trampoline_kernelINS0_14default_configENS1_25transform_config_selectorImLb1EEEZNS1_14transform_implILb1ES3_S5_PmS7_NS0_8identityIvEEEE10hipError_tT2_T3_mT4_P12ihipStream_tbEUlT_E_NS1_11comp_targetILNS1_3genE10ELNS1_11target_archE1201ELNS1_3gpuE5ELNS1_3repE0EEENS1_30default_config_static_selectorELNS0_4arch9wavefront6targetE1EEEvT1_
                                        ; -- End function
	.set _ZN7rocprim17ROCPRIM_400000_NS6detail17trampoline_kernelINS0_14default_configENS1_25transform_config_selectorImLb1EEEZNS1_14transform_implILb1ES3_S5_PmS7_NS0_8identityIvEEEE10hipError_tT2_T3_mT4_P12ihipStream_tbEUlT_E_NS1_11comp_targetILNS1_3genE10ELNS1_11target_archE1201ELNS1_3gpuE5ELNS1_3repE0EEENS1_30default_config_static_selectorELNS0_4arch9wavefront6targetE1EEEvT1_.num_vgpr, 0
	.set _ZN7rocprim17ROCPRIM_400000_NS6detail17trampoline_kernelINS0_14default_configENS1_25transform_config_selectorImLb1EEEZNS1_14transform_implILb1ES3_S5_PmS7_NS0_8identityIvEEEE10hipError_tT2_T3_mT4_P12ihipStream_tbEUlT_E_NS1_11comp_targetILNS1_3genE10ELNS1_11target_archE1201ELNS1_3gpuE5ELNS1_3repE0EEENS1_30default_config_static_selectorELNS0_4arch9wavefront6targetE1EEEvT1_.num_agpr, 0
	.set _ZN7rocprim17ROCPRIM_400000_NS6detail17trampoline_kernelINS0_14default_configENS1_25transform_config_selectorImLb1EEEZNS1_14transform_implILb1ES3_S5_PmS7_NS0_8identityIvEEEE10hipError_tT2_T3_mT4_P12ihipStream_tbEUlT_E_NS1_11comp_targetILNS1_3genE10ELNS1_11target_archE1201ELNS1_3gpuE5ELNS1_3repE0EEENS1_30default_config_static_selectorELNS0_4arch9wavefront6targetE1EEEvT1_.numbered_sgpr, 0
	.set _ZN7rocprim17ROCPRIM_400000_NS6detail17trampoline_kernelINS0_14default_configENS1_25transform_config_selectorImLb1EEEZNS1_14transform_implILb1ES3_S5_PmS7_NS0_8identityIvEEEE10hipError_tT2_T3_mT4_P12ihipStream_tbEUlT_E_NS1_11comp_targetILNS1_3genE10ELNS1_11target_archE1201ELNS1_3gpuE5ELNS1_3repE0EEENS1_30default_config_static_selectorELNS0_4arch9wavefront6targetE1EEEvT1_.num_named_barrier, 0
	.set _ZN7rocprim17ROCPRIM_400000_NS6detail17trampoline_kernelINS0_14default_configENS1_25transform_config_selectorImLb1EEEZNS1_14transform_implILb1ES3_S5_PmS7_NS0_8identityIvEEEE10hipError_tT2_T3_mT4_P12ihipStream_tbEUlT_E_NS1_11comp_targetILNS1_3genE10ELNS1_11target_archE1201ELNS1_3gpuE5ELNS1_3repE0EEENS1_30default_config_static_selectorELNS0_4arch9wavefront6targetE1EEEvT1_.private_seg_size, 0
	.set _ZN7rocprim17ROCPRIM_400000_NS6detail17trampoline_kernelINS0_14default_configENS1_25transform_config_selectorImLb1EEEZNS1_14transform_implILb1ES3_S5_PmS7_NS0_8identityIvEEEE10hipError_tT2_T3_mT4_P12ihipStream_tbEUlT_E_NS1_11comp_targetILNS1_3genE10ELNS1_11target_archE1201ELNS1_3gpuE5ELNS1_3repE0EEENS1_30default_config_static_selectorELNS0_4arch9wavefront6targetE1EEEvT1_.uses_vcc, 0
	.set _ZN7rocprim17ROCPRIM_400000_NS6detail17trampoline_kernelINS0_14default_configENS1_25transform_config_selectorImLb1EEEZNS1_14transform_implILb1ES3_S5_PmS7_NS0_8identityIvEEEE10hipError_tT2_T3_mT4_P12ihipStream_tbEUlT_E_NS1_11comp_targetILNS1_3genE10ELNS1_11target_archE1201ELNS1_3gpuE5ELNS1_3repE0EEENS1_30default_config_static_selectorELNS0_4arch9wavefront6targetE1EEEvT1_.uses_flat_scratch, 0
	.set _ZN7rocprim17ROCPRIM_400000_NS6detail17trampoline_kernelINS0_14default_configENS1_25transform_config_selectorImLb1EEEZNS1_14transform_implILb1ES3_S5_PmS7_NS0_8identityIvEEEE10hipError_tT2_T3_mT4_P12ihipStream_tbEUlT_E_NS1_11comp_targetILNS1_3genE10ELNS1_11target_archE1201ELNS1_3gpuE5ELNS1_3repE0EEENS1_30default_config_static_selectorELNS0_4arch9wavefront6targetE1EEEvT1_.has_dyn_sized_stack, 0
	.set _ZN7rocprim17ROCPRIM_400000_NS6detail17trampoline_kernelINS0_14default_configENS1_25transform_config_selectorImLb1EEEZNS1_14transform_implILb1ES3_S5_PmS7_NS0_8identityIvEEEE10hipError_tT2_T3_mT4_P12ihipStream_tbEUlT_E_NS1_11comp_targetILNS1_3genE10ELNS1_11target_archE1201ELNS1_3gpuE5ELNS1_3repE0EEENS1_30default_config_static_selectorELNS0_4arch9wavefront6targetE1EEEvT1_.has_recursion, 0
	.set _ZN7rocprim17ROCPRIM_400000_NS6detail17trampoline_kernelINS0_14default_configENS1_25transform_config_selectorImLb1EEEZNS1_14transform_implILb1ES3_S5_PmS7_NS0_8identityIvEEEE10hipError_tT2_T3_mT4_P12ihipStream_tbEUlT_E_NS1_11comp_targetILNS1_3genE10ELNS1_11target_archE1201ELNS1_3gpuE5ELNS1_3repE0EEENS1_30default_config_static_selectorELNS0_4arch9wavefront6targetE1EEEvT1_.has_indirect_call, 0
	.section	.AMDGPU.csdata,"",@progbits
; Kernel info:
; codeLenInByte = 0
; TotalNumSgprs: 6
; NumVgprs: 0
; NumAgprs: 0
; TotalNumVgprs: 0
; ScratchSize: 0
; MemoryBound: 0
; FloatMode: 240
; IeeeMode: 1
; LDSByteSize: 0 bytes/workgroup (compile time only)
; SGPRBlocks: 0
; VGPRBlocks: 0
; NumSGPRsForWavesPerEU: 6
; NumVGPRsForWavesPerEU: 1
; AccumOffset: 4
; Occupancy: 8
; WaveLimiterHint : 0
; COMPUTE_PGM_RSRC2:SCRATCH_EN: 0
; COMPUTE_PGM_RSRC2:USER_SGPR: 2
; COMPUTE_PGM_RSRC2:TRAP_HANDLER: 0
; COMPUTE_PGM_RSRC2:TGID_X_EN: 1
; COMPUTE_PGM_RSRC2:TGID_Y_EN: 0
; COMPUTE_PGM_RSRC2:TGID_Z_EN: 0
; COMPUTE_PGM_RSRC2:TIDIG_COMP_CNT: 0
; COMPUTE_PGM_RSRC3_GFX90A:ACCUM_OFFSET: 0
; COMPUTE_PGM_RSRC3_GFX90A:TG_SPLIT: 0
	.section	.text._ZN7rocprim17ROCPRIM_400000_NS6detail17trampoline_kernelINS0_14default_configENS1_25transform_config_selectorImLb1EEEZNS1_14transform_implILb1ES3_S5_PmS7_NS0_8identityIvEEEE10hipError_tT2_T3_mT4_P12ihipStream_tbEUlT_E_NS1_11comp_targetILNS1_3genE5ELNS1_11target_archE942ELNS1_3gpuE9ELNS1_3repE0EEENS1_30default_config_static_selectorELNS0_4arch9wavefront6targetE1EEEvT1_,"axG",@progbits,_ZN7rocprim17ROCPRIM_400000_NS6detail17trampoline_kernelINS0_14default_configENS1_25transform_config_selectorImLb1EEEZNS1_14transform_implILb1ES3_S5_PmS7_NS0_8identityIvEEEE10hipError_tT2_T3_mT4_P12ihipStream_tbEUlT_E_NS1_11comp_targetILNS1_3genE5ELNS1_11target_archE942ELNS1_3gpuE9ELNS1_3repE0EEENS1_30default_config_static_selectorELNS0_4arch9wavefront6targetE1EEEvT1_,comdat
	.protected	_ZN7rocprim17ROCPRIM_400000_NS6detail17trampoline_kernelINS0_14default_configENS1_25transform_config_selectorImLb1EEEZNS1_14transform_implILb1ES3_S5_PmS7_NS0_8identityIvEEEE10hipError_tT2_T3_mT4_P12ihipStream_tbEUlT_E_NS1_11comp_targetILNS1_3genE5ELNS1_11target_archE942ELNS1_3gpuE9ELNS1_3repE0EEENS1_30default_config_static_selectorELNS0_4arch9wavefront6targetE1EEEvT1_ ; -- Begin function _ZN7rocprim17ROCPRIM_400000_NS6detail17trampoline_kernelINS0_14default_configENS1_25transform_config_selectorImLb1EEEZNS1_14transform_implILb1ES3_S5_PmS7_NS0_8identityIvEEEE10hipError_tT2_T3_mT4_P12ihipStream_tbEUlT_E_NS1_11comp_targetILNS1_3genE5ELNS1_11target_archE942ELNS1_3gpuE9ELNS1_3repE0EEENS1_30default_config_static_selectorELNS0_4arch9wavefront6targetE1EEEvT1_
	.globl	_ZN7rocprim17ROCPRIM_400000_NS6detail17trampoline_kernelINS0_14default_configENS1_25transform_config_selectorImLb1EEEZNS1_14transform_implILb1ES3_S5_PmS7_NS0_8identityIvEEEE10hipError_tT2_T3_mT4_P12ihipStream_tbEUlT_E_NS1_11comp_targetILNS1_3genE5ELNS1_11target_archE942ELNS1_3gpuE9ELNS1_3repE0EEENS1_30default_config_static_selectorELNS0_4arch9wavefront6targetE1EEEvT1_
	.p2align	8
	.type	_ZN7rocprim17ROCPRIM_400000_NS6detail17trampoline_kernelINS0_14default_configENS1_25transform_config_selectorImLb1EEEZNS1_14transform_implILb1ES3_S5_PmS7_NS0_8identityIvEEEE10hipError_tT2_T3_mT4_P12ihipStream_tbEUlT_E_NS1_11comp_targetILNS1_3genE5ELNS1_11target_archE942ELNS1_3gpuE9ELNS1_3repE0EEENS1_30default_config_static_selectorELNS0_4arch9wavefront6targetE1EEEvT1_,@function
_ZN7rocprim17ROCPRIM_400000_NS6detail17trampoline_kernelINS0_14default_configENS1_25transform_config_selectorImLb1EEEZNS1_14transform_implILb1ES3_S5_PmS7_NS0_8identityIvEEEE10hipError_tT2_T3_mT4_P12ihipStream_tbEUlT_E_NS1_11comp_targetILNS1_3genE5ELNS1_11target_archE942ELNS1_3gpuE9ELNS1_3repE0EEENS1_30default_config_static_selectorELNS0_4arch9wavefront6targetE1EEEvT1_: ; @_ZN7rocprim17ROCPRIM_400000_NS6detail17trampoline_kernelINS0_14default_configENS1_25transform_config_selectorImLb1EEEZNS1_14transform_implILb1ES3_S5_PmS7_NS0_8identityIvEEEE10hipError_tT2_T3_mT4_P12ihipStream_tbEUlT_E_NS1_11comp_targetILNS1_3genE5ELNS1_11target_archE942ELNS1_3gpuE9ELNS1_3repE0EEENS1_30default_config_static_selectorELNS0_4arch9wavefront6targetE1EEEvT1_
; %bb.0:
	.section	.rodata,"a",@progbits
	.p2align	6, 0x0
	.amdhsa_kernel _ZN7rocprim17ROCPRIM_400000_NS6detail17trampoline_kernelINS0_14default_configENS1_25transform_config_selectorImLb1EEEZNS1_14transform_implILb1ES3_S5_PmS7_NS0_8identityIvEEEE10hipError_tT2_T3_mT4_P12ihipStream_tbEUlT_E_NS1_11comp_targetILNS1_3genE5ELNS1_11target_archE942ELNS1_3gpuE9ELNS1_3repE0EEENS1_30default_config_static_selectorELNS0_4arch9wavefront6targetE1EEEvT1_
		.amdhsa_group_segment_fixed_size 0
		.amdhsa_private_segment_fixed_size 0
		.amdhsa_kernarg_size 40
		.amdhsa_user_sgpr_count 2
		.amdhsa_user_sgpr_dispatch_ptr 0
		.amdhsa_user_sgpr_queue_ptr 0
		.amdhsa_user_sgpr_kernarg_segment_ptr 1
		.amdhsa_user_sgpr_dispatch_id 0
		.amdhsa_user_sgpr_kernarg_preload_length 0
		.amdhsa_user_sgpr_kernarg_preload_offset 0
		.amdhsa_user_sgpr_private_segment_size 0
		.amdhsa_uses_dynamic_stack 0
		.amdhsa_enable_private_segment 0
		.amdhsa_system_sgpr_workgroup_id_x 1
		.amdhsa_system_sgpr_workgroup_id_y 0
		.amdhsa_system_sgpr_workgroup_id_z 0
		.amdhsa_system_sgpr_workgroup_info 0
		.amdhsa_system_vgpr_workitem_id 0
		.amdhsa_next_free_vgpr 1
		.amdhsa_next_free_sgpr 0
		.amdhsa_accum_offset 4
		.amdhsa_reserve_vcc 0
		.amdhsa_float_round_mode_32 0
		.amdhsa_float_round_mode_16_64 0
		.amdhsa_float_denorm_mode_32 3
		.amdhsa_float_denorm_mode_16_64 3
		.amdhsa_dx10_clamp 1
		.amdhsa_ieee_mode 1
		.amdhsa_fp16_overflow 0
		.amdhsa_tg_split 0
		.amdhsa_exception_fp_ieee_invalid_op 0
		.amdhsa_exception_fp_denorm_src 0
		.amdhsa_exception_fp_ieee_div_zero 0
		.amdhsa_exception_fp_ieee_overflow 0
		.amdhsa_exception_fp_ieee_underflow 0
		.amdhsa_exception_fp_ieee_inexact 0
		.amdhsa_exception_int_div_zero 0
	.end_amdhsa_kernel
	.section	.text._ZN7rocprim17ROCPRIM_400000_NS6detail17trampoline_kernelINS0_14default_configENS1_25transform_config_selectorImLb1EEEZNS1_14transform_implILb1ES3_S5_PmS7_NS0_8identityIvEEEE10hipError_tT2_T3_mT4_P12ihipStream_tbEUlT_E_NS1_11comp_targetILNS1_3genE5ELNS1_11target_archE942ELNS1_3gpuE9ELNS1_3repE0EEENS1_30default_config_static_selectorELNS0_4arch9wavefront6targetE1EEEvT1_,"axG",@progbits,_ZN7rocprim17ROCPRIM_400000_NS6detail17trampoline_kernelINS0_14default_configENS1_25transform_config_selectorImLb1EEEZNS1_14transform_implILb1ES3_S5_PmS7_NS0_8identityIvEEEE10hipError_tT2_T3_mT4_P12ihipStream_tbEUlT_E_NS1_11comp_targetILNS1_3genE5ELNS1_11target_archE942ELNS1_3gpuE9ELNS1_3repE0EEENS1_30default_config_static_selectorELNS0_4arch9wavefront6targetE1EEEvT1_,comdat
.Lfunc_end171:
	.size	_ZN7rocprim17ROCPRIM_400000_NS6detail17trampoline_kernelINS0_14default_configENS1_25transform_config_selectorImLb1EEEZNS1_14transform_implILb1ES3_S5_PmS7_NS0_8identityIvEEEE10hipError_tT2_T3_mT4_P12ihipStream_tbEUlT_E_NS1_11comp_targetILNS1_3genE5ELNS1_11target_archE942ELNS1_3gpuE9ELNS1_3repE0EEENS1_30default_config_static_selectorELNS0_4arch9wavefront6targetE1EEEvT1_, .Lfunc_end171-_ZN7rocprim17ROCPRIM_400000_NS6detail17trampoline_kernelINS0_14default_configENS1_25transform_config_selectorImLb1EEEZNS1_14transform_implILb1ES3_S5_PmS7_NS0_8identityIvEEEE10hipError_tT2_T3_mT4_P12ihipStream_tbEUlT_E_NS1_11comp_targetILNS1_3genE5ELNS1_11target_archE942ELNS1_3gpuE9ELNS1_3repE0EEENS1_30default_config_static_selectorELNS0_4arch9wavefront6targetE1EEEvT1_
                                        ; -- End function
	.set _ZN7rocprim17ROCPRIM_400000_NS6detail17trampoline_kernelINS0_14default_configENS1_25transform_config_selectorImLb1EEEZNS1_14transform_implILb1ES3_S5_PmS7_NS0_8identityIvEEEE10hipError_tT2_T3_mT4_P12ihipStream_tbEUlT_E_NS1_11comp_targetILNS1_3genE5ELNS1_11target_archE942ELNS1_3gpuE9ELNS1_3repE0EEENS1_30default_config_static_selectorELNS0_4arch9wavefront6targetE1EEEvT1_.num_vgpr, 0
	.set _ZN7rocprim17ROCPRIM_400000_NS6detail17trampoline_kernelINS0_14default_configENS1_25transform_config_selectorImLb1EEEZNS1_14transform_implILb1ES3_S5_PmS7_NS0_8identityIvEEEE10hipError_tT2_T3_mT4_P12ihipStream_tbEUlT_E_NS1_11comp_targetILNS1_3genE5ELNS1_11target_archE942ELNS1_3gpuE9ELNS1_3repE0EEENS1_30default_config_static_selectorELNS0_4arch9wavefront6targetE1EEEvT1_.num_agpr, 0
	.set _ZN7rocprim17ROCPRIM_400000_NS6detail17trampoline_kernelINS0_14default_configENS1_25transform_config_selectorImLb1EEEZNS1_14transform_implILb1ES3_S5_PmS7_NS0_8identityIvEEEE10hipError_tT2_T3_mT4_P12ihipStream_tbEUlT_E_NS1_11comp_targetILNS1_3genE5ELNS1_11target_archE942ELNS1_3gpuE9ELNS1_3repE0EEENS1_30default_config_static_selectorELNS0_4arch9wavefront6targetE1EEEvT1_.numbered_sgpr, 0
	.set _ZN7rocprim17ROCPRIM_400000_NS6detail17trampoline_kernelINS0_14default_configENS1_25transform_config_selectorImLb1EEEZNS1_14transform_implILb1ES3_S5_PmS7_NS0_8identityIvEEEE10hipError_tT2_T3_mT4_P12ihipStream_tbEUlT_E_NS1_11comp_targetILNS1_3genE5ELNS1_11target_archE942ELNS1_3gpuE9ELNS1_3repE0EEENS1_30default_config_static_selectorELNS0_4arch9wavefront6targetE1EEEvT1_.num_named_barrier, 0
	.set _ZN7rocprim17ROCPRIM_400000_NS6detail17trampoline_kernelINS0_14default_configENS1_25transform_config_selectorImLb1EEEZNS1_14transform_implILb1ES3_S5_PmS7_NS0_8identityIvEEEE10hipError_tT2_T3_mT4_P12ihipStream_tbEUlT_E_NS1_11comp_targetILNS1_3genE5ELNS1_11target_archE942ELNS1_3gpuE9ELNS1_3repE0EEENS1_30default_config_static_selectorELNS0_4arch9wavefront6targetE1EEEvT1_.private_seg_size, 0
	.set _ZN7rocprim17ROCPRIM_400000_NS6detail17trampoline_kernelINS0_14default_configENS1_25transform_config_selectorImLb1EEEZNS1_14transform_implILb1ES3_S5_PmS7_NS0_8identityIvEEEE10hipError_tT2_T3_mT4_P12ihipStream_tbEUlT_E_NS1_11comp_targetILNS1_3genE5ELNS1_11target_archE942ELNS1_3gpuE9ELNS1_3repE0EEENS1_30default_config_static_selectorELNS0_4arch9wavefront6targetE1EEEvT1_.uses_vcc, 0
	.set _ZN7rocprim17ROCPRIM_400000_NS6detail17trampoline_kernelINS0_14default_configENS1_25transform_config_selectorImLb1EEEZNS1_14transform_implILb1ES3_S5_PmS7_NS0_8identityIvEEEE10hipError_tT2_T3_mT4_P12ihipStream_tbEUlT_E_NS1_11comp_targetILNS1_3genE5ELNS1_11target_archE942ELNS1_3gpuE9ELNS1_3repE0EEENS1_30default_config_static_selectorELNS0_4arch9wavefront6targetE1EEEvT1_.uses_flat_scratch, 0
	.set _ZN7rocprim17ROCPRIM_400000_NS6detail17trampoline_kernelINS0_14default_configENS1_25transform_config_selectorImLb1EEEZNS1_14transform_implILb1ES3_S5_PmS7_NS0_8identityIvEEEE10hipError_tT2_T3_mT4_P12ihipStream_tbEUlT_E_NS1_11comp_targetILNS1_3genE5ELNS1_11target_archE942ELNS1_3gpuE9ELNS1_3repE0EEENS1_30default_config_static_selectorELNS0_4arch9wavefront6targetE1EEEvT1_.has_dyn_sized_stack, 0
	.set _ZN7rocprim17ROCPRIM_400000_NS6detail17trampoline_kernelINS0_14default_configENS1_25transform_config_selectorImLb1EEEZNS1_14transform_implILb1ES3_S5_PmS7_NS0_8identityIvEEEE10hipError_tT2_T3_mT4_P12ihipStream_tbEUlT_E_NS1_11comp_targetILNS1_3genE5ELNS1_11target_archE942ELNS1_3gpuE9ELNS1_3repE0EEENS1_30default_config_static_selectorELNS0_4arch9wavefront6targetE1EEEvT1_.has_recursion, 0
	.set _ZN7rocprim17ROCPRIM_400000_NS6detail17trampoline_kernelINS0_14default_configENS1_25transform_config_selectorImLb1EEEZNS1_14transform_implILb1ES3_S5_PmS7_NS0_8identityIvEEEE10hipError_tT2_T3_mT4_P12ihipStream_tbEUlT_E_NS1_11comp_targetILNS1_3genE5ELNS1_11target_archE942ELNS1_3gpuE9ELNS1_3repE0EEENS1_30default_config_static_selectorELNS0_4arch9wavefront6targetE1EEEvT1_.has_indirect_call, 0
	.section	.AMDGPU.csdata,"",@progbits
; Kernel info:
; codeLenInByte = 0
; TotalNumSgprs: 6
; NumVgprs: 0
; NumAgprs: 0
; TotalNumVgprs: 0
; ScratchSize: 0
; MemoryBound: 0
; FloatMode: 240
; IeeeMode: 1
; LDSByteSize: 0 bytes/workgroup (compile time only)
; SGPRBlocks: 0
; VGPRBlocks: 0
; NumSGPRsForWavesPerEU: 6
; NumVGPRsForWavesPerEU: 1
; AccumOffset: 4
; Occupancy: 8
; WaveLimiterHint : 0
; COMPUTE_PGM_RSRC2:SCRATCH_EN: 0
; COMPUTE_PGM_RSRC2:USER_SGPR: 2
; COMPUTE_PGM_RSRC2:TRAP_HANDLER: 0
; COMPUTE_PGM_RSRC2:TGID_X_EN: 1
; COMPUTE_PGM_RSRC2:TGID_Y_EN: 0
; COMPUTE_PGM_RSRC2:TGID_Z_EN: 0
; COMPUTE_PGM_RSRC2:TIDIG_COMP_CNT: 0
; COMPUTE_PGM_RSRC3_GFX90A:ACCUM_OFFSET: 0
; COMPUTE_PGM_RSRC3_GFX90A:TG_SPLIT: 0
	.section	.text._ZN7rocprim17ROCPRIM_400000_NS6detail17trampoline_kernelINS0_14default_configENS1_25transform_config_selectorImLb1EEEZNS1_14transform_implILb1ES3_S5_PmS7_NS0_8identityIvEEEE10hipError_tT2_T3_mT4_P12ihipStream_tbEUlT_E_NS1_11comp_targetILNS1_3genE4ELNS1_11target_archE910ELNS1_3gpuE8ELNS1_3repE0EEENS1_30default_config_static_selectorELNS0_4arch9wavefront6targetE1EEEvT1_,"axG",@progbits,_ZN7rocprim17ROCPRIM_400000_NS6detail17trampoline_kernelINS0_14default_configENS1_25transform_config_selectorImLb1EEEZNS1_14transform_implILb1ES3_S5_PmS7_NS0_8identityIvEEEE10hipError_tT2_T3_mT4_P12ihipStream_tbEUlT_E_NS1_11comp_targetILNS1_3genE4ELNS1_11target_archE910ELNS1_3gpuE8ELNS1_3repE0EEENS1_30default_config_static_selectorELNS0_4arch9wavefront6targetE1EEEvT1_,comdat
	.protected	_ZN7rocprim17ROCPRIM_400000_NS6detail17trampoline_kernelINS0_14default_configENS1_25transform_config_selectorImLb1EEEZNS1_14transform_implILb1ES3_S5_PmS7_NS0_8identityIvEEEE10hipError_tT2_T3_mT4_P12ihipStream_tbEUlT_E_NS1_11comp_targetILNS1_3genE4ELNS1_11target_archE910ELNS1_3gpuE8ELNS1_3repE0EEENS1_30default_config_static_selectorELNS0_4arch9wavefront6targetE1EEEvT1_ ; -- Begin function _ZN7rocprim17ROCPRIM_400000_NS6detail17trampoline_kernelINS0_14default_configENS1_25transform_config_selectorImLb1EEEZNS1_14transform_implILb1ES3_S5_PmS7_NS0_8identityIvEEEE10hipError_tT2_T3_mT4_P12ihipStream_tbEUlT_E_NS1_11comp_targetILNS1_3genE4ELNS1_11target_archE910ELNS1_3gpuE8ELNS1_3repE0EEENS1_30default_config_static_selectorELNS0_4arch9wavefront6targetE1EEEvT1_
	.globl	_ZN7rocprim17ROCPRIM_400000_NS6detail17trampoline_kernelINS0_14default_configENS1_25transform_config_selectorImLb1EEEZNS1_14transform_implILb1ES3_S5_PmS7_NS0_8identityIvEEEE10hipError_tT2_T3_mT4_P12ihipStream_tbEUlT_E_NS1_11comp_targetILNS1_3genE4ELNS1_11target_archE910ELNS1_3gpuE8ELNS1_3repE0EEENS1_30default_config_static_selectorELNS0_4arch9wavefront6targetE1EEEvT1_
	.p2align	8
	.type	_ZN7rocprim17ROCPRIM_400000_NS6detail17trampoline_kernelINS0_14default_configENS1_25transform_config_selectorImLb1EEEZNS1_14transform_implILb1ES3_S5_PmS7_NS0_8identityIvEEEE10hipError_tT2_T3_mT4_P12ihipStream_tbEUlT_E_NS1_11comp_targetILNS1_3genE4ELNS1_11target_archE910ELNS1_3gpuE8ELNS1_3repE0EEENS1_30default_config_static_selectorELNS0_4arch9wavefront6targetE1EEEvT1_,@function
_ZN7rocprim17ROCPRIM_400000_NS6detail17trampoline_kernelINS0_14default_configENS1_25transform_config_selectorImLb1EEEZNS1_14transform_implILb1ES3_S5_PmS7_NS0_8identityIvEEEE10hipError_tT2_T3_mT4_P12ihipStream_tbEUlT_E_NS1_11comp_targetILNS1_3genE4ELNS1_11target_archE910ELNS1_3gpuE8ELNS1_3repE0EEENS1_30default_config_static_selectorELNS0_4arch9wavefront6targetE1EEEvT1_: ; @_ZN7rocprim17ROCPRIM_400000_NS6detail17trampoline_kernelINS0_14default_configENS1_25transform_config_selectorImLb1EEEZNS1_14transform_implILb1ES3_S5_PmS7_NS0_8identityIvEEEE10hipError_tT2_T3_mT4_P12ihipStream_tbEUlT_E_NS1_11comp_targetILNS1_3genE4ELNS1_11target_archE910ELNS1_3gpuE8ELNS1_3repE0EEENS1_30default_config_static_selectorELNS0_4arch9wavefront6targetE1EEEvT1_
; %bb.0:
	.section	.rodata,"a",@progbits
	.p2align	6, 0x0
	.amdhsa_kernel _ZN7rocprim17ROCPRIM_400000_NS6detail17trampoline_kernelINS0_14default_configENS1_25transform_config_selectorImLb1EEEZNS1_14transform_implILb1ES3_S5_PmS7_NS0_8identityIvEEEE10hipError_tT2_T3_mT4_P12ihipStream_tbEUlT_E_NS1_11comp_targetILNS1_3genE4ELNS1_11target_archE910ELNS1_3gpuE8ELNS1_3repE0EEENS1_30default_config_static_selectorELNS0_4arch9wavefront6targetE1EEEvT1_
		.amdhsa_group_segment_fixed_size 0
		.amdhsa_private_segment_fixed_size 0
		.amdhsa_kernarg_size 40
		.amdhsa_user_sgpr_count 2
		.amdhsa_user_sgpr_dispatch_ptr 0
		.amdhsa_user_sgpr_queue_ptr 0
		.amdhsa_user_sgpr_kernarg_segment_ptr 1
		.amdhsa_user_sgpr_dispatch_id 0
		.amdhsa_user_sgpr_kernarg_preload_length 0
		.amdhsa_user_sgpr_kernarg_preload_offset 0
		.amdhsa_user_sgpr_private_segment_size 0
		.amdhsa_uses_dynamic_stack 0
		.amdhsa_enable_private_segment 0
		.amdhsa_system_sgpr_workgroup_id_x 1
		.amdhsa_system_sgpr_workgroup_id_y 0
		.amdhsa_system_sgpr_workgroup_id_z 0
		.amdhsa_system_sgpr_workgroup_info 0
		.amdhsa_system_vgpr_workitem_id 0
		.amdhsa_next_free_vgpr 1
		.amdhsa_next_free_sgpr 0
		.amdhsa_accum_offset 4
		.amdhsa_reserve_vcc 0
		.amdhsa_float_round_mode_32 0
		.amdhsa_float_round_mode_16_64 0
		.amdhsa_float_denorm_mode_32 3
		.amdhsa_float_denorm_mode_16_64 3
		.amdhsa_dx10_clamp 1
		.amdhsa_ieee_mode 1
		.amdhsa_fp16_overflow 0
		.amdhsa_tg_split 0
		.amdhsa_exception_fp_ieee_invalid_op 0
		.amdhsa_exception_fp_denorm_src 0
		.amdhsa_exception_fp_ieee_div_zero 0
		.amdhsa_exception_fp_ieee_overflow 0
		.amdhsa_exception_fp_ieee_underflow 0
		.amdhsa_exception_fp_ieee_inexact 0
		.amdhsa_exception_int_div_zero 0
	.end_amdhsa_kernel
	.section	.text._ZN7rocprim17ROCPRIM_400000_NS6detail17trampoline_kernelINS0_14default_configENS1_25transform_config_selectorImLb1EEEZNS1_14transform_implILb1ES3_S5_PmS7_NS0_8identityIvEEEE10hipError_tT2_T3_mT4_P12ihipStream_tbEUlT_E_NS1_11comp_targetILNS1_3genE4ELNS1_11target_archE910ELNS1_3gpuE8ELNS1_3repE0EEENS1_30default_config_static_selectorELNS0_4arch9wavefront6targetE1EEEvT1_,"axG",@progbits,_ZN7rocprim17ROCPRIM_400000_NS6detail17trampoline_kernelINS0_14default_configENS1_25transform_config_selectorImLb1EEEZNS1_14transform_implILb1ES3_S5_PmS7_NS0_8identityIvEEEE10hipError_tT2_T3_mT4_P12ihipStream_tbEUlT_E_NS1_11comp_targetILNS1_3genE4ELNS1_11target_archE910ELNS1_3gpuE8ELNS1_3repE0EEENS1_30default_config_static_selectorELNS0_4arch9wavefront6targetE1EEEvT1_,comdat
.Lfunc_end172:
	.size	_ZN7rocprim17ROCPRIM_400000_NS6detail17trampoline_kernelINS0_14default_configENS1_25transform_config_selectorImLb1EEEZNS1_14transform_implILb1ES3_S5_PmS7_NS0_8identityIvEEEE10hipError_tT2_T3_mT4_P12ihipStream_tbEUlT_E_NS1_11comp_targetILNS1_3genE4ELNS1_11target_archE910ELNS1_3gpuE8ELNS1_3repE0EEENS1_30default_config_static_selectorELNS0_4arch9wavefront6targetE1EEEvT1_, .Lfunc_end172-_ZN7rocprim17ROCPRIM_400000_NS6detail17trampoline_kernelINS0_14default_configENS1_25transform_config_selectorImLb1EEEZNS1_14transform_implILb1ES3_S5_PmS7_NS0_8identityIvEEEE10hipError_tT2_T3_mT4_P12ihipStream_tbEUlT_E_NS1_11comp_targetILNS1_3genE4ELNS1_11target_archE910ELNS1_3gpuE8ELNS1_3repE0EEENS1_30default_config_static_selectorELNS0_4arch9wavefront6targetE1EEEvT1_
                                        ; -- End function
	.set _ZN7rocprim17ROCPRIM_400000_NS6detail17trampoline_kernelINS0_14default_configENS1_25transform_config_selectorImLb1EEEZNS1_14transform_implILb1ES3_S5_PmS7_NS0_8identityIvEEEE10hipError_tT2_T3_mT4_P12ihipStream_tbEUlT_E_NS1_11comp_targetILNS1_3genE4ELNS1_11target_archE910ELNS1_3gpuE8ELNS1_3repE0EEENS1_30default_config_static_selectorELNS0_4arch9wavefront6targetE1EEEvT1_.num_vgpr, 0
	.set _ZN7rocprim17ROCPRIM_400000_NS6detail17trampoline_kernelINS0_14default_configENS1_25transform_config_selectorImLb1EEEZNS1_14transform_implILb1ES3_S5_PmS7_NS0_8identityIvEEEE10hipError_tT2_T3_mT4_P12ihipStream_tbEUlT_E_NS1_11comp_targetILNS1_3genE4ELNS1_11target_archE910ELNS1_3gpuE8ELNS1_3repE0EEENS1_30default_config_static_selectorELNS0_4arch9wavefront6targetE1EEEvT1_.num_agpr, 0
	.set _ZN7rocprim17ROCPRIM_400000_NS6detail17trampoline_kernelINS0_14default_configENS1_25transform_config_selectorImLb1EEEZNS1_14transform_implILb1ES3_S5_PmS7_NS0_8identityIvEEEE10hipError_tT2_T3_mT4_P12ihipStream_tbEUlT_E_NS1_11comp_targetILNS1_3genE4ELNS1_11target_archE910ELNS1_3gpuE8ELNS1_3repE0EEENS1_30default_config_static_selectorELNS0_4arch9wavefront6targetE1EEEvT1_.numbered_sgpr, 0
	.set _ZN7rocprim17ROCPRIM_400000_NS6detail17trampoline_kernelINS0_14default_configENS1_25transform_config_selectorImLb1EEEZNS1_14transform_implILb1ES3_S5_PmS7_NS0_8identityIvEEEE10hipError_tT2_T3_mT4_P12ihipStream_tbEUlT_E_NS1_11comp_targetILNS1_3genE4ELNS1_11target_archE910ELNS1_3gpuE8ELNS1_3repE0EEENS1_30default_config_static_selectorELNS0_4arch9wavefront6targetE1EEEvT1_.num_named_barrier, 0
	.set _ZN7rocprim17ROCPRIM_400000_NS6detail17trampoline_kernelINS0_14default_configENS1_25transform_config_selectorImLb1EEEZNS1_14transform_implILb1ES3_S5_PmS7_NS0_8identityIvEEEE10hipError_tT2_T3_mT4_P12ihipStream_tbEUlT_E_NS1_11comp_targetILNS1_3genE4ELNS1_11target_archE910ELNS1_3gpuE8ELNS1_3repE0EEENS1_30default_config_static_selectorELNS0_4arch9wavefront6targetE1EEEvT1_.private_seg_size, 0
	.set _ZN7rocprim17ROCPRIM_400000_NS6detail17trampoline_kernelINS0_14default_configENS1_25transform_config_selectorImLb1EEEZNS1_14transform_implILb1ES3_S5_PmS7_NS0_8identityIvEEEE10hipError_tT2_T3_mT4_P12ihipStream_tbEUlT_E_NS1_11comp_targetILNS1_3genE4ELNS1_11target_archE910ELNS1_3gpuE8ELNS1_3repE0EEENS1_30default_config_static_selectorELNS0_4arch9wavefront6targetE1EEEvT1_.uses_vcc, 0
	.set _ZN7rocprim17ROCPRIM_400000_NS6detail17trampoline_kernelINS0_14default_configENS1_25transform_config_selectorImLb1EEEZNS1_14transform_implILb1ES3_S5_PmS7_NS0_8identityIvEEEE10hipError_tT2_T3_mT4_P12ihipStream_tbEUlT_E_NS1_11comp_targetILNS1_3genE4ELNS1_11target_archE910ELNS1_3gpuE8ELNS1_3repE0EEENS1_30default_config_static_selectorELNS0_4arch9wavefront6targetE1EEEvT1_.uses_flat_scratch, 0
	.set _ZN7rocprim17ROCPRIM_400000_NS6detail17trampoline_kernelINS0_14default_configENS1_25transform_config_selectorImLb1EEEZNS1_14transform_implILb1ES3_S5_PmS7_NS0_8identityIvEEEE10hipError_tT2_T3_mT4_P12ihipStream_tbEUlT_E_NS1_11comp_targetILNS1_3genE4ELNS1_11target_archE910ELNS1_3gpuE8ELNS1_3repE0EEENS1_30default_config_static_selectorELNS0_4arch9wavefront6targetE1EEEvT1_.has_dyn_sized_stack, 0
	.set _ZN7rocprim17ROCPRIM_400000_NS6detail17trampoline_kernelINS0_14default_configENS1_25transform_config_selectorImLb1EEEZNS1_14transform_implILb1ES3_S5_PmS7_NS0_8identityIvEEEE10hipError_tT2_T3_mT4_P12ihipStream_tbEUlT_E_NS1_11comp_targetILNS1_3genE4ELNS1_11target_archE910ELNS1_3gpuE8ELNS1_3repE0EEENS1_30default_config_static_selectorELNS0_4arch9wavefront6targetE1EEEvT1_.has_recursion, 0
	.set _ZN7rocprim17ROCPRIM_400000_NS6detail17trampoline_kernelINS0_14default_configENS1_25transform_config_selectorImLb1EEEZNS1_14transform_implILb1ES3_S5_PmS7_NS0_8identityIvEEEE10hipError_tT2_T3_mT4_P12ihipStream_tbEUlT_E_NS1_11comp_targetILNS1_3genE4ELNS1_11target_archE910ELNS1_3gpuE8ELNS1_3repE0EEENS1_30default_config_static_selectorELNS0_4arch9wavefront6targetE1EEEvT1_.has_indirect_call, 0
	.section	.AMDGPU.csdata,"",@progbits
; Kernel info:
; codeLenInByte = 0
; TotalNumSgprs: 6
; NumVgprs: 0
; NumAgprs: 0
; TotalNumVgprs: 0
; ScratchSize: 0
; MemoryBound: 0
; FloatMode: 240
; IeeeMode: 1
; LDSByteSize: 0 bytes/workgroup (compile time only)
; SGPRBlocks: 0
; VGPRBlocks: 0
; NumSGPRsForWavesPerEU: 6
; NumVGPRsForWavesPerEU: 1
; AccumOffset: 4
; Occupancy: 8
; WaveLimiterHint : 0
; COMPUTE_PGM_RSRC2:SCRATCH_EN: 0
; COMPUTE_PGM_RSRC2:USER_SGPR: 2
; COMPUTE_PGM_RSRC2:TRAP_HANDLER: 0
; COMPUTE_PGM_RSRC2:TGID_X_EN: 1
; COMPUTE_PGM_RSRC2:TGID_Y_EN: 0
; COMPUTE_PGM_RSRC2:TGID_Z_EN: 0
; COMPUTE_PGM_RSRC2:TIDIG_COMP_CNT: 0
; COMPUTE_PGM_RSRC3_GFX90A:ACCUM_OFFSET: 0
; COMPUTE_PGM_RSRC3_GFX90A:TG_SPLIT: 0
	.section	.text._ZN7rocprim17ROCPRIM_400000_NS6detail17trampoline_kernelINS0_14default_configENS1_25transform_config_selectorImLb1EEEZNS1_14transform_implILb1ES3_S5_PmS7_NS0_8identityIvEEEE10hipError_tT2_T3_mT4_P12ihipStream_tbEUlT_E_NS1_11comp_targetILNS1_3genE3ELNS1_11target_archE908ELNS1_3gpuE7ELNS1_3repE0EEENS1_30default_config_static_selectorELNS0_4arch9wavefront6targetE1EEEvT1_,"axG",@progbits,_ZN7rocprim17ROCPRIM_400000_NS6detail17trampoline_kernelINS0_14default_configENS1_25transform_config_selectorImLb1EEEZNS1_14transform_implILb1ES3_S5_PmS7_NS0_8identityIvEEEE10hipError_tT2_T3_mT4_P12ihipStream_tbEUlT_E_NS1_11comp_targetILNS1_3genE3ELNS1_11target_archE908ELNS1_3gpuE7ELNS1_3repE0EEENS1_30default_config_static_selectorELNS0_4arch9wavefront6targetE1EEEvT1_,comdat
	.protected	_ZN7rocprim17ROCPRIM_400000_NS6detail17trampoline_kernelINS0_14default_configENS1_25transform_config_selectorImLb1EEEZNS1_14transform_implILb1ES3_S5_PmS7_NS0_8identityIvEEEE10hipError_tT2_T3_mT4_P12ihipStream_tbEUlT_E_NS1_11comp_targetILNS1_3genE3ELNS1_11target_archE908ELNS1_3gpuE7ELNS1_3repE0EEENS1_30default_config_static_selectorELNS0_4arch9wavefront6targetE1EEEvT1_ ; -- Begin function _ZN7rocprim17ROCPRIM_400000_NS6detail17trampoline_kernelINS0_14default_configENS1_25transform_config_selectorImLb1EEEZNS1_14transform_implILb1ES3_S5_PmS7_NS0_8identityIvEEEE10hipError_tT2_T3_mT4_P12ihipStream_tbEUlT_E_NS1_11comp_targetILNS1_3genE3ELNS1_11target_archE908ELNS1_3gpuE7ELNS1_3repE0EEENS1_30default_config_static_selectorELNS0_4arch9wavefront6targetE1EEEvT1_
	.globl	_ZN7rocprim17ROCPRIM_400000_NS6detail17trampoline_kernelINS0_14default_configENS1_25transform_config_selectorImLb1EEEZNS1_14transform_implILb1ES3_S5_PmS7_NS0_8identityIvEEEE10hipError_tT2_T3_mT4_P12ihipStream_tbEUlT_E_NS1_11comp_targetILNS1_3genE3ELNS1_11target_archE908ELNS1_3gpuE7ELNS1_3repE0EEENS1_30default_config_static_selectorELNS0_4arch9wavefront6targetE1EEEvT1_
	.p2align	8
	.type	_ZN7rocprim17ROCPRIM_400000_NS6detail17trampoline_kernelINS0_14default_configENS1_25transform_config_selectorImLb1EEEZNS1_14transform_implILb1ES3_S5_PmS7_NS0_8identityIvEEEE10hipError_tT2_T3_mT4_P12ihipStream_tbEUlT_E_NS1_11comp_targetILNS1_3genE3ELNS1_11target_archE908ELNS1_3gpuE7ELNS1_3repE0EEENS1_30default_config_static_selectorELNS0_4arch9wavefront6targetE1EEEvT1_,@function
_ZN7rocprim17ROCPRIM_400000_NS6detail17trampoline_kernelINS0_14default_configENS1_25transform_config_selectorImLb1EEEZNS1_14transform_implILb1ES3_S5_PmS7_NS0_8identityIvEEEE10hipError_tT2_T3_mT4_P12ihipStream_tbEUlT_E_NS1_11comp_targetILNS1_3genE3ELNS1_11target_archE908ELNS1_3gpuE7ELNS1_3repE0EEENS1_30default_config_static_selectorELNS0_4arch9wavefront6targetE1EEEvT1_: ; @_ZN7rocprim17ROCPRIM_400000_NS6detail17trampoline_kernelINS0_14default_configENS1_25transform_config_selectorImLb1EEEZNS1_14transform_implILb1ES3_S5_PmS7_NS0_8identityIvEEEE10hipError_tT2_T3_mT4_P12ihipStream_tbEUlT_E_NS1_11comp_targetILNS1_3genE3ELNS1_11target_archE908ELNS1_3gpuE7ELNS1_3repE0EEENS1_30default_config_static_selectorELNS0_4arch9wavefront6targetE1EEEvT1_
; %bb.0:
	.section	.rodata,"a",@progbits
	.p2align	6, 0x0
	.amdhsa_kernel _ZN7rocprim17ROCPRIM_400000_NS6detail17trampoline_kernelINS0_14default_configENS1_25transform_config_selectorImLb1EEEZNS1_14transform_implILb1ES3_S5_PmS7_NS0_8identityIvEEEE10hipError_tT2_T3_mT4_P12ihipStream_tbEUlT_E_NS1_11comp_targetILNS1_3genE3ELNS1_11target_archE908ELNS1_3gpuE7ELNS1_3repE0EEENS1_30default_config_static_selectorELNS0_4arch9wavefront6targetE1EEEvT1_
		.amdhsa_group_segment_fixed_size 0
		.amdhsa_private_segment_fixed_size 0
		.amdhsa_kernarg_size 40
		.amdhsa_user_sgpr_count 2
		.amdhsa_user_sgpr_dispatch_ptr 0
		.amdhsa_user_sgpr_queue_ptr 0
		.amdhsa_user_sgpr_kernarg_segment_ptr 1
		.amdhsa_user_sgpr_dispatch_id 0
		.amdhsa_user_sgpr_kernarg_preload_length 0
		.amdhsa_user_sgpr_kernarg_preload_offset 0
		.amdhsa_user_sgpr_private_segment_size 0
		.amdhsa_uses_dynamic_stack 0
		.amdhsa_enable_private_segment 0
		.amdhsa_system_sgpr_workgroup_id_x 1
		.amdhsa_system_sgpr_workgroup_id_y 0
		.amdhsa_system_sgpr_workgroup_id_z 0
		.amdhsa_system_sgpr_workgroup_info 0
		.amdhsa_system_vgpr_workitem_id 0
		.amdhsa_next_free_vgpr 1
		.amdhsa_next_free_sgpr 0
		.amdhsa_accum_offset 4
		.amdhsa_reserve_vcc 0
		.amdhsa_float_round_mode_32 0
		.amdhsa_float_round_mode_16_64 0
		.amdhsa_float_denorm_mode_32 3
		.amdhsa_float_denorm_mode_16_64 3
		.amdhsa_dx10_clamp 1
		.amdhsa_ieee_mode 1
		.amdhsa_fp16_overflow 0
		.amdhsa_tg_split 0
		.amdhsa_exception_fp_ieee_invalid_op 0
		.amdhsa_exception_fp_denorm_src 0
		.amdhsa_exception_fp_ieee_div_zero 0
		.amdhsa_exception_fp_ieee_overflow 0
		.amdhsa_exception_fp_ieee_underflow 0
		.amdhsa_exception_fp_ieee_inexact 0
		.amdhsa_exception_int_div_zero 0
	.end_amdhsa_kernel
	.section	.text._ZN7rocprim17ROCPRIM_400000_NS6detail17trampoline_kernelINS0_14default_configENS1_25transform_config_selectorImLb1EEEZNS1_14transform_implILb1ES3_S5_PmS7_NS0_8identityIvEEEE10hipError_tT2_T3_mT4_P12ihipStream_tbEUlT_E_NS1_11comp_targetILNS1_3genE3ELNS1_11target_archE908ELNS1_3gpuE7ELNS1_3repE0EEENS1_30default_config_static_selectorELNS0_4arch9wavefront6targetE1EEEvT1_,"axG",@progbits,_ZN7rocprim17ROCPRIM_400000_NS6detail17trampoline_kernelINS0_14default_configENS1_25transform_config_selectorImLb1EEEZNS1_14transform_implILb1ES3_S5_PmS7_NS0_8identityIvEEEE10hipError_tT2_T3_mT4_P12ihipStream_tbEUlT_E_NS1_11comp_targetILNS1_3genE3ELNS1_11target_archE908ELNS1_3gpuE7ELNS1_3repE0EEENS1_30default_config_static_selectorELNS0_4arch9wavefront6targetE1EEEvT1_,comdat
.Lfunc_end173:
	.size	_ZN7rocprim17ROCPRIM_400000_NS6detail17trampoline_kernelINS0_14default_configENS1_25transform_config_selectorImLb1EEEZNS1_14transform_implILb1ES3_S5_PmS7_NS0_8identityIvEEEE10hipError_tT2_T3_mT4_P12ihipStream_tbEUlT_E_NS1_11comp_targetILNS1_3genE3ELNS1_11target_archE908ELNS1_3gpuE7ELNS1_3repE0EEENS1_30default_config_static_selectorELNS0_4arch9wavefront6targetE1EEEvT1_, .Lfunc_end173-_ZN7rocprim17ROCPRIM_400000_NS6detail17trampoline_kernelINS0_14default_configENS1_25transform_config_selectorImLb1EEEZNS1_14transform_implILb1ES3_S5_PmS7_NS0_8identityIvEEEE10hipError_tT2_T3_mT4_P12ihipStream_tbEUlT_E_NS1_11comp_targetILNS1_3genE3ELNS1_11target_archE908ELNS1_3gpuE7ELNS1_3repE0EEENS1_30default_config_static_selectorELNS0_4arch9wavefront6targetE1EEEvT1_
                                        ; -- End function
	.set _ZN7rocprim17ROCPRIM_400000_NS6detail17trampoline_kernelINS0_14default_configENS1_25transform_config_selectorImLb1EEEZNS1_14transform_implILb1ES3_S5_PmS7_NS0_8identityIvEEEE10hipError_tT2_T3_mT4_P12ihipStream_tbEUlT_E_NS1_11comp_targetILNS1_3genE3ELNS1_11target_archE908ELNS1_3gpuE7ELNS1_3repE0EEENS1_30default_config_static_selectorELNS0_4arch9wavefront6targetE1EEEvT1_.num_vgpr, 0
	.set _ZN7rocprim17ROCPRIM_400000_NS6detail17trampoline_kernelINS0_14default_configENS1_25transform_config_selectorImLb1EEEZNS1_14transform_implILb1ES3_S5_PmS7_NS0_8identityIvEEEE10hipError_tT2_T3_mT4_P12ihipStream_tbEUlT_E_NS1_11comp_targetILNS1_3genE3ELNS1_11target_archE908ELNS1_3gpuE7ELNS1_3repE0EEENS1_30default_config_static_selectorELNS0_4arch9wavefront6targetE1EEEvT1_.num_agpr, 0
	.set _ZN7rocprim17ROCPRIM_400000_NS6detail17trampoline_kernelINS0_14default_configENS1_25transform_config_selectorImLb1EEEZNS1_14transform_implILb1ES3_S5_PmS7_NS0_8identityIvEEEE10hipError_tT2_T3_mT4_P12ihipStream_tbEUlT_E_NS1_11comp_targetILNS1_3genE3ELNS1_11target_archE908ELNS1_3gpuE7ELNS1_3repE0EEENS1_30default_config_static_selectorELNS0_4arch9wavefront6targetE1EEEvT1_.numbered_sgpr, 0
	.set _ZN7rocprim17ROCPRIM_400000_NS6detail17trampoline_kernelINS0_14default_configENS1_25transform_config_selectorImLb1EEEZNS1_14transform_implILb1ES3_S5_PmS7_NS0_8identityIvEEEE10hipError_tT2_T3_mT4_P12ihipStream_tbEUlT_E_NS1_11comp_targetILNS1_3genE3ELNS1_11target_archE908ELNS1_3gpuE7ELNS1_3repE0EEENS1_30default_config_static_selectorELNS0_4arch9wavefront6targetE1EEEvT1_.num_named_barrier, 0
	.set _ZN7rocprim17ROCPRIM_400000_NS6detail17trampoline_kernelINS0_14default_configENS1_25transform_config_selectorImLb1EEEZNS1_14transform_implILb1ES3_S5_PmS7_NS0_8identityIvEEEE10hipError_tT2_T3_mT4_P12ihipStream_tbEUlT_E_NS1_11comp_targetILNS1_3genE3ELNS1_11target_archE908ELNS1_3gpuE7ELNS1_3repE0EEENS1_30default_config_static_selectorELNS0_4arch9wavefront6targetE1EEEvT1_.private_seg_size, 0
	.set _ZN7rocprim17ROCPRIM_400000_NS6detail17trampoline_kernelINS0_14default_configENS1_25transform_config_selectorImLb1EEEZNS1_14transform_implILb1ES3_S5_PmS7_NS0_8identityIvEEEE10hipError_tT2_T3_mT4_P12ihipStream_tbEUlT_E_NS1_11comp_targetILNS1_3genE3ELNS1_11target_archE908ELNS1_3gpuE7ELNS1_3repE0EEENS1_30default_config_static_selectorELNS0_4arch9wavefront6targetE1EEEvT1_.uses_vcc, 0
	.set _ZN7rocprim17ROCPRIM_400000_NS6detail17trampoline_kernelINS0_14default_configENS1_25transform_config_selectorImLb1EEEZNS1_14transform_implILb1ES3_S5_PmS7_NS0_8identityIvEEEE10hipError_tT2_T3_mT4_P12ihipStream_tbEUlT_E_NS1_11comp_targetILNS1_3genE3ELNS1_11target_archE908ELNS1_3gpuE7ELNS1_3repE0EEENS1_30default_config_static_selectorELNS0_4arch9wavefront6targetE1EEEvT1_.uses_flat_scratch, 0
	.set _ZN7rocprim17ROCPRIM_400000_NS6detail17trampoline_kernelINS0_14default_configENS1_25transform_config_selectorImLb1EEEZNS1_14transform_implILb1ES3_S5_PmS7_NS0_8identityIvEEEE10hipError_tT2_T3_mT4_P12ihipStream_tbEUlT_E_NS1_11comp_targetILNS1_3genE3ELNS1_11target_archE908ELNS1_3gpuE7ELNS1_3repE0EEENS1_30default_config_static_selectorELNS0_4arch9wavefront6targetE1EEEvT1_.has_dyn_sized_stack, 0
	.set _ZN7rocprim17ROCPRIM_400000_NS6detail17trampoline_kernelINS0_14default_configENS1_25transform_config_selectorImLb1EEEZNS1_14transform_implILb1ES3_S5_PmS7_NS0_8identityIvEEEE10hipError_tT2_T3_mT4_P12ihipStream_tbEUlT_E_NS1_11comp_targetILNS1_3genE3ELNS1_11target_archE908ELNS1_3gpuE7ELNS1_3repE0EEENS1_30default_config_static_selectorELNS0_4arch9wavefront6targetE1EEEvT1_.has_recursion, 0
	.set _ZN7rocprim17ROCPRIM_400000_NS6detail17trampoline_kernelINS0_14default_configENS1_25transform_config_selectorImLb1EEEZNS1_14transform_implILb1ES3_S5_PmS7_NS0_8identityIvEEEE10hipError_tT2_T3_mT4_P12ihipStream_tbEUlT_E_NS1_11comp_targetILNS1_3genE3ELNS1_11target_archE908ELNS1_3gpuE7ELNS1_3repE0EEENS1_30default_config_static_selectorELNS0_4arch9wavefront6targetE1EEEvT1_.has_indirect_call, 0
	.section	.AMDGPU.csdata,"",@progbits
; Kernel info:
; codeLenInByte = 0
; TotalNumSgprs: 6
; NumVgprs: 0
; NumAgprs: 0
; TotalNumVgprs: 0
; ScratchSize: 0
; MemoryBound: 0
; FloatMode: 240
; IeeeMode: 1
; LDSByteSize: 0 bytes/workgroup (compile time only)
; SGPRBlocks: 0
; VGPRBlocks: 0
; NumSGPRsForWavesPerEU: 6
; NumVGPRsForWavesPerEU: 1
; AccumOffset: 4
; Occupancy: 8
; WaveLimiterHint : 0
; COMPUTE_PGM_RSRC2:SCRATCH_EN: 0
; COMPUTE_PGM_RSRC2:USER_SGPR: 2
; COMPUTE_PGM_RSRC2:TRAP_HANDLER: 0
; COMPUTE_PGM_RSRC2:TGID_X_EN: 1
; COMPUTE_PGM_RSRC2:TGID_Y_EN: 0
; COMPUTE_PGM_RSRC2:TGID_Z_EN: 0
; COMPUTE_PGM_RSRC2:TIDIG_COMP_CNT: 0
; COMPUTE_PGM_RSRC3_GFX90A:ACCUM_OFFSET: 0
; COMPUTE_PGM_RSRC3_GFX90A:TG_SPLIT: 0
	.section	.text._ZN7rocprim17ROCPRIM_400000_NS6detail17trampoline_kernelINS0_14default_configENS1_25transform_config_selectorImLb1EEEZNS1_14transform_implILb1ES3_S5_PmS7_NS0_8identityIvEEEE10hipError_tT2_T3_mT4_P12ihipStream_tbEUlT_E_NS1_11comp_targetILNS1_3genE2ELNS1_11target_archE906ELNS1_3gpuE6ELNS1_3repE0EEENS1_30default_config_static_selectorELNS0_4arch9wavefront6targetE1EEEvT1_,"axG",@progbits,_ZN7rocprim17ROCPRIM_400000_NS6detail17trampoline_kernelINS0_14default_configENS1_25transform_config_selectorImLb1EEEZNS1_14transform_implILb1ES3_S5_PmS7_NS0_8identityIvEEEE10hipError_tT2_T3_mT4_P12ihipStream_tbEUlT_E_NS1_11comp_targetILNS1_3genE2ELNS1_11target_archE906ELNS1_3gpuE6ELNS1_3repE0EEENS1_30default_config_static_selectorELNS0_4arch9wavefront6targetE1EEEvT1_,comdat
	.protected	_ZN7rocprim17ROCPRIM_400000_NS6detail17trampoline_kernelINS0_14default_configENS1_25transform_config_selectorImLb1EEEZNS1_14transform_implILb1ES3_S5_PmS7_NS0_8identityIvEEEE10hipError_tT2_T3_mT4_P12ihipStream_tbEUlT_E_NS1_11comp_targetILNS1_3genE2ELNS1_11target_archE906ELNS1_3gpuE6ELNS1_3repE0EEENS1_30default_config_static_selectorELNS0_4arch9wavefront6targetE1EEEvT1_ ; -- Begin function _ZN7rocprim17ROCPRIM_400000_NS6detail17trampoline_kernelINS0_14default_configENS1_25transform_config_selectorImLb1EEEZNS1_14transform_implILb1ES3_S5_PmS7_NS0_8identityIvEEEE10hipError_tT2_T3_mT4_P12ihipStream_tbEUlT_E_NS1_11comp_targetILNS1_3genE2ELNS1_11target_archE906ELNS1_3gpuE6ELNS1_3repE0EEENS1_30default_config_static_selectorELNS0_4arch9wavefront6targetE1EEEvT1_
	.globl	_ZN7rocprim17ROCPRIM_400000_NS6detail17trampoline_kernelINS0_14default_configENS1_25transform_config_selectorImLb1EEEZNS1_14transform_implILb1ES3_S5_PmS7_NS0_8identityIvEEEE10hipError_tT2_T3_mT4_P12ihipStream_tbEUlT_E_NS1_11comp_targetILNS1_3genE2ELNS1_11target_archE906ELNS1_3gpuE6ELNS1_3repE0EEENS1_30default_config_static_selectorELNS0_4arch9wavefront6targetE1EEEvT1_
	.p2align	8
	.type	_ZN7rocprim17ROCPRIM_400000_NS6detail17trampoline_kernelINS0_14default_configENS1_25transform_config_selectorImLb1EEEZNS1_14transform_implILb1ES3_S5_PmS7_NS0_8identityIvEEEE10hipError_tT2_T3_mT4_P12ihipStream_tbEUlT_E_NS1_11comp_targetILNS1_3genE2ELNS1_11target_archE906ELNS1_3gpuE6ELNS1_3repE0EEENS1_30default_config_static_selectorELNS0_4arch9wavefront6targetE1EEEvT1_,@function
_ZN7rocprim17ROCPRIM_400000_NS6detail17trampoline_kernelINS0_14default_configENS1_25transform_config_selectorImLb1EEEZNS1_14transform_implILb1ES3_S5_PmS7_NS0_8identityIvEEEE10hipError_tT2_T3_mT4_P12ihipStream_tbEUlT_E_NS1_11comp_targetILNS1_3genE2ELNS1_11target_archE906ELNS1_3gpuE6ELNS1_3repE0EEENS1_30default_config_static_selectorELNS0_4arch9wavefront6targetE1EEEvT1_: ; @_ZN7rocprim17ROCPRIM_400000_NS6detail17trampoline_kernelINS0_14default_configENS1_25transform_config_selectorImLb1EEEZNS1_14transform_implILb1ES3_S5_PmS7_NS0_8identityIvEEEE10hipError_tT2_T3_mT4_P12ihipStream_tbEUlT_E_NS1_11comp_targetILNS1_3genE2ELNS1_11target_archE906ELNS1_3gpuE6ELNS1_3repE0EEENS1_30default_config_static_selectorELNS0_4arch9wavefront6targetE1EEEvT1_
; %bb.0:
	.section	.rodata,"a",@progbits
	.p2align	6, 0x0
	.amdhsa_kernel _ZN7rocprim17ROCPRIM_400000_NS6detail17trampoline_kernelINS0_14default_configENS1_25transform_config_selectorImLb1EEEZNS1_14transform_implILb1ES3_S5_PmS7_NS0_8identityIvEEEE10hipError_tT2_T3_mT4_P12ihipStream_tbEUlT_E_NS1_11comp_targetILNS1_3genE2ELNS1_11target_archE906ELNS1_3gpuE6ELNS1_3repE0EEENS1_30default_config_static_selectorELNS0_4arch9wavefront6targetE1EEEvT1_
		.amdhsa_group_segment_fixed_size 0
		.amdhsa_private_segment_fixed_size 0
		.amdhsa_kernarg_size 40
		.amdhsa_user_sgpr_count 2
		.amdhsa_user_sgpr_dispatch_ptr 0
		.amdhsa_user_sgpr_queue_ptr 0
		.amdhsa_user_sgpr_kernarg_segment_ptr 1
		.amdhsa_user_sgpr_dispatch_id 0
		.amdhsa_user_sgpr_kernarg_preload_length 0
		.amdhsa_user_sgpr_kernarg_preload_offset 0
		.amdhsa_user_sgpr_private_segment_size 0
		.amdhsa_uses_dynamic_stack 0
		.amdhsa_enable_private_segment 0
		.amdhsa_system_sgpr_workgroup_id_x 1
		.amdhsa_system_sgpr_workgroup_id_y 0
		.amdhsa_system_sgpr_workgroup_id_z 0
		.amdhsa_system_sgpr_workgroup_info 0
		.amdhsa_system_vgpr_workitem_id 0
		.amdhsa_next_free_vgpr 1
		.amdhsa_next_free_sgpr 0
		.amdhsa_accum_offset 4
		.amdhsa_reserve_vcc 0
		.amdhsa_float_round_mode_32 0
		.amdhsa_float_round_mode_16_64 0
		.amdhsa_float_denorm_mode_32 3
		.amdhsa_float_denorm_mode_16_64 3
		.amdhsa_dx10_clamp 1
		.amdhsa_ieee_mode 1
		.amdhsa_fp16_overflow 0
		.amdhsa_tg_split 0
		.amdhsa_exception_fp_ieee_invalid_op 0
		.amdhsa_exception_fp_denorm_src 0
		.amdhsa_exception_fp_ieee_div_zero 0
		.amdhsa_exception_fp_ieee_overflow 0
		.amdhsa_exception_fp_ieee_underflow 0
		.amdhsa_exception_fp_ieee_inexact 0
		.amdhsa_exception_int_div_zero 0
	.end_amdhsa_kernel
	.section	.text._ZN7rocprim17ROCPRIM_400000_NS6detail17trampoline_kernelINS0_14default_configENS1_25transform_config_selectorImLb1EEEZNS1_14transform_implILb1ES3_S5_PmS7_NS0_8identityIvEEEE10hipError_tT2_T3_mT4_P12ihipStream_tbEUlT_E_NS1_11comp_targetILNS1_3genE2ELNS1_11target_archE906ELNS1_3gpuE6ELNS1_3repE0EEENS1_30default_config_static_selectorELNS0_4arch9wavefront6targetE1EEEvT1_,"axG",@progbits,_ZN7rocprim17ROCPRIM_400000_NS6detail17trampoline_kernelINS0_14default_configENS1_25transform_config_selectorImLb1EEEZNS1_14transform_implILb1ES3_S5_PmS7_NS0_8identityIvEEEE10hipError_tT2_T3_mT4_P12ihipStream_tbEUlT_E_NS1_11comp_targetILNS1_3genE2ELNS1_11target_archE906ELNS1_3gpuE6ELNS1_3repE0EEENS1_30default_config_static_selectorELNS0_4arch9wavefront6targetE1EEEvT1_,comdat
.Lfunc_end174:
	.size	_ZN7rocprim17ROCPRIM_400000_NS6detail17trampoline_kernelINS0_14default_configENS1_25transform_config_selectorImLb1EEEZNS1_14transform_implILb1ES3_S5_PmS7_NS0_8identityIvEEEE10hipError_tT2_T3_mT4_P12ihipStream_tbEUlT_E_NS1_11comp_targetILNS1_3genE2ELNS1_11target_archE906ELNS1_3gpuE6ELNS1_3repE0EEENS1_30default_config_static_selectorELNS0_4arch9wavefront6targetE1EEEvT1_, .Lfunc_end174-_ZN7rocprim17ROCPRIM_400000_NS6detail17trampoline_kernelINS0_14default_configENS1_25transform_config_selectorImLb1EEEZNS1_14transform_implILb1ES3_S5_PmS7_NS0_8identityIvEEEE10hipError_tT2_T3_mT4_P12ihipStream_tbEUlT_E_NS1_11comp_targetILNS1_3genE2ELNS1_11target_archE906ELNS1_3gpuE6ELNS1_3repE0EEENS1_30default_config_static_selectorELNS0_4arch9wavefront6targetE1EEEvT1_
                                        ; -- End function
	.set _ZN7rocprim17ROCPRIM_400000_NS6detail17trampoline_kernelINS0_14default_configENS1_25transform_config_selectorImLb1EEEZNS1_14transform_implILb1ES3_S5_PmS7_NS0_8identityIvEEEE10hipError_tT2_T3_mT4_P12ihipStream_tbEUlT_E_NS1_11comp_targetILNS1_3genE2ELNS1_11target_archE906ELNS1_3gpuE6ELNS1_3repE0EEENS1_30default_config_static_selectorELNS0_4arch9wavefront6targetE1EEEvT1_.num_vgpr, 0
	.set _ZN7rocprim17ROCPRIM_400000_NS6detail17trampoline_kernelINS0_14default_configENS1_25transform_config_selectorImLb1EEEZNS1_14transform_implILb1ES3_S5_PmS7_NS0_8identityIvEEEE10hipError_tT2_T3_mT4_P12ihipStream_tbEUlT_E_NS1_11comp_targetILNS1_3genE2ELNS1_11target_archE906ELNS1_3gpuE6ELNS1_3repE0EEENS1_30default_config_static_selectorELNS0_4arch9wavefront6targetE1EEEvT1_.num_agpr, 0
	.set _ZN7rocprim17ROCPRIM_400000_NS6detail17trampoline_kernelINS0_14default_configENS1_25transform_config_selectorImLb1EEEZNS1_14transform_implILb1ES3_S5_PmS7_NS0_8identityIvEEEE10hipError_tT2_T3_mT4_P12ihipStream_tbEUlT_E_NS1_11comp_targetILNS1_3genE2ELNS1_11target_archE906ELNS1_3gpuE6ELNS1_3repE0EEENS1_30default_config_static_selectorELNS0_4arch9wavefront6targetE1EEEvT1_.numbered_sgpr, 0
	.set _ZN7rocprim17ROCPRIM_400000_NS6detail17trampoline_kernelINS0_14default_configENS1_25transform_config_selectorImLb1EEEZNS1_14transform_implILb1ES3_S5_PmS7_NS0_8identityIvEEEE10hipError_tT2_T3_mT4_P12ihipStream_tbEUlT_E_NS1_11comp_targetILNS1_3genE2ELNS1_11target_archE906ELNS1_3gpuE6ELNS1_3repE0EEENS1_30default_config_static_selectorELNS0_4arch9wavefront6targetE1EEEvT1_.num_named_barrier, 0
	.set _ZN7rocprim17ROCPRIM_400000_NS6detail17trampoline_kernelINS0_14default_configENS1_25transform_config_selectorImLb1EEEZNS1_14transform_implILb1ES3_S5_PmS7_NS0_8identityIvEEEE10hipError_tT2_T3_mT4_P12ihipStream_tbEUlT_E_NS1_11comp_targetILNS1_3genE2ELNS1_11target_archE906ELNS1_3gpuE6ELNS1_3repE0EEENS1_30default_config_static_selectorELNS0_4arch9wavefront6targetE1EEEvT1_.private_seg_size, 0
	.set _ZN7rocprim17ROCPRIM_400000_NS6detail17trampoline_kernelINS0_14default_configENS1_25transform_config_selectorImLb1EEEZNS1_14transform_implILb1ES3_S5_PmS7_NS0_8identityIvEEEE10hipError_tT2_T3_mT4_P12ihipStream_tbEUlT_E_NS1_11comp_targetILNS1_3genE2ELNS1_11target_archE906ELNS1_3gpuE6ELNS1_3repE0EEENS1_30default_config_static_selectorELNS0_4arch9wavefront6targetE1EEEvT1_.uses_vcc, 0
	.set _ZN7rocprim17ROCPRIM_400000_NS6detail17trampoline_kernelINS0_14default_configENS1_25transform_config_selectorImLb1EEEZNS1_14transform_implILb1ES3_S5_PmS7_NS0_8identityIvEEEE10hipError_tT2_T3_mT4_P12ihipStream_tbEUlT_E_NS1_11comp_targetILNS1_3genE2ELNS1_11target_archE906ELNS1_3gpuE6ELNS1_3repE0EEENS1_30default_config_static_selectorELNS0_4arch9wavefront6targetE1EEEvT1_.uses_flat_scratch, 0
	.set _ZN7rocprim17ROCPRIM_400000_NS6detail17trampoline_kernelINS0_14default_configENS1_25transform_config_selectorImLb1EEEZNS1_14transform_implILb1ES3_S5_PmS7_NS0_8identityIvEEEE10hipError_tT2_T3_mT4_P12ihipStream_tbEUlT_E_NS1_11comp_targetILNS1_3genE2ELNS1_11target_archE906ELNS1_3gpuE6ELNS1_3repE0EEENS1_30default_config_static_selectorELNS0_4arch9wavefront6targetE1EEEvT1_.has_dyn_sized_stack, 0
	.set _ZN7rocprim17ROCPRIM_400000_NS6detail17trampoline_kernelINS0_14default_configENS1_25transform_config_selectorImLb1EEEZNS1_14transform_implILb1ES3_S5_PmS7_NS0_8identityIvEEEE10hipError_tT2_T3_mT4_P12ihipStream_tbEUlT_E_NS1_11comp_targetILNS1_3genE2ELNS1_11target_archE906ELNS1_3gpuE6ELNS1_3repE0EEENS1_30default_config_static_selectorELNS0_4arch9wavefront6targetE1EEEvT1_.has_recursion, 0
	.set _ZN7rocprim17ROCPRIM_400000_NS6detail17trampoline_kernelINS0_14default_configENS1_25transform_config_selectorImLb1EEEZNS1_14transform_implILb1ES3_S5_PmS7_NS0_8identityIvEEEE10hipError_tT2_T3_mT4_P12ihipStream_tbEUlT_E_NS1_11comp_targetILNS1_3genE2ELNS1_11target_archE906ELNS1_3gpuE6ELNS1_3repE0EEENS1_30default_config_static_selectorELNS0_4arch9wavefront6targetE1EEEvT1_.has_indirect_call, 0
	.section	.AMDGPU.csdata,"",@progbits
; Kernel info:
; codeLenInByte = 0
; TotalNumSgprs: 6
; NumVgprs: 0
; NumAgprs: 0
; TotalNumVgprs: 0
; ScratchSize: 0
; MemoryBound: 0
; FloatMode: 240
; IeeeMode: 1
; LDSByteSize: 0 bytes/workgroup (compile time only)
; SGPRBlocks: 0
; VGPRBlocks: 0
; NumSGPRsForWavesPerEU: 6
; NumVGPRsForWavesPerEU: 1
; AccumOffset: 4
; Occupancy: 8
; WaveLimiterHint : 0
; COMPUTE_PGM_RSRC2:SCRATCH_EN: 0
; COMPUTE_PGM_RSRC2:USER_SGPR: 2
; COMPUTE_PGM_RSRC2:TRAP_HANDLER: 0
; COMPUTE_PGM_RSRC2:TGID_X_EN: 1
; COMPUTE_PGM_RSRC2:TGID_Y_EN: 0
; COMPUTE_PGM_RSRC2:TGID_Z_EN: 0
; COMPUTE_PGM_RSRC2:TIDIG_COMP_CNT: 0
; COMPUTE_PGM_RSRC3_GFX90A:ACCUM_OFFSET: 0
; COMPUTE_PGM_RSRC3_GFX90A:TG_SPLIT: 0
	.section	.text._ZN7rocprim17ROCPRIM_400000_NS6detail17trampoline_kernelINS0_14default_configENS1_25transform_config_selectorImLb1EEEZNS1_14transform_implILb1ES3_S5_PmS7_NS0_8identityIvEEEE10hipError_tT2_T3_mT4_P12ihipStream_tbEUlT_E_NS1_11comp_targetILNS1_3genE9ELNS1_11target_archE1100ELNS1_3gpuE3ELNS1_3repE0EEENS1_30default_config_static_selectorELNS0_4arch9wavefront6targetE1EEEvT1_,"axG",@progbits,_ZN7rocprim17ROCPRIM_400000_NS6detail17trampoline_kernelINS0_14default_configENS1_25transform_config_selectorImLb1EEEZNS1_14transform_implILb1ES3_S5_PmS7_NS0_8identityIvEEEE10hipError_tT2_T3_mT4_P12ihipStream_tbEUlT_E_NS1_11comp_targetILNS1_3genE9ELNS1_11target_archE1100ELNS1_3gpuE3ELNS1_3repE0EEENS1_30default_config_static_selectorELNS0_4arch9wavefront6targetE1EEEvT1_,comdat
	.protected	_ZN7rocprim17ROCPRIM_400000_NS6detail17trampoline_kernelINS0_14default_configENS1_25transform_config_selectorImLb1EEEZNS1_14transform_implILb1ES3_S5_PmS7_NS0_8identityIvEEEE10hipError_tT2_T3_mT4_P12ihipStream_tbEUlT_E_NS1_11comp_targetILNS1_3genE9ELNS1_11target_archE1100ELNS1_3gpuE3ELNS1_3repE0EEENS1_30default_config_static_selectorELNS0_4arch9wavefront6targetE1EEEvT1_ ; -- Begin function _ZN7rocprim17ROCPRIM_400000_NS6detail17trampoline_kernelINS0_14default_configENS1_25transform_config_selectorImLb1EEEZNS1_14transform_implILb1ES3_S5_PmS7_NS0_8identityIvEEEE10hipError_tT2_T3_mT4_P12ihipStream_tbEUlT_E_NS1_11comp_targetILNS1_3genE9ELNS1_11target_archE1100ELNS1_3gpuE3ELNS1_3repE0EEENS1_30default_config_static_selectorELNS0_4arch9wavefront6targetE1EEEvT1_
	.globl	_ZN7rocprim17ROCPRIM_400000_NS6detail17trampoline_kernelINS0_14default_configENS1_25transform_config_selectorImLb1EEEZNS1_14transform_implILb1ES3_S5_PmS7_NS0_8identityIvEEEE10hipError_tT2_T3_mT4_P12ihipStream_tbEUlT_E_NS1_11comp_targetILNS1_3genE9ELNS1_11target_archE1100ELNS1_3gpuE3ELNS1_3repE0EEENS1_30default_config_static_selectorELNS0_4arch9wavefront6targetE1EEEvT1_
	.p2align	8
	.type	_ZN7rocprim17ROCPRIM_400000_NS6detail17trampoline_kernelINS0_14default_configENS1_25transform_config_selectorImLb1EEEZNS1_14transform_implILb1ES3_S5_PmS7_NS0_8identityIvEEEE10hipError_tT2_T3_mT4_P12ihipStream_tbEUlT_E_NS1_11comp_targetILNS1_3genE9ELNS1_11target_archE1100ELNS1_3gpuE3ELNS1_3repE0EEENS1_30default_config_static_selectorELNS0_4arch9wavefront6targetE1EEEvT1_,@function
_ZN7rocprim17ROCPRIM_400000_NS6detail17trampoline_kernelINS0_14default_configENS1_25transform_config_selectorImLb1EEEZNS1_14transform_implILb1ES3_S5_PmS7_NS0_8identityIvEEEE10hipError_tT2_T3_mT4_P12ihipStream_tbEUlT_E_NS1_11comp_targetILNS1_3genE9ELNS1_11target_archE1100ELNS1_3gpuE3ELNS1_3repE0EEENS1_30default_config_static_selectorELNS0_4arch9wavefront6targetE1EEEvT1_: ; @_ZN7rocprim17ROCPRIM_400000_NS6detail17trampoline_kernelINS0_14default_configENS1_25transform_config_selectorImLb1EEEZNS1_14transform_implILb1ES3_S5_PmS7_NS0_8identityIvEEEE10hipError_tT2_T3_mT4_P12ihipStream_tbEUlT_E_NS1_11comp_targetILNS1_3genE9ELNS1_11target_archE1100ELNS1_3gpuE3ELNS1_3repE0EEENS1_30default_config_static_selectorELNS0_4arch9wavefront6targetE1EEEvT1_
; %bb.0:
	.section	.rodata,"a",@progbits
	.p2align	6, 0x0
	.amdhsa_kernel _ZN7rocprim17ROCPRIM_400000_NS6detail17trampoline_kernelINS0_14default_configENS1_25transform_config_selectorImLb1EEEZNS1_14transform_implILb1ES3_S5_PmS7_NS0_8identityIvEEEE10hipError_tT2_T3_mT4_P12ihipStream_tbEUlT_E_NS1_11comp_targetILNS1_3genE9ELNS1_11target_archE1100ELNS1_3gpuE3ELNS1_3repE0EEENS1_30default_config_static_selectorELNS0_4arch9wavefront6targetE1EEEvT1_
		.amdhsa_group_segment_fixed_size 0
		.amdhsa_private_segment_fixed_size 0
		.amdhsa_kernarg_size 40
		.amdhsa_user_sgpr_count 2
		.amdhsa_user_sgpr_dispatch_ptr 0
		.amdhsa_user_sgpr_queue_ptr 0
		.amdhsa_user_sgpr_kernarg_segment_ptr 1
		.amdhsa_user_sgpr_dispatch_id 0
		.amdhsa_user_sgpr_kernarg_preload_length 0
		.amdhsa_user_sgpr_kernarg_preload_offset 0
		.amdhsa_user_sgpr_private_segment_size 0
		.amdhsa_uses_dynamic_stack 0
		.amdhsa_enable_private_segment 0
		.amdhsa_system_sgpr_workgroup_id_x 1
		.amdhsa_system_sgpr_workgroup_id_y 0
		.amdhsa_system_sgpr_workgroup_id_z 0
		.amdhsa_system_sgpr_workgroup_info 0
		.amdhsa_system_vgpr_workitem_id 0
		.amdhsa_next_free_vgpr 1
		.amdhsa_next_free_sgpr 0
		.amdhsa_accum_offset 4
		.amdhsa_reserve_vcc 0
		.amdhsa_float_round_mode_32 0
		.amdhsa_float_round_mode_16_64 0
		.amdhsa_float_denorm_mode_32 3
		.amdhsa_float_denorm_mode_16_64 3
		.amdhsa_dx10_clamp 1
		.amdhsa_ieee_mode 1
		.amdhsa_fp16_overflow 0
		.amdhsa_tg_split 0
		.amdhsa_exception_fp_ieee_invalid_op 0
		.amdhsa_exception_fp_denorm_src 0
		.amdhsa_exception_fp_ieee_div_zero 0
		.amdhsa_exception_fp_ieee_overflow 0
		.amdhsa_exception_fp_ieee_underflow 0
		.amdhsa_exception_fp_ieee_inexact 0
		.amdhsa_exception_int_div_zero 0
	.end_amdhsa_kernel
	.section	.text._ZN7rocprim17ROCPRIM_400000_NS6detail17trampoline_kernelINS0_14default_configENS1_25transform_config_selectorImLb1EEEZNS1_14transform_implILb1ES3_S5_PmS7_NS0_8identityIvEEEE10hipError_tT2_T3_mT4_P12ihipStream_tbEUlT_E_NS1_11comp_targetILNS1_3genE9ELNS1_11target_archE1100ELNS1_3gpuE3ELNS1_3repE0EEENS1_30default_config_static_selectorELNS0_4arch9wavefront6targetE1EEEvT1_,"axG",@progbits,_ZN7rocprim17ROCPRIM_400000_NS6detail17trampoline_kernelINS0_14default_configENS1_25transform_config_selectorImLb1EEEZNS1_14transform_implILb1ES3_S5_PmS7_NS0_8identityIvEEEE10hipError_tT2_T3_mT4_P12ihipStream_tbEUlT_E_NS1_11comp_targetILNS1_3genE9ELNS1_11target_archE1100ELNS1_3gpuE3ELNS1_3repE0EEENS1_30default_config_static_selectorELNS0_4arch9wavefront6targetE1EEEvT1_,comdat
.Lfunc_end175:
	.size	_ZN7rocprim17ROCPRIM_400000_NS6detail17trampoline_kernelINS0_14default_configENS1_25transform_config_selectorImLb1EEEZNS1_14transform_implILb1ES3_S5_PmS7_NS0_8identityIvEEEE10hipError_tT2_T3_mT4_P12ihipStream_tbEUlT_E_NS1_11comp_targetILNS1_3genE9ELNS1_11target_archE1100ELNS1_3gpuE3ELNS1_3repE0EEENS1_30default_config_static_selectorELNS0_4arch9wavefront6targetE1EEEvT1_, .Lfunc_end175-_ZN7rocprim17ROCPRIM_400000_NS6detail17trampoline_kernelINS0_14default_configENS1_25transform_config_selectorImLb1EEEZNS1_14transform_implILb1ES3_S5_PmS7_NS0_8identityIvEEEE10hipError_tT2_T3_mT4_P12ihipStream_tbEUlT_E_NS1_11comp_targetILNS1_3genE9ELNS1_11target_archE1100ELNS1_3gpuE3ELNS1_3repE0EEENS1_30default_config_static_selectorELNS0_4arch9wavefront6targetE1EEEvT1_
                                        ; -- End function
	.set _ZN7rocprim17ROCPRIM_400000_NS6detail17trampoline_kernelINS0_14default_configENS1_25transform_config_selectorImLb1EEEZNS1_14transform_implILb1ES3_S5_PmS7_NS0_8identityIvEEEE10hipError_tT2_T3_mT4_P12ihipStream_tbEUlT_E_NS1_11comp_targetILNS1_3genE9ELNS1_11target_archE1100ELNS1_3gpuE3ELNS1_3repE0EEENS1_30default_config_static_selectorELNS0_4arch9wavefront6targetE1EEEvT1_.num_vgpr, 0
	.set _ZN7rocprim17ROCPRIM_400000_NS6detail17trampoline_kernelINS0_14default_configENS1_25transform_config_selectorImLb1EEEZNS1_14transform_implILb1ES3_S5_PmS7_NS0_8identityIvEEEE10hipError_tT2_T3_mT4_P12ihipStream_tbEUlT_E_NS1_11comp_targetILNS1_3genE9ELNS1_11target_archE1100ELNS1_3gpuE3ELNS1_3repE0EEENS1_30default_config_static_selectorELNS0_4arch9wavefront6targetE1EEEvT1_.num_agpr, 0
	.set _ZN7rocprim17ROCPRIM_400000_NS6detail17trampoline_kernelINS0_14default_configENS1_25transform_config_selectorImLb1EEEZNS1_14transform_implILb1ES3_S5_PmS7_NS0_8identityIvEEEE10hipError_tT2_T3_mT4_P12ihipStream_tbEUlT_E_NS1_11comp_targetILNS1_3genE9ELNS1_11target_archE1100ELNS1_3gpuE3ELNS1_3repE0EEENS1_30default_config_static_selectorELNS0_4arch9wavefront6targetE1EEEvT1_.numbered_sgpr, 0
	.set _ZN7rocprim17ROCPRIM_400000_NS6detail17trampoline_kernelINS0_14default_configENS1_25transform_config_selectorImLb1EEEZNS1_14transform_implILb1ES3_S5_PmS7_NS0_8identityIvEEEE10hipError_tT2_T3_mT4_P12ihipStream_tbEUlT_E_NS1_11comp_targetILNS1_3genE9ELNS1_11target_archE1100ELNS1_3gpuE3ELNS1_3repE0EEENS1_30default_config_static_selectorELNS0_4arch9wavefront6targetE1EEEvT1_.num_named_barrier, 0
	.set _ZN7rocprim17ROCPRIM_400000_NS6detail17trampoline_kernelINS0_14default_configENS1_25transform_config_selectorImLb1EEEZNS1_14transform_implILb1ES3_S5_PmS7_NS0_8identityIvEEEE10hipError_tT2_T3_mT4_P12ihipStream_tbEUlT_E_NS1_11comp_targetILNS1_3genE9ELNS1_11target_archE1100ELNS1_3gpuE3ELNS1_3repE0EEENS1_30default_config_static_selectorELNS0_4arch9wavefront6targetE1EEEvT1_.private_seg_size, 0
	.set _ZN7rocprim17ROCPRIM_400000_NS6detail17trampoline_kernelINS0_14default_configENS1_25transform_config_selectorImLb1EEEZNS1_14transform_implILb1ES3_S5_PmS7_NS0_8identityIvEEEE10hipError_tT2_T3_mT4_P12ihipStream_tbEUlT_E_NS1_11comp_targetILNS1_3genE9ELNS1_11target_archE1100ELNS1_3gpuE3ELNS1_3repE0EEENS1_30default_config_static_selectorELNS0_4arch9wavefront6targetE1EEEvT1_.uses_vcc, 0
	.set _ZN7rocprim17ROCPRIM_400000_NS6detail17trampoline_kernelINS0_14default_configENS1_25transform_config_selectorImLb1EEEZNS1_14transform_implILb1ES3_S5_PmS7_NS0_8identityIvEEEE10hipError_tT2_T3_mT4_P12ihipStream_tbEUlT_E_NS1_11comp_targetILNS1_3genE9ELNS1_11target_archE1100ELNS1_3gpuE3ELNS1_3repE0EEENS1_30default_config_static_selectorELNS0_4arch9wavefront6targetE1EEEvT1_.uses_flat_scratch, 0
	.set _ZN7rocprim17ROCPRIM_400000_NS6detail17trampoline_kernelINS0_14default_configENS1_25transform_config_selectorImLb1EEEZNS1_14transform_implILb1ES3_S5_PmS7_NS0_8identityIvEEEE10hipError_tT2_T3_mT4_P12ihipStream_tbEUlT_E_NS1_11comp_targetILNS1_3genE9ELNS1_11target_archE1100ELNS1_3gpuE3ELNS1_3repE0EEENS1_30default_config_static_selectorELNS0_4arch9wavefront6targetE1EEEvT1_.has_dyn_sized_stack, 0
	.set _ZN7rocprim17ROCPRIM_400000_NS6detail17trampoline_kernelINS0_14default_configENS1_25transform_config_selectorImLb1EEEZNS1_14transform_implILb1ES3_S5_PmS7_NS0_8identityIvEEEE10hipError_tT2_T3_mT4_P12ihipStream_tbEUlT_E_NS1_11comp_targetILNS1_3genE9ELNS1_11target_archE1100ELNS1_3gpuE3ELNS1_3repE0EEENS1_30default_config_static_selectorELNS0_4arch9wavefront6targetE1EEEvT1_.has_recursion, 0
	.set _ZN7rocprim17ROCPRIM_400000_NS6detail17trampoline_kernelINS0_14default_configENS1_25transform_config_selectorImLb1EEEZNS1_14transform_implILb1ES3_S5_PmS7_NS0_8identityIvEEEE10hipError_tT2_T3_mT4_P12ihipStream_tbEUlT_E_NS1_11comp_targetILNS1_3genE9ELNS1_11target_archE1100ELNS1_3gpuE3ELNS1_3repE0EEENS1_30default_config_static_selectorELNS0_4arch9wavefront6targetE1EEEvT1_.has_indirect_call, 0
	.section	.AMDGPU.csdata,"",@progbits
; Kernel info:
; codeLenInByte = 0
; TotalNumSgprs: 6
; NumVgprs: 0
; NumAgprs: 0
; TotalNumVgprs: 0
; ScratchSize: 0
; MemoryBound: 0
; FloatMode: 240
; IeeeMode: 1
; LDSByteSize: 0 bytes/workgroup (compile time only)
; SGPRBlocks: 0
; VGPRBlocks: 0
; NumSGPRsForWavesPerEU: 6
; NumVGPRsForWavesPerEU: 1
; AccumOffset: 4
; Occupancy: 8
; WaveLimiterHint : 0
; COMPUTE_PGM_RSRC2:SCRATCH_EN: 0
; COMPUTE_PGM_RSRC2:USER_SGPR: 2
; COMPUTE_PGM_RSRC2:TRAP_HANDLER: 0
; COMPUTE_PGM_RSRC2:TGID_X_EN: 1
; COMPUTE_PGM_RSRC2:TGID_Y_EN: 0
; COMPUTE_PGM_RSRC2:TGID_Z_EN: 0
; COMPUTE_PGM_RSRC2:TIDIG_COMP_CNT: 0
; COMPUTE_PGM_RSRC3_GFX90A:ACCUM_OFFSET: 0
; COMPUTE_PGM_RSRC3_GFX90A:TG_SPLIT: 0
	.section	.text._ZN7rocprim17ROCPRIM_400000_NS6detail17trampoline_kernelINS0_14default_configENS1_25transform_config_selectorImLb1EEEZNS1_14transform_implILb1ES3_S5_PmS7_NS0_8identityIvEEEE10hipError_tT2_T3_mT4_P12ihipStream_tbEUlT_E_NS1_11comp_targetILNS1_3genE8ELNS1_11target_archE1030ELNS1_3gpuE2ELNS1_3repE0EEENS1_30default_config_static_selectorELNS0_4arch9wavefront6targetE1EEEvT1_,"axG",@progbits,_ZN7rocprim17ROCPRIM_400000_NS6detail17trampoline_kernelINS0_14default_configENS1_25transform_config_selectorImLb1EEEZNS1_14transform_implILb1ES3_S5_PmS7_NS0_8identityIvEEEE10hipError_tT2_T3_mT4_P12ihipStream_tbEUlT_E_NS1_11comp_targetILNS1_3genE8ELNS1_11target_archE1030ELNS1_3gpuE2ELNS1_3repE0EEENS1_30default_config_static_selectorELNS0_4arch9wavefront6targetE1EEEvT1_,comdat
	.protected	_ZN7rocprim17ROCPRIM_400000_NS6detail17trampoline_kernelINS0_14default_configENS1_25transform_config_selectorImLb1EEEZNS1_14transform_implILb1ES3_S5_PmS7_NS0_8identityIvEEEE10hipError_tT2_T3_mT4_P12ihipStream_tbEUlT_E_NS1_11comp_targetILNS1_3genE8ELNS1_11target_archE1030ELNS1_3gpuE2ELNS1_3repE0EEENS1_30default_config_static_selectorELNS0_4arch9wavefront6targetE1EEEvT1_ ; -- Begin function _ZN7rocprim17ROCPRIM_400000_NS6detail17trampoline_kernelINS0_14default_configENS1_25transform_config_selectorImLb1EEEZNS1_14transform_implILb1ES3_S5_PmS7_NS0_8identityIvEEEE10hipError_tT2_T3_mT4_P12ihipStream_tbEUlT_E_NS1_11comp_targetILNS1_3genE8ELNS1_11target_archE1030ELNS1_3gpuE2ELNS1_3repE0EEENS1_30default_config_static_selectorELNS0_4arch9wavefront6targetE1EEEvT1_
	.globl	_ZN7rocprim17ROCPRIM_400000_NS6detail17trampoline_kernelINS0_14default_configENS1_25transform_config_selectorImLb1EEEZNS1_14transform_implILb1ES3_S5_PmS7_NS0_8identityIvEEEE10hipError_tT2_T3_mT4_P12ihipStream_tbEUlT_E_NS1_11comp_targetILNS1_3genE8ELNS1_11target_archE1030ELNS1_3gpuE2ELNS1_3repE0EEENS1_30default_config_static_selectorELNS0_4arch9wavefront6targetE1EEEvT1_
	.p2align	8
	.type	_ZN7rocprim17ROCPRIM_400000_NS6detail17trampoline_kernelINS0_14default_configENS1_25transform_config_selectorImLb1EEEZNS1_14transform_implILb1ES3_S5_PmS7_NS0_8identityIvEEEE10hipError_tT2_T3_mT4_P12ihipStream_tbEUlT_E_NS1_11comp_targetILNS1_3genE8ELNS1_11target_archE1030ELNS1_3gpuE2ELNS1_3repE0EEENS1_30default_config_static_selectorELNS0_4arch9wavefront6targetE1EEEvT1_,@function
_ZN7rocprim17ROCPRIM_400000_NS6detail17trampoline_kernelINS0_14default_configENS1_25transform_config_selectorImLb1EEEZNS1_14transform_implILb1ES3_S5_PmS7_NS0_8identityIvEEEE10hipError_tT2_T3_mT4_P12ihipStream_tbEUlT_E_NS1_11comp_targetILNS1_3genE8ELNS1_11target_archE1030ELNS1_3gpuE2ELNS1_3repE0EEENS1_30default_config_static_selectorELNS0_4arch9wavefront6targetE1EEEvT1_: ; @_ZN7rocprim17ROCPRIM_400000_NS6detail17trampoline_kernelINS0_14default_configENS1_25transform_config_selectorImLb1EEEZNS1_14transform_implILb1ES3_S5_PmS7_NS0_8identityIvEEEE10hipError_tT2_T3_mT4_P12ihipStream_tbEUlT_E_NS1_11comp_targetILNS1_3genE8ELNS1_11target_archE1030ELNS1_3gpuE2ELNS1_3repE0EEENS1_30default_config_static_selectorELNS0_4arch9wavefront6targetE1EEEvT1_
; %bb.0:
	.section	.rodata,"a",@progbits
	.p2align	6, 0x0
	.amdhsa_kernel _ZN7rocprim17ROCPRIM_400000_NS6detail17trampoline_kernelINS0_14default_configENS1_25transform_config_selectorImLb1EEEZNS1_14transform_implILb1ES3_S5_PmS7_NS0_8identityIvEEEE10hipError_tT2_T3_mT4_P12ihipStream_tbEUlT_E_NS1_11comp_targetILNS1_3genE8ELNS1_11target_archE1030ELNS1_3gpuE2ELNS1_3repE0EEENS1_30default_config_static_selectorELNS0_4arch9wavefront6targetE1EEEvT1_
		.amdhsa_group_segment_fixed_size 0
		.amdhsa_private_segment_fixed_size 0
		.amdhsa_kernarg_size 40
		.amdhsa_user_sgpr_count 2
		.amdhsa_user_sgpr_dispatch_ptr 0
		.amdhsa_user_sgpr_queue_ptr 0
		.amdhsa_user_sgpr_kernarg_segment_ptr 1
		.amdhsa_user_sgpr_dispatch_id 0
		.amdhsa_user_sgpr_kernarg_preload_length 0
		.amdhsa_user_sgpr_kernarg_preload_offset 0
		.amdhsa_user_sgpr_private_segment_size 0
		.amdhsa_uses_dynamic_stack 0
		.amdhsa_enable_private_segment 0
		.amdhsa_system_sgpr_workgroup_id_x 1
		.amdhsa_system_sgpr_workgroup_id_y 0
		.amdhsa_system_sgpr_workgroup_id_z 0
		.amdhsa_system_sgpr_workgroup_info 0
		.amdhsa_system_vgpr_workitem_id 0
		.amdhsa_next_free_vgpr 1
		.amdhsa_next_free_sgpr 0
		.amdhsa_accum_offset 4
		.amdhsa_reserve_vcc 0
		.amdhsa_float_round_mode_32 0
		.amdhsa_float_round_mode_16_64 0
		.amdhsa_float_denorm_mode_32 3
		.amdhsa_float_denorm_mode_16_64 3
		.amdhsa_dx10_clamp 1
		.amdhsa_ieee_mode 1
		.amdhsa_fp16_overflow 0
		.amdhsa_tg_split 0
		.amdhsa_exception_fp_ieee_invalid_op 0
		.amdhsa_exception_fp_denorm_src 0
		.amdhsa_exception_fp_ieee_div_zero 0
		.amdhsa_exception_fp_ieee_overflow 0
		.amdhsa_exception_fp_ieee_underflow 0
		.amdhsa_exception_fp_ieee_inexact 0
		.amdhsa_exception_int_div_zero 0
	.end_amdhsa_kernel
	.section	.text._ZN7rocprim17ROCPRIM_400000_NS6detail17trampoline_kernelINS0_14default_configENS1_25transform_config_selectorImLb1EEEZNS1_14transform_implILb1ES3_S5_PmS7_NS0_8identityIvEEEE10hipError_tT2_T3_mT4_P12ihipStream_tbEUlT_E_NS1_11comp_targetILNS1_3genE8ELNS1_11target_archE1030ELNS1_3gpuE2ELNS1_3repE0EEENS1_30default_config_static_selectorELNS0_4arch9wavefront6targetE1EEEvT1_,"axG",@progbits,_ZN7rocprim17ROCPRIM_400000_NS6detail17trampoline_kernelINS0_14default_configENS1_25transform_config_selectorImLb1EEEZNS1_14transform_implILb1ES3_S5_PmS7_NS0_8identityIvEEEE10hipError_tT2_T3_mT4_P12ihipStream_tbEUlT_E_NS1_11comp_targetILNS1_3genE8ELNS1_11target_archE1030ELNS1_3gpuE2ELNS1_3repE0EEENS1_30default_config_static_selectorELNS0_4arch9wavefront6targetE1EEEvT1_,comdat
.Lfunc_end176:
	.size	_ZN7rocprim17ROCPRIM_400000_NS6detail17trampoline_kernelINS0_14default_configENS1_25transform_config_selectorImLb1EEEZNS1_14transform_implILb1ES3_S5_PmS7_NS0_8identityIvEEEE10hipError_tT2_T3_mT4_P12ihipStream_tbEUlT_E_NS1_11comp_targetILNS1_3genE8ELNS1_11target_archE1030ELNS1_3gpuE2ELNS1_3repE0EEENS1_30default_config_static_selectorELNS0_4arch9wavefront6targetE1EEEvT1_, .Lfunc_end176-_ZN7rocprim17ROCPRIM_400000_NS6detail17trampoline_kernelINS0_14default_configENS1_25transform_config_selectorImLb1EEEZNS1_14transform_implILb1ES3_S5_PmS7_NS0_8identityIvEEEE10hipError_tT2_T3_mT4_P12ihipStream_tbEUlT_E_NS1_11comp_targetILNS1_3genE8ELNS1_11target_archE1030ELNS1_3gpuE2ELNS1_3repE0EEENS1_30default_config_static_selectorELNS0_4arch9wavefront6targetE1EEEvT1_
                                        ; -- End function
	.set _ZN7rocprim17ROCPRIM_400000_NS6detail17trampoline_kernelINS0_14default_configENS1_25transform_config_selectorImLb1EEEZNS1_14transform_implILb1ES3_S5_PmS7_NS0_8identityIvEEEE10hipError_tT2_T3_mT4_P12ihipStream_tbEUlT_E_NS1_11comp_targetILNS1_3genE8ELNS1_11target_archE1030ELNS1_3gpuE2ELNS1_3repE0EEENS1_30default_config_static_selectorELNS0_4arch9wavefront6targetE1EEEvT1_.num_vgpr, 0
	.set _ZN7rocprim17ROCPRIM_400000_NS6detail17trampoline_kernelINS0_14default_configENS1_25transform_config_selectorImLb1EEEZNS1_14transform_implILb1ES3_S5_PmS7_NS0_8identityIvEEEE10hipError_tT2_T3_mT4_P12ihipStream_tbEUlT_E_NS1_11comp_targetILNS1_3genE8ELNS1_11target_archE1030ELNS1_3gpuE2ELNS1_3repE0EEENS1_30default_config_static_selectorELNS0_4arch9wavefront6targetE1EEEvT1_.num_agpr, 0
	.set _ZN7rocprim17ROCPRIM_400000_NS6detail17trampoline_kernelINS0_14default_configENS1_25transform_config_selectorImLb1EEEZNS1_14transform_implILb1ES3_S5_PmS7_NS0_8identityIvEEEE10hipError_tT2_T3_mT4_P12ihipStream_tbEUlT_E_NS1_11comp_targetILNS1_3genE8ELNS1_11target_archE1030ELNS1_3gpuE2ELNS1_3repE0EEENS1_30default_config_static_selectorELNS0_4arch9wavefront6targetE1EEEvT1_.numbered_sgpr, 0
	.set _ZN7rocprim17ROCPRIM_400000_NS6detail17trampoline_kernelINS0_14default_configENS1_25transform_config_selectorImLb1EEEZNS1_14transform_implILb1ES3_S5_PmS7_NS0_8identityIvEEEE10hipError_tT2_T3_mT4_P12ihipStream_tbEUlT_E_NS1_11comp_targetILNS1_3genE8ELNS1_11target_archE1030ELNS1_3gpuE2ELNS1_3repE0EEENS1_30default_config_static_selectorELNS0_4arch9wavefront6targetE1EEEvT1_.num_named_barrier, 0
	.set _ZN7rocprim17ROCPRIM_400000_NS6detail17trampoline_kernelINS0_14default_configENS1_25transform_config_selectorImLb1EEEZNS1_14transform_implILb1ES3_S5_PmS7_NS0_8identityIvEEEE10hipError_tT2_T3_mT4_P12ihipStream_tbEUlT_E_NS1_11comp_targetILNS1_3genE8ELNS1_11target_archE1030ELNS1_3gpuE2ELNS1_3repE0EEENS1_30default_config_static_selectorELNS0_4arch9wavefront6targetE1EEEvT1_.private_seg_size, 0
	.set _ZN7rocprim17ROCPRIM_400000_NS6detail17trampoline_kernelINS0_14default_configENS1_25transform_config_selectorImLb1EEEZNS1_14transform_implILb1ES3_S5_PmS7_NS0_8identityIvEEEE10hipError_tT2_T3_mT4_P12ihipStream_tbEUlT_E_NS1_11comp_targetILNS1_3genE8ELNS1_11target_archE1030ELNS1_3gpuE2ELNS1_3repE0EEENS1_30default_config_static_selectorELNS0_4arch9wavefront6targetE1EEEvT1_.uses_vcc, 0
	.set _ZN7rocprim17ROCPRIM_400000_NS6detail17trampoline_kernelINS0_14default_configENS1_25transform_config_selectorImLb1EEEZNS1_14transform_implILb1ES3_S5_PmS7_NS0_8identityIvEEEE10hipError_tT2_T3_mT4_P12ihipStream_tbEUlT_E_NS1_11comp_targetILNS1_3genE8ELNS1_11target_archE1030ELNS1_3gpuE2ELNS1_3repE0EEENS1_30default_config_static_selectorELNS0_4arch9wavefront6targetE1EEEvT1_.uses_flat_scratch, 0
	.set _ZN7rocprim17ROCPRIM_400000_NS6detail17trampoline_kernelINS0_14default_configENS1_25transform_config_selectorImLb1EEEZNS1_14transform_implILb1ES3_S5_PmS7_NS0_8identityIvEEEE10hipError_tT2_T3_mT4_P12ihipStream_tbEUlT_E_NS1_11comp_targetILNS1_3genE8ELNS1_11target_archE1030ELNS1_3gpuE2ELNS1_3repE0EEENS1_30default_config_static_selectorELNS0_4arch9wavefront6targetE1EEEvT1_.has_dyn_sized_stack, 0
	.set _ZN7rocprim17ROCPRIM_400000_NS6detail17trampoline_kernelINS0_14default_configENS1_25transform_config_selectorImLb1EEEZNS1_14transform_implILb1ES3_S5_PmS7_NS0_8identityIvEEEE10hipError_tT2_T3_mT4_P12ihipStream_tbEUlT_E_NS1_11comp_targetILNS1_3genE8ELNS1_11target_archE1030ELNS1_3gpuE2ELNS1_3repE0EEENS1_30default_config_static_selectorELNS0_4arch9wavefront6targetE1EEEvT1_.has_recursion, 0
	.set _ZN7rocprim17ROCPRIM_400000_NS6detail17trampoline_kernelINS0_14default_configENS1_25transform_config_selectorImLb1EEEZNS1_14transform_implILb1ES3_S5_PmS7_NS0_8identityIvEEEE10hipError_tT2_T3_mT4_P12ihipStream_tbEUlT_E_NS1_11comp_targetILNS1_3genE8ELNS1_11target_archE1030ELNS1_3gpuE2ELNS1_3repE0EEENS1_30default_config_static_selectorELNS0_4arch9wavefront6targetE1EEEvT1_.has_indirect_call, 0
	.section	.AMDGPU.csdata,"",@progbits
; Kernel info:
; codeLenInByte = 0
; TotalNumSgprs: 6
; NumVgprs: 0
; NumAgprs: 0
; TotalNumVgprs: 0
; ScratchSize: 0
; MemoryBound: 0
; FloatMode: 240
; IeeeMode: 1
; LDSByteSize: 0 bytes/workgroup (compile time only)
; SGPRBlocks: 0
; VGPRBlocks: 0
; NumSGPRsForWavesPerEU: 6
; NumVGPRsForWavesPerEU: 1
; AccumOffset: 4
; Occupancy: 8
; WaveLimiterHint : 0
; COMPUTE_PGM_RSRC2:SCRATCH_EN: 0
; COMPUTE_PGM_RSRC2:USER_SGPR: 2
; COMPUTE_PGM_RSRC2:TRAP_HANDLER: 0
; COMPUTE_PGM_RSRC2:TGID_X_EN: 1
; COMPUTE_PGM_RSRC2:TGID_Y_EN: 0
; COMPUTE_PGM_RSRC2:TGID_Z_EN: 0
; COMPUTE_PGM_RSRC2:TIDIG_COMP_CNT: 0
; COMPUTE_PGM_RSRC3_GFX90A:ACCUM_OFFSET: 0
; COMPUTE_PGM_RSRC3_GFX90A:TG_SPLIT: 0
	.section	.text._ZN7rocprim17ROCPRIM_400000_NS6detail31init_lookback_scan_state_kernelINS1_19lookback_scan_stateIjLb1ELb1EEENS1_16block_id_wrapperIjLb1EEEEEvT_jT0_jPNS7_10value_typeE,"axG",@progbits,_ZN7rocprim17ROCPRIM_400000_NS6detail31init_lookback_scan_state_kernelINS1_19lookback_scan_stateIjLb1ELb1EEENS1_16block_id_wrapperIjLb1EEEEEvT_jT0_jPNS7_10value_typeE,comdat
	.protected	_ZN7rocprim17ROCPRIM_400000_NS6detail31init_lookback_scan_state_kernelINS1_19lookback_scan_stateIjLb1ELb1EEENS1_16block_id_wrapperIjLb1EEEEEvT_jT0_jPNS7_10value_typeE ; -- Begin function _ZN7rocprim17ROCPRIM_400000_NS6detail31init_lookback_scan_state_kernelINS1_19lookback_scan_stateIjLb1ELb1EEENS1_16block_id_wrapperIjLb1EEEEEvT_jT0_jPNS7_10value_typeE
	.globl	_ZN7rocprim17ROCPRIM_400000_NS6detail31init_lookback_scan_state_kernelINS1_19lookback_scan_stateIjLb1ELb1EEENS1_16block_id_wrapperIjLb1EEEEEvT_jT0_jPNS7_10value_typeE
	.p2align	8
	.type	_ZN7rocprim17ROCPRIM_400000_NS6detail31init_lookback_scan_state_kernelINS1_19lookback_scan_stateIjLb1ELb1EEENS1_16block_id_wrapperIjLb1EEEEEvT_jT0_jPNS7_10value_typeE,@function
_ZN7rocprim17ROCPRIM_400000_NS6detail31init_lookback_scan_state_kernelINS1_19lookback_scan_stateIjLb1ELb1EEENS1_16block_id_wrapperIjLb1EEEEEvT_jT0_jPNS7_10value_typeE: ; @_ZN7rocprim17ROCPRIM_400000_NS6detail31init_lookback_scan_state_kernelINS1_19lookback_scan_stateIjLb1ELb1EEENS1_16block_id_wrapperIjLb1EEEEEvT_jT0_jPNS7_10value_typeE
; %bb.0:
	s_load_dword s3, s[0:1], 0x34
	s_load_dwordx2 s[6:7], s[0:1], 0x20
	s_load_dwordx2 s[4:5], s[0:1], 0x0
	s_load_dword s10, s[0:1], 0x8
	s_waitcnt lgkmcnt(0)
	s_and_b32 s3, s3, 0xffff
	s_mul_i32 s2, s2, s3
	s_cmp_eq_u64 s[6:7], 0
	v_add_u32_e32 v0, s2, v0
	s_cbranch_scc1 .LBB177_9
; %bb.1:
	s_load_dword s8, s[0:1], 0x18
	s_mov_b32 s9, 0
	s_waitcnt lgkmcnt(0)
	s_cmp_lt_u32 s8, s10
	s_cselect_b32 s2, s8, 0
	v_cmp_eq_u32_e32 vcc, s2, v0
	s_and_saveexec_b64 s[2:3], vcc
	s_cbranch_execz .LBB177_8
; %bb.2:
	s_add_i32 s8, s8, 64
	s_lshl_b64 s[8:9], s[8:9], 3
	s_add_u32 s8, s4, s8
	s_addc_u32 s9, s5, s9
	v_mov_b32_e32 v2, 0
	global_load_dwordx2 v[4:5], v2, s[8:9] sc1
	s_waitcnt vmcnt(0)
	v_and_b32_e32 v3, 0xff, v5
	v_cmp_ne_u64_e32 vcc, 0, v[2:3]
	s_cbranch_vccnz .LBB177_7
; %bb.3:
	s_mov_b32 s11, 1
.LBB177_4:                              ; =>This Loop Header: Depth=1
                                        ;     Child Loop BB177_5 Depth 2
	s_mov_b32 s12, s11
.LBB177_5:                              ;   Parent Loop BB177_4 Depth=1
                                        ; =>  This Inner Loop Header: Depth=2
	s_add_i32 s12, s12, -1
	s_cmp_eq_u32 s12, 0
	s_sleep 1
	s_cbranch_scc0 .LBB177_5
; %bb.6:                                ;   in Loop: Header=BB177_4 Depth=1
	global_load_dwordx2 v[4:5], v2, s[8:9] sc1
	s_cmp_lt_u32 s11, 32
	s_cselect_b64 s[12:13], -1, 0
	s_cmp_lg_u64 s[12:13], 0
	s_addc_u32 s11, s11, 0
	s_waitcnt vmcnt(0)
	v_and_b32_e32 v3, 0xff, v5
	v_cmp_ne_u64_e32 vcc, 0, v[2:3]
	s_cbranch_vccz .LBB177_4
.LBB177_7:
	v_mov_b32_e32 v1, 0
	global_store_dword v1, v4, s[6:7]
.LBB177_8:
	s_or_b64 exec, exec, s[2:3]
.LBB177_9:
	v_cmp_eq_u32_e32 vcc, 0, v0
	s_and_saveexec_b64 s[2:3], vcc
	s_cbranch_execnz .LBB177_13
; %bb.10:
	s_or_b64 exec, exec, s[2:3]
	v_cmp_gt_u32_e32 vcc, s10, v0
	s_and_saveexec_b64 s[0:1], vcc
	s_cbranch_execnz .LBB177_14
.LBB177_11:
	s_or_b64 exec, exec, s[0:1]
	v_cmp_gt_u32_e32 vcc, 64, v0
	s_and_saveexec_b64 s[0:1], vcc
	s_cbranch_execnz .LBB177_15
.LBB177_12:
	s_endpgm
.LBB177_13:
	s_load_dwordx2 s[0:1], s[0:1], 0x10
	v_mov_b32_e32 v1, 0
	s_waitcnt lgkmcnt(0)
	global_store_dword v1, v1, s[0:1]
	s_or_b64 exec, exec, s[2:3]
	v_cmp_gt_u32_e32 vcc, s10, v0
	s_and_saveexec_b64 s[0:1], vcc
	s_cbranch_execz .LBB177_11
.LBB177_14:
	v_add_u32_e32 v2, 64, v0
	v_mov_b32_e32 v3, 0
	v_lshl_add_u64 v[4:5], v[2:3], 3, s[4:5]
	v_mov_b32_e32 v2, v3
	global_store_dwordx2 v[4:5], v[2:3], off
	s_or_b64 exec, exec, s[0:1]
	v_cmp_gt_u32_e32 vcc, 64, v0
	s_and_saveexec_b64 s[0:1], vcc
	s_cbranch_execz .LBB177_12
.LBB177_15:
	v_mov_b32_e32 v1, 0
	v_lshl_add_u64 v[2:3], v[0:1], 3, s[4:5]
	v_mov_b32_e32 v5, 0xff
	v_mov_b32_e32 v4, v1
	global_store_dwordx2 v[2:3], v[4:5], off
	s_endpgm
	.section	.rodata,"a",@progbits
	.p2align	6, 0x0
	.amdhsa_kernel _ZN7rocprim17ROCPRIM_400000_NS6detail31init_lookback_scan_state_kernelINS1_19lookback_scan_stateIjLb1ELb1EEENS1_16block_id_wrapperIjLb1EEEEEvT_jT0_jPNS7_10value_typeE
		.amdhsa_group_segment_fixed_size 0
		.amdhsa_private_segment_fixed_size 0
		.amdhsa_kernarg_size 296
		.amdhsa_user_sgpr_count 2
		.amdhsa_user_sgpr_dispatch_ptr 0
		.amdhsa_user_sgpr_queue_ptr 0
		.amdhsa_user_sgpr_kernarg_segment_ptr 1
		.amdhsa_user_sgpr_dispatch_id 0
		.amdhsa_user_sgpr_kernarg_preload_length 0
		.amdhsa_user_sgpr_kernarg_preload_offset 0
		.amdhsa_user_sgpr_private_segment_size 0
		.amdhsa_uses_dynamic_stack 0
		.amdhsa_enable_private_segment 0
		.amdhsa_system_sgpr_workgroup_id_x 1
		.amdhsa_system_sgpr_workgroup_id_y 0
		.amdhsa_system_sgpr_workgroup_id_z 0
		.amdhsa_system_sgpr_workgroup_info 0
		.amdhsa_system_vgpr_workitem_id 0
		.amdhsa_next_free_vgpr 6
		.amdhsa_next_free_sgpr 14
		.amdhsa_accum_offset 8
		.amdhsa_reserve_vcc 1
		.amdhsa_float_round_mode_32 0
		.amdhsa_float_round_mode_16_64 0
		.amdhsa_float_denorm_mode_32 3
		.amdhsa_float_denorm_mode_16_64 3
		.amdhsa_dx10_clamp 1
		.amdhsa_ieee_mode 1
		.amdhsa_fp16_overflow 0
		.amdhsa_tg_split 0
		.amdhsa_exception_fp_ieee_invalid_op 0
		.amdhsa_exception_fp_denorm_src 0
		.amdhsa_exception_fp_ieee_div_zero 0
		.amdhsa_exception_fp_ieee_overflow 0
		.amdhsa_exception_fp_ieee_underflow 0
		.amdhsa_exception_fp_ieee_inexact 0
		.amdhsa_exception_int_div_zero 0
	.end_amdhsa_kernel
	.section	.text._ZN7rocprim17ROCPRIM_400000_NS6detail31init_lookback_scan_state_kernelINS1_19lookback_scan_stateIjLb1ELb1EEENS1_16block_id_wrapperIjLb1EEEEEvT_jT0_jPNS7_10value_typeE,"axG",@progbits,_ZN7rocprim17ROCPRIM_400000_NS6detail31init_lookback_scan_state_kernelINS1_19lookback_scan_stateIjLb1ELb1EEENS1_16block_id_wrapperIjLb1EEEEEvT_jT0_jPNS7_10value_typeE,comdat
.Lfunc_end177:
	.size	_ZN7rocprim17ROCPRIM_400000_NS6detail31init_lookback_scan_state_kernelINS1_19lookback_scan_stateIjLb1ELb1EEENS1_16block_id_wrapperIjLb1EEEEEvT_jT0_jPNS7_10value_typeE, .Lfunc_end177-_ZN7rocprim17ROCPRIM_400000_NS6detail31init_lookback_scan_state_kernelINS1_19lookback_scan_stateIjLb1ELb1EEENS1_16block_id_wrapperIjLb1EEEEEvT_jT0_jPNS7_10value_typeE
                                        ; -- End function
	.set _ZN7rocprim17ROCPRIM_400000_NS6detail31init_lookback_scan_state_kernelINS1_19lookback_scan_stateIjLb1ELb1EEENS1_16block_id_wrapperIjLb1EEEEEvT_jT0_jPNS7_10value_typeE.num_vgpr, 6
	.set _ZN7rocprim17ROCPRIM_400000_NS6detail31init_lookback_scan_state_kernelINS1_19lookback_scan_stateIjLb1ELb1EEENS1_16block_id_wrapperIjLb1EEEEEvT_jT0_jPNS7_10value_typeE.num_agpr, 0
	.set _ZN7rocprim17ROCPRIM_400000_NS6detail31init_lookback_scan_state_kernelINS1_19lookback_scan_stateIjLb1ELb1EEENS1_16block_id_wrapperIjLb1EEEEEvT_jT0_jPNS7_10value_typeE.numbered_sgpr, 14
	.set _ZN7rocprim17ROCPRIM_400000_NS6detail31init_lookback_scan_state_kernelINS1_19lookback_scan_stateIjLb1ELb1EEENS1_16block_id_wrapperIjLb1EEEEEvT_jT0_jPNS7_10value_typeE.num_named_barrier, 0
	.set _ZN7rocprim17ROCPRIM_400000_NS6detail31init_lookback_scan_state_kernelINS1_19lookback_scan_stateIjLb1ELb1EEENS1_16block_id_wrapperIjLb1EEEEEvT_jT0_jPNS7_10value_typeE.private_seg_size, 0
	.set _ZN7rocprim17ROCPRIM_400000_NS6detail31init_lookback_scan_state_kernelINS1_19lookback_scan_stateIjLb1ELb1EEENS1_16block_id_wrapperIjLb1EEEEEvT_jT0_jPNS7_10value_typeE.uses_vcc, 1
	.set _ZN7rocprim17ROCPRIM_400000_NS6detail31init_lookback_scan_state_kernelINS1_19lookback_scan_stateIjLb1ELb1EEENS1_16block_id_wrapperIjLb1EEEEEvT_jT0_jPNS7_10value_typeE.uses_flat_scratch, 0
	.set _ZN7rocprim17ROCPRIM_400000_NS6detail31init_lookback_scan_state_kernelINS1_19lookback_scan_stateIjLb1ELb1EEENS1_16block_id_wrapperIjLb1EEEEEvT_jT0_jPNS7_10value_typeE.has_dyn_sized_stack, 0
	.set _ZN7rocprim17ROCPRIM_400000_NS6detail31init_lookback_scan_state_kernelINS1_19lookback_scan_stateIjLb1ELb1EEENS1_16block_id_wrapperIjLb1EEEEEvT_jT0_jPNS7_10value_typeE.has_recursion, 0
	.set _ZN7rocprim17ROCPRIM_400000_NS6detail31init_lookback_scan_state_kernelINS1_19lookback_scan_stateIjLb1ELb1EEENS1_16block_id_wrapperIjLb1EEEEEvT_jT0_jPNS7_10value_typeE.has_indirect_call, 0
	.section	.AMDGPU.csdata,"",@progbits
; Kernel info:
; codeLenInByte = 396
; TotalNumSgprs: 20
; NumVgprs: 6
; NumAgprs: 0
; TotalNumVgprs: 6
; ScratchSize: 0
; MemoryBound: 0
; FloatMode: 240
; IeeeMode: 1
; LDSByteSize: 0 bytes/workgroup (compile time only)
; SGPRBlocks: 2
; VGPRBlocks: 0
; NumSGPRsForWavesPerEU: 20
; NumVGPRsForWavesPerEU: 6
; AccumOffset: 8
; Occupancy: 8
; WaveLimiterHint : 0
; COMPUTE_PGM_RSRC2:SCRATCH_EN: 0
; COMPUTE_PGM_RSRC2:USER_SGPR: 2
; COMPUTE_PGM_RSRC2:TRAP_HANDLER: 0
; COMPUTE_PGM_RSRC2:TGID_X_EN: 1
; COMPUTE_PGM_RSRC2:TGID_Y_EN: 0
; COMPUTE_PGM_RSRC2:TGID_Z_EN: 0
; COMPUTE_PGM_RSRC2:TIDIG_COMP_CNT: 0
; COMPUTE_PGM_RSRC3_GFX90A:ACCUM_OFFSET: 1
; COMPUTE_PGM_RSRC3_GFX90A:TG_SPLIT: 0
	.section	.text._ZN7rocprim17ROCPRIM_400000_NS6detail17trampoline_kernelINS0_14default_configENS1_25partition_config_selectorILNS1_17partition_subalgoE8ElNS0_10empty_typeEbEEZZNS1_14partition_implILS5_8ELb0ES3_jPlPS6_PKS6_NS0_5tupleIJS9_S6_EEENSD_IJSA_SA_EEENS0_18inequality_wrapperIZN2at6native12_GLOBAL__N_124unique_dim_cuda_templateIhEESt5tupleIJNSH_6TensorESM_SM_EERKSM_lbbbEUlllE0_EEPmJS6_EEE10hipError_tPvRmT3_T4_T5_T6_T7_T9_mT8_P12ihipStream_tbDpT10_ENKUlT_T0_E_clISt17integral_constantIbLb1EES1C_EEDaS17_S18_EUlS17_E_NS1_11comp_targetILNS1_3genE0ELNS1_11target_archE4294967295ELNS1_3gpuE0ELNS1_3repE0EEENS1_30default_config_static_selectorELNS0_4arch9wavefront6targetE1EEEvT1_,"axG",@progbits,_ZN7rocprim17ROCPRIM_400000_NS6detail17trampoline_kernelINS0_14default_configENS1_25partition_config_selectorILNS1_17partition_subalgoE8ElNS0_10empty_typeEbEEZZNS1_14partition_implILS5_8ELb0ES3_jPlPS6_PKS6_NS0_5tupleIJS9_S6_EEENSD_IJSA_SA_EEENS0_18inequality_wrapperIZN2at6native12_GLOBAL__N_124unique_dim_cuda_templateIhEESt5tupleIJNSH_6TensorESM_SM_EERKSM_lbbbEUlllE0_EEPmJS6_EEE10hipError_tPvRmT3_T4_T5_T6_T7_T9_mT8_P12ihipStream_tbDpT10_ENKUlT_T0_E_clISt17integral_constantIbLb1EES1C_EEDaS17_S18_EUlS17_E_NS1_11comp_targetILNS1_3genE0ELNS1_11target_archE4294967295ELNS1_3gpuE0ELNS1_3repE0EEENS1_30default_config_static_selectorELNS0_4arch9wavefront6targetE1EEEvT1_,comdat
	.globl	_ZN7rocprim17ROCPRIM_400000_NS6detail17trampoline_kernelINS0_14default_configENS1_25partition_config_selectorILNS1_17partition_subalgoE8ElNS0_10empty_typeEbEEZZNS1_14partition_implILS5_8ELb0ES3_jPlPS6_PKS6_NS0_5tupleIJS9_S6_EEENSD_IJSA_SA_EEENS0_18inequality_wrapperIZN2at6native12_GLOBAL__N_124unique_dim_cuda_templateIhEESt5tupleIJNSH_6TensorESM_SM_EERKSM_lbbbEUlllE0_EEPmJS6_EEE10hipError_tPvRmT3_T4_T5_T6_T7_T9_mT8_P12ihipStream_tbDpT10_ENKUlT_T0_E_clISt17integral_constantIbLb1EES1C_EEDaS17_S18_EUlS17_E_NS1_11comp_targetILNS1_3genE0ELNS1_11target_archE4294967295ELNS1_3gpuE0ELNS1_3repE0EEENS1_30default_config_static_selectorELNS0_4arch9wavefront6targetE1EEEvT1_ ; -- Begin function _ZN7rocprim17ROCPRIM_400000_NS6detail17trampoline_kernelINS0_14default_configENS1_25partition_config_selectorILNS1_17partition_subalgoE8ElNS0_10empty_typeEbEEZZNS1_14partition_implILS5_8ELb0ES3_jPlPS6_PKS6_NS0_5tupleIJS9_S6_EEENSD_IJSA_SA_EEENS0_18inequality_wrapperIZN2at6native12_GLOBAL__N_124unique_dim_cuda_templateIhEESt5tupleIJNSH_6TensorESM_SM_EERKSM_lbbbEUlllE0_EEPmJS6_EEE10hipError_tPvRmT3_T4_T5_T6_T7_T9_mT8_P12ihipStream_tbDpT10_ENKUlT_T0_E_clISt17integral_constantIbLb1EES1C_EEDaS17_S18_EUlS17_E_NS1_11comp_targetILNS1_3genE0ELNS1_11target_archE4294967295ELNS1_3gpuE0ELNS1_3repE0EEENS1_30default_config_static_selectorELNS0_4arch9wavefront6targetE1EEEvT1_
	.p2align	8
	.type	_ZN7rocprim17ROCPRIM_400000_NS6detail17trampoline_kernelINS0_14default_configENS1_25partition_config_selectorILNS1_17partition_subalgoE8ElNS0_10empty_typeEbEEZZNS1_14partition_implILS5_8ELb0ES3_jPlPS6_PKS6_NS0_5tupleIJS9_S6_EEENSD_IJSA_SA_EEENS0_18inequality_wrapperIZN2at6native12_GLOBAL__N_124unique_dim_cuda_templateIhEESt5tupleIJNSH_6TensorESM_SM_EERKSM_lbbbEUlllE0_EEPmJS6_EEE10hipError_tPvRmT3_T4_T5_T6_T7_T9_mT8_P12ihipStream_tbDpT10_ENKUlT_T0_E_clISt17integral_constantIbLb1EES1C_EEDaS17_S18_EUlS17_E_NS1_11comp_targetILNS1_3genE0ELNS1_11target_archE4294967295ELNS1_3gpuE0ELNS1_3repE0EEENS1_30default_config_static_selectorELNS0_4arch9wavefront6targetE1EEEvT1_,@function
_ZN7rocprim17ROCPRIM_400000_NS6detail17trampoline_kernelINS0_14default_configENS1_25partition_config_selectorILNS1_17partition_subalgoE8ElNS0_10empty_typeEbEEZZNS1_14partition_implILS5_8ELb0ES3_jPlPS6_PKS6_NS0_5tupleIJS9_S6_EEENSD_IJSA_SA_EEENS0_18inequality_wrapperIZN2at6native12_GLOBAL__N_124unique_dim_cuda_templateIhEESt5tupleIJNSH_6TensorESM_SM_EERKSM_lbbbEUlllE0_EEPmJS6_EEE10hipError_tPvRmT3_T4_T5_T6_T7_T9_mT8_P12ihipStream_tbDpT10_ENKUlT_T0_E_clISt17integral_constantIbLb1EES1C_EEDaS17_S18_EUlS17_E_NS1_11comp_targetILNS1_3genE0ELNS1_11target_archE4294967295ELNS1_3gpuE0ELNS1_3repE0EEENS1_30default_config_static_selectorELNS0_4arch9wavefront6targetE1EEEvT1_: ; @_ZN7rocprim17ROCPRIM_400000_NS6detail17trampoline_kernelINS0_14default_configENS1_25partition_config_selectorILNS1_17partition_subalgoE8ElNS0_10empty_typeEbEEZZNS1_14partition_implILS5_8ELb0ES3_jPlPS6_PKS6_NS0_5tupleIJS9_S6_EEENSD_IJSA_SA_EEENS0_18inequality_wrapperIZN2at6native12_GLOBAL__N_124unique_dim_cuda_templateIhEESt5tupleIJNSH_6TensorESM_SM_EERKSM_lbbbEUlllE0_EEPmJS6_EEE10hipError_tPvRmT3_T4_T5_T6_T7_T9_mT8_P12ihipStream_tbDpT10_ENKUlT_T0_E_clISt17integral_constantIbLb1EES1C_EEDaS17_S18_EUlS17_E_NS1_11comp_targetILNS1_3genE0ELNS1_11target_archE4294967295ELNS1_3gpuE0ELNS1_3repE0EEENS1_30default_config_static_selectorELNS0_4arch9wavefront6targetE1EEEvT1_
; %bb.0:
	s_endpgm
	.section	.rodata,"a",@progbits
	.p2align	6, 0x0
	.amdhsa_kernel _ZN7rocprim17ROCPRIM_400000_NS6detail17trampoline_kernelINS0_14default_configENS1_25partition_config_selectorILNS1_17partition_subalgoE8ElNS0_10empty_typeEbEEZZNS1_14partition_implILS5_8ELb0ES3_jPlPS6_PKS6_NS0_5tupleIJS9_S6_EEENSD_IJSA_SA_EEENS0_18inequality_wrapperIZN2at6native12_GLOBAL__N_124unique_dim_cuda_templateIhEESt5tupleIJNSH_6TensorESM_SM_EERKSM_lbbbEUlllE0_EEPmJS6_EEE10hipError_tPvRmT3_T4_T5_T6_T7_T9_mT8_P12ihipStream_tbDpT10_ENKUlT_T0_E_clISt17integral_constantIbLb1EES1C_EEDaS17_S18_EUlS17_E_NS1_11comp_targetILNS1_3genE0ELNS1_11target_archE4294967295ELNS1_3gpuE0ELNS1_3repE0EEENS1_30default_config_static_selectorELNS0_4arch9wavefront6targetE1EEEvT1_
		.amdhsa_group_segment_fixed_size 0
		.amdhsa_private_segment_fixed_size 0
		.amdhsa_kernarg_size 136
		.amdhsa_user_sgpr_count 2
		.amdhsa_user_sgpr_dispatch_ptr 0
		.amdhsa_user_sgpr_queue_ptr 0
		.amdhsa_user_sgpr_kernarg_segment_ptr 1
		.amdhsa_user_sgpr_dispatch_id 0
		.amdhsa_user_sgpr_kernarg_preload_length 0
		.amdhsa_user_sgpr_kernarg_preload_offset 0
		.amdhsa_user_sgpr_private_segment_size 0
		.amdhsa_uses_dynamic_stack 0
		.amdhsa_enable_private_segment 0
		.amdhsa_system_sgpr_workgroup_id_x 1
		.amdhsa_system_sgpr_workgroup_id_y 0
		.amdhsa_system_sgpr_workgroup_id_z 0
		.amdhsa_system_sgpr_workgroup_info 0
		.amdhsa_system_vgpr_workitem_id 0
		.amdhsa_next_free_vgpr 1
		.amdhsa_next_free_sgpr 0
		.amdhsa_accum_offset 4
		.amdhsa_reserve_vcc 0
		.amdhsa_float_round_mode_32 0
		.amdhsa_float_round_mode_16_64 0
		.amdhsa_float_denorm_mode_32 3
		.amdhsa_float_denorm_mode_16_64 3
		.amdhsa_dx10_clamp 1
		.amdhsa_ieee_mode 1
		.amdhsa_fp16_overflow 0
		.amdhsa_tg_split 0
		.amdhsa_exception_fp_ieee_invalid_op 0
		.amdhsa_exception_fp_denorm_src 0
		.amdhsa_exception_fp_ieee_div_zero 0
		.amdhsa_exception_fp_ieee_overflow 0
		.amdhsa_exception_fp_ieee_underflow 0
		.amdhsa_exception_fp_ieee_inexact 0
		.amdhsa_exception_int_div_zero 0
	.end_amdhsa_kernel
	.section	.text._ZN7rocprim17ROCPRIM_400000_NS6detail17trampoline_kernelINS0_14default_configENS1_25partition_config_selectorILNS1_17partition_subalgoE8ElNS0_10empty_typeEbEEZZNS1_14partition_implILS5_8ELb0ES3_jPlPS6_PKS6_NS0_5tupleIJS9_S6_EEENSD_IJSA_SA_EEENS0_18inequality_wrapperIZN2at6native12_GLOBAL__N_124unique_dim_cuda_templateIhEESt5tupleIJNSH_6TensorESM_SM_EERKSM_lbbbEUlllE0_EEPmJS6_EEE10hipError_tPvRmT3_T4_T5_T6_T7_T9_mT8_P12ihipStream_tbDpT10_ENKUlT_T0_E_clISt17integral_constantIbLb1EES1C_EEDaS17_S18_EUlS17_E_NS1_11comp_targetILNS1_3genE0ELNS1_11target_archE4294967295ELNS1_3gpuE0ELNS1_3repE0EEENS1_30default_config_static_selectorELNS0_4arch9wavefront6targetE1EEEvT1_,"axG",@progbits,_ZN7rocprim17ROCPRIM_400000_NS6detail17trampoline_kernelINS0_14default_configENS1_25partition_config_selectorILNS1_17partition_subalgoE8ElNS0_10empty_typeEbEEZZNS1_14partition_implILS5_8ELb0ES3_jPlPS6_PKS6_NS0_5tupleIJS9_S6_EEENSD_IJSA_SA_EEENS0_18inequality_wrapperIZN2at6native12_GLOBAL__N_124unique_dim_cuda_templateIhEESt5tupleIJNSH_6TensorESM_SM_EERKSM_lbbbEUlllE0_EEPmJS6_EEE10hipError_tPvRmT3_T4_T5_T6_T7_T9_mT8_P12ihipStream_tbDpT10_ENKUlT_T0_E_clISt17integral_constantIbLb1EES1C_EEDaS17_S18_EUlS17_E_NS1_11comp_targetILNS1_3genE0ELNS1_11target_archE4294967295ELNS1_3gpuE0ELNS1_3repE0EEENS1_30default_config_static_selectorELNS0_4arch9wavefront6targetE1EEEvT1_,comdat
.Lfunc_end178:
	.size	_ZN7rocprim17ROCPRIM_400000_NS6detail17trampoline_kernelINS0_14default_configENS1_25partition_config_selectorILNS1_17partition_subalgoE8ElNS0_10empty_typeEbEEZZNS1_14partition_implILS5_8ELb0ES3_jPlPS6_PKS6_NS0_5tupleIJS9_S6_EEENSD_IJSA_SA_EEENS0_18inequality_wrapperIZN2at6native12_GLOBAL__N_124unique_dim_cuda_templateIhEESt5tupleIJNSH_6TensorESM_SM_EERKSM_lbbbEUlllE0_EEPmJS6_EEE10hipError_tPvRmT3_T4_T5_T6_T7_T9_mT8_P12ihipStream_tbDpT10_ENKUlT_T0_E_clISt17integral_constantIbLb1EES1C_EEDaS17_S18_EUlS17_E_NS1_11comp_targetILNS1_3genE0ELNS1_11target_archE4294967295ELNS1_3gpuE0ELNS1_3repE0EEENS1_30default_config_static_selectorELNS0_4arch9wavefront6targetE1EEEvT1_, .Lfunc_end178-_ZN7rocprim17ROCPRIM_400000_NS6detail17trampoline_kernelINS0_14default_configENS1_25partition_config_selectorILNS1_17partition_subalgoE8ElNS0_10empty_typeEbEEZZNS1_14partition_implILS5_8ELb0ES3_jPlPS6_PKS6_NS0_5tupleIJS9_S6_EEENSD_IJSA_SA_EEENS0_18inequality_wrapperIZN2at6native12_GLOBAL__N_124unique_dim_cuda_templateIhEESt5tupleIJNSH_6TensorESM_SM_EERKSM_lbbbEUlllE0_EEPmJS6_EEE10hipError_tPvRmT3_T4_T5_T6_T7_T9_mT8_P12ihipStream_tbDpT10_ENKUlT_T0_E_clISt17integral_constantIbLb1EES1C_EEDaS17_S18_EUlS17_E_NS1_11comp_targetILNS1_3genE0ELNS1_11target_archE4294967295ELNS1_3gpuE0ELNS1_3repE0EEENS1_30default_config_static_selectorELNS0_4arch9wavefront6targetE1EEEvT1_
                                        ; -- End function
	.set _ZN7rocprim17ROCPRIM_400000_NS6detail17trampoline_kernelINS0_14default_configENS1_25partition_config_selectorILNS1_17partition_subalgoE8ElNS0_10empty_typeEbEEZZNS1_14partition_implILS5_8ELb0ES3_jPlPS6_PKS6_NS0_5tupleIJS9_S6_EEENSD_IJSA_SA_EEENS0_18inequality_wrapperIZN2at6native12_GLOBAL__N_124unique_dim_cuda_templateIhEESt5tupleIJNSH_6TensorESM_SM_EERKSM_lbbbEUlllE0_EEPmJS6_EEE10hipError_tPvRmT3_T4_T5_T6_T7_T9_mT8_P12ihipStream_tbDpT10_ENKUlT_T0_E_clISt17integral_constantIbLb1EES1C_EEDaS17_S18_EUlS17_E_NS1_11comp_targetILNS1_3genE0ELNS1_11target_archE4294967295ELNS1_3gpuE0ELNS1_3repE0EEENS1_30default_config_static_selectorELNS0_4arch9wavefront6targetE1EEEvT1_.num_vgpr, 0
	.set _ZN7rocprim17ROCPRIM_400000_NS6detail17trampoline_kernelINS0_14default_configENS1_25partition_config_selectorILNS1_17partition_subalgoE8ElNS0_10empty_typeEbEEZZNS1_14partition_implILS5_8ELb0ES3_jPlPS6_PKS6_NS0_5tupleIJS9_S6_EEENSD_IJSA_SA_EEENS0_18inequality_wrapperIZN2at6native12_GLOBAL__N_124unique_dim_cuda_templateIhEESt5tupleIJNSH_6TensorESM_SM_EERKSM_lbbbEUlllE0_EEPmJS6_EEE10hipError_tPvRmT3_T4_T5_T6_T7_T9_mT8_P12ihipStream_tbDpT10_ENKUlT_T0_E_clISt17integral_constantIbLb1EES1C_EEDaS17_S18_EUlS17_E_NS1_11comp_targetILNS1_3genE0ELNS1_11target_archE4294967295ELNS1_3gpuE0ELNS1_3repE0EEENS1_30default_config_static_selectorELNS0_4arch9wavefront6targetE1EEEvT1_.num_agpr, 0
	.set _ZN7rocprim17ROCPRIM_400000_NS6detail17trampoline_kernelINS0_14default_configENS1_25partition_config_selectorILNS1_17partition_subalgoE8ElNS0_10empty_typeEbEEZZNS1_14partition_implILS5_8ELb0ES3_jPlPS6_PKS6_NS0_5tupleIJS9_S6_EEENSD_IJSA_SA_EEENS0_18inequality_wrapperIZN2at6native12_GLOBAL__N_124unique_dim_cuda_templateIhEESt5tupleIJNSH_6TensorESM_SM_EERKSM_lbbbEUlllE0_EEPmJS6_EEE10hipError_tPvRmT3_T4_T5_T6_T7_T9_mT8_P12ihipStream_tbDpT10_ENKUlT_T0_E_clISt17integral_constantIbLb1EES1C_EEDaS17_S18_EUlS17_E_NS1_11comp_targetILNS1_3genE0ELNS1_11target_archE4294967295ELNS1_3gpuE0ELNS1_3repE0EEENS1_30default_config_static_selectorELNS0_4arch9wavefront6targetE1EEEvT1_.numbered_sgpr, 0
	.set _ZN7rocprim17ROCPRIM_400000_NS6detail17trampoline_kernelINS0_14default_configENS1_25partition_config_selectorILNS1_17partition_subalgoE8ElNS0_10empty_typeEbEEZZNS1_14partition_implILS5_8ELb0ES3_jPlPS6_PKS6_NS0_5tupleIJS9_S6_EEENSD_IJSA_SA_EEENS0_18inequality_wrapperIZN2at6native12_GLOBAL__N_124unique_dim_cuda_templateIhEESt5tupleIJNSH_6TensorESM_SM_EERKSM_lbbbEUlllE0_EEPmJS6_EEE10hipError_tPvRmT3_T4_T5_T6_T7_T9_mT8_P12ihipStream_tbDpT10_ENKUlT_T0_E_clISt17integral_constantIbLb1EES1C_EEDaS17_S18_EUlS17_E_NS1_11comp_targetILNS1_3genE0ELNS1_11target_archE4294967295ELNS1_3gpuE0ELNS1_3repE0EEENS1_30default_config_static_selectorELNS0_4arch9wavefront6targetE1EEEvT1_.num_named_barrier, 0
	.set _ZN7rocprim17ROCPRIM_400000_NS6detail17trampoline_kernelINS0_14default_configENS1_25partition_config_selectorILNS1_17partition_subalgoE8ElNS0_10empty_typeEbEEZZNS1_14partition_implILS5_8ELb0ES3_jPlPS6_PKS6_NS0_5tupleIJS9_S6_EEENSD_IJSA_SA_EEENS0_18inequality_wrapperIZN2at6native12_GLOBAL__N_124unique_dim_cuda_templateIhEESt5tupleIJNSH_6TensorESM_SM_EERKSM_lbbbEUlllE0_EEPmJS6_EEE10hipError_tPvRmT3_T4_T5_T6_T7_T9_mT8_P12ihipStream_tbDpT10_ENKUlT_T0_E_clISt17integral_constantIbLb1EES1C_EEDaS17_S18_EUlS17_E_NS1_11comp_targetILNS1_3genE0ELNS1_11target_archE4294967295ELNS1_3gpuE0ELNS1_3repE0EEENS1_30default_config_static_selectorELNS0_4arch9wavefront6targetE1EEEvT1_.private_seg_size, 0
	.set _ZN7rocprim17ROCPRIM_400000_NS6detail17trampoline_kernelINS0_14default_configENS1_25partition_config_selectorILNS1_17partition_subalgoE8ElNS0_10empty_typeEbEEZZNS1_14partition_implILS5_8ELb0ES3_jPlPS6_PKS6_NS0_5tupleIJS9_S6_EEENSD_IJSA_SA_EEENS0_18inequality_wrapperIZN2at6native12_GLOBAL__N_124unique_dim_cuda_templateIhEESt5tupleIJNSH_6TensorESM_SM_EERKSM_lbbbEUlllE0_EEPmJS6_EEE10hipError_tPvRmT3_T4_T5_T6_T7_T9_mT8_P12ihipStream_tbDpT10_ENKUlT_T0_E_clISt17integral_constantIbLb1EES1C_EEDaS17_S18_EUlS17_E_NS1_11comp_targetILNS1_3genE0ELNS1_11target_archE4294967295ELNS1_3gpuE0ELNS1_3repE0EEENS1_30default_config_static_selectorELNS0_4arch9wavefront6targetE1EEEvT1_.uses_vcc, 0
	.set _ZN7rocprim17ROCPRIM_400000_NS6detail17trampoline_kernelINS0_14default_configENS1_25partition_config_selectorILNS1_17partition_subalgoE8ElNS0_10empty_typeEbEEZZNS1_14partition_implILS5_8ELb0ES3_jPlPS6_PKS6_NS0_5tupleIJS9_S6_EEENSD_IJSA_SA_EEENS0_18inequality_wrapperIZN2at6native12_GLOBAL__N_124unique_dim_cuda_templateIhEESt5tupleIJNSH_6TensorESM_SM_EERKSM_lbbbEUlllE0_EEPmJS6_EEE10hipError_tPvRmT3_T4_T5_T6_T7_T9_mT8_P12ihipStream_tbDpT10_ENKUlT_T0_E_clISt17integral_constantIbLb1EES1C_EEDaS17_S18_EUlS17_E_NS1_11comp_targetILNS1_3genE0ELNS1_11target_archE4294967295ELNS1_3gpuE0ELNS1_3repE0EEENS1_30default_config_static_selectorELNS0_4arch9wavefront6targetE1EEEvT1_.uses_flat_scratch, 0
	.set _ZN7rocprim17ROCPRIM_400000_NS6detail17trampoline_kernelINS0_14default_configENS1_25partition_config_selectorILNS1_17partition_subalgoE8ElNS0_10empty_typeEbEEZZNS1_14partition_implILS5_8ELb0ES3_jPlPS6_PKS6_NS0_5tupleIJS9_S6_EEENSD_IJSA_SA_EEENS0_18inequality_wrapperIZN2at6native12_GLOBAL__N_124unique_dim_cuda_templateIhEESt5tupleIJNSH_6TensorESM_SM_EERKSM_lbbbEUlllE0_EEPmJS6_EEE10hipError_tPvRmT3_T4_T5_T6_T7_T9_mT8_P12ihipStream_tbDpT10_ENKUlT_T0_E_clISt17integral_constantIbLb1EES1C_EEDaS17_S18_EUlS17_E_NS1_11comp_targetILNS1_3genE0ELNS1_11target_archE4294967295ELNS1_3gpuE0ELNS1_3repE0EEENS1_30default_config_static_selectorELNS0_4arch9wavefront6targetE1EEEvT1_.has_dyn_sized_stack, 0
	.set _ZN7rocprim17ROCPRIM_400000_NS6detail17trampoline_kernelINS0_14default_configENS1_25partition_config_selectorILNS1_17partition_subalgoE8ElNS0_10empty_typeEbEEZZNS1_14partition_implILS5_8ELb0ES3_jPlPS6_PKS6_NS0_5tupleIJS9_S6_EEENSD_IJSA_SA_EEENS0_18inequality_wrapperIZN2at6native12_GLOBAL__N_124unique_dim_cuda_templateIhEESt5tupleIJNSH_6TensorESM_SM_EERKSM_lbbbEUlllE0_EEPmJS6_EEE10hipError_tPvRmT3_T4_T5_T6_T7_T9_mT8_P12ihipStream_tbDpT10_ENKUlT_T0_E_clISt17integral_constantIbLb1EES1C_EEDaS17_S18_EUlS17_E_NS1_11comp_targetILNS1_3genE0ELNS1_11target_archE4294967295ELNS1_3gpuE0ELNS1_3repE0EEENS1_30default_config_static_selectorELNS0_4arch9wavefront6targetE1EEEvT1_.has_recursion, 0
	.set _ZN7rocprim17ROCPRIM_400000_NS6detail17trampoline_kernelINS0_14default_configENS1_25partition_config_selectorILNS1_17partition_subalgoE8ElNS0_10empty_typeEbEEZZNS1_14partition_implILS5_8ELb0ES3_jPlPS6_PKS6_NS0_5tupleIJS9_S6_EEENSD_IJSA_SA_EEENS0_18inequality_wrapperIZN2at6native12_GLOBAL__N_124unique_dim_cuda_templateIhEESt5tupleIJNSH_6TensorESM_SM_EERKSM_lbbbEUlllE0_EEPmJS6_EEE10hipError_tPvRmT3_T4_T5_T6_T7_T9_mT8_P12ihipStream_tbDpT10_ENKUlT_T0_E_clISt17integral_constantIbLb1EES1C_EEDaS17_S18_EUlS17_E_NS1_11comp_targetILNS1_3genE0ELNS1_11target_archE4294967295ELNS1_3gpuE0ELNS1_3repE0EEENS1_30default_config_static_selectorELNS0_4arch9wavefront6targetE1EEEvT1_.has_indirect_call, 0
	.section	.AMDGPU.csdata,"",@progbits
; Kernel info:
; codeLenInByte = 4
; TotalNumSgprs: 6
; NumVgprs: 0
; NumAgprs: 0
; TotalNumVgprs: 0
; ScratchSize: 0
; MemoryBound: 0
; FloatMode: 240
; IeeeMode: 1
; LDSByteSize: 0 bytes/workgroup (compile time only)
; SGPRBlocks: 0
; VGPRBlocks: 0
; NumSGPRsForWavesPerEU: 6
; NumVGPRsForWavesPerEU: 1
; AccumOffset: 4
; Occupancy: 8
; WaveLimiterHint : 0
; COMPUTE_PGM_RSRC2:SCRATCH_EN: 0
; COMPUTE_PGM_RSRC2:USER_SGPR: 2
; COMPUTE_PGM_RSRC2:TRAP_HANDLER: 0
; COMPUTE_PGM_RSRC2:TGID_X_EN: 1
; COMPUTE_PGM_RSRC2:TGID_Y_EN: 0
; COMPUTE_PGM_RSRC2:TGID_Z_EN: 0
; COMPUTE_PGM_RSRC2:TIDIG_COMP_CNT: 0
; COMPUTE_PGM_RSRC3_GFX90A:ACCUM_OFFSET: 0
; COMPUTE_PGM_RSRC3_GFX90A:TG_SPLIT: 0
	.section	.text._ZN7rocprim17ROCPRIM_400000_NS6detail17trampoline_kernelINS0_14default_configENS1_25partition_config_selectorILNS1_17partition_subalgoE8ElNS0_10empty_typeEbEEZZNS1_14partition_implILS5_8ELb0ES3_jPlPS6_PKS6_NS0_5tupleIJS9_S6_EEENSD_IJSA_SA_EEENS0_18inequality_wrapperIZN2at6native12_GLOBAL__N_124unique_dim_cuda_templateIhEESt5tupleIJNSH_6TensorESM_SM_EERKSM_lbbbEUlllE0_EEPmJS6_EEE10hipError_tPvRmT3_T4_T5_T6_T7_T9_mT8_P12ihipStream_tbDpT10_ENKUlT_T0_E_clISt17integral_constantIbLb1EES1C_EEDaS17_S18_EUlS17_E_NS1_11comp_targetILNS1_3genE5ELNS1_11target_archE942ELNS1_3gpuE9ELNS1_3repE0EEENS1_30default_config_static_selectorELNS0_4arch9wavefront6targetE1EEEvT1_,"axG",@progbits,_ZN7rocprim17ROCPRIM_400000_NS6detail17trampoline_kernelINS0_14default_configENS1_25partition_config_selectorILNS1_17partition_subalgoE8ElNS0_10empty_typeEbEEZZNS1_14partition_implILS5_8ELb0ES3_jPlPS6_PKS6_NS0_5tupleIJS9_S6_EEENSD_IJSA_SA_EEENS0_18inequality_wrapperIZN2at6native12_GLOBAL__N_124unique_dim_cuda_templateIhEESt5tupleIJNSH_6TensorESM_SM_EERKSM_lbbbEUlllE0_EEPmJS6_EEE10hipError_tPvRmT3_T4_T5_T6_T7_T9_mT8_P12ihipStream_tbDpT10_ENKUlT_T0_E_clISt17integral_constantIbLb1EES1C_EEDaS17_S18_EUlS17_E_NS1_11comp_targetILNS1_3genE5ELNS1_11target_archE942ELNS1_3gpuE9ELNS1_3repE0EEENS1_30default_config_static_selectorELNS0_4arch9wavefront6targetE1EEEvT1_,comdat
	.globl	_ZN7rocprim17ROCPRIM_400000_NS6detail17trampoline_kernelINS0_14default_configENS1_25partition_config_selectorILNS1_17partition_subalgoE8ElNS0_10empty_typeEbEEZZNS1_14partition_implILS5_8ELb0ES3_jPlPS6_PKS6_NS0_5tupleIJS9_S6_EEENSD_IJSA_SA_EEENS0_18inequality_wrapperIZN2at6native12_GLOBAL__N_124unique_dim_cuda_templateIhEESt5tupleIJNSH_6TensorESM_SM_EERKSM_lbbbEUlllE0_EEPmJS6_EEE10hipError_tPvRmT3_T4_T5_T6_T7_T9_mT8_P12ihipStream_tbDpT10_ENKUlT_T0_E_clISt17integral_constantIbLb1EES1C_EEDaS17_S18_EUlS17_E_NS1_11comp_targetILNS1_3genE5ELNS1_11target_archE942ELNS1_3gpuE9ELNS1_3repE0EEENS1_30default_config_static_selectorELNS0_4arch9wavefront6targetE1EEEvT1_ ; -- Begin function _ZN7rocprim17ROCPRIM_400000_NS6detail17trampoline_kernelINS0_14default_configENS1_25partition_config_selectorILNS1_17partition_subalgoE8ElNS0_10empty_typeEbEEZZNS1_14partition_implILS5_8ELb0ES3_jPlPS6_PKS6_NS0_5tupleIJS9_S6_EEENSD_IJSA_SA_EEENS0_18inequality_wrapperIZN2at6native12_GLOBAL__N_124unique_dim_cuda_templateIhEESt5tupleIJNSH_6TensorESM_SM_EERKSM_lbbbEUlllE0_EEPmJS6_EEE10hipError_tPvRmT3_T4_T5_T6_T7_T9_mT8_P12ihipStream_tbDpT10_ENKUlT_T0_E_clISt17integral_constantIbLb1EES1C_EEDaS17_S18_EUlS17_E_NS1_11comp_targetILNS1_3genE5ELNS1_11target_archE942ELNS1_3gpuE9ELNS1_3repE0EEENS1_30default_config_static_selectorELNS0_4arch9wavefront6targetE1EEEvT1_
	.p2align	8
	.type	_ZN7rocprim17ROCPRIM_400000_NS6detail17trampoline_kernelINS0_14default_configENS1_25partition_config_selectorILNS1_17partition_subalgoE8ElNS0_10empty_typeEbEEZZNS1_14partition_implILS5_8ELb0ES3_jPlPS6_PKS6_NS0_5tupleIJS9_S6_EEENSD_IJSA_SA_EEENS0_18inequality_wrapperIZN2at6native12_GLOBAL__N_124unique_dim_cuda_templateIhEESt5tupleIJNSH_6TensorESM_SM_EERKSM_lbbbEUlllE0_EEPmJS6_EEE10hipError_tPvRmT3_T4_T5_T6_T7_T9_mT8_P12ihipStream_tbDpT10_ENKUlT_T0_E_clISt17integral_constantIbLb1EES1C_EEDaS17_S18_EUlS17_E_NS1_11comp_targetILNS1_3genE5ELNS1_11target_archE942ELNS1_3gpuE9ELNS1_3repE0EEENS1_30default_config_static_selectorELNS0_4arch9wavefront6targetE1EEEvT1_,@function
_ZN7rocprim17ROCPRIM_400000_NS6detail17trampoline_kernelINS0_14default_configENS1_25partition_config_selectorILNS1_17partition_subalgoE8ElNS0_10empty_typeEbEEZZNS1_14partition_implILS5_8ELb0ES3_jPlPS6_PKS6_NS0_5tupleIJS9_S6_EEENSD_IJSA_SA_EEENS0_18inequality_wrapperIZN2at6native12_GLOBAL__N_124unique_dim_cuda_templateIhEESt5tupleIJNSH_6TensorESM_SM_EERKSM_lbbbEUlllE0_EEPmJS6_EEE10hipError_tPvRmT3_T4_T5_T6_T7_T9_mT8_P12ihipStream_tbDpT10_ENKUlT_T0_E_clISt17integral_constantIbLb1EES1C_EEDaS17_S18_EUlS17_E_NS1_11comp_targetILNS1_3genE5ELNS1_11target_archE942ELNS1_3gpuE9ELNS1_3repE0EEENS1_30default_config_static_selectorELNS0_4arch9wavefront6targetE1EEEvT1_: ; @_ZN7rocprim17ROCPRIM_400000_NS6detail17trampoline_kernelINS0_14default_configENS1_25partition_config_selectorILNS1_17partition_subalgoE8ElNS0_10empty_typeEbEEZZNS1_14partition_implILS5_8ELb0ES3_jPlPS6_PKS6_NS0_5tupleIJS9_S6_EEENSD_IJSA_SA_EEENS0_18inequality_wrapperIZN2at6native12_GLOBAL__N_124unique_dim_cuda_templateIhEESt5tupleIJNSH_6TensorESM_SM_EERKSM_lbbbEUlllE0_EEPmJS6_EEE10hipError_tPvRmT3_T4_T5_T6_T7_T9_mT8_P12ihipStream_tbDpT10_ENKUlT_T0_E_clISt17integral_constantIbLb1EES1C_EEDaS17_S18_EUlS17_E_NS1_11comp_targetILNS1_3genE5ELNS1_11target_archE942ELNS1_3gpuE9ELNS1_3repE0EEENS1_30default_config_static_selectorELNS0_4arch9wavefront6targetE1EEEvT1_
; %bb.0:
	.section	.rodata,"a",@progbits
	.p2align	6, 0x0
	.amdhsa_kernel _ZN7rocprim17ROCPRIM_400000_NS6detail17trampoline_kernelINS0_14default_configENS1_25partition_config_selectorILNS1_17partition_subalgoE8ElNS0_10empty_typeEbEEZZNS1_14partition_implILS5_8ELb0ES3_jPlPS6_PKS6_NS0_5tupleIJS9_S6_EEENSD_IJSA_SA_EEENS0_18inequality_wrapperIZN2at6native12_GLOBAL__N_124unique_dim_cuda_templateIhEESt5tupleIJNSH_6TensorESM_SM_EERKSM_lbbbEUlllE0_EEPmJS6_EEE10hipError_tPvRmT3_T4_T5_T6_T7_T9_mT8_P12ihipStream_tbDpT10_ENKUlT_T0_E_clISt17integral_constantIbLb1EES1C_EEDaS17_S18_EUlS17_E_NS1_11comp_targetILNS1_3genE5ELNS1_11target_archE942ELNS1_3gpuE9ELNS1_3repE0EEENS1_30default_config_static_selectorELNS0_4arch9wavefront6targetE1EEEvT1_
		.amdhsa_group_segment_fixed_size 0
		.amdhsa_private_segment_fixed_size 0
		.amdhsa_kernarg_size 136
		.amdhsa_user_sgpr_count 2
		.amdhsa_user_sgpr_dispatch_ptr 0
		.amdhsa_user_sgpr_queue_ptr 0
		.amdhsa_user_sgpr_kernarg_segment_ptr 1
		.amdhsa_user_sgpr_dispatch_id 0
		.amdhsa_user_sgpr_kernarg_preload_length 0
		.amdhsa_user_sgpr_kernarg_preload_offset 0
		.amdhsa_user_sgpr_private_segment_size 0
		.amdhsa_uses_dynamic_stack 0
		.amdhsa_enable_private_segment 0
		.amdhsa_system_sgpr_workgroup_id_x 1
		.amdhsa_system_sgpr_workgroup_id_y 0
		.amdhsa_system_sgpr_workgroup_id_z 0
		.amdhsa_system_sgpr_workgroup_info 0
		.amdhsa_system_vgpr_workitem_id 0
		.amdhsa_next_free_vgpr 1
		.amdhsa_next_free_sgpr 0
		.amdhsa_accum_offset 4
		.amdhsa_reserve_vcc 0
		.amdhsa_float_round_mode_32 0
		.amdhsa_float_round_mode_16_64 0
		.amdhsa_float_denorm_mode_32 3
		.amdhsa_float_denorm_mode_16_64 3
		.amdhsa_dx10_clamp 1
		.amdhsa_ieee_mode 1
		.amdhsa_fp16_overflow 0
		.amdhsa_tg_split 0
		.amdhsa_exception_fp_ieee_invalid_op 0
		.amdhsa_exception_fp_denorm_src 0
		.amdhsa_exception_fp_ieee_div_zero 0
		.amdhsa_exception_fp_ieee_overflow 0
		.amdhsa_exception_fp_ieee_underflow 0
		.amdhsa_exception_fp_ieee_inexact 0
		.amdhsa_exception_int_div_zero 0
	.end_amdhsa_kernel
	.section	.text._ZN7rocprim17ROCPRIM_400000_NS6detail17trampoline_kernelINS0_14default_configENS1_25partition_config_selectorILNS1_17partition_subalgoE8ElNS0_10empty_typeEbEEZZNS1_14partition_implILS5_8ELb0ES3_jPlPS6_PKS6_NS0_5tupleIJS9_S6_EEENSD_IJSA_SA_EEENS0_18inequality_wrapperIZN2at6native12_GLOBAL__N_124unique_dim_cuda_templateIhEESt5tupleIJNSH_6TensorESM_SM_EERKSM_lbbbEUlllE0_EEPmJS6_EEE10hipError_tPvRmT3_T4_T5_T6_T7_T9_mT8_P12ihipStream_tbDpT10_ENKUlT_T0_E_clISt17integral_constantIbLb1EES1C_EEDaS17_S18_EUlS17_E_NS1_11comp_targetILNS1_3genE5ELNS1_11target_archE942ELNS1_3gpuE9ELNS1_3repE0EEENS1_30default_config_static_selectorELNS0_4arch9wavefront6targetE1EEEvT1_,"axG",@progbits,_ZN7rocprim17ROCPRIM_400000_NS6detail17trampoline_kernelINS0_14default_configENS1_25partition_config_selectorILNS1_17partition_subalgoE8ElNS0_10empty_typeEbEEZZNS1_14partition_implILS5_8ELb0ES3_jPlPS6_PKS6_NS0_5tupleIJS9_S6_EEENSD_IJSA_SA_EEENS0_18inequality_wrapperIZN2at6native12_GLOBAL__N_124unique_dim_cuda_templateIhEESt5tupleIJNSH_6TensorESM_SM_EERKSM_lbbbEUlllE0_EEPmJS6_EEE10hipError_tPvRmT3_T4_T5_T6_T7_T9_mT8_P12ihipStream_tbDpT10_ENKUlT_T0_E_clISt17integral_constantIbLb1EES1C_EEDaS17_S18_EUlS17_E_NS1_11comp_targetILNS1_3genE5ELNS1_11target_archE942ELNS1_3gpuE9ELNS1_3repE0EEENS1_30default_config_static_selectorELNS0_4arch9wavefront6targetE1EEEvT1_,comdat
.Lfunc_end179:
	.size	_ZN7rocprim17ROCPRIM_400000_NS6detail17trampoline_kernelINS0_14default_configENS1_25partition_config_selectorILNS1_17partition_subalgoE8ElNS0_10empty_typeEbEEZZNS1_14partition_implILS5_8ELb0ES3_jPlPS6_PKS6_NS0_5tupleIJS9_S6_EEENSD_IJSA_SA_EEENS0_18inequality_wrapperIZN2at6native12_GLOBAL__N_124unique_dim_cuda_templateIhEESt5tupleIJNSH_6TensorESM_SM_EERKSM_lbbbEUlllE0_EEPmJS6_EEE10hipError_tPvRmT3_T4_T5_T6_T7_T9_mT8_P12ihipStream_tbDpT10_ENKUlT_T0_E_clISt17integral_constantIbLb1EES1C_EEDaS17_S18_EUlS17_E_NS1_11comp_targetILNS1_3genE5ELNS1_11target_archE942ELNS1_3gpuE9ELNS1_3repE0EEENS1_30default_config_static_selectorELNS0_4arch9wavefront6targetE1EEEvT1_, .Lfunc_end179-_ZN7rocprim17ROCPRIM_400000_NS6detail17trampoline_kernelINS0_14default_configENS1_25partition_config_selectorILNS1_17partition_subalgoE8ElNS0_10empty_typeEbEEZZNS1_14partition_implILS5_8ELb0ES3_jPlPS6_PKS6_NS0_5tupleIJS9_S6_EEENSD_IJSA_SA_EEENS0_18inequality_wrapperIZN2at6native12_GLOBAL__N_124unique_dim_cuda_templateIhEESt5tupleIJNSH_6TensorESM_SM_EERKSM_lbbbEUlllE0_EEPmJS6_EEE10hipError_tPvRmT3_T4_T5_T6_T7_T9_mT8_P12ihipStream_tbDpT10_ENKUlT_T0_E_clISt17integral_constantIbLb1EES1C_EEDaS17_S18_EUlS17_E_NS1_11comp_targetILNS1_3genE5ELNS1_11target_archE942ELNS1_3gpuE9ELNS1_3repE0EEENS1_30default_config_static_selectorELNS0_4arch9wavefront6targetE1EEEvT1_
                                        ; -- End function
	.set _ZN7rocprim17ROCPRIM_400000_NS6detail17trampoline_kernelINS0_14default_configENS1_25partition_config_selectorILNS1_17partition_subalgoE8ElNS0_10empty_typeEbEEZZNS1_14partition_implILS5_8ELb0ES3_jPlPS6_PKS6_NS0_5tupleIJS9_S6_EEENSD_IJSA_SA_EEENS0_18inequality_wrapperIZN2at6native12_GLOBAL__N_124unique_dim_cuda_templateIhEESt5tupleIJNSH_6TensorESM_SM_EERKSM_lbbbEUlllE0_EEPmJS6_EEE10hipError_tPvRmT3_T4_T5_T6_T7_T9_mT8_P12ihipStream_tbDpT10_ENKUlT_T0_E_clISt17integral_constantIbLb1EES1C_EEDaS17_S18_EUlS17_E_NS1_11comp_targetILNS1_3genE5ELNS1_11target_archE942ELNS1_3gpuE9ELNS1_3repE0EEENS1_30default_config_static_selectorELNS0_4arch9wavefront6targetE1EEEvT1_.num_vgpr, 0
	.set _ZN7rocprim17ROCPRIM_400000_NS6detail17trampoline_kernelINS0_14default_configENS1_25partition_config_selectorILNS1_17partition_subalgoE8ElNS0_10empty_typeEbEEZZNS1_14partition_implILS5_8ELb0ES3_jPlPS6_PKS6_NS0_5tupleIJS9_S6_EEENSD_IJSA_SA_EEENS0_18inequality_wrapperIZN2at6native12_GLOBAL__N_124unique_dim_cuda_templateIhEESt5tupleIJNSH_6TensorESM_SM_EERKSM_lbbbEUlllE0_EEPmJS6_EEE10hipError_tPvRmT3_T4_T5_T6_T7_T9_mT8_P12ihipStream_tbDpT10_ENKUlT_T0_E_clISt17integral_constantIbLb1EES1C_EEDaS17_S18_EUlS17_E_NS1_11comp_targetILNS1_3genE5ELNS1_11target_archE942ELNS1_3gpuE9ELNS1_3repE0EEENS1_30default_config_static_selectorELNS0_4arch9wavefront6targetE1EEEvT1_.num_agpr, 0
	.set _ZN7rocprim17ROCPRIM_400000_NS6detail17trampoline_kernelINS0_14default_configENS1_25partition_config_selectorILNS1_17partition_subalgoE8ElNS0_10empty_typeEbEEZZNS1_14partition_implILS5_8ELb0ES3_jPlPS6_PKS6_NS0_5tupleIJS9_S6_EEENSD_IJSA_SA_EEENS0_18inequality_wrapperIZN2at6native12_GLOBAL__N_124unique_dim_cuda_templateIhEESt5tupleIJNSH_6TensorESM_SM_EERKSM_lbbbEUlllE0_EEPmJS6_EEE10hipError_tPvRmT3_T4_T5_T6_T7_T9_mT8_P12ihipStream_tbDpT10_ENKUlT_T0_E_clISt17integral_constantIbLb1EES1C_EEDaS17_S18_EUlS17_E_NS1_11comp_targetILNS1_3genE5ELNS1_11target_archE942ELNS1_3gpuE9ELNS1_3repE0EEENS1_30default_config_static_selectorELNS0_4arch9wavefront6targetE1EEEvT1_.numbered_sgpr, 0
	.set _ZN7rocprim17ROCPRIM_400000_NS6detail17trampoline_kernelINS0_14default_configENS1_25partition_config_selectorILNS1_17partition_subalgoE8ElNS0_10empty_typeEbEEZZNS1_14partition_implILS5_8ELb0ES3_jPlPS6_PKS6_NS0_5tupleIJS9_S6_EEENSD_IJSA_SA_EEENS0_18inequality_wrapperIZN2at6native12_GLOBAL__N_124unique_dim_cuda_templateIhEESt5tupleIJNSH_6TensorESM_SM_EERKSM_lbbbEUlllE0_EEPmJS6_EEE10hipError_tPvRmT3_T4_T5_T6_T7_T9_mT8_P12ihipStream_tbDpT10_ENKUlT_T0_E_clISt17integral_constantIbLb1EES1C_EEDaS17_S18_EUlS17_E_NS1_11comp_targetILNS1_3genE5ELNS1_11target_archE942ELNS1_3gpuE9ELNS1_3repE0EEENS1_30default_config_static_selectorELNS0_4arch9wavefront6targetE1EEEvT1_.num_named_barrier, 0
	.set _ZN7rocprim17ROCPRIM_400000_NS6detail17trampoline_kernelINS0_14default_configENS1_25partition_config_selectorILNS1_17partition_subalgoE8ElNS0_10empty_typeEbEEZZNS1_14partition_implILS5_8ELb0ES3_jPlPS6_PKS6_NS0_5tupleIJS9_S6_EEENSD_IJSA_SA_EEENS0_18inequality_wrapperIZN2at6native12_GLOBAL__N_124unique_dim_cuda_templateIhEESt5tupleIJNSH_6TensorESM_SM_EERKSM_lbbbEUlllE0_EEPmJS6_EEE10hipError_tPvRmT3_T4_T5_T6_T7_T9_mT8_P12ihipStream_tbDpT10_ENKUlT_T0_E_clISt17integral_constantIbLb1EES1C_EEDaS17_S18_EUlS17_E_NS1_11comp_targetILNS1_3genE5ELNS1_11target_archE942ELNS1_3gpuE9ELNS1_3repE0EEENS1_30default_config_static_selectorELNS0_4arch9wavefront6targetE1EEEvT1_.private_seg_size, 0
	.set _ZN7rocprim17ROCPRIM_400000_NS6detail17trampoline_kernelINS0_14default_configENS1_25partition_config_selectorILNS1_17partition_subalgoE8ElNS0_10empty_typeEbEEZZNS1_14partition_implILS5_8ELb0ES3_jPlPS6_PKS6_NS0_5tupleIJS9_S6_EEENSD_IJSA_SA_EEENS0_18inequality_wrapperIZN2at6native12_GLOBAL__N_124unique_dim_cuda_templateIhEESt5tupleIJNSH_6TensorESM_SM_EERKSM_lbbbEUlllE0_EEPmJS6_EEE10hipError_tPvRmT3_T4_T5_T6_T7_T9_mT8_P12ihipStream_tbDpT10_ENKUlT_T0_E_clISt17integral_constantIbLb1EES1C_EEDaS17_S18_EUlS17_E_NS1_11comp_targetILNS1_3genE5ELNS1_11target_archE942ELNS1_3gpuE9ELNS1_3repE0EEENS1_30default_config_static_selectorELNS0_4arch9wavefront6targetE1EEEvT1_.uses_vcc, 0
	.set _ZN7rocprim17ROCPRIM_400000_NS6detail17trampoline_kernelINS0_14default_configENS1_25partition_config_selectorILNS1_17partition_subalgoE8ElNS0_10empty_typeEbEEZZNS1_14partition_implILS5_8ELb0ES3_jPlPS6_PKS6_NS0_5tupleIJS9_S6_EEENSD_IJSA_SA_EEENS0_18inequality_wrapperIZN2at6native12_GLOBAL__N_124unique_dim_cuda_templateIhEESt5tupleIJNSH_6TensorESM_SM_EERKSM_lbbbEUlllE0_EEPmJS6_EEE10hipError_tPvRmT3_T4_T5_T6_T7_T9_mT8_P12ihipStream_tbDpT10_ENKUlT_T0_E_clISt17integral_constantIbLb1EES1C_EEDaS17_S18_EUlS17_E_NS1_11comp_targetILNS1_3genE5ELNS1_11target_archE942ELNS1_3gpuE9ELNS1_3repE0EEENS1_30default_config_static_selectorELNS0_4arch9wavefront6targetE1EEEvT1_.uses_flat_scratch, 0
	.set _ZN7rocprim17ROCPRIM_400000_NS6detail17trampoline_kernelINS0_14default_configENS1_25partition_config_selectorILNS1_17partition_subalgoE8ElNS0_10empty_typeEbEEZZNS1_14partition_implILS5_8ELb0ES3_jPlPS6_PKS6_NS0_5tupleIJS9_S6_EEENSD_IJSA_SA_EEENS0_18inequality_wrapperIZN2at6native12_GLOBAL__N_124unique_dim_cuda_templateIhEESt5tupleIJNSH_6TensorESM_SM_EERKSM_lbbbEUlllE0_EEPmJS6_EEE10hipError_tPvRmT3_T4_T5_T6_T7_T9_mT8_P12ihipStream_tbDpT10_ENKUlT_T0_E_clISt17integral_constantIbLb1EES1C_EEDaS17_S18_EUlS17_E_NS1_11comp_targetILNS1_3genE5ELNS1_11target_archE942ELNS1_3gpuE9ELNS1_3repE0EEENS1_30default_config_static_selectorELNS0_4arch9wavefront6targetE1EEEvT1_.has_dyn_sized_stack, 0
	.set _ZN7rocprim17ROCPRIM_400000_NS6detail17trampoline_kernelINS0_14default_configENS1_25partition_config_selectorILNS1_17partition_subalgoE8ElNS0_10empty_typeEbEEZZNS1_14partition_implILS5_8ELb0ES3_jPlPS6_PKS6_NS0_5tupleIJS9_S6_EEENSD_IJSA_SA_EEENS0_18inequality_wrapperIZN2at6native12_GLOBAL__N_124unique_dim_cuda_templateIhEESt5tupleIJNSH_6TensorESM_SM_EERKSM_lbbbEUlllE0_EEPmJS6_EEE10hipError_tPvRmT3_T4_T5_T6_T7_T9_mT8_P12ihipStream_tbDpT10_ENKUlT_T0_E_clISt17integral_constantIbLb1EES1C_EEDaS17_S18_EUlS17_E_NS1_11comp_targetILNS1_3genE5ELNS1_11target_archE942ELNS1_3gpuE9ELNS1_3repE0EEENS1_30default_config_static_selectorELNS0_4arch9wavefront6targetE1EEEvT1_.has_recursion, 0
	.set _ZN7rocprim17ROCPRIM_400000_NS6detail17trampoline_kernelINS0_14default_configENS1_25partition_config_selectorILNS1_17partition_subalgoE8ElNS0_10empty_typeEbEEZZNS1_14partition_implILS5_8ELb0ES3_jPlPS6_PKS6_NS0_5tupleIJS9_S6_EEENSD_IJSA_SA_EEENS0_18inequality_wrapperIZN2at6native12_GLOBAL__N_124unique_dim_cuda_templateIhEESt5tupleIJNSH_6TensorESM_SM_EERKSM_lbbbEUlllE0_EEPmJS6_EEE10hipError_tPvRmT3_T4_T5_T6_T7_T9_mT8_P12ihipStream_tbDpT10_ENKUlT_T0_E_clISt17integral_constantIbLb1EES1C_EEDaS17_S18_EUlS17_E_NS1_11comp_targetILNS1_3genE5ELNS1_11target_archE942ELNS1_3gpuE9ELNS1_3repE0EEENS1_30default_config_static_selectorELNS0_4arch9wavefront6targetE1EEEvT1_.has_indirect_call, 0
	.section	.AMDGPU.csdata,"",@progbits
; Kernel info:
; codeLenInByte = 0
; TotalNumSgprs: 6
; NumVgprs: 0
; NumAgprs: 0
; TotalNumVgprs: 0
; ScratchSize: 0
; MemoryBound: 0
; FloatMode: 240
; IeeeMode: 1
; LDSByteSize: 0 bytes/workgroup (compile time only)
; SGPRBlocks: 0
; VGPRBlocks: 0
; NumSGPRsForWavesPerEU: 6
; NumVGPRsForWavesPerEU: 1
; AccumOffset: 4
; Occupancy: 8
; WaveLimiterHint : 0
; COMPUTE_PGM_RSRC2:SCRATCH_EN: 0
; COMPUTE_PGM_RSRC2:USER_SGPR: 2
; COMPUTE_PGM_RSRC2:TRAP_HANDLER: 0
; COMPUTE_PGM_RSRC2:TGID_X_EN: 1
; COMPUTE_PGM_RSRC2:TGID_Y_EN: 0
; COMPUTE_PGM_RSRC2:TGID_Z_EN: 0
; COMPUTE_PGM_RSRC2:TIDIG_COMP_CNT: 0
; COMPUTE_PGM_RSRC3_GFX90A:ACCUM_OFFSET: 0
; COMPUTE_PGM_RSRC3_GFX90A:TG_SPLIT: 0
	.section	.text._ZN7rocprim17ROCPRIM_400000_NS6detail17trampoline_kernelINS0_14default_configENS1_25partition_config_selectorILNS1_17partition_subalgoE8ElNS0_10empty_typeEbEEZZNS1_14partition_implILS5_8ELb0ES3_jPlPS6_PKS6_NS0_5tupleIJS9_S6_EEENSD_IJSA_SA_EEENS0_18inequality_wrapperIZN2at6native12_GLOBAL__N_124unique_dim_cuda_templateIhEESt5tupleIJNSH_6TensorESM_SM_EERKSM_lbbbEUlllE0_EEPmJS6_EEE10hipError_tPvRmT3_T4_T5_T6_T7_T9_mT8_P12ihipStream_tbDpT10_ENKUlT_T0_E_clISt17integral_constantIbLb1EES1C_EEDaS17_S18_EUlS17_E_NS1_11comp_targetILNS1_3genE4ELNS1_11target_archE910ELNS1_3gpuE8ELNS1_3repE0EEENS1_30default_config_static_selectorELNS0_4arch9wavefront6targetE1EEEvT1_,"axG",@progbits,_ZN7rocprim17ROCPRIM_400000_NS6detail17trampoline_kernelINS0_14default_configENS1_25partition_config_selectorILNS1_17partition_subalgoE8ElNS0_10empty_typeEbEEZZNS1_14partition_implILS5_8ELb0ES3_jPlPS6_PKS6_NS0_5tupleIJS9_S6_EEENSD_IJSA_SA_EEENS0_18inequality_wrapperIZN2at6native12_GLOBAL__N_124unique_dim_cuda_templateIhEESt5tupleIJNSH_6TensorESM_SM_EERKSM_lbbbEUlllE0_EEPmJS6_EEE10hipError_tPvRmT3_T4_T5_T6_T7_T9_mT8_P12ihipStream_tbDpT10_ENKUlT_T0_E_clISt17integral_constantIbLb1EES1C_EEDaS17_S18_EUlS17_E_NS1_11comp_targetILNS1_3genE4ELNS1_11target_archE910ELNS1_3gpuE8ELNS1_3repE0EEENS1_30default_config_static_selectorELNS0_4arch9wavefront6targetE1EEEvT1_,comdat
	.globl	_ZN7rocprim17ROCPRIM_400000_NS6detail17trampoline_kernelINS0_14default_configENS1_25partition_config_selectorILNS1_17partition_subalgoE8ElNS0_10empty_typeEbEEZZNS1_14partition_implILS5_8ELb0ES3_jPlPS6_PKS6_NS0_5tupleIJS9_S6_EEENSD_IJSA_SA_EEENS0_18inequality_wrapperIZN2at6native12_GLOBAL__N_124unique_dim_cuda_templateIhEESt5tupleIJNSH_6TensorESM_SM_EERKSM_lbbbEUlllE0_EEPmJS6_EEE10hipError_tPvRmT3_T4_T5_T6_T7_T9_mT8_P12ihipStream_tbDpT10_ENKUlT_T0_E_clISt17integral_constantIbLb1EES1C_EEDaS17_S18_EUlS17_E_NS1_11comp_targetILNS1_3genE4ELNS1_11target_archE910ELNS1_3gpuE8ELNS1_3repE0EEENS1_30default_config_static_selectorELNS0_4arch9wavefront6targetE1EEEvT1_ ; -- Begin function _ZN7rocprim17ROCPRIM_400000_NS6detail17trampoline_kernelINS0_14default_configENS1_25partition_config_selectorILNS1_17partition_subalgoE8ElNS0_10empty_typeEbEEZZNS1_14partition_implILS5_8ELb0ES3_jPlPS6_PKS6_NS0_5tupleIJS9_S6_EEENSD_IJSA_SA_EEENS0_18inequality_wrapperIZN2at6native12_GLOBAL__N_124unique_dim_cuda_templateIhEESt5tupleIJNSH_6TensorESM_SM_EERKSM_lbbbEUlllE0_EEPmJS6_EEE10hipError_tPvRmT3_T4_T5_T6_T7_T9_mT8_P12ihipStream_tbDpT10_ENKUlT_T0_E_clISt17integral_constantIbLb1EES1C_EEDaS17_S18_EUlS17_E_NS1_11comp_targetILNS1_3genE4ELNS1_11target_archE910ELNS1_3gpuE8ELNS1_3repE0EEENS1_30default_config_static_selectorELNS0_4arch9wavefront6targetE1EEEvT1_
	.p2align	8
	.type	_ZN7rocprim17ROCPRIM_400000_NS6detail17trampoline_kernelINS0_14default_configENS1_25partition_config_selectorILNS1_17partition_subalgoE8ElNS0_10empty_typeEbEEZZNS1_14partition_implILS5_8ELb0ES3_jPlPS6_PKS6_NS0_5tupleIJS9_S6_EEENSD_IJSA_SA_EEENS0_18inequality_wrapperIZN2at6native12_GLOBAL__N_124unique_dim_cuda_templateIhEESt5tupleIJNSH_6TensorESM_SM_EERKSM_lbbbEUlllE0_EEPmJS6_EEE10hipError_tPvRmT3_T4_T5_T6_T7_T9_mT8_P12ihipStream_tbDpT10_ENKUlT_T0_E_clISt17integral_constantIbLb1EES1C_EEDaS17_S18_EUlS17_E_NS1_11comp_targetILNS1_3genE4ELNS1_11target_archE910ELNS1_3gpuE8ELNS1_3repE0EEENS1_30default_config_static_selectorELNS0_4arch9wavefront6targetE1EEEvT1_,@function
_ZN7rocprim17ROCPRIM_400000_NS6detail17trampoline_kernelINS0_14default_configENS1_25partition_config_selectorILNS1_17partition_subalgoE8ElNS0_10empty_typeEbEEZZNS1_14partition_implILS5_8ELb0ES3_jPlPS6_PKS6_NS0_5tupleIJS9_S6_EEENSD_IJSA_SA_EEENS0_18inequality_wrapperIZN2at6native12_GLOBAL__N_124unique_dim_cuda_templateIhEESt5tupleIJNSH_6TensorESM_SM_EERKSM_lbbbEUlllE0_EEPmJS6_EEE10hipError_tPvRmT3_T4_T5_T6_T7_T9_mT8_P12ihipStream_tbDpT10_ENKUlT_T0_E_clISt17integral_constantIbLb1EES1C_EEDaS17_S18_EUlS17_E_NS1_11comp_targetILNS1_3genE4ELNS1_11target_archE910ELNS1_3gpuE8ELNS1_3repE0EEENS1_30default_config_static_selectorELNS0_4arch9wavefront6targetE1EEEvT1_: ; @_ZN7rocprim17ROCPRIM_400000_NS6detail17trampoline_kernelINS0_14default_configENS1_25partition_config_selectorILNS1_17partition_subalgoE8ElNS0_10empty_typeEbEEZZNS1_14partition_implILS5_8ELb0ES3_jPlPS6_PKS6_NS0_5tupleIJS9_S6_EEENSD_IJSA_SA_EEENS0_18inequality_wrapperIZN2at6native12_GLOBAL__N_124unique_dim_cuda_templateIhEESt5tupleIJNSH_6TensorESM_SM_EERKSM_lbbbEUlllE0_EEPmJS6_EEE10hipError_tPvRmT3_T4_T5_T6_T7_T9_mT8_P12ihipStream_tbDpT10_ENKUlT_T0_E_clISt17integral_constantIbLb1EES1C_EEDaS17_S18_EUlS17_E_NS1_11comp_targetILNS1_3genE4ELNS1_11target_archE910ELNS1_3gpuE8ELNS1_3repE0EEENS1_30default_config_static_selectorELNS0_4arch9wavefront6targetE1EEEvT1_
; %bb.0:
	.section	.rodata,"a",@progbits
	.p2align	6, 0x0
	.amdhsa_kernel _ZN7rocprim17ROCPRIM_400000_NS6detail17trampoline_kernelINS0_14default_configENS1_25partition_config_selectorILNS1_17partition_subalgoE8ElNS0_10empty_typeEbEEZZNS1_14partition_implILS5_8ELb0ES3_jPlPS6_PKS6_NS0_5tupleIJS9_S6_EEENSD_IJSA_SA_EEENS0_18inequality_wrapperIZN2at6native12_GLOBAL__N_124unique_dim_cuda_templateIhEESt5tupleIJNSH_6TensorESM_SM_EERKSM_lbbbEUlllE0_EEPmJS6_EEE10hipError_tPvRmT3_T4_T5_T6_T7_T9_mT8_P12ihipStream_tbDpT10_ENKUlT_T0_E_clISt17integral_constantIbLb1EES1C_EEDaS17_S18_EUlS17_E_NS1_11comp_targetILNS1_3genE4ELNS1_11target_archE910ELNS1_3gpuE8ELNS1_3repE0EEENS1_30default_config_static_selectorELNS0_4arch9wavefront6targetE1EEEvT1_
		.amdhsa_group_segment_fixed_size 0
		.amdhsa_private_segment_fixed_size 0
		.amdhsa_kernarg_size 136
		.amdhsa_user_sgpr_count 2
		.amdhsa_user_sgpr_dispatch_ptr 0
		.amdhsa_user_sgpr_queue_ptr 0
		.amdhsa_user_sgpr_kernarg_segment_ptr 1
		.amdhsa_user_sgpr_dispatch_id 0
		.amdhsa_user_sgpr_kernarg_preload_length 0
		.amdhsa_user_sgpr_kernarg_preload_offset 0
		.amdhsa_user_sgpr_private_segment_size 0
		.amdhsa_uses_dynamic_stack 0
		.amdhsa_enable_private_segment 0
		.amdhsa_system_sgpr_workgroup_id_x 1
		.amdhsa_system_sgpr_workgroup_id_y 0
		.amdhsa_system_sgpr_workgroup_id_z 0
		.amdhsa_system_sgpr_workgroup_info 0
		.amdhsa_system_vgpr_workitem_id 0
		.amdhsa_next_free_vgpr 1
		.amdhsa_next_free_sgpr 0
		.amdhsa_accum_offset 4
		.amdhsa_reserve_vcc 0
		.amdhsa_float_round_mode_32 0
		.amdhsa_float_round_mode_16_64 0
		.amdhsa_float_denorm_mode_32 3
		.amdhsa_float_denorm_mode_16_64 3
		.amdhsa_dx10_clamp 1
		.amdhsa_ieee_mode 1
		.amdhsa_fp16_overflow 0
		.amdhsa_tg_split 0
		.amdhsa_exception_fp_ieee_invalid_op 0
		.amdhsa_exception_fp_denorm_src 0
		.amdhsa_exception_fp_ieee_div_zero 0
		.amdhsa_exception_fp_ieee_overflow 0
		.amdhsa_exception_fp_ieee_underflow 0
		.amdhsa_exception_fp_ieee_inexact 0
		.amdhsa_exception_int_div_zero 0
	.end_amdhsa_kernel
	.section	.text._ZN7rocprim17ROCPRIM_400000_NS6detail17trampoline_kernelINS0_14default_configENS1_25partition_config_selectorILNS1_17partition_subalgoE8ElNS0_10empty_typeEbEEZZNS1_14partition_implILS5_8ELb0ES3_jPlPS6_PKS6_NS0_5tupleIJS9_S6_EEENSD_IJSA_SA_EEENS0_18inequality_wrapperIZN2at6native12_GLOBAL__N_124unique_dim_cuda_templateIhEESt5tupleIJNSH_6TensorESM_SM_EERKSM_lbbbEUlllE0_EEPmJS6_EEE10hipError_tPvRmT3_T4_T5_T6_T7_T9_mT8_P12ihipStream_tbDpT10_ENKUlT_T0_E_clISt17integral_constantIbLb1EES1C_EEDaS17_S18_EUlS17_E_NS1_11comp_targetILNS1_3genE4ELNS1_11target_archE910ELNS1_3gpuE8ELNS1_3repE0EEENS1_30default_config_static_selectorELNS0_4arch9wavefront6targetE1EEEvT1_,"axG",@progbits,_ZN7rocprim17ROCPRIM_400000_NS6detail17trampoline_kernelINS0_14default_configENS1_25partition_config_selectorILNS1_17partition_subalgoE8ElNS0_10empty_typeEbEEZZNS1_14partition_implILS5_8ELb0ES3_jPlPS6_PKS6_NS0_5tupleIJS9_S6_EEENSD_IJSA_SA_EEENS0_18inequality_wrapperIZN2at6native12_GLOBAL__N_124unique_dim_cuda_templateIhEESt5tupleIJNSH_6TensorESM_SM_EERKSM_lbbbEUlllE0_EEPmJS6_EEE10hipError_tPvRmT3_T4_T5_T6_T7_T9_mT8_P12ihipStream_tbDpT10_ENKUlT_T0_E_clISt17integral_constantIbLb1EES1C_EEDaS17_S18_EUlS17_E_NS1_11comp_targetILNS1_3genE4ELNS1_11target_archE910ELNS1_3gpuE8ELNS1_3repE0EEENS1_30default_config_static_selectorELNS0_4arch9wavefront6targetE1EEEvT1_,comdat
.Lfunc_end180:
	.size	_ZN7rocprim17ROCPRIM_400000_NS6detail17trampoline_kernelINS0_14default_configENS1_25partition_config_selectorILNS1_17partition_subalgoE8ElNS0_10empty_typeEbEEZZNS1_14partition_implILS5_8ELb0ES3_jPlPS6_PKS6_NS0_5tupleIJS9_S6_EEENSD_IJSA_SA_EEENS0_18inequality_wrapperIZN2at6native12_GLOBAL__N_124unique_dim_cuda_templateIhEESt5tupleIJNSH_6TensorESM_SM_EERKSM_lbbbEUlllE0_EEPmJS6_EEE10hipError_tPvRmT3_T4_T5_T6_T7_T9_mT8_P12ihipStream_tbDpT10_ENKUlT_T0_E_clISt17integral_constantIbLb1EES1C_EEDaS17_S18_EUlS17_E_NS1_11comp_targetILNS1_3genE4ELNS1_11target_archE910ELNS1_3gpuE8ELNS1_3repE0EEENS1_30default_config_static_selectorELNS0_4arch9wavefront6targetE1EEEvT1_, .Lfunc_end180-_ZN7rocprim17ROCPRIM_400000_NS6detail17trampoline_kernelINS0_14default_configENS1_25partition_config_selectorILNS1_17partition_subalgoE8ElNS0_10empty_typeEbEEZZNS1_14partition_implILS5_8ELb0ES3_jPlPS6_PKS6_NS0_5tupleIJS9_S6_EEENSD_IJSA_SA_EEENS0_18inequality_wrapperIZN2at6native12_GLOBAL__N_124unique_dim_cuda_templateIhEESt5tupleIJNSH_6TensorESM_SM_EERKSM_lbbbEUlllE0_EEPmJS6_EEE10hipError_tPvRmT3_T4_T5_T6_T7_T9_mT8_P12ihipStream_tbDpT10_ENKUlT_T0_E_clISt17integral_constantIbLb1EES1C_EEDaS17_S18_EUlS17_E_NS1_11comp_targetILNS1_3genE4ELNS1_11target_archE910ELNS1_3gpuE8ELNS1_3repE0EEENS1_30default_config_static_selectorELNS0_4arch9wavefront6targetE1EEEvT1_
                                        ; -- End function
	.set _ZN7rocprim17ROCPRIM_400000_NS6detail17trampoline_kernelINS0_14default_configENS1_25partition_config_selectorILNS1_17partition_subalgoE8ElNS0_10empty_typeEbEEZZNS1_14partition_implILS5_8ELb0ES3_jPlPS6_PKS6_NS0_5tupleIJS9_S6_EEENSD_IJSA_SA_EEENS0_18inequality_wrapperIZN2at6native12_GLOBAL__N_124unique_dim_cuda_templateIhEESt5tupleIJNSH_6TensorESM_SM_EERKSM_lbbbEUlllE0_EEPmJS6_EEE10hipError_tPvRmT3_T4_T5_T6_T7_T9_mT8_P12ihipStream_tbDpT10_ENKUlT_T0_E_clISt17integral_constantIbLb1EES1C_EEDaS17_S18_EUlS17_E_NS1_11comp_targetILNS1_3genE4ELNS1_11target_archE910ELNS1_3gpuE8ELNS1_3repE0EEENS1_30default_config_static_selectorELNS0_4arch9wavefront6targetE1EEEvT1_.num_vgpr, 0
	.set _ZN7rocprim17ROCPRIM_400000_NS6detail17trampoline_kernelINS0_14default_configENS1_25partition_config_selectorILNS1_17partition_subalgoE8ElNS0_10empty_typeEbEEZZNS1_14partition_implILS5_8ELb0ES3_jPlPS6_PKS6_NS0_5tupleIJS9_S6_EEENSD_IJSA_SA_EEENS0_18inequality_wrapperIZN2at6native12_GLOBAL__N_124unique_dim_cuda_templateIhEESt5tupleIJNSH_6TensorESM_SM_EERKSM_lbbbEUlllE0_EEPmJS6_EEE10hipError_tPvRmT3_T4_T5_T6_T7_T9_mT8_P12ihipStream_tbDpT10_ENKUlT_T0_E_clISt17integral_constantIbLb1EES1C_EEDaS17_S18_EUlS17_E_NS1_11comp_targetILNS1_3genE4ELNS1_11target_archE910ELNS1_3gpuE8ELNS1_3repE0EEENS1_30default_config_static_selectorELNS0_4arch9wavefront6targetE1EEEvT1_.num_agpr, 0
	.set _ZN7rocprim17ROCPRIM_400000_NS6detail17trampoline_kernelINS0_14default_configENS1_25partition_config_selectorILNS1_17partition_subalgoE8ElNS0_10empty_typeEbEEZZNS1_14partition_implILS5_8ELb0ES3_jPlPS6_PKS6_NS0_5tupleIJS9_S6_EEENSD_IJSA_SA_EEENS0_18inequality_wrapperIZN2at6native12_GLOBAL__N_124unique_dim_cuda_templateIhEESt5tupleIJNSH_6TensorESM_SM_EERKSM_lbbbEUlllE0_EEPmJS6_EEE10hipError_tPvRmT3_T4_T5_T6_T7_T9_mT8_P12ihipStream_tbDpT10_ENKUlT_T0_E_clISt17integral_constantIbLb1EES1C_EEDaS17_S18_EUlS17_E_NS1_11comp_targetILNS1_3genE4ELNS1_11target_archE910ELNS1_3gpuE8ELNS1_3repE0EEENS1_30default_config_static_selectorELNS0_4arch9wavefront6targetE1EEEvT1_.numbered_sgpr, 0
	.set _ZN7rocprim17ROCPRIM_400000_NS6detail17trampoline_kernelINS0_14default_configENS1_25partition_config_selectorILNS1_17partition_subalgoE8ElNS0_10empty_typeEbEEZZNS1_14partition_implILS5_8ELb0ES3_jPlPS6_PKS6_NS0_5tupleIJS9_S6_EEENSD_IJSA_SA_EEENS0_18inequality_wrapperIZN2at6native12_GLOBAL__N_124unique_dim_cuda_templateIhEESt5tupleIJNSH_6TensorESM_SM_EERKSM_lbbbEUlllE0_EEPmJS6_EEE10hipError_tPvRmT3_T4_T5_T6_T7_T9_mT8_P12ihipStream_tbDpT10_ENKUlT_T0_E_clISt17integral_constantIbLb1EES1C_EEDaS17_S18_EUlS17_E_NS1_11comp_targetILNS1_3genE4ELNS1_11target_archE910ELNS1_3gpuE8ELNS1_3repE0EEENS1_30default_config_static_selectorELNS0_4arch9wavefront6targetE1EEEvT1_.num_named_barrier, 0
	.set _ZN7rocprim17ROCPRIM_400000_NS6detail17trampoline_kernelINS0_14default_configENS1_25partition_config_selectorILNS1_17partition_subalgoE8ElNS0_10empty_typeEbEEZZNS1_14partition_implILS5_8ELb0ES3_jPlPS6_PKS6_NS0_5tupleIJS9_S6_EEENSD_IJSA_SA_EEENS0_18inequality_wrapperIZN2at6native12_GLOBAL__N_124unique_dim_cuda_templateIhEESt5tupleIJNSH_6TensorESM_SM_EERKSM_lbbbEUlllE0_EEPmJS6_EEE10hipError_tPvRmT3_T4_T5_T6_T7_T9_mT8_P12ihipStream_tbDpT10_ENKUlT_T0_E_clISt17integral_constantIbLb1EES1C_EEDaS17_S18_EUlS17_E_NS1_11comp_targetILNS1_3genE4ELNS1_11target_archE910ELNS1_3gpuE8ELNS1_3repE0EEENS1_30default_config_static_selectorELNS0_4arch9wavefront6targetE1EEEvT1_.private_seg_size, 0
	.set _ZN7rocprim17ROCPRIM_400000_NS6detail17trampoline_kernelINS0_14default_configENS1_25partition_config_selectorILNS1_17partition_subalgoE8ElNS0_10empty_typeEbEEZZNS1_14partition_implILS5_8ELb0ES3_jPlPS6_PKS6_NS0_5tupleIJS9_S6_EEENSD_IJSA_SA_EEENS0_18inequality_wrapperIZN2at6native12_GLOBAL__N_124unique_dim_cuda_templateIhEESt5tupleIJNSH_6TensorESM_SM_EERKSM_lbbbEUlllE0_EEPmJS6_EEE10hipError_tPvRmT3_T4_T5_T6_T7_T9_mT8_P12ihipStream_tbDpT10_ENKUlT_T0_E_clISt17integral_constantIbLb1EES1C_EEDaS17_S18_EUlS17_E_NS1_11comp_targetILNS1_3genE4ELNS1_11target_archE910ELNS1_3gpuE8ELNS1_3repE0EEENS1_30default_config_static_selectorELNS0_4arch9wavefront6targetE1EEEvT1_.uses_vcc, 0
	.set _ZN7rocprim17ROCPRIM_400000_NS6detail17trampoline_kernelINS0_14default_configENS1_25partition_config_selectorILNS1_17partition_subalgoE8ElNS0_10empty_typeEbEEZZNS1_14partition_implILS5_8ELb0ES3_jPlPS6_PKS6_NS0_5tupleIJS9_S6_EEENSD_IJSA_SA_EEENS0_18inequality_wrapperIZN2at6native12_GLOBAL__N_124unique_dim_cuda_templateIhEESt5tupleIJNSH_6TensorESM_SM_EERKSM_lbbbEUlllE0_EEPmJS6_EEE10hipError_tPvRmT3_T4_T5_T6_T7_T9_mT8_P12ihipStream_tbDpT10_ENKUlT_T0_E_clISt17integral_constantIbLb1EES1C_EEDaS17_S18_EUlS17_E_NS1_11comp_targetILNS1_3genE4ELNS1_11target_archE910ELNS1_3gpuE8ELNS1_3repE0EEENS1_30default_config_static_selectorELNS0_4arch9wavefront6targetE1EEEvT1_.uses_flat_scratch, 0
	.set _ZN7rocprim17ROCPRIM_400000_NS6detail17trampoline_kernelINS0_14default_configENS1_25partition_config_selectorILNS1_17partition_subalgoE8ElNS0_10empty_typeEbEEZZNS1_14partition_implILS5_8ELb0ES3_jPlPS6_PKS6_NS0_5tupleIJS9_S6_EEENSD_IJSA_SA_EEENS0_18inequality_wrapperIZN2at6native12_GLOBAL__N_124unique_dim_cuda_templateIhEESt5tupleIJNSH_6TensorESM_SM_EERKSM_lbbbEUlllE0_EEPmJS6_EEE10hipError_tPvRmT3_T4_T5_T6_T7_T9_mT8_P12ihipStream_tbDpT10_ENKUlT_T0_E_clISt17integral_constantIbLb1EES1C_EEDaS17_S18_EUlS17_E_NS1_11comp_targetILNS1_3genE4ELNS1_11target_archE910ELNS1_3gpuE8ELNS1_3repE0EEENS1_30default_config_static_selectorELNS0_4arch9wavefront6targetE1EEEvT1_.has_dyn_sized_stack, 0
	.set _ZN7rocprim17ROCPRIM_400000_NS6detail17trampoline_kernelINS0_14default_configENS1_25partition_config_selectorILNS1_17partition_subalgoE8ElNS0_10empty_typeEbEEZZNS1_14partition_implILS5_8ELb0ES3_jPlPS6_PKS6_NS0_5tupleIJS9_S6_EEENSD_IJSA_SA_EEENS0_18inequality_wrapperIZN2at6native12_GLOBAL__N_124unique_dim_cuda_templateIhEESt5tupleIJNSH_6TensorESM_SM_EERKSM_lbbbEUlllE0_EEPmJS6_EEE10hipError_tPvRmT3_T4_T5_T6_T7_T9_mT8_P12ihipStream_tbDpT10_ENKUlT_T0_E_clISt17integral_constantIbLb1EES1C_EEDaS17_S18_EUlS17_E_NS1_11comp_targetILNS1_3genE4ELNS1_11target_archE910ELNS1_3gpuE8ELNS1_3repE0EEENS1_30default_config_static_selectorELNS0_4arch9wavefront6targetE1EEEvT1_.has_recursion, 0
	.set _ZN7rocprim17ROCPRIM_400000_NS6detail17trampoline_kernelINS0_14default_configENS1_25partition_config_selectorILNS1_17partition_subalgoE8ElNS0_10empty_typeEbEEZZNS1_14partition_implILS5_8ELb0ES3_jPlPS6_PKS6_NS0_5tupleIJS9_S6_EEENSD_IJSA_SA_EEENS0_18inequality_wrapperIZN2at6native12_GLOBAL__N_124unique_dim_cuda_templateIhEESt5tupleIJNSH_6TensorESM_SM_EERKSM_lbbbEUlllE0_EEPmJS6_EEE10hipError_tPvRmT3_T4_T5_T6_T7_T9_mT8_P12ihipStream_tbDpT10_ENKUlT_T0_E_clISt17integral_constantIbLb1EES1C_EEDaS17_S18_EUlS17_E_NS1_11comp_targetILNS1_3genE4ELNS1_11target_archE910ELNS1_3gpuE8ELNS1_3repE0EEENS1_30default_config_static_selectorELNS0_4arch9wavefront6targetE1EEEvT1_.has_indirect_call, 0
	.section	.AMDGPU.csdata,"",@progbits
; Kernel info:
; codeLenInByte = 0
; TotalNumSgprs: 6
; NumVgprs: 0
; NumAgprs: 0
; TotalNumVgprs: 0
; ScratchSize: 0
; MemoryBound: 0
; FloatMode: 240
; IeeeMode: 1
; LDSByteSize: 0 bytes/workgroup (compile time only)
; SGPRBlocks: 0
; VGPRBlocks: 0
; NumSGPRsForWavesPerEU: 6
; NumVGPRsForWavesPerEU: 1
; AccumOffset: 4
; Occupancy: 8
; WaveLimiterHint : 0
; COMPUTE_PGM_RSRC2:SCRATCH_EN: 0
; COMPUTE_PGM_RSRC2:USER_SGPR: 2
; COMPUTE_PGM_RSRC2:TRAP_HANDLER: 0
; COMPUTE_PGM_RSRC2:TGID_X_EN: 1
; COMPUTE_PGM_RSRC2:TGID_Y_EN: 0
; COMPUTE_PGM_RSRC2:TGID_Z_EN: 0
; COMPUTE_PGM_RSRC2:TIDIG_COMP_CNT: 0
; COMPUTE_PGM_RSRC3_GFX90A:ACCUM_OFFSET: 0
; COMPUTE_PGM_RSRC3_GFX90A:TG_SPLIT: 0
	.section	.text._ZN7rocprim17ROCPRIM_400000_NS6detail17trampoline_kernelINS0_14default_configENS1_25partition_config_selectorILNS1_17partition_subalgoE8ElNS0_10empty_typeEbEEZZNS1_14partition_implILS5_8ELb0ES3_jPlPS6_PKS6_NS0_5tupleIJS9_S6_EEENSD_IJSA_SA_EEENS0_18inequality_wrapperIZN2at6native12_GLOBAL__N_124unique_dim_cuda_templateIhEESt5tupleIJNSH_6TensorESM_SM_EERKSM_lbbbEUlllE0_EEPmJS6_EEE10hipError_tPvRmT3_T4_T5_T6_T7_T9_mT8_P12ihipStream_tbDpT10_ENKUlT_T0_E_clISt17integral_constantIbLb1EES1C_EEDaS17_S18_EUlS17_E_NS1_11comp_targetILNS1_3genE3ELNS1_11target_archE908ELNS1_3gpuE7ELNS1_3repE0EEENS1_30default_config_static_selectorELNS0_4arch9wavefront6targetE1EEEvT1_,"axG",@progbits,_ZN7rocprim17ROCPRIM_400000_NS6detail17trampoline_kernelINS0_14default_configENS1_25partition_config_selectorILNS1_17partition_subalgoE8ElNS0_10empty_typeEbEEZZNS1_14partition_implILS5_8ELb0ES3_jPlPS6_PKS6_NS0_5tupleIJS9_S6_EEENSD_IJSA_SA_EEENS0_18inequality_wrapperIZN2at6native12_GLOBAL__N_124unique_dim_cuda_templateIhEESt5tupleIJNSH_6TensorESM_SM_EERKSM_lbbbEUlllE0_EEPmJS6_EEE10hipError_tPvRmT3_T4_T5_T6_T7_T9_mT8_P12ihipStream_tbDpT10_ENKUlT_T0_E_clISt17integral_constantIbLb1EES1C_EEDaS17_S18_EUlS17_E_NS1_11comp_targetILNS1_3genE3ELNS1_11target_archE908ELNS1_3gpuE7ELNS1_3repE0EEENS1_30default_config_static_selectorELNS0_4arch9wavefront6targetE1EEEvT1_,comdat
	.globl	_ZN7rocprim17ROCPRIM_400000_NS6detail17trampoline_kernelINS0_14default_configENS1_25partition_config_selectorILNS1_17partition_subalgoE8ElNS0_10empty_typeEbEEZZNS1_14partition_implILS5_8ELb0ES3_jPlPS6_PKS6_NS0_5tupleIJS9_S6_EEENSD_IJSA_SA_EEENS0_18inequality_wrapperIZN2at6native12_GLOBAL__N_124unique_dim_cuda_templateIhEESt5tupleIJNSH_6TensorESM_SM_EERKSM_lbbbEUlllE0_EEPmJS6_EEE10hipError_tPvRmT3_T4_T5_T6_T7_T9_mT8_P12ihipStream_tbDpT10_ENKUlT_T0_E_clISt17integral_constantIbLb1EES1C_EEDaS17_S18_EUlS17_E_NS1_11comp_targetILNS1_3genE3ELNS1_11target_archE908ELNS1_3gpuE7ELNS1_3repE0EEENS1_30default_config_static_selectorELNS0_4arch9wavefront6targetE1EEEvT1_ ; -- Begin function _ZN7rocprim17ROCPRIM_400000_NS6detail17trampoline_kernelINS0_14default_configENS1_25partition_config_selectorILNS1_17partition_subalgoE8ElNS0_10empty_typeEbEEZZNS1_14partition_implILS5_8ELb0ES3_jPlPS6_PKS6_NS0_5tupleIJS9_S6_EEENSD_IJSA_SA_EEENS0_18inequality_wrapperIZN2at6native12_GLOBAL__N_124unique_dim_cuda_templateIhEESt5tupleIJNSH_6TensorESM_SM_EERKSM_lbbbEUlllE0_EEPmJS6_EEE10hipError_tPvRmT3_T4_T5_T6_T7_T9_mT8_P12ihipStream_tbDpT10_ENKUlT_T0_E_clISt17integral_constantIbLb1EES1C_EEDaS17_S18_EUlS17_E_NS1_11comp_targetILNS1_3genE3ELNS1_11target_archE908ELNS1_3gpuE7ELNS1_3repE0EEENS1_30default_config_static_selectorELNS0_4arch9wavefront6targetE1EEEvT1_
	.p2align	8
	.type	_ZN7rocprim17ROCPRIM_400000_NS6detail17trampoline_kernelINS0_14default_configENS1_25partition_config_selectorILNS1_17partition_subalgoE8ElNS0_10empty_typeEbEEZZNS1_14partition_implILS5_8ELb0ES3_jPlPS6_PKS6_NS0_5tupleIJS9_S6_EEENSD_IJSA_SA_EEENS0_18inequality_wrapperIZN2at6native12_GLOBAL__N_124unique_dim_cuda_templateIhEESt5tupleIJNSH_6TensorESM_SM_EERKSM_lbbbEUlllE0_EEPmJS6_EEE10hipError_tPvRmT3_T4_T5_T6_T7_T9_mT8_P12ihipStream_tbDpT10_ENKUlT_T0_E_clISt17integral_constantIbLb1EES1C_EEDaS17_S18_EUlS17_E_NS1_11comp_targetILNS1_3genE3ELNS1_11target_archE908ELNS1_3gpuE7ELNS1_3repE0EEENS1_30default_config_static_selectorELNS0_4arch9wavefront6targetE1EEEvT1_,@function
_ZN7rocprim17ROCPRIM_400000_NS6detail17trampoline_kernelINS0_14default_configENS1_25partition_config_selectorILNS1_17partition_subalgoE8ElNS0_10empty_typeEbEEZZNS1_14partition_implILS5_8ELb0ES3_jPlPS6_PKS6_NS0_5tupleIJS9_S6_EEENSD_IJSA_SA_EEENS0_18inequality_wrapperIZN2at6native12_GLOBAL__N_124unique_dim_cuda_templateIhEESt5tupleIJNSH_6TensorESM_SM_EERKSM_lbbbEUlllE0_EEPmJS6_EEE10hipError_tPvRmT3_T4_T5_T6_T7_T9_mT8_P12ihipStream_tbDpT10_ENKUlT_T0_E_clISt17integral_constantIbLb1EES1C_EEDaS17_S18_EUlS17_E_NS1_11comp_targetILNS1_3genE3ELNS1_11target_archE908ELNS1_3gpuE7ELNS1_3repE0EEENS1_30default_config_static_selectorELNS0_4arch9wavefront6targetE1EEEvT1_: ; @_ZN7rocprim17ROCPRIM_400000_NS6detail17trampoline_kernelINS0_14default_configENS1_25partition_config_selectorILNS1_17partition_subalgoE8ElNS0_10empty_typeEbEEZZNS1_14partition_implILS5_8ELb0ES3_jPlPS6_PKS6_NS0_5tupleIJS9_S6_EEENSD_IJSA_SA_EEENS0_18inequality_wrapperIZN2at6native12_GLOBAL__N_124unique_dim_cuda_templateIhEESt5tupleIJNSH_6TensorESM_SM_EERKSM_lbbbEUlllE0_EEPmJS6_EEE10hipError_tPvRmT3_T4_T5_T6_T7_T9_mT8_P12ihipStream_tbDpT10_ENKUlT_T0_E_clISt17integral_constantIbLb1EES1C_EEDaS17_S18_EUlS17_E_NS1_11comp_targetILNS1_3genE3ELNS1_11target_archE908ELNS1_3gpuE7ELNS1_3repE0EEENS1_30default_config_static_selectorELNS0_4arch9wavefront6targetE1EEEvT1_
; %bb.0:
	.section	.rodata,"a",@progbits
	.p2align	6, 0x0
	.amdhsa_kernel _ZN7rocprim17ROCPRIM_400000_NS6detail17trampoline_kernelINS0_14default_configENS1_25partition_config_selectorILNS1_17partition_subalgoE8ElNS0_10empty_typeEbEEZZNS1_14partition_implILS5_8ELb0ES3_jPlPS6_PKS6_NS0_5tupleIJS9_S6_EEENSD_IJSA_SA_EEENS0_18inequality_wrapperIZN2at6native12_GLOBAL__N_124unique_dim_cuda_templateIhEESt5tupleIJNSH_6TensorESM_SM_EERKSM_lbbbEUlllE0_EEPmJS6_EEE10hipError_tPvRmT3_T4_T5_T6_T7_T9_mT8_P12ihipStream_tbDpT10_ENKUlT_T0_E_clISt17integral_constantIbLb1EES1C_EEDaS17_S18_EUlS17_E_NS1_11comp_targetILNS1_3genE3ELNS1_11target_archE908ELNS1_3gpuE7ELNS1_3repE0EEENS1_30default_config_static_selectorELNS0_4arch9wavefront6targetE1EEEvT1_
		.amdhsa_group_segment_fixed_size 0
		.amdhsa_private_segment_fixed_size 0
		.amdhsa_kernarg_size 136
		.amdhsa_user_sgpr_count 2
		.amdhsa_user_sgpr_dispatch_ptr 0
		.amdhsa_user_sgpr_queue_ptr 0
		.amdhsa_user_sgpr_kernarg_segment_ptr 1
		.amdhsa_user_sgpr_dispatch_id 0
		.amdhsa_user_sgpr_kernarg_preload_length 0
		.amdhsa_user_sgpr_kernarg_preload_offset 0
		.amdhsa_user_sgpr_private_segment_size 0
		.amdhsa_uses_dynamic_stack 0
		.amdhsa_enable_private_segment 0
		.amdhsa_system_sgpr_workgroup_id_x 1
		.amdhsa_system_sgpr_workgroup_id_y 0
		.amdhsa_system_sgpr_workgroup_id_z 0
		.amdhsa_system_sgpr_workgroup_info 0
		.amdhsa_system_vgpr_workitem_id 0
		.amdhsa_next_free_vgpr 1
		.amdhsa_next_free_sgpr 0
		.amdhsa_accum_offset 4
		.amdhsa_reserve_vcc 0
		.amdhsa_float_round_mode_32 0
		.amdhsa_float_round_mode_16_64 0
		.amdhsa_float_denorm_mode_32 3
		.amdhsa_float_denorm_mode_16_64 3
		.amdhsa_dx10_clamp 1
		.amdhsa_ieee_mode 1
		.amdhsa_fp16_overflow 0
		.amdhsa_tg_split 0
		.amdhsa_exception_fp_ieee_invalid_op 0
		.amdhsa_exception_fp_denorm_src 0
		.amdhsa_exception_fp_ieee_div_zero 0
		.amdhsa_exception_fp_ieee_overflow 0
		.amdhsa_exception_fp_ieee_underflow 0
		.amdhsa_exception_fp_ieee_inexact 0
		.amdhsa_exception_int_div_zero 0
	.end_amdhsa_kernel
	.section	.text._ZN7rocprim17ROCPRIM_400000_NS6detail17trampoline_kernelINS0_14default_configENS1_25partition_config_selectorILNS1_17partition_subalgoE8ElNS0_10empty_typeEbEEZZNS1_14partition_implILS5_8ELb0ES3_jPlPS6_PKS6_NS0_5tupleIJS9_S6_EEENSD_IJSA_SA_EEENS0_18inequality_wrapperIZN2at6native12_GLOBAL__N_124unique_dim_cuda_templateIhEESt5tupleIJNSH_6TensorESM_SM_EERKSM_lbbbEUlllE0_EEPmJS6_EEE10hipError_tPvRmT3_T4_T5_T6_T7_T9_mT8_P12ihipStream_tbDpT10_ENKUlT_T0_E_clISt17integral_constantIbLb1EES1C_EEDaS17_S18_EUlS17_E_NS1_11comp_targetILNS1_3genE3ELNS1_11target_archE908ELNS1_3gpuE7ELNS1_3repE0EEENS1_30default_config_static_selectorELNS0_4arch9wavefront6targetE1EEEvT1_,"axG",@progbits,_ZN7rocprim17ROCPRIM_400000_NS6detail17trampoline_kernelINS0_14default_configENS1_25partition_config_selectorILNS1_17partition_subalgoE8ElNS0_10empty_typeEbEEZZNS1_14partition_implILS5_8ELb0ES3_jPlPS6_PKS6_NS0_5tupleIJS9_S6_EEENSD_IJSA_SA_EEENS0_18inequality_wrapperIZN2at6native12_GLOBAL__N_124unique_dim_cuda_templateIhEESt5tupleIJNSH_6TensorESM_SM_EERKSM_lbbbEUlllE0_EEPmJS6_EEE10hipError_tPvRmT3_T4_T5_T6_T7_T9_mT8_P12ihipStream_tbDpT10_ENKUlT_T0_E_clISt17integral_constantIbLb1EES1C_EEDaS17_S18_EUlS17_E_NS1_11comp_targetILNS1_3genE3ELNS1_11target_archE908ELNS1_3gpuE7ELNS1_3repE0EEENS1_30default_config_static_selectorELNS0_4arch9wavefront6targetE1EEEvT1_,comdat
.Lfunc_end181:
	.size	_ZN7rocprim17ROCPRIM_400000_NS6detail17trampoline_kernelINS0_14default_configENS1_25partition_config_selectorILNS1_17partition_subalgoE8ElNS0_10empty_typeEbEEZZNS1_14partition_implILS5_8ELb0ES3_jPlPS6_PKS6_NS0_5tupleIJS9_S6_EEENSD_IJSA_SA_EEENS0_18inequality_wrapperIZN2at6native12_GLOBAL__N_124unique_dim_cuda_templateIhEESt5tupleIJNSH_6TensorESM_SM_EERKSM_lbbbEUlllE0_EEPmJS6_EEE10hipError_tPvRmT3_T4_T5_T6_T7_T9_mT8_P12ihipStream_tbDpT10_ENKUlT_T0_E_clISt17integral_constantIbLb1EES1C_EEDaS17_S18_EUlS17_E_NS1_11comp_targetILNS1_3genE3ELNS1_11target_archE908ELNS1_3gpuE7ELNS1_3repE0EEENS1_30default_config_static_selectorELNS0_4arch9wavefront6targetE1EEEvT1_, .Lfunc_end181-_ZN7rocprim17ROCPRIM_400000_NS6detail17trampoline_kernelINS0_14default_configENS1_25partition_config_selectorILNS1_17partition_subalgoE8ElNS0_10empty_typeEbEEZZNS1_14partition_implILS5_8ELb0ES3_jPlPS6_PKS6_NS0_5tupleIJS9_S6_EEENSD_IJSA_SA_EEENS0_18inequality_wrapperIZN2at6native12_GLOBAL__N_124unique_dim_cuda_templateIhEESt5tupleIJNSH_6TensorESM_SM_EERKSM_lbbbEUlllE0_EEPmJS6_EEE10hipError_tPvRmT3_T4_T5_T6_T7_T9_mT8_P12ihipStream_tbDpT10_ENKUlT_T0_E_clISt17integral_constantIbLb1EES1C_EEDaS17_S18_EUlS17_E_NS1_11comp_targetILNS1_3genE3ELNS1_11target_archE908ELNS1_3gpuE7ELNS1_3repE0EEENS1_30default_config_static_selectorELNS0_4arch9wavefront6targetE1EEEvT1_
                                        ; -- End function
	.set _ZN7rocprim17ROCPRIM_400000_NS6detail17trampoline_kernelINS0_14default_configENS1_25partition_config_selectorILNS1_17partition_subalgoE8ElNS0_10empty_typeEbEEZZNS1_14partition_implILS5_8ELb0ES3_jPlPS6_PKS6_NS0_5tupleIJS9_S6_EEENSD_IJSA_SA_EEENS0_18inequality_wrapperIZN2at6native12_GLOBAL__N_124unique_dim_cuda_templateIhEESt5tupleIJNSH_6TensorESM_SM_EERKSM_lbbbEUlllE0_EEPmJS6_EEE10hipError_tPvRmT3_T4_T5_T6_T7_T9_mT8_P12ihipStream_tbDpT10_ENKUlT_T0_E_clISt17integral_constantIbLb1EES1C_EEDaS17_S18_EUlS17_E_NS1_11comp_targetILNS1_3genE3ELNS1_11target_archE908ELNS1_3gpuE7ELNS1_3repE0EEENS1_30default_config_static_selectorELNS0_4arch9wavefront6targetE1EEEvT1_.num_vgpr, 0
	.set _ZN7rocprim17ROCPRIM_400000_NS6detail17trampoline_kernelINS0_14default_configENS1_25partition_config_selectorILNS1_17partition_subalgoE8ElNS0_10empty_typeEbEEZZNS1_14partition_implILS5_8ELb0ES3_jPlPS6_PKS6_NS0_5tupleIJS9_S6_EEENSD_IJSA_SA_EEENS0_18inequality_wrapperIZN2at6native12_GLOBAL__N_124unique_dim_cuda_templateIhEESt5tupleIJNSH_6TensorESM_SM_EERKSM_lbbbEUlllE0_EEPmJS6_EEE10hipError_tPvRmT3_T4_T5_T6_T7_T9_mT8_P12ihipStream_tbDpT10_ENKUlT_T0_E_clISt17integral_constantIbLb1EES1C_EEDaS17_S18_EUlS17_E_NS1_11comp_targetILNS1_3genE3ELNS1_11target_archE908ELNS1_3gpuE7ELNS1_3repE0EEENS1_30default_config_static_selectorELNS0_4arch9wavefront6targetE1EEEvT1_.num_agpr, 0
	.set _ZN7rocprim17ROCPRIM_400000_NS6detail17trampoline_kernelINS0_14default_configENS1_25partition_config_selectorILNS1_17partition_subalgoE8ElNS0_10empty_typeEbEEZZNS1_14partition_implILS5_8ELb0ES3_jPlPS6_PKS6_NS0_5tupleIJS9_S6_EEENSD_IJSA_SA_EEENS0_18inequality_wrapperIZN2at6native12_GLOBAL__N_124unique_dim_cuda_templateIhEESt5tupleIJNSH_6TensorESM_SM_EERKSM_lbbbEUlllE0_EEPmJS6_EEE10hipError_tPvRmT3_T4_T5_T6_T7_T9_mT8_P12ihipStream_tbDpT10_ENKUlT_T0_E_clISt17integral_constantIbLb1EES1C_EEDaS17_S18_EUlS17_E_NS1_11comp_targetILNS1_3genE3ELNS1_11target_archE908ELNS1_3gpuE7ELNS1_3repE0EEENS1_30default_config_static_selectorELNS0_4arch9wavefront6targetE1EEEvT1_.numbered_sgpr, 0
	.set _ZN7rocprim17ROCPRIM_400000_NS6detail17trampoline_kernelINS0_14default_configENS1_25partition_config_selectorILNS1_17partition_subalgoE8ElNS0_10empty_typeEbEEZZNS1_14partition_implILS5_8ELb0ES3_jPlPS6_PKS6_NS0_5tupleIJS9_S6_EEENSD_IJSA_SA_EEENS0_18inequality_wrapperIZN2at6native12_GLOBAL__N_124unique_dim_cuda_templateIhEESt5tupleIJNSH_6TensorESM_SM_EERKSM_lbbbEUlllE0_EEPmJS6_EEE10hipError_tPvRmT3_T4_T5_T6_T7_T9_mT8_P12ihipStream_tbDpT10_ENKUlT_T0_E_clISt17integral_constantIbLb1EES1C_EEDaS17_S18_EUlS17_E_NS1_11comp_targetILNS1_3genE3ELNS1_11target_archE908ELNS1_3gpuE7ELNS1_3repE0EEENS1_30default_config_static_selectorELNS0_4arch9wavefront6targetE1EEEvT1_.num_named_barrier, 0
	.set _ZN7rocprim17ROCPRIM_400000_NS6detail17trampoline_kernelINS0_14default_configENS1_25partition_config_selectorILNS1_17partition_subalgoE8ElNS0_10empty_typeEbEEZZNS1_14partition_implILS5_8ELb0ES3_jPlPS6_PKS6_NS0_5tupleIJS9_S6_EEENSD_IJSA_SA_EEENS0_18inequality_wrapperIZN2at6native12_GLOBAL__N_124unique_dim_cuda_templateIhEESt5tupleIJNSH_6TensorESM_SM_EERKSM_lbbbEUlllE0_EEPmJS6_EEE10hipError_tPvRmT3_T4_T5_T6_T7_T9_mT8_P12ihipStream_tbDpT10_ENKUlT_T0_E_clISt17integral_constantIbLb1EES1C_EEDaS17_S18_EUlS17_E_NS1_11comp_targetILNS1_3genE3ELNS1_11target_archE908ELNS1_3gpuE7ELNS1_3repE0EEENS1_30default_config_static_selectorELNS0_4arch9wavefront6targetE1EEEvT1_.private_seg_size, 0
	.set _ZN7rocprim17ROCPRIM_400000_NS6detail17trampoline_kernelINS0_14default_configENS1_25partition_config_selectorILNS1_17partition_subalgoE8ElNS0_10empty_typeEbEEZZNS1_14partition_implILS5_8ELb0ES3_jPlPS6_PKS6_NS0_5tupleIJS9_S6_EEENSD_IJSA_SA_EEENS0_18inequality_wrapperIZN2at6native12_GLOBAL__N_124unique_dim_cuda_templateIhEESt5tupleIJNSH_6TensorESM_SM_EERKSM_lbbbEUlllE0_EEPmJS6_EEE10hipError_tPvRmT3_T4_T5_T6_T7_T9_mT8_P12ihipStream_tbDpT10_ENKUlT_T0_E_clISt17integral_constantIbLb1EES1C_EEDaS17_S18_EUlS17_E_NS1_11comp_targetILNS1_3genE3ELNS1_11target_archE908ELNS1_3gpuE7ELNS1_3repE0EEENS1_30default_config_static_selectorELNS0_4arch9wavefront6targetE1EEEvT1_.uses_vcc, 0
	.set _ZN7rocprim17ROCPRIM_400000_NS6detail17trampoline_kernelINS0_14default_configENS1_25partition_config_selectorILNS1_17partition_subalgoE8ElNS0_10empty_typeEbEEZZNS1_14partition_implILS5_8ELb0ES3_jPlPS6_PKS6_NS0_5tupleIJS9_S6_EEENSD_IJSA_SA_EEENS0_18inequality_wrapperIZN2at6native12_GLOBAL__N_124unique_dim_cuda_templateIhEESt5tupleIJNSH_6TensorESM_SM_EERKSM_lbbbEUlllE0_EEPmJS6_EEE10hipError_tPvRmT3_T4_T5_T6_T7_T9_mT8_P12ihipStream_tbDpT10_ENKUlT_T0_E_clISt17integral_constantIbLb1EES1C_EEDaS17_S18_EUlS17_E_NS1_11comp_targetILNS1_3genE3ELNS1_11target_archE908ELNS1_3gpuE7ELNS1_3repE0EEENS1_30default_config_static_selectorELNS0_4arch9wavefront6targetE1EEEvT1_.uses_flat_scratch, 0
	.set _ZN7rocprim17ROCPRIM_400000_NS6detail17trampoline_kernelINS0_14default_configENS1_25partition_config_selectorILNS1_17partition_subalgoE8ElNS0_10empty_typeEbEEZZNS1_14partition_implILS5_8ELb0ES3_jPlPS6_PKS6_NS0_5tupleIJS9_S6_EEENSD_IJSA_SA_EEENS0_18inequality_wrapperIZN2at6native12_GLOBAL__N_124unique_dim_cuda_templateIhEESt5tupleIJNSH_6TensorESM_SM_EERKSM_lbbbEUlllE0_EEPmJS6_EEE10hipError_tPvRmT3_T4_T5_T6_T7_T9_mT8_P12ihipStream_tbDpT10_ENKUlT_T0_E_clISt17integral_constantIbLb1EES1C_EEDaS17_S18_EUlS17_E_NS1_11comp_targetILNS1_3genE3ELNS1_11target_archE908ELNS1_3gpuE7ELNS1_3repE0EEENS1_30default_config_static_selectorELNS0_4arch9wavefront6targetE1EEEvT1_.has_dyn_sized_stack, 0
	.set _ZN7rocprim17ROCPRIM_400000_NS6detail17trampoline_kernelINS0_14default_configENS1_25partition_config_selectorILNS1_17partition_subalgoE8ElNS0_10empty_typeEbEEZZNS1_14partition_implILS5_8ELb0ES3_jPlPS6_PKS6_NS0_5tupleIJS9_S6_EEENSD_IJSA_SA_EEENS0_18inequality_wrapperIZN2at6native12_GLOBAL__N_124unique_dim_cuda_templateIhEESt5tupleIJNSH_6TensorESM_SM_EERKSM_lbbbEUlllE0_EEPmJS6_EEE10hipError_tPvRmT3_T4_T5_T6_T7_T9_mT8_P12ihipStream_tbDpT10_ENKUlT_T0_E_clISt17integral_constantIbLb1EES1C_EEDaS17_S18_EUlS17_E_NS1_11comp_targetILNS1_3genE3ELNS1_11target_archE908ELNS1_3gpuE7ELNS1_3repE0EEENS1_30default_config_static_selectorELNS0_4arch9wavefront6targetE1EEEvT1_.has_recursion, 0
	.set _ZN7rocprim17ROCPRIM_400000_NS6detail17trampoline_kernelINS0_14default_configENS1_25partition_config_selectorILNS1_17partition_subalgoE8ElNS0_10empty_typeEbEEZZNS1_14partition_implILS5_8ELb0ES3_jPlPS6_PKS6_NS0_5tupleIJS9_S6_EEENSD_IJSA_SA_EEENS0_18inequality_wrapperIZN2at6native12_GLOBAL__N_124unique_dim_cuda_templateIhEESt5tupleIJNSH_6TensorESM_SM_EERKSM_lbbbEUlllE0_EEPmJS6_EEE10hipError_tPvRmT3_T4_T5_T6_T7_T9_mT8_P12ihipStream_tbDpT10_ENKUlT_T0_E_clISt17integral_constantIbLb1EES1C_EEDaS17_S18_EUlS17_E_NS1_11comp_targetILNS1_3genE3ELNS1_11target_archE908ELNS1_3gpuE7ELNS1_3repE0EEENS1_30default_config_static_selectorELNS0_4arch9wavefront6targetE1EEEvT1_.has_indirect_call, 0
	.section	.AMDGPU.csdata,"",@progbits
; Kernel info:
; codeLenInByte = 0
; TotalNumSgprs: 6
; NumVgprs: 0
; NumAgprs: 0
; TotalNumVgprs: 0
; ScratchSize: 0
; MemoryBound: 0
; FloatMode: 240
; IeeeMode: 1
; LDSByteSize: 0 bytes/workgroup (compile time only)
; SGPRBlocks: 0
; VGPRBlocks: 0
; NumSGPRsForWavesPerEU: 6
; NumVGPRsForWavesPerEU: 1
; AccumOffset: 4
; Occupancy: 8
; WaveLimiterHint : 0
; COMPUTE_PGM_RSRC2:SCRATCH_EN: 0
; COMPUTE_PGM_RSRC2:USER_SGPR: 2
; COMPUTE_PGM_RSRC2:TRAP_HANDLER: 0
; COMPUTE_PGM_RSRC2:TGID_X_EN: 1
; COMPUTE_PGM_RSRC2:TGID_Y_EN: 0
; COMPUTE_PGM_RSRC2:TGID_Z_EN: 0
; COMPUTE_PGM_RSRC2:TIDIG_COMP_CNT: 0
; COMPUTE_PGM_RSRC3_GFX90A:ACCUM_OFFSET: 0
; COMPUTE_PGM_RSRC3_GFX90A:TG_SPLIT: 0
	.section	.text._ZN7rocprim17ROCPRIM_400000_NS6detail17trampoline_kernelINS0_14default_configENS1_25partition_config_selectorILNS1_17partition_subalgoE8ElNS0_10empty_typeEbEEZZNS1_14partition_implILS5_8ELb0ES3_jPlPS6_PKS6_NS0_5tupleIJS9_S6_EEENSD_IJSA_SA_EEENS0_18inequality_wrapperIZN2at6native12_GLOBAL__N_124unique_dim_cuda_templateIhEESt5tupleIJNSH_6TensorESM_SM_EERKSM_lbbbEUlllE0_EEPmJS6_EEE10hipError_tPvRmT3_T4_T5_T6_T7_T9_mT8_P12ihipStream_tbDpT10_ENKUlT_T0_E_clISt17integral_constantIbLb1EES1C_EEDaS17_S18_EUlS17_E_NS1_11comp_targetILNS1_3genE2ELNS1_11target_archE906ELNS1_3gpuE6ELNS1_3repE0EEENS1_30default_config_static_selectorELNS0_4arch9wavefront6targetE1EEEvT1_,"axG",@progbits,_ZN7rocprim17ROCPRIM_400000_NS6detail17trampoline_kernelINS0_14default_configENS1_25partition_config_selectorILNS1_17partition_subalgoE8ElNS0_10empty_typeEbEEZZNS1_14partition_implILS5_8ELb0ES3_jPlPS6_PKS6_NS0_5tupleIJS9_S6_EEENSD_IJSA_SA_EEENS0_18inequality_wrapperIZN2at6native12_GLOBAL__N_124unique_dim_cuda_templateIhEESt5tupleIJNSH_6TensorESM_SM_EERKSM_lbbbEUlllE0_EEPmJS6_EEE10hipError_tPvRmT3_T4_T5_T6_T7_T9_mT8_P12ihipStream_tbDpT10_ENKUlT_T0_E_clISt17integral_constantIbLb1EES1C_EEDaS17_S18_EUlS17_E_NS1_11comp_targetILNS1_3genE2ELNS1_11target_archE906ELNS1_3gpuE6ELNS1_3repE0EEENS1_30default_config_static_selectorELNS0_4arch9wavefront6targetE1EEEvT1_,comdat
	.globl	_ZN7rocprim17ROCPRIM_400000_NS6detail17trampoline_kernelINS0_14default_configENS1_25partition_config_selectorILNS1_17partition_subalgoE8ElNS0_10empty_typeEbEEZZNS1_14partition_implILS5_8ELb0ES3_jPlPS6_PKS6_NS0_5tupleIJS9_S6_EEENSD_IJSA_SA_EEENS0_18inequality_wrapperIZN2at6native12_GLOBAL__N_124unique_dim_cuda_templateIhEESt5tupleIJNSH_6TensorESM_SM_EERKSM_lbbbEUlllE0_EEPmJS6_EEE10hipError_tPvRmT3_T4_T5_T6_T7_T9_mT8_P12ihipStream_tbDpT10_ENKUlT_T0_E_clISt17integral_constantIbLb1EES1C_EEDaS17_S18_EUlS17_E_NS1_11comp_targetILNS1_3genE2ELNS1_11target_archE906ELNS1_3gpuE6ELNS1_3repE0EEENS1_30default_config_static_selectorELNS0_4arch9wavefront6targetE1EEEvT1_ ; -- Begin function _ZN7rocprim17ROCPRIM_400000_NS6detail17trampoline_kernelINS0_14default_configENS1_25partition_config_selectorILNS1_17partition_subalgoE8ElNS0_10empty_typeEbEEZZNS1_14partition_implILS5_8ELb0ES3_jPlPS6_PKS6_NS0_5tupleIJS9_S6_EEENSD_IJSA_SA_EEENS0_18inequality_wrapperIZN2at6native12_GLOBAL__N_124unique_dim_cuda_templateIhEESt5tupleIJNSH_6TensorESM_SM_EERKSM_lbbbEUlllE0_EEPmJS6_EEE10hipError_tPvRmT3_T4_T5_T6_T7_T9_mT8_P12ihipStream_tbDpT10_ENKUlT_T0_E_clISt17integral_constantIbLb1EES1C_EEDaS17_S18_EUlS17_E_NS1_11comp_targetILNS1_3genE2ELNS1_11target_archE906ELNS1_3gpuE6ELNS1_3repE0EEENS1_30default_config_static_selectorELNS0_4arch9wavefront6targetE1EEEvT1_
	.p2align	8
	.type	_ZN7rocprim17ROCPRIM_400000_NS6detail17trampoline_kernelINS0_14default_configENS1_25partition_config_selectorILNS1_17partition_subalgoE8ElNS0_10empty_typeEbEEZZNS1_14partition_implILS5_8ELb0ES3_jPlPS6_PKS6_NS0_5tupleIJS9_S6_EEENSD_IJSA_SA_EEENS0_18inequality_wrapperIZN2at6native12_GLOBAL__N_124unique_dim_cuda_templateIhEESt5tupleIJNSH_6TensorESM_SM_EERKSM_lbbbEUlllE0_EEPmJS6_EEE10hipError_tPvRmT3_T4_T5_T6_T7_T9_mT8_P12ihipStream_tbDpT10_ENKUlT_T0_E_clISt17integral_constantIbLb1EES1C_EEDaS17_S18_EUlS17_E_NS1_11comp_targetILNS1_3genE2ELNS1_11target_archE906ELNS1_3gpuE6ELNS1_3repE0EEENS1_30default_config_static_selectorELNS0_4arch9wavefront6targetE1EEEvT1_,@function
_ZN7rocprim17ROCPRIM_400000_NS6detail17trampoline_kernelINS0_14default_configENS1_25partition_config_selectorILNS1_17partition_subalgoE8ElNS0_10empty_typeEbEEZZNS1_14partition_implILS5_8ELb0ES3_jPlPS6_PKS6_NS0_5tupleIJS9_S6_EEENSD_IJSA_SA_EEENS0_18inequality_wrapperIZN2at6native12_GLOBAL__N_124unique_dim_cuda_templateIhEESt5tupleIJNSH_6TensorESM_SM_EERKSM_lbbbEUlllE0_EEPmJS6_EEE10hipError_tPvRmT3_T4_T5_T6_T7_T9_mT8_P12ihipStream_tbDpT10_ENKUlT_T0_E_clISt17integral_constantIbLb1EES1C_EEDaS17_S18_EUlS17_E_NS1_11comp_targetILNS1_3genE2ELNS1_11target_archE906ELNS1_3gpuE6ELNS1_3repE0EEENS1_30default_config_static_selectorELNS0_4arch9wavefront6targetE1EEEvT1_: ; @_ZN7rocprim17ROCPRIM_400000_NS6detail17trampoline_kernelINS0_14default_configENS1_25partition_config_selectorILNS1_17partition_subalgoE8ElNS0_10empty_typeEbEEZZNS1_14partition_implILS5_8ELb0ES3_jPlPS6_PKS6_NS0_5tupleIJS9_S6_EEENSD_IJSA_SA_EEENS0_18inequality_wrapperIZN2at6native12_GLOBAL__N_124unique_dim_cuda_templateIhEESt5tupleIJNSH_6TensorESM_SM_EERKSM_lbbbEUlllE0_EEPmJS6_EEE10hipError_tPvRmT3_T4_T5_T6_T7_T9_mT8_P12ihipStream_tbDpT10_ENKUlT_T0_E_clISt17integral_constantIbLb1EES1C_EEDaS17_S18_EUlS17_E_NS1_11comp_targetILNS1_3genE2ELNS1_11target_archE906ELNS1_3gpuE6ELNS1_3repE0EEENS1_30default_config_static_selectorELNS0_4arch9wavefront6targetE1EEEvT1_
; %bb.0:
	.section	.rodata,"a",@progbits
	.p2align	6, 0x0
	.amdhsa_kernel _ZN7rocprim17ROCPRIM_400000_NS6detail17trampoline_kernelINS0_14default_configENS1_25partition_config_selectorILNS1_17partition_subalgoE8ElNS0_10empty_typeEbEEZZNS1_14partition_implILS5_8ELb0ES3_jPlPS6_PKS6_NS0_5tupleIJS9_S6_EEENSD_IJSA_SA_EEENS0_18inequality_wrapperIZN2at6native12_GLOBAL__N_124unique_dim_cuda_templateIhEESt5tupleIJNSH_6TensorESM_SM_EERKSM_lbbbEUlllE0_EEPmJS6_EEE10hipError_tPvRmT3_T4_T5_T6_T7_T9_mT8_P12ihipStream_tbDpT10_ENKUlT_T0_E_clISt17integral_constantIbLb1EES1C_EEDaS17_S18_EUlS17_E_NS1_11comp_targetILNS1_3genE2ELNS1_11target_archE906ELNS1_3gpuE6ELNS1_3repE0EEENS1_30default_config_static_selectorELNS0_4arch9wavefront6targetE1EEEvT1_
		.amdhsa_group_segment_fixed_size 0
		.amdhsa_private_segment_fixed_size 0
		.amdhsa_kernarg_size 136
		.amdhsa_user_sgpr_count 2
		.amdhsa_user_sgpr_dispatch_ptr 0
		.amdhsa_user_sgpr_queue_ptr 0
		.amdhsa_user_sgpr_kernarg_segment_ptr 1
		.amdhsa_user_sgpr_dispatch_id 0
		.amdhsa_user_sgpr_kernarg_preload_length 0
		.amdhsa_user_sgpr_kernarg_preload_offset 0
		.amdhsa_user_sgpr_private_segment_size 0
		.amdhsa_uses_dynamic_stack 0
		.amdhsa_enable_private_segment 0
		.amdhsa_system_sgpr_workgroup_id_x 1
		.amdhsa_system_sgpr_workgroup_id_y 0
		.amdhsa_system_sgpr_workgroup_id_z 0
		.amdhsa_system_sgpr_workgroup_info 0
		.amdhsa_system_vgpr_workitem_id 0
		.amdhsa_next_free_vgpr 1
		.amdhsa_next_free_sgpr 0
		.amdhsa_accum_offset 4
		.amdhsa_reserve_vcc 0
		.amdhsa_float_round_mode_32 0
		.amdhsa_float_round_mode_16_64 0
		.amdhsa_float_denorm_mode_32 3
		.amdhsa_float_denorm_mode_16_64 3
		.amdhsa_dx10_clamp 1
		.amdhsa_ieee_mode 1
		.amdhsa_fp16_overflow 0
		.amdhsa_tg_split 0
		.amdhsa_exception_fp_ieee_invalid_op 0
		.amdhsa_exception_fp_denorm_src 0
		.amdhsa_exception_fp_ieee_div_zero 0
		.amdhsa_exception_fp_ieee_overflow 0
		.amdhsa_exception_fp_ieee_underflow 0
		.amdhsa_exception_fp_ieee_inexact 0
		.amdhsa_exception_int_div_zero 0
	.end_amdhsa_kernel
	.section	.text._ZN7rocprim17ROCPRIM_400000_NS6detail17trampoline_kernelINS0_14default_configENS1_25partition_config_selectorILNS1_17partition_subalgoE8ElNS0_10empty_typeEbEEZZNS1_14partition_implILS5_8ELb0ES3_jPlPS6_PKS6_NS0_5tupleIJS9_S6_EEENSD_IJSA_SA_EEENS0_18inequality_wrapperIZN2at6native12_GLOBAL__N_124unique_dim_cuda_templateIhEESt5tupleIJNSH_6TensorESM_SM_EERKSM_lbbbEUlllE0_EEPmJS6_EEE10hipError_tPvRmT3_T4_T5_T6_T7_T9_mT8_P12ihipStream_tbDpT10_ENKUlT_T0_E_clISt17integral_constantIbLb1EES1C_EEDaS17_S18_EUlS17_E_NS1_11comp_targetILNS1_3genE2ELNS1_11target_archE906ELNS1_3gpuE6ELNS1_3repE0EEENS1_30default_config_static_selectorELNS0_4arch9wavefront6targetE1EEEvT1_,"axG",@progbits,_ZN7rocprim17ROCPRIM_400000_NS6detail17trampoline_kernelINS0_14default_configENS1_25partition_config_selectorILNS1_17partition_subalgoE8ElNS0_10empty_typeEbEEZZNS1_14partition_implILS5_8ELb0ES3_jPlPS6_PKS6_NS0_5tupleIJS9_S6_EEENSD_IJSA_SA_EEENS0_18inequality_wrapperIZN2at6native12_GLOBAL__N_124unique_dim_cuda_templateIhEESt5tupleIJNSH_6TensorESM_SM_EERKSM_lbbbEUlllE0_EEPmJS6_EEE10hipError_tPvRmT3_T4_T5_T6_T7_T9_mT8_P12ihipStream_tbDpT10_ENKUlT_T0_E_clISt17integral_constantIbLb1EES1C_EEDaS17_S18_EUlS17_E_NS1_11comp_targetILNS1_3genE2ELNS1_11target_archE906ELNS1_3gpuE6ELNS1_3repE0EEENS1_30default_config_static_selectorELNS0_4arch9wavefront6targetE1EEEvT1_,comdat
.Lfunc_end182:
	.size	_ZN7rocprim17ROCPRIM_400000_NS6detail17trampoline_kernelINS0_14default_configENS1_25partition_config_selectorILNS1_17partition_subalgoE8ElNS0_10empty_typeEbEEZZNS1_14partition_implILS5_8ELb0ES3_jPlPS6_PKS6_NS0_5tupleIJS9_S6_EEENSD_IJSA_SA_EEENS0_18inequality_wrapperIZN2at6native12_GLOBAL__N_124unique_dim_cuda_templateIhEESt5tupleIJNSH_6TensorESM_SM_EERKSM_lbbbEUlllE0_EEPmJS6_EEE10hipError_tPvRmT3_T4_T5_T6_T7_T9_mT8_P12ihipStream_tbDpT10_ENKUlT_T0_E_clISt17integral_constantIbLb1EES1C_EEDaS17_S18_EUlS17_E_NS1_11comp_targetILNS1_3genE2ELNS1_11target_archE906ELNS1_3gpuE6ELNS1_3repE0EEENS1_30default_config_static_selectorELNS0_4arch9wavefront6targetE1EEEvT1_, .Lfunc_end182-_ZN7rocprim17ROCPRIM_400000_NS6detail17trampoline_kernelINS0_14default_configENS1_25partition_config_selectorILNS1_17partition_subalgoE8ElNS0_10empty_typeEbEEZZNS1_14partition_implILS5_8ELb0ES3_jPlPS6_PKS6_NS0_5tupleIJS9_S6_EEENSD_IJSA_SA_EEENS0_18inequality_wrapperIZN2at6native12_GLOBAL__N_124unique_dim_cuda_templateIhEESt5tupleIJNSH_6TensorESM_SM_EERKSM_lbbbEUlllE0_EEPmJS6_EEE10hipError_tPvRmT3_T4_T5_T6_T7_T9_mT8_P12ihipStream_tbDpT10_ENKUlT_T0_E_clISt17integral_constantIbLb1EES1C_EEDaS17_S18_EUlS17_E_NS1_11comp_targetILNS1_3genE2ELNS1_11target_archE906ELNS1_3gpuE6ELNS1_3repE0EEENS1_30default_config_static_selectorELNS0_4arch9wavefront6targetE1EEEvT1_
                                        ; -- End function
	.set _ZN7rocprim17ROCPRIM_400000_NS6detail17trampoline_kernelINS0_14default_configENS1_25partition_config_selectorILNS1_17partition_subalgoE8ElNS0_10empty_typeEbEEZZNS1_14partition_implILS5_8ELb0ES3_jPlPS6_PKS6_NS0_5tupleIJS9_S6_EEENSD_IJSA_SA_EEENS0_18inequality_wrapperIZN2at6native12_GLOBAL__N_124unique_dim_cuda_templateIhEESt5tupleIJNSH_6TensorESM_SM_EERKSM_lbbbEUlllE0_EEPmJS6_EEE10hipError_tPvRmT3_T4_T5_T6_T7_T9_mT8_P12ihipStream_tbDpT10_ENKUlT_T0_E_clISt17integral_constantIbLb1EES1C_EEDaS17_S18_EUlS17_E_NS1_11comp_targetILNS1_3genE2ELNS1_11target_archE906ELNS1_3gpuE6ELNS1_3repE0EEENS1_30default_config_static_selectorELNS0_4arch9wavefront6targetE1EEEvT1_.num_vgpr, 0
	.set _ZN7rocprim17ROCPRIM_400000_NS6detail17trampoline_kernelINS0_14default_configENS1_25partition_config_selectorILNS1_17partition_subalgoE8ElNS0_10empty_typeEbEEZZNS1_14partition_implILS5_8ELb0ES3_jPlPS6_PKS6_NS0_5tupleIJS9_S6_EEENSD_IJSA_SA_EEENS0_18inequality_wrapperIZN2at6native12_GLOBAL__N_124unique_dim_cuda_templateIhEESt5tupleIJNSH_6TensorESM_SM_EERKSM_lbbbEUlllE0_EEPmJS6_EEE10hipError_tPvRmT3_T4_T5_T6_T7_T9_mT8_P12ihipStream_tbDpT10_ENKUlT_T0_E_clISt17integral_constantIbLb1EES1C_EEDaS17_S18_EUlS17_E_NS1_11comp_targetILNS1_3genE2ELNS1_11target_archE906ELNS1_3gpuE6ELNS1_3repE0EEENS1_30default_config_static_selectorELNS0_4arch9wavefront6targetE1EEEvT1_.num_agpr, 0
	.set _ZN7rocprim17ROCPRIM_400000_NS6detail17trampoline_kernelINS0_14default_configENS1_25partition_config_selectorILNS1_17partition_subalgoE8ElNS0_10empty_typeEbEEZZNS1_14partition_implILS5_8ELb0ES3_jPlPS6_PKS6_NS0_5tupleIJS9_S6_EEENSD_IJSA_SA_EEENS0_18inequality_wrapperIZN2at6native12_GLOBAL__N_124unique_dim_cuda_templateIhEESt5tupleIJNSH_6TensorESM_SM_EERKSM_lbbbEUlllE0_EEPmJS6_EEE10hipError_tPvRmT3_T4_T5_T6_T7_T9_mT8_P12ihipStream_tbDpT10_ENKUlT_T0_E_clISt17integral_constantIbLb1EES1C_EEDaS17_S18_EUlS17_E_NS1_11comp_targetILNS1_3genE2ELNS1_11target_archE906ELNS1_3gpuE6ELNS1_3repE0EEENS1_30default_config_static_selectorELNS0_4arch9wavefront6targetE1EEEvT1_.numbered_sgpr, 0
	.set _ZN7rocprim17ROCPRIM_400000_NS6detail17trampoline_kernelINS0_14default_configENS1_25partition_config_selectorILNS1_17partition_subalgoE8ElNS0_10empty_typeEbEEZZNS1_14partition_implILS5_8ELb0ES3_jPlPS6_PKS6_NS0_5tupleIJS9_S6_EEENSD_IJSA_SA_EEENS0_18inequality_wrapperIZN2at6native12_GLOBAL__N_124unique_dim_cuda_templateIhEESt5tupleIJNSH_6TensorESM_SM_EERKSM_lbbbEUlllE0_EEPmJS6_EEE10hipError_tPvRmT3_T4_T5_T6_T7_T9_mT8_P12ihipStream_tbDpT10_ENKUlT_T0_E_clISt17integral_constantIbLb1EES1C_EEDaS17_S18_EUlS17_E_NS1_11comp_targetILNS1_3genE2ELNS1_11target_archE906ELNS1_3gpuE6ELNS1_3repE0EEENS1_30default_config_static_selectorELNS0_4arch9wavefront6targetE1EEEvT1_.num_named_barrier, 0
	.set _ZN7rocprim17ROCPRIM_400000_NS6detail17trampoline_kernelINS0_14default_configENS1_25partition_config_selectorILNS1_17partition_subalgoE8ElNS0_10empty_typeEbEEZZNS1_14partition_implILS5_8ELb0ES3_jPlPS6_PKS6_NS0_5tupleIJS9_S6_EEENSD_IJSA_SA_EEENS0_18inequality_wrapperIZN2at6native12_GLOBAL__N_124unique_dim_cuda_templateIhEESt5tupleIJNSH_6TensorESM_SM_EERKSM_lbbbEUlllE0_EEPmJS6_EEE10hipError_tPvRmT3_T4_T5_T6_T7_T9_mT8_P12ihipStream_tbDpT10_ENKUlT_T0_E_clISt17integral_constantIbLb1EES1C_EEDaS17_S18_EUlS17_E_NS1_11comp_targetILNS1_3genE2ELNS1_11target_archE906ELNS1_3gpuE6ELNS1_3repE0EEENS1_30default_config_static_selectorELNS0_4arch9wavefront6targetE1EEEvT1_.private_seg_size, 0
	.set _ZN7rocprim17ROCPRIM_400000_NS6detail17trampoline_kernelINS0_14default_configENS1_25partition_config_selectorILNS1_17partition_subalgoE8ElNS0_10empty_typeEbEEZZNS1_14partition_implILS5_8ELb0ES3_jPlPS6_PKS6_NS0_5tupleIJS9_S6_EEENSD_IJSA_SA_EEENS0_18inequality_wrapperIZN2at6native12_GLOBAL__N_124unique_dim_cuda_templateIhEESt5tupleIJNSH_6TensorESM_SM_EERKSM_lbbbEUlllE0_EEPmJS6_EEE10hipError_tPvRmT3_T4_T5_T6_T7_T9_mT8_P12ihipStream_tbDpT10_ENKUlT_T0_E_clISt17integral_constantIbLb1EES1C_EEDaS17_S18_EUlS17_E_NS1_11comp_targetILNS1_3genE2ELNS1_11target_archE906ELNS1_3gpuE6ELNS1_3repE0EEENS1_30default_config_static_selectorELNS0_4arch9wavefront6targetE1EEEvT1_.uses_vcc, 0
	.set _ZN7rocprim17ROCPRIM_400000_NS6detail17trampoline_kernelINS0_14default_configENS1_25partition_config_selectorILNS1_17partition_subalgoE8ElNS0_10empty_typeEbEEZZNS1_14partition_implILS5_8ELb0ES3_jPlPS6_PKS6_NS0_5tupleIJS9_S6_EEENSD_IJSA_SA_EEENS0_18inequality_wrapperIZN2at6native12_GLOBAL__N_124unique_dim_cuda_templateIhEESt5tupleIJNSH_6TensorESM_SM_EERKSM_lbbbEUlllE0_EEPmJS6_EEE10hipError_tPvRmT3_T4_T5_T6_T7_T9_mT8_P12ihipStream_tbDpT10_ENKUlT_T0_E_clISt17integral_constantIbLb1EES1C_EEDaS17_S18_EUlS17_E_NS1_11comp_targetILNS1_3genE2ELNS1_11target_archE906ELNS1_3gpuE6ELNS1_3repE0EEENS1_30default_config_static_selectorELNS0_4arch9wavefront6targetE1EEEvT1_.uses_flat_scratch, 0
	.set _ZN7rocprim17ROCPRIM_400000_NS6detail17trampoline_kernelINS0_14default_configENS1_25partition_config_selectorILNS1_17partition_subalgoE8ElNS0_10empty_typeEbEEZZNS1_14partition_implILS5_8ELb0ES3_jPlPS6_PKS6_NS0_5tupleIJS9_S6_EEENSD_IJSA_SA_EEENS0_18inequality_wrapperIZN2at6native12_GLOBAL__N_124unique_dim_cuda_templateIhEESt5tupleIJNSH_6TensorESM_SM_EERKSM_lbbbEUlllE0_EEPmJS6_EEE10hipError_tPvRmT3_T4_T5_T6_T7_T9_mT8_P12ihipStream_tbDpT10_ENKUlT_T0_E_clISt17integral_constantIbLb1EES1C_EEDaS17_S18_EUlS17_E_NS1_11comp_targetILNS1_3genE2ELNS1_11target_archE906ELNS1_3gpuE6ELNS1_3repE0EEENS1_30default_config_static_selectorELNS0_4arch9wavefront6targetE1EEEvT1_.has_dyn_sized_stack, 0
	.set _ZN7rocprim17ROCPRIM_400000_NS6detail17trampoline_kernelINS0_14default_configENS1_25partition_config_selectorILNS1_17partition_subalgoE8ElNS0_10empty_typeEbEEZZNS1_14partition_implILS5_8ELb0ES3_jPlPS6_PKS6_NS0_5tupleIJS9_S6_EEENSD_IJSA_SA_EEENS0_18inequality_wrapperIZN2at6native12_GLOBAL__N_124unique_dim_cuda_templateIhEESt5tupleIJNSH_6TensorESM_SM_EERKSM_lbbbEUlllE0_EEPmJS6_EEE10hipError_tPvRmT3_T4_T5_T6_T7_T9_mT8_P12ihipStream_tbDpT10_ENKUlT_T0_E_clISt17integral_constantIbLb1EES1C_EEDaS17_S18_EUlS17_E_NS1_11comp_targetILNS1_3genE2ELNS1_11target_archE906ELNS1_3gpuE6ELNS1_3repE0EEENS1_30default_config_static_selectorELNS0_4arch9wavefront6targetE1EEEvT1_.has_recursion, 0
	.set _ZN7rocprim17ROCPRIM_400000_NS6detail17trampoline_kernelINS0_14default_configENS1_25partition_config_selectorILNS1_17partition_subalgoE8ElNS0_10empty_typeEbEEZZNS1_14partition_implILS5_8ELb0ES3_jPlPS6_PKS6_NS0_5tupleIJS9_S6_EEENSD_IJSA_SA_EEENS0_18inequality_wrapperIZN2at6native12_GLOBAL__N_124unique_dim_cuda_templateIhEESt5tupleIJNSH_6TensorESM_SM_EERKSM_lbbbEUlllE0_EEPmJS6_EEE10hipError_tPvRmT3_T4_T5_T6_T7_T9_mT8_P12ihipStream_tbDpT10_ENKUlT_T0_E_clISt17integral_constantIbLb1EES1C_EEDaS17_S18_EUlS17_E_NS1_11comp_targetILNS1_3genE2ELNS1_11target_archE906ELNS1_3gpuE6ELNS1_3repE0EEENS1_30default_config_static_selectorELNS0_4arch9wavefront6targetE1EEEvT1_.has_indirect_call, 0
	.section	.AMDGPU.csdata,"",@progbits
; Kernel info:
; codeLenInByte = 0
; TotalNumSgprs: 6
; NumVgprs: 0
; NumAgprs: 0
; TotalNumVgprs: 0
; ScratchSize: 0
; MemoryBound: 0
; FloatMode: 240
; IeeeMode: 1
; LDSByteSize: 0 bytes/workgroup (compile time only)
; SGPRBlocks: 0
; VGPRBlocks: 0
; NumSGPRsForWavesPerEU: 6
; NumVGPRsForWavesPerEU: 1
; AccumOffset: 4
; Occupancy: 8
; WaveLimiterHint : 0
; COMPUTE_PGM_RSRC2:SCRATCH_EN: 0
; COMPUTE_PGM_RSRC2:USER_SGPR: 2
; COMPUTE_PGM_RSRC2:TRAP_HANDLER: 0
; COMPUTE_PGM_RSRC2:TGID_X_EN: 1
; COMPUTE_PGM_RSRC2:TGID_Y_EN: 0
; COMPUTE_PGM_RSRC2:TGID_Z_EN: 0
; COMPUTE_PGM_RSRC2:TIDIG_COMP_CNT: 0
; COMPUTE_PGM_RSRC3_GFX90A:ACCUM_OFFSET: 0
; COMPUTE_PGM_RSRC3_GFX90A:TG_SPLIT: 0
	.section	.text._ZN7rocprim17ROCPRIM_400000_NS6detail17trampoline_kernelINS0_14default_configENS1_25partition_config_selectorILNS1_17partition_subalgoE8ElNS0_10empty_typeEbEEZZNS1_14partition_implILS5_8ELb0ES3_jPlPS6_PKS6_NS0_5tupleIJS9_S6_EEENSD_IJSA_SA_EEENS0_18inequality_wrapperIZN2at6native12_GLOBAL__N_124unique_dim_cuda_templateIhEESt5tupleIJNSH_6TensorESM_SM_EERKSM_lbbbEUlllE0_EEPmJS6_EEE10hipError_tPvRmT3_T4_T5_T6_T7_T9_mT8_P12ihipStream_tbDpT10_ENKUlT_T0_E_clISt17integral_constantIbLb1EES1C_EEDaS17_S18_EUlS17_E_NS1_11comp_targetILNS1_3genE10ELNS1_11target_archE1200ELNS1_3gpuE4ELNS1_3repE0EEENS1_30default_config_static_selectorELNS0_4arch9wavefront6targetE1EEEvT1_,"axG",@progbits,_ZN7rocprim17ROCPRIM_400000_NS6detail17trampoline_kernelINS0_14default_configENS1_25partition_config_selectorILNS1_17partition_subalgoE8ElNS0_10empty_typeEbEEZZNS1_14partition_implILS5_8ELb0ES3_jPlPS6_PKS6_NS0_5tupleIJS9_S6_EEENSD_IJSA_SA_EEENS0_18inequality_wrapperIZN2at6native12_GLOBAL__N_124unique_dim_cuda_templateIhEESt5tupleIJNSH_6TensorESM_SM_EERKSM_lbbbEUlllE0_EEPmJS6_EEE10hipError_tPvRmT3_T4_T5_T6_T7_T9_mT8_P12ihipStream_tbDpT10_ENKUlT_T0_E_clISt17integral_constantIbLb1EES1C_EEDaS17_S18_EUlS17_E_NS1_11comp_targetILNS1_3genE10ELNS1_11target_archE1200ELNS1_3gpuE4ELNS1_3repE0EEENS1_30default_config_static_selectorELNS0_4arch9wavefront6targetE1EEEvT1_,comdat
	.globl	_ZN7rocprim17ROCPRIM_400000_NS6detail17trampoline_kernelINS0_14default_configENS1_25partition_config_selectorILNS1_17partition_subalgoE8ElNS0_10empty_typeEbEEZZNS1_14partition_implILS5_8ELb0ES3_jPlPS6_PKS6_NS0_5tupleIJS9_S6_EEENSD_IJSA_SA_EEENS0_18inequality_wrapperIZN2at6native12_GLOBAL__N_124unique_dim_cuda_templateIhEESt5tupleIJNSH_6TensorESM_SM_EERKSM_lbbbEUlllE0_EEPmJS6_EEE10hipError_tPvRmT3_T4_T5_T6_T7_T9_mT8_P12ihipStream_tbDpT10_ENKUlT_T0_E_clISt17integral_constantIbLb1EES1C_EEDaS17_S18_EUlS17_E_NS1_11comp_targetILNS1_3genE10ELNS1_11target_archE1200ELNS1_3gpuE4ELNS1_3repE0EEENS1_30default_config_static_selectorELNS0_4arch9wavefront6targetE1EEEvT1_ ; -- Begin function _ZN7rocprim17ROCPRIM_400000_NS6detail17trampoline_kernelINS0_14default_configENS1_25partition_config_selectorILNS1_17partition_subalgoE8ElNS0_10empty_typeEbEEZZNS1_14partition_implILS5_8ELb0ES3_jPlPS6_PKS6_NS0_5tupleIJS9_S6_EEENSD_IJSA_SA_EEENS0_18inequality_wrapperIZN2at6native12_GLOBAL__N_124unique_dim_cuda_templateIhEESt5tupleIJNSH_6TensorESM_SM_EERKSM_lbbbEUlllE0_EEPmJS6_EEE10hipError_tPvRmT3_T4_T5_T6_T7_T9_mT8_P12ihipStream_tbDpT10_ENKUlT_T0_E_clISt17integral_constantIbLb1EES1C_EEDaS17_S18_EUlS17_E_NS1_11comp_targetILNS1_3genE10ELNS1_11target_archE1200ELNS1_3gpuE4ELNS1_3repE0EEENS1_30default_config_static_selectorELNS0_4arch9wavefront6targetE1EEEvT1_
	.p2align	8
	.type	_ZN7rocprim17ROCPRIM_400000_NS6detail17trampoline_kernelINS0_14default_configENS1_25partition_config_selectorILNS1_17partition_subalgoE8ElNS0_10empty_typeEbEEZZNS1_14partition_implILS5_8ELb0ES3_jPlPS6_PKS6_NS0_5tupleIJS9_S6_EEENSD_IJSA_SA_EEENS0_18inequality_wrapperIZN2at6native12_GLOBAL__N_124unique_dim_cuda_templateIhEESt5tupleIJNSH_6TensorESM_SM_EERKSM_lbbbEUlllE0_EEPmJS6_EEE10hipError_tPvRmT3_T4_T5_T6_T7_T9_mT8_P12ihipStream_tbDpT10_ENKUlT_T0_E_clISt17integral_constantIbLb1EES1C_EEDaS17_S18_EUlS17_E_NS1_11comp_targetILNS1_3genE10ELNS1_11target_archE1200ELNS1_3gpuE4ELNS1_3repE0EEENS1_30default_config_static_selectorELNS0_4arch9wavefront6targetE1EEEvT1_,@function
_ZN7rocprim17ROCPRIM_400000_NS6detail17trampoline_kernelINS0_14default_configENS1_25partition_config_selectorILNS1_17partition_subalgoE8ElNS0_10empty_typeEbEEZZNS1_14partition_implILS5_8ELb0ES3_jPlPS6_PKS6_NS0_5tupleIJS9_S6_EEENSD_IJSA_SA_EEENS0_18inequality_wrapperIZN2at6native12_GLOBAL__N_124unique_dim_cuda_templateIhEESt5tupleIJNSH_6TensorESM_SM_EERKSM_lbbbEUlllE0_EEPmJS6_EEE10hipError_tPvRmT3_T4_T5_T6_T7_T9_mT8_P12ihipStream_tbDpT10_ENKUlT_T0_E_clISt17integral_constantIbLb1EES1C_EEDaS17_S18_EUlS17_E_NS1_11comp_targetILNS1_3genE10ELNS1_11target_archE1200ELNS1_3gpuE4ELNS1_3repE0EEENS1_30default_config_static_selectorELNS0_4arch9wavefront6targetE1EEEvT1_: ; @_ZN7rocprim17ROCPRIM_400000_NS6detail17trampoline_kernelINS0_14default_configENS1_25partition_config_selectorILNS1_17partition_subalgoE8ElNS0_10empty_typeEbEEZZNS1_14partition_implILS5_8ELb0ES3_jPlPS6_PKS6_NS0_5tupleIJS9_S6_EEENSD_IJSA_SA_EEENS0_18inequality_wrapperIZN2at6native12_GLOBAL__N_124unique_dim_cuda_templateIhEESt5tupleIJNSH_6TensorESM_SM_EERKSM_lbbbEUlllE0_EEPmJS6_EEE10hipError_tPvRmT3_T4_T5_T6_T7_T9_mT8_P12ihipStream_tbDpT10_ENKUlT_T0_E_clISt17integral_constantIbLb1EES1C_EEDaS17_S18_EUlS17_E_NS1_11comp_targetILNS1_3genE10ELNS1_11target_archE1200ELNS1_3gpuE4ELNS1_3repE0EEENS1_30default_config_static_selectorELNS0_4arch9wavefront6targetE1EEEvT1_
; %bb.0:
	.section	.rodata,"a",@progbits
	.p2align	6, 0x0
	.amdhsa_kernel _ZN7rocprim17ROCPRIM_400000_NS6detail17trampoline_kernelINS0_14default_configENS1_25partition_config_selectorILNS1_17partition_subalgoE8ElNS0_10empty_typeEbEEZZNS1_14partition_implILS5_8ELb0ES3_jPlPS6_PKS6_NS0_5tupleIJS9_S6_EEENSD_IJSA_SA_EEENS0_18inequality_wrapperIZN2at6native12_GLOBAL__N_124unique_dim_cuda_templateIhEESt5tupleIJNSH_6TensorESM_SM_EERKSM_lbbbEUlllE0_EEPmJS6_EEE10hipError_tPvRmT3_T4_T5_T6_T7_T9_mT8_P12ihipStream_tbDpT10_ENKUlT_T0_E_clISt17integral_constantIbLb1EES1C_EEDaS17_S18_EUlS17_E_NS1_11comp_targetILNS1_3genE10ELNS1_11target_archE1200ELNS1_3gpuE4ELNS1_3repE0EEENS1_30default_config_static_selectorELNS0_4arch9wavefront6targetE1EEEvT1_
		.amdhsa_group_segment_fixed_size 0
		.amdhsa_private_segment_fixed_size 0
		.amdhsa_kernarg_size 136
		.amdhsa_user_sgpr_count 2
		.amdhsa_user_sgpr_dispatch_ptr 0
		.amdhsa_user_sgpr_queue_ptr 0
		.amdhsa_user_sgpr_kernarg_segment_ptr 1
		.amdhsa_user_sgpr_dispatch_id 0
		.amdhsa_user_sgpr_kernarg_preload_length 0
		.amdhsa_user_sgpr_kernarg_preload_offset 0
		.amdhsa_user_sgpr_private_segment_size 0
		.amdhsa_uses_dynamic_stack 0
		.amdhsa_enable_private_segment 0
		.amdhsa_system_sgpr_workgroup_id_x 1
		.amdhsa_system_sgpr_workgroup_id_y 0
		.amdhsa_system_sgpr_workgroup_id_z 0
		.amdhsa_system_sgpr_workgroup_info 0
		.amdhsa_system_vgpr_workitem_id 0
		.amdhsa_next_free_vgpr 1
		.amdhsa_next_free_sgpr 0
		.amdhsa_accum_offset 4
		.amdhsa_reserve_vcc 0
		.amdhsa_float_round_mode_32 0
		.amdhsa_float_round_mode_16_64 0
		.amdhsa_float_denorm_mode_32 3
		.amdhsa_float_denorm_mode_16_64 3
		.amdhsa_dx10_clamp 1
		.amdhsa_ieee_mode 1
		.amdhsa_fp16_overflow 0
		.amdhsa_tg_split 0
		.amdhsa_exception_fp_ieee_invalid_op 0
		.amdhsa_exception_fp_denorm_src 0
		.amdhsa_exception_fp_ieee_div_zero 0
		.amdhsa_exception_fp_ieee_overflow 0
		.amdhsa_exception_fp_ieee_underflow 0
		.amdhsa_exception_fp_ieee_inexact 0
		.amdhsa_exception_int_div_zero 0
	.end_amdhsa_kernel
	.section	.text._ZN7rocprim17ROCPRIM_400000_NS6detail17trampoline_kernelINS0_14default_configENS1_25partition_config_selectorILNS1_17partition_subalgoE8ElNS0_10empty_typeEbEEZZNS1_14partition_implILS5_8ELb0ES3_jPlPS6_PKS6_NS0_5tupleIJS9_S6_EEENSD_IJSA_SA_EEENS0_18inequality_wrapperIZN2at6native12_GLOBAL__N_124unique_dim_cuda_templateIhEESt5tupleIJNSH_6TensorESM_SM_EERKSM_lbbbEUlllE0_EEPmJS6_EEE10hipError_tPvRmT3_T4_T5_T6_T7_T9_mT8_P12ihipStream_tbDpT10_ENKUlT_T0_E_clISt17integral_constantIbLb1EES1C_EEDaS17_S18_EUlS17_E_NS1_11comp_targetILNS1_3genE10ELNS1_11target_archE1200ELNS1_3gpuE4ELNS1_3repE0EEENS1_30default_config_static_selectorELNS0_4arch9wavefront6targetE1EEEvT1_,"axG",@progbits,_ZN7rocprim17ROCPRIM_400000_NS6detail17trampoline_kernelINS0_14default_configENS1_25partition_config_selectorILNS1_17partition_subalgoE8ElNS0_10empty_typeEbEEZZNS1_14partition_implILS5_8ELb0ES3_jPlPS6_PKS6_NS0_5tupleIJS9_S6_EEENSD_IJSA_SA_EEENS0_18inequality_wrapperIZN2at6native12_GLOBAL__N_124unique_dim_cuda_templateIhEESt5tupleIJNSH_6TensorESM_SM_EERKSM_lbbbEUlllE0_EEPmJS6_EEE10hipError_tPvRmT3_T4_T5_T6_T7_T9_mT8_P12ihipStream_tbDpT10_ENKUlT_T0_E_clISt17integral_constantIbLb1EES1C_EEDaS17_S18_EUlS17_E_NS1_11comp_targetILNS1_3genE10ELNS1_11target_archE1200ELNS1_3gpuE4ELNS1_3repE0EEENS1_30default_config_static_selectorELNS0_4arch9wavefront6targetE1EEEvT1_,comdat
.Lfunc_end183:
	.size	_ZN7rocprim17ROCPRIM_400000_NS6detail17trampoline_kernelINS0_14default_configENS1_25partition_config_selectorILNS1_17partition_subalgoE8ElNS0_10empty_typeEbEEZZNS1_14partition_implILS5_8ELb0ES3_jPlPS6_PKS6_NS0_5tupleIJS9_S6_EEENSD_IJSA_SA_EEENS0_18inequality_wrapperIZN2at6native12_GLOBAL__N_124unique_dim_cuda_templateIhEESt5tupleIJNSH_6TensorESM_SM_EERKSM_lbbbEUlllE0_EEPmJS6_EEE10hipError_tPvRmT3_T4_T5_T6_T7_T9_mT8_P12ihipStream_tbDpT10_ENKUlT_T0_E_clISt17integral_constantIbLb1EES1C_EEDaS17_S18_EUlS17_E_NS1_11comp_targetILNS1_3genE10ELNS1_11target_archE1200ELNS1_3gpuE4ELNS1_3repE0EEENS1_30default_config_static_selectorELNS0_4arch9wavefront6targetE1EEEvT1_, .Lfunc_end183-_ZN7rocprim17ROCPRIM_400000_NS6detail17trampoline_kernelINS0_14default_configENS1_25partition_config_selectorILNS1_17partition_subalgoE8ElNS0_10empty_typeEbEEZZNS1_14partition_implILS5_8ELb0ES3_jPlPS6_PKS6_NS0_5tupleIJS9_S6_EEENSD_IJSA_SA_EEENS0_18inequality_wrapperIZN2at6native12_GLOBAL__N_124unique_dim_cuda_templateIhEESt5tupleIJNSH_6TensorESM_SM_EERKSM_lbbbEUlllE0_EEPmJS6_EEE10hipError_tPvRmT3_T4_T5_T6_T7_T9_mT8_P12ihipStream_tbDpT10_ENKUlT_T0_E_clISt17integral_constantIbLb1EES1C_EEDaS17_S18_EUlS17_E_NS1_11comp_targetILNS1_3genE10ELNS1_11target_archE1200ELNS1_3gpuE4ELNS1_3repE0EEENS1_30default_config_static_selectorELNS0_4arch9wavefront6targetE1EEEvT1_
                                        ; -- End function
	.set _ZN7rocprim17ROCPRIM_400000_NS6detail17trampoline_kernelINS0_14default_configENS1_25partition_config_selectorILNS1_17partition_subalgoE8ElNS0_10empty_typeEbEEZZNS1_14partition_implILS5_8ELb0ES3_jPlPS6_PKS6_NS0_5tupleIJS9_S6_EEENSD_IJSA_SA_EEENS0_18inequality_wrapperIZN2at6native12_GLOBAL__N_124unique_dim_cuda_templateIhEESt5tupleIJNSH_6TensorESM_SM_EERKSM_lbbbEUlllE0_EEPmJS6_EEE10hipError_tPvRmT3_T4_T5_T6_T7_T9_mT8_P12ihipStream_tbDpT10_ENKUlT_T0_E_clISt17integral_constantIbLb1EES1C_EEDaS17_S18_EUlS17_E_NS1_11comp_targetILNS1_3genE10ELNS1_11target_archE1200ELNS1_3gpuE4ELNS1_3repE0EEENS1_30default_config_static_selectorELNS0_4arch9wavefront6targetE1EEEvT1_.num_vgpr, 0
	.set _ZN7rocprim17ROCPRIM_400000_NS6detail17trampoline_kernelINS0_14default_configENS1_25partition_config_selectorILNS1_17partition_subalgoE8ElNS0_10empty_typeEbEEZZNS1_14partition_implILS5_8ELb0ES3_jPlPS6_PKS6_NS0_5tupleIJS9_S6_EEENSD_IJSA_SA_EEENS0_18inequality_wrapperIZN2at6native12_GLOBAL__N_124unique_dim_cuda_templateIhEESt5tupleIJNSH_6TensorESM_SM_EERKSM_lbbbEUlllE0_EEPmJS6_EEE10hipError_tPvRmT3_T4_T5_T6_T7_T9_mT8_P12ihipStream_tbDpT10_ENKUlT_T0_E_clISt17integral_constantIbLb1EES1C_EEDaS17_S18_EUlS17_E_NS1_11comp_targetILNS1_3genE10ELNS1_11target_archE1200ELNS1_3gpuE4ELNS1_3repE0EEENS1_30default_config_static_selectorELNS0_4arch9wavefront6targetE1EEEvT1_.num_agpr, 0
	.set _ZN7rocprim17ROCPRIM_400000_NS6detail17trampoline_kernelINS0_14default_configENS1_25partition_config_selectorILNS1_17partition_subalgoE8ElNS0_10empty_typeEbEEZZNS1_14partition_implILS5_8ELb0ES3_jPlPS6_PKS6_NS0_5tupleIJS9_S6_EEENSD_IJSA_SA_EEENS0_18inequality_wrapperIZN2at6native12_GLOBAL__N_124unique_dim_cuda_templateIhEESt5tupleIJNSH_6TensorESM_SM_EERKSM_lbbbEUlllE0_EEPmJS6_EEE10hipError_tPvRmT3_T4_T5_T6_T7_T9_mT8_P12ihipStream_tbDpT10_ENKUlT_T0_E_clISt17integral_constantIbLb1EES1C_EEDaS17_S18_EUlS17_E_NS1_11comp_targetILNS1_3genE10ELNS1_11target_archE1200ELNS1_3gpuE4ELNS1_3repE0EEENS1_30default_config_static_selectorELNS0_4arch9wavefront6targetE1EEEvT1_.numbered_sgpr, 0
	.set _ZN7rocprim17ROCPRIM_400000_NS6detail17trampoline_kernelINS0_14default_configENS1_25partition_config_selectorILNS1_17partition_subalgoE8ElNS0_10empty_typeEbEEZZNS1_14partition_implILS5_8ELb0ES3_jPlPS6_PKS6_NS0_5tupleIJS9_S6_EEENSD_IJSA_SA_EEENS0_18inequality_wrapperIZN2at6native12_GLOBAL__N_124unique_dim_cuda_templateIhEESt5tupleIJNSH_6TensorESM_SM_EERKSM_lbbbEUlllE0_EEPmJS6_EEE10hipError_tPvRmT3_T4_T5_T6_T7_T9_mT8_P12ihipStream_tbDpT10_ENKUlT_T0_E_clISt17integral_constantIbLb1EES1C_EEDaS17_S18_EUlS17_E_NS1_11comp_targetILNS1_3genE10ELNS1_11target_archE1200ELNS1_3gpuE4ELNS1_3repE0EEENS1_30default_config_static_selectorELNS0_4arch9wavefront6targetE1EEEvT1_.num_named_barrier, 0
	.set _ZN7rocprim17ROCPRIM_400000_NS6detail17trampoline_kernelINS0_14default_configENS1_25partition_config_selectorILNS1_17partition_subalgoE8ElNS0_10empty_typeEbEEZZNS1_14partition_implILS5_8ELb0ES3_jPlPS6_PKS6_NS0_5tupleIJS9_S6_EEENSD_IJSA_SA_EEENS0_18inequality_wrapperIZN2at6native12_GLOBAL__N_124unique_dim_cuda_templateIhEESt5tupleIJNSH_6TensorESM_SM_EERKSM_lbbbEUlllE0_EEPmJS6_EEE10hipError_tPvRmT3_T4_T5_T6_T7_T9_mT8_P12ihipStream_tbDpT10_ENKUlT_T0_E_clISt17integral_constantIbLb1EES1C_EEDaS17_S18_EUlS17_E_NS1_11comp_targetILNS1_3genE10ELNS1_11target_archE1200ELNS1_3gpuE4ELNS1_3repE0EEENS1_30default_config_static_selectorELNS0_4arch9wavefront6targetE1EEEvT1_.private_seg_size, 0
	.set _ZN7rocprim17ROCPRIM_400000_NS6detail17trampoline_kernelINS0_14default_configENS1_25partition_config_selectorILNS1_17partition_subalgoE8ElNS0_10empty_typeEbEEZZNS1_14partition_implILS5_8ELb0ES3_jPlPS6_PKS6_NS0_5tupleIJS9_S6_EEENSD_IJSA_SA_EEENS0_18inequality_wrapperIZN2at6native12_GLOBAL__N_124unique_dim_cuda_templateIhEESt5tupleIJNSH_6TensorESM_SM_EERKSM_lbbbEUlllE0_EEPmJS6_EEE10hipError_tPvRmT3_T4_T5_T6_T7_T9_mT8_P12ihipStream_tbDpT10_ENKUlT_T0_E_clISt17integral_constantIbLb1EES1C_EEDaS17_S18_EUlS17_E_NS1_11comp_targetILNS1_3genE10ELNS1_11target_archE1200ELNS1_3gpuE4ELNS1_3repE0EEENS1_30default_config_static_selectorELNS0_4arch9wavefront6targetE1EEEvT1_.uses_vcc, 0
	.set _ZN7rocprim17ROCPRIM_400000_NS6detail17trampoline_kernelINS0_14default_configENS1_25partition_config_selectorILNS1_17partition_subalgoE8ElNS0_10empty_typeEbEEZZNS1_14partition_implILS5_8ELb0ES3_jPlPS6_PKS6_NS0_5tupleIJS9_S6_EEENSD_IJSA_SA_EEENS0_18inequality_wrapperIZN2at6native12_GLOBAL__N_124unique_dim_cuda_templateIhEESt5tupleIJNSH_6TensorESM_SM_EERKSM_lbbbEUlllE0_EEPmJS6_EEE10hipError_tPvRmT3_T4_T5_T6_T7_T9_mT8_P12ihipStream_tbDpT10_ENKUlT_T0_E_clISt17integral_constantIbLb1EES1C_EEDaS17_S18_EUlS17_E_NS1_11comp_targetILNS1_3genE10ELNS1_11target_archE1200ELNS1_3gpuE4ELNS1_3repE0EEENS1_30default_config_static_selectorELNS0_4arch9wavefront6targetE1EEEvT1_.uses_flat_scratch, 0
	.set _ZN7rocprim17ROCPRIM_400000_NS6detail17trampoline_kernelINS0_14default_configENS1_25partition_config_selectorILNS1_17partition_subalgoE8ElNS0_10empty_typeEbEEZZNS1_14partition_implILS5_8ELb0ES3_jPlPS6_PKS6_NS0_5tupleIJS9_S6_EEENSD_IJSA_SA_EEENS0_18inequality_wrapperIZN2at6native12_GLOBAL__N_124unique_dim_cuda_templateIhEESt5tupleIJNSH_6TensorESM_SM_EERKSM_lbbbEUlllE0_EEPmJS6_EEE10hipError_tPvRmT3_T4_T5_T6_T7_T9_mT8_P12ihipStream_tbDpT10_ENKUlT_T0_E_clISt17integral_constantIbLb1EES1C_EEDaS17_S18_EUlS17_E_NS1_11comp_targetILNS1_3genE10ELNS1_11target_archE1200ELNS1_3gpuE4ELNS1_3repE0EEENS1_30default_config_static_selectorELNS0_4arch9wavefront6targetE1EEEvT1_.has_dyn_sized_stack, 0
	.set _ZN7rocprim17ROCPRIM_400000_NS6detail17trampoline_kernelINS0_14default_configENS1_25partition_config_selectorILNS1_17partition_subalgoE8ElNS0_10empty_typeEbEEZZNS1_14partition_implILS5_8ELb0ES3_jPlPS6_PKS6_NS0_5tupleIJS9_S6_EEENSD_IJSA_SA_EEENS0_18inequality_wrapperIZN2at6native12_GLOBAL__N_124unique_dim_cuda_templateIhEESt5tupleIJNSH_6TensorESM_SM_EERKSM_lbbbEUlllE0_EEPmJS6_EEE10hipError_tPvRmT3_T4_T5_T6_T7_T9_mT8_P12ihipStream_tbDpT10_ENKUlT_T0_E_clISt17integral_constantIbLb1EES1C_EEDaS17_S18_EUlS17_E_NS1_11comp_targetILNS1_3genE10ELNS1_11target_archE1200ELNS1_3gpuE4ELNS1_3repE0EEENS1_30default_config_static_selectorELNS0_4arch9wavefront6targetE1EEEvT1_.has_recursion, 0
	.set _ZN7rocprim17ROCPRIM_400000_NS6detail17trampoline_kernelINS0_14default_configENS1_25partition_config_selectorILNS1_17partition_subalgoE8ElNS0_10empty_typeEbEEZZNS1_14partition_implILS5_8ELb0ES3_jPlPS6_PKS6_NS0_5tupleIJS9_S6_EEENSD_IJSA_SA_EEENS0_18inequality_wrapperIZN2at6native12_GLOBAL__N_124unique_dim_cuda_templateIhEESt5tupleIJNSH_6TensorESM_SM_EERKSM_lbbbEUlllE0_EEPmJS6_EEE10hipError_tPvRmT3_T4_T5_T6_T7_T9_mT8_P12ihipStream_tbDpT10_ENKUlT_T0_E_clISt17integral_constantIbLb1EES1C_EEDaS17_S18_EUlS17_E_NS1_11comp_targetILNS1_3genE10ELNS1_11target_archE1200ELNS1_3gpuE4ELNS1_3repE0EEENS1_30default_config_static_selectorELNS0_4arch9wavefront6targetE1EEEvT1_.has_indirect_call, 0
	.section	.AMDGPU.csdata,"",@progbits
; Kernel info:
; codeLenInByte = 0
; TotalNumSgprs: 6
; NumVgprs: 0
; NumAgprs: 0
; TotalNumVgprs: 0
; ScratchSize: 0
; MemoryBound: 0
; FloatMode: 240
; IeeeMode: 1
; LDSByteSize: 0 bytes/workgroup (compile time only)
; SGPRBlocks: 0
; VGPRBlocks: 0
; NumSGPRsForWavesPerEU: 6
; NumVGPRsForWavesPerEU: 1
; AccumOffset: 4
; Occupancy: 8
; WaveLimiterHint : 0
; COMPUTE_PGM_RSRC2:SCRATCH_EN: 0
; COMPUTE_PGM_RSRC2:USER_SGPR: 2
; COMPUTE_PGM_RSRC2:TRAP_HANDLER: 0
; COMPUTE_PGM_RSRC2:TGID_X_EN: 1
; COMPUTE_PGM_RSRC2:TGID_Y_EN: 0
; COMPUTE_PGM_RSRC2:TGID_Z_EN: 0
; COMPUTE_PGM_RSRC2:TIDIG_COMP_CNT: 0
; COMPUTE_PGM_RSRC3_GFX90A:ACCUM_OFFSET: 0
; COMPUTE_PGM_RSRC3_GFX90A:TG_SPLIT: 0
	.section	.text._ZN7rocprim17ROCPRIM_400000_NS6detail17trampoline_kernelINS0_14default_configENS1_25partition_config_selectorILNS1_17partition_subalgoE8ElNS0_10empty_typeEbEEZZNS1_14partition_implILS5_8ELb0ES3_jPlPS6_PKS6_NS0_5tupleIJS9_S6_EEENSD_IJSA_SA_EEENS0_18inequality_wrapperIZN2at6native12_GLOBAL__N_124unique_dim_cuda_templateIhEESt5tupleIJNSH_6TensorESM_SM_EERKSM_lbbbEUlllE0_EEPmJS6_EEE10hipError_tPvRmT3_T4_T5_T6_T7_T9_mT8_P12ihipStream_tbDpT10_ENKUlT_T0_E_clISt17integral_constantIbLb1EES1C_EEDaS17_S18_EUlS17_E_NS1_11comp_targetILNS1_3genE9ELNS1_11target_archE1100ELNS1_3gpuE3ELNS1_3repE0EEENS1_30default_config_static_selectorELNS0_4arch9wavefront6targetE1EEEvT1_,"axG",@progbits,_ZN7rocprim17ROCPRIM_400000_NS6detail17trampoline_kernelINS0_14default_configENS1_25partition_config_selectorILNS1_17partition_subalgoE8ElNS0_10empty_typeEbEEZZNS1_14partition_implILS5_8ELb0ES3_jPlPS6_PKS6_NS0_5tupleIJS9_S6_EEENSD_IJSA_SA_EEENS0_18inequality_wrapperIZN2at6native12_GLOBAL__N_124unique_dim_cuda_templateIhEESt5tupleIJNSH_6TensorESM_SM_EERKSM_lbbbEUlllE0_EEPmJS6_EEE10hipError_tPvRmT3_T4_T5_T6_T7_T9_mT8_P12ihipStream_tbDpT10_ENKUlT_T0_E_clISt17integral_constantIbLb1EES1C_EEDaS17_S18_EUlS17_E_NS1_11comp_targetILNS1_3genE9ELNS1_11target_archE1100ELNS1_3gpuE3ELNS1_3repE0EEENS1_30default_config_static_selectorELNS0_4arch9wavefront6targetE1EEEvT1_,comdat
	.globl	_ZN7rocprim17ROCPRIM_400000_NS6detail17trampoline_kernelINS0_14default_configENS1_25partition_config_selectorILNS1_17partition_subalgoE8ElNS0_10empty_typeEbEEZZNS1_14partition_implILS5_8ELb0ES3_jPlPS6_PKS6_NS0_5tupleIJS9_S6_EEENSD_IJSA_SA_EEENS0_18inequality_wrapperIZN2at6native12_GLOBAL__N_124unique_dim_cuda_templateIhEESt5tupleIJNSH_6TensorESM_SM_EERKSM_lbbbEUlllE0_EEPmJS6_EEE10hipError_tPvRmT3_T4_T5_T6_T7_T9_mT8_P12ihipStream_tbDpT10_ENKUlT_T0_E_clISt17integral_constantIbLb1EES1C_EEDaS17_S18_EUlS17_E_NS1_11comp_targetILNS1_3genE9ELNS1_11target_archE1100ELNS1_3gpuE3ELNS1_3repE0EEENS1_30default_config_static_selectorELNS0_4arch9wavefront6targetE1EEEvT1_ ; -- Begin function _ZN7rocprim17ROCPRIM_400000_NS6detail17trampoline_kernelINS0_14default_configENS1_25partition_config_selectorILNS1_17partition_subalgoE8ElNS0_10empty_typeEbEEZZNS1_14partition_implILS5_8ELb0ES3_jPlPS6_PKS6_NS0_5tupleIJS9_S6_EEENSD_IJSA_SA_EEENS0_18inequality_wrapperIZN2at6native12_GLOBAL__N_124unique_dim_cuda_templateIhEESt5tupleIJNSH_6TensorESM_SM_EERKSM_lbbbEUlllE0_EEPmJS6_EEE10hipError_tPvRmT3_T4_T5_T6_T7_T9_mT8_P12ihipStream_tbDpT10_ENKUlT_T0_E_clISt17integral_constantIbLb1EES1C_EEDaS17_S18_EUlS17_E_NS1_11comp_targetILNS1_3genE9ELNS1_11target_archE1100ELNS1_3gpuE3ELNS1_3repE0EEENS1_30default_config_static_selectorELNS0_4arch9wavefront6targetE1EEEvT1_
	.p2align	8
	.type	_ZN7rocprim17ROCPRIM_400000_NS6detail17trampoline_kernelINS0_14default_configENS1_25partition_config_selectorILNS1_17partition_subalgoE8ElNS0_10empty_typeEbEEZZNS1_14partition_implILS5_8ELb0ES3_jPlPS6_PKS6_NS0_5tupleIJS9_S6_EEENSD_IJSA_SA_EEENS0_18inequality_wrapperIZN2at6native12_GLOBAL__N_124unique_dim_cuda_templateIhEESt5tupleIJNSH_6TensorESM_SM_EERKSM_lbbbEUlllE0_EEPmJS6_EEE10hipError_tPvRmT3_T4_T5_T6_T7_T9_mT8_P12ihipStream_tbDpT10_ENKUlT_T0_E_clISt17integral_constantIbLb1EES1C_EEDaS17_S18_EUlS17_E_NS1_11comp_targetILNS1_3genE9ELNS1_11target_archE1100ELNS1_3gpuE3ELNS1_3repE0EEENS1_30default_config_static_selectorELNS0_4arch9wavefront6targetE1EEEvT1_,@function
_ZN7rocprim17ROCPRIM_400000_NS6detail17trampoline_kernelINS0_14default_configENS1_25partition_config_selectorILNS1_17partition_subalgoE8ElNS0_10empty_typeEbEEZZNS1_14partition_implILS5_8ELb0ES3_jPlPS6_PKS6_NS0_5tupleIJS9_S6_EEENSD_IJSA_SA_EEENS0_18inequality_wrapperIZN2at6native12_GLOBAL__N_124unique_dim_cuda_templateIhEESt5tupleIJNSH_6TensorESM_SM_EERKSM_lbbbEUlllE0_EEPmJS6_EEE10hipError_tPvRmT3_T4_T5_T6_T7_T9_mT8_P12ihipStream_tbDpT10_ENKUlT_T0_E_clISt17integral_constantIbLb1EES1C_EEDaS17_S18_EUlS17_E_NS1_11comp_targetILNS1_3genE9ELNS1_11target_archE1100ELNS1_3gpuE3ELNS1_3repE0EEENS1_30default_config_static_selectorELNS0_4arch9wavefront6targetE1EEEvT1_: ; @_ZN7rocprim17ROCPRIM_400000_NS6detail17trampoline_kernelINS0_14default_configENS1_25partition_config_selectorILNS1_17partition_subalgoE8ElNS0_10empty_typeEbEEZZNS1_14partition_implILS5_8ELb0ES3_jPlPS6_PKS6_NS0_5tupleIJS9_S6_EEENSD_IJSA_SA_EEENS0_18inequality_wrapperIZN2at6native12_GLOBAL__N_124unique_dim_cuda_templateIhEESt5tupleIJNSH_6TensorESM_SM_EERKSM_lbbbEUlllE0_EEPmJS6_EEE10hipError_tPvRmT3_T4_T5_T6_T7_T9_mT8_P12ihipStream_tbDpT10_ENKUlT_T0_E_clISt17integral_constantIbLb1EES1C_EEDaS17_S18_EUlS17_E_NS1_11comp_targetILNS1_3genE9ELNS1_11target_archE1100ELNS1_3gpuE3ELNS1_3repE0EEENS1_30default_config_static_selectorELNS0_4arch9wavefront6targetE1EEEvT1_
; %bb.0:
	.section	.rodata,"a",@progbits
	.p2align	6, 0x0
	.amdhsa_kernel _ZN7rocprim17ROCPRIM_400000_NS6detail17trampoline_kernelINS0_14default_configENS1_25partition_config_selectorILNS1_17partition_subalgoE8ElNS0_10empty_typeEbEEZZNS1_14partition_implILS5_8ELb0ES3_jPlPS6_PKS6_NS0_5tupleIJS9_S6_EEENSD_IJSA_SA_EEENS0_18inequality_wrapperIZN2at6native12_GLOBAL__N_124unique_dim_cuda_templateIhEESt5tupleIJNSH_6TensorESM_SM_EERKSM_lbbbEUlllE0_EEPmJS6_EEE10hipError_tPvRmT3_T4_T5_T6_T7_T9_mT8_P12ihipStream_tbDpT10_ENKUlT_T0_E_clISt17integral_constantIbLb1EES1C_EEDaS17_S18_EUlS17_E_NS1_11comp_targetILNS1_3genE9ELNS1_11target_archE1100ELNS1_3gpuE3ELNS1_3repE0EEENS1_30default_config_static_selectorELNS0_4arch9wavefront6targetE1EEEvT1_
		.amdhsa_group_segment_fixed_size 0
		.amdhsa_private_segment_fixed_size 0
		.amdhsa_kernarg_size 136
		.amdhsa_user_sgpr_count 2
		.amdhsa_user_sgpr_dispatch_ptr 0
		.amdhsa_user_sgpr_queue_ptr 0
		.amdhsa_user_sgpr_kernarg_segment_ptr 1
		.amdhsa_user_sgpr_dispatch_id 0
		.amdhsa_user_sgpr_kernarg_preload_length 0
		.amdhsa_user_sgpr_kernarg_preload_offset 0
		.amdhsa_user_sgpr_private_segment_size 0
		.amdhsa_uses_dynamic_stack 0
		.amdhsa_enable_private_segment 0
		.amdhsa_system_sgpr_workgroup_id_x 1
		.amdhsa_system_sgpr_workgroup_id_y 0
		.amdhsa_system_sgpr_workgroup_id_z 0
		.amdhsa_system_sgpr_workgroup_info 0
		.amdhsa_system_vgpr_workitem_id 0
		.amdhsa_next_free_vgpr 1
		.amdhsa_next_free_sgpr 0
		.amdhsa_accum_offset 4
		.amdhsa_reserve_vcc 0
		.amdhsa_float_round_mode_32 0
		.amdhsa_float_round_mode_16_64 0
		.amdhsa_float_denorm_mode_32 3
		.amdhsa_float_denorm_mode_16_64 3
		.amdhsa_dx10_clamp 1
		.amdhsa_ieee_mode 1
		.amdhsa_fp16_overflow 0
		.amdhsa_tg_split 0
		.amdhsa_exception_fp_ieee_invalid_op 0
		.amdhsa_exception_fp_denorm_src 0
		.amdhsa_exception_fp_ieee_div_zero 0
		.amdhsa_exception_fp_ieee_overflow 0
		.amdhsa_exception_fp_ieee_underflow 0
		.amdhsa_exception_fp_ieee_inexact 0
		.amdhsa_exception_int_div_zero 0
	.end_amdhsa_kernel
	.section	.text._ZN7rocprim17ROCPRIM_400000_NS6detail17trampoline_kernelINS0_14default_configENS1_25partition_config_selectorILNS1_17partition_subalgoE8ElNS0_10empty_typeEbEEZZNS1_14partition_implILS5_8ELb0ES3_jPlPS6_PKS6_NS0_5tupleIJS9_S6_EEENSD_IJSA_SA_EEENS0_18inequality_wrapperIZN2at6native12_GLOBAL__N_124unique_dim_cuda_templateIhEESt5tupleIJNSH_6TensorESM_SM_EERKSM_lbbbEUlllE0_EEPmJS6_EEE10hipError_tPvRmT3_T4_T5_T6_T7_T9_mT8_P12ihipStream_tbDpT10_ENKUlT_T0_E_clISt17integral_constantIbLb1EES1C_EEDaS17_S18_EUlS17_E_NS1_11comp_targetILNS1_3genE9ELNS1_11target_archE1100ELNS1_3gpuE3ELNS1_3repE0EEENS1_30default_config_static_selectorELNS0_4arch9wavefront6targetE1EEEvT1_,"axG",@progbits,_ZN7rocprim17ROCPRIM_400000_NS6detail17trampoline_kernelINS0_14default_configENS1_25partition_config_selectorILNS1_17partition_subalgoE8ElNS0_10empty_typeEbEEZZNS1_14partition_implILS5_8ELb0ES3_jPlPS6_PKS6_NS0_5tupleIJS9_S6_EEENSD_IJSA_SA_EEENS0_18inequality_wrapperIZN2at6native12_GLOBAL__N_124unique_dim_cuda_templateIhEESt5tupleIJNSH_6TensorESM_SM_EERKSM_lbbbEUlllE0_EEPmJS6_EEE10hipError_tPvRmT3_T4_T5_T6_T7_T9_mT8_P12ihipStream_tbDpT10_ENKUlT_T0_E_clISt17integral_constantIbLb1EES1C_EEDaS17_S18_EUlS17_E_NS1_11comp_targetILNS1_3genE9ELNS1_11target_archE1100ELNS1_3gpuE3ELNS1_3repE0EEENS1_30default_config_static_selectorELNS0_4arch9wavefront6targetE1EEEvT1_,comdat
.Lfunc_end184:
	.size	_ZN7rocprim17ROCPRIM_400000_NS6detail17trampoline_kernelINS0_14default_configENS1_25partition_config_selectorILNS1_17partition_subalgoE8ElNS0_10empty_typeEbEEZZNS1_14partition_implILS5_8ELb0ES3_jPlPS6_PKS6_NS0_5tupleIJS9_S6_EEENSD_IJSA_SA_EEENS0_18inequality_wrapperIZN2at6native12_GLOBAL__N_124unique_dim_cuda_templateIhEESt5tupleIJNSH_6TensorESM_SM_EERKSM_lbbbEUlllE0_EEPmJS6_EEE10hipError_tPvRmT3_T4_T5_T6_T7_T9_mT8_P12ihipStream_tbDpT10_ENKUlT_T0_E_clISt17integral_constantIbLb1EES1C_EEDaS17_S18_EUlS17_E_NS1_11comp_targetILNS1_3genE9ELNS1_11target_archE1100ELNS1_3gpuE3ELNS1_3repE0EEENS1_30default_config_static_selectorELNS0_4arch9wavefront6targetE1EEEvT1_, .Lfunc_end184-_ZN7rocprim17ROCPRIM_400000_NS6detail17trampoline_kernelINS0_14default_configENS1_25partition_config_selectorILNS1_17partition_subalgoE8ElNS0_10empty_typeEbEEZZNS1_14partition_implILS5_8ELb0ES3_jPlPS6_PKS6_NS0_5tupleIJS9_S6_EEENSD_IJSA_SA_EEENS0_18inequality_wrapperIZN2at6native12_GLOBAL__N_124unique_dim_cuda_templateIhEESt5tupleIJNSH_6TensorESM_SM_EERKSM_lbbbEUlllE0_EEPmJS6_EEE10hipError_tPvRmT3_T4_T5_T6_T7_T9_mT8_P12ihipStream_tbDpT10_ENKUlT_T0_E_clISt17integral_constantIbLb1EES1C_EEDaS17_S18_EUlS17_E_NS1_11comp_targetILNS1_3genE9ELNS1_11target_archE1100ELNS1_3gpuE3ELNS1_3repE0EEENS1_30default_config_static_selectorELNS0_4arch9wavefront6targetE1EEEvT1_
                                        ; -- End function
	.set _ZN7rocprim17ROCPRIM_400000_NS6detail17trampoline_kernelINS0_14default_configENS1_25partition_config_selectorILNS1_17partition_subalgoE8ElNS0_10empty_typeEbEEZZNS1_14partition_implILS5_8ELb0ES3_jPlPS6_PKS6_NS0_5tupleIJS9_S6_EEENSD_IJSA_SA_EEENS0_18inequality_wrapperIZN2at6native12_GLOBAL__N_124unique_dim_cuda_templateIhEESt5tupleIJNSH_6TensorESM_SM_EERKSM_lbbbEUlllE0_EEPmJS6_EEE10hipError_tPvRmT3_T4_T5_T6_T7_T9_mT8_P12ihipStream_tbDpT10_ENKUlT_T0_E_clISt17integral_constantIbLb1EES1C_EEDaS17_S18_EUlS17_E_NS1_11comp_targetILNS1_3genE9ELNS1_11target_archE1100ELNS1_3gpuE3ELNS1_3repE0EEENS1_30default_config_static_selectorELNS0_4arch9wavefront6targetE1EEEvT1_.num_vgpr, 0
	.set _ZN7rocprim17ROCPRIM_400000_NS6detail17trampoline_kernelINS0_14default_configENS1_25partition_config_selectorILNS1_17partition_subalgoE8ElNS0_10empty_typeEbEEZZNS1_14partition_implILS5_8ELb0ES3_jPlPS6_PKS6_NS0_5tupleIJS9_S6_EEENSD_IJSA_SA_EEENS0_18inequality_wrapperIZN2at6native12_GLOBAL__N_124unique_dim_cuda_templateIhEESt5tupleIJNSH_6TensorESM_SM_EERKSM_lbbbEUlllE0_EEPmJS6_EEE10hipError_tPvRmT3_T4_T5_T6_T7_T9_mT8_P12ihipStream_tbDpT10_ENKUlT_T0_E_clISt17integral_constantIbLb1EES1C_EEDaS17_S18_EUlS17_E_NS1_11comp_targetILNS1_3genE9ELNS1_11target_archE1100ELNS1_3gpuE3ELNS1_3repE0EEENS1_30default_config_static_selectorELNS0_4arch9wavefront6targetE1EEEvT1_.num_agpr, 0
	.set _ZN7rocprim17ROCPRIM_400000_NS6detail17trampoline_kernelINS0_14default_configENS1_25partition_config_selectorILNS1_17partition_subalgoE8ElNS0_10empty_typeEbEEZZNS1_14partition_implILS5_8ELb0ES3_jPlPS6_PKS6_NS0_5tupleIJS9_S6_EEENSD_IJSA_SA_EEENS0_18inequality_wrapperIZN2at6native12_GLOBAL__N_124unique_dim_cuda_templateIhEESt5tupleIJNSH_6TensorESM_SM_EERKSM_lbbbEUlllE0_EEPmJS6_EEE10hipError_tPvRmT3_T4_T5_T6_T7_T9_mT8_P12ihipStream_tbDpT10_ENKUlT_T0_E_clISt17integral_constantIbLb1EES1C_EEDaS17_S18_EUlS17_E_NS1_11comp_targetILNS1_3genE9ELNS1_11target_archE1100ELNS1_3gpuE3ELNS1_3repE0EEENS1_30default_config_static_selectorELNS0_4arch9wavefront6targetE1EEEvT1_.numbered_sgpr, 0
	.set _ZN7rocprim17ROCPRIM_400000_NS6detail17trampoline_kernelINS0_14default_configENS1_25partition_config_selectorILNS1_17partition_subalgoE8ElNS0_10empty_typeEbEEZZNS1_14partition_implILS5_8ELb0ES3_jPlPS6_PKS6_NS0_5tupleIJS9_S6_EEENSD_IJSA_SA_EEENS0_18inequality_wrapperIZN2at6native12_GLOBAL__N_124unique_dim_cuda_templateIhEESt5tupleIJNSH_6TensorESM_SM_EERKSM_lbbbEUlllE0_EEPmJS6_EEE10hipError_tPvRmT3_T4_T5_T6_T7_T9_mT8_P12ihipStream_tbDpT10_ENKUlT_T0_E_clISt17integral_constantIbLb1EES1C_EEDaS17_S18_EUlS17_E_NS1_11comp_targetILNS1_3genE9ELNS1_11target_archE1100ELNS1_3gpuE3ELNS1_3repE0EEENS1_30default_config_static_selectorELNS0_4arch9wavefront6targetE1EEEvT1_.num_named_barrier, 0
	.set _ZN7rocprim17ROCPRIM_400000_NS6detail17trampoline_kernelINS0_14default_configENS1_25partition_config_selectorILNS1_17partition_subalgoE8ElNS0_10empty_typeEbEEZZNS1_14partition_implILS5_8ELb0ES3_jPlPS6_PKS6_NS0_5tupleIJS9_S6_EEENSD_IJSA_SA_EEENS0_18inequality_wrapperIZN2at6native12_GLOBAL__N_124unique_dim_cuda_templateIhEESt5tupleIJNSH_6TensorESM_SM_EERKSM_lbbbEUlllE0_EEPmJS6_EEE10hipError_tPvRmT3_T4_T5_T6_T7_T9_mT8_P12ihipStream_tbDpT10_ENKUlT_T0_E_clISt17integral_constantIbLb1EES1C_EEDaS17_S18_EUlS17_E_NS1_11comp_targetILNS1_3genE9ELNS1_11target_archE1100ELNS1_3gpuE3ELNS1_3repE0EEENS1_30default_config_static_selectorELNS0_4arch9wavefront6targetE1EEEvT1_.private_seg_size, 0
	.set _ZN7rocprim17ROCPRIM_400000_NS6detail17trampoline_kernelINS0_14default_configENS1_25partition_config_selectorILNS1_17partition_subalgoE8ElNS0_10empty_typeEbEEZZNS1_14partition_implILS5_8ELb0ES3_jPlPS6_PKS6_NS0_5tupleIJS9_S6_EEENSD_IJSA_SA_EEENS0_18inequality_wrapperIZN2at6native12_GLOBAL__N_124unique_dim_cuda_templateIhEESt5tupleIJNSH_6TensorESM_SM_EERKSM_lbbbEUlllE0_EEPmJS6_EEE10hipError_tPvRmT3_T4_T5_T6_T7_T9_mT8_P12ihipStream_tbDpT10_ENKUlT_T0_E_clISt17integral_constantIbLb1EES1C_EEDaS17_S18_EUlS17_E_NS1_11comp_targetILNS1_3genE9ELNS1_11target_archE1100ELNS1_3gpuE3ELNS1_3repE0EEENS1_30default_config_static_selectorELNS0_4arch9wavefront6targetE1EEEvT1_.uses_vcc, 0
	.set _ZN7rocprim17ROCPRIM_400000_NS6detail17trampoline_kernelINS0_14default_configENS1_25partition_config_selectorILNS1_17partition_subalgoE8ElNS0_10empty_typeEbEEZZNS1_14partition_implILS5_8ELb0ES3_jPlPS6_PKS6_NS0_5tupleIJS9_S6_EEENSD_IJSA_SA_EEENS0_18inequality_wrapperIZN2at6native12_GLOBAL__N_124unique_dim_cuda_templateIhEESt5tupleIJNSH_6TensorESM_SM_EERKSM_lbbbEUlllE0_EEPmJS6_EEE10hipError_tPvRmT3_T4_T5_T6_T7_T9_mT8_P12ihipStream_tbDpT10_ENKUlT_T0_E_clISt17integral_constantIbLb1EES1C_EEDaS17_S18_EUlS17_E_NS1_11comp_targetILNS1_3genE9ELNS1_11target_archE1100ELNS1_3gpuE3ELNS1_3repE0EEENS1_30default_config_static_selectorELNS0_4arch9wavefront6targetE1EEEvT1_.uses_flat_scratch, 0
	.set _ZN7rocprim17ROCPRIM_400000_NS6detail17trampoline_kernelINS0_14default_configENS1_25partition_config_selectorILNS1_17partition_subalgoE8ElNS0_10empty_typeEbEEZZNS1_14partition_implILS5_8ELb0ES3_jPlPS6_PKS6_NS0_5tupleIJS9_S6_EEENSD_IJSA_SA_EEENS0_18inequality_wrapperIZN2at6native12_GLOBAL__N_124unique_dim_cuda_templateIhEESt5tupleIJNSH_6TensorESM_SM_EERKSM_lbbbEUlllE0_EEPmJS6_EEE10hipError_tPvRmT3_T4_T5_T6_T7_T9_mT8_P12ihipStream_tbDpT10_ENKUlT_T0_E_clISt17integral_constantIbLb1EES1C_EEDaS17_S18_EUlS17_E_NS1_11comp_targetILNS1_3genE9ELNS1_11target_archE1100ELNS1_3gpuE3ELNS1_3repE0EEENS1_30default_config_static_selectorELNS0_4arch9wavefront6targetE1EEEvT1_.has_dyn_sized_stack, 0
	.set _ZN7rocprim17ROCPRIM_400000_NS6detail17trampoline_kernelINS0_14default_configENS1_25partition_config_selectorILNS1_17partition_subalgoE8ElNS0_10empty_typeEbEEZZNS1_14partition_implILS5_8ELb0ES3_jPlPS6_PKS6_NS0_5tupleIJS9_S6_EEENSD_IJSA_SA_EEENS0_18inequality_wrapperIZN2at6native12_GLOBAL__N_124unique_dim_cuda_templateIhEESt5tupleIJNSH_6TensorESM_SM_EERKSM_lbbbEUlllE0_EEPmJS6_EEE10hipError_tPvRmT3_T4_T5_T6_T7_T9_mT8_P12ihipStream_tbDpT10_ENKUlT_T0_E_clISt17integral_constantIbLb1EES1C_EEDaS17_S18_EUlS17_E_NS1_11comp_targetILNS1_3genE9ELNS1_11target_archE1100ELNS1_3gpuE3ELNS1_3repE0EEENS1_30default_config_static_selectorELNS0_4arch9wavefront6targetE1EEEvT1_.has_recursion, 0
	.set _ZN7rocprim17ROCPRIM_400000_NS6detail17trampoline_kernelINS0_14default_configENS1_25partition_config_selectorILNS1_17partition_subalgoE8ElNS0_10empty_typeEbEEZZNS1_14partition_implILS5_8ELb0ES3_jPlPS6_PKS6_NS0_5tupleIJS9_S6_EEENSD_IJSA_SA_EEENS0_18inequality_wrapperIZN2at6native12_GLOBAL__N_124unique_dim_cuda_templateIhEESt5tupleIJNSH_6TensorESM_SM_EERKSM_lbbbEUlllE0_EEPmJS6_EEE10hipError_tPvRmT3_T4_T5_T6_T7_T9_mT8_P12ihipStream_tbDpT10_ENKUlT_T0_E_clISt17integral_constantIbLb1EES1C_EEDaS17_S18_EUlS17_E_NS1_11comp_targetILNS1_3genE9ELNS1_11target_archE1100ELNS1_3gpuE3ELNS1_3repE0EEENS1_30default_config_static_selectorELNS0_4arch9wavefront6targetE1EEEvT1_.has_indirect_call, 0
	.section	.AMDGPU.csdata,"",@progbits
; Kernel info:
; codeLenInByte = 0
; TotalNumSgprs: 6
; NumVgprs: 0
; NumAgprs: 0
; TotalNumVgprs: 0
; ScratchSize: 0
; MemoryBound: 0
; FloatMode: 240
; IeeeMode: 1
; LDSByteSize: 0 bytes/workgroup (compile time only)
; SGPRBlocks: 0
; VGPRBlocks: 0
; NumSGPRsForWavesPerEU: 6
; NumVGPRsForWavesPerEU: 1
; AccumOffset: 4
; Occupancy: 8
; WaveLimiterHint : 0
; COMPUTE_PGM_RSRC2:SCRATCH_EN: 0
; COMPUTE_PGM_RSRC2:USER_SGPR: 2
; COMPUTE_PGM_RSRC2:TRAP_HANDLER: 0
; COMPUTE_PGM_RSRC2:TGID_X_EN: 1
; COMPUTE_PGM_RSRC2:TGID_Y_EN: 0
; COMPUTE_PGM_RSRC2:TGID_Z_EN: 0
; COMPUTE_PGM_RSRC2:TIDIG_COMP_CNT: 0
; COMPUTE_PGM_RSRC3_GFX90A:ACCUM_OFFSET: 0
; COMPUTE_PGM_RSRC3_GFX90A:TG_SPLIT: 0
	.section	.text._ZN7rocprim17ROCPRIM_400000_NS6detail17trampoline_kernelINS0_14default_configENS1_25partition_config_selectorILNS1_17partition_subalgoE8ElNS0_10empty_typeEbEEZZNS1_14partition_implILS5_8ELb0ES3_jPlPS6_PKS6_NS0_5tupleIJS9_S6_EEENSD_IJSA_SA_EEENS0_18inequality_wrapperIZN2at6native12_GLOBAL__N_124unique_dim_cuda_templateIhEESt5tupleIJNSH_6TensorESM_SM_EERKSM_lbbbEUlllE0_EEPmJS6_EEE10hipError_tPvRmT3_T4_T5_T6_T7_T9_mT8_P12ihipStream_tbDpT10_ENKUlT_T0_E_clISt17integral_constantIbLb1EES1C_EEDaS17_S18_EUlS17_E_NS1_11comp_targetILNS1_3genE8ELNS1_11target_archE1030ELNS1_3gpuE2ELNS1_3repE0EEENS1_30default_config_static_selectorELNS0_4arch9wavefront6targetE1EEEvT1_,"axG",@progbits,_ZN7rocprim17ROCPRIM_400000_NS6detail17trampoline_kernelINS0_14default_configENS1_25partition_config_selectorILNS1_17partition_subalgoE8ElNS0_10empty_typeEbEEZZNS1_14partition_implILS5_8ELb0ES3_jPlPS6_PKS6_NS0_5tupleIJS9_S6_EEENSD_IJSA_SA_EEENS0_18inequality_wrapperIZN2at6native12_GLOBAL__N_124unique_dim_cuda_templateIhEESt5tupleIJNSH_6TensorESM_SM_EERKSM_lbbbEUlllE0_EEPmJS6_EEE10hipError_tPvRmT3_T4_T5_T6_T7_T9_mT8_P12ihipStream_tbDpT10_ENKUlT_T0_E_clISt17integral_constantIbLb1EES1C_EEDaS17_S18_EUlS17_E_NS1_11comp_targetILNS1_3genE8ELNS1_11target_archE1030ELNS1_3gpuE2ELNS1_3repE0EEENS1_30default_config_static_selectorELNS0_4arch9wavefront6targetE1EEEvT1_,comdat
	.globl	_ZN7rocprim17ROCPRIM_400000_NS6detail17trampoline_kernelINS0_14default_configENS1_25partition_config_selectorILNS1_17partition_subalgoE8ElNS0_10empty_typeEbEEZZNS1_14partition_implILS5_8ELb0ES3_jPlPS6_PKS6_NS0_5tupleIJS9_S6_EEENSD_IJSA_SA_EEENS0_18inequality_wrapperIZN2at6native12_GLOBAL__N_124unique_dim_cuda_templateIhEESt5tupleIJNSH_6TensorESM_SM_EERKSM_lbbbEUlllE0_EEPmJS6_EEE10hipError_tPvRmT3_T4_T5_T6_T7_T9_mT8_P12ihipStream_tbDpT10_ENKUlT_T0_E_clISt17integral_constantIbLb1EES1C_EEDaS17_S18_EUlS17_E_NS1_11comp_targetILNS1_3genE8ELNS1_11target_archE1030ELNS1_3gpuE2ELNS1_3repE0EEENS1_30default_config_static_selectorELNS0_4arch9wavefront6targetE1EEEvT1_ ; -- Begin function _ZN7rocprim17ROCPRIM_400000_NS6detail17trampoline_kernelINS0_14default_configENS1_25partition_config_selectorILNS1_17partition_subalgoE8ElNS0_10empty_typeEbEEZZNS1_14partition_implILS5_8ELb0ES3_jPlPS6_PKS6_NS0_5tupleIJS9_S6_EEENSD_IJSA_SA_EEENS0_18inequality_wrapperIZN2at6native12_GLOBAL__N_124unique_dim_cuda_templateIhEESt5tupleIJNSH_6TensorESM_SM_EERKSM_lbbbEUlllE0_EEPmJS6_EEE10hipError_tPvRmT3_T4_T5_T6_T7_T9_mT8_P12ihipStream_tbDpT10_ENKUlT_T0_E_clISt17integral_constantIbLb1EES1C_EEDaS17_S18_EUlS17_E_NS1_11comp_targetILNS1_3genE8ELNS1_11target_archE1030ELNS1_3gpuE2ELNS1_3repE0EEENS1_30default_config_static_selectorELNS0_4arch9wavefront6targetE1EEEvT1_
	.p2align	8
	.type	_ZN7rocprim17ROCPRIM_400000_NS6detail17trampoline_kernelINS0_14default_configENS1_25partition_config_selectorILNS1_17partition_subalgoE8ElNS0_10empty_typeEbEEZZNS1_14partition_implILS5_8ELb0ES3_jPlPS6_PKS6_NS0_5tupleIJS9_S6_EEENSD_IJSA_SA_EEENS0_18inequality_wrapperIZN2at6native12_GLOBAL__N_124unique_dim_cuda_templateIhEESt5tupleIJNSH_6TensorESM_SM_EERKSM_lbbbEUlllE0_EEPmJS6_EEE10hipError_tPvRmT3_T4_T5_T6_T7_T9_mT8_P12ihipStream_tbDpT10_ENKUlT_T0_E_clISt17integral_constantIbLb1EES1C_EEDaS17_S18_EUlS17_E_NS1_11comp_targetILNS1_3genE8ELNS1_11target_archE1030ELNS1_3gpuE2ELNS1_3repE0EEENS1_30default_config_static_selectorELNS0_4arch9wavefront6targetE1EEEvT1_,@function
_ZN7rocprim17ROCPRIM_400000_NS6detail17trampoline_kernelINS0_14default_configENS1_25partition_config_selectorILNS1_17partition_subalgoE8ElNS0_10empty_typeEbEEZZNS1_14partition_implILS5_8ELb0ES3_jPlPS6_PKS6_NS0_5tupleIJS9_S6_EEENSD_IJSA_SA_EEENS0_18inequality_wrapperIZN2at6native12_GLOBAL__N_124unique_dim_cuda_templateIhEESt5tupleIJNSH_6TensorESM_SM_EERKSM_lbbbEUlllE0_EEPmJS6_EEE10hipError_tPvRmT3_T4_T5_T6_T7_T9_mT8_P12ihipStream_tbDpT10_ENKUlT_T0_E_clISt17integral_constantIbLb1EES1C_EEDaS17_S18_EUlS17_E_NS1_11comp_targetILNS1_3genE8ELNS1_11target_archE1030ELNS1_3gpuE2ELNS1_3repE0EEENS1_30default_config_static_selectorELNS0_4arch9wavefront6targetE1EEEvT1_: ; @_ZN7rocprim17ROCPRIM_400000_NS6detail17trampoline_kernelINS0_14default_configENS1_25partition_config_selectorILNS1_17partition_subalgoE8ElNS0_10empty_typeEbEEZZNS1_14partition_implILS5_8ELb0ES3_jPlPS6_PKS6_NS0_5tupleIJS9_S6_EEENSD_IJSA_SA_EEENS0_18inequality_wrapperIZN2at6native12_GLOBAL__N_124unique_dim_cuda_templateIhEESt5tupleIJNSH_6TensorESM_SM_EERKSM_lbbbEUlllE0_EEPmJS6_EEE10hipError_tPvRmT3_T4_T5_T6_T7_T9_mT8_P12ihipStream_tbDpT10_ENKUlT_T0_E_clISt17integral_constantIbLb1EES1C_EEDaS17_S18_EUlS17_E_NS1_11comp_targetILNS1_3genE8ELNS1_11target_archE1030ELNS1_3gpuE2ELNS1_3repE0EEENS1_30default_config_static_selectorELNS0_4arch9wavefront6targetE1EEEvT1_
; %bb.0:
	.section	.rodata,"a",@progbits
	.p2align	6, 0x0
	.amdhsa_kernel _ZN7rocprim17ROCPRIM_400000_NS6detail17trampoline_kernelINS0_14default_configENS1_25partition_config_selectorILNS1_17partition_subalgoE8ElNS0_10empty_typeEbEEZZNS1_14partition_implILS5_8ELb0ES3_jPlPS6_PKS6_NS0_5tupleIJS9_S6_EEENSD_IJSA_SA_EEENS0_18inequality_wrapperIZN2at6native12_GLOBAL__N_124unique_dim_cuda_templateIhEESt5tupleIJNSH_6TensorESM_SM_EERKSM_lbbbEUlllE0_EEPmJS6_EEE10hipError_tPvRmT3_T4_T5_T6_T7_T9_mT8_P12ihipStream_tbDpT10_ENKUlT_T0_E_clISt17integral_constantIbLb1EES1C_EEDaS17_S18_EUlS17_E_NS1_11comp_targetILNS1_3genE8ELNS1_11target_archE1030ELNS1_3gpuE2ELNS1_3repE0EEENS1_30default_config_static_selectorELNS0_4arch9wavefront6targetE1EEEvT1_
		.amdhsa_group_segment_fixed_size 0
		.amdhsa_private_segment_fixed_size 0
		.amdhsa_kernarg_size 136
		.amdhsa_user_sgpr_count 2
		.amdhsa_user_sgpr_dispatch_ptr 0
		.amdhsa_user_sgpr_queue_ptr 0
		.amdhsa_user_sgpr_kernarg_segment_ptr 1
		.amdhsa_user_sgpr_dispatch_id 0
		.amdhsa_user_sgpr_kernarg_preload_length 0
		.amdhsa_user_sgpr_kernarg_preload_offset 0
		.amdhsa_user_sgpr_private_segment_size 0
		.amdhsa_uses_dynamic_stack 0
		.amdhsa_enable_private_segment 0
		.amdhsa_system_sgpr_workgroup_id_x 1
		.amdhsa_system_sgpr_workgroup_id_y 0
		.amdhsa_system_sgpr_workgroup_id_z 0
		.amdhsa_system_sgpr_workgroup_info 0
		.amdhsa_system_vgpr_workitem_id 0
		.amdhsa_next_free_vgpr 1
		.amdhsa_next_free_sgpr 0
		.amdhsa_accum_offset 4
		.amdhsa_reserve_vcc 0
		.amdhsa_float_round_mode_32 0
		.amdhsa_float_round_mode_16_64 0
		.amdhsa_float_denorm_mode_32 3
		.amdhsa_float_denorm_mode_16_64 3
		.amdhsa_dx10_clamp 1
		.amdhsa_ieee_mode 1
		.amdhsa_fp16_overflow 0
		.amdhsa_tg_split 0
		.amdhsa_exception_fp_ieee_invalid_op 0
		.amdhsa_exception_fp_denorm_src 0
		.amdhsa_exception_fp_ieee_div_zero 0
		.amdhsa_exception_fp_ieee_overflow 0
		.amdhsa_exception_fp_ieee_underflow 0
		.amdhsa_exception_fp_ieee_inexact 0
		.amdhsa_exception_int_div_zero 0
	.end_amdhsa_kernel
	.section	.text._ZN7rocprim17ROCPRIM_400000_NS6detail17trampoline_kernelINS0_14default_configENS1_25partition_config_selectorILNS1_17partition_subalgoE8ElNS0_10empty_typeEbEEZZNS1_14partition_implILS5_8ELb0ES3_jPlPS6_PKS6_NS0_5tupleIJS9_S6_EEENSD_IJSA_SA_EEENS0_18inequality_wrapperIZN2at6native12_GLOBAL__N_124unique_dim_cuda_templateIhEESt5tupleIJNSH_6TensorESM_SM_EERKSM_lbbbEUlllE0_EEPmJS6_EEE10hipError_tPvRmT3_T4_T5_T6_T7_T9_mT8_P12ihipStream_tbDpT10_ENKUlT_T0_E_clISt17integral_constantIbLb1EES1C_EEDaS17_S18_EUlS17_E_NS1_11comp_targetILNS1_3genE8ELNS1_11target_archE1030ELNS1_3gpuE2ELNS1_3repE0EEENS1_30default_config_static_selectorELNS0_4arch9wavefront6targetE1EEEvT1_,"axG",@progbits,_ZN7rocprim17ROCPRIM_400000_NS6detail17trampoline_kernelINS0_14default_configENS1_25partition_config_selectorILNS1_17partition_subalgoE8ElNS0_10empty_typeEbEEZZNS1_14partition_implILS5_8ELb0ES3_jPlPS6_PKS6_NS0_5tupleIJS9_S6_EEENSD_IJSA_SA_EEENS0_18inequality_wrapperIZN2at6native12_GLOBAL__N_124unique_dim_cuda_templateIhEESt5tupleIJNSH_6TensorESM_SM_EERKSM_lbbbEUlllE0_EEPmJS6_EEE10hipError_tPvRmT3_T4_T5_T6_T7_T9_mT8_P12ihipStream_tbDpT10_ENKUlT_T0_E_clISt17integral_constantIbLb1EES1C_EEDaS17_S18_EUlS17_E_NS1_11comp_targetILNS1_3genE8ELNS1_11target_archE1030ELNS1_3gpuE2ELNS1_3repE0EEENS1_30default_config_static_selectorELNS0_4arch9wavefront6targetE1EEEvT1_,comdat
.Lfunc_end185:
	.size	_ZN7rocprim17ROCPRIM_400000_NS6detail17trampoline_kernelINS0_14default_configENS1_25partition_config_selectorILNS1_17partition_subalgoE8ElNS0_10empty_typeEbEEZZNS1_14partition_implILS5_8ELb0ES3_jPlPS6_PKS6_NS0_5tupleIJS9_S6_EEENSD_IJSA_SA_EEENS0_18inequality_wrapperIZN2at6native12_GLOBAL__N_124unique_dim_cuda_templateIhEESt5tupleIJNSH_6TensorESM_SM_EERKSM_lbbbEUlllE0_EEPmJS6_EEE10hipError_tPvRmT3_T4_T5_T6_T7_T9_mT8_P12ihipStream_tbDpT10_ENKUlT_T0_E_clISt17integral_constantIbLb1EES1C_EEDaS17_S18_EUlS17_E_NS1_11comp_targetILNS1_3genE8ELNS1_11target_archE1030ELNS1_3gpuE2ELNS1_3repE0EEENS1_30default_config_static_selectorELNS0_4arch9wavefront6targetE1EEEvT1_, .Lfunc_end185-_ZN7rocprim17ROCPRIM_400000_NS6detail17trampoline_kernelINS0_14default_configENS1_25partition_config_selectorILNS1_17partition_subalgoE8ElNS0_10empty_typeEbEEZZNS1_14partition_implILS5_8ELb0ES3_jPlPS6_PKS6_NS0_5tupleIJS9_S6_EEENSD_IJSA_SA_EEENS0_18inequality_wrapperIZN2at6native12_GLOBAL__N_124unique_dim_cuda_templateIhEESt5tupleIJNSH_6TensorESM_SM_EERKSM_lbbbEUlllE0_EEPmJS6_EEE10hipError_tPvRmT3_T4_T5_T6_T7_T9_mT8_P12ihipStream_tbDpT10_ENKUlT_T0_E_clISt17integral_constantIbLb1EES1C_EEDaS17_S18_EUlS17_E_NS1_11comp_targetILNS1_3genE8ELNS1_11target_archE1030ELNS1_3gpuE2ELNS1_3repE0EEENS1_30default_config_static_selectorELNS0_4arch9wavefront6targetE1EEEvT1_
                                        ; -- End function
	.set _ZN7rocprim17ROCPRIM_400000_NS6detail17trampoline_kernelINS0_14default_configENS1_25partition_config_selectorILNS1_17partition_subalgoE8ElNS0_10empty_typeEbEEZZNS1_14partition_implILS5_8ELb0ES3_jPlPS6_PKS6_NS0_5tupleIJS9_S6_EEENSD_IJSA_SA_EEENS0_18inequality_wrapperIZN2at6native12_GLOBAL__N_124unique_dim_cuda_templateIhEESt5tupleIJNSH_6TensorESM_SM_EERKSM_lbbbEUlllE0_EEPmJS6_EEE10hipError_tPvRmT3_T4_T5_T6_T7_T9_mT8_P12ihipStream_tbDpT10_ENKUlT_T0_E_clISt17integral_constantIbLb1EES1C_EEDaS17_S18_EUlS17_E_NS1_11comp_targetILNS1_3genE8ELNS1_11target_archE1030ELNS1_3gpuE2ELNS1_3repE0EEENS1_30default_config_static_selectorELNS0_4arch9wavefront6targetE1EEEvT1_.num_vgpr, 0
	.set _ZN7rocprim17ROCPRIM_400000_NS6detail17trampoline_kernelINS0_14default_configENS1_25partition_config_selectorILNS1_17partition_subalgoE8ElNS0_10empty_typeEbEEZZNS1_14partition_implILS5_8ELb0ES3_jPlPS6_PKS6_NS0_5tupleIJS9_S6_EEENSD_IJSA_SA_EEENS0_18inequality_wrapperIZN2at6native12_GLOBAL__N_124unique_dim_cuda_templateIhEESt5tupleIJNSH_6TensorESM_SM_EERKSM_lbbbEUlllE0_EEPmJS6_EEE10hipError_tPvRmT3_T4_T5_T6_T7_T9_mT8_P12ihipStream_tbDpT10_ENKUlT_T0_E_clISt17integral_constantIbLb1EES1C_EEDaS17_S18_EUlS17_E_NS1_11comp_targetILNS1_3genE8ELNS1_11target_archE1030ELNS1_3gpuE2ELNS1_3repE0EEENS1_30default_config_static_selectorELNS0_4arch9wavefront6targetE1EEEvT1_.num_agpr, 0
	.set _ZN7rocprim17ROCPRIM_400000_NS6detail17trampoline_kernelINS0_14default_configENS1_25partition_config_selectorILNS1_17partition_subalgoE8ElNS0_10empty_typeEbEEZZNS1_14partition_implILS5_8ELb0ES3_jPlPS6_PKS6_NS0_5tupleIJS9_S6_EEENSD_IJSA_SA_EEENS0_18inequality_wrapperIZN2at6native12_GLOBAL__N_124unique_dim_cuda_templateIhEESt5tupleIJNSH_6TensorESM_SM_EERKSM_lbbbEUlllE0_EEPmJS6_EEE10hipError_tPvRmT3_T4_T5_T6_T7_T9_mT8_P12ihipStream_tbDpT10_ENKUlT_T0_E_clISt17integral_constantIbLb1EES1C_EEDaS17_S18_EUlS17_E_NS1_11comp_targetILNS1_3genE8ELNS1_11target_archE1030ELNS1_3gpuE2ELNS1_3repE0EEENS1_30default_config_static_selectorELNS0_4arch9wavefront6targetE1EEEvT1_.numbered_sgpr, 0
	.set _ZN7rocprim17ROCPRIM_400000_NS6detail17trampoline_kernelINS0_14default_configENS1_25partition_config_selectorILNS1_17partition_subalgoE8ElNS0_10empty_typeEbEEZZNS1_14partition_implILS5_8ELb0ES3_jPlPS6_PKS6_NS0_5tupleIJS9_S6_EEENSD_IJSA_SA_EEENS0_18inequality_wrapperIZN2at6native12_GLOBAL__N_124unique_dim_cuda_templateIhEESt5tupleIJNSH_6TensorESM_SM_EERKSM_lbbbEUlllE0_EEPmJS6_EEE10hipError_tPvRmT3_T4_T5_T6_T7_T9_mT8_P12ihipStream_tbDpT10_ENKUlT_T0_E_clISt17integral_constantIbLb1EES1C_EEDaS17_S18_EUlS17_E_NS1_11comp_targetILNS1_3genE8ELNS1_11target_archE1030ELNS1_3gpuE2ELNS1_3repE0EEENS1_30default_config_static_selectorELNS0_4arch9wavefront6targetE1EEEvT1_.num_named_barrier, 0
	.set _ZN7rocprim17ROCPRIM_400000_NS6detail17trampoline_kernelINS0_14default_configENS1_25partition_config_selectorILNS1_17partition_subalgoE8ElNS0_10empty_typeEbEEZZNS1_14partition_implILS5_8ELb0ES3_jPlPS6_PKS6_NS0_5tupleIJS9_S6_EEENSD_IJSA_SA_EEENS0_18inequality_wrapperIZN2at6native12_GLOBAL__N_124unique_dim_cuda_templateIhEESt5tupleIJNSH_6TensorESM_SM_EERKSM_lbbbEUlllE0_EEPmJS6_EEE10hipError_tPvRmT3_T4_T5_T6_T7_T9_mT8_P12ihipStream_tbDpT10_ENKUlT_T0_E_clISt17integral_constantIbLb1EES1C_EEDaS17_S18_EUlS17_E_NS1_11comp_targetILNS1_3genE8ELNS1_11target_archE1030ELNS1_3gpuE2ELNS1_3repE0EEENS1_30default_config_static_selectorELNS0_4arch9wavefront6targetE1EEEvT1_.private_seg_size, 0
	.set _ZN7rocprim17ROCPRIM_400000_NS6detail17trampoline_kernelINS0_14default_configENS1_25partition_config_selectorILNS1_17partition_subalgoE8ElNS0_10empty_typeEbEEZZNS1_14partition_implILS5_8ELb0ES3_jPlPS6_PKS6_NS0_5tupleIJS9_S6_EEENSD_IJSA_SA_EEENS0_18inequality_wrapperIZN2at6native12_GLOBAL__N_124unique_dim_cuda_templateIhEESt5tupleIJNSH_6TensorESM_SM_EERKSM_lbbbEUlllE0_EEPmJS6_EEE10hipError_tPvRmT3_T4_T5_T6_T7_T9_mT8_P12ihipStream_tbDpT10_ENKUlT_T0_E_clISt17integral_constantIbLb1EES1C_EEDaS17_S18_EUlS17_E_NS1_11comp_targetILNS1_3genE8ELNS1_11target_archE1030ELNS1_3gpuE2ELNS1_3repE0EEENS1_30default_config_static_selectorELNS0_4arch9wavefront6targetE1EEEvT1_.uses_vcc, 0
	.set _ZN7rocprim17ROCPRIM_400000_NS6detail17trampoline_kernelINS0_14default_configENS1_25partition_config_selectorILNS1_17partition_subalgoE8ElNS0_10empty_typeEbEEZZNS1_14partition_implILS5_8ELb0ES3_jPlPS6_PKS6_NS0_5tupleIJS9_S6_EEENSD_IJSA_SA_EEENS0_18inequality_wrapperIZN2at6native12_GLOBAL__N_124unique_dim_cuda_templateIhEESt5tupleIJNSH_6TensorESM_SM_EERKSM_lbbbEUlllE0_EEPmJS6_EEE10hipError_tPvRmT3_T4_T5_T6_T7_T9_mT8_P12ihipStream_tbDpT10_ENKUlT_T0_E_clISt17integral_constantIbLb1EES1C_EEDaS17_S18_EUlS17_E_NS1_11comp_targetILNS1_3genE8ELNS1_11target_archE1030ELNS1_3gpuE2ELNS1_3repE0EEENS1_30default_config_static_selectorELNS0_4arch9wavefront6targetE1EEEvT1_.uses_flat_scratch, 0
	.set _ZN7rocprim17ROCPRIM_400000_NS6detail17trampoline_kernelINS0_14default_configENS1_25partition_config_selectorILNS1_17partition_subalgoE8ElNS0_10empty_typeEbEEZZNS1_14partition_implILS5_8ELb0ES3_jPlPS6_PKS6_NS0_5tupleIJS9_S6_EEENSD_IJSA_SA_EEENS0_18inequality_wrapperIZN2at6native12_GLOBAL__N_124unique_dim_cuda_templateIhEESt5tupleIJNSH_6TensorESM_SM_EERKSM_lbbbEUlllE0_EEPmJS6_EEE10hipError_tPvRmT3_T4_T5_T6_T7_T9_mT8_P12ihipStream_tbDpT10_ENKUlT_T0_E_clISt17integral_constantIbLb1EES1C_EEDaS17_S18_EUlS17_E_NS1_11comp_targetILNS1_3genE8ELNS1_11target_archE1030ELNS1_3gpuE2ELNS1_3repE0EEENS1_30default_config_static_selectorELNS0_4arch9wavefront6targetE1EEEvT1_.has_dyn_sized_stack, 0
	.set _ZN7rocprim17ROCPRIM_400000_NS6detail17trampoline_kernelINS0_14default_configENS1_25partition_config_selectorILNS1_17partition_subalgoE8ElNS0_10empty_typeEbEEZZNS1_14partition_implILS5_8ELb0ES3_jPlPS6_PKS6_NS0_5tupleIJS9_S6_EEENSD_IJSA_SA_EEENS0_18inequality_wrapperIZN2at6native12_GLOBAL__N_124unique_dim_cuda_templateIhEESt5tupleIJNSH_6TensorESM_SM_EERKSM_lbbbEUlllE0_EEPmJS6_EEE10hipError_tPvRmT3_T4_T5_T6_T7_T9_mT8_P12ihipStream_tbDpT10_ENKUlT_T0_E_clISt17integral_constantIbLb1EES1C_EEDaS17_S18_EUlS17_E_NS1_11comp_targetILNS1_3genE8ELNS1_11target_archE1030ELNS1_3gpuE2ELNS1_3repE0EEENS1_30default_config_static_selectorELNS0_4arch9wavefront6targetE1EEEvT1_.has_recursion, 0
	.set _ZN7rocprim17ROCPRIM_400000_NS6detail17trampoline_kernelINS0_14default_configENS1_25partition_config_selectorILNS1_17partition_subalgoE8ElNS0_10empty_typeEbEEZZNS1_14partition_implILS5_8ELb0ES3_jPlPS6_PKS6_NS0_5tupleIJS9_S6_EEENSD_IJSA_SA_EEENS0_18inequality_wrapperIZN2at6native12_GLOBAL__N_124unique_dim_cuda_templateIhEESt5tupleIJNSH_6TensorESM_SM_EERKSM_lbbbEUlllE0_EEPmJS6_EEE10hipError_tPvRmT3_T4_T5_T6_T7_T9_mT8_P12ihipStream_tbDpT10_ENKUlT_T0_E_clISt17integral_constantIbLb1EES1C_EEDaS17_S18_EUlS17_E_NS1_11comp_targetILNS1_3genE8ELNS1_11target_archE1030ELNS1_3gpuE2ELNS1_3repE0EEENS1_30default_config_static_selectorELNS0_4arch9wavefront6targetE1EEEvT1_.has_indirect_call, 0
	.section	.AMDGPU.csdata,"",@progbits
; Kernel info:
; codeLenInByte = 0
; TotalNumSgprs: 6
; NumVgprs: 0
; NumAgprs: 0
; TotalNumVgprs: 0
; ScratchSize: 0
; MemoryBound: 0
; FloatMode: 240
; IeeeMode: 1
; LDSByteSize: 0 bytes/workgroup (compile time only)
; SGPRBlocks: 0
; VGPRBlocks: 0
; NumSGPRsForWavesPerEU: 6
; NumVGPRsForWavesPerEU: 1
; AccumOffset: 4
; Occupancy: 8
; WaveLimiterHint : 0
; COMPUTE_PGM_RSRC2:SCRATCH_EN: 0
; COMPUTE_PGM_RSRC2:USER_SGPR: 2
; COMPUTE_PGM_RSRC2:TRAP_HANDLER: 0
; COMPUTE_PGM_RSRC2:TGID_X_EN: 1
; COMPUTE_PGM_RSRC2:TGID_Y_EN: 0
; COMPUTE_PGM_RSRC2:TGID_Z_EN: 0
; COMPUTE_PGM_RSRC2:TIDIG_COMP_CNT: 0
; COMPUTE_PGM_RSRC3_GFX90A:ACCUM_OFFSET: 0
; COMPUTE_PGM_RSRC3_GFX90A:TG_SPLIT: 0
	.section	.text._ZN7rocprim17ROCPRIM_400000_NS6detail31init_lookback_scan_state_kernelINS1_19lookback_scan_stateIjLb1ELb1EEENS1_16block_id_wrapperIjLb0EEEEEvT_jT0_jPNS7_10value_typeE,"axG",@progbits,_ZN7rocprim17ROCPRIM_400000_NS6detail31init_lookback_scan_state_kernelINS1_19lookback_scan_stateIjLb1ELb1EEENS1_16block_id_wrapperIjLb0EEEEEvT_jT0_jPNS7_10value_typeE,comdat
	.protected	_ZN7rocprim17ROCPRIM_400000_NS6detail31init_lookback_scan_state_kernelINS1_19lookback_scan_stateIjLb1ELb1EEENS1_16block_id_wrapperIjLb0EEEEEvT_jT0_jPNS7_10value_typeE ; -- Begin function _ZN7rocprim17ROCPRIM_400000_NS6detail31init_lookback_scan_state_kernelINS1_19lookback_scan_stateIjLb1ELb1EEENS1_16block_id_wrapperIjLb0EEEEEvT_jT0_jPNS7_10value_typeE
	.globl	_ZN7rocprim17ROCPRIM_400000_NS6detail31init_lookback_scan_state_kernelINS1_19lookback_scan_stateIjLb1ELb1EEENS1_16block_id_wrapperIjLb0EEEEEvT_jT0_jPNS7_10value_typeE
	.p2align	8
	.type	_ZN7rocprim17ROCPRIM_400000_NS6detail31init_lookback_scan_state_kernelINS1_19lookback_scan_stateIjLb1ELb1EEENS1_16block_id_wrapperIjLb0EEEEEvT_jT0_jPNS7_10value_typeE,@function
_ZN7rocprim17ROCPRIM_400000_NS6detail31init_lookback_scan_state_kernelINS1_19lookback_scan_stateIjLb1ELb1EEENS1_16block_id_wrapperIjLb0EEEEEvT_jT0_jPNS7_10value_typeE: ; @_ZN7rocprim17ROCPRIM_400000_NS6detail31init_lookback_scan_state_kernelINS1_19lookback_scan_stateIjLb1ELb1EEENS1_16block_id_wrapperIjLb0EEEEEvT_jT0_jPNS7_10value_typeE
; %bb.0:
	s_load_dword s3, s[0:1], 0x2c
	s_load_dwordx2 s[6:7], s[0:1], 0x18
	s_load_dwordx2 s[4:5], s[0:1], 0x0
	s_load_dword s8, s[0:1], 0x8
	s_waitcnt lgkmcnt(0)
	s_and_b32 s3, s3, 0xffff
	s_mul_i32 s2, s2, s3
	s_cmp_eq_u64 s[6:7], 0
	v_add_u32_e32 v0, s2, v0
	s_cbranch_scc1 .LBB186_9
; %bb.1:
	s_load_dword s2, s[0:1], 0x10
	s_mov_b32 s3, 0
	s_waitcnt lgkmcnt(0)
	s_cmp_lt_u32 s2, s8
	s_cselect_b32 s0, s2, 0
	v_cmp_eq_u32_e32 vcc, s0, v0
	s_and_saveexec_b64 s[0:1], vcc
	s_cbranch_execz .LBB186_8
; %bb.2:
	s_add_i32 s2, s2, 64
	s_lshl_b64 s[2:3], s[2:3], 3
	s_add_u32 s2, s4, s2
	s_addc_u32 s3, s5, s3
	v_mov_b32_e32 v2, 0
	global_load_dwordx2 v[4:5], v2, s[2:3] sc1
	s_waitcnt vmcnt(0)
	v_and_b32_e32 v3, 0xff, v5
	v_cmp_ne_u64_e32 vcc, 0, v[2:3]
	s_cbranch_vccnz .LBB186_7
; %bb.3:
	s_mov_b32 s9, 1
.LBB186_4:                              ; =>This Loop Header: Depth=1
                                        ;     Child Loop BB186_5 Depth 2
	s_mov_b32 s10, s9
.LBB186_5:                              ;   Parent Loop BB186_4 Depth=1
                                        ; =>  This Inner Loop Header: Depth=2
	s_add_i32 s10, s10, -1
	s_cmp_eq_u32 s10, 0
	s_sleep 1
	s_cbranch_scc0 .LBB186_5
; %bb.6:                                ;   in Loop: Header=BB186_4 Depth=1
	global_load_dwordx2 v[4:5], v2, s[2:3] sc1
	s_cmp_lt_u32 s9, 32
	s_cselect_b64 s[10:11], -1, 0
	s_cmp_lg_u64 s[10:11], 0
	s_addc_u32 s9, s9, 0
	s_waitcnt vmcnt(0)
	v_and_b32_e32 v3, 0xff, v5
	v_cmp_ne_u64_e32 vcc, 0, v[2:3]
	s_cbranch_vccz .LBB186_4
.LBB186_7:
	v_mov_b32_e32 v1, 0
	global_store_dword v1, v4, s[6:7]
.LBB186_8:
	s_or_b64 exec, exec, s[0:1]
.LBB186_9:
	v_cmp_gt_u32_e32 vcc, s8, v0
	s_and_saveexec_b64 s[0:1], vcc
	s_cbranch_execnz .LBB186_12
; %bb.10:
	s_or_b64 exec, exec, s[0:1]
	v_cmp_gt_u32_e32 vcc, 64, v0
	s_and_saveexec_b64 s[0:1], vcc
	s_cbranch_execnz .LBB186_13
.LBB186_11:
	s_endpgm
.LBB186_12:
	v_add_u32_e32 v2, 64, v0
	v_mov_b32_e32 v3, 0
	v_lshl_add_u64 v[4:5], v[2:3], 3, s[4:5]
	v_mov_b32_e32 v2, v3
	global_store_dwordx2 v[4:5], v[2:3], off
	s_or_b64 exec, exec, s[0:1]
	v_cmp_gt_u32_e32 vcc, 64, v0
	s_and_saveexec_b64 s[0:1], vcc
	s_cbranch_execz .LBB186_11
.LBB186_13:
	v_mov_b32_e32 v1, 0
	v_lshl_add_u64 v[2:3], v[0:1], 3, s[4:5]
	v_mov_b32_e32 v5, 0xff
	v_mov_b32_e32 v4, v1
	global_store_dwordx2 v[2:3], v[4:5], off
	s_endpgm
	.section	.rodata,"a",@progbits
	.p2align	6, 0x0
	.amdhsa_kernel _ZN7rocprim17ROCPRIM_400000_NS6detail31init_lookback_scan_state_kernelINS1_19lookback_scan_stateIjLb1ELb1EEENS1_16block_id_wrapperIjLb0EEEEEvT_jT0_jPNS7_10value_typeE
		.amdhsa_group_segment_fixed_size 0
		.amdhsa_private_segment_fixed_size 0
		.amdhsa_kernarg_size 288
		.amdhsa_user_sgpr_count 2
		.amdhsa_user_sgpr_dispatch_ptr 0
		.amdhsa_user_sgpr_queue_ptr 0
		.amdhsa_user_sgpr_kernarg_segment_ptr 1
		.amdhsa_user_sgpr_dispatch_id 0
		.amdhsa_user_sgpr_kernarg_preload_length 0
		.amdhsa_user_sgpr_kernarg_preload_offset 0
		.amdhsa_user_sgpr_private_segment_size 0
		.amdhsa_uses_dynamic_stack 0
		.amdhsa_enable_private_segment 0
		.amdhsa_system_sgpr_workgroup_id_x 1
		.amdhsa_system_sgpr_workgroup_id_y 0
		.amdhsa_system_sgpr_workgroup_id_z 0
		.amdhsa_system_sgpr_workgroup_info 0
		.amdhsa_system_vgpr_workitem_id 0
		.amdhsa_next_free_vgpr 6
		.amdhsa_next_free_sgpr 12
		.amdhsa_accum_offset 8
		.amdhsa_reserve_vcc 1
		.amdhsa_float_round_mode_32 0
		.amdhsa_float_round_mode_16_64 0
		.amdhsa_float_denorm_mode_32 3
		.amdhsa_float_denorm_mode_16_64 3
		.amdhsa_dx10_clamp 1
		.amdhsa_ieee_mode 1
		.amdhsa_fp16_overflow 0
		.amdhsa_tg_split 0
		.amdhsa_exception_fp_ieee_invalid_op 0
		.amdhsa_exception_fp_denorm_src 0
		.amdhsa_exception_fp_ieee_div_zero 0
		.amdhsa_exception_fp_ieee_overflow 0
		.amdhsa_exception_fp_ieee_underflow 0
		.amdhsa_exception_fp_ieee_inexact 0
		.amdhsa_exception_int_div_zero 0
	.end_amdhsa_kernel
	.section	.text._ZN7rocprim17ROCPRIM_400000_NS6detail31init_lookback_scan_state_kernelINS1_19lookback_scan_stateIjLb1ELb1EEENS1_16block_id_wrapperIjLb0EEEEEvT_jT0_jPNS7_10value_typeE,"axG",@progbits,_ZN7rocprim17ROCPRIM_400000_NS6detail31init_lookback_scan_state_kernelINS1_19lookback_scan_stateIjLb1ELb1EEENS1_16block_id_wrapperIjLb0EEEEEvT_jT0_jPNS7_10value_typeE,comdat
.Lfunc_end186:
	.size	_ZN7rocprim17ROCPRIM_400000_NS6detail31init_lookback_scan_state_kernelINS1_19lookback_scan_stateIjLb1ELb1EEENS1_16block_id_wrapperIjLb0EEEEEvT_jT0_jPNS7_10value_typeE, .Lfunc_end186-_ZN7rocprim17ROCPRIM_400000_NS6detail31init_lookback_scan_state_kernelINS1_19lookback_scan_stateIjLb1ELb1EEENS1_16block_id_wrapperIjLb0EEEEEvT_jT0_jPNS7_10value_typeE
                                        ; -- End function
	.set _ZN7rocprim17ROCPRIM_400000_NS6detail31init_lookback_scan_state_kernelINS1_19lookback_scan_stateIjLb1ELb1EEENS1_16block_id_wrapperIjLb0EEEEEvT_jT0_jPNS7_10value_typeE.num_vgpr, 6
	.set _ZN7rocprim17ROCPRIM_400000_NS6detail31init_lookback_scan_state_kernelINS1_19lookback_scan_stateIjLb1ELb1EEENS1_16block_id_wrapperIjLb0EEEEEvT_jT0_jPNS7_10value_typeE.num_agpr, 0
	.set _ZN7rocprim17ROCPRIM_400000_NS6detail31init_lookback_scan_state_kernelINS1_19lookback_scan_stateIjLb1ELb1EEENS1_16block_id_wrapperIjLb0EEEEEvT_jT0_jPNS7_10value_typeE.numbered_sgpr, 12
	.set _ZN7rocprim17ROCPRIM_400000_NS6detail31init_lookback_scan_state_kernelINS1_19lookback_scan_stateIjLb1ELb1EEENS1_16block_id_wrapperIjLb0EEEEEvT_jT0_jPNS7_10value_typeE.num_named_barrier, 0
	.set _ZN7rocprim17ROCPRIM_400000_NS6detail31init_lookback_scan_state_kernelINS1_19lookback_scan_stateIjLb1ELb1EEENS1_16block_id_wrapperIjLb0EEEEEvT_jT0_jPNS7_10value_typeE.private_seg_size, 0
	.set _ZN7rocprim17ROCPRIM_400000_NS6detail31init_lookback_scan_state_kernelINS1_19lookback_scan_stateIjLb1ELb1EEENS1_16block_id_wrapperIjLb0EEEEEvT_jT0_jPNS7_10value_typeE.uses_vcc, 1
	.set _ZN7rocprim17ROCPRIM_400000_NS6detail31init_lookback_scan_state_kernelINS1_19lookback_scan_stateIjLb1ELb1EEENS1_16block_id_wrapperIjLb0EEEEEvT_jT0_jPNS7_10value_typeE.uses_flat_scratch, 0
	.set _ZN7rocprim17ROCPRIM_400000_NS6detail31init_lookback_scan_state_kernelINS1_19lookback_scan_stateIjLb1ELb1EEENS1_16block_id_wrapperIjLb0EEEEEvT_jT0_jPNS7_10value_typeE.has_dyn_sized_stack, 0
	.set _ZN7rocprim17ROCPRIM_400000_NS6detail31init_lookback_scan_state_kernelINS1_19lookback_scan_stateIjLb1ELb1EEENS1_16block_id_wrapperIjLb0EEEEEvT_jT0_jPNS7_10value_typeE.has_recursion, 0
	.set _ZN7rocprim17ROCPRIM_400000_NS6detail31init_lookback_scan_state_kernelINS1_19lookback_scan_stateIjLb1ELb1EEENS1_16block_id_wrapperIjLb0EEEEEvT_jT0_jPNS7_10value_typeE.has_indirect_call, 0
	.section	.AMDGPU.csdata,"",@progbits
; Kernel info:
; codeLenInByte = 340
; TotalNumSgprs: 18
; NumVgprs: 6
; NumAgprs: 0
; TotalNumVgprs: 6
; ScratchSize: 0
; MemoryBound: 0
; FloatMode: 240
; IeeeMode: 1
; LDSByteSize: 0 bytes/workgroup (compile time only)
; SGPRBlocks: 2
; VGPRBlocks: 0
; NumSGPRsForWavesPerEU: 18
; NumVGPRsForWavesPerEU: 6
; AccumOffset: 8
; Occupancy: 8
; WaveLimiterHint : 0
; COMPUTE_PGM_RSRC2:SCRATCH_EN: 0
; COMPUTE_PGM_RSRC2:USER_SGPR: 2
; COMPUTE_PGM_RSRC2:TRAP_HANDLER: 0
; COMPUTE_PGM_RSRC2:TGID_X_EN: 1
; COMPUTE_PGM_RSRC2:TGID_Y_EN: 0
; COMPUTE_PGM_RSRC2:TGID_Z_EN: 0
; COMPUTE_PGM_RSRC2:TIDIG_COMP_CNT: 0
; COMPUTE_PGM_RSRC3_GFX90A:ACCUM_OFFSET: 1
; COMPUTE_PGM_RSRC3_GFX90A:TG_SPLIT: 0
	.section	.text._ZN7rocprim17ROCPRIM_400000_NS6detail17trampoline_kernelINS0_14default_configENS1_25partition_config_selectorILNS1_17partition_subalgoE8ElNS0_10empty_typeEbEEZZNS1_14partition_implILS5_8ELb0ES3_jPlPS6_PKS6_NS0_5tupleIJS9_S6_EEENSD_IJSA_SA_EEENS0_18inequality_wrapperIZN2at6native12_GLOBAL__N_124unique_dim_cuda_templateIhEESt5tupleIJNSH_6TensorESM_SM_EERKSM_lbbbEUlllE0_EEPmJS6_EEE10hipError_tPvRmT3_T4_T5_T6_T7_T9_mT8_P12ihipStream_tbDpT10_ENKUlT_T0_E_clISt17integral_constantIbLb1EES1B_IbLb0EEEEDaS17_S18_EUlS17_E_NS1_11comp_targetILNS1_3genE0ELNS1_11target_archE4294967295ELNS1_3gpuE0ELNS1_3repE0EEENS1_30default_config_static_selectorELNS0_4arch9wavefront6targetE1EEEvT1_,"axG",@progbits,_ZN7rocprim17ROCPRIM_400000_NS6detail17trampoline_kernelINS0_14default_configENS1_25partition_config_selectorILNS1_17partition_subalgoE8ElNS0_10empty_typeEbEEZZNS1_14partition_implILS5_8ELb0ES3_jPlPS6_PKS6_NS0_5tupleIJS9_S6_EEENSD_IJSA_SA_EEENS0_18inequality_wrapperIZN2at6native12_GLOBAL__N_124unique_dim_cuda_templateIhEESt5tupleIJNSH_6TensorESM_SM_EERKSM_lbbbEUlllE0_EEPmJS6_EEE10hipError_tPvRmT3_T4_T5_T6_T7_T9_mT8_P12ihipStream_tbDpT10_ENKUlT_T0_E_clISt17integral_constantIbLb1EES1B_IbLb0EEEEDaS17_S18_EUlS17_E_NS1_11comp_targetILNS1_3genE0ELNS1_11target_archE4294967295ELNS1_3gpuE0ELNS1_3repE0EEENS1_30default_config_static_selectorELNS0_4arch9wavefront6targetE1EEEvT1_,comdat
	.globl	_ZN7rocprim17ROCPRIM_400000_NS6detail17trampoline_kernelINS0_14default_configENS1_25partition_config_selectorILNS1_17partition_subalgoE8ElNS0_10empty_typeEbEEZZNS1_14partition_implILS5_8ELb0ES3_jPlPS6_PKS6_NS0_5tupleIJS9_S6_EEENSD_IJSA_SA_EEENS0_18inequality_wrapperIZN2at6native12_GLOBAL__N_124unique_dim_cuda_templateIhEESt5tupleIJNSH_6TensorESM_SM_EERKSM_lbbbEUlllE0_EEPmJS6_EEE10hipError_tPvRmT3_T4_T5_T6_T7_T9_mT8_P12ihipStream_tbDpT10_ENKUlT_T0_E_clISt17integral_constantIbLb1EES1B_IbLb0EEEEDaS17_S18_EUlS17_E_NS1_11comp_targetILNS1_3genE0ELNS1_11target_archE4294967295ELNS1_3gpuE0ELNS1_3repE0EEENS1_30default_config_static_selectorELNS0_4arch9wavefront6targetE1EEEvT1_ ; -- Begin function _ZN7rocprim17ROCPRIM_400000_NS6detail17trampoline_kernelINS0_14default_configENS1_25partition_config_selectorILNS1_17partition_subalgoE8ElNS0_10empty_typeEbEEZZNS1_14partition_implILS5_8ELb0ES3_jPlPS6_PKS6_NS0_5tupleIJS9_S6_EEENSD_IJSA_SA_EEENS0_18inequality_wrapperIZN2at6native12_GLOBAL__N_124unique_dim_cuda_templateIhEESt5tupleIJNSH_6TensorESM_SM_EERKSM_lbbbEUlllE0_EEPmJS6_EEE10hipError_tPvRmT3_T4_T5_T6_T7_T9_mT8_P12ihipStream_tbDpT10_ENKUlT_T0_E_clISt17integral_constantIbLb1EES1B_IbLb0EEEEDaS17_S18_EUlS17_E_NS1_11comp_targetILNS1_3genE0ELNS1_11target_archE4294967295ELNS1_3gpuE0ELNS1_3repE0EEENS1_30default_config_static_selectorELNS0_4arch9wavefront6targetE1EEEvT1_
	.p2align	8
	.type	_ZN7rocprim17ROCPRIM_400000_NS6detail17trampoline_kernelINS0_14default_configENS1_25partition_config_selectorILNS1_17partition_subalgoE8ElNS0_10empty_typeEbEEZZNS1_14partition_implILS5_8ELb0ES3_jPlPS6_PKS6_NS0_5tupleIJS9_S6_EEENSD_IJSA_SA_EEENS0_18inequality_wrapperIZN2at6native12_GLOBAL__N_124unique_dim_cuda_templateIhEESt5tupleIJNSH_6TensorESM_SM_EERKSM_lbbbEUlllE0_EEPmJS6_EEE10hipError_tPvRmT3_T4_T5_T6_T7_T9_mT8_P12ihipStream_tbDpT10_ENKUlT_T0_E_clISt17integral_constantIbLb1EES1B_IbLb0EEEEDaS17_S18_EUlS17_E_NS1_11comp_targetILNS1_3genE0ELNS1_11target_archE4294967295ELNS1_3gpuE0ELNS1_3repE0EEENS1_30default_config_static_selectorELNS0_4arch9wavefront6targetE1EEEvT1_,@function
_ZN7rocprim17ROCPRIM_400000_NS6detail17trampoline_kernelINS0_14default_configENS1_25partition_config_selectorILNS1_17partition_subalgoE8ElNS0_10empty_typeEbEEZZNS1_14partition_implILS5_8ELb0ES3_jPlPS6_PKS6_NS0_5tupleIJS9_S6_EEENSD_IJSA_SA_EEENS0_18inequality_wrapperIZN2at6native12_GLOBAL__N_124unique_dim_cuda_templateIhEESt5tupleIJNSH_6TensorESM_SM_EERKSM_lbbbEUlllE0_EEPmJS6_EEE10hipError_tPvRmT3_T4_T5_T6_T7_T9_mT8_P12ihipStream_tbDpT10_ENKUlT_T0_E_clISt17integral_constantIbLb1EES1B_IbLb0EEEEDaS17_S18_EUlS17_E_NS1_11comp_targetILNS1_3genE0ELNS1_11target_archE4294967295ELNS1_3gpuE0ELNS1_3repE0EEENS1_30default_config_static_selectorELNS0_4arch9wavefront6targetE1EEEvT1_: ; @_ZN7rocprim17ROCPRIM_400000_NS6detail17trampoline_kernelINS0_14default_configENS1_25partition_config_selectorILNS1_17partition_subalgoE8ElNS0_10empty_typeEbEEZZNS1_14partition_implILS5_8ELb0ES3_jPlPS6_PKS6_NS0_5tupleIJS9_S6_EEENSD_IJSA_SA_EEENS0_18inequality_wrapperIZN2at6native12_GLOBAL__N_124unique_dim_cuda_templateIhEESt5tupleIJNSH_6TensorESM_SM_EERKSM_lbbbEUlllE0_EEPmJS6_EEE10hipError_tPvRmT3_T4_T5_T6_T7_T9_mT8_P12ihipStream_tbDpT10_ENKUlT_T0_E_clISt17integral_constantIbLb1EES1B_IbLb0EEEEDaS17_S18_EUlS17_E_NS1_11comp_targetILNS1_3genE0ELNS1_11target_archE4294967295ELNS1_3gpuE0ELNS1_3repE0EEENS1_30default_config_static_selectorELNS0_4arch9wavefront6targetE1EEEvT1_
; %bb.0:
	s_endpgm
	.section	.rodata,"a",@progbits
	.p2align	6, 0x0
	.amdhsa_kernel _ZN7rocprim17ROCPRIM_400000_NS6detail17trampoline_kernelINS0_14default_configENS1_25partition_config_selectorILNS1_17partition_subalgoE8ElNS0_10empty_typeEbEEZZNS1_14partition_implILS5_8ELb0ES3_jPlPS6_PKS6_NS0_5tupleIJS9_S6_EEENSD_IJSA_SA_EEENS0_18inequality_wrapperIZN2at6native12_GLOBAL__N_124unique_dim_cuda_templateIhEESt5tupleIJNSH_6TensorESM_SM_EERKSM_lbbbEUlllE0_EEPmJS6_EEE10hipError_tPvRmT3_T4_T5_T6_T7_T9_mT8_P12ihipStream_tbDpT10_ENKUlT_T0_E_clISt17integral_constantIbLb1EES1B_IbLb0EEEEDaS17_S18_EUlS17_E_NS1_11comp_targetILNS1_3genE0ELNS1_11target_archE4294967295ELNS1_3gpuE0ELNS1_3repE0EEENS1_30default_config_static_selectorELNS0_4arch9wavefront6targetE1EEEvT1_
		.amdhsa_group_segment_fixed_size 0
		.amdhsa_private_segment_fixed_size 0
		.amdhsa_kernarg_size 120
		.amdhsa_user_sgpr_count 2
		.amdhsa_user_sgpr_dispatch_ptr 0
		.amdhsa_user_sgpr_queue_ptr 0
		.amdhsa_user_sgpr_kernarg_segment_ptr 1
		.amdhsa_user_sgpr_dispatch_id 0
		.amdhsa_user_sgpr_kernarg_preload_length 0
		.amdhsa_user_sgpr_kernarg_preload_offset 0
		.amdhsa_user_sgpr_private_segment_size 0
		.amdhsa_uses_dynamic_stack 0
		.amdhsa_enable_private_segment 0
		.amdhsa_system_sgpr_workgroup_id_x 1
		.amdhsa_system_sgpr_workgroup_id_y 0
		.amdhsa_system_sgpr_workgroup_id_z 0
		.amdhsa_system_sgpr_workgroup_info 0
		.amdhsa_system_vgpr_workitem_id 0
		.amdhsa_next_free_vgpr 1
		.amdhsa_next_free_sgpr 0
		.amdhsa_accum_offset 4
		.amdhsa_reserve_vcc 0
		.amdhsa_float_round_mode_32 0
		.amdhsa_float_round_mode_16_64 0
		.amdhsa_float_denorm_mode_32 3
		.amdhsa_float_denorm_mode_16_64 3
		.amdhsa_dx10_clamp 1
		.amdhsa_ieee_mode 1
		.amdhsa_fp16_overflow 0
		.amdhsa_tg_split 0
		.amdhsa_exception_fp_ieee_invalid_op 0
		.amdhsa_exception_fp_denorm_src 0
		.amdhsa_exception_fp_ieee_div_zero 0
		.amdhsa_exception_fp_ieee_overflow 0
		.amdhsa_exception_fp_ieee_underflow 0
		.amdhsa_exception_fp_ieee_inexact 0
		.amdhsa_exception_int_div_zero 0
	.end_amdhsa_kernel
	.section	.text._ZN7rocprim17ROCPRIM_400000_NS6detail17trampoline_kernelINS0_14default_configENS1_25partition_config_selectorILNS1_17partition_subalgoE8ElNS0_10empty_typeEbEEZZNS1_14partition_implILS5_8ELb0ES3_jPlPS6_PKS6_NS0_5tupleIJS9_S6_EEENSD_IJSA_SA_EEENS0_18inequality_wrapperIZN2at6native12_GLOBAL__N_124unique_dim_cuda_templateIhEESt5tupleIJNSH_6TensorESM_SM_EERKSM_lbbbEUlllE0_EEPmJS6_EEE10hipError_tPvRmT3_T4_T5_T6_T7_T9_mT8_P12ihipStream_tbDpT10_ENKUlT_T0_E_clISt17integral_constantIbLb1EES1B_IbLb0EEEEDaS17_S18_EUlS17_E_NS1_11comp_targetILNS1_3genE0ELNS1_11target_archE4294967295ELNS1_3gpuE0ELNS1_3repE0EEENS1_30default_config_static_selectorELNS0_4arch9wavefront6targetE1EEEvT1_,"axG",@progbits,_ZN7rocprim17ROCPRIM_400000_NS6detail17trampoline_kernelINS0_14default_configENS1_25partition_config_selectorILNS1_17partition_subalgoE8ElNS0_10empty_typeEbEEZZNS1_14partition_implILS5_8ELb0ES3_jPlPS6_PKS6_NS0_5tupleIJS9_S6_EEENSD_IJSA_SA_EEENS0_18inequality_wrapperIZN2at6native12_GLOBAL__N_124unique_dim_cuda_templateIhEESt5tupleIJNSH_6TensorESM_SM_EERKSM_lbbbEUlllE0_EEPmJS6_EEE10hipError_tPvRmT3_T4_T5_T6_T7_T9_mT8_P12ihipStream_tbDpT10_ENKUlT_T0_E_clISt17integral_constantIbLb1EES1B_IbLb0EEEEDaS17_S18_EUlS17_E_NS1_11comp_targetILNS1_3genE0ELNS1_11target_archE4294967295ELNS1_3gpuE0ELNS1_3repE0EEENS1_30default_config_static_selectorELNS0_4arch9wavefront6targetE1EEEvT1_,comdat
.Lfunc_end187:
	.size	_ZN7rocprim17ROCPRIM_400000_NS6detail17trampoline_kernelINS0_14default_configENS1_25partition_config_selectorILNS1_17partition_subalgoE8ElNS0_10empty_typeEbEEZZNS1_14partition_implILS5_8ELb0ES3_jPlPS6_PKS6_NS0_5tupleIJS9_S6_EEENSD_IJSA_SA_EEENS0_18inequality_wrapperIZN2at6native12_GLOBAL__N_124unique_dim_cuda_templateIhEESt5tupleIJNSH_6TensorESM_SM_EERKSM_lbbbEUlllE0_EEPmJS6_EEE10hipError_tPvRmT3_T4_T5_T6_T7_T9_mT8_P12ihipStream_tbDpT10_ENKUlT_T0_E_clISt17integral_constantIbLb1EES1B_IbLb0EEEEDaS17_S18_EUlS17_E_NS1_11comp_targetILNS1_3genE0ELNS1_11target_archE4294967295ELNS1_3gpuE0ELNS1_3repE0EEENS1_30default_config_static_selectorELNS0_4arch9wavefront6targetE1EEEvT1_, .Lfunc_end187-_ZN7rocprim17ROCPRIM_400000_NS6detail17trampoline_kernelINS0_14default_configENS1_25partition_config_selectorILNS1_17partition_subalgoE8ElNS0_10empty_typeEbEEZZNS1_14partition_implILS5_8ELb0ES3_jPlPS6_PKS6_NS0_5tupleIJS9_S6_EEENSD_IJSA_SA_EEENS0_18inequality_wrapperIZN2at6native12_GLOBAL__N_124unique_dim_cuda_templateIhEESt5tupleIJNSH_6TensorESM_SM_EERKSM_lbbbEUlllE0_EEPmJS6_EEE10hipError_tPvRmT3_T4_T5_T6_T7_T9_mT8_P12ihipStream_tbDpT10_ENKUlT_T0_E_clISt17integral_constantIbLb1EES1B_IbLb0EEEEDaS17_S18_EUlS17_E_NS1_11comp_targetILNS1_3genE0ELNS1_11target_archE4294967295ELNS1_3gpuE0ELNS1_3repE0EEENS1_30default_config_static_selectorELNS0_4arch9wavefront6targetE1EEEvT1_
                                        ; -- End function
	.set _ZN7rocprim17ROCPRIM_400000_NS6detail17trampoline_kernelINS0_14default_configENS1_25partition_config_selectorILNS1_17partition_subalgoE8ElNS0_10empty_typeEbEEZZNS1_14partition_implILS5_8ELb0ES3_jPlPS6_PKS6_NS0_5tupleIJS9_S6_EEENSD_IJSA_SA_EEENS0_18inequality_wrapperIZN2at6native12_GLOBAL__N_124unique_dim_cuda_templateIhEESt5tupleIJNSH_6TensorESM_SM_EERKSM_lbbbEUlllE0_EEPmJS6_EEE10hipError_tPvRmT3_T4_T5_T6_T7_T9_mT8_P12ihipStream_tbDpT10_ENKUlT_T0_E_clISt17integral_constantIbLb1EES1B_IbLb0EEEEDaS17_S18_EUlS17_E_NS1_11comp_targetILNS1_3genE0ELNS1_11target_archE4294967295ELNS1_3gpuE0ELNS1_3repE0EEENS1_30default_config_static_selectorELNS0_4arch9wavefront6targetE1EEEvT1_.num_vgpr, 0
	.set _ZN7rocprim17ROCPRIM_400000_NS6detail17trampoline_kernelINS0_14default_configENS1_25partition_config_selectorILNS1_17partition_subalgoE8ElNS0_10empty_typeEbEEZZNS1_14partition_implILS5_8ELb0ES3_jPlPS6_PKS6_NS0_5tupleIJS9_S6_EEENSD_IJSA_SA_EEENS0_18inequality_wrapperIZN2at6native12_GLOBAL__N_124unique_dim_cuda_templateIhEESt5tupleIJNSH_6TensorESM_SM_EERKSM_lbbbEUlllE0_EEPmJS6_EEE10hipError_tPvRmT3_T4_T5_T6_T7_T9_mT8_P12ihipStream_tbDpT10_ENKUlT_T0_E_clISt17integral_constantIbLb1EES1B_IbLb0EEEEDaS17_S18_EUlS17_E_NS1_11comp_targetILNS1_3genE0ELNS1_11target_archE4294967295ELNS1_3gpuE0ELNS1_3repE0EEENS1_30default_config_static_selectorELNS0_4arch9wavefront6targetE1EEEvT1_.num_agpr, 0
	.set _ZN7rocprim17ROCPRIM_400000_NS6detail17trampoline_kernelINS0_14default_configENS1_25partition_config_selectorILNS1_17partition_subalgoE8ElNS0_10empty_typeEbEEZZNS1_14partition_implILS5_8ELb0ES3_jPlPS6_PKS6_NS0_5tupleIJS9_S6_EEENSD_IJSA_SA_EEENS0_18inequality_wrapperIZN2at6native12_GLOBAL__N_124unique_dim_cuda_templateIhEESt5tupleIJNSH_6TensorESM_SM_EERKSM_lbbbEUlllE0_EEPmJS6_EEE10hipError_tPvRmT3_T4_T5_T6_T7_T9_mT8_P12ihipStream_tbDpT10_ENKUlT_T0_E_clISt17integral_constantIbLb1EES1B_IbLb0EEEEDaS17_S18_EUlS17_E_NS1_11comp_targetILNS1_3genE0ELNS1_11target_archE4294967295ELNS1_3gpuE0ELNS1_3repE0EEENS1_30default_config_static_selectorELNS0_4arch9wavefront6targetE1EEEvT1_.numbered_sgpr, 0
	.set _ZN7rocprim17ROCPRIM_400000_NS6detail17trampoline_kernelINS0_14default_configENS1_25partition_config_selectorILNS1_17partition_subalgoE8ElNS0_10empty_typeEbEEZZNS1_14partition_implILS5_8ELb0ES3_jPlPS6_PKS6_NS0_5tupleIJS9_S6_EEENSD_IJSA_SA_EEENS0_18inequality_wrapperIZN2at6native12_GLOBAL__N_124unique_dim_cuda_templateIhEESt5tupleIJNSH_6TensorESM_SM_EERKSM_lbbbEUlllE0_EEPmJS6_EEE10hipError_tPvRmT3_T4_T5_T6_T7_T9_mT8_P12ihipStream_tbDpT10_ENKUlT_T0_E_clISt17integral_constantIbLb1EES1B_IbLb0EEEEDaS17_S18_EUlS17_E_NS1_11comp_targetILNS1_3genE0ELNS1_11target_archE4294967295ELNS1_3gpuE0ELNS1_3repE0EEENS1_30default_config_static_selectorELNS0_4arch9wavefront6targetE1EEEvT1_.num_named_barrier, 0
	.set _ZN7rocprim17ROCPRIM_400000_NS6detail17trampoline_kernelINS0_14default_configENS1_25partition_config_selectorILNS1_17partition_subalgoE8ElNS0_10empty_typeEbEEZZNS1_14partition_implILS5_8ELb0ES3_jPlPS6_PKS6_NS0_5tupleIJS9_S6_EEENSD_IJSA_SA_EEENS0_18inequality_wrapperIZN2at6native12_GLOBAL__N_124unique_dim_cuda_templateIhEESt5tupleIJNSH_6TensorESM_SM_EERKSM_lbbbEUlllE0_EEPmJS6_EEE10hipError_tPvRmT3_T4_T5_T6_T7_T9_mT8_P12ihipStream_tbDpT10_ENKUlT_T0_E_clISt17integral_constantIbLb1EES1B_IbLb0EEEEDaS17_S18_EUlS17_E_NS1_11comp_targetILNS1_3genE0ELNS1_11target_archE4294967295ELNS1_3gpuE0ELNS1_3repE0EEENS1_30default_config_static_selectorELNS0_4arch9wavefront6targetE1EEEvT1_.private_seg_size, 0
	.set _ZN7rocprim17ROCPRIM_400000_NS6detail17trampoline_kernelINS0_14default_configENS1_25partition_config_selectorILNS1_17partition_subalgoE8ElNS0_10empty_typeEbEEZZNS1_14partition_implILS5_8ELb0ES3_jPlPS6_PKS6_NS0_5tupleIJS9_S6_EEENSD_IJSA_SA_EEENS0_18inequality_wrapperIZN2at6native12_GLOBAL__N_124unique_dim_cuda_templateIhEESt5tupleIJNSH_6TensorESM_SM_EERKSM_lbbbEUlllE0_EEPmJS6_EEE10hipError_tPvRmT3_T4_T5_T6_T7_T9_mT8_P12ihipStream_tbDpT10_ENKUlT_T0_E_clISt17integral_constantIbLb1EES1B_IbLb0EEEEDaS17_S18_EUlS17_E_NS1_11comp_targetILNS1_3genE0ELNS1_11target_archE4294967295ELNS1_3gpuE0ELNS1_3repE0EEENS1_30default_config_static_selectorELNS0_4arch9wavefront6targetE1EEEvT1_.uses_vcc, 0
	.set _ZN7rocprim17ROCPRIM_400000_NS6detail17trampoline_kernelINS0_14default_configENS1_25partition_config_selectorILNS1_17partition_subalgoE8ElNS0_10empty_typeEbEEZZNS1_14partition_implILS5_8ELb0ES3_jPlPS6_PKS6_NS0_5tupleIJS9_S6_EEENSD_IJSA_SA_EEENS0_18inequality_wrapperIZN2at6native12_GLOBAL__N_124unique_dim_cuda_templateIhEESt5tupleIJNSH_6TensorESM_SM_EERKSM_lbbbEUlllE0_EEPmJS6_EEE10hipError_tPvRmT3_T4_T5_T6_T7_T9_mT8_P12ihipStream_tbDpT10_ENKUlT_T0_E_clISt17integral_constantIbLb1EES1B_IbLb0EEEEDaS17_S18_EUlS17_E_NS1_11comp_targetILNS1_3genE0ELNS1_11target_archE4294967295ELNS1_3gpuE0ELNS1_3repE0EEENS1_30default_config_static_selectorELNS0_4arch9wavefront6targetE1EEEvT1_.uses_flat_scratch, 0
	.set _ZN7rocprim17ROCPRIM_400000_NS6detail17trampoline_kernelINS0_14default_configENS1_25partition_config_selectorILNS1_17partition_subalgoE8ElNS0_10empty_typeEbEEZZNS1_14partition_implILS5_8ELb0ES3_jPlPS6_PKS6_NS0_5tupleIJS9_S6_EEENSD_IJSA_SA_EEENS0_18inequality_wrapperIZN2at6native12_GLOBAL__N_124unique_dim_cuda_templateIhEESt5tupleIJNSH_6TensorESM_SM_EERKSM_lbbbEUlllE0_EEPmJS6_EEE10hipError_tPvRmT3_T4_T5_T6_T7_T9_mT8_P12ihipStream_tbDpT10_ENKUlT_T0_E_clISt17integral_constantIbLb1EES1B_IbLb0EEEEDaS17_S18_EUlS17_E_NS1_11comp_targetILNS1_3genE0ELNS1_11target_archE4294967295ELNS1_3gpuE0ELNS1_3repE0EEENS1_30default_config_static_selectorELNS0_4arch9wavefront6targetE1EEEvT1_.has_dyn_sized_stack, 0
	.set _ZN7rocprim17ROCPRIM_400000_NS6detail17trampoline_kernelINS0_14default_configENS1_25partition_config_selectorILNS1_17partition_subalgoE8ElNS0_10empty_typeEbEEZZNS1_14partition_implILS5_8ELb0ES3_jPlPS6_PKS6_NS0_5tupleIJS9_S6_EEENSD_IJSA_SA_EEENS0_18inequality_wrapperIZN2at6native12_GLOBAL__N_124unique_dim_cuda_templateIhEESt5tupleIJNSH_6TensorESM_SM_EERKSM_lbbbEUlllE0_EEPmJS6_EEE10hipError_tPvRmT3_T4_T5_T6_T7_T9_mT8_P12ihipStream_tbDpT10_ENKUlT_T0_E_clISt17integral_constantIbLb1EES1B_IbLb0EEEEDaS17_S18_EUlS17_E_NS1_11comp_targetILNS1_3genE0ELNS1_11target_archE4294967295ELNS1_3gpuE0ELNS1_3repE0EEENS1_30default_config_static_selectorELNS0_4arch9wavefront6targetE1EEEvT1_.has_recursion, 0
	.set _ZN7rocprim17ROCPRIM_400000_NS6detail17trampoline_kernelINS0_14default_configENS1_25partition_config_selectorILNS1_17partition_subalgoE8ElNS0_10empty_typeEbEEZZNS1_14partition_implILS5_8ELb0ES3_jPlPS6_PKS6_NS0_5tupleIJS9_S6_EEENSD_IJSA_SA_EEENS0_18inequality_wrapperIZN2at6native12_GLOBAL__N_124unique_dim_cuda_templateIhEESt5tupleIJNSH_6TensorESM_SM_EERKSM_lbbbEUlllE0_EEPmJS6_EEE10hipError_tPvRmT3_T4_T5_T6_T7_T9_mT8_P12ihipStream_tbDpT10_ENKUlT_T0_E_clISt17integral_constantIbLb1EES1B_IbLb0EEEEDaS17_S18_EUlS17_E_NS1_11comp_targetILNS1_3genE0ELNS1_11target_archE4294967295ELNS1_3gpuE0ELNS1_3repE0EEENS1_30default_config_static_selectorELNS0_4arch9wavefront6targetE1EEEvT1_.has_indirect_call, 0
	.section	.AMDGPU.csdata,"",@progbits
; Kernel info:
; codeLenInByte = 4
; TotalNumSgprs: 6
; NumVgprs: 0
; NumAgprs: 0
; TotalNumVgprs: 0
; ScratchSize: 0
; MemoryBound: 0
; FloatMode: 240
; IeeeMode: 1
; LDSByteSize: 0 bytes/workgroup (compile time only)
; SGPRBlocks: 0
; VGPRBlocks: 0
; NumSGPRsForWavesPerEU: 6
; NumVGPRsForWavesPerEU: 1
; AccumOffset: 4
; Occupancy: 8
; WaveLimiterHint : 0
; COMPUTE_PGM_RSRC2:SCRATCH_EN: 0
; COMPUTE_PGM_RSRC2:USER_SGPR: 2
; COMPUTE_PGM_RSRC2:TRAP_HANDLER: 0
; COMPUTE_PGM_RSRC2:TGID_X_EN: 1
; COMPUTE_PGM_RSRC2:TGID_Y_EN: 0
; COMPUTE_PGM_RSRC2:TGID_Z_EN: 0
; COMPUTE_PGM_RSRC2:TIDIG_COMP_CNT: 0
; COMPUTE_PGM_RSRC3_GFX90A:ACCUM_OFFSET: 0
; COMPUTE_PGM_RSRC3_GFX90A:TG_SPLIT: 0
	.section	.text._ZN7rocprim17ROCPRIM_400000_NS6detail17trampoline_kernelINS0_14default_configENS1_25partition_config_selectorILNS1_17partition_subalgoE8ElNS0_10empty_typeEbEEZZNS1_14partition_implILS5_8ELb0ES3_jPlPS6_PKS6_NS0_5tupleIJS9_S6_EEENSD_IJSA_SA_EEENS0_18inequality_wrapperIZN2at6native12_GLOBAL__N_124unique_dim_cuda_templateIhEESt5tupleIJNSH_6TensorESM_SM_EERKSM_lbbbEUlllE0_EEPmJS6_EEE10hipError_tPvRmT3_T4_T5_T6_T7_T9_mT8_P12ihipStream_tbDpT10_ENKUlT_T0_E_clISt17integral_constantIbLb1EES1B_IbLb0EEEEDaS17_S18_EUlS17_E_NS1_11comp_targetILNS1_3genE5ELNS1_11target_archE942ELNS1_3gpuE9ELNS1_3repE0EEENS1_30default_config_static_selectorELNS0_4arch9wavefront6targetE1EEEvT1_,"axG",@progbits,_ZN7rocprim17ROCPRIM_400000_NS6detail17trampoline_kernelINS0_14default_configENS1_25partition_config_selectorILNS1_17partition_subalgoE8ElNS0_10empty_typeEbEEZZNS1_14partition_implILS5_8ELb0ES3_jPlPS6_PKS6_NS0_5tupleIJS9_S6_EEENSD_IJSA_SA_EEENS0_18inequality_wrapperIZN2at6native12_GLOBAL__N_124unique_dim_cuda_templateIhEESt5tupleIJNSH_6TensorESM_SM_EERKSM_lbbbEUlllE0_EEPmJS6_EEE10hipError_tPvRmT3_T4_T5_T6_T7_T9_mT8_P12ihipStream_tbDpT10_ENKUlT_T0_E_clISt17integral_constantIbLb1EES1B_IbLb0EEEEDaS17_S18_EUlS17_E_NS1_11comp_targetILNS1_3genE5ELNS1_11target_archE942ELNS1_3gpuE9ELNS1_3repE0EEENS1_30default_config_static_selectorELNS0_4arch9wavefront6targetE1EEEvT1_,comdat
	.globl	_ZN7rocprim17ROCPRIM_400000_NS6detail17trampoline_kernelINS0_14default_configENS1_25partition_config_selectorILNS1_17partition_subalgoE8ElNS0_10empty_typeEbEEZZNS1_14partition_implILS5_8ELb0ES3_jPlPS6_PKS6_NS0_5tupleIJS9_S6_EEENSD_IJSA_SA_EEENS0_18inequality_wrapperIZN2at6native12_GLOBAL__N_124unique_dim_cuda_templateIhEESt5tupleIJNSH_6TensorESM_SM_EERKSM_lbbbEUlllE0_EEPmJS6_EEE10hipError_tPvRmT3_T4_T5_T6_T7_T9_mT8_P12ihipStream_tbDpT10_ENKUlT_T0_E_clISt17integral_constantIbLb1EES1B_IbLb0EEEEDaS17_S18_EUlS17_E_NS1_11comp_targetILNS1_3genE5ELNS1_11target_archE942ELNS1_3gpuE9ELNS1_3repE0EEENS1_30default_config_static_selectorELNS0_4arch9wavefront6targetE1EEEvT1_ ; -- Begin function _ZN7rocprim17ROCPRIM_400000_NS6detail17trampoline_kernelINS0_14default_configENS1_25partition_config_selectorILNS1_17partition_subalgoE8ElNS0_10empty_typeEbEEZZNS1_14partition_implILS5_8ELb0ES3_jPlPS6_PKS6_NS0_5tupleIJS9_S6_EEENSD_IJSA_SA_EEENS0_18inequality_wrapperIZN2at6native12_GLOBAL__N_124unique_dim_cuda_templateIhEESt5tupleIJNSH_6TensorESM_SM_EERKSM_lbbbEUlllE0_EEPmJS6_EEE10hipError_tPvRmT3_T4_T5_T6_T7_T9_mT8_P12ihipStream_tbDpT10_ENKUlT_T0_E_clISt17integral_constantIbLb1EES1B_IbLb0EEEEDaS17_S18_EUlS17_E_NS1_11comp_targetILNS1_3genE5ELNS1_11target_archE942ELNS1_3gpuE9ELNS1_3repE0EEENS1_30default_config_static_selectorELNS0_4arch9wavefront6targetE1EEEvT1_
	.p2align	8
	.type	_ZN7rocprim17ROCPRIM_400000_NS6detail17trampoline_kernelINS0_14default_configENS1_25partition_config_selectorILNS1_17partition_subalgoE8ElNS0_10empty_typeEbEEZZNS1_14partition_implILS5_8ELb0ES3_jPlPS6_PKS6_NS0_5tupleIJS9_S6_EEENSD_IJSA_SA_EEENS0_18inequality_wrapperIZN2at6native12_GLOBAL__N_124unique_dim_cuda_templateIhEESt5tupleIJNSH_6TensorESM_SM_EERKSM_lbbbEUlllE0_EEPmJS6_EEE10hipError_tPvRmT3_T4_T5_T6_T7_T9_mT8_P12ihipStream_tbDpT10_ENKUlT_T0_E_clISt17integral_constantIbLb1EES1B_IbLb0EEEEDaS17_S18_EUlS17_E_NS1_11comp_targetILNS1_3genE5ELNS1_11target_archE942ELNS1_3gpuE9ELNS1_3repE0EEENS1_30default_config_static_selectorELNS0_4arch9wavefront6targetE1EEEvT1_,@function
_ZN7rocprim17ROCPRIM_400000_NS6detail17trampoline_kernelINS0_14default_configENS1_25partition_config_selectorILNS1_17partition_subalgoE8ElNS0_10empty_typeEbEEZZNS1_14partition_implILS5_8ELb0ES3_jPlPS6_PKS6_NS0_5tupleIJS9_S6_EEENSD_IJSA_SA_EEENS0_18inequality_wrapperIZN2at6native12_GLOBAL__N_124unique_dim_cuda_templateIhEESt5tupleIJNSH_6TensorESM_SM_EERKSM_lbbbEUlllE0_EEPmJS6_EEE10hipError_tPvRmT3_T4_T5_T6_T7_T9_mT8_P12ihipStream_tbDpT10_ENKUlT_T0_E_clISt17integral_constantIbLb1EES1B_IbLb0EEEEDaS17_S18_EUlS17_E_NS1_11comp_targetILNS1_3genE5ELNS1_11target_archE942ELNS1_3gpuE9ELNS1_3repE0EEENS1_30default_config_static_selectorELNS0_4arch9wavefront6targetE1EEEvT1_: ; @_ZN7rocprim17ROCPRIM_400000_NS6detail17trampoline_kernelINS0_14default_configENS1_25partition_config_selectorILNS1_17partition_subalgoE8ElNS0_10empty_typeEbEEZZNS1_14partition_implILS5_8ELb0ES3_jPlPS6_PKS6_NS0_5tupleIJS9_S6_EEENSD_IJSA_SA_EEENS0_18inequality_wrapperIZN2at6native12_GLOBAL__N_124unique_dim_cuda_templateIhEESt5tupleIJNSH_6TensorESM_SM_EERKSM_lbbbEUlllE0_EEPmJS6_EEE10hipError_tPvRmT3_T4_T5_T6_T7_T9_mT8_P12ihipStream_tbDpT10_ENKUlT_T0_E_clISt17integral_constantIbLb1EES1B_IbLb0EEEEDaS17_S18_EUlS17_E_NS1_11comp_targetILNS1_3genE5ELNS1_11target_archE942ELNS1_3gpuE9ELNS1_3repE0EEENS1_30default_config_static_selectorELNS0_4arch9wavefront6targetE1EEEvT1_
; %bb.0:
	.section	.rodata,"a",@progbits
	.p2align	6, 0x0
	.amdhsa_kernel _ZN7rocprim17ROCPRIM_400000_NS6detail17trampoline_kernelINS0_14default_configENS1_25partition_config_selectorILNS1_17partition_subalgoE8ElNS0_10empty_typeEbEEZZNS1_14partition_implILS5_8ELb0ES3_jPlPS6_PKS6_NS0_5tupleIJS9_S6_EEENSD_IJSA_SA_EEENS0_18inequality_wrapperIZN2at6native12_GLOBAL__N_124unique_dim_cuda_templateIhEESt5tupleIJNSH_6TensorESM_SM_EERKSM_lbbbEUlllE0_EEPmJS6_EEE10hipError_tPvRmT3_T4_T5_T6_T7_T9_mT8_P12ihipStream_tbDpT10_ENKUlT_T0_E_clISt17integral_constantIbLb1EES1B_IbLb0EEEEDaS17_S18_EUlS17_E_NS1_11comp_targetILNS1_3genE5ELNS1_11target_archE942ELNS1_3gpuE9ELNS1_3repE0EEENS1_30default_config_static_selectorELNS0_4arch9wavefront6targetE1EEEvT1_
		.amdhsa_group_segment_fixed_size 0
		.amdhsa_private_segment_fixed_size 0
		.amdhsa_kernarg_size 120
		.amdhsa_user_sgpr_count 2
		.amdhsa_user_sgpr_dispatch_ptr 0
		.amdhsa_user_sgpr_queue_ptr 0
		.amdhsa_user_sgpr_kernarg_segment_ptr 1
		.amdhsa_user_sgpr_dispatch_id 0
		.amdhsa_user_sgpr_kernarg_preload_length 0
		.amdhsa_user_sgpr_kernarg_preload_offset 0
		.amdhsa_user_sgpr_private_segment_size 0
		.amdhsa_uses_dynamic_stack 0
		.amdhsa_enable_private_segment 0
		.amdhsa_system_sgpr_workgroup_id_x 1
		.amdhsa_system_sgpr_workgroup_id_y 0
		.amdhsa_system_sgpr_workgroup_id_z 0
		.amdhsa_system_sgpr_workgroup_info 0
		.amdhsa_system_vgpr_workitem_id 0
		.amdhsa_next_free_vgpr 1
		.amdhsa_next_free_sgpr 0
		.amdhsa_accum_offset 4
		.amdhsa_reserve_vcc 0
		.amdhsa_float_round_mode_32 0
		.amdhsa_float_round_mode_16_64 0
		.amdhsa_float_denorm_mode_32 3
		.amdhsa_float_denorm_mode_16_64 3
		.amdhsa_dx10_clamp 1
		.amdhsa_ieee_mode 1
		.amdhsa_fp16_overflow 0
		.amdhsa_tg_split 0
		.amdhsa_exception_fp_ieee_invalid_op 0
		.amdhsa_exception_fp_denorm_src 0
		.amdhsa_exception_fp_ieee_div_zero 0
		.amdhsa_exception_fp_ieee_overflow 0
		.amdhsa_exception_fp_ieee_underflow 0
		.amdhsa_exception_fp_ieee_inexact 0
		.amdhsa_exception_int_div_zero 0
	.end_amdhsa_kernel
	.section	.text._ZN7rocprim17ROCPRIM_400000_NS6detail17trampoline_kernelINS0_14default_configENS1_25partition_config_selectorILNS1_17partition_subalgoE8ElNS0_10empty_typeEbEEZZNS1_14partition_implILS5_8ELb0ES3_jPlPS6_PKS6_NS0_5tupleIJS9_S6_EEENSD_IJSA_SA_EEENS0_18inequality_wrapperIZN2at6native12_GLOBAL__N_124unique_dim_cuda_templateIhEESt5tupleIJNSH_6TensorESM_SM_EERKSM_lbbbEUlllE0_EEPmJS6_EEE10hipError_tPvRmT3_T4_T5_T6_T7_T9_mT8_P12ihipStream_tbDpT10_ENKUlT_T0_E_clISt17integral_constantIbLb1EES1B_IbLb0EEEEDaS17_S18_EUlS17_E_NS1_11comp_targetILNS1_3genE5ELNS1_11target_archE942ELNS1_3gpuE9ELNS1_3repE0EEENS1_30default_config_static_selectorELNS0_4arch9wavefront6targetE1EEEvT1_,"axG",@progbits,_ZN7rocprim17ROCPRIM_400000_NS6detail17trampoline_kernelINS0_14default_configENS1_25partition_config_selectorILNS1_17partition_subalgoE8ElNS0_10empty_typeEbEEZZNS1_14partition_implILS5_8ELb0ES3_jPlPS6_PKS6_NS0_5tupleIJS9_S6_EEENSD_IJSA_SA_EEENS0_18inequality_wrapperIZN2at6native12_GLOBAL__N_124unique_dim_cuda_templateIhEESt5tupleIJNSH_6TensorESM_SM_EERKSM_lbbbEUlllE0_EEPmJS6_EEE10hipError_tPvRmT3_T4_T5_T6_T7_T9_mT8_P12ihipStream_tbDpT10_ENKUlT_T0_E_clISt17integral_constantIbLb1EES1B_IbLb0EEEEDaS17_S18_EUlS17_E_NS1_11comp_targetILNS1_3genE5ELNS1_11target_archE942ELNS1_3gpuE9ELNS1_3repE0EEENS1_30default_config_static_selectorELNS0_4arch9wavefront6targetE1EEEvT1_,comdat
.Lfunc_end188:
	.size	_ZN7rocprim17ROCPRIM_400000_NS6detail17trampoline_kernelINS0_14default_configENS1_25partition_config_selectorILNS1_17partition_subalgoE8ElNS0_10empty_typeEbEEZZNS1_14partition_implILS5_8ELb0ES3_jPlPS6_PKS6_NS0_5tupleIJS9_S6_EEENSD_IJSA_SA_EEENS0_18inequality_wrapperIZN2at6native12_GLOBAL__N_124unique_dim_cuda_templateIhEESt5tupleIJNSH_6TensorESM_SM_EERKSM_lbbbEUlllE0_EEPmJS6_EEE10hipError_tPvRmT3_T4_T5_T6_T7_T9_mT8_P12ihipStream_tbDpT10_ENKUlT_T0_E_clISt17integral_constantIbLb1EES1B_IbLb0EEEEDaS17_S18_EUlS17_E_NS1_11comp_targetILNS1_3genE5ELNS1_11target_archE942ELNS1_3gpuE9ELNS1_3repE0EEENS1_30default_config_static_selectorELNS0_4arch9wavefront6targetE1EEEvT1_, .Lfunc_end188-_ZN7rocprim17ROCPRIM_400000_NS6detail17trampoline_kernelINS0_14default_configENS1_25partition_config_selectorILNS1_17partition_subalgoE8ElNS0_10empty_typeEbEEZZNS1_14partition_implILS5_8ELb0ES3_jPlPS6_PKS6_NS0_5tupleIJS9_S6_EEENSD_IJSA_SA_EEENS0_18inequality_wrapperIZN2at6native12_GLOBAL__N_124unique_dim_cuda_templateIhEESt5tupleIJNSH_6TensorESM_SM_EERKSM_lbbbEUlllE0_EEPmJS6_EEE10hipError_tPvRmT3_T4_T5_T6_T7_T9_mT8_P12ihipStream_tbDpT10_ENKUlT_T0_E_clISt17integral_constantIbLb1EES1B_IbLb0EEEEDaS17_S18_EUlS17_E_NS1_11comp_targetILNS1_3genE5ELNS1_11target_archE942ELNS1_3gpuE9ELNS1_3repE0EEENS1_30default_config_static_selectorELNS0_4arch9wavefront6targetE1EEEvT1_
                                        ; -- End function
	.set _ZN7rocprim17ROCPRIM_400000_NS6detail17trampoline_kernelINS0_14default_configENS1_25partition_config_selectorILNS1_17partition_subalgoE8ElNS0_10empty_typeEbEEZZNS1_14partition_implILS5_8ELb0ES3_jPlPS6_PKS6_NS0_5tupleIJS9_S6_EEENSD_IJSA_SA_EEENS0_18inequality_wrapperIZN2at6native12_GLOBAL__N_124unique_dim_cuda_templateIhEESt5tupleIJNSH_6TensorESM_SM_EERKSM_lbbbEUlllE0_EEPmJS6_EEE10hipError_tPvRmT3_T4_T5_T6_T7_T9_mT8_P12ihipStream_tbDpT10_ENKUlT_T0_E_clISt17integral_constantIbLb1EES1B_IbLb0EEEEDaS17_S18_EUlS17_E_NS1_11comp_targetILNS1_3genE5ELNS1_11target_archE942ELNS1_3gpuE9ELNS1_3repE0EEENS1_30default_config_static_selectorELNS0_4arch9wavefront6targetE1EEEvT1_.num_vgpr, 0
	.set _ZN7rocprim17ROCPRIM_400000_NS6detail17trampoline_kernelINS0_14default_configENS1_25partition_config_selectorILNS1_17partition_subalgoE8ElNS0_10empty_typeEbEEZZNS1_14partition_implILS5_8ELb0ES3_jPlPS6_PKS6_NS0_5tupleIJS9_S6_EEENSD_IJSA_SA_EEENS0_18inequality_wrapperIZN2at6native12_GLOBAL__N_124unique_dim_cuda_templateIhEESt5tupleIJNSH_6TensorESM_SM_EERKSM_lbbbEUlllE0_EEPmJS6_EEE10hipError_tPvRmT3_T4_T5_T6_T7_T9_mT8_P12ihipStream_tbDpT10_ENKUlT_T0_E_clISt17integral_constantIbLb1EES1B_IbLb0EEEEDaS17_S18_EUlS17_E_NS1_11comp_targetILNS1_3genE5ELNS1_11target_archE942ELNS1_3gpuE9ELNS1_3repE0EEENS1_30default_config_static_selectorELNS0_4arch9wavefront6targetE1EEEvT1_.num_agpr, 0
	.set _ZN7rocprim17ROCPRIM_400000_NS6detail17trampoline_kernelINS0_14default_configENS1_25partition_config_selectorILNS1_17partition_subalgoE8ElNS0_10empty_typeEbEEZZNS1_14partition_implILS5_8ELb0ES3_jPlPS6_PKS6_NS0_5tupleIJS9_S6_EEENSD_IJSA_SA_EEENS0_18inequality_wrapperIZN2at6native12_GLOBAL__N_124unique_dim_cuda_templateIhEESt5tupleIJNSH_6TensorESM_SM_EERKSM_lbbbEUlllE0_EEPmJS6_EEE10hipError_tPvRmT3_T4_T5_T6_T7_T9_mT8_P12ihipStream_tbDpT10_ENKUlT_T0_E_clISt17integral_constantIbLb1EES1B_IbLb0EEEEDaS17_S18_EUlS17_E_NS1_11comp_targetILNS1_3genE5ELNS1_11target_archE942ELNS1_3gpuE9ELNS1_3repE0EEENS1_30default_config_static_selectorELNS0_4arch9wavefront6targetE1EEEvT1_.numbered_sgpr, 0
	.set _ZN7rocprim17ROCPRIM_400000_NS6detail17trampoline_kernelINS0_14default_configENS1_25partition_config_selectorILNS1_17partition_subalgoE8ElNS0_10empty_typeEbEEZZNS1_14partition_implILS5_8ELb0ES3_jPlPS6_PKS6_NS0_5tupleIJS9_S6_EEENSD_IJSA_SA_EEENS0_18inequality_wrapperIZN2at6native12_GLOBAL__N_124unique_dim_cuda_templateIhEESt5tupleIJNSH_6TensorESM_SM_EERKSM_lbbbEUlllE0_EEPmJS6_EEE10hipError_tPvRmT3_T4_T5_T6_T7_T9_mT8_P12ihipStream_tbDpT10_ENKUlT_T0_E_clISt17integral_constantIbLb1EES1B_IbLb0EEEEDaS17_S18_EUlS17_E_NS1_11comp_targetILNS1_3genE5ELNS1_11target_archE942ELNS1_3gpuE9ELNS1_3repE0EEENS1_30default_config_static_selectorELNS0_4arch9wavefront6targetE1EEEvT1_.num_named_barrier, 0
	.set _ZN7rocprim17ROCPRIM_400000_NS6detail17trampoline_kernelINS0_14default_configENS1_25partition_config_selectorILNS1_17partition_subalgoE8ElNS0_10empty_typeEbEEZZNS1_14partition_implILS5_8ELb0ES3_jPlPS6_PKS6_NS0_5tupleIJS9_S6_EEENSD_IJSA_SA_EEENS0_18inequality_wrapperIZN2at6native12_GLOBAL__N_124unique_dim_cuda_templateIhEESt5tupleIJNSH_6TensorESM_SM_EERKSM_lbbbEUlllE0_EEPmJS6_EEE10hipError_tPvRmT3_T4_T5_T6_T7_T9_mT8_P12ihipStream_tbDpT10_ENKUlT_T0_E_clISt17integral_constantIbLb1EES1B_IbLb0EEEEDaS17_S18_EUlS17_E_NS1_11comp_targetILNS1_3genE5ELNS1_11target_archE942ELNS1_3gpuE9ELNS1_3repE0EEENS1_30default_config_static_selectorELNS0_4arch9wavefront6targetE1EEEvT1_.private_seg_size, 0
	.set _ZN7rocprim17ROCPRIM_400000_NS6detail17trampoline_kernelINS0_14default_configENS1_25partition_config_selectorILNS1_17partition_subalgoE8ElNS0_10empty_typeEbEEZZNS1_14partition_implILS5_8ELb0ES3_jPlPS6_PKS6_NS0_5tupleIJS9_S6_EEENSD_IJSA_SA_EEENS0_18inequality_wrapperIZN2at6native12_GLOBAL__N_124unique_dim_cuda_templateIhEESt5tupleIJNSH_6TensorESM_SM_EERKSM_lbbbEUlllE0_EEPmJS6_EEE10hipError_tPvRmT3_T4_T5_T6_T7_T9_mT8_P12ihipStream_tbDpT10_ENKUlT_T0_E_clISt17integral_constantIbLb1EES1B_IbLb0EEEEDaS17_S18_EUlS17_E_NS1_11comp_targetILNS1_3genE5ELNS1_11target_archE942ELNS1_3gpuE9ELNS1_3repE0EEENS1_30default_config_static_selectorELNS0_4arch9wavefront6targetE1EEEvT1_.uses_vcc, 0
	.set _ZN7rocprim17ROCPRIM_400000_NS6detail17trampoline_kernelINS0_14default_configENS1_25partition_config_selectorILNS1_17partition_subalgoE8ElNS0_10empty_typeEbEEZZNS1_14partition_implILS5_8ELb0ES3_jPlPS6_PKS6_NS0_5tupleIJS9_S6_EEENSD_IJSA_SA_EEENS0_18inequality_wrapperIZN2at6native12_GLOBAL__N_124unique_dim_cuda_templateIhEESt5tupleIJNSH_6TensorESM_SM_EERKSM_lbbbEUlllE0_EEPmJS6_EEE10hipError_tPvRmT3_T4_T5_T6_T7_T9_mT8_P12ihipStream_tbDpT10_ENKUlT_T0_E_clISt17integral_constantIbLb1EES1B_IbLb0EEEEDaS17_S18_EUlS17_E_NS1_11comp_targetILNS1_3genE5ELNS1_11target_archE942ELNS1_3gpuE9ELNS1_3repE0EEENS1_30default_config_static_selectorELNS0_4arch9wavefront6targetE1EEEvT1_.uses_flat_scratch, 0
	.set _ZN7rocprim17ROCPRIM_400000_NS6detail17trampoline_kernelINS0_14default_configENS1_25partition_config_selectorILNS1_17partition_subalgoE8ElNS0_10empty_typeEbEEZZNS1_14partition_implILS5_8ELb0ES3_jPlPS6_PKS6_NS0_5tupleIJS9_S6_EEENSD_IJSA_SA_EEENS0_18inequality_wrapperIZN2at6native12_GLOBAL__N_124unique_dim_cuda_templateIhEESt5tupleIJNSH_6TensorESM_SM_EERKSM_lbbbEUlllE0_EEPmJS6_EEE10hipError_tPvRmT3_T4_T5_T6_T7_T9_mT8_P12ihipStream_tbDpT10_ENKUlT_T0_E_clISt17integral_constantIbLb1EES1B_IbLb0EEEEDaS17_S18_EUlS17_E_NS1_11comp_targetILNS1_3genE5ELNS1_11target_archE942ELNS1_3gpuE9ELNS1_3repE0EEENS1_30default_config_static_selectorELNS0_4arch9wavefront6targetE1EEEvT1_.has_dyn_sized_stack, 0
	.set _ZN7rocprim17ROCPRIM_400000_NS6detail17trampoline_kernelINS0_14default_configENS1_25partition_config_selectorILNS1_17partition_subalgoE8ElNS0_10empty_typeEbEEZZNS1_14partition_implILS5_8ELb0ES3_jPlPS6_PKS6_NS0_5tupleIJS9_S6_EEENSD_IJSA_SA_EEENS0_18inequality_wrapperIZN2at6native12_GLOBAL__N_124unique_dim_cuda_templateIhEESt5tupleIJNSH_6TensorESM_SM_EERKSM_lbbbEUlllE0_EEPmJS6_EEE10hipError_tPvRmT3_T4_T5_T6_T7_T9_mT8_P12ihipStream_tbDpT10_ENKUlT_T0_E_clISt17integral_constantIbLb1EES1B_IbLb0EEEEDaS17_S18_EUlS17_E_NS1_11comp_targetILNS1_3genE5ELNS1_11target_archE942ELNS1_3gpuE9ELNS1_3repE0EEENS1_30default_config_static_selectorELNS0_4arch9wavefront6targetE1EEEvT1_.has_recursion, 0
	.set _ZN7rocprim17ROCPRIM_400000_NS6detail17trampoline_kernelINS0_14default_configENS1_25partition_config_selectorILNS1_17partition_subalgoE8ElNS0_10empty_typeEbEEZZNS1_14partition_implILS5_8ELb0ES3_jPlPS6_PKS6_NS0_5tupleIJS9_S6_EEENSD_IJSA_SA_EEENS0_18inequality_wrapperIZN2at6native12_GLOBAL__N_124unique_dim_cuda_templateIhEESt5tupleIJNSH_6TensorESM_SM_EERKSM_lbbbEUlllE0_EEPmJS6_EEE10hipError_tPvRmT3_T4_T5_T6_T7_T9_mT8_P12ihipStream_tbDpT10_ENKUlT_T0_E_clISt17integral_constantIbLb1EES1B_IbLb0EEEEDaS17_S18_EUlS17_E_NS1_11comp_targetILNS1_3genE5ELNS1_11target_archE942ELNS1_3gpuE9ELNS1_3repE0EEENS1_30default_config_static_selectorELNS0_4arch9wavefront6targetE1EEEvT1_.has_indirect_call, 0
	.section	.AMDGPU.csdata,"",@progbits
; Kernel info:
; codeLenInByte = 0
; TotalNumSgprs: 6
; NumVgprs: 0
; NumAgprs: 0
; TotalNumVgprs: 0
; ScratchSize: 0
; MemoryBound: 0
; FloatMode: 240
; IeeeMode: 1
; LDSByteSize: 0 bytes/workgroup (compile time only)
; SGPRBlocks: 0
; VGPRBlocks: 0
; NumSGPRsForWavesPerEU: 6
; NumVGPRsForWavesPerEU: 1
; AccumOffset: 4
; Occupancy: 8
; WaveLimiterHint : 0
; COMPUTE_PGM_RSRC2:SCRATCH_EN: 0
; COMPUTE_PGM_RSRC2:USER_SGPR: 2
; COMPUTE_PGM_RSRC2:TRAP_HANDLER: 0
; COMPUTE_PGM_RSRC2:TGID_X_EN: 1
; COMPUTE_PGM_RSRC2:TGID_Y_EN: 0
; COMPUTE_PGM_RSRC2:TGID_Z_EN: 0
; COMPUTE_PGM_RSRC2:TIDIG_COMP_CNT: 0
; COMPUTE_PGM_RSRC3_GFX90A:ACCUM_OFFSET: 0
; COMPUTE_PGM_RSRC3_GFX90A:TG_SPLIT: 0
	.section	.text._ZN7rocprim17ROCPRIM_400000_NS6detail17trampoline_kernelINS0_14default_configENS1_25partition_config_selectorILNS1_17partition_subalgoE8ElNS0_10empty_typeEbEEZZNS1_14partition_implILS5_8ELb0ES3_jPlPS6_PKS6_NS0_5tupleIJS9_S6_EEENSD_IJSA_SA_EEENS0_18inequality_wrapperIZN2at6native12_GLOBAL__N_124unique_dim_cuda_templateIhEESt5tupleIJNSH_6TensorESM_SM_EERKSM_lbbbEUlllE0_EEPmJS6_EEE10hipError_tPvRmT3_T4_T5_T6_T7_T9_mT8_P12ihipStream_tbDpT10_ENKUlT_T0_E_clISt17integral_constantIbLb1EES1B_IbLb0EEEEDaS17_S18_EUlS17_E_NS1_11comp_targetILNS1_3genE4ELNS1_11target_archE910ELNS1_3gpuE8ELNS1_3repE0EEENS1_30default_config_static_selectorELNS0_4arch9wavefront6targetE1EEEvT1_,"axG",@progbits,_ZN7rocprim17ROCPRIM_400000_NS6detail17trampoline_kernelINS0_14default_configENS1_25partition_config_selectorILNS1_17partition_subalgoE8ElNS0_10empty_typeEbEEZZNS1_14partition_implILS5_8ELb0ES3_jPlPS6_PKS6_NS0_5tupleIJS9_S6_EEENSD_IJSA_SA_EEENS0_18inequality_wrapperIZN2at6native12_GLOBAL__N_124unique_dim_cuda_templateIhEESt5tupleIJNSH_6TensorESM_SM_EERKSM_lbbbEUlllE0_EEPmJS6_EEE10hipError_tPvRmT3_T4_T5_T6_T7_T9_mT8_P12ihipStream_tbDpT10_ENKUlT_T0_E_clISt17integral_constantIbLb1EES1B_IbLb0EEEEDaS17_S18_EUlS17_E_NS1_11comp_targetILNS1_3genE4ELNS1_11target_archE910ELNS1_3gpuE8ELNS1_3repE0EEENS1_30default_config_static_selectorELNS0_4arch9wavefront6targetE1EEEvT1_,comdat
	.globl	_ZN7rocprim17ROCPRIM_400000_NS6detail17trampoline_kernelINS0_14default_configENS1_25partition_config_selectorILNS1_17partition_subalgoE8ElNS0_10empty_typeEbEEZZNS1_14partition_implILS5_8ELb0ES3_jPlPS6_PKS6_NS0_5tupleIJS9_S6_EEENSD_IJSA_SA_EEENS0_18inequality_wrapperIZN2at6native12_GLOBAL__N_124unique_dim_cuda_templateIhEESt5tupleIJNSH_6TensorESM_SM_EERKSM_lbbbEUlllE0_EEPmJS6_EEE10hipError_tPvRmT3_T4_T5_T6_T7_T9_mT8_P12ihipStream_tbDpT10_ENKUlT_T0_E_clISt17integral_constantIbLb1EES1B_IbLb0EEEEDaS17_S18_EUlS17_E_NS1_11comp_targetILNS1_3genE4ELNS1_11target_archE910ELNS1_3gpuE8ELNS1_3repE0EEENS1_30default_config_static_selectorELNS0_4arch9wavefront6targetE1EEEvT1_ ; -- Begin function _ZN7rocprim17ROCPRIM_400000_NS6detail17trampoline_kernelINS0_14default_configENS1_25partition_config_selectorILNS1_17partition_subalgoE8ElNS0_10empty_typeEbEEZZNS1_14partition_implILS5_8ELb0ES3_jPlPS6_PKS6_NS0_5tupleIJS9_S6_EEENSD_IJSA_SA_EEENS0_18inequality_wrapperIZN2at6native12_GLOBAL__N_124unique_dim_cuda_templateIhEESt5tupleIJNSH_6TensorESM_SM_EERKSM_lbbbEUlllE0_EEPmJS6_EEE10hipError_tPvRmT3_T4_T5_T6_T7_T9_mT8_P12ihipStream_tbDpT10_ENKUlT_T0_E_clISt17integral_constantIbLb1EES1B_IbLb0EEEEDaS17_S18_EUlS17_E_NS1_11comp_targetILNS1_3genE4ELNS1_11target_archE910ELNS1_3gpuE8ELNS1_3repE0EEENS1_30default_config_static_selectorELNS0_4arch9wavefront6targetE1EEEvT1_
	.p2align	8
	.type	_ZN7rocprim17ROCPRIM_400000_NS6detail17trampoline_kernelINS0_14default_configENS1_25partition_config_selectorILNS1_17partition_subalgoE8ElNS0_10empty_typeEbEEZZNS1_14partition_implILS5_8ELb0ES3_jPlPS6_PKS6_NS0_5tupleIJS9_S6_EEENSD_IJSA_SA_EEENS0_18inequality_wrapperIZN2at6native12_GLOBAL__N_124unique_dim_cuda_templateIhEESt5tupleIJNSH_6TensorESM_SM_EERKSM_lbbbEUlllE0_EEPmJS6_EEE10hipError_tPvRmT3_T4_T5_T6_T7_T9_mT8_P12ihipStream_tbDpT10_ENKUlT_T0_E_clISt17integral_constantIbLb1EES1B_IbLb0EEEEDaS17_S18_EUlS17_E_NS1_11comp_targetILNS1_3genE4ELNS1_11target_archE910ELNS1_3gpuE8ELNS1_3repE0EEENS1_30default_config_static_selectorELNS0_4arch9wavefront6targetE1EEEvT1_,@function
_ZN7rocprim17ROCPRIM_400000_NS6detail17trampoline_kernelINS0_14default_configENS1_25partition_config_selectorILNS1_17partition_subalgoE8ElNS0_10empty_typeEbEEZZNS1_14partition_implILS5_8ELb0ES3_jPlPS6_PKS6_NS0_5tupleIJS9_S6_EEENSD_IJSA_SA_EEENS0_18inequality_wrapperIZN2at6native12_GLOBAL__N_124unique_dim_cuda_templateIhEESt5tupleIJNSH_6TensorESM_SM_EERKSM_lbbbEUlllE0_EEPmJS6_EEE10hipError_tPvRmT3_T4_T5_T6_T7_T9_mT8_P12ihipStream_tbDpT10_ENKUlT_T0_E_clISt17integral_constantIbLb1EES1B_IbLb0EEEEDaS17_S18_EUlS17_E_NS1_11comp_targetILNS1_3genE4ELNS1_11target_archE910ELNS1_3gpuE8ELNS1_3repE0EEENS1_30default_config_static_selectorELNS0_4arch9wavefront6targetE1EEEvT1_: ; @_ZN7rocprim17ROCPRIM_400000_NS6detail17trampoline_kernelINS0_14default_configENS1_25partition_config_selectorILNS1_17partition_subalgoE8ElNS0_10empty_typeEbEEZZNS1_14partition_implILS5_8ELb0ES3_jPlPS6_PKS6_NS0_5tupleIJS9_S6_EEENSD_IJSA_SA_EEENS0_18inequality_wrapperIZN2at6native12_GLOBAL__N_124unique_dim_cuda_templateIhEESt5tupleIJNSH_6TensorESM_SM_EERKSM_lbbbEUlllE0_EEPmJS6_EEE10hipError_tPvRmT3_T4_T5_T6_T7_T9_mT8_P12ihipStream_tbDpT10_ENKUlT_T0_E_clISt17integral_constantIbLb1EES1B_IbLb0EEEEDaS17_S18_EUlS17_E_NS1_11comp_targetILNS1_3genE4ELNS1_11target_archE910ELNS1_3gpuE8ELNS1_3repE0EEENS1_30default_config_static_selectorELNS0_4arch9wavefront6targetE1EEEvT1_
; %bb.0:
	.section	.rodata,"a",@progbits
	.p2align	6, 0x0
	.amdhsa_kernel _ZN7rocprim17ROCPRIM_400000_NS6detail17trampoline_kernelINS0_14default_configENS1_25partition_config_selectorILNS1_17partition_subalgoE8ElNS0_10empty_typeEbEEZZNS1_14partition_implILS5_8ELb0ES3_jPlPS6_PKS6_NS0_5tupleIJS9_S6_EEENSD_IJSA_SA_EEENS0_18inequality_wrapperIZN2at6native12_GLOBAL__N_124unique_dim_cuda_templateIhEESt5tupleIJNSH_6TensorESM_SM_EERKSM_lbbbEUlllE0_EEPmJS6_EEE10hipError_tPvRmT3_T4_T5_T6_T7_T9_mT8_P12ihipStream_tbDpT10_ENKUlT_T0_E_clISt17integral_constantIbLb1EES1B_IbLb0EEEEDaS17_S18_EUlS17_E_NS1_11comp_targetILNS1_3genE4ELNS1_11target_archE910ELNS1_3gpuE8ELNS1_3repE0EEENS1_30default_config_static_selectorELNS0_4arch9wavefront6targetE1EEEvT1_
		.amdhsa_group_segment_fixed_size 0
		.amdhsa_private_segment_fixed_size 0
		.amdhsa_kernarg_size 120
		.amdhsa_user_sgpr_count 2
		.amdhsa_user_sgpr_dispatch_ptr 0
		.amdhsa_user_sgpr_queue_ptr 0
		.amdhsa_user_sgpr_kernarg_segment_ptr 1
		.amdhsa_user_sgpr_dispatch_id 0
		.amdhsa_user_sgpr_kernarg_preload_length 0
		.amdhsa_user_sgpr_kernarg_preload_offset 0
		.amdhsa_user_sgpr_private_segment_size 0
		.amdhsa_uses_dynamic_stack 0
		.amdhsa_enable_private_segment 0
		.amdhsa_system_sgpr_workgroup_id_x 1
		.amdhsa_system_sgpr_workgroup_id_y 0
		.amdhsa_system_sgpr_workgroup_id_z 0
		.amdhsa_system_sgpr_workgroup_info 0
		.amdhsa_system_vgpr_workitem_id 0
		.amdhsa_next_free_vgpr 1
		.amdhsa_next_free_sgpr 0
		.amdhsa_accum_offset 4
		.amdhsa_reserve_vcc 0
		.amdhsa_float_round_mode_32 0
		.amdhsa_float_round_mode_16_64 0
		.amdhsa_float_denorm_mode_32 3
		.amdhsa_float_denorm_mode_16_64 3
		.amdhsa_dx10_clamp 1
		.amdhsa_ieee_mode 1
		.amdhsa_fp16_overflow 0
		.amdhsa_tg_split 0
		.amdhsa_exception_fp_ieee_invalid_op 0
		.amdhsa_exception_fp_denorm_src 0
		.amdhsa_exception_fp_ieee_div_zero 0
		.amdhsa_exception_fp_ieee_overflow 0
		.amdhsa_exception_fp_ieee_underflow 0
		.amdhsa_exception_fp_ieee_inexact 0
		.amdhsa_exception_int_div_zero 0
	.end_amdhsa_kernel
	.section	.text._ZN7rocprim17ROCPRIM_400000_NS6detail17trampoline_kernelINS0_14default_configENS1_25partition_config_selectorILNS1_17partition_subalgoE8ElNS0_10empty_typeEbEEZZNS1_14partition_implILS5_8ELb0ES3_jPlPS6_PKS6_NS0_5tupleIJS9_S6_EEENSD_IJSA_SA_EEENS0_18inequality_wrapperIZN2at6native12_GLOBAL__N_124unique_dim_cuda_templateIhEESt5tupleIJNSH_6TensorESM_SM_EERKSM_lbbbEUlllE0_EEPmJS6_EEE10hipError_tPvRmT3_T4_T5_T6_T7_T9_mT8_P12ihipStream_tbDpT10_ENKUlT_T0_E_clISt17integral_constantIbLb1EES1B_IbLb0EEEEDaS17_S18_EUlS17_E_NS1_11comp_targetILNS1_3genE4ELNS1_11target_archE910ELNS1_3gpuE8ELNS1_3repE0EEENS1_30default_config_static_selectorELNS0_4arch9wavefront6targetE1EEEvT1_,"axG",@progbits,_ZN7rocprim17ROCPRIM_400000_NS6detail17trampoline_kernelINS0_14default_configENS1_25partition_config_selectorILNS1_17partition_subalgoE8ElNS0_10empty_typeEbEEZZNS1_14partition_implILS5_8ELb0ES3_jPlPS6_PKS6_NS0_5tupleIJS9_S6_EEENSD_IJSA_SA_EEENS0_18inequality_wrapperIZN2at6native12_GLOBAL__N_124unique_dim_cuda_templateIhEESt5tupleIJNSH_6TensorESM_SM_EERKSM_lbbbEUlllE0_EEPmJS6_EEE10hipError_tPvRmT3_T4_T5_T6_T7_T9_mT8_P12ihipStream_tbDpT10_ENKUlT_T0_E_clISt17integral_constantIbLb1EES1B_IbLb0EEEEDaS17_S18_EUlS17_E_NS1_11comp_targetILNS1_3genE4ELNS1_11target_archE910ELNS1_3gpuE8ELNS1_3repE0EEENS1_30default_config_static_selectorELNS0_4arch9wavefront6targetE1EEEvT1_,comdat
.Lfunc_end189:
	.size	_ZN7rocprim17ROCPRIM_400000_NS6detail17trampoline_kernelINS0_14default_configENS1_25partition_config_selectorILNS1_17partition_subalgoE8ElNS0_10empty_typeEbEEZZNS1_14partition_implILS5_8ELb0ES3_jPlPS6_PKS6_NS0_5tupleIJS9_S6_EEENSD_IJSA_SA_EEENS0_18inequality_wrapperIZN2at6native12_GLOBAL__N_124unique_dim_cuda_templateIhEESt5tupleIJNSH_6TensorESM_SM_EERKSM_lbbbEUlllE0_EEPmJS6_EEE10hipError_tPvRmT3_T4_T5_T6_T7_T9_mT8_P12ihipStream_tbDpT10_ENKUlT_T0_E_clISt17integral_constantIbLb1EES1B_IbLb0EEEEDaS17_S18_EUlS17_E_NS1_11comp_targetILNS1_3genE4ELNS1_11target_archE910ELNS1_3gpuE8ELNS1_3repE0EEENS1_30default_config_static_selectorELNS0_4arch9wavefront6targetE1EEEvT1_, .Lfunc_end189-_ZN7rocprim17ROCPRIM_400000_NS6detail17trampoline_kernelINS0_14default_configENS1_25partition_config_selectorILNS1_17partition_subalgoE8ElNS0_10empty_typeEbEEZZNS1_14partition_implILS5_8ELb0ES3_jPlPS6_PKS6_NS0_5tupleIJS9_S6_EEENSD_IJSA_SA_EEENS0_18inequality_wrapperIZN2at6native12_GLOBAL__N_124unique_dim_cuda_templateIhEESt5tupleIJNSH_6TensorESM_SM_EERKSM_lbbbEUlllE0_EEPmJS6_EEE10hipError_tPvRmT3_T4_T5_T6_T7_T9_mT8_P12ihipStream_tbDpT10_ENKUlT_T0_E_clISt17integral_constantIbLb1EES1B_IbLb0EEEEDaS17_S18_EUlS17_E_NS1_11comp_targetILNS1_3genE4ELNS1_11target_archE910ELNS1_3gpuE8ELNS1_3repE0EEENS1_30default_config_static_selectorELNS0_4arch9wavefront6targetE1EEEvT1_
                                        ; -- End function
	.set _ZN7rocprim17ROCPRIM_400000_NS6detail17trampoline_kernelINS0_14default_configENS1_25partition_config_selectorILNS1_17partition_subalgoE8ElNS0_10empty_typeEbEEZZNS1_14partition_implILS5_8ELb0ES3_jPlPS6_PKS6_NS0_5tupleIJS9_S6_EEENSD_IJSA_SA_EEENS0_18inequality_wrapperIZN2at6native12_GLOBAL__N_124unique_dim_cuda_templateIhEESt5tupleIJNSH_6TensorESM_SM_EERKSM_lbbbEUlllE0_EEPmJS6_EEE10hipError_tPvRmT3_T4_T5_T6_T7_T9_mT8_P12ihipStream_tbDpT10_ENKUlT_T0_E_clISt17integral_constantIbLb1EES1B_IbLb0EEEEDaS17_S18_EUlS17_E_NS1_11comp_targetILNS1_3genE4ELNS1_11target_archE910ELNS1_3gpuE8ELNS1_3repE0EEENS1_30default_config_static_selectorELNS0_4arch9wavefront6targetE1EEEvT1_.num_vgpr, 0
	.set _ZN7rocprim17ROCPRIM_400000_NS6detail17trampoline_kernelINS0_14default_configENS1_25partition_config_selectorILNS1_17partition_subalgoE8ElNS0_10empty_typeEbEEZZNS1_14partition_implILS5_8ELb0ES3_jPlPS6_PKS6_NS0_5tupleIJS9_S6_EEENSD_IJSA_SA_EEENS0_18inequality_wrapperIZN2at6native12_GLOBAL__N_124unique_dim_cuda_templateIhEESt5tupleIJNSH_6TensorESM_SM_EERKSM_lbbbEUlllE0_EEPmJS6_EEE10hipError_tPvRmT3_T4_T5_T6_T7_T9_mT8_P12ihipStream_tbDpT10_ENKUlT_T0_E_clISt17integral_constantIbLb1EES1B_IbLb0EEEEDaS17_S18_EUlS17_E_NS1_11comp_targetILNS1_3genE4ELNS1_11target_archE910ELNS1_3gpuE8ELNS1_3repE0EEENS1_30default_config_static_selectorELNS0_4arch9wavefront6targetE1EEEvT1_.num_agpr, 0
	.set _ZN7rocprim17ROCPRIM_400000_NS6detail17trampoline_kernelINS0_14default_configENS1_25partition_config_selectorILNS1_17partition_subalgoE8ElNS0_10empty_typeEbEEZZNS1_14partition_implILS5_8ELb0ES3_jPlPS6_PKS6_NS0_5tupleIJS9_S6_EEENSD_IJSA_SA_EEENS0_18inequality_wrapperIZN2at6native12_GLOBAL__N_124unique_dim_cuda_templateIhEESt5tupleIJNSH_6TensorESM_SM_EERKSM_lbbbEUlllE0_EEPmJS6_EEE10hipError_tPvRmT3_T4_T5_T6_T7_T9_mT8_P12ihipStream_tbDpT10_ENKUlT_T0_E_clISt17integral_constantIbLb1EES1B_IbLb0EEEEDaS17_S18_EUlS17_E_NS1_11comp_targetILNS1_3genE4ELNS1_11target_archE910ELNS1_3gpuE8ELNS1_3repE0EEENS1_30default_config_static_selectorELNS0_4arch9wavefront6targetE1EEEvT1_.numbered_sgpr, 0
	.set _ZN7rocprim17ROCPRIM_400000_NS6detail17trampoline_kernelINS0_14default_configENS1_25partition_config_selectorILNS1_17partition_subalgoE8ElNS0_10empty_typeEbEEZZNS1_14partition_implILS5_8ELb0ES3_jPlPS6_PKS6_NS0_5tupleIJS9_S6_EEENSD_IJSA_SA_EEENS0_18inequality_wrapperIZN2at6native12_GLOBAL__N_124unique_dim_cuda_templateIhEESt5tupleIJNSH_6TensorESM_SM_EERKSM_lbbbEUlllE0_EEPmJS6_EEE10hipError_tPvRmT3_T4_T5_T6_T7_T9_mT8_P12ihipStream_tbDpT10_ENKUlT_T0_E_clISt17integral_constantIbLb1EES1B_IbLb0EEEEDaS17_S18_EUlS17_E_NS1_11comp_targetILNS1_3genE4ELNS1_11target_archE910ELNS1_3gpuE8ELNS1_3repE0EEENS1_30default_config_static_selectorELNS0_4arch9wavefront6targetE1EEEvT1_.num_named_barrier, 0
	.set _ZN7rocprim17ROCPRIM_400000_NS6detail17trampoline_kernelINS0_14default_configENS1_25partition_config_selectorILNS1_17partition_subalgoE8ElNS0_10empty_typeEbEEZZNS1_14partition_implILS5_8ELb0ES3_jPlPS6_PKS6_NS0_5tupleIJS9_S6_EEENSD_IJSA_SA_EEENS0_18inequality_wrapperIZN2at6native12_GLOBAL__N_124unique_dim_cuda_templateIhEESt5tupleIJNSH_6TensorESM_SM_EERKSM_lbbbEUlllE0_EEPmJS6_EEE10hipError_tPvRmT3_T4_T5_T6_T7_T9_mT8_P12ihipStream_tbDpT10_ENKUlT_T0_E_clISt17integral_constantIbLb1EES1B_IbLb0EEEEDaS17_S18_EUlS17_E_NS1_11comp_targetILNS1_3genE4ELNS1_11target_archE910ELNS1_3gpuE8ELNS1_3repE0EEENS1_30default_config_static_selectorELNS0_4arch9wavefront6targetE1EEEvT1_.private_seg_size, 0
	.set _ZN7rocprim17ROCPRIM_400000_NS6detail17trampoline_kernelINS0_14default_configENS1_25partition_config_selectorILNS1_17partition_subalgoE8ElNS0_10empty_typeEbEEZZNS1_14partition_implILS5_8ELb0ES3_jPlPS6_PKS6_NS0_5tupleIJS9_S6_EEENSD_IJSA_SA_EEENS0_18inequality_wrapperIZN2at6native12_GLOBAL__N_124unique_dim_cuda_templateIhEESt5tupleIJNSH_6TensorESM_SM_EERKSM_lbbbEUlllE0_EEPmJS6_EEE10hipError_tPvRmT3_T4_T5_T6_T7_T9_mT8_P12ihipStream_tbDpT10_ENKUlT_T0_E_clISt17integral_constantIbLb1EES1B_IbLb0EEEEDaS17_S18_EUlS17_E_NS1_11comp_targetILNS1_3genE4ELNS1_11target_archE910ELNS1_3gpuE8ELNS1_3repE0EEENS1_30default_config_static_selectorELNS0_4arch9wavefront6targetE1EEEvT1_.uses_vcc, 0
	.set _ZN7rocprim17ROCPRIM_400000_NS6detail17trampoline_kernelINS0_14default_configENS1_25partition_config_selectorILNS1_17partition_subalgoE8ElNS0_10empty_typeEbEEZZNS1_14partition_implILS5_8ELb0ES3_jPlPS6_PKS6_NS0_5tupleIJS9_S6_EEENSD_IJSA_SA_EEENS0_18inequality_wrapperIZN2at6native12_GLOBAL__N_124unique_dim_cuda_templateIhEESt5tupleIJNSH_6TensorESM_SM_EERKSM_lbbbEUlllE0_EEPmJS6_EEE10hipError_tPvRmT3_T4_T5_T6_T7_T9_mT8_P12ihipStream_tbDpT10_ENKUlT_T0_E_clISt17integral_constantIbLb1EES1B_IbLb0EEEEDaS17_S18_EUlS17_E_NS1_11comp_targetILNS1_3genE4ELNS1_11target_archE910ELNS1_3gpuE8ELNS1_3repE0EEENS1_30default_config_static_selectorELNS0_4arch9wavefront6targetE1EEEvT1_.uses_flat_scratch, 0
	.set _ZN7rocprim17ROCPRIM_400000_NS6detail17trampoline_kernelINS0_14default_configENS1_25partition_config_selectorILNS1_17partition_subalgoE8ElNS0_10empty_typeEbEEZZNS1_14partition_implILS5_8ELb0ES3_jPlPS6_PKS6_NS0_5tupleIJS9_S6_EEENSD_IJSA_SA_EEENS0_18inequality_wrapperIZN2at6native12_GLOBAL__N_124unique_dim_cuda_templateIhEESt5tupleIJNSH_6TensorESM_SM_EERKSM_lbbbEUlllE0_EEPmJS6_EEE10hipError_tPvRmT3_T4_T5_T6_T7_T9_mT8_P12ihipStream_tbDpT10_ENKUlT_T0_E_clISt17integral_constantIbLb1EES1B_IbLb0EEEEDaS17_S18_EUlS17_E_NS1_11comp_targetILNS1_3genE4ELNS1_11target_archE910ELNS1_3gpuE8ELNS1_3repE0EEENS1_30default_config_static_selectorELNS0_4arch9wavefront6targetE1EEEvT1_.has_dyn_sized_stack, 0
	.set _ZN7rocprim17ROCPRIM_400000_NS6detail17trampoline_kernelINS0_14default_configENS1_25partition_config_selectorILNS1_17partition_subalgoE8ElNS0_10empty_typeEbEEZZNS1_14partition_implILS5_8ELb0ES3_jPlPS6_PKS6_NS0_5tupleIJS9_S6_EEENSD_IJSA_SA_EEENS0_18inequality_wrapperIZN2at6native12_GLOBAL__N_124unique_dim_cuda_templateIhEESt5tupleIJNSH_6TensorESM_SM_EERKSM_lbbbEUlllE0_EEPmJS6_EEE10hipError_tPvRmT3_T4_T5_T6_T7_T9_mT8_P12ihipStream_tbDpT10_ENKUlT_T0_E_clISt17integral_constantIbLb1EES1B_IbLb0EEEEDaS17_S18_EUlS17_E_NS1_11comp_targetILNS1_3genE4ELNS1_11target_archE910ELNS1_3gpuE8ELNS1_3repE0EEENS1_30default_config_static_selectorELNS0_4arch9wavefront6targetE1EEEvT1_.has_recursion, 0
	.set _ZN7rocprim17ROCPRIM_400000_NS6detail17trampoline_kernelINS0_14default_configENS1_25partition_config_selectorILNS1_17partition_subalgoE8ElNS0_10empty_typeEbEEZZNS1_14partition_implILS5_8ELb0ES3_jPlPS6_PKS6_NS0_5tupleIJS9_S6_EEENSD_IJSA_SA_EEENS0_18inequality_wrapperIZN2at6native12_GLOBAL__N_124unique_dim_cuda_templateIhEESt5tupleIJNSH_6TensorESM_SM_EERKSM_lbbbEUlllE0_EEPmJS6_EEE10hipError_tPvRmT3_T4_T5_T6_T7_T9_mT8_P12ihipStream_tbDpT10_ENKUlT_T0_E_clISt17integral_constantIbLb1EES1B_IbLb0EEEEDaS17_S18_EUlS17_E_NS1_11comp_targetILNS1_3genE4ELNS1_11target_archE910ELNS1_3gpuE8ELNS1_3repE0EEENS1_30default_config_static_selectorELNS0_4arch9wavefront6targetE1EEEvT1_.has_indirect_call, 0
	.section	.AMDGPU.csdata,"",@progbits
; Kernel info:
; codeLenInByte = 0
; TotalNumSgprs: 6
; NumVgprs: 0
; NumAgprs: 0
; TotalNumVgprs: 0
; ScratchSize: 0
; MemoryBound: 0
; FloatMode: 240
; IeeeMode: 1
; LDSByteSize: 0 bytes/workgroup (compile time only)
; SGPRBlocks: 0
; VGPRBlocks: 0
; NumSGPRsForWavesPerEU: 6
; NumVGPRsForWavesPerEU: 1
; AccumOffset: 4
; Occupancy: 8
; WaveLimiterHint : 0
; COMPUTE_PGM_RSRC2:SCRATCH_EN: 0
; COMPUTE_PGM_RSRC2:USER_SGPR: 2
; COMPUTE_PGM_RSRC2:TRAP_HANDLER: 0
; COMPUTE_PGM_RSRC2:TGID_X_EN: 1
; COMPUTE_PGM_RSRC2:TGID_Y_EN: 0
; COMPUTE_PGM_RSRC2:TGID_Z_EN: 0
; COMPUTE_PGM_RSRC2:TIDIG_COMP_CNT: 0
; COMPUTE_PGM_RSRC3_GFX90A:ACCUM_OFFSET: 0
; COMPUTE_PGM_RSRC3_GFX90A:TG_SPLIT: 0
	.section	.text._ZN7rocprim17ROCPRIM_400000_NS6detail17trampoline_kernelINS0_14default_configENS1_25partition_config_selectorILNS1_17partition_subalgoE8ElNS0_10empty_typeEbEEZZNS1_14partition_implILS5_8ELb0ES3_jPlPS6_PKS6_NS0_5tupleIJS9_S6_EEENSD_IJSA_SA_EEENS0_18inequality_wrapperIZN2at6native12_GLOBAL__N_124unique_dim_cuda_templateIhEESt5tupleIJNSH_6TensorESM_SM_EERKSM_lbbbEUlllE0_EEPmJS6_EEE10hipError_tPvRmT3_T4_T5_T6_T7_T9_mT8_P12ihipStream_tbDpT10_ENKUlT_T0_E_clISt17integral_constantIbLb1EES1B_IbLb0EEEEDaS17_S18_EUlS17_E_NS1_11comp_targetILNS1_3genE3ELNS1_11target_archE908ELNS1_3gpuE7ELNS1_3repE0EEENS1_30default_config_static_selectorELNS0_4arch9wavefront6targetE1EEEvT1_,"axG",@progbits,_ZN7rocprim17ROCPRIM_400000_NS6detail17trampoline_kernelINS0_14default_configENS1_25partition_config_selectorILNS1_17partition_subalgoE8ElNS0_10empty_typeEbEEZZNS1_14partition_implILS5_8ELb0ES3_jPlPS6_PKS6_NS0_5tupleIJS9_S6_EEENSD_IJSA_SA_EEENS0_18inequality_wrapperIZN2at6native12_GLOBAL__N_124unique_dim_cuda_templateIhEESt5tupleIJNSH_6TensorESM_SM_EERKSM_lbbbEUlllE0_EEPmJS6_EEE10hipError_tPvRmT3_T4_T5_T6_T7_T9_mT8_P12ihipStream_tbDpT10_ENKUlT_T0_E_clISt17integral_constantIbLb1EES1B_IbLb0EEEEDaS17_S18_EUlS17_E_NS1_11comp_targetILNS1_3genE3ELNS1_11target_archE908ELNS1_3gpuE7ELNS1_3repE0EEENS1_30default_config_static_selectorELNS0_4arch9wavefront6targetE1EEEvT1_,comdat
	.globl	_ZN7rocprim17ROCPRIM_400000_NS6detail17trampoline_kernelINS0_14default_configENS1_25partition_config_selectorILNS1_17partition_subalgoE8ElNS0_10empty_typeEbEEZZNS1_14partition_implILS5_8ELb0ES3_jPlPS6_PKS6_NS0_5tupleIJS9_S6_EEENSD_IJSA_SA_EEENS0_18inequality_wrapperIZN2at6native12_GLOBAL__N_124unique_dim_cuda_templateIhEESt5tupleIJNSH_6TensorESM_SM_EERKSM_lbbbEUlllE0_EEPmJS6_EEE10hipError_tPvRmT3_T4_T5_T6_T7_T9_mT8_P12ihipStream_tbDpT10_ENKUlT_T0_E_clISt17integral_constantIbLb1EES1B_IbLb0EEEEDaS17_S18_EUlS17_E_NS1_11comp_targetILNS1_3genE3ELNS1_11target_archE908ELNS1_3gpuE7ELNS1_3repE0EEENS1_30default_config_static_selectorELNS0_4arch9wavefront6targetE1EEEvT1_ ; -- Begin function _ZN7rocprim17ROCPRIM_400000_NS6detail17trampoline_kernelINS0_14default_configENS1_25partition_config_selectorILNS1_17partition_subalgoE8ElNS0_10empty_typeEbEEZZNS1_14partition_implILS5_8ELb0ES3_jPlPS6_PKS6_NS0_5tupleIJS9_S6_EEENSD_IJSA_SA_EEENS0_18inequality_wrapperIZN2at6native12_GLOBAL__N_124unique_dim_cuda_templateIhEESt5tupleIJNSH_6TensorESM_SM_EERKSM_lbbbEUlllE0_EEPmJS6_EEE10hipError_tPvRmT3_T4_T5_T6_T7_T9_mT8_P12ihipStream_tbDpT10_ENKUlT_T0_E_clISt17integral_constantIbLb1EES1B_IbLb0EEEEDaS17_S18_EUlS17_E_NS1_11comp_targetILNS1_3genE3ELNS1_11target_archE908ELNS1_3gpuE7ELNS1_3repE0EEENS1_30default_config_static_selectorELNS0_4arch9wavefront6targetE1EEEvT1_
	.p2align	8
	.type	_ZN7rocprim17ROCPRIM_400000_NS6detail17trampoline_kernelINS0_14default_configENS1_25partition_config_selectorILNS1_17partition_subalgoE8ElNS0_10empty_typeEbEEZZNS1_14partition_implILS5_8ELb0ES3_jPlPS6_PKS6_NS0_5tupleIJS9_S6_EEENSD_IJSA_SA_EEENS0_18inequality_wrapperIZN2at6native12_GLOBAL__N_124unique_dim_cuda_templateIhEESt5tupleIJNSH_6TensorESM_SM_EERKSM_lbbbEUlllE0_EEPmJS6_EEE10hipError_tPvRmT3_T4_T5_T6_T7_T9_mT8_P12ihipStream_tbDpT10_ENKUlT_T0_E_clISt17integral_constantIbLb1EES1B_IbLb0EEEEDaS17_S18_EUlS17_E_NS1_11comp_targetILNS1_3genE3ELNS1_11target_archE908ELNS1_3gpuE7ELNS1_3repE0EEENS1_30default_config_static_selectorELNS0_4arch9wavefront6targetE1EEEvT1_,@function
_ZN7rocprim17ROCPRIM_400000_NS6detail17trampoline_kernelINS0_14default_configENS1_25partition_config_selectorILNS1_17partition_subalgoE8ElNS0_10empty_typeEbEEZZNS1_14partition_implILS5_8ELb0ES3_jPlPS6_PKS6_NS0_5tupleIJS9_S6_EEENSD_IJSA_SA_EEENS0_18inequality_wrapperIZN2at6native12_GLOBAL__N_124unique_dim_cuda_templateIhEESt5tupleIJNSH_6TensorESM_SM_EERKSM_lbbbEUlllE0_EEPmJS6_EEE10hipError_tPvRmT3_T4_T5_T6_T7_T9_mT8_P12ihipStream_tbDpT10_ENKUlT_T0_E_clISt17integral_constantIbLb1EES1B_IbLb0EEEEDaS17_S18_EUlS17_E_NS1_11comp_targetILNS1_3genE3ELNS1_11target_archE908ELNS1_3gpuE7ELNS1_3repE0EEENS1_30default_config_static_selectorELNS0_4arch9wavefront6targetE1EEEvT1_: ; @_ZN7rocprim17ROCPRIM_400000_NS6detail17trampoline_kernelINS0_14default_configENS1_25partition_config_selectorILNS1_17partition_subalgoE8ElNS0_10empty_typeEbEEZZNS1_14partition_implILS5_8ELb0ES3_jPlPS6_PKS6_NS0_5tupleIJS9_S6_EEENSD_IJSA_SA_EEENS0_18inequality_wrapperIZN2at6native12_GLOBAL__N_124unique_dim_cuda_templateIhEESt5tupleIJNSH_6TensorESM_SM_EERKSM_lbbbEUlllE0_EEPmJS6_EEE10hipError_tPvRmT3_T4_T5_T6_T7_T9_mT8_P12ihipStream_tbDpT10_ENKUlT_T0_E_clISt17integral_constantIbLb1EES1B_IbLb0EEEEDaS17_S18_EUlS17_E_NS1_11comp_targetILNS1_3genE3ELNS1_11target_archE908ELNS1_3gpuE7ELNS1_3repE0EEENS1_30default_config_static_selectorELNS0_4arch9wavefront6targetE1EEEvT1_
; %bb.0:
	.section	.rodata,"a",@progbits
	.p2align	6, 0x0
	.amdhsa_kernel _ZN7rocprim17ROCPRIM_400000_NS6detail17trampoline_kernelINS0_14default_configENS1_25partition_config_selectorILNS1_17partition_subalgoE8ElNS0_10empty_typeEbEEZZNS1_14partition_implILS5_8ELb0ES3_jPlPS6_PKS6_NS0_5tupleIJS9_S6_EEENSD_IJSA_SA_EEENS0_18inequality_wrapperIZN2at6native12_GLOBAL__N_124unique_dim_cuda_templateIhEESt5tupleIJNSH_6TensorESM_SM_EERKSM_lbbbEUlllE0_EEPmJS6_EEE10hipError_tPvRmT3_T4_T5_T6_T7_T9_mT8_P12ihipStream_tbDpT10_ENKUlT_T0_E_clISt17integral_constantIbLb1EES1B_IbLb0EEEEDaS17_S18_EUlS17_E_NS1_11comp_targetILNS1_3genE3ELNS1_11target_archE908ELNS1_3gpuE7ELNS1_3repE0EEENS1_30default_config_static_selectorELNS0_4arch9wavefront6targetE1EEEvT1_
		.amdhsa_group_segment_fixed_size 0
		.amdhsa_private_segment_fixed_size 0
		.amdhsa_kernarg_size 120
		.amdhsa_user_sgpr_count 2
		.amdhsa_user_sgpr_dispatch_ptr 0
		.amdhsa_user_sgpr_queue_ptr 0
		.amdhsa_user_sgpr_kernarg_segment_ptr 1
		.amdhsa_user_sgpr_dispatch_id 0
		.amdhsa_user_sgpr_kernarg_preload_length 0
		.amdhsa_user_sgpr_kernarg_preload_offset 0
		.amdhsa_user_sgpr_private_segment_size 0
		.amdhsa_uses_dynamic_stack 0
		.amdhsa_enable_private_segment 0
		.amdhsa_system_sgpr_workgroup_id_x 1
		.amdhsa_system_sgpr_workgroup_id_y 0
		.amdhsa_system_sgpr_workgroup_id_z 0
		.amdhsa_system_sgpr_workgroup_info 0
		.amdhsa_system_vgpr_workitem_id 0
		.amdhsa_next_free_vgpr 1
		.amdhsa_next_free_sgpr 0
		.amdhsa_accum_offset 4
		.amdhsa_reserve_vcc 0
		.amdhsa_float_round_mode_32 0
		.amdhsa_float_round_mode_16_64 0
		.amdhsa_float_denorm_mode_32 3
		.amdhsa_float_denorm_mode_16_64 3
		.amdhsa_dx10_clamp 1
		.amdhsa_ieee_mode 1
		.amdhsa_fp16_overflow 0
		.amdhsa_tg_split 0
		.amdhsa_exception_fp_ieee_invalid_op 0
		.amdhsa_exception_fp_denorm_src 0
		.amdhsa_exception_fp_ieee_div_zero 0
		.amdhsa_exception_fp_ieee_overflow 0
		.amdhsa_exception_fp_ieee_underflow 0
		.amdhsa_exception_fp_ieee_inexact 0
		.amdhsa_exception_int_div_zero 0
	.end_amdhsa_kernel
	.section	.text._ZN7rocprim17ROCPRIM_400000_NS6detail17trampoline_kernelINS0_14default_configENS1_25partition_config_selectorILNS1_17partition_subalgoE8ElNS0_10empty_typeEbEEZZNS1_14partition_implILS5_8ELb0ES3_jPlPS6_PKS6_NS0_5tupleIJS9_S6_EEENSD_IJSA_SA_EEENS0_18inequality_wrapperIZN2at6native12_GLOBAL__N_124unique_dim_cuda_templateIhEESt5tupleIJNSH_6TensorESM_SM_EERKSM_lbbbEUlllE0_EEPmJS6_EEE10hipError_tPvRmT3_T4_T5_T6_T7_T9_mT8_P12ihipStream_tbDpT10_ENKUlT_T0_E_clISt17integral_constantIbLb1EES1B_IbLb0EEEEDaS17_S18_EUlS17_E_NS1_11comp_targetILNS1_3genE3ELNS1_11target_archE908ELNS1_3gpuE7ELNS1_3repE0EEENS1_30default_config_static_selectorELNS0_4arch9wavefront6targetE1EEEvT1_,"axG",@progbits,_ZN7rocprim17ROCPRIM_400000_NS6detail17trampoline_kernelINS0_14default_configENS1_25partition_config_selectorILNS1_17partition_subalgoE8ElNS0_10empty_typeEbEEZZNS1_14partition_implILS5_8ELb0ES3_jPlPS6_PKS6_NS0_5tupleIJS9_S6_EEENSD_IJSA_SA_EEENS0_18inequality_wrapperIZN2at6native12_GLOBAL__N_124unique_dim_cuda_templateIhEESt5tupleIJNSH_6TensorESM_SM_EERKSM_lbbbEUlllE0_EEPmJS6_EEE10hipError_tPvRmT3_T4_T5_T6_T7_T9_mT8_P12ihipStream_tbDpT10_ENKUlT_T0_E_clISt17integral_constantIbLb1EES1B_IbLb0EEEEDaS17_S18_EUlS17_E_NS1_11comp_targetILNS1_3genE3ELNS1_11target_archE908ELNS1_3gpuE7ELNS1_3repE0EEENS1_30default_config_static_selectorELNS0_4arch9wavefront6targetE1EEEvT1_,comdat
.Lfunc_end190:
	.size	_ZN7rocprim17ROCPRIM_400000_NS6detail17trampoline_kernelINS0_14default_configENS1_25partition_config_selectorILNS1_17partition_subalgoE8ElNS0_10empty_typeEbEEZZNS1_14partition_implILS5_8ELb0ES3_jPlPS6_PKS6_NS0_5tupleIJS9_S6_EEENSD_IJSA_SA_EEENS0_18inequality_wrapperIZN2at6native12_GLOBAL__N_124unique_dim_cuda_templateIhEESt5tupleIJNSH_6TensorESM_SM_EERKSM_lbbbEUlllE0_EEPmJS6_EEE10hipError_tPvRmT3_T4_T5_T6_T7_T9_mT8_P12ihipStream_tbDpT10_ENKUlT_T0_E_clISt17integral_constantIbLb1EES1B_IbLb0EEEEDaS17_S18_EUlS17_E_NS1_11comp_targetILNS1_3genE3ELNS1_11target_archE908ELNS1_3gpuE7ELNS1_3repE0EEENS1_30default_config_static_selectorELNS0_4arch9wavefront6targetE1EEEvT1_, .Lfunc_end190-_ZN7rocprim17ROCPRIM_400000_NS6detail17trampoline_kernelINS0_14default_configENS1_25partition_config_selectorILNS1_17partition_subalgoE8ElNS0_10empty_typeEbEEZZNS1_14partition_implILS5_8ELb0ES3_jPlPS6_PKS6_NS0_5tupleIJS9_S6_EEENSD_IJSA_SA_EEENS0_18inequality_wrapperIZN2at6native12_GLOBAL__N_124unique_dim_cuda_templateIhEESt5tupleIJNSH_6TensorESM_SM_EERKSM_lbbbEUlllE0_EEPmJS6_EEE10hipError_tPvRmT3_T4_T5_T6_T7_T9_mT8_P12ihipStream_tbDpT10_ENKUlT_T0_E_clISt17integral_constantIbLb1EES1B_IbLb0EEEEDaS17_S18_EUlS17_E_NS1_11comp_targetILNS1_3genE3ELNS1_11target_archE908ELNS1_3gpuE7ELNS1_3repE0EEENS1_30default_config_static_selectorELNS0_4arch9wavefront6targetE1EEEvT1_
                                        ; -- End function
	.set _ZN7rocprim17ROCPRIM_400000_NS6detail17trampoline_kernelINS0_14default_configENS1_25partition_config_selectorILNS1_17partition_subalgoE8ElNS0_10empty_typeEbEEZZNS1_14partition_implILS5_8ELb0ES3_jPlPS6_PKS6_NS0_5tupleIJS9_S6_EEENSD_IJSA_SA_EEENS0_18inequality_wrapperIZN2at6native12_GLOBAL__N_124unique_dim_cuda_templateIhEESt5tupleIJNSH_6TensorESM_SM_EERKSM_lbbbEUlllE0_EEPmJS6_EEE10hipError_tPvRmT3_T4_T5_T6_T7_T9_mT8_P12ihipStream_tbDpT10_ENKUlT_T0_E_clISt17integral_constantIbLb1EES1B_IbLb0EEEEDaS17_S18_EUlS17_E_NS1_11comp_targetILNS1_3genE3ELNS1_11target_archE908ELNS1_3gpuE7ELNS1_3repE0EEENS1_30default_config_static_selectorELNS0_4arch9wavefront6targetE1EEEvT1_.num_vgpr, 0
	.set _ZN7rocprim17ROCPRIM_400000_NS6detail17trampoline_kernelINS0_14default_configENS1_25partition_config_selectorILNS1_17partition_subalgoE8ElNS0_10empty_typeEbEEZZNS1_14partition_implILS5_8ELb0ES3_jPlPS6_PKS6_NS0_5tupleIJS9_S6_EEENSD_IJSA_SA_EEENS0_18inequality_wrapperIZN2at6native12_GLOBAL__N_124unique_dim_cuda_templateIhEESt5tupleIJNSH_6TensorESM_SM_EERKSM_lbbbEUlllE0_EEPmJS6_EEE10hipError_tPvRmT3_T4_T5_T6_T7_T9_mT8_P12ihipStream_tbDpT10_ENKUlT_T0_E_clISt17integral_constantIbLb1EES1B_IbLb0EEEEDaS17_S18_EUlS17_E_NS1_11comp_targetILNS1_3genE3ELNS1_11target_archE908ELNS1_3gpuE7ELNS1_3repE0EEENS1_30default_config_static_selectorELNS0_4arch9wavefront6targetE1EEEvT1_.num_agpr, 0
	.set _ZN7rocprim17ROCPRIM_400000_NS6detail17trampoline_kernelINS0_14default_configENS1_25partition_config_selectorILNS1_17partition_subalgoE8ElNS0_10empty_typeEbEEZZNS1_14partition_implILS5_8ELb0ES3_jPlPS6_PKS6_NS0_5tupleIJS9_S6_EEENSD_IJSA_SA_EEENS0_18inequality_wrapperIZN2at6native12_GLOBAL__N_124unique_dim_cuda_templateIhEESt5tupleIJNSH_6TensorESM_SM_EERKSM_lbbbEUlllE0_EEPmJS6_EEE10hipError_tPvRmT3_T4_T5_T6_T7_T9_mT8_P12ihipStream_tbDpT10_ENKUlT_T0_E_clISt17integral_constantIbLb1EES1B_IbLb0EEEEDaS17_S18_EUlS17_E_NS1_11comp_targetILNS1_3genE3ELNS1_11target_archE908ELNS1_3gpuE7ELNS1_3repE0EEENS1_30default_config_static_selectorELNS0_4arch9wavefront6targetE1EEEvT1_.numbered_sgpr, 0
	.set _ZN7rocprim17ROCPRIM_400000_NS6detail17trampoline_kernelINS0_14default_configENS1_25partition_config_selectorILNS1_17partition_subalgoE8ElNS0_10empty_typeEbEEZZNS1_14partition_implILS5_8ELb0ES3_jPlPS6_PKS6_NS0_5tupleIJS9_S6_EEENSD_IJSA_SA_EEENS0_18inequality_wrapperIZN2at6native12_GLOBAL__N_124unique_dim_cuda_templateIhEESt5tupleIJNSH_6TensorESM_SM_EERKSM_lbbbEUlllE0_EEPmJS6_EEE10hipError_tPvRmT3_T4_T5_T6_T7_T9_mT8_P12ihipStream_tbDpT10_ENKUlT_T0_E_clISt17integral_constantIbLb1EES1B_IbLb0EEEEDaS17_S18_EUlS17_E_NS1_11comp_targetILNS1_3genE3ELNS1_11target_archE908ELNS1_3gpuE7ELNS1_3repE0EEENS1_30default_config_static_selectorELNS0_4arch9wavefront6targetE1EEEvT1_.num_named_barrier, 0
	.set _ZN7rocprim17ROCPRIM_400000_NS6detail17trampoline_kernelINS0_14default_configENS1_25partition_config_selectorILNS1_17partition_subalgoE8ElNS0_10empty_typeEbEEZZNS1_14partition_implILS5_8ELb0ES3_jPlPS6_PKS6_NS0_5tupleIJS9_S6_EEENSD_IJSA_SA_EEENS0_18inequality_wrapperIZN2at6native12_GLOBAL__N_124unique_dim_cuda_templateIhEESt5tupleIJNSH_6TensorESM_SM_EERKSM_lbbbEUlllE0_EEPmJS6_EEE10hipError_tPvRmT3_T4_T5_T6_T7_T9_mT8_P12ihipStream_tbDpT10_ENKUlT_T0_E_clISt17integral_constantIbLb1EES1B_IbLb0EEEEDaS17_S18_EUlS17_E_NS1_11comp_targetILNS1_3genE3ELNS1_11target_archE908ELNS1_3gpuE7ELNS1_3repE0EEENS1_30default_config_static_selectorELNS0_4arch9wavefront6targetE1EEEvT1_.private_seg_size, 0
	.set _ZN7rocprim17ROCPRIM_400000_NS6detail17trampoline_kernelINS0_14default_configENS1_25partition_config_selectorILNS1_17partition_subalgoE8ElNS0_10empty_typeEbEEZZNS1_14partition_implILS5_8ELb0ES3_jPlPS6_PKS6_NS0_5tupleIJS9_S6_EEENSD_IJSA_SA_EEENS0_18inequality_wrapperIZN2at6native12_GLOBAL__N_124unique_dim_cuda_templateIhEESt5tupleIJNSH_6TensorESM_SM_EERKSM_lbbbEUlllE0_EEPmJS6_EEE10hipError_tPvRmT3_T4_T5_T6_T7_T9_mT8_P12ihipStream_tbDpT10_ENKUlT_T0_E_clISt17integral_constantIbLb1EES1B_IbLb0EEEEDaS17_S18_EUlS17_E_NS1_11comp_targetILNS1_3genE3ELNS1_11target_archE908ELNS1_3gpuE7ELNS1_3repE0EEENS1_30default_config_static_selectorELNS0_4arch9wavefront6targetE1EEEvT1_.uses_vcc, 0
	.set _ZN7rocprim17ROCPRIM_400000_NS6detail17trampoline_kernelINS0_14default_configENS1_25partition_config_selectorILNS1_17partition_subalgoE8ElNS0_10empty_typeEbEEZZNS1_14partition_implILS5_8ELb0ES3_jPlPS6_PKS6_NS0_5tupleIJS9_S6_EEENSD_IJSA_SA_EEENS0_18inequality_wrapperIZN2at6native12_GLOBAL__N_124unique_dim_cuda_templateIhEESt5tupleIJNSH_6TensorESM_SM_EERKSM_lbbbEUlllE0_EEPmJS6_EEE10hipError_tPvRmT3_T4_T5_T6_T7_T9_mT8_P12ihipStream_tbDpT10_ENKUlT_T0_E_clISt17integral_constantIbLb1EES1B_IbLb0EEEEDaS17_S18_EUlS17_E_NS1_11comp_targetILNS1_3genE3ELNS1_11target_archE908ELNS1_3gpuE7ELNS1_3repE0EEENS1_30default_config_static_selectorELNS0_4arch9wavefront6targetE1EEEvT1_.uses_flat_scratch, 0
	.set _ZN7rocprim17ROCPRIM_400000_NS6detail17trampoline_kernelINS0_14default_configENS1_25partition_config_selectorILNS1_17partition_subalgoE8ElNS0_10empty_typeEbEEZZNS1_14partition_implILS5_8ELb0ES3_jPlPS6_PKS6_NS0_5tupleIJS9_S6_EEENSD_IJSA_SA_EEENS0_18inequality_wrapperIZN2at6native12_GLOBAL__N_124unique_dim_cuda_templateIhEESt5tupleIJNSH_6TensorESM_SM_EERKSM_lbbbEUlllE0_EEPmJS6_EEE10hipError_tPvRmT3_T4_T5_T6_T7_T9_mT8_P12ihipStream_tbDpT10_ENKUlT_T0_E_clISt17integral_constantIbLb1EES1B_IbLb0EEEEDaS17_S18_EUlS17_E_NS1_11comp_targetILNS1_3genE3ELNS1_11target_archE908ELNS1_3gpuE7ELNS1_3repE0EEENS1_30default_config_static_selectorELNS0_4arch9wavefront6targetE1EEEvT1_.has_dyn_sized_stack, 0
	.set _ZN7rocprim17ROCPRIM_400000_NS6detail17trampoline_kernelINS0_14default_configENS1_25partition_config_selectorILNS1_17partition_subalgoE8ElNS0_10empty_typeEbEEZZNS1_14partition_implILS5_8ELb0ES3_jPlPS6_PKS6_NS0_5tupleIJS9_S6_EEENSD_IJSA_SA_EEENS0_18inequality_wrapperIZN2at6native12_GLOBAL__N_124unique_dim_cuda_templateIhEESt5tupleIJNSH_6TensorESM_SM_EERKSM_lbbbEUlllE0_EEPmJS6_EEE10hipError_tPvRmT3_T4_T5_T6_T7_T9_mT8_P12ihipStream_tbDpT10_ENKUlT_T0_E_clISt17integral_constantIbLb1EES1B_IbLb0EEEEDaS17_S18_EUlS17_E_NS1_11comp_targetILNS1_3genE3ELNS1_11target_archE908ELNS1_3gpuE7ELNS1_3repE0EEENS1_30default_config_static_selectorELNS0_4arch9wavefront6targetE1EEEvT1_.has_recursion, 0
	.set _ZN7rocprim17ROCPRIM_400000_NS6detail17trampoline_kernelINS0_14default_configENS1_25partition_config_selectorILNS1_17partition_subalgoE8ElNS0_10empty_typeEbEEZZNS1_14partition_implILS5_8ELb0ES3_jPlPS6_PKS6_NS0_5tupleIJS9_S6_EEENSD_IJSA_SA_EEENS0_18inequality_wrapperIZN2at6native12_GLOBAL__N_124unique_dim_cuda_templateIhEESt5tupleIJNSH_6TensorESM_SM_EERKSM_lbbbEUlllE0_EEPmJS6_EEE10hipError_tPvRmT3_T4_T5_T6_T7_T9_mT8_P12ihipStream_tbDpT10_ENKUlT_T0_E_clISt17integral_constantIbLb1EES1B_IbLb0EEEEDaS17_S18_EUlS17_E_NS1_11comp_targetILNS1_3genE3ELNS1_11target_archE908ELNS1_3gpuE7ELNS1_3repE0EEENS1_30default_config_static_selectorELNS0_4arch9wavefront6targetE1EEEvT1_.has_indirect_call, 0
	.section	.AMDGPU.csdata,"",@progbits
; Kernel info:
; codeLenInByte = 0
; TotalNumSgprs: 6
; NumVgprs: 0
; NumAgprs: 0
; TotalNumVgprs: 0
; ScratchSize: 0
; MemoryBound: 0
; FloatMode: 240
; IeeeMode: 1
; LDSByteSize: 0 bytes/workgroup (compile time only)
; SGPRBlocks: 0
; VGPRBlocks: 0
; NumSGPRsForWavesPerEU: 6
; NumVGPRsForWavesPerEU: 1
; AccumOffset: 4
; Occupancy: 8
; WaveLimiterHint : 0
; COMPUTE_PGM_RSRC2:SCRATCH_EN: 0
; COMPUTE_PGM_RSRC2:USER_SGPR: 2
; COMPUTE_PGM_RSRC2:TRAP_HANDLER: 0
; COMPUTE_PGM_RSRC2:TGID_X_EN: 1
; COMPUTE_PGM_RSRC2:TGID_Y_EN: 0
; COMPUTE_PGM_RSRC2:TGID_Z_EN: 0
; COMPUTE_PGM_RSRC2:TIDIG_COMP_CNT: 0
; COMPUTE_PGM_RSRC3_GFX90A:ACCUM_OFFSET: 0
; COMPUTE_PGM_RSRC3_GFX90A:TG_SPLIT: 0
	.section	.text._ZN7rocprim17ROCPRIM_400000_NS6detail17trampoline_kernelINS0_14default_configENS1_25partition_config_selectorILNS1_17partition_subalgoE8ElNS0_10empty_typeEbEEZZNS1_14partition_implILS5_8ELb0ES3_jPlPS6_PKS6_NS0_5tupleIJS9_S6_EEENSD_IJSA_SA_EEENS0_18inequality_wrapperIZN2at6native12_GLOBAL__N_124unique_dim_cuda_templateIhEESt5tupleIJNSH_6TensorESM_SM_EERKSM_lbbbEUlllE0_EEPmJS6_EEE10hipError_tPvRmT3_T4_T5_T6_T7_T9_mT8_P12ihipStream_tbDpT10_ENKUlT_T0_E_clISt17integral_constantIbLb1EES1B_IbLb0EEEEDaS17_S18_EUlS17_E_NS1_11comp_targetILNS1_3genE2ELNS1_11target_archE906ELNS1_3gpuE6ELNS1_3repE0EEENS1_30default_config_static_selectorELNS0_4arch9wavefront6targetE1EEEvT1_,"axG",@progbits,_ZN7rocprim17ROCPRIM_400000_NS6detail17trampoline_kernelINS0_14default_configENS1_25partition_config_selectorILNS1_17partition_subalgoE8ElNS0_10empty_typeEbEEZZNS1_14partition_implILS5_8ELb0ES3_jPlPS6_PKS6_NS0_5tupleIJS9_S6_EEENSD_IJSA_SA_EEENS0_18inequality_wrapperIZN2at6native12_GLOBAL__N_124unique_dim_cuda_templateIhEESt5tupleIJNSH_6TensorESM_SM_EERKSM_lbbbEUlllE0_EEPmJS6_EEE10hipError_tPvRmT3_T4_T5_T6_T7_T9_mT8_P12ihipStream_tbDpT10_ENKUlT_T0_E_clISt17integral_constantIbLb1EES1B_IbLb0EEEEDaS17_S18_EUlS17_E_NS1_11comp_targetILNS1_3genE2ELNS1_11target_archE906ELNS1_3gpuE6ELNS1_3repE0EEENS1_30default_config_static_selectorELNS0_4arch9wavefront6targetE1EEEvT1_,comdat
	.globl	_ZN7rocprim17ROCPRIM_400000_NS6detail17trampoline_kernelINS0_14default_configENS1_25partition_config_selectorILNS1_17partition_subalgoE8ElNS0_10empty_typeEbEEZZNS1_14partition_implILS5_8ELb0ES3_jPlPS6_PKS6_NS0_5tupleIJS9_S6_EEENSD_IJSA_SA_EEENS0_18inequality_wrapperIZN2at6native12_GLOBAL__N_124unique_dim_cuda_templateIhEESt5tupleIJNSH_6TensorESM_SM_EERKSM_lbbbEUlllE0_EEPmJS6_EEE10hipError_tPvRmT3_T4_T5_T6_T7_T9_mT8_P12ihipStream_tbDpT10_ENKUlT_T0_E_clISt17integral_constantIbLb1EES1B_IbLb0EEEEDaS17_S18_EUlS17_E_NS1_11comp_targetILNS1_3genE2ELNS1_11target_archE906ELNS1_3gpuE6ELNS1_3repE0EEENS1_30default_config_static_selectorELNS0_4arch9wavefront6targetE1EEEvT1_ ; -- Begin function _ZN7rocprim17ROCPRIM_400000_NS6detail17trampoline_kernelINS0_14default_configENS1_25partition_config_selectorILNS1_17partition_subalgoE8ElNS0_10empty_typeEbEEZZNS1_14partition_implILS5_8ELb0ES3_jPlPS6_PKS6_NS0_5tupleIJS9_S6_EEENSD_IJSA_SA_EEENS0_18inequality_wrapperIZN2at6native12_GLOBAL__N_124unique_dim_cuda_templateIhEESt5tupleIJNSH_6TensorESM_SM_EERKSM_lbbbEUlllE0_EEPmJS6_EEE10hipError_tPvRmT3_T4_T5_T6_T7_T9_mT8_P12ihipStream_tbDpT10_ENKUlT_T0_E_clISt17integral_constantIbLb1EES1B_IbLb0EEEEDaS17_S18_EUlS17_E_NS1_11comp_targetILNS1_3genE2ELNS1_11target_archE906ELNS1_3gpuE6ELNS1_3repE0EEENS1_30default_config_static_selectorELNS0_4arch9wavefront6targetE1EEEvT1_
	.p2align	8
	.type	_ZN7rocprim17ROCPRIM_400000_NS6detail17trampoline_kernelINS0_14default_configENS1_25partition_config_selectorILNS1_17partition_subalgoE8ElNS0_10empty_typeEbEEZZNS1_14partition_implILS5_8ELb0ES3_jPlPS6_PKS6_NS0_5tupleIJS9_S6_EEENSD_IJSA_SA_EEENS0_18inequality_wrapperIZN2at6native12_GLOBAL__N_124unique_dim_cuda_templateIhEESt5tupleIJNSH_6TensorESM_SM_EERKSM_lbbbEUlllE0_EEPmJS6_EEE10hipError_tPvRmT3_T4_T5_T6_T7_T9_mT8_P12ihipStream_tbDpT10_ENKUlT_T0_E_clISt17integral_constantIbLb1EES1B_IbLb0EEEEDaS17_S18_EUlS17_E_NS1_11comp_targetILNS1_3genE2ELNS1_11target_archE906ELNS1_3gpuE6ELNS1_3repE0EEENS1_30default_config_static_selectorELNS0_4arch9wavefront6targetE1EEEvT1_,@function
_ZN7rocprim17ROCPRIM_400000_NS6detail17trampoline_kernelINS0_14default_configENS1_25partition_config_selectorILNS1_17partition_subalgoE8ElNS0_10empty_typeEbEEZZNS1_14partition_implILS5_8ELb0ES3_jPlPS6_PKS6_NS0_5tupleIJS9_S6_EEENSD_IJSA_SA_EEENS0_18inequality_wrapperIZN2at6native12_GLOBAL__N_124unique_dim_cuda_templateIhEESt5tupleIJNSH_6TensorESM_SM_EERKSM_lbbbEUlllE0_EEPmJS6_EEE10hipError_tPvRmT3_T4_T5_T6_T7_T9_mT8_P12ihipStream_tbDpT10_ENKUlT_T0_E_clISt17integral_constantIbLb1EES1B_IbLb0EEEEDaS17_S18_EUlS17_E_NS1_11comp_targetILNS1_3genE2ELNS1_11target_archE906ELNS1_3gpuE6ELNS1_3repE0EEENS1_30default_config_static_selectorELNS0_4arch9wavefront6targetE1EEEvT1_: ; @_ZN7rocprim17ROCPRIM_400000_NS6detail17trampoline_kernelINS0_14default_configENS1_25partition_config_selectorILNS1_17partition_subalgoE8ElNS0_10empty_typeEbEEZZNS1_14partition_implILS5_8ELb0ES3_jPlPS6_PKS6_NS0_5tupleIJS9_S6_EEENSD_IJSA_SA_EEENS0_18inequality_wrapperIZN2at6native12_GLOBAL__N_124unique_dim_cuda_templateIhEESt5tupleIJNSH_6TensorESM_SM_EERKSM_lbbbEUlllE0_EEPmJS6_EEE10hipError_tPvRmT3_T4_T5_T6_T7_T9_mT8_P12ihipStream_tbDpT10_ENKUlT_T0_E_clISt17integral_constantIbLb1EES1B_IbLb0EEEEDaS17_S18_EUlS17_E_NS1_11comp_targetILNS1_3genE2ELNS1_11target_archE906ELNS1_3gpuE6ELNS1_3repE0EEENS1_30default_config_static_selectorELNS0_4arch9wavefront6targetE1EEEvT1_
; %bb.0:
	.section	.rodata,"a",@progbits
	.p2align	6, 0x0
	.amdhsa_kernel _ZN7rocprim17ROCPRIM_400000_NS6detail17trampoline_kernelINS0_14default_configENS1_25partition_config_selectorILNS1_17partition_subalgoE8ElNS0_10empty_typeEbEEZZNS1_14partition_implILS5_8ELb0ES3_jPlPS6_PKS6_NS0_5tupleIJS9_S6_EEENSD_IJSA_SA_EEENS0_18inequality_wrapperIZN2at6native12_GLOBAL__N_124unique_dim_cuda_templateIhEESt5tupleIJNSH_6TensorESM_SM_EERKSM_lbbbEUlllE0_EEPmJS6_EEE10hipError_tPvRmT3_T4_T5_T6_T7_T9_mT8_P12ihipStream_tbDpT10_ENKUlT_T0_E_clISt17integral_constantIbLb1EES1B_IbLb0EEEEDaS17_S18_EUlS17_E_NS1_11comp_targetILNS1_3genE2ELNS1_11target_archE906ELNS1_3gpuE6ELNS1_3repE0EEENS1_30default_config_static_selectorELNS0_4arch9wavefront6targetE1EEEvT1_
		.amdhsa_group_segment_fixed_size 0
		.amdhsa_private_segment_fixed_size 0
		.amdhsa_kernarg_size 120
		.amdhsa_user_sgpr_count 2
		.amdhsa_user_sgpr_dispatch_ptr 0
		.amdhsa_user_sgpr_queue_ptr 0
		.amdhsa_user_sgpr_kernarg_segment_ptr 1
		.amdhsa_user_sgpr_dispatch_id 0
		.amdhsa_user_sgpr_kernarg_preload_length 0
		.amdhsa_user_sgpr_kernarg_preload_offset 0
		.amdhsa_user_sgpr_private_segment_size 0
		.amdhsa_uses_dynamic_stack 0
		.amdhsa_enable_private_segment 0
		.amdhsa_system_sgpr_workgroup_id_x 1
		.amdhsa_system_sgpr_workgroup_id_y 0
		.amdhsa_system_sgpr_workgroup_id_z 0
		.amdhsa_system_sgpr_workgroup_info 0
		.amdhsa_system_vgpr_workitem_id 0
		.amdhsa_next_free_vgpr 1
		.amdhsa_next_free_sgpr 0
		.amdhsa_accum_offset 4
		.amdhsa_reserve_vcc 0
		.amdhsa_float_round_mode_32 0
		.amdhsa_float_round_mode_16_64 0
		.amdhsa_float_denorm_mode_32 3
		.amdhsa_float_denorm_mode_16_64 3
		.amdhsa_dx10_clamp 1
		.amdhsa_ieee_mode 1
		.amdhsa_fp16_overflow 0
		.amdhsa_tg_split 0
		.amdhsa_exception_fp_ieee_invalid_op 0
		.amdhsa_exception_fp_denorm_src 0
		.amdhsa_exception_fp_ieee_div_zero 0
		.amdhsa_exception_fp_ieee_overflow 0
		.amdhsa_exception_fp_ieee_underflow 0
		.amdhsa_exception_fp_ieee_inexact 0
		.amdhsa_exception_int_div_zero 0
	.end_amdhsa_kernel
	.section	.text._ZN7rocprim17ROCPRIM_400000_NS6detail17trampoline_kernelINS0_14default_configENS1_25partition_config_selectorILNS1_17partition_subalgoE8ElNS0_10empty_typeEbEEZZNS1_14partition_implILS5_8ELb0ES3_jPlPS6_PKS6_NS0_5tupleIJS9_S6_EEENSD_IJSA_SA_EEENS0_18inequality_wrapperIZN2at6native12_GLOBAL__N_124unique_dim_cuda_templateIhEESt5tupleIJNSH_6TensorESM_SM_EERKSM_lbbbEUlllE0_EEPmJS6_EEE10hipError_tPvRmT3_T4_T5_T6_T7_T9_mT8_P12ihipStream_tbDpT10_ENKUlT_T0_E_clISt17integral_constantIbLb1EES1B_IbLb0EEEEDaS17_S18_EUlS17_E_NS1_11comp_targetILNS1_3genE2ELNS1_11target_archE906ELNS1_3gpuE6ELNS1_3repE0EEENS1_30default_config_static_selectorELNS0_4arch9wavefront6targetE1EEEvT1_,"axG",@progbits,_ZN7rocprim17ROCPRIM_400000_NS6detail17trampoline_kernelINS0_14default_configENS1_25partition_config_selectorILNS1_17partition_subalgoE8ElNS0_10empty_typeEbEEZZNS1_14partition_implILS5_8ELb0ES3_jPlPS6_PKS6_NS0_5tupleIJS9_S6_EEENSD_IJSA_SA_EEENS0_18inequality_wrapperIZN2at6native12_GLOBAL__N_124unique_dim_cuda_templateIhEESt5tupleIJNSH_6TensorESM_SM_EERKSM_lbbbEUlllE0_EEPmJS6_EEE10hipError_tPvRmT3_T4_T5_T6_T7_T9_mT8_P12ihipStream_tbDpT10_ENKUlT_T0_E_clISt17integral_constantIbLb1EES1B_IbLb0EEEEDaS17_S18_EUlS17_E_NS1_11comp_targetILNS1_3genE2ELNS1_11target_archE906ELNS1_3gpuE6ELNS1_3repE0EEENS1_30default_config_static_selectorELNS0_4arch9wavefront6targetE1EEEvT1_,comdat
.Lfunc_end191:
	.size	_ZN7rocprim17ROCPRIM_400000_NS6detail17trampoline_kernelINS0_14default_configENS1_25partition_config_selectorILNS1_17partition_subalgoE8ElNS0_10empty_typeEbEEZZNS1_14partition_implILS5_8ELb0ES3_jPlPS6_PKS6_NS0_5tupleIJS9_S6_EEENSD_IJSA_SA_EEENS0_18inequality_wrapperIZN2at6native12_GLOBAL__N_124unique_dim_cuda_templateIhEESt5tupleIJNSH_6TensorESM_SM_EERKSM_lbbbEUlllE0_EEPmJS6_EEE10hipError_tPvRmT3_T4_T5_T6_T7_T9_mT8_P12ihipStream_tbDpT10_ENKUlT_T0_E_clISt17integral_constantIbLb1EES1B_IbLb0EEEEDaS17_S18_EUlS17_E_NS1_11comp_targetILNS1_3genE2ELNS1_11target_archE906ELNS1_3gpuE6ELNS1_3repE0EEENS1_30default_config_static_selectorELNS0_4arch9wavefront6targetE1EEEvT1_, .Lfunc_end191-_ZN7rocprim17ROCPRIM_400000_NS6detail17trampoline_kernelINS0_14default_configENS1_25partition_config_selectorILNS1_17partition_subalgoE8ElNS0_10empty_typeEbEEZZNS1_14partition_implILS5_8ELb0ES3_jPlPS6_PKS6_NS0_5tupleIJS9_S6_EEENSD_IJSA_SA_EEENS0_18inequality_wrapperIZN2at6native12_GLOBAL__N_124unique_dim_cuda_templateIhEESt5tupleIJNSH_6TensorESM_SM_EERKSM_lbbbEUlllE0_EEPmJS6_EEE10hipError_tPvRmT3_T4_T5_T6_T7_T9_mT8_P12ihipStream_tbDpT10_ENKUlT_T0_E_clISt17integral_constantIbLb1EES1B_IbLb0EEEEDaS17_S18_EUlS17_E_NS1_11comp_targetILNS1_3genE2ELNS1_11target_archE906ELNS1_3gpuE6ELNS1_3repE0EEENS1_30default_config_static_selectorELNS0_4arch9wavefront6targetE1EEEvT1_
                                        ; -- End function
	.set _ZN7rocprim17ROCPRIM_400000_NS6detail17trampoline_kernelINS0_14default_configENS1_25partition_config_selectorILNS1_17partition_subalgoE8ElNS0_10empty_typeEbEEZZNS1_14partition_implILS5_8ELb0ES3_jPlPS6_PKS6_NS0_5tupleIJS9_S6_EEENSD_IJSA_SA_EEENS0_18inequality_wrapperIZN2at6native12_GLOBAL__N_124unique_dim_cuda_templateIhEESt5tupleIJNSH_6TensorESM_SM_EERKSM_lbbbEUlllE0_EEPmJS6_EEE10hipError_tPvRmT3_T4_T5_T6_T7_T9_mT8_P12ihipStream_tbDpT10_ENKUlT_T0_E_clISt17integral_constantIbLb1EES1B_IbLb0EEEEDaS17_S18_EUlS17_E_NS1_11comp_targetILNS1_3genE2ELNS1_11target_archE906ELNS1_3gpuE6ELNS1_3repE0EEENS1_30default_config_static_selectorELNS0_4arch9wavefront6targetE1EEEvT1_.num_vgpr, 0
	.set _ZN7rocprim17ROCPRIM_400000_NS6detail17trampoline_kernelINS0_14default_configENS1_25partition_config_selectorILNS1_17partition_subalgoE8ElNS0_10empty_typeEbEEZZNS1_14partition_implILS5_8ELb0ES3_jPlPS6_PKS6_NS0_5tupleIJS9_S6_EEENSD_IJSA_SA_EEENS0_18inequality_wrapperIZN2at6native12_GLOBAL__N_124unique_dim_cuda_templateIhEESt5tupleIJNSH_6TensorESM_SM_EERKSM_lbbbEUlllE0_EEPmJS6_EEE10hipError_tPvRmT3_T4_T5_T6_T7_T9_mT8_P12ihipStream_tbDpT10_ENKUlT_T0_E_clISt17integral_constantIbLb1EES1B_IbLb0EEEEDaS17_S18_EUlS17_E_NS1_11comp_targetILNS1_3genE2ELNS1_11target_archE906ELNS1_3gpuE6ELNS1_3repE0EEENS1_30default_config_static_selectorELNS0_4arch9wavefront6targetE1EEEvT1_.num_agpr, 0
	.set _ZN7rocprim17ROCPRIM_400000_NS6detail17trampoline_kernelINS0_14default_configENS1_25partition_config_selectorILNS1_17partition_subalgoE8ElNS0_10empty_typeEbEEZZNS1_14partition_implILS5_8ELb0ES3_jPlPS6_PKS6_NS0_5tupleIJS9_S6_EEENSD_IJSA_SA_EEENS0_18inequality_wrapperIZN2at6native12_GLOBAL__N_124unique_dim_cuda_templateIhEESt5tupleIJNSH_6TensorESM_SM_EERKSM_lbbbEUlllE0_EEPmJS6_EEE10hipError_tPvRmT3_T4_T5_T6_T7_T9_mT8_P12ihipStream_tbDpT10_ENKUlT_T0_E_clISt17integral_constantIbLb1EES1B_IbLb0EEEEDaS17_S18_EUlS17_E_NS1_11comp_targetILNS1_3genE2ELNS1_11target_archE906ELNS1_3gpuE6ELNS1_3repE0EEENS1_30default_config_static_selectorELNS0_4arch9wavefront6targetE1EEEvT1_.numbered_sgpr, 0
	.set _ZN7rocprim17ROCPRIM_400000_NS6detail17trampoline_kernelINS0_14default_configENS1_25partition_config_selectorILNS1_17partition_subalgoE8ElNS0_10empty_typeEbEEZZNS1_14partition_implILS5_8ELb0ES3_jPlPS6_PKS6_NS0_5tupleIJS9_S6_EEENSD_IJSA_SA_EEENS0_18inequality_wrapperIZN2at6native12_GLOBAL__N_124unique_dim_cuda_templateIhEESt5tupleIJNSH_6TensorESM_SM_EERKSM_lbbbEUlllE0_EEPmJS6_EEE10hipError_tPvRmT3_T4_T5_T6_T7_T9_mT8_P12ihipStream_tbDpT10_ENKUlT_T0_E_clISt17integral_constantIbLb1EES1B_IbLb0EEEEDaS17_S18_EUlS17_E_NS1_11comp_targetILNS1_3genE2ELNS1_11target_archE906ELNS1_3gpuE6ELNS1_3repE0EEENS1_30default_config_static_selectorELNS0_4arch9wavefront6targetE1EEEvT1_.num_named_barrier, 0
	.set _ZN7rocprim17ROCPRIM_400000_NS6detail17trampoline_kernelINS0_14default_configENS1_25partition_config_selectorILNS1_17partition_subalgoE8ElNS0_10empty_typeEbEEZZNS1_14partition_implILS5_8ELb0ES3_jPlPS6_PKS6_NS0_5tupleIJS9_S6_EEENSD_IJSA_SA_EEENS0_18inequality_wrapperIZN2at6native12_GLOBAL__N_124unique_dim_cuda_templateIhEESt5tupleIJNSH_6TensorESM_SM_EERKSM_lbbbEUlllE0_EEPmJS6_EEE10hipError_tPvRmT3_T4_T5_T6_T7_T9_mT8_P12ihipStream_tbDpT10_ENKUlT_T0_E_clISt17integral_constantIbLb1EES1B_IbLb0EEEEDaS17_S18_EUlS17_E_NS1_11comp_targetILNS1_3genE2ELNS1_11target_archE906ELNS1_3gpuE6ELNS1_3repE0EEENS1_30default_config_static_selectorELNS0_4arch9wavefront6targetE1EEEvT1_.private_seg_size, 0
	.set _ZN7rocprim17ROCPRIM_400000_NS6detail17trampoline_kernelINS0_14default_configENS1_25partition_config_selectorILNS1_17partition_subalgoE8ElNS0_10empty_typeEbEEZZNS1_14partition_implILS5_8ELb0ES3_jPlPS6_PKS6_NS0_5tupleIJS9_S6_EEENSD_IJSA_SA_EEENS0_18inequality_wrapperIZN2at6native12_GLOBAL__N_124unique_dim_cuda_templateIhEESt5tupleIJNSH_6TensorESM_SM_EERKSM_lbbbEUlllE0_EEPmJS6_EEE10hipError_tPvRmT3_T4_T5_T6_T7_T9_mT8_P12ihipStream_tbDpT10_ENKUlT_T0_E_clISt17integral_constantIbLb1EES1B_IbLb0EEEEDaS17_S18_EUlS17_E_NS1_11comp_targetILNS1_3genE2ELNS1_11target_archE906ELNS1_3gpuE6ELNS1_3repE0EEENS1_30default_config_static_selectorELNS0_4arch9wavefront6targetE1EEEvT1_.uses_vcc, 0
	.set _ZN7rocprim17ROCPRIM_400000_NS6detail17trampoline_kernelINS0_14default_configENS1_25partition_config_selectorILNS1_17partition_subalgoE8ElNS0_10empty_typeEbEEZZNS1_14partition_implILS5_8ELb0ES3_jPlPS6_PKS6_NS0_5tupleIJS9_S6_EEENSD_IJSA_SA_EEENS0_18inequality_wrapperIZN2at6native12_GLOBAL__N_124unique_dim_cuda_templateIhEESt5tupleIJNSH_6TensorESM_SM_EERKSM_lbbbEUlllE0_EEPmJS6_EEE10hipError_tPvRmT3_T4_T5_T6_T7_T9_mT8_P12ihipStream_tbDpT10_ENKUlT_T0_E_clISt17integral_constantIbLb1EES1B_IbLb0EEEEDaS17_S18_EUlS17_E_NS1_11comp_targetILNS1_3genE2ELNS1_11target_archE906ELNS1_3gpuE6ELNS1_3repE0EEENS1_30default_config_static_selectorELNS0_4arch9wavefront6targetE1EEEvT1_.uses_flat_scratch, 0
	.set _ZN7rocprim17ROCPRIM_400000_NS6detail17trampoline_kernelINS0_14default_configENS1_25partition_config_selectorILNS1_17partition_subalgoE8ElNS0_10empty_typeEbEEZZNS1_14partition_implILS5_8ELb0ES3_jPlPS6_PKS6_NS0_5tupleIJS9_S6_EEENSD_IJSA_SA_EEENS0_18inequality_wrapperIZN2at6native12_GLOBAL__N_124unique_dim_cuda_templateIhEESt5tupleIJNSH_6TensorESM_SM_EERKSM_lbbbEUlllE0_EEPmJS6_EEE10hipError_tPvRmT3_T4_T5_T6_T7_T9_mT8_P12ihipStream_tbDpT10_ENKUlT_T0_E_clISt17integral_constantIbLb1EES1B_IbLb0EEEEDaS17_S18_EUlS17_E_NS1_11comp_targetILNS1_3genE2ELNS1_11target_archE906ELNS1_3gpuE6ELNS1_3repE0EEENS1_30default_config_static_selectorELNS0_4arch9wavefront6targetE1EEEvT1_.has_dyn_sized_stack, 0
	.set _ZN7rocprim17ROCPRIM_400000_NS6detail17trampoline_kernelINS0_14default_configENS1_25partition_config_selectorILNS1_17partition_subalgoE8ElNS0_10empty_typeEbEEZZNS1_14partition_implILS5_8ELb0ES3_jPlPS6_PKS6_NS0_5tupleIJS9_S6_EEENSD_IJSA_SA_EEENS0_18inequality_wrapperIZN2at6native12_GLOBAL__N_124unique_dim_cuda_templateIhEESt5tupleIJNSH_6TensorESM_SM_EERKSM_lbbbEUlllE0_EEPmJS6_EEE10hipError_tPvRmT3_T4_T5_T6_T7_T9_mT8_P12ihipStream_tbDpT10_ENKUlT_T0_E_clISt17integral_constantIbLb1EES1B_IbLb0EEEEDaS17_S18_EUlS17_E_NS1_11comp_targetILNS1_3genE2ELNS1_11target_archE906ELNS1_3gpuE6ELNS1_3repE0EEENS1_30default_config_static_selectorELNS0_4arch9wavefront6targetE1EEEvT1_.has_recursion, 0
	.set _ZN7rocprim17ROCPRIM_400000_NS6detail17trampoline_kernelINS0_14default_configENS1_25partition_config_selectorILNS1_17partition_subalgoE8ElNS0_10empty_typeEbEEZZNS1_14partition_implILS5_8ELb0ES3_jPlPS6_PKS6_NS0_5tupleIJS9_S6_EEENSD_IJSA_SA_EEENS0_18inequality_wrapperIZN2at6native12_GLOBAL__N_124unique_dim_cuda_templateIhEESt5tupleIJNSH_6TensorESM_SM_EERKSM_lbbbEUlllE0_EEPmJS6_EEE10hipError_tPvRmT3_T4_T5_T6_T7_T9_mT8_P12ihipStream_tbDpT10_ENKUlT_T0_E_clISt17integral_constantIbLb1EES1B_IbLb0EEEEDaS17_S18_EUlS17_E_NS1_11comp_targetILNS1_3genE2ELNS1_11target_archE906ELNS1_3gpuE6ELNS1_3repE0EEENS1_30default_config_static_selectorELNS0_4arch9wavefront6targetE1EEEvT1_.has_indirect_call, 0
	.section	.AMDGPU.csdata,"",@progbits
; Kernel info:
; codeLenInByte = 0
; TotalNumSgprs: 6
; NumVgprs: 0
; NumAgprs: 0
; TotalNumVgprs: 0
; ScratchSize: 0
; MemoryBound: 0
; FloatMode: 240
; IeeeMode: 1
; LDSByteSize: 0 bytes/workgroup (compile time only)
; SGPRBlocks: 0
; VGPRBlocks: 0
; NumSGPRsForWavesPerEU: 6
; NumVGPRsForWavesPerEU: 1
; AccumOffset: 4
; Occupancy: 8
; WaveLimiterHint : 0
; COMPUTE_PGM_RSRC2:SCRATCH_EN: 0
; COMPUTE_PGM_RSRC2:USER_SGPR: 2
; COMPUTE_PGM_RSRC2:TRAP_HANDLER: 0
; COMPUTE_PGM_RSRC2:TGID_X_EN: 1
; COMPUTE_PGM_RSRC2:TGID_Y_EN: 0
; COMPUTE_PGM_RSRC2:TGID_Z_EN: 0
; COMPUTE_PGM_RSRC2:TIDIG_COMP_CNT: 0
; COMPUTE_PGM_RSRC3_GFX90A:ACCUM_OFFSET: 0
; COMPUTE_PGM_RSRC3_GFX90A:TG_SPLIT: 0
	.section	.text._ZN7rocprim17ROCPRIM_400000_NS6detail17trampoline_kernelINS0_14default_configENS1_25partition_config_selectorILNS1_17partition_subalgoE8ElNS0_10empty_typeEbEEZZNS1_14partition_implILS5_8ELb0ES3_jPlPS6_PKS6_NS0_5tupleIJS9_S6_EEENSD_IJSA_SA_EEENS0_18inequality_wrapperIZN2at6native12_GLOBAL__N_124unique_dim_cuda_templateIhEESt5tupleIJNSH_6TensorESM_SM_EERKSM_lbbbEUlllE0_EEPmJS6_EEE10hipError_tPvRmT3_T4_T5_T6_T7_T9_mT8_P12ihipStream_tbDpT10_ENKUlT_T0_E_clISt17integral_constantIbLb1EES1B_IbLb0EEEEDaS17_S18_EUlS17_E_NS1_11comp_targetILNS1_3genE10ELNS1_11target_archE1200ELNS1_3gpuE4ELNS1_3repE0EEENS1_30default_config_static_selectorELNS0_4arch9wavefront6targetE1EEEvT1_,"axG",@progbits,_ZN7rocprim17ROCPRIM_400000_NS6detail17trampoline_kernelINS0_14default_configENS1_25partition_config_selectorILNS1_17partition_subalgoE8ElNS0_10empty_typeEbEEZZNS1_14partition_implILS5_8ELb0ES3_jPlPS6_PKS6_NS0_5tupleIJS9_S6_EEENSD_IJSA_SA_EEENS0_18inequality_wrapperIZN2at6native12_GLOBAL__N_124unique_dim_cuda_templateIhEESt5tupleIJNSH_6TensorESM_SM_EERKSM_lbbbEUlllE0_EEPmJS6_EEE10hipError_tPvRmT3_T4_T5_T6_T7_T9_mT8_P12ihipStream_tbDpT10_ENKUlT_T0_E_clISt17integral_constantIbLb1EES1B_IbLb0EEEEDaS17_S18_EUlS17_E_NS1_11comp_targetILNS1_3genE10ELNS1_11target_archE1200ELNS1_3gpuE4ELNS1_3repE0EEENS1_30default_config_static_selectorELNS0_4arch9wavefront6targetE1EEEvT1_,comdat
	.globl	_ZN7rocprim17ROCPRIM_400000_NS6detail17trampoline_kernelINS0_14default_configENS1_25partition_config_selectorILNS1_17partition_subalgoE8ElNS0_10empty_typeEbEEZZNS1_14partition_implILS5_8ELb0ES3_jPlPS6_PKS6_NS0_5tupleIJS9_S6_EEENSD_IJSA_SA_EEENS0_18inequality_wrapperIZN2at6native12_GLOBAL__N_124unique_dim_cuda_templateIhEESt5tupleIJNSH_6TensorESM_SM_EERKSM_lbbbEUlllE0_EEPmJS6_EEE10hipError_tPvRmT3_T4_T5_T6_T7_T9_mT8_P12ihipStream_tbDpT10_ENKUlT_T0_E_clISt17integral_constantIbLb1EES1B_IbLb0EEEEDaS17_S18_EUlS17_E_NS1_11comp_targetILNS1_3genE10ELNS1_11target_archE1200ELNS1_3gpuE4ELNS1_3repE0EEENS1_30default_config_static_selectorELNS0_4arch9wavefront6targetE1EEEvT1_ ; -- Begin function _ZN7rocprim17ROCPRIM_400000_NS6detail17trampoline_kernelINS0_14default_configENS1_25partition_config_selectorILNS1_17partition_subalgoE8ElNS0_10empty_typeEbEEZZNS1_14partition_implILS5_8ELb0ES3_jPlPS6_PKS6_NS0_5tupleIJS9_S6_EEENSD_IJSA_SA_EEENS0_18inequality_wrapperIZN2at6native12_GLOBAL__N_124unique_dim_cuda_templateIhEESt5tupleIJNSH_6TensorESM_SM_EERKSM_lbbbEUlllE0_EEPmJS6_EEE10hipError_tPvRmT3_T4_T5_T6_T7_T9_mT8_P12ihipStream_tbDpT10_ENKUlT_T0_E_clISt17integral_constantIbLb1EES1B_IbLb0EEEEDaS17_S18_EUlS17_E_NS1_11comp_targetILNS1_3genE10ELNS1_11target_archE1200ELNS1_3gpuE4ELNS1_3repE0EEENS1_30default_config_static_selectorELNS0_4arch9wavefront6targetE1EEEvT1_
	.p2align	8
	.type	_ZN7rocprim17ROCPRIM_400000_NS6detail17trampoline_kernelINS0_14default_configENS1_25partition_config_selectorILNS1_17partition_subalgoE8ElNS0_10empty_typeEbEEZZNS1_14partition_implILS5_8ELb0ES3_jPlPS6_PKS6_NS0_5tupleIJS9_S6_EEENSD_IJSA_SA_EEENS0_18inequality_wrapperIZN2at6native12_GLOBAL__N_124unique_dim_cuda_templateIhEESt5tupleIJNSH_6TensorESM_SM_EERKSM_lbbbEUlllE0_EEPmJS6_EEE10hipError_tPvRmT3_T4_T5_T6_T7_T9_mT8_P12ihipStream_tbDpT10_ENKUlT_T0_E_clISt17integral_constantIbLb1EES1B_IbLb0EEEEDaS17_S18_EUlS17_E_NS1_11comp_targetILNS1_3genE10ELNS1_11target_archE1200ELNS1_3gpuE4ELNS1_3repE0EEENS1_30default_config_static_selectorELNS0_4arch9wavefront6targetE1EEEvT1_,@function
_ZN7rocprim17ROCPRIM_400000_NS6detail17trampoline_kernelINS0_14default_configENS1_25partition_config_selectorILNS1_17partition_subalgoE8ElNS0_10empty_typeEbEEZZNS1_14partition_implILS5_8ELb0ES3_jPlPS6_PKS6_NS0_5tupleIJS9_S6_EEENSD_IJSA_SA_EEENS0_18inequality_wrapperIZN2at6native12_GLOBAL__N_124unique_dim_cuda_templateIhEESt5tupleIJNSH_6TensorESM_SM_EERKSM_lbbbEUlllE0_EEPmJS6_EEE10hipError_tPvRmT3_T4_T5_T6_T7_T9_mT8_P12ihipStream_tbDpT10_ENKUlT_T0_E_clISt17integral_constantIbLb1EES1B_IbLb0EEEEDaS17_S18_EUlS17_E_NS1_11comp_targetILNS1_3genE10ELNS1_11target_archE1200ELNS1_3gpuE4ELNS1_3repE0EEENS1_30default_config_static_selectorELNS0_4arch9wavefront6targetE1EEEvT1_: ; @_ZN7rocprim17ROCPRIM_400000_NS6detail17trampoline_kernelINS0_14default_configENS1_25partition_config_selectorILNS1_17partition_subalgoE8ElNS0_10empty_typeEbEEZZNS1_14partition_implILS5_8ELb0ES3_jPlPS6_PKS6_NS0_5tupleIJS9_S6_EEENSD_IJSA_SA_EEENS0_18inequality_wrapperIZN2at6native12_GLOBAL__N_124unique_dim_cuda_templateIhEESt5tupleIJNSH_6TensorESM_SM_EERKSM_lbbbEUlllE0_EEPmJS6_EEE10hipError_tPvRmT3_T4_T5_T6_T7_T9_mT8_P12ihipStream_tbDpT10_ENKUlT_T0_E_clISt17integral_constantIbLb1EES1B_IbLb0EEEEDaS17_S18_EUlS17_E_NS1_11comp_targetILNS1_3genE10ELNS1_11target_archE1200ELNS1_3gpuE4ELNS1_3repE0EEENS1_30default_config_static_selectorELNS0_4arch9wavefront6targetE1EEEvT1_
; %bb.0:
	.section	.rodata,"a",@progbits
	.p2align	6, 0x0
	.amdhsa_kernel _ZN7rocprim17ROCPRIM_400000_NS6detail17trampoline_kernelINS0_14default_configENS1_25partition_config_selectorILNS1_17partition_subalgoE8ElNS0_10empty_typeEbEEZZNS1_14partition_implILS5_8ELb0ES3_jPlPS6_PKS6_NS0_5tupleIJS9_S6_EEENSD_IJSA_SA_EEENS0_18inequality_wrapperIZN2at6native12_GLOBAL__N_124unique_dim_cuda_templateIhEESt5tupleIJNSH_6TensorESM_SM_EERKSM_lbbbEUlllE0_EEPmJS6_EEE10hipError_tPvRmT3_T4_T5_T6_T7_T9_mT8_P12ihipStream_tbDpT10_ENKUlT_T0_E_clISt17integral_constantIbLb1EES1B_IbLb0EEEEDaS17_S18_EUlS17_E_NS1_11comp_targetILNS1_3genE10ELNS1_11target_archE1200ELNS1_3gpuE4ELNS1_3repE0EEENS1_30default_config_static_selectorELNS0_4arch9wavefront6targetE1EEEvT1_
		.amdhsa_group_segment_fixed_size 0
		.amdhsa_private_segment_fixed_size 0
		.amdhsa_kernarg_size 120
		.amdhsa_user_sgpr_count 2
		.amdhsa_user_sgpr_dispatch_ptr 0
		.amdhsa_user_sgpr_queue_ptr 0
		.amdhsa_user_sgpr_kernarg_segment_ptr 1
		.amdhsa_user_sgpr_dispatch_id 0
		.amdhsa_user_sgpr_kernarg_preload_length 0
		.amdhsa_user_sgpr_kernarg_preload_offset 0
		.amdhsa_user_sgpr_private_segment_size 0
		.amdhsa_uses_dynamic_stack 0
		.amdhsa_enable_private_segment 0
		.amdhsa_system_sgpr_workgroup_id_x 1
		.amdhsa_system_sgpr_workgroup_id_y 0
		.amdhsa_system_sgpr_workgroup_id_z 0
		.amdhsa_system_sgpr_workgroup_info 0
		.amdhsa_system_vgpr_workitem_id 0
		.amdhsa_next_free_vgpr 1
		.amdhsa_next_free_sgpr 0
		.amdhsa_accum_offset 4
		.amdhsa_reserve_vcc 0
		.amdhsa_float_round_mode_32 0
		.amdhsa_float_round_mode_16_64 0
		.amdhsa_float_denorm_mode_32 3
		.amdhsa_float_denorm_mode_16_64 3
		.amdhsa_dx10_clamp 1
		.amdhsa_ieee_mode 1
		.amdhsa_fp16_overflow 0
		.amdhsa_tg_split 0
		.amdhsa_exception_fp_ieee_invalid_op 0
		.amdhsa_exception_fp_denorm_src 0
		.amdhsa_exception_fp_ieee_div_zero 0
		.amdhsa_exception_fp_ieee_overflow 0
		.amdhsa_exception_fp_ieee_underflow 0
		.amdhsa_exception_fp_ieee_inexact 0
		.amdhsa_exception_int_div_zero 0
	.end_amdhsa_kernel
	.section	.text._ZN7rocprim17ROCPRIM_400000_NS6detail17trampoline_kernelINS0_14default_configENS1_25partition_config_selectorILNS1_17partition_subalgoE8ElNS0_10empty_typeEbEEZZNS1_14partition_implILS5_8ELb0ES3_jPlPS6_PKS6_NS0_5tupleIJS9_S6_EEENSD_IJSA_SA_EEENS0_18inequality_wrapperIZN2at6native12_GLOBAL__N_124unique_dim_cuda_templateIhEESt5tupleIJNSH_6TensorESM_SM_EERKSM_lbbbEUlllE0_EEPmJS6_EEE10hipError_tPvRmT3_T4_T5_T6_T7_T9_mT8_P12ihipStream_tbDpT10_ENKUlT_T0_E_clISt17integral_constantIbLb1EES1B_IbLb0EEEEDaS17_S18_EUlS17_E_NS1_11comp_targetILNS1_3genE10ELNS1_11target_archE1200ELNS1_3gpuE4ELNS1_3repE0EEENS1_30default_config_static_selectorELNS0_4arch9wavefront6targetE1EEEvT1_,"axG",@progbits,_ZN7rocprim17ROCPRIM_400000_NS6detail17trampoline_kernelINS0_14default_configENS1_25partition_config_selectorILNS1_17partition_subalgoE8ElNS0_10empty_typeEbEEZZNS1_14partition_implILS5_8ELb0ES3_jPlPS6_PKS6_NS0_5tupleIJS9_S6_EEENSD_IJSA_SA_EEENS0_18inequality_wrapperIZN2at6native12_GLOBAL__N_124unique_dim_cuda_templateIhEESt5tupleIJNSH_6TensorESM_SM_EERKSM_lbbbEUlllE0_EEPmJS6_EEE10hipError_tPvRmT3_T4_T5_T6_T7_T9_mT8_P12ihipStream_tbDpT10_ENKUlT_T0_E_clISt17integral_constantIbLb1EES1B_IbLb0EEEEDaS17_S18_EUlS17_E_NS1_11comp_targetILNS1_3genE10ELNS1_11target_archE1200ELNS1_3gpuE4ELNS1_3repE0EEENS1_30default_config_static_selectorELNS0_4arch9wavefront6targetE1EEEvT1_,comdat
.Lfunc_end192:
	.size	_ZN7rocprim17ROCPRIM_400000_NS6detail17trampoline_kernelINS0_14default_configENS1_25partition_config_selectorILNS1_17partition_subalgoE8ElNS0_10empty_typeEbEEZZNS1_14partition_implILS5_8ELb0ES3_jPlPS6_PKS6_NS0_5tupleIJS9_S6_EEENSD_IJSA_SA_EEENS0_18inequality_wrapperIZN2at6native12_GLOBAL__N_124unique_dim_cuda_templateIhEESt5tupleIJNSH_6TensorESM_SM_EERKSM_lbbbEUlllE0_EEPmJS6_EEE10hipError_tPvRmT3_T4_T5_T6_T7_T9_mT8_P12ihipStream_tbDpT10_ENKUlT_T0_E_clISt17integral_constantIbLb1EES1B_IbLb0EEEEDaS17_S18_EUlS17_E_NS1_11comp_targetILNS1_3genE10ELNS1_11target_archE1200ELNS1_3gpuE4ELNS1_3repE0EEENS1_30default_config_static_selectorELNS0_4arch9wavefront6targetE1EEEvT1_, .Lfunc_end192-_ZN7rocprim17ROCPRIM_400000_NS6detail17trampoline_kernelINS0_14default_configENS1_25partition_config_selectorILNS1_17partition_subalgoE8ElNS0_10empty_typeEbEEZZNS1_14partition_implILS5_8ELb0ES3_jPlPS6_PKS6_NS0_5tupleIJS9_S6_EEENSD_IJSA_SA_EEENS0_18inequality_wrapperIZN2at6native12_GLOBAL__N_124unique_dim_cuda_templateIhEESt5tupleIJNSH_6TensorESM_SM_EERKSM_lbbbEUlllE0_EEPmJS6_EEE10hipError_tPvRmT3_T4_T5_T6_T7_T9_mT8_P12ihipStream_tbDpT10_ENKUlT_T0_E_clISt17integral_constantIbLb1EES1B_IbLb0EEEEDaS17_S18_EUlS17_E_NS1_11comp_targetILNS1_3genE10ELNS1_11target_archE1200ELNS1_3gpuE4ELNS1_3repE0EEENS1_30default_config_static_selectorELNS0_4arch9wavefront6targetE1EEEvT1_
                                        ; -- End function
	.set _ZN7rocprim17ROCPRIM_400000_NS6detail17trampoline_kernelINS0_14default_configENS1_25partition_config_selectorILNS1_17partition_subalgoE8ElNS0_10empty_typeEbEEZZNS1_14partition_implILS5_8ELb0ES3_jPlPS6_PKS6_NS0_5tupleIJS9_S6_EEENSD_IJSA_SA_EEENS0_18inequality_wrapperIZN2at6native12_GLOBAL__N_124unique_dim_cuda_templateIhEESt5tupleIJNSH_6TensorESM_SM_EERKSM_lbbbEUlllE0_EEPmJS6_EEE10hipError_tPvRmT3_T4_T5_T6_T7_T9_mT8_P12ihipStream_tbDpT10_ENKUlT_T0_E_clISt17integral_constantIbLb1EES1B_IbLb0EEEEDaS17_S18_EUlS17_E_NS1_11comp_targetILNS1_3genE10ELNS1_11target_archE1200ELNS1_3gpuE4ELNS1_3repE0EEENS1_30default_config_static_selectorELNS0_4arch9wavefront6targetE1EEEvT1_.num_vgpr, 0
	.set _ZN7rocprim17ROCPRIM_400000_NS6detail17trampoline_kernelINS0_14default_configENS1_25partition_config_selectorILNS1_17partition_subalgoE8ElNS0_10empty_typeEbEEZZNS1_14partition_implILS5_8ELb0ES3_jPlPS6_PKS6_NS0_5tupleIJS9_S6_EEENSD_IJSA_SA_EEENS0_18inequality_wrapperIZN2at6native12_GLOBAL__N_124unique_dim_cuda_templateIhEESt5tupleIJNSH_6TensorESM_SM_EERKSM_lbbbEUlllE0_EEPmJS6_EEE10hipError_tPvRmT3_T4_T5_T6_T7_T9_mT8_P12ihipStream_tbDpT10_ENKUlT_T0_E_clISt17integral_constantIbLb1EES1B_IbLb0EEEEDaS17_S18_EUlS17_E_NS1_11comp_targetILNS1_3genE10ELNS1_11target_archE1200ELNS1_3gpuE4ELNS1_3repE0EEENS1_30default_config_static_selectorELNS0_4arch9wavefront6targetE1EEEvT1_.num_agpr, 0
	.set _ZN7rocprim17ROCPRIM_400000_NS6detail17trampoline_kernelINS0_14default_configENS1_25partition_config_selectorILNS1_17partition_subalgoE8ElNS0_10empty_typeEbEEZZNS1_14partition_implILS5_8ELb0ES3_jPlPS6_PKS6_NS0_5tupleIJS9_S6_EEENSD_IJSA_SA_EEENS0_18inequality_wrapperIZN2at6native12_GLOBAL__N_124unique_dim_cuda_templateIhEESt5tupleIJNSH_6TensorESM_SM_EERKSM_lbbbEUlllE0_EEPmJS6_EEE10hipError_tPvRmT3_T4_T5_T6_T7_T9_mT8_P12ihipStream_tbDpT10_ENKUlT_T0_E_clISt17integral_constantIbLb1EES1B_IbLb0EEEEDaS17_S18_EUlS17_E_NS1_11comp_targetILNS1_3genE10ELNS1_11target_archE1200ELNS1_3gpuE4ELNS1_3repE0EEENS1_30default_config_static_selectorELNS0_4arch9wavefront6targetE1EEEvT1_.numbered_sgpr, 0
	.set _ZN7rocprim17ROCPRIM_400000_NS6detail17trampoline_kernelINS0_14default_configENS1_25partition_config_selectorILNS1_17partition_subalgoE8ElNS0_10empty_typeEbEEZZNS1_14partition_implILS5_8ELb0ES3_jPlPS6_PKS6_NS0_5tupleIJS9_S6_EEENSD_IJSA_SA_EEENS0_18inequality_wrapperIZN2at6native12_GLOBAL__N_124unique_dim_cuda_templateIhEESt5tupleIJNSH_6TensorESM_SM_EERKSM_lbbbEUlllE0_EEPmJS6_EEE10hipError_tPvRmT3_T4_T5_T6_T7_T9_mT8_P12ihipStream_tbDpT10_ENKUlT_T0_E_clISt17integral_constantIbLb1EES1B_IbLb0EEEEDaS17_S18_EUlS17_E_NS1_11comp_targetILNS1_3genE10ELNS1_11target_archE1200ELNS1_3gpuE4ELNS1_3repE0EEENS1_30default_config_static_selectorELNS0_4arch9wavefront6targetE1EEEvT1_.num_named_barrier, 0
	.set _ZN7rocprim17ROCPRIM_400000_NS6detail17trampoline_kernelINS0_14default_configENS1_25partition_config_selectorILNS1_17partition_subalgoE8ElNS0_10empty_typeEbEEZZNS1_14partition_implILS5_8ELb0ES3_jPlPS6_PKS6_NS0_5tupleIJS9_S6_EEENSD_IJSA_SA_EEENS0_18inequality_wrapperIZN2at6native12_GLOBAL__N_124unique_dim_cuda_templateIhEESt5tupleIJNSH_6TensorESM_SM_EERKSM_lbbbEUlllE0_EEPmJS6_EEE10hipError_tPvRmT3_T4_T5_T6_T7_T9_mT8_P12ihipStream_tbDpT10_ENKUlT_T0_E_clISt17integral_constantIbLb1EES1B_IbLb0EEEEDaS17_S18_EUlS17_E_NS1_11comp_targetILNS1_3genE10ELNS1_11target_archE1200ELNS1_3gpuE4ELNS1_3repE0EEENS1_30default_config_static_selectorELNS0_4arch9wavefront6targetE1EEEvT1_.private_seg_size, 0
	.set _ZN7rocprim17ROCPRIM_400000_NS6detail17trampoline_kernelINS0_14default_configENS1_25partition_config_selectorILNS1_17partition_subalgoE8ElNS0_10empty_typeEbEEZZNS1_14partition_implILS5_8ELb0ES3_jPlPS6_PKS6_NS0_5tupleIJS9_S6_EEENSD_IJSA_SA_EEENS0_18inequality_wrapperIZN2at6native12_GLOBAL__N_124unique_dim_cuda_templateIhEESt5tupleIJNSH_6TensorESM_SM_EERKSM_lbbbEUlllE0_EEPmJS6_EEE10hipError_tPvRmT3_T4_T5_T6_T7_T9_mT8_P12ihipStream_tbDpT10_ENKUlT_T0_E_clISt17integral_constantIbLb1EES1B_IbLb0EEEEDaS17_S18_EUlS17_E_NS1_11comp_targetILNS1_3genE10ELNS1_11target_archE1200ELNS1_3gpuE4ELNS1_3repE0EEENS1_30default_config_static_selectorELNS0_4arch9wavefront6targetE1EEEvT1_.uses_vcc, 0
	.set _ZN7rocprim17ROCPRIM_400000_NS6detail17trampoline_kernelINS0_14default_configENS1_25partition_config_selectorILNS1_17partition_subalgoE8ElNS0_10empty_typeEbEEZZNS1_14partition_implILS5_8ELb0ES3_jPlPS6_PKS6_NS0_5tupleIJS9_S6_EEENSD_IJSA_SA_EEENS0_18inequality_wrapperIZN2at6native12_GLOBAL__N_124unique_dim_cuda_templateIhEESt5tupleIJNSH_6TensorESM_SM_EERKSM_lbbbEUlllE0_EEPmJS6_EEE10hipError_tPvRmT3_T4_T5_T6_T7_T9_mT8_P12ihipStream_tbDpT10_ENKUlT_T0_E_clISt17integral_constantIbLb1EES1B_IbLb0EEEEDaS17_S18_EUlS17_E_NS1_11comp_targetILNS1_3genE10ELNS1_11target_archE1200ELNS1_3gpuE4ELNS1_3repE0EEENS1_30default_config_static_selectorELNS0_4arch9wavefront6targetE1EEEvT1_.uses_flat_scratch, 0
	.set _ZN7rocprim17ROCPRIM_400000_NS6detail17trampoline_kernelINS0_14default_configENS1_25partition_config_selectorILNS1_17partition_subalgoE8ElNS0_10empty_typeEbEEZZNS1_14partition_implILS5_8ELb0ES3_jPlPS6_PKS6_NS0_5tupleIJS9_S6_EEENSD_IJSA_SA_EEENS0_18inequality_wrapperIZN2at6native12_GLOBAL__N_124unique_dim_cuda_templateIhEESt5tupleIJNSH_6TensorESM_SM_EERKSM_lbbbEUlllE0_EEPmJS6_EEE10hipError_tPvRmT3_T4_T5_T6_T7_T9_mT8_P12ihipStream_tbDpT10_ENKUlT_T0_E_clISt17integral_constantIbLb1EES1B_IbLb0EEEEDaS17_S18_EUlS17_E_NS1_11comp_targetILNS1_3genE10ELNS1_11target_archE1200ELNS1_3gpuE4ELNS1_3repE0EEENS1_30default_config_static_selectorELNS0_4arch9wavefront6targetE1EEEvT1_.has_dyn_sized_stack, 0
	.set _ZN7rocprim17ROCPRIM_400000_NS6detail17trampoline_kernelINS0_14default_configENS1_25partition_config_selectorILNS1_17partition_subalgoE8ElNS0_10empty_typeEbEEZZNS1_14partition_implILS5_8ELb0ES3_jPlPS6_PKS6_NS0_5tupleIJS9_S6_EEENSD_IJSA_SA_EEENS0_18inequality_wrapperIZN2at6native12_GLOBAL__N_124unique_dim_cuda_templateIhEESt5tupleIJNSH_6TensorESM_SM_EERKSM_lbbbEUlllE0_EEPmJS6_EEE10hipError_tPvRmT3_T4_T5_T6_T7_T9_mT8_P12ihipStream_tbDpT10_ENKUlT_T0_E_clISt17integral_constantIbLb1EES1B_IbLb0EEEEDaS17_S18_EUlS17_E_NS1_11comp_targetILNS1_3genE10ELNS1_11target_archE1200ELNS1_3gpuE4ELNS1_3repE0EEENS1_30default_config_static_selectorELNS0_4arch9wavefront6targetE1EEEvT1_.has_recursion, 0
	.set _ZN7rocprim17ROCPRIM_400000_NS6detail17trampoline_kernelINS0_14default_configENS1_25partition_config_selectorILNS1_17partition_subalgoE8ElNS0_10empty_typeEbEEZZNS1_14partition_implILS5_8ELb0ES3_jPlPS6_PKS6_NS0_5tupleIJS9_S6_EEENSD_IJSA_SA_EEENS0_18inequality_wrapperIZN2at6native12_GLOBAL__N_124unique_dim_cuda_templateIhEESt5tupleIJNSH_6TensorESM_SM_EERKSM_lbbbEUlllE0_EEPmJS6_EEE10hipError_tPvRmT3_T4_T5_T6_T7_T9_mT8_P12ihipStream_tbDpT10_ENKUlT_T0_E_clISt17integral_constantIbLb1EES1B_IbLb0EEEEDaS17_S18_EUlS17_E_NS1_11comp_targetILNS1_3genE10ELNS1_11target_archE1200ELNS1_3gpuE4ELNS1_3repE0EEENS1_30default_config_static_selectorELNS0_4arch9wavefront6targetE1EEEvT1_.has_indirect_call, 0
	.section	.AMDGPU.csdata,"",@progbits
; Kernel info:
; codeLenInByte = 0
; TotalNumSgprs: 6
; NumVgprs: 0
; NumAgprs: 0
; TotalNumVgprs: 0
; ScratchSize: 0
; MemoryBound: 0
; FloatMode: 240
; IeeeMode: 1
; LDSByteSize: 0 bytes/workgroup (compile time only)
; SGPRBlocks: 0
; VGPRBlocks: 0
; NumSGPRsForWavesPerEU: 6
; NumVGPRsForWavesPerEU: 1
; AccumOffset: 4
; Occupancy: 8
; WaveLimiterHint : 0
; COMPUTE_PGM_RSRC2:SCRATCH_EN: 0
; COMPUTE_PGM_RSRC2:USER_SGPR: 2
; COMPUTE_PGM_RSRC2:TRAP_HANDLER: 0
; COMPUTE_PGM_RSRC2:TGID_X_EN: 1
; COMPUTE_PGM_RSRC2:TGID_Y_EN: 0
; COMPUTE_PGM_RSRC2:TGID_Z_EN: 0
; COMPUTE_PGM_RSRC2:TIDIG_COMP_CNT: 0
; COMPUTE_PGM_RSRC3_GFX90A:ACCUM_OFFSET: 0
; COMPUTE_PGM_RSRC3_GFX90A:TG_SPLIT: 0
	.section	.text._ZN7rocprim17ROCPRIM_400000_NS6detail17trampoline_kernelINS0_14default_configENS1_25partition_config_selectorILNS1_17partition_subalgoE8ElNS0_10empty_typeEbEEZZNS1_14partition_implILS5_8ELb0ES3_jPlPS6_PKS6_NS0_5tupleIJS9_S6_EEENSD_IJSA_SA_EEENS0_18inequality_wrapperIZN2at6native12_GLOBAL__N_124unique_dim_cuda_templateIhEESt5tupleIJNSH_6TensorESM_SM_EERKSM_lbbbEUlllE0_EEPmJS6_EEE10hipError_tPvRmT3_T4_T5_T6_T7_T9_mT8_P12ihipStream_tbDpT10_ENKUlT_T0_E_clISt17integral_constantIbLb1EES1B_IbLb0EEEEDaS17_S18_EUlS17_E_NS1_11comp_targetILNS1_3genE9ELNS1_11target_archE1100ELNS1_3gpuE3ELNS1_3repE0EEENS1_30default_config_static_selectorELNS0_4arch9wavefront6targetE1EEEvT1_,"axG",@progbits,_ZN7rocprim17ROCPRIM_400000_NS6detail17trampoline_kernelINS0_14default_configENS1_25partition_config_selectorILNS1_17partition_subalgoE8ElNS0_10empty_typeEbEEZZNS1_14partition_implILS5_8ELb0ES3_jPlPS6_PKS6_NS0_5tupleIJS9_S6_EEENSD_IJSA_SA_EEENS0_18inequality_wrapperIZN2at6native12_GLOBAL__N_124unique_dim_cuda_templateIhEESt5tupleIJNSH_6TensorESM_SM_EERKSM_lbbbEUlllE0_EEPmJS6_EEE10hipError_tPvRmT3_T4_T5_T6_T7_T9_mT8_P12ihipStream_tbDpT10_ENKUlT_T0_E_clISt17integral_constantIbLb1EES1B_IbLb0EEEEDaS17_S18_EUlS17_E_NS1_11comp_targetILNS1_3genE9ELNS1_11target_archE1100ELNS1_3gpuE3ELNS1_3repE0EEENS1_30default_config_static_selectorELNS0_4arch9wavefront6targetE1EEEvT1_,comdat
	.globl	_ZN7rocprim17ROCPRIM_400000_NS6detail17trampoline_kernelINS0_14default_configENS1_25partition_config_selectorILNS1_17partition_subalgoE8ElNS0_10empty_typeEbEEZZNS1_14partition_implILS5_8ELb0ES3_jPlPS6_PKS6_NS0_5tupleIJS9_S6_EEENSD_IJSA_SA_EEENS0_18inequality_wrapperIZN2at6native12_GLOBAL__N_124unique_dim_cuda_templateIhEESt5tupleIJNSH_6TensorESM_SM_EERKSM_lbbbEUlllE0_EEPmJS6_EEE10hipError_tPvRmT3_T4_T5_T6_T7_T9_mT8_P12ihipStream_tbDpT10_ENKUlT_T0_E_clISt17integral_constantIbLb1EES1B_IbLb0EEEEDaS17_S18_EUlS17_E_NS1_11comp_targetILNS1_3genE9ELNS1_11target_archE1100ELNS1_3gpuE3ELNS1_3repE0EEENS1_30default_config_static_selectorELNS0_4arch9wavefront6targetE1EEEvT1_ ; -- Begin function _ZN7rocprim17ROCPRIM_400000_NS6detail17trampoline_kernelINS0_14default_configENS1_25partition_config_selectorILNS1_17partition_subalgoE8ElNS0_10empty_typeEbEEZZNS1_14partition_implILS5_8ELb0ES3_jPlPS6_PKS6_NS0_5tupleIJS9_S6_EEENSD_IJSA_SA_EEENS0_18inequality_wrapperIZN2at6native12_GLOBAL__N_124unique_dim_cuda_templateIhEESt5tupleIJNSH_6TensorESM_SM_EERKSM_lbbbEUlllE0_EEPmJS6_EEE10hipError_tPvRmT3_T4_T5_T6_T7_T9_mT8_P12ihipStream_tbDpT10_ENKUlT_T0_E_clISt17integral_constantIbLb1EES1B_IbLb0EEEEDaS17_S18_EUlS17_E_NS1_11comp_targetILNS1_3genE9ELNS1_11target_archE1100ELNS1_3gpuE3ELNS1_3repE0EEENS1_30default_config_static_selectorELNS0_4arch9wavefront6targetE1EEEvT1_
	.p2align	8
	.type	_ZN7rocprim17ROCPRIM_400000_NS6detail17trampoline_kernelINS0_14default_configENS1_25partition_config_selectorILNS1_17partition_subalgoE8ElNS0_10empty_typeEbEEZZNS1_14partition_implILS5_8ELb0ES3_jPlPS6_PKS6_NS0_5tupleIJS9_S6_EEENSD_IJSA_SA_EEENS0_18inequality_wrapperIZN2at6native12_GLOBAL__N_124unique_dim_cuda_templateIhEESt5tupleIJNSH_6TensorESM_SM_EERKSM_lbbbEUlllE0_EEPmJS6_EEE10hipError_tPvRmT3_T4_T5_T6_T7_T9_mT8_P12ihipStream_tbDpT10_ENKUlT_T0_E_clISt17integral_constantIbLb1EES1B_IbLb0EEEEDaS17_S18_EUlS17_E_NS1_11comp_targetILNS1_3genE9ELNS1_11target_archE1100ELNS1_3gpuE3ELNS1_3repE0EEENS1_30default_config_static_selectorELNS0_4arch9wavefront6targetE1EEEvT1_,@function
_ZN7rocprim17ROCPRIM_400000_NS6detail17trampoline_kernelINS0_14default_configENS1_25partition_config_selectorILNS1_17partition_subalgoE8ElNS0_10empty_typeEbEEZZNS1_14partition_implILS5_8ELb0ES3_jPlPS6_PKS6_NS0_5tupleIJS9_S6_EEENSD_IJSA_SA_EEENS0_18inequality_wrapperIZN2at6native12_GLOBAL__N_124unique_dim_cuda_templateIhEESt5tupleIJNSH_6TensorESM_SM_EERKSM_lbbbEUlllE0_EEPmJS6_EEE10hipError_tPvRmT3_T4_T5_T6_T7_T9_mT8_P12ihipStream_tbDpT10_ENKUlT_T0_E_clISt17integral_constantIbLb1EES1B_IbLb0EEEEDaS17_S18_EUlS17_E_NS1_11comp_targetILNS1_3genE9ELNS1_11target_archE1100ELNS1_3gpuE3ELNS1_3repE0EEENS1_30default_config_static_selectorELNS0_4arch9wavefront6targetE1EEEvT1_: ; @_ZN7rocprim17ROCPRIM_400000_NS6detail17trampoline_kernelINS0_14default_configENS1_25partition_config_selectorILNS1_17partition_subalgoE8ElNS0_10empty_typeEbEEZZNS1_14partition_implILS5_8ELb0ES3_jPlPS6_PKS6_NS0_5tupleIJS9_S6_EEENSD_IJSA_SA_EEENS0_18inequality_wrapperIZN2at6native12_GLOBAL__N_124unique_dim_cuda_templateIhEESt5tupleIJNSH_6TensorESM_SM_EERKSM_lbbbEUlllE0_EEPmJS6_EEE10hipError_tPvRmT3_T4_T5_T6_T7_T9_mT8_P12ihipStream_tbDpT10_ENKUlT_T0_E_clISt17integral_constantIbLb1EES1B_IbLb0EEEEDaS17_S18_EUlS17_E_NS1_11comp_targetILNS1_3genE9ELNS1_11target_archE1100ELNS1_3gpuE3ELNS1_3repE0EEENS1_30default_config_static_selectorELNS0_4arch9wavefront6targetE1EEEvT1_
; %bb.0:
	.section	.rodata,"a",@progbits
	.p2align	6, 0x0
	.amdhsa_kernel _ZN7rocprim17ROCPRIM_400000_NS6detail17trampoline_kernelINS0_14default_configENS1_25partition_config_selectorILNS1_17partition_subalgoE8ElNS0_10empty_typeEbEEZZNS1_14partition_implILS5_8ELb0ES3_jPlPS6_PKS6_NS0_5tupleIJS9_S6_EEENSD_IJSA_SA_EEENS0_18inequality_wrapperIZN2at6native12_GLOBAL__N_124unique_dim_cuda_templateIhEESt5tupleIJNSH_6TensorESM_SM_EERKSM_lbbbEUlllE0_EEPmJS6_EEE10hipError_tPvRmT3_T4_T5_T6_T7_T9_mT8_P12ihipStream_tbDpT10_ENKUlT_T0_E_clISt17integral_constantIbLb1EES1B_IbLb0EEEEDaS17_S18_EUlS17_E_NS1_11comp_targetILNS1_3genE9ELNS1_11target_archE1100ELNS1_3gpuE3ELNS1_3repE0EEENS1_30default_config_static_selectorELNS0_4arch9wavefront6targetE1EEEvT1_
		.amdhsa_group_segment_fixed_size 0
		.amdhsa_private_segment_fixed_size 0
		.amdhsa_kernarg_size 120
		.amdhsa_user_sgpr_count 2
		.amdhsa_user_sgpr_dispatch_ptr 0
		.amdhsa_user_sgpr_queue_ptr 0
		.amdhsa_user_sgpr_kernarg_segment_ptr 1
		.amdhsa_user_sgpr_dispatch_id 0
		.amdhsa_user_sgpr_kernarg_preload_length 0
		.amdhsa_user_sgpr_kernarg_preload_offset 0
		.amdhsa_user_sgpr_private_segment_size 0
		.amdhsa_uses_dynamic_stack 0
		.amdhsa_enable_private_segment 0
		.amdhsa_system_sgpr_workgroup_id_x 1
		.amdhsa_system_sgpr_workgroup_id_y 0
		.amdhsa_system_sgpr_workgroup_id_z 0
		.amdhsa_system_sgpr_workgroup_info 0
		.amdhsa_system_vgpr_workitem_id 0
		.amdhsa_next_free_vgpr 1
		.amdhsa_next_free_sgpr 0
		.amdhsa_accum_offset 4
		.amdhsa_reserve_vcc 0
		.amdhsa_float_round_mode_32 0
		.amdhsa_float_round_mode_16_64 0
		.amdhsa_float_denorm_mode_32 3
		.amdhsa_float_denorm_mode_16_64 3
		.amdhsa_dx10_clamp 1
		.amdhsa_ieee_mode 1
		.amdhsa_fp16_overflow 0
		.amdhsa_tg_split 0
		.amdhsa_exception_fp_ieee_invalid_op 0
		.amdhsa_exception_fp_denorm_src 0
		.amdhsa_exception_fp_ieee_div_zero 0
		.amdhsa_exception_fp_ieee_overflow 0
		.amdhsa_exception_fp_ieee_underflow 0
		.amdhsa_exception_fp_ieee_inexact 0
		.amdhsa_exception_int_div_zero 0
	.end_amdhsa_kernel
	.section	.text._ZN7rocprim17ROCPRIM_400000_NS6detail17trampoline_kernelINS0_14default_configENS1_25partition_config_selectorILNS1_17partition_subalgoE8ElNS0_10empty_typeEbEEZZNS1_14partition_implILS5_8ELb0ES3_jPlPS6_PKS6_NS0_5tupleIJS9_S6_EEENSD_IJSA_SA_EEENS0_18inequality_wrapperIZN2at6native12_GLOBAL__N_124unique_dim_cuda_templateIhEESt5tupleIJNSH_6TensorESM_SM_EERKSM_lbbbEUlllE0_EEPmJS6_EEE10hipError_tPvRmT3_T4_T5_T6_T7_T9_mT8_P12ihipStream_tbDpT10_ENKUlT_T0_E_clISt17integral_constantIbLb1EES1B_IbLb0EEEEDaS17_S18_EUlS17_E_NS1_11comp_targetILNS1_3genE9ELNS1_11target_archE1100ELNS1_3gpuE3ELNS1_3repE0EEENS1_30default_config_static_selectorELNS0_4arch9wavefront6targetE1EEEvT1_,"axG",@progbits,_ZN7rocprim17ROCPRIM_400000_NS6detail17trampoline_kernelINS0_14default_configENS1_25partition_config_selectorILNS1_17partition_subalgoE8ElNS0_10empty_typeEbEEZZNS1_14partition_implILS5_8ELb0ES3_jPlPS6_PKS6_NS0_5tupleIJS9_S6_EEENSD_IJSA_SA_EEENS0_18inequality_wrapperIZN2at6native12_GLOBAL__N_124unique_dim_cuda_templateIhEESt5tupleIJNSH_6TensorESM_SM_EERKSM_lbbbEUlllE0_EEPmJS6_EEE10hipError_tPvRmT3_T4_T5_T6_T7_T9_mT8_P12ihipStream_tbDpT10_ENKUlT_T0_E_clISt17integral_constantIbLb1EES1B_IbLb0EEEEDaS17_S18_EUlS17_E_NS1_11comp_targetILNS1_3genE9ELNS1_11target_archE1100ELNS1_3gpuE3ELNS1_3repE0EEENS1_30default_config_static_selectorELNS0_4arch9wavefront6targetE1EEEvT1_,comdat
.Lfunc_end193:
	.size	_ZN7rocprim17ROCPRIM_400000_NS6detail17trampoline_kernelINS0_14default_configENS1_25partition_config_selectorILNS1_17partition_subalgoE8ElNS0_10empty_typeEbEEZZNS1_14partition_implILS5_8ELb0ES3_jPlPS6_PKS6_NS0_5tupleIJS9_S6_EEENSD_IJSA_SA_EEENS0_18inequality_wrapperIZN2at6native12_GLOBAL__N_124unique_dim_cuda_templateIhEESt5tupleIJNSH_6TensorESM_SM_EERKSM_lbbbEUlllE0_EEPmJS6_EEE10hipError_tPvRmT3_T4_T5_T6_T7_T9_mT8_P12ihipStream_tbDpT10_ENKUlT_T0_E_clISt17integral_constantIbLb1EES1B_IbLb0EEEEDaS17_S18_EUlS17_E_NS1_11comp_targetILNS1_3genE9ELNS1_11target_archE1100ELNS1_3gpuE3ELNS1_3repE0EEENS1_30default_config_static_selectorELNS0_4arch9wavefront6targetE1EEEvT1_, .Lfunc_end193-_ZN7rocprim17ROCPRIM_400000_NS6detail17trampoline_kernelINS0_14default_configENS1_25partition_config_selectorILNS1_17partition_subalgoE8ElNS0_10empty_typeEbEEZZNS1_14partition_implILS5_8ELb0ES3_jPlPS6_PKS6_NS0_5tupleIJS9_S6_EEENSD_IJSA_SA_EEENS0_18inequality_wrapperIZN2at6native12_GLOBAL__N_124unique_dim_cuda_templateIhEESt5tupleIJNSH_6TensorESM_SM_EERKSM_lbbbEUlllE0_EEPmJS6_EEE10hipError_tPvRmT3_T4_T5_T6_T7_T9_mT8_P12ihipStream_tbDpT10_ENKUlT_T0_E_clISt17integral_constantIbLb1EES1B_IbLb0EEEEDaS17_S18_EUlS17_E_NS1_11comp_targetILNS1_3genE9ELNS1_11target_archE1100ELNS1_3gpuE3ELNS1_3repE0EEENS1_30default_config_static_selectorELNS0_4arch9wavefront6targetE1EEEvT1_
                                        ; -- End function
	.set _ZN7rocprim17ROCPRIM_400000_NS6detail17trampoline_kernelINS0_14default_configENS1_25partition_config_selectorILNS1_17partition_subalgoE8ElNS0_10empty_typeEbEEZZNS1_14partition_implILS5_8ELb0ES3_jPlPS6_PKS6_NS0_5tupleIJS9_S6_EEENSD_IJSA_SA_EEENS0_18inequality_wrapperIZN2at6native12_GLOBAL__N_124unique_dim_cuda_templateIhEESt5tupleIJNSH_6TensorESM_SM_EERKSM_lbbbEUlllE0_EEPmJS6_EEE10hipError_tPvRmT3_T4_T5_T6_T7_T9_mT8_P12ihipStream_tbDpT10_ENKUlT_T0_E_clISt17integral_constantIbLb1EES1B_IbLb0EEEEDaS17_S18_EUlS17_E_NS1_11comp_targetILNS1_3genE9ELNS1_11target_archE1100ELNS1_3gpuE3ELNS1_3repE0EEENS1_30default_config_static_selectorELNS0_4arch9wavefront6targetE1EEEvT1_.num_vgpr, 0
	.set _ZN7rocprim17ROCPRIM_400000_NS6detail17trampoline_kernelINS0_14default_configENS1_25partition_config_selectorILNS1_17partition_subalgoE8ElNS0_10empty_typeEbEEZZNS1_14partition_implILS5_8ELb0ES3_jPlPS6_PKS6_NS0_5tupleIJS9_S6_EEENSD_IJSA_SA_EEENS0_18inequality_wrapperIZN2at6native12_GLOBAL__N_124unique_dim_cuda_templateIhEESt5tupleIJNSH_6TensorESM_SM_EERKSM_lbbbEUlllE0_EEPmJS6_EEE10hipError_tPvRmT3_T4_T5_T6_T7_T9_mT8_P12ihipStream_tbDpT10_ENKUlT_T0_E_clISt17integral_constantIbLb1EES1B_IbLb0EEEEDaS17_S18_EUlS17_E_NS1_11comp_targetILNS1_3genE9ELNS1_11target_archE1100ELNS1_3gpuE3ELNS1_3repE0EEENS1_30default_config_static_selectorELNS0_4arch9wavefront6targetE1EEEvT1_.num_agpr, 0
	.set _ZN7rocprim17ROCPRIM_400000_NS6detail17trampoline_kernelINS0_14default_configENS1_25partition_config_selectorILNS1_17partition_subalgoE8ElNS0_10empty_typeEbEEZZNS1_14partition_implILS5_8ELb0ES3_jPlPS6_PKS6_NS0_5tupleIJS9_S6_EEENSD_IJSA_SA_EEENS0_18inequality_wrapperIZN2at6native12_GLOBAL__N_124unique_dim_cuda_templateIhEESt5tupleIJNSH_6TensorESM_SM_EERKSM_lbbbEUlllE0_EEPmJS6_EEE10hipError_tPvRmT3_T4_T5_T6_T7_T9_mT8_P12ihipStream_tbDpT10_ENKUlT_T0_E_clISt17integral_constantIbLb1EES1B_IbLb0EEEEDaS17_S18_EUlS17_E_NS1_11comp_targetILNS1_3genE9ELNS1_11target_archE1100ELNS1_3gpuE3ELNS1_3repE0EEENS1_30default_config_static_selectorELNS0_4arch9wavefront6targetE1EEEvT1_.numbered_sgpr, 0
	.set _ZN7rocprim17ROCPRIM_400000_NS6detail17trampoline_kernelINS0_14default_configENS1_25partition_config_selectorILNS1_17partition_subalgoE8ElNS0_10empty_typeEbEEZZNS1_14partition_implILS5_8ELb0ES3_jPlPS6_PKS6_NS0_5tupleIJS9_S6_EEENSD_IJSA_SA_EEENS0_18inequality_wrapperIZN2at6native12_GLOBAL__N_124unique_dim_cuda_templateIhEESt5tupleIJNSH_6TensorESM_SM_EERKSM_lbbbEUlllE0_EEPmJS6_EEE10hipError_tPvRmT3_T4_T5_T6_T7_T9_mT8_P12ihipStream_tbDpT10_ENKUlT_T0_E_clISt17integral_constantIbLb1EES1B_IbLb0EEEEDaS17_S18_EUlS17_E_NS1_11comp_targetILNS1_3genE9ELNS1_11target_archE1100ELNS1_3gpuE3ELNS1_3repE0EEENS1_30default_config_static_selectorELNS0_4arch9wavefront6targetE1EEEvT1_.num_named_barrier, 0
	.set _ZN7rocprim17ROCPRIM_400000_NS6detail17trampoline_kernelINS0_14default_configENS1_25partition_config_selectorILNS1_17partition_subalgoE8ElNS0_10empty_typeEbEEZZNS1_14partition_implILS5_8ELb0ES3_jPlPS6_PKS6_NS0_5tupleIJS9_S6_EEENSD_IJSA_SA_EEENS0_18inequality_wrapperIZN2at6native12_GLOBAL__N_124unique_dim_cuda_templateIhEESt5tupleIJNSH_6TensorESM_SM_EERKSM_lbbbEUlllE0_EEPmJS6_EEE10hipError_tPvRmT3_T4_T5_T6_T7_T9_mT8_P12ihipStream_tbDpT10_ENKUlT_T0_E_clISt17integral_constantIbLb1EES1B_IbLb0EEEEDaS17_S18_EUlS17_E_NS1_11comp_targetILNS1_3genE9ELNS1_11target_archE1100ELNS1_3gpuE3ELNS1_3repE0EEENS1_30default_config_static_selectorELNS0_4arch9wavefront6targetE1EEEvT1_.private_seg_size, 0
	.set _ZN7rocprim17ROCPRIM_400000_NS6detail17trampoline_kernelINS0_14default_configENS1_25partition_config_selectorILNS1_17partition_subalgoE8ElNS0_10empty_typeEbEEZZNS1_14partition_implILS5_8ELb0ES3_jPlPS6_PKS6_NS0_5tupleIJS9_S6_EEENSD_IJSA_SA_EEENS0_18inequality_wrapperIZN2at6native12_GLOBAL__N_124unique_dim_cuda_templateIhEESt5tupleIJNSH_6TensorESM_SM_EERKSM_lbbbEUlllE0_EEPmJS6_EEE10hipError_tPvRmT3_T4_T5_T6_T7_T9_mT8_P12ihipStream_tbDpT10_ENKUlT_T0_E_clISt17integral_constantIbLb1EES1B_IbLb0EEEEDaS17_S18_EUlS17_E_NS1_11comp_targetILNS1_3genE9ELNS1_11target_archE1100ELNS1_3gpuE3ELNS1_3repE0EEENS1_30default_config_static_selectorELNS0_4arch9wavefront6targetE1EEEvT1_.uses_vcc, 0
	.set _ZN7rocprim17ROCPRIM_400000_NS6detail17trampoline_kernelINS0_14default_configENS1_25partition_config_selectorILNS1_17partition_subalgoE8ElNS0_10empty_typeEbEEZZNS1_14partition_implILS5_8ELb0ES3_jPlPS6_PKS6_NS0_5tupleIJS9_S6_EEENSD_IJSA_SA_EEENS0_18inequality_wrapperIZN2at6native12_GLOBAL__N_124unique_dim_cuda_templateIhEESt5tupleIJNSH_6TensorESM_SM_EERKSM_lbbbEUlllE0_EEPmJS6_EEE10hipError_tPvRmT3_T4_T5_T6_T7_T9_mT8_P12ihipStream_tbDpT10_ENKUlT_T0_E_clISt17integral_constantIbLb1EES1B_IbLb0EEEEDaS17_S18_EUlS17_E_NS1_11comp_targetILNS1_3genE9ELNS1_11target_archE1100ELNS1_3gpuE3ELNS1_3repE0EEENS1_30default_config_static_selectorELNS0_4arch9wavefront6targetE1EEEvT1_.uses_flat_scratch, 0
	.set _ZN7rocprim17ROCPRIM_400000_NS6detail17trampoline_kernelINS0_14default_configENS1_25partition_config_selectorILNS1_17partition_subalgoE8ElNS0_10empty_typeEbEEZZNS1_14partition_implILS5_8ELb0ES3_jPlPS6_PKS6_NS0_5tupleIJS9_S6_EEENSD_IJSA_SA_EEENS0_18inequality_wrapperIZN2at6native12_GLOBAL__N_124unique_dim_cuda_templateIhEESt5tupleIJNSH_6TensorESM_SM_EERKSM_lbbbEUlllE0_EEPmJS6_EEE10hipError_tPvRmT3_T4_T5_T6_T7_T9_mT8_P12ihipStream_tbDpT10_ENKUlT_T0_E_clISt17integral_constantIbLb1EES1B_IbLb0EEEEDaS17_S18_EUlS17_E_NS1_11comp_targetILNS1_3genE9ELNS1_11target_archE1100ELNS1_3gpuE3ELNS1_3repE0EEENS1_30default_config_static_selectorELNS0_4arch9wavefront6targetE1EEEvT1_.has_dyn_sized_stack, 0
	.set _ZN7rocprim17ROCPRIM_400000_NS6detail17trampoline_kernelINS0_14default_configENS1_25partition_config_selectorILNS1_17partition_subalgoE8ElNS0_10empty_typeEbEEZZNS1_14partition_implILS5_8ELb0ES3_jPlPS6_PKS6_NS0_5tupleIJS9_S6_EEENSD_IJSA_SA_EEENS0_18inequality_wrapperIZN2at6native12_GLOBAL__N_124unique_dim_cuda_templateIhEESt5tupleIJNSH_6TensorESM_SM_EERKSM_lbbbEUlllE0_EEPmJS6_EEE10hipError_tPvRmT3_T4_T5_T6_T7_T9_mT8_P12ihipStream_tbDpT10_ENKUlT_T0_E_clISt17integral_constantIbLb1EES1B_IbLb0EEEEDaS17_S18_EUlS17_E_NS1_11comp_targetILNS1_3genE9ELNS1_11target_archE1100ELNS1_3gpuE3ELNS1_3repE0EEENS1_30default_config_static_selectorELNS0_4arch9wavefront6targetE1EEEvT1_.has_recursion, 0
	.set _ZN7rocprim17ROCPRIM_400000_NS6detail17trampoline_kernelINS0_14default_configENS1_25partition_config_selectorILNS1_17partition_subalgoE8ElNS0_10empty_typeEbEEZZNS1_14partition_implILS5_8ELb0ES3_jPlPS6_PKS6_NS0_5tupleIJS9_S6_EEENSD_IJSA_SA_EEENS0_18inequality_wrapperIZN2at6native12_GLOBAL__N_124unique_dim_cuda_templateIhEESt5tupleIJNSH_6TensorESM_SM_EERKSM_lbbbEUlllE0_EEPmJS6_EEE10hipError_tPvRmT3_T4_T5_T6_T7_T9_mT8_P12ihipStream_tbDpT10_ENKUlT_T0_E_clISt17integral_constantIbLb1EES1B_IbLb0EEEEDaS17_S18_EUlS17_E_NS1_11comp_targetILNS1_3genE9ELNS1_11target_archE1100ELNS1_3gpuE3ELNS1_3repE0EEENS1_30default_config_static_selectorELNS0_4arch9wavefront6targetE1EEEvT1_.has_indirect_call, 0
	.section	.AMDGPU.csdata,"",@progbits
; Kernel info:
; codeLenInByte = 0
; TotalNumSgprs: 6
; NumVgprs: 0
; NumAgprs: 0
; TotalNumVgprs: 0
; ScratchSize: 0
; MemoryBound: 0
; FloatMode: 240
; IeeeMode: 1
; LDSByteSize: 0 bytes/workgroup (compile time only)
; SGPRBlocks: 0
; VGPRBlocks: 0
; NumSGPRsForWavesPerEU: 6
; NumVGPRsForWavesPerEU: 1
; AccumOffset: 4
; Occupancy: 8
; WaveLimiterHint : 0
; COMPUTE_PGM_RSRC2:SCRATCH_EN: 0
; COMPUTE_PGM_RSRC2:USER_SGPR: 2
; COMPUTE_PGM_RSRC2:TRAP_HANDLER: 0
; COMPUTE_PGM_RSRC2:TGID_X_EN: 1
; COMPUTE_PGM_RSRC2:TGID_Y_EN: 0
; COMPUTE_PGM_RSRC2:TGID_Z_EN: 0
; COMPUTE_PGM_RSRC2:TIDIG_COMP_CNT: 0
; COMPUTE_PGM_RSRC3_GFX90A:ACCUM_OFFSET: 0
; COMPUTE_PGM_RSRC3_GFX90A:TG_SPLIT: 0
	.section	.text._ZN7rocprim17ROCPRIM_400000_NS6detail17trampoline_kernelINS0_14default_configENS1_25partition_config_selectorILNS1_17partition_subalgoE8ElNS0_10empty_typeEbEEZZNS1_14partition_implILS5_8ELb0ES3_jPlPS6_PKS6_NS0_5tupleIJS9_S6_EEENSD_IJSA_SA_EEENS0_18inequality_wrapperIZN2at6native12_GLOBAL__N_124unique_dim_cuda_templateIhEESt5tupleIJNSH_6TensorESM_SM_EERKSM_lbbbEUlllE0_EEPmJS6_EEE10hipError_tPvRmT3_T4_T5_T6_T7_T9_mT8_P12ihipStream_tbDpT10_ENKUlT_T0_E_clISt17integral_constantIbLb1EES1B_IbLb0EEEEDaS17_S18_EUlS17_E_NS1_11comp_targetILNS1_3genE8ELNS1_11target_archE1030ELNS1_3gpuE2ELNS1_3repE0EEENS1_30default_config_static_selectorELNS0_4arch9wavefront6targetE1EEEvT1_,"axG",@progbits,_ZN7rocprim17ROCPRIM_400000_NS6detail17trampoline_kernelINS0_14default_configENS1_25partition_config_selectorILNS1_17partition_subalgoE8ElNS0_10empty_typeEbEEZZNS1_14partition_implILS5_8ELb0ES3_jPlPS6_PKS6_NS0_5tupleIJS9_S6_EEENSD_IJSA_SA_EEENS0_18inequality_wrapperIZN2at6native12_GLOBAL__N_124unique_dim_cuda_templateIhEESt5tupleIJNSH_6TensorESM_SM_EERKSM_lbbbEUlllE0_EEPmJS6_EEE10hipError_tPvRmT3_T4_T5_T6_T7_T9_mT8_P12ihipStream_tbDpT10_ENKUlT_T0_E_clISt17integral_constantIbLb1EES1B_IbLb0EEEEDaS17_S18_EUlS17_E_NS1_11comp_targetILNS1_3genE8ELNS1_11target_archE1030ELNS1_3gpuE2ELNS1_3repE0EEENS1_30default_config_static_selectorELNS0_4arch9wavefront6targetE1EEEvT1_,comdat
	.globl	_ZN7rocprim17ROCPRIM_400000_NS6detail17trampoline_kernelINS0_14default_configENS1_25partition_config_selectorILNS1_17partition_subalgoE8ElNS0_10empty_typeEbEEZZNS1_14partition_implILS5_8ELb0ES3_jPlPS6_PKS6_NS0_5tupleIJS9_S6_EEENSD_IJSA_SA_EEENS0_18inequality_wrapperIZN2at6native12_GLOBAL__N_124unique_dim_cuda_templateIhEESt5tupleIJNSH_6TensorESM_SM_EERKSM_lbbbEUlllE0_EEPmJS6_EEE10hipError_tPvRmT3_T4_T5_T6_T7_T9_mT8_P12ihipStream_tbDpT10_ENKUlT_T0_E_clISt17integral_constantIbLb1EES1B_IbLb0EEEEDaS17_S18_EUlS17_E_NS1_11comp_targetILNS1_3genE8ELNS1_11target_archE1030ELNS1_3gpuE2ELNS1_3repE0EEENS1_30default_config_static_selectorELNS0_4arch9wavefront6targetE1EEEvT1_ ; -- Begin function _ZN7rocprim17ROCPRIM_400000_NS6detail17trampoline_kernelINS0_14default_configENS1_25partition_config_selectorILNS1_17partition_subalgoE8ElNS0_10empty_typeEbEEZZNS1_14partition_implILS5_8ELb0ES3_jPlPS6_PKS6_NS0_5tupleIJS9_S6_EEENSD_IJSA_SA_EEENS0_18inequality_wrapperIZN2at6native12_GLOBAL__N_124unique_dim_cuda_templateIhEESt5tupleIJNSH_6TensorESM_SM_EERKSM_lbbbEUlllE0_EEPmJS6_EEE10hipError_tPvRmT3_T4_T5_T6_T7_T9_mT8_P12ihipStream_tbDpT10_ENKUlT_T0_E_clISt17integral_constantIbLb1EES1B_IbLb0EEEEDaS17_S18_EUlS17_E_NS1_11comp_targetILNS1_3genE8ELNS1_11target_archE1030ELNS1_3gpuE2ELNS1_3repE0EEENS1_30default_config_static_selectorELNS0_4arch9wavefront6targetE1EEEvT1_
	.p2align	8
	.type	_ZN7rocprim17ROCPRIM_400000_NS6detail17trampoline_kernelINS0_14default_configENS1_25partition_config_selectorILNS1_17partition_subalgoE8ElNS0_10empty_typeEbEEZZNS1_14partition_implILS5_8ELb0ES3_jPlPS6_PKS6_NS0_5tupleIJS9_S6_EEENSD_IJSA_SA_EEENS0_18inequality_wrapperIZN2at6native12_GLOBAL__N_124unique_dim_cuda_templateIhEESt5tupleIJNSH_6TensorESM_SM_EERKSM_lbbbEUlllE0_EEPmJS6_EEE10hipError_tPvRmT3_T4_T5_T6_T7_T9_mT8_P12ihipStream_tbDpT10_ENKUlT_T0_E_clISt17integral_constantIbLb1EES1B_IbLb0EEEEDaS17_S18_EUlS17_E_NS1_11comp_targetILNS1_3genE8ELNS1_11target_archE1030ELNS1_3gpuE2ELNS1_3repE0EEENS1_30default_config_static_selectorELNS0_4arch9wavefront6targetE1EEEvT1_,@function
_ZN7rocprim17ROCPRIM_400000_NS6detail17trampoline_kernelINS0_14default_configENS1_25partition_config_selectorILNS1_17partition_subalgoE8ElNS0_10empty_typeEbEEZZNS1_14partition_implILS5_8ELb0ES3_jPlPS6_PKS6_NS0_5tupleIJS9_S6_EEENSD_IJSA_SA_EEENS0_18inequality_wrapperIZN2at6native12_GLOBAL__N_124unique_dim_cuda_templateIhEESt5tupleIJNSH_6TensorESM_SM_EERKSM_lbbbEUlllE0_EEPmJS6_EEE10hipError_tPvRmT3_T4_T5_T6_T7_T9_mT8_P12ihipStream_tbDpT10_ENKUlT_T0_E_clISt17integral_constantIbLb1EES1B_IbLb0EEEEDaS17_S18_EUlS17_E_NS1_11comp_targetILNS1_3genE8ELNS1_11target_archE1030ELNS1_3gpuE2ELNS1_3repE0EEENS1_30default_config_static_selectorELNS0_4arch9wavefront6targetE1EEEvT1_: ; @_ZN7rocprim17ROCPRIM_400000_NS6detail17trampoline_kernelINS0_14default_configENS1_25partition_config_selectorILNS1_17partition_subalgoE8ElNS0_10empty_typeEbEEZZNS1_14partition_implILS5_8ELb0ES3_jPlPS6_PKS6_NS0_5tupleIJS9_S6_EEENSD_IJSA_SA_EEENS0_18inequality_wrapperIZN2at6native12_GLOBAL__N_124unique_dim_cuda_templateIhEESt5tupleIJNSH_6TensorESM_SM_EERKSM_lbbbEUlllE0_EEPmJS6_EEE10hipError_tPvRmT3_T4_T5_T6_T7_T9_mT8_P12ihipStream_tbDpT10_ENKUlT_T0_E_clISt17integral_constantIbLb1EES1B_IbLb0EEEEDaS17_S18_EUlS17_E_NS1_11comp_targetILNS1_3genE8ELNS1_11target_archE1030ELNS1_3gpuE2ELNS1_3repE0EEENS1_30default_config_static_selectorELNS0_4arch9wavefront6targetE1EEEvT1_
; %bb.0:
	.section	.rodata,"a",@progbits
	.p2align	6, 0x0
	.amdhsa_kernel _ZN7rocprim17ROCPRIM_400000_NS6detail17trampoline_kernelINS0_14default_configENS1_25partition_config_selectorILNS1_17partition_subalgoE8ElNS0_10empty_typeEbEEZZNS1_14partition_implILS5_8ELb0ES3_jPlPS6_PKS6_NS0_5tupleIJS9_S6_EEENSD_IJSA_SA_EEENS0_18inequality_wrapperIZN2at6native12_GLOBAL__N_124unique_dim_cuda_templateIhEESt5tupleIJNSH_6TensorESM_SM_EERKSM_lbbbEUlllE0_EEPmJS6_EEE10hipError_tPvRmT3_T4_T5_T6_T7_T9_mT8_P12ihipStream_tbDpT10_ENKUlT_T0_E_clISt17integral_constantIbLb1EES1B_IbLb0EEEEDaS17_S18_EUlS17_E_NS1_11comp_targetILNS1_3genE8ELNS1_11target_archE1030ELNS1_3gpuE2ELNS1_3repE0EEENS1_30default_config_static_selectorELNS0_4arch9wavefront6targetE1EEEvT1_
		.amdhsa_group_segment_fixed_size 0
		.amdhsa_private_segment_fixed_size 0
		.amdhsa_kernarg_size 120
		.amdhsa_user_sgpr_count 2
		.amdhsa_user_sgpr_dispatch_ptr 0
		.amdhsa_user_sgpr_queue_ptr 0
		.amdhsa_user_sgpr_kernarg_segment_ptr 1
		.amdhsa_user_sgpr_dispatch_id 0
		.amdhsa_user_sgpr_kernarg_preload_length 0
		.amdhsa_user_sgpr_kernarg_preload_offset 0
		.amdhsa_user_sgpr_private_segment_size 0
		.amdhsa_uses_dynamic_stack 0
		.amdhsa_enable_private_segment 0
		.amdhsa_system_sgpr_workgroup_id_x 1
		.amdhsa_system_sgpr_workgroup_id_y 0
		.amdhsa_system_sgpr_workgroup_id_z 0
		.amdhsa_system_sgpr_workgroup_info 0
		.amdhsa_system_vgpr_workitem_id 0
		.amdhsa_next_free_vgpr 1
		.amdhsa_next_free_sgpr 0
		.amdhsa_accum_offset 4
		.amdhsa_reserve_vcc 0
		.amdhsa_float_round_mode_32 0
		.amdhsa_float_round_mode_16_64 0
		.amdhsa_float_denorm_mode_32 3
		.amdhsa_float_denorm_mode_16_64 3
		.amdhsa_dx10_clamp 1
		.amdhsa_ieee_mode 1
		.amdhsa_fp16_overflow 0
		.amdhsa_tg_split 0
		.amdhsa_exception_fp_ieee_invalid_op 0
		.amdhsa_exception_fp_denorm_src 0
		.amdhsa_exception_fp_ieee_div_zero 0
		.amdhsa_exception_fp_ieee_overflow 0
		.amdhsa_exception_fp_ieee_underflow 0
		.amdhsa_exception_fp_ieee_inexact 0
		.amdhsa_exception_int_div_zero 0
	.end_amdhsa_kernel
	.section	.text._ZN7rocprim17ROCPRIM_400000_NS6detail17trampoline_kernelINS0_14default_configENS1_25partition_config_selectorILNS1_17partition_subalgoE8ElNS0_10empty_typeEbEEZZNS1_14partition_implILS5_8ELb0ES3_jPlPS6_PKS6_NS0_5tupleIJS9_S6_EEENSD_IJSA_SA_EEENS0_18inequality_wrapperIZN2at6native12_GLOBAL__N_124unique_dim_cuda_templateIhEESt5tupleIJNSH_6TensorESM_SM_EERKSM_lbbbEUlllE0_EEPmJS6_EEE10hipError_tPvRmT3_T4_T5_T6_T7_T9_mT8_P12ihipStream_tbDpT10_ENKUlT_T0_E_clISt17integral_constantIbLb1EES1B_IbLb0EEEEDaS17_S18_EUlS17_E_NS1_11comp_targetILNS1_3genE8ELNS1_11target_archE1030ELNS1_3gpuE2ELNS1_3repE0EEENS1_30default_config_static_selectorELNS0_4arch9wavefront6targetE1EEEvT1_,"axG",@progbits,_ZN7rocprim17ROCPRIM_400000_NS6detail17trampoline_kernelINS0_14default_configENS1_25partition_config_selectorILNS1_17partition_subalgoE8ElNS0_10empty_typeEbEEZZNS1_14partition_implILS5_8ELb0ES3_jPlPS6_PKS6_NS0_5tupleIJS9_S6_EEENSD_IJSA_SA_EEENS0_18inequality_wrapperIZN2at6native12_GLOBAL__N_124unique_dim_cuda_templateIhEESt5tupleIJNSH_6TensorESM_SM_EERKSM_lbbbEUlllE0_EEPmJS6_EEE10hipError_tPvRmT3_T4_T5_T6_T7_T9_mT8_P12ihipStream_tbDpT10_ENKUlT_T0_E_clISt17integral_constantIbLb1EES1B_IbLb0EEEEDaS17_S18_EUlS17_E_NS1_11comp_targetILNS1_3genE8ELNS1_11target_archE1030ELNS1_3gpuE2ELNS1_3repE0EEENS1_30default_config_static_selectorELNS0_4arch9wavefront6targetE1EEEvT1_,comdat
.Lfunc_end194:
	.size	_ZN7rocprim17ROCPRIM_400000_NS6detail17trampoline_kernelINS0_14default_configENS1_25partition_config_selectorILNS1_17partition_subalgoE8ElNS0_10empty_typeEbEEZZNS1_14partition_implILS5_8ELb0ES3_jPlPS6_PKS6_NS0_5tupleIJS9_S6_EEENSD_IJSA_SA_EEENS0_18inequality_wrapperIZN2at6native12_GLOBAL__N_124unique_dim_cuda_templateIhEESt5tupleIJNSH_6TensorESM_SM_EERKSM_lbbbEUlllE0_EEPmJS6_EEE10hipError_tPvRmT3_T4_T5_T6_T7_T9_mT8_P12ihipStream_tbDpT10_ENKUlT_T0_E_clISt17integral_constantIbLb1EES1B_IbLb0EEEEDaS17_S18_EUlS17_E_NS1_11comp_targetILNS1_3genE8ELNS1_11target_archE1030ELNS1_3gpuE2ELNS1_3repE0EEENS1_30default_config_static_selectorELNS0_4arch9wavefront6targetE1EEEvT1_, .Lfunc_end194-_ZN7rocprim17ROCPRIM_400000_NS6detail17trampoline_kernelINS0_14default_configENS1_25partition_config_selectorILNS1_17partition_subalgoE8ElNS0_10empty_typeEbEEZZNS1_14partition_implILS5_8ELb0ES3_jPlPS6_PKS6_NS0_5tupleIJS9_S6_EEENSD_IJSA_SA_EEENS0_18inequality_wrapperIZN2at6native12_GLOBAL__N_124unique_dim_cuda_templateIhEESt5tupleIJNSH_6TensorESM_SM_EERKSM_lbbbEUlllE0_EEPmJS6_EEE10hipError_tPvRmT3_T4_T5_T6_T7_T9_mT8_P12ihipStream_tbDpT10_ENKUlT_T0_E_clISt17integral_constantIbLb1EES1B_IbLb0EEEEDaS17_S18_EUlS17_E_NS1_11comp_targetILNS1_3genE8ELNS1_11target_archE1030ELNS1_3gpuE2ELNS1_3repE0EEENS1_30default_config_static_selectorELNS0_4arch9wavefront6targetE1EEEvT1_
                                        ; -- End function
	.set _ZN7rocprim17ROCPRIM_400000_NS6detail17trampoline_kernelINS0_14default_configENS1_25partition_config_selectorILNS1_17partition_subalgoE8ElNS0_10empty_typeEbEEZZNS1_14partition_implILS5_8ELb0ES3_jPlPS6_PKS6_NS0_5tupleIJS9_S6_EEENSD_IJSA_SA_EEENS0_18inequality_wrapperIZN2at6native12_GLOBAL__N_124unique_dim_cuda_templateIhEESt5tupleIJNSH_6TensorESM_SM_EERKSM_lbbbEUlllE0_EEPmJS6_EEE10hipError_tPvRmT3_T4_T5_T6_T7_T9_mT8_P12ihipStream_tbDpT10_ENKUlT_T0_E_clISt17integral_constantIbLb1EES1B_IbLb0EEEEDaS17_S18_EUlS17_E_NS1_11comp_targetILNS1_3genE8ELNS1_11target_archE1030ELNS1_3gpuE2ELNS1_3repE0EEENS1_30default_config_static_selectorELNS0_4arch9wavefront6targetE1EEEvT1_.num_vgpr, 0
	.set _ZN7rocprim17ROCPRIM_400000_NS6detail17trampoline_kernelINS0_14default_configENS1_25partition_config_selectorILNS1_17partition_subalgoE8ElNS0_10empty_typeEbEEZZNS1_14partition_implILS5_8ELb0ES3_jPlPS6_PKS6_NS0_5tupleIJS9_S6_EEENSD_IJSA_SA_EEENS0_18inequality_wrapperIZN2at6native12_GLOBAL__N_124unique_dim_cuda_templateIhEESt5tupleIJNSH_6TensorESM_SM_EERKSM_lbbbEUlllE0_EEPmJS6_EEE10hipError_tPvRmT3_T4_T5_T6_T7_T9_mT8_P12ihipStream_tbDpT10_ENKUlT_T0_E_clISt17integral_constantIbLb1EES1B_IbLb0EEEEDaS17_S18_EUlS17_E_NS1_11comp_targetILNS1_3genE8ELNS1_11target_archE1030ELNS1_3gpuE2ELNS1_3repE0EEENS1_30default_config_static_selectorELNS0_4arch9wavefront6targetE1EEEvT1_.num_agpr, 0
	.set _ZN7rocprim17ROCPRIM_400000_NS6detail17trampoline_kernelINS0_14default_configENS1_25partition_config_selectorILNS1_17partition_subalgoE8ElNS0_10empty_typeEbEEZZNS1_14partition_implILS5_8ELb0ES3_jPlPS6_PKS6_NS0_5tupleIJS9_S6_EEENSD_IJSA_SA_EEENS0_18inequality_wrapperIZN2at6native12_GLOBAL__N_124unique_dim_cuda_templateIhEESt5tupleIJNSH_6TensorESM_SM_EERKSM_lbbbEUlllE0_EEPmJS6_EEE10hipError_tPvRmT3_T4_T5_T6_T7_T9_mT8_P12ihipStream_tbDpT10_ENKUlT_T0_E_clISt17integral_constantIbLb1EES1B_IbLb0EEEEDaS17_S18_EUlS17_E_NS1_11comp_targetILNS1_3genE8ELNS1_11target_archE1030ELNS1_3gpuE2ELNS1_3repE0EEENS1_30default_config_static_selectorELNS0_4arch9wavefront6targetE1EEEvT1_.numbered_sgpr, 0
	.set _ZN7rocprim17ROCPRIM_400000_NS6detail17trampoline_kernelINS0_14default_configENS1_25partition_config_selectorILNS1_17partition_subalgoE8ElNS0_10empty_typeEbEEZZNS1_14partition_implILS5_8ELb0ES3_jPlPS6_PKS6_NS0_5tupleIJS9_S6_EEENSD_IJSA_SA_EEENS0_18inequality_wrapperIZN2at6native12_GLOBAL__N_124unique_dim_cuda_templateIhEESt5tupleIJNSH_6TensorESM_SM_EERKSM_lbbbEUlllE0_EEPmJS6_EEE10hipError_tPvRmT3_T4_T5_T6_T7_T9_mT8_P12ihipStream_tbDpT10_ENKUlT_T0_E_clISt17integral_constantIbLb1EES1B_IbLb0EEEEDaS17_S18_EUlS17_E_NS1_11comp_targetILNS1_3genE8ELNS1_11target_archE1030ELNS1_3gpuE2ELNS1_3repE0EEENS1_30default_config_static_selectorELNS0_4arch9wavefront6targetE1EEEvT1_.num_named_barrier, 0
	.set _ZN7rocprim17ROCPRIM_400000_NS6detail17trampoline_kernelINS0_14default_configENS1_25partition_config_selectorILNS1_17partition_subalgoE8ElNS0_10empty_typeEbEEZZNS1_14partition_implILS5_8ELb0ES3_jPlPS6_PKS6_NS0_5tupleIJS9_S6_EEENSD_IJSA_SA_EEENS0_18inequality_wrapperIZN2at6native12_GLOBAL__N_124unique_dim_cuda_templateIhEESt5tupleIJNSH_6TensorESM_SM_EERKSM_lbbbEUlllE0_EEPmJS6_EEE10hipError_tPvRmT3_T4_T5_T6_T7_T9_mT8_P12ihipStream_tbDpT10_ENKUlT_T0_E_clISt17integral_constantIbLb1EES1B_IbLb0EEEEDaS17_S18_EUlS17_E_NS1_11comp_targetILNS1_3genE8ELNS1_11target_archE1030ELNS1_3gpuE2ELNS1_3repE0EEENS1_30default_config_static_selectorELNS0_4arch9wavefront6targetE1EEEvT1_.private_seg_size, 0
	.set _ZN7rocprim17ROCPRIM_400000_NS6detail17trampoline_kernelINS0_14default_configENS1_25partition_config_selectorILNS1_17partition_subalgoE8ElNS0_10empty_typeEbEEZZNS1_14partition_implILS5_8ELb0ES3_jPlPS6_PKS6_NS0_5tupleIJS9_S6_EEENSD_IJSA_SA_EEENS0_18inequality_wrapperIZN2at6native12_GLOBAL__N_124unique_dim_cuda_templateIhEESt5tupleIJNSH_6TensorESM_SM_EERKSM_lbbbEUlllE0_EEPmJS6_EEE10hipError_tPvRmT3_T4_T5_T6_T7_T9_mT8_P12ihipStream_tbDpT10_ENKUlT_T0_E_clISt17integral_constantIbLb1EES1B_IbLb0EEEEDaS17_S18_EUlS17_E_NS1_11comp_targetILNS1_3genE8ELNS1_11target_archE1030ELNS1_3gpuE2ELNS1_3repE0EEENS1_30default_config_static_selectorELNS0_4arch9wavefront6targetE1EEEvT1_.uses_vcc, 0
	.set _ZN7rocprim17ROCPRIM_400000_NS6detail17trampoline_kernelINS0_14default_configENS1_25partition_config_selectorILNS1_17partition_subalgoE8ElNS0_10empty_typeEbEEZZNS1_14partition_implILS5_8ELb0ES3_jPlPS6_PKS6_NS0_5tupleIJS9_S6_EEENSD_IJSA_SA_EEENS0_18inequality_wrapperIZN2at6native12_GLOBAL__N_124unique_dim_cuda_templateIhEESt5tupleIJNSH_6TensorESM_SM_EERKSM_lbbbEUlllE0_EEPmJS6_EEE10hipError_tPvRmT3_T4_T5_T6_T7_T9_mT8_P12ihipStream_tbDpT10_ENKUlT_T0_E_clISt17integral_constantIbLb1EES1B_IbLb0EEEEDaS17_S18_EUlS17_E_NS1_11comp_targetILNS1_3genE8ELNS1_11target_archE1030ELNS1_3gpuE2ELNS1_3repE0EEENS1_30default_config_static_selectorELNS0_4arch9wavefront6targetE1EEEvT1_.uses_flat_scratch, 0
	.set _ZN7rocprim17ROCPRIM_400000_NS6detail17trampoline_kernelINS0_14default_configENS1_25partition_config_selectorILNS1_17partition_subalgoE8ElNS0_10empty_typeEbEEZZNS1_14partition_implILS5_8ELb0ES3_jPlPS6_PKS6_NS0_5tupleIJS9_S6_EEENSD_IJSA_SA_EEENS0_18inequality_wrapperIZN2at6native12_GLOBAL__N_124unique_dim_cuda_templateIhEESt5tupleIJNSH_6TensorESM_SM_EERKSM_lbbbEUlllE0_EEPmJS6_EEE10hipError_tPvRmT3_T4_T5_T6_T7_T9_mT8_P12ihipStream_tbDpT10_ENKUlT_T0_E_clISt17integral_constantIbLb1EES1B_IbLb0EEEEDaS17_S18_EUlS17_E_NS1_11comp_targetILNS1_3genE8ELNS1_11target_archE1030ELNS1_3gpuE2ELNS1_3repE0EEENS1_30default_config_static_selectorELNS0_4arch9wavefront6targetE1EEEvT1_.has_dyn_sized_stack, 0
	.set _ZN7rocprim17ROCPRIM_400000_NS6detail17trampoline_kernelINS0_14default_configENS1_25partition_config_selectorILNS1_17partition_subalgoE8ElNS0_10empty_typeEbEEZZNS1_14partition_implILS5_8ELb0ES3_jPlPS6_PKS6_NS0_5tupleIJS9_S6_EEENSD_IJSA_SA_EEENS0_18inequality_wrapperIZN2at6native12_GLOBAL__N_124unique_dim_cuda_templateIhEESt5tupleIJNSH_6TensorESM_SM_EERKSM_lbbbEUlllE0_EEPmJS6_EEE10hipError_tPvRmT3_T4_T5_T6_T7_T9_mT8_P12ihipStream_tbDpT10_ENKUlT_T0_E_clISt17integral_constantIbLb1EES1B_IbLb0EEEEDaS17_S18_EUlS17_E_NS1_11comp_targetILNS1_3genE8ELNS1_11target_archE1030ELNS1_3gpuE2ELNS1_3repE0EEENS1_30default_config_static_selectorELNS0_4arch9wavefront6targetE1EEEvT1_.has_recursion, 0
	.set _ZN7rocprim17ROCPRIM_400000_NS6detail17trampoline_kernelINS0_14default_configENS1_25partition_config_selectorILNS1_17partition_subalgoE8ElNS0_10empty_typeEbEEZZNS1_14partition_implILS5_8ELb0ES3_jPlPS6_PKS6_NS0_5tupleIJS9_S6_EEENSD_IJSA_SA_EEENS0_18inequality_wrapperIZN2at6native12_GLOBAL__N_124unique_dim_cuda_templateIhEESt5tupleIJNSH_6TensorESM_SM_EERKSM_lbbbEUlllE0_EEPmJS6_EEE10hipError_tPvRmT3_T4_T5_T6_T7_T9_mT8_P12ihipStream_tbDpT10_ENKUlT_T0_E_clISt17integral_constantIbLb1EES1B_IbLb0EEEEDaS17_S18_EUlS17_E_NS1_11comp_targetILNS1_3genE8ELNS1_11target_archE1030ELNS1_3gpuE2ELNS1_3repE0EEENS1_30default_config_static_selectorELNS0_4arch9wavefront6targetE1EEEvT1_.has_indirect_call, 0
	.section	.AMDGPU.csdata,"",@progbits
; Kernel info:
; codeLenInByte = 0
; TotalNumSgprs: 6
; NumVgprs: 0
; NumAgprs: 0
; TotalNumVgprs: 0
; ScratchSize: 0
; MemoryBound: 0
; FloatMode: 240
; IeeeMode: 1
; LDSByteSize: 0 bytes/workgroup (compile time only)
; SGPRBlocks: 0
; VGPRBlocks: 0
; NumSGPRsForWavesPerEU: 6
; NumVGPRsForWavesPerEU: 1
; AccumOffset: 4
; Occupancy: 8
; WaveLimiterHint : 0
; COMPUTE_PGM_RSRC2:SCRATCH_EN: 0
; COMPUTE_PGM_RSRC2:USER_SGPR: 2
; COMPUTE_PGM_RSRC2:TRAP_HANDLER: 0
; COMPUTE_PGM_RSRC2:TGID_X_EN: 1
; COMPUTE_PGM_RSRC2:TGID_Y_EN: 0
; COMPUTE_PGM_RSRC2:TGID_Z_EN: 0
; COMPUTE_PGM_RSRC2:TIDIG_COMP_CNT: 0
; COMPUTE_PGM_RSRC3_GFX90A:ACCUM_OFFSET: 0
; COMPUTE_PGM_RSRC3_GFX90A:TG_SPLIT: 0
	.section	.text._ZN7rocprim17ROCPRIM_400000_NS6detail31init_lookback_scan_state_kernelINS1_19lookback_scan_stateIjLb0ELb1EEENS1_16block_id_wrapperIjLb1EEEEEvT_jT0_jPNS7_10value_typeE,"axG",@progbits,_ZN7rocprim17ROCPRIM_400000_NS6detail31init_lookback_scan_state_kernelINS1_19lookback_scan_stateIjLb0ELb1EEENS1_16block_id_wrapperIjLb1EEEEEvT_jT0_jPNS7_10value_typeE,comdat
	.protected	_ZN7rocprim17ROCPRIM_400000_NS6detail31init_lookback_scan_state_kernelINS1_19lookback_scan_stateIjLb0ELb1EEENS1_16block_id_wrapperIjLb1EEEEEvT_jT0_jPNS7_10value_typeE ; -- Begin function _ZN7rocprim17ROCPRIM_400000_NS6detail31init_lookback_scan_state_kernelINS1_19lookback_scan_stateIjLb0ELb1EEENS1_16block_id_wrapperIjLb1EEEEEvT_jT0_jPNS7_10value_typeE
	.globl	_ZN7rocprim17ROCPRIM_400000_NS6detail31init_lookback_scan_state_kernelINS1_19lookback_scan_stateIjLb0ELb1EEENS1_16block_id_wrapperIjLb1EEEEEvT_jT0_jPNS7_10value_typeE
	.p2align	8
	.type	_ZN7rocprim17ROCPRIM_400000_NS6detail31init_lookback_scan_state_kernelINS1_19lookback_scan_stateIjLb0ELb1EEENS1_16block_id_wrapperIjLb1EEEEEvT_jT0_jPNS7_10value_typeE,@function
_ZN7rocprim17ROCPRIM_400000_NS6detail31init_lookback_scan_state_kernelINS1_19lookback_scan_stateIjLb0ELb1EEENS1_16block_id_wrapperIjLb1EEEEEvT_jT0_jPNS7_10value_typeE: ; @_ZN7rocprim17ROCPRIM_400000_NS6detail31init_lookback_scan_state_kernelINS1_19lookback_scan_stateIjLb0ELb1EEENS1_16block_id_wrapperIjLb1EEEEEvT_jT0_jPNS7_10value_typeE
; %bb.0:
	s_load_dword s3, s[0:1], 0x34
	s_load_dwordx2 s[6:7], s[0:1], 0x20
	s_load_dwordx2 s[4:5], s[0:1], 0x0
	s_load_dword s10, s[0:1], 0x8
	s_waitcnt lgkmcnt(0)
	s_and_b32 s3, s3, 0xffff
	s_mul_i32 s2, s2, s3
	s_cmp_eq_u64 s[6:7], 0
	v_add_u32_e32 v0, s2, v0
	s_cbranch_scc1 .LBB195_6
; %bb.1:
	s_load_dword s8, s[0:1], 0x18
	s_mov_b32 s9, 0
	s_waitcnt lgkmcnt(0)
	s_cmp_lt_u32 s8, s10
	s_cselect_b32 s2, s8, 0
	v_cmp_eq_u32_e32 vcc, s2, v0
	s_and_saveexec_b64 s[2:3], vcc
	s_cbranch_execz .LBB195_5
; %bb.2:
	s_add_i32 s8, s8, 64
	s_lshl_b64 s[8:9], s[8:9], 3
	s_add_u32 s8, s4, s8
	s_addc_u32 s9, s5, s9
	v_mov_b32_e32 v4, 0
	global_load_dwordx2 v[2:3], v4, s[8:9] sc1
	s_waitcnt vmcnt(0)
	v_and_b32_e32 v5, 0xff, v3
	v_cmp_ne_u64_e32 vcc, 0, v[4:5]
	s_cbranch_vccnz .LBB195_4
.LBB195_3:                              ; =>This Inner Loop Header: Depth=1
	global_load_dwordx2 v[2:3], v4, s[8:9] sc1
	s_waitcnt vmcnt(0)
	v_and_b32_e32 v5, 0xff, v3
	v_cmp_eq_u64_e32 vcc, 0, v[4:5]
	s_cbranch_vccnz .LBB195_3
.LBB195_4:
	v_mov_b32_e32 v1, 0
	global_store_dword v1, v2, s[6:7]
.LBB195_5:
	s_or_b64 exec, exec, s[2:3]
.LBB195_6:
	v_cmp_eq_u32_e32 vcc, 0, v0
	s_and_saveexec_b64 s[2:3], vcc
	s_cbranch_execnz .LBB195_10
; %bb.7:
	s_or_b64 exec, exec, s[2:3]
	v_cmp_gt_u32_e32 vcc, s10, v0
	s_and_saveexec_b64 s[0:1], vcc
	s_cbranch_execnz .LBB195_11
.LBB195_8:
	s_or_b64 exec, exec, s[0:1]
	v_cmp_gt_u32_e32 vcc, 64, v0
	s_and_saveexec_b64 s[0:1], vcc
	s_cbranch_execnz .LBB195_12
.LBB195_9:
	s_endpgm
.LBB195_10:
	s_load_dwordx2 s[0:1], s[0:1], 0x10
	v_mov_b32_e32 v1, 0
	s_waitcnt lgkmcnt(0)
	global_store_dword v1, v1, s[0:1]
	s_or_b64 exec, exec, s[2:3]
	v_cmp_gt_u32_e32 vcc, s10, v0
	s_and_saveexec_b64 s[0:1], vcc
	s_cbranch_execz .LBB195_8
.LBB195_11:
	v_add_u32_e32 v2, 64, v0
	v_mov_b32_e32 v3, 0
	v_lshl_add_u64 v[4:5], v[2:3], 3, s[4:5]
	v_mov_b32_e32 v2, v3
	global_store_dwordx2 v[4:5], v[2:3], off
	s_or_b64 exec, exec, s[0:1]
	v_cmp_gt_u32_e32 vcc, 64, v0
	s_and_saveexec_b64 s[0:1], vcc
	s_cbranch_execz .LBB195_9
.LBB195_12:
	v_mov_b32_e32 v1, 0
	v_lshl_add_u64 v[2:3], v[0:1], 3, s[4:5]
	v_mov_b32_e32 v5, 0xff
	v_mov_b32_e32 v4, v1
	global_store_dwordx2 v[2:3], v[4:5], off
	s_endpgm
	.section	.rodata,"a",@progbits
	.p2align	6, 0x0
	.amdhsa_kernel _ZN7rocprim17ROCPRIM_400000_NS6detail31init_lookback_scan_state_kernelINS1_19lookback_scan_stateIjLb0ELb1EEENS1_16block_id_wrapperIjLb1EEEEEvT_jT0_jPNS7_10value_typeE
		.amdhsa_group_segment_fixed_size 0
		.amdhsa_private_segment_fixed_size 0
		.amdhsa_kernarg_size 296
		.amdhsa_user_sgpr_count 2
		.amdhsa_user_sgpr_dispatch_ptr 0
		.amdhsa_user_sgpr_queue_ptr 0
		.amdhsa_user_sgpr_kernarg_segment_ptr 1
		.amdhsa_user_sgpr_dispatch_id 0
		.amdhsa_user_sgpr_kernarg_preload_length 0
		.amdhsa_user_sgpr_kernarg_preload_offset 0
		.amdhsa_user_sgpr_private_segment_size 0
		.amdhsa_uses_dynamic_stack 0
		.amdhsa_enable_private_segment 0
		.amdhsa_system_sgpr_workgroup_id_x 1
		.amdhsa_system_sgpr_workgroup_id_y 0
		.amdhsa_system_sgpr_workgroup_id_z 0
		.amdhsa_system_sgpr_workgroup_info 0
		.amdhsa_system_vgpr_workitem_id 0
		.amdhsa_next_free_vgpr 6
		.amdhsa_next_free_sgpr 11
		.amdhsa_accum_offset 8
		.amdhsa_reserve_vcc 1
		.amdhsa_float_round_mode_32 0
		.amdhsa_float_round_mode_16_64 0
		.amdhsa_float_denorm_mode_32 3
		.amdhsa_float_denorm_mode_16_64 3
		.amdhsa_dx10_clamp 1
		.amdhsa_ieee_mode 1
		.amdhsa_fp16_overflow 0
		.amdhsa_tg_split 0
		.amdhsa_exception_fp_ieee_invalid_op 0
		.amdhsa_exception_fp_denorm_src 0
		.amdhsa_exception_fp_ieee_div_zero 0
		.amdhsa_exception_fp_ieee_overflow 0
		.amdhsa_exception_fp_ieee_underflow 0
		.amdhsa_exception_fp_ieee_inexact 0
		.amdhsa_exception_int_div_zero 0
	.end_amdhsa_kernel
	.section	.text._ZN7rocprim17ROCPRIM_400000_NS6detail31init_lookback_scan_state_kernelINS1_19lookback_scan_stateIjLb0ELb1EEENS1_16block_id_wrapperIjLb1EEEEEvT_jT0_jPNS7_10value_typeE,"axG",@progbits,_ZN7rocprim17ROCPRIM_400000_NS6detail31init_lookback_scan_state_kernelINS1_19lookback_scan_stateIjLb0ELb1EEENS1_16block_id_wrapperIjLb1EEEEEvT_jT0_jPNS7_10value_typeE,comdat
.Lfunc_end195:
	.size	_ZN7rocprim17ROCPRIM_400000_NS6detail31init_lookback_scan_state_kernelINS1_19lookback_scan_stateIjLb0ELb1EEENS1_16block_id_wrapperIjLb1EEEEEvT_jT0_jPNS7_10value_typeE, .Lfunc_end195-_ZN7rocprim17ROCPRIM_400000_NS6detail31init_lookback_scan_state_kernelINS1_19lookback_scan_stateIjLb0ELb1EEENS1_16block_id_wrapperIjLb1EEEEEvT_jT0_jPNS7_10value_typeE
                                        ; -- End function
	.set _ZN7rocprim17ROCPRIM_400000_NS6detail31init_lookback_scan_state_kernelINS1_19lookback_scan_stateIjLb0ELb1EEENS1_16block_id_wrapperIjLb1EEEEEvT_jT0_jPNS7_10value_typeE.num_vgpr, 6
	.set _ZN7rocprim17ROCPRIM_400000_NS6detail31init_lookback_scan_state_kernelINS1_19lookback_scan_stateIjLb0ELb1EEENS1_16block_id_wrapperIjLb1EEEEEvT_jT0_jPNS7_10value_typeE.num_agpr, 0
	.set _ZN7rocprim17ROCPRIM_400000_NS6detail31init_lookback_scan_state_kernelINS1_19lookback_scan_stateIjLb0ELb1EEENS1_16block_id_wrapperIjLb1EEEEEvT_jT0_jPNS7_10value_typeE.numbered_sgpr, 11
	.set _ZN7rocprim17ROCPRIM_400000_NS6detail31init_lookback_scan_state_kernelINS1_19lookback_scan_stateIjLb0ELb1EEENS1_16block_id_wrapperIjLb1EEEEEvT_jT0_jPNS7_10value_typeE.num_named_barrier, 0
	.set _ZN7rocprim17ROCPRIM_400000_NS6detail31init_lookback_scan_state_kernelINS1_19lookback_scan_stateIjLb0ELb1EEENS1_16block_id_wrapperIjLb1EEEEEvT_jT0_jPNS7_10value_typeE.private_seg_size, 0
	.set _ZN7rocprim17ROCPRIM_400000_NS6detail31init_lookback_scan_state_kernelINS1_19lookback_scan_stateIjLb0ELb1EEENS1_16block_id_wrapperIjLb1EEEEEvT_jT0_jPNS7_10value_typeE.uses_vcc, 1
	.set _ZN7rocprim17ROCPRIM_400000_NS6detail31init_lookback_scan_state_kernelINS1_19lookback_scan_stateIjLb0ELb1EEENS1_16block_id_wrapperIjLb1EEEEEvT_jT0_jPNS7_10value_typeE.uses_flat_scratch, 0
	.set _ZN7rocprim17ROCPRIM_400000_NS6detail31init_lookback_scan_state_kernelINS1_19lookback_scan_stateIjLb0ELb1EEENS1_16block_id_wrapperIjLb1EEEEEvT_jT0_jPNS7_10value_typeE.has_dyn_sized_stack, 0
	.set _ZN7rocprim17ROCPRIM_400000_NS6detail31init_lookback_scan_state_kernelINS1_19lookback_scan_stateIjLb0ELb1EEENS1_16block_id_wrapperIjLb1EEEEEvT_jT0_jPNS7_10value_typeE.has_recursion, 0
	.set _ZN7rocprim17ROCPRIM_400000_NS6detail31init_lookback_scan_state_kernelINS1_19lookback_scan_stateIjLb0ELb1EEENS1_16block_id_wrapperIjLb1EEEEEvT_jT0_jPNS7_10value_typeE.has_indirect_call, 0
	.section	.AMDGPU.csdata,"",@progbits
; Kernel info:
; codeLenInByte = 356
; TotalNumSgprs: 17
; NumVgprs: 6
; NumAgprs: 0
; TotalNumVgprs: 6
; ScratchSize: 0
; MemoryBound: 0
; FloatMode: 240
; IeeeMode: 1
; LDSByteSize: 0 bytes/workgroup (compile time only)
; SGPRBlocks: 2
; VGPRBlocks: 0
; NumSGPRsForWavesPerEU: 17
; NumVGPRsForWavesPerEU: 6
; AccumOffset: 8
; Occupancy: 8
; WaveLimiterHint : 0
; COMPUTE_PGM_RSRC2:SCRATCH_EN: 0
; COMPUTE_PGM_RSRC2:USER_SGPR: 2
; COMPUTE_PGM_RSRC2:TRAP_HANDLER: 0
; COMPUTE_PGM_RSRC2:TGID_X_EN: 1
; COMPUTE_PGM_RSRC2:TGID_Y_EN: 0
; COMPUTE_PGM_RSRC2:TGID_Z_EN: 0
; COMPUTE_PGM_RSRC2:TIDIG_COMP_CNT: 0
; COMPUTE_PGM_RSRC3_GFX90A:ACCUM_OFFSET: 1
; COMPUTE_PGM_RSRC3_GFX90A:TG_SPLIT: 0
	.section	.text._ZN7rocprim17ROCPRIM_400000_NS6detail17trampoline_kernelINS0_14default_configENS1_25partition_config_selectorILNS1_17partition_subalgoE8ElNS0_10empty_typeEbEEZZNS1_14partition_implILS5_8ELb0ES3_jPlPS6_PKS6_NS0_5tupleIJS9_S6_EEENSD_IJSA_SA_EEENS0_18inequality_wrapperIZN2at6native12_GLOBAL__N_124unique_dim_cuda_templateIhEESt5tupleIJNSH_6TensorESM_SM_EERKSM_lbbbEUlllE0_EEPmJS6_EEE10hipError_tPvRmT3_T4_T5_T6_T7_T9_mT8_P12ihipStream_tbDpT10_ENKUlT_T0_E_clISt17integral_constantIbLb0EES1B_IbLb1EEEEDaS17_S18_EUlS17_E_NS1_11comp_targetILNS1_3genE0ELNS1_11target_archE4294967295ELNS1_3gpuE0ELNS1_3repE0EEENS1_30default_config_static_selectorELNS0_4arch9wavefront6targetE1EEEvT1_,"axG",@progbits,_ZN7rocprim17ROCPRIM_400000_NS6detail17trampoline_kernelINS0_14default_configENS1_25partition_config_selectorILNS1_17partition_subalgoE8ElNS0_10empty_typeEbEEZZNS1_14partition_implILS5_8ELb0ES3_jPlPS6_PKS6_NS0_5tupleIJS9_S6_EEENSD_IJSA_SA_EEENS0_18inequality_wrapperIZN2at6native12_GLOBAL__N_124unique_dim_cuda_templateIhEESt5tupleIJNSH_6TensorESM_SM_EERKSM_lbbbEUlllE0_EEPmJS6_EEE10hipError_tPvRmT3_T4_T5_T6_T7_T9_mT8_P12ihipStream_tbDpT10_ENKUlT_T0_E_clISt17integral_constantIbLb0EES1B_IbLb1EEEEDaS17_S18_EUlS17_E_NS1_11comp_targetILNS1_3genE0ELNS1_11target_archE4294967295ELNS1_3gpuE0ELNS1_3repE0EEENS1_30default_config_static_selectorELNS0_4arch9wavefront6targetE1EEEvT1_,comdat
	.globl	_ZN7rocprim17ROCPRIM_400000_NS6detail17trampoline_kernelINS0_14default_configENS1_25partition_config_selectorILNS1_17partition_subalgoE8ElNS0_10empty_typeEbEEZZNS1_14partition_implILS5_8ELb0ES3_jPlPS6_PKS6_NS0_5tupleIJS9_S6_EEENSD_IJSA_SA_EEENS0_18inequality_wrapperIZN2at6native12_GLOBAL__N_124unique_dim_cuda_templateIhEESt5tupleIJNSH_6TensorESM_SM_EERKSM_lbbbEUlllE0_EEPmJS6_EEE10hipError_tPvRmT3_T4_T5_T6_T7_T9_mT8_P12ihipStream_tbDpT10_ENKUlT_T0_E_clISt17integral_constantIbLb0EES1B_IbLb1EEEEDaS17_S18_EUlS17_E_NS1_11comp_targetILNS1_3genE0ELNS1_11target_archE4294967295ELNS1_3gpuE0ELNS1_3repE0EEENS1_30default_config_static_selectorELNS0_4arch9wavefront6targetE1EEEvT1_ ; -- Begin function _ZN7rocprim17ROCPRIM_400000_NS6detail17trampoline_kernelINS0_14default_configENS1_25partition_config_selectorILNS1_17partition_subalgoE8ElNS0_10empty_typeEbEEZZNS1_14partition_implILS5_8ELb0ES3_jPlPS6_PKS6_NS0_5tupleIJS9_S6_EEENSD_IJSA_SA_EEENS0_18inequality_wrapperIZN2at6native12_GLOBAL__N_124unique_dim_cuda_templateIhEESt5tupleIJNSH_6TensorESM_SM_EERKSM_lbbbEUlllE0_EEPmJS6_EEE10hipError_tPvRmT3_T4_T5_T6_T7_T9_mT8_P12ihipStream_tbDpT10_ENKUlT_T0_E_clISt17integral_constantIbLb0EES1B_IbLb1EEEEDaS17_S18_EUlS17_E_NS1_11comp_targetILNS1_3genE0ELNS1_11target_archE4294967295ELNS1_3gpuE0ELNS1_3repE0EEENS1_30default_config_static_selectorELNS0_4arch9wavefront6targetE1EEEvT1_
	.p2align	8
	.type	_ZN7rocprim17ROCPRIM_400000_NS6detail17trampoline_kernelINS0_14default_configENS1_25partition_config_selectorILNS1_17partition_subalgoE8ElNS0_10empty_typeEbEEZZNS1_14partition_implILS5_8ELb0ES3_jPlPS6_PKS6_NS0_5tupleIJS9_S6_EEENSD_IJSA_SA_EEENS0_18inequality_wrapperIZN2at6native12_GLOBAL__N_124unique_dim_cuda_templateIhEESt5tupleIJNSH_6TensorESM_SM_EERKSM_lbbbEUlllE0_EEPmJS6_EEE10hipError_tPvRmT3_T4_T5_T6_T7_T9_mT8_P12ihipStream_tbDpT10_ENKUlT_T0_E_clISt17integral_constantIbLb0EES1B_IbLb1EEEEDaS17_S18_EUlS17_E_NS1_11comp_targetILNS1_3genE0ELNS1_11target_archE4294967295ELNS1_3gpuE0ELNS1_3repE0EEENS1_30default_config_static_selectorELNS0_4arch9wavefront6targetE1EEEvT1_,@function
_ZN7rocprim17ROCPRIM_400000_NS6detail17trampoline_kernelINS0_14default_configENS1_25partition_config_selectorILNS1_17partition_subalgoE8ElNS0_10empty_typeEbEEZZNS1_14partition_implILS5_8ELb0ES3_jPlPS6_PKS6_NS0_5tupleIJS9_S6_EEENSD_IJSA_SA_EEENS0_18inequality_wrapperIZN2at6native12_GLOBAL__N_124unique_dim_cuda_templateIhEESt5tupleIJNSH_6TensorESM_SM_EERKSM_lbbbEUlllE0_EEPmJS6_EEE10hipError_tPvRmT3_T4_T5_T6_T7_T9_mT8_P12ihipStream_tbDpT10_ENKUlT_T0_E_clISt17integral_constantIbLb0EES1B_IbLb1EEEEDaS17_S18_EUlS17_E_NS1_11comp_targetILNS1_3genE0ELNS1_11target_archE4294967295ELNS1_3gpuE0ELNS1_3repE0EEENS1_30default_config_static_selectorELNS0_4arch9wavefront6targetE1EEEvT1_: ; @_ZN7rocprim17ROCPRIM_400000_NS6detail17trampoline_kernelINS0_14default_configENS1_25partition_config_selectorILNS1_17partition_subalgoE8ElNS0_10empty_typeEbEEZZNS1_14partition_implILS5_8ELb0ES3_jPlPS6_PKS6_NS0_5tupleIJS9_S6_EEENSD_IJSA_SA_EEENS0_18inequality_wrapperIZN2at6native12_GLOBAL__N_124unique_dim_cuda_templateIhEESt5tupleIJNSH_6TensorESM_SM_EERKSM_lbbbEUlllE0_EEPmJS6_EEE10hipError_tPvRmT3_T4_T5_T6_T7_T9_mT8_P12ihipStream_tbDpT10_ENKUlT_T0_E_clISt17integral_constantIbLb0EES1B_IbLb1EEEEDaS17_S18_EUlS17_E_NS1_11comp_targetILNS1_3genE0ELNS1_11target_archE4294967295ELNS1_3gpuE0ELNS1_3repE0EEENS1_30default_config_static_selectorELNS0_4arch9wavefront6targetE1EEEvT1_
; %bb.0:
	s_load_dwordx2 s[34:35], s[0:1], 0x28
	s_load_dwordx8 s[20:27], s[0:1], 0x40
	s_load_dwordx4 s[28:31], s[0:1], 0x60
	v_cmp_ne_u32_e64 s[2:3], 0, v0
	v_cmp_eq_u32_e64 s[18:19], 0, v0
	s_and_saveexec_b64 s[4:5], s[18:19]
	s_cbranch_execz .LBB196_4
; %bb.1:
	s_mov_b64 s[8:9], exec
	v_mbcnt_lo_u32_b32 v1, s8, 0
	v_mbcnt_hi_u32_b32 v1, s9, v1
	v_cmp_eq_u32_e32 vcc, 0, v1
                                        ; implicit-def: $vgpr2
	s_and_saveexec_b64 s[6:7], vcc
	s_cbranch_execz .LBB196_3
; %bb.2:
	s_load_dwordx2 s[10:11], s[0:1], 0x78
	s_bcnt1_i32_b64 s8, s[8:9]
	v_mov_b32_e32 v2, 0
	v_mov_b32_e32 v3, s8
	s_waitcnt lgkmcnt(0)
	global_atomic_add v2, v2, v3, s[10:11] sc0
.LBB196_3:
	s_or_b64 exec, exec, s[6:7]
	s_waitcnt vmcnt(0)
	v_readfirstlane_b32 s6, v2
	v_mov_b32_e32 v2, 0
	s_nop 0
	v_add_u32_e32 v1, s6, v1
	ds_write_b32 v2, v1
.LBB196_4:
	s_or_b64 exec, exec, s[4:5]
	v_mov_b32_e32 v3, 0
	s_load_dwordx4 s[4:7], s[0:1], 0x8
	s_load_dword s8, s[0:1], 0x70
	s_waitcnt lgkmcnt(0)
	s_barrier
	ds_read_b32 v1, v3
	s_waitcnt lgkmcnt(0)
	s_barrier
	global_load_dwordx2 v[4:5], v3, s[22:23]
	s_lshl_b64 s[10:11], s[6:7], 3
	s_mul_i32 s9, s8, 0xe00
	s_add_u32 s4, s4, s10
	s_addc_u32 s5, s5, s11
	s_add_i32 s10, s8, -1
	s_add_i32 s8, s9, s6
	s_sub_i32 s50, s24, s8
	s_add_u32 s8, s6, s9
	s_addc_u32 s9, s7, 0
	v_readfirstlane_b32 s33, v1
	v_mov_b64_e32 v[6:7], s[8:9]
	s_cmp_eq_u32 s33, s10
	s_movk_i32 s12, 0xe00
	v_cmp_le_u64_e32 vcc, s[24:25], v[6:7]
	s_cselect_b64 s[24:25], -1, 0
	v_mul_lo_u32 v2, v1, s12
	s_and_b64 s[8:9], vcc, s[24:25]
	v_lshlrev_b64 v[6:7], 3, v[2:3]
	s_xor_b64 s[36:37], s[8:9], -1
	s_mov_b64 s[0:1], -1
	v_lshlrev_b32_e32 v18, 3, v0
	v_lshl_add_u64 v[20:21], s[4:5], 0, v[6:7]
	s_and_b64 vcc, exec, s[36:37]
	s_waitcnt vmcnt(0)
	v_readfirstlane_b32 s22, v4
	v_readfirstlane_b32 s23, v5
	s_cbranch_vccz .LBB196_6
; %bb.5:
	v_lshlrev_b32_e32 v2, 3, v0
	v_lshl_add_u64 v[4:5], v[20:21], 0, v[2:3]
	v_add_co_u32_e32 v8, vcc, 0x1000, v4
	v_readfirstlane_b32 s0, v20
	s_nop 0
	v_addc_co_u32_e32 v9, vcc, 0, v5, vcc
	v_add_co_u32_e32 v10, vcc, 0x2000, v4
	v_readfirstlane_b32 s1, v21
	s_nop 0
	v_addc_co_u32_e32 v11, vcc, 0, v5, vcc
	v_add_co_u32_e32 v12, vcc, 0x3000, v4
	s_nop 1
	v_addc_co_u32_e32 v13, vcc, 0, v5, vcc
	v_add_co_u32_e32 v14, vcc, 0x4000, v4
	global_load_dwordx2 v[6:7], v2, s[0:1]
	s_nop 0
	v_addc_co_u32_e32 v15, vcc, 0, v5, vcc
	global_load_dwordx2 v[16:17], v[8:9], off
	global_load_dwordx2 v[22:23], v[10:11], off
	global_load_dwordx2 v[24:25], v[12:13], off
	global_load_dwordx2 v[26:27], v[14:15], off
	v_add_co_u32_e32 v8, vcc, 0x5000, v4
	s_mov_b64 s[0:1], 0
	s_nop 0
	v_addc_co_u32_e32 v9, vcc, 0, v5, vcc
	v_add_co_u32_e32 v4, vcc, 0x6000, v4
	s_nop 1
	v_addc_co_u32_e32 v5, vcc, 0, v5, vcc
	global_load_dwordx2 v[10:11], v[8:9], off
	global_load_dwordx2 v[12:13], v[4:5], off
	s_waitcnt vmcnt(5)
	ds_write2st64_b64 v2, v[6:7], v[16:17] offset1:8
	s_waitcnt vmcnt(3)
	ds_write2st64_b64 v2, v[22:23], v[24:25] offset0:16 offset1:24
	s_waitcnt vmcnt(1)
	ds_write2st64_b64 v2, v[26:27], v[10:11] offset0:32 offset1:40
	s_waitcnt vmcnt(0)
	ds_write_b64 v2, v[12:13] offset:24576
	s_waitcnt lgkmcnt(0)
	s_barrier
.LBB196_6:
	s_andn2_b64 vcc, exec, s[0:1]
	s_addk_i32 s50, 0xe00
	s_cbranch_vccnz .LBB196_22
; %bb.7:
	v_mov_b32_e32 v2, 0
	v_cmp_gt_u32_e32 vcc, s50, v0
	v_mov_b32_e32 v3, v2
	v_mov_b32_e32 v4, v2
	v_mov_b32_e32 v5, v2
	v_mov_b32_e32 v6, v2
	v_mov_b32_e32 v7, v2
	v_mov_b32_e32 v8, v2
	v_mov_b32_e32 v9, v2
	v_mov_b32_e32 v10, v2
	v_mov_b32_e32 v11, v2
	v_mov_b32_e32 v12, v2
	v_mov_b32_e32 v13, v2
	v_mov_b32_e32 v14, v2
	v_mov_b32_e32 v15, v2
	s_and_saveexec_b64 s[0:1], vcc
	s_cbranch_execz .LBB196_9
; %bb.8:
	v_lshlrev_b32_e32 v1, 3, v0
	v_readfirstlane_b32 s4, v20
	v_readfirstlane_b32 s5, v21
	v_mov_b32_e32 v6, v2
	v_mov_b32_e32 v7, v2
	;; [unrolled: 1-line block ×5, first 2 shown]
	global_load_dwordx2 v[4:5], v1, s[4:5]
	v_mov_b32_e32 v11, v2
	v_mov_b32_e32 v12, v2
	;; [unrolled: 1-line block ×7, first 2 shown]
	s_waitcnt vmcnt(0)
	v_mov_b64_e32 v[2:3], v[4:5]
	v_mov_b64_e32 v[4:5], v[6:7]
	;; [unrolled: 1-line block ×8, first 2 shown]
.LBB196_9:
	s_or_b64 exec, exec, s[0:1]
	v_or_b32_e32 v1, 0x200, v0
	v_cmp_gt_u32_e32 vcc, s50, v1
	s_and_saveexec_b64 s[0:1], vcc
	s_cbranch_execz .LBB196_11
; %bb.10:
	v_lshlrev_b32_e32 v1, 3, v1
	v_readfirstlane_b32 s4, v20
	v_readfirstlane_b32 s5, v21
	s_nop 4
	global_load_dwordx2 v[4:5], v1, s[4:5]
.LBB196_11:
	s_or_b64 exec, exec, s[0:1]
	v_or_b32_e32 v1, 0x400, v0
	v_cmp_gt_u32_e32 vcc, s50, v1
	s_and_saveexec_b64 s[0:1], vcc
	s_cbranch_execz .LBB196_13
; %bb.12:
	v_lshlrev_b32_e32 v1, 3, v1
	v_readfirstlane_b32 s4, v20
	v_readfirstlane_b32 s5, v21
	s_nop 4
	global_load_dwordx2 v[6:7], v1, s[4:5]
.LBB196_13:
	;; [unrolled: 12-line block ×6, first 2 shown]
	s_or_b64 exec, exec, s[0:1]
	v_lshlrev_b32_e32 v1, 3, v0
	s_waitcnt vmcnt(0)
	ds_write2st64_b64 v1, v[2:3], v[4:5] offset1:8
	ds_write2st64_b64 v1, v[6:7], v[8:9] offset0:16 offset1:24
	ds_write2st64_b64 v1, v[10:11], v[12:13] offset0:32 offset1:40
	ds_write_b64 v1, v[14:15] offset:24576
	s_waitcnt lgkmcnt(0)
	s_barrier
.LBB196_22:
	v_mul_u32_u24_e32 v1, 7, v0
	v_lshlrev_b32_e32 v26, 3, v1
	ds_read2_b64 v[10:13], v26 offset1:1
	ds_read2_b64 v[6:9], v26 offset0:2 offset1:3
	ds_read2_b64 v[2:5], v26 offset0:4 offset1:5
	ds_read_b64 v[14:15], v26 offset:48
	s_cmp_lg_u32 s33, 0
	s_cselect_b64 s[16:17], -1, 0
	s_cmp_lg_u64 s[6:7], 0
	s_cselect_b64 s[0:1], -1, 0
	s_or_b64 s[0:1], s[0:1], s[16:17]
	s_mov_b64 s[10:11], 0
	s_and_b64 vcc, exec, s[0:1]
	v_cmp_gt_i64_e64 s[4:5], s[26:27], 0
	s_waitcnt lgkmcnt(0)
	s_barrier
	s_cbranch_vccz .LBB196_38
; %bb.23:
	global_load_dwordx2 v[20:21], v[20:21], off offset:-8
	v_cndmask_b32_e64 v16, 0, 1, s[4:5]
	v_lshlrev_b32_e32 v27, 3, v0
	s_mov_b64 s[0:1], 0
	s_and_b64 vcc, exec, s[36:37]
	v_cmp_ne_u32_e64 s[4:5], 1, v16
	ds_write_b64 v27, v[14:15]
	s_cbranch_vccz .LBB196_40
; %bb.24:
	s_and_b64 vcc, exec, s[4:5]
	s_cbranch_vccnz .LBB196_41
; %bb.25:
	v_mov_b64_e32 v[22:23], s[28:29]
	v_mad_u64_u32 v[16:17], s[0:1], v4, s26, v[22:23]
	v_mul_lo_u32 v19, v4, s27
	v_mul_lo_u32 v24, v5, s26
	s_add_u32 s10, s26, -1
	v_add3_u32 v17, v24, v17, v19
	v_mad_u64_u32 v[22:23], s[0:1], v14, s26, v[22:23]
	v_mul_lo_u32 v19, v14, s27
	v_mul_lo_u32 v24, v15, s26
	s_addc_u32 s11, s27, -1
	v_add3_u32 v23, v24, v23, v19
	s_mov_b64 s[12:13], 0
	s_mov_b64 s[14:15], s[10:11]
	v_mov_b64_e32 v[24:25], v[16:17]
                                        ; implicit-def: $sgpr6_sgpr7
.LBB196_26:                             ; =>This Inner Loop Header: Depth=1
	global_load_ubyte v19, v[24:25], off
	global_load_ubyte v28, v[22:23], off
	s_add_u32 s0, s14, -1
	s_addc_u32 s1, s15, -1
	s_cmp_eq_u64 s[14:15], 0
	s_mov_b64 s[14:15], s[0:1]
	s_cselect_b64 s[38:39], -1, 0
	v_lshl_add_u64 v[24:25], v[24:25], 0, 1
	v_lshl_add_u64 v[22:23], v[22:23], 0, 1
	s_waitcnt vmcnt(0)
	v_cmp_ne_u16_e64 s[0:1], v19, v28
	s_or_b64 s[0:1], s[0:1], s[38:39]
	s_and_b64 s[0:1], exec, s[0:1]
	v_cmp_eq_u16_e32 vcc, v19, v28
	s_or_b64 s[12:13], s[0:1], s[12:13]
	s_andn2_b64 s[0:1], s[6:7], exec
	s_and_b64 s[6:7], vcc, exec
	s_or_b64 s[6:7], s[0:1], s[6:7]
	s_andn2_b64 exec, exec, s[12:13]
	s_cbranch_execnz .LBB196_26
; %bb.27:
	s_or_b64 exec, exec, s[12:13]
	v_mov_b64_e32 v[22:23], s[28:29]
	v_mad_u64_u32 v[22:23], s[0:1], v2, s26, v[22:23]
	v_mul_lo_u32 v19, v2, s27
	v_mul_lo_u32 v24, v3, s26
	v_add3_u32 v23, v24, v23, v19
	s_mov_b64 s[14:15], 0
	s_mov_b64 s[38:39], s[10:11]
	v_mov_b64_e32 v[24:25], v[22:23]
                                        ; implicit-def: $sgpr12_sgpr13
.LBB196_28:                             ; =>This Inner Loop Header: Depth=1
	global_load_ubyte v19, v[24:25], off
	global_load_ubyte v28, v[16:17], off
	s_add_u32 s0, s38, -1
	s_addc_u32 s1, s39, -1
	s_cmp_eq_u64 s[38:39], 0
	s_mov_b64 s[38:39], s[0:1]
	s_cselect_b64 s[40:41], -1, 0
	v_lshl_add_u64 v[24:25], v[24:25], 0, 1
	v_lshl_add_u64 v[16:17], v[16:17], 0, 1
	s_waitcnt vmcnt(0)
	v_cmp_ne_u16_e64 s[0:1], v19, v28
	s_or_b64 s[0:1], s[0:1], s[40:41]
	s_and_b64 s[0:1], exec, s[0:1]
	v_cmp_eq_u16_e32 vcc, v19, v28
	s_or_b64 s[14:15], s[0:1], s[14:15]
	s_andn2_b64 s[0:1], s[12:13], exec
	s_and_b64 s[12:13], vcc, exec
	s_or_b64 s[12:13], s[0:1], s[12:13]
	s_andn2_b64 exec, exec, s[14:15]
	s_cbranch_execnz .LBB196_28
; %bb.29:
	s_or_b64 exec, exec, s[14:15]
	v_mov_b64_e32 v[16:17], s[28:29]
	v_mad_u64_u32 v[16:17], s[0:1], v8, s26, v[16:17]
	v_mul_lo_u32 v19, v8, s27
	v_mul_lo_u32 v24, v9, s26
	v_add3_u32 v17, v24, v17, v19
	s_mov_b64 s[38:39], 0
	s_mov_b64 s[40:41], s[10:11]
	v_mov_b64_e32 v[24:25], v[16:17]
                                        ; implicit-def: $sgpr14_sgpr15
.LBB196_30:                             ; =>This Inner Loop Header: Depth=1
	global_load_ubyte v19, v[24:25], off
	global_load_ubyte v28, v[22:23], off
	s_add_u32 s0, s40, -1
	s_addc_u32 s1, s41, -1
	s_cmp_eq_u64 s[40:41], 0
	s_mov_b64 s[40:41], s[0:1]
	s_cselect_b64 s[42:43], -1, 0
	v_lshl_add_u64 v[24:25], v[24:25], 0, 1
	v_lshl_add_u64 v[22:23], v[22:23], 0, 1
	s_waitcnt vmcnt(0)
	v_cmp_ne_u16_e64 s[0:1], v19, v28
	s_or_b64 s[0:1], s[0:1], s[42:43]
	s_and_b64 s[0:1], exec, s[0:1]
	v_cmp_eq_u16_e32 vcc, v19, v28
	s_or_b64 s[38:39], s[0:1], s[38:39]
	s_andn2_b64 s[0:1], s[14:15], exec
	s_and_b64 s[14:15], vcc, exec
	s_or_b64 s[14:15], s[0:1], s[14:15]
	s_andn2_b64 exec, exec, s[38:39]
	s_cbranch_execnz .LBB196_30
; %bb.31:
	s_or_b64 exec, exec, s[38:39]
	v_mov_b64_e32 v[22:23], s[28:29]
	v_mad_u64_u32 v[22:23], s[0:1], v6, s26, v[22:23]
	v_mul_lo_u32 v19, v6, s27
	v_mul_lo_u32 v24, v7, s26
	v_add3_u32 v23, v24, v23, v19
	s_mov_b64 s[40:41], 0
	s_mov_b64 s[42:43], s[10:11]
	v_mov_b64_e32 v[24:25], v[22:23]
                                        ; implicit-def: $sgpr38_sgpr39
.LBB196_32:                             ; =>This Inner Loop Header: Depth=1
	global_load_ubyte v19, v[24:25], off
	global_load_ubyte v28, v[16:17], off
	s_add_u32 s0, s42, -1
	s_addc_u32 s1, s43, -1
	s_cmp_eq_u64 s[42:43], 0
	s_mov_b64 s[42:43], s[0:1]
	s_cselect_b64 s[44:45], -1, 0
	v_lshl_add_u64 v[24:25], v[24:25], 0, 1
	v_lshl_add_u64 v[16:17], v[16:17], 0, 1
	s_waitcnt vmcnt(0)
	v_cmp_ne_u16_e64 s[0:1], v19, v28
	s_or_b64 s[0:1], s[0:1], s[44:45]
	s_and_b64 s[0:1], exec, s[0:1]
	v_cmp_eq_u16_e32 vcc, v19, v28
	s_or_b64 s[40:41], s[0:1], s[40:41]
	s_andn2_b64 s[0:1], s[38:39], exec
	s_and_b64 s[38:39], vcc, exec
	s_or_b64 s[38:39], s[0:1], s[38:39]
	s_andn2_b64 exec, exec, s[40:41]
	s_cbranch_execnz .LBB196_32
; %bb.33:
	s_or_b64 exec, exec, s[40:41]
	v_mov_b64_e32 v[16:17], s[28:29]
	v_mad_u64_u32 v[16:17], s[0:1], v12, s26, v[16:17]
	v_mul_lo_u32 v19, v12, s27
	v_mul_lo_u32 v24, v13, s26
	v_add3_u32 v17, v24, v17, v19
	s_mov_b64 s[42:43], 0
	s_mov_b64 s[44:45], s[10:11]
	v_mov_b64_e32 v[24:25], v[16:17]
                                        ; implicit-def: $sgpr40_sgpr41
.LBB196_34:                             ; =>This Inner Loop Header: Depth=1
	global_load_ubyte v19, v[24:25], off
	global_load_ubyte v28, v[22:23], off
	s_add_u32 s0, s44, -1
	s_addc_u32 s1, s45, -1
	s_cmp_eq_u64 s[44:45], 0
	s_mov_b64 s[44:45], s[0:1]
	s_cselect_b64 s[46:47], -1, 0
	v_lshl_add_u64 v[24:25], v[24:25], 0, 1
	v_lshl_add_u64 v[22:23], v[22:23], 0, 1
	s_waitcnt vmcnt(0)
	v_cmp_ne_u16_e64 s[0:1], v19, v28
	s_or_b64 s[0:1], s[0:1], s[46:47]
	s_and_b64 s[0:1], exec, s[0:1]
	v_cmp_eq_u16_e32 vcc, v19, v28
	s_or_b64 s[42:43], s[0:1], s[42:43]
	s_andn2_b64 s[0:1], s[40:41], exec
	s_and_b64 s[40:41], vcc, exec
	s_or_b64 s[40:41], s[0:1], s[40:41]
	s_andn2_b64 exec, exec, s[42:43]
	s_cbranch_execnz .LBB196_34
; %bb.35:
	s_or_b64 exec, exec, s[42:43]
	v_mov_b64_e32 v[22:23], s[28:29]
	v_mad_u64_u32 v[22:23], s[0:1], v10, s26, v[22:23]
	v_mul_lo_u32 v19, v10, s27
	v_mul_lo_u32 v24, v11, s26
	v_add3_u32 v23, v24, v23, v19
	s_mov_b64 s[44:45], 0
                                        ; implicit-def: $sgpr42_sgpr43
.LBB196_36:                             ; =>This Inner Loop Header: Depth=1
	global_load_ubyte v19, v[22:23], off
	global_load_ubyte v24, v[16:17], off
	s_add_u32 s0, s10, -1
	s_addc_u32 s1, s11, -1
	s_cmp_eq_u64 s[10:11], 0
	s_mov_b64 s[10:11], s[0:1]
	s_cselect_b64 s[46:47], -1, 0
	v_lshl_add_u64 v[22:23], v[22:23], 0, 1
	v_lshl_add_u64 v[16:17], v[16:17], 0, 1
	s_waitcnt vmcnt(0)
	v_cmp_ne_u16_e64 s[0:1], v19, v24
	s_or_b64 s[0:1], s[0:1], s[46:47]
	s_and_b64 s[0:1], exec, s[0:1]
	v_cmp_eq_u16_e32 vcc, v19, v24
	s_or_b64 s[44:45], s[0:1], s[44:45]
	s_andn2_b64 s[0:1], s[42:43], exec
	s_and_b64 s[42:43], vcc, exec
	s_or_b64 s[42:43], s[0:1], s[42:43]
	s_andn2_b64 exec, exec, s[44:45]
	s_cbranch_execnz .LBB196_36
; %bb.37:
	s_or_b64 exec, exec, s[44:45]
	s_xor_b64 s[0:1], s[12:13], -1
	v_cndmask_b32_e64 v40, 0, 1, s[0:1]
	s_xor_b64 s[0:1], s[38:39], -1
	v_cndmask_b32_e64 v16, 0, 1, s[0:1]
	v_lshlrev_b16_e32 v16, 8, v16
	s_xor_b64 s[0:1], s[6:7], -1
	v_lshrrev_b32_e32 v16, 8, v16
	v_mov_b32_e32 v22, 1
	s_xor_b64 s[6:7], s[40:41], -1
	v_cndmask_b32_e64 v19, 0, 1, s[0:1]
	s_xor_b64 s[0:1], s[14:15], -1
	v_and_b32_sdwa v16, v16, v22 dst_sel:BYTE_1 dst_unused:UNUSED_PAD src0_sel:DWORD src1_sel:DWORD
	v_cndmask_b32_e64 v22, 0, 1, s[6:7]
	v_cndmask_b32_e64 v17, 0, 1, s[0:1]
	s_xor_b64 s[0:1], s[42:43], -1
	v_or_b32_sdwa v22, v22, v16 dst_sel:WORD_1 dst_unused:UNUSED_PAD src0_sel:DWORD src1_sel:DWORD
	s_branch .LBB196_42
.LBB196_38:
                                        ; implicit-def: $sgpr0_sgpr1
                                        ; implicit-def: $vgpr19
                                        ; implicit-def: $vgpr40
                                        ; implicit-def: $vgpr17
                                        ; implicit-def: $vgpr22
	s_branch .LBB196_95
.LBB196_39:
                                        ; implicit-def: $vgpr42
                                        ; implicit-def: $vgpr41
                                        ; implicit-def: $vgpr20
	s_branch .LBB196_164
.LBB196_40:
                                        ; implicit-def: $sgpr0_sgpr1
                                        ; implicit-def: $vgpr19
                                        ; implicit-def: $vgpr40
                                        ; implicit-def: $vgpr17
                                        ; implicit-def: $vgpr22
	s_cbranch_execnz .LBB196_49
	s_branch .LBB196_94
.LBB196_41:
	v_mov_b32_e32 v22, 0
	v_mov_b32_e32 v19, 0
	;; [unrolled: 1-line block ×4, first 2 shown]
.LBB196_42:
	s_waitcnt vmcnt(0)
	v_mov_b64_e32 v[24:25], v[20:21]
	s_waitcnt lgkmcnt(0)
	s_barrier
	s_and_saveexec_b64 s[6:7], s[2:3]
; %bb.43:
	v_add_u32_e32 v16, -8, v27
	ds_read_b64 v[24:25], v16
; %bb.44:
	s_or_b64 exec, exec, s[6:7]
	v_cndmask_b32_e64 v23, 0, 1, s[0:1]
	v_lshrrev_b32_e32 v16, 16, v22
	s_mov_b32 s0, 0xc0c0304
	v_perm_b32 v16, v16, v22, s0
	v_lshlrev_b16_e32 v23, 8, v23
	s_movk_i32 s0, 0xff
	v_bitop3_b16 v22, v22, v23, s0 bitop3:0xec
	v_and_b32_e32 v28, 0xffff, v22
	s_mov_b64 s[6:7], 0
	s_and_b64 vcc, exec, s[4:5]
	s_mov_b64 s[0:1], 0
	s_cbranch_vccnz .LBB196_48
; %bb.45:
	v_mov_b64_e32 v[30:31], s[28:29]
	s_waitcnt lgkmcnt(0)
	v_mad_u64_u32 v[22:23], s[0:1], v24, s26, v[30:31]
	v_mul_lo_u32 v24, v24, s27
	v_mul_lo_u32 v25, v25, s26
	v_add3_u32 v23, v25, v23, v24
	v_mad_u64_u32 v[24:25], s[0:1], v10, s26, v[30:31]
	v_mul_lo_u32 v29, v10, s27
	v_mul_lo_u32 v30, v11, s26
	s_add_u32 s14, s26, -1
	v_add3_u32 v25, v30, v25, v29
	s_addc_u32 s15, s27, -1
	s_mov_b64 s[10:11], 0
                                        ; implicit-def: $sgpr12_sgpr13
.LBB196_46:                             ; =>This Inner Loop Header: Depth=1
	global_load_ubyte v29, v[22:23], off
	global_load_ubyte v30, v[24:25], off
	s_add_u32 s0, s14, -1
	s_addc_u32 s1, s15, -1
	s_cmp_eq_u64 s[14:15], 0
	s_mov_b64 s[14:15], s[0:1]
	s_cselect_b64 s[38:39], -1, 0
	v_lshl_add_u64 v[22:23], v[22:23], 0, 1
	v_lshl_add_u64 v[24:25], v[24:25], 0, 1
	s_waitcnt vmcnt(0)
	v_cmp_ne_u16_e64 s[0:1], v29, v30
	s_or_b64 s[0:1], s[0:1], s[38:39]
	s_and_b64 s[0:1], exec, s[0:1]
	v_cmp_eq_u16_e32 vcc, v29, v30
	s_or_b64 s[10:11], s[0:1], s[10:11]
	s_andn2_b64 s[0:1], s[12:13], exec
	s_and_b64 s[12:13], vcc, exec
	s_or_b64 s[12:13], s[0:1], s[12:13]
	s_andn2_b64 exec, exec, s[10:11]
	s_cbranch_execnz .LBB196_46
; %bb.47:
	s_or_b64 exec, exec, s[10:11]
	s_xor_b64 s[0:1], s[12:13], -1
.LBB196_48:
	v_lshl_or_b32 v22, v16, 16, v28
	s_and_b64 vcc, exec, s[6:7]
	s_cbranch_vccz .LBB196_94
.LBB196_49:
	v_add_u32_e32 v16, 6, v1
	v_cmp_gt_u32_e32 vcc, s50, v16
	s_mov_b64 s[10:11], 0
	s_mov_b64 s[6:7], 0
	s_and_saveexec_b64 s[12:13], vcc
	s_cbranch_execz .LBB196_55
; %bb.50:
	s_and_b64 vcc, exec, s[4:5]
	s_mov_b64 s[0:1], 0
	s_cbranch_vccnz .LBB196_54
; %bb.51:
	v_mov_b64_e32 v[22:23], s[28:29]
	v_mad_u64_u32 v[16:17], s[0:1], v4, s26, v[22:23]
	v_mul_lo_u32 v19, v4, s27
	s_waitcnt lgkmcnt(0)
	v_mul_lo_u32 v24, v5, s26
	v_add3_u32 v17, v24, v17, v19
	v_mad_u64_u32 v[22:23], s[0:1], v14, s26, v[22:23]
	v_mul_lo_u32 v19, v14, s27
	v_mul_lo_u32 v24, v15, s26
	s_add_u32 s38, s26, -1
	v_add3_u32 v23, v24, v23, v19
	s_addc_u32 s39, s27, -1
                                        ; implicit-def: $sgpr14_sgpr15
.LBB196_52:                             ; =>This Inner Loop Header: Depth=1
	global_load_ubyte v19, v[16:17], off
	global_load_ubyte v24, v[22:23], off
	s_add_u32 s0, s38, -1
	s_addc_u32 s1, s39, -1
	s_cmp_eq_u64 s[38:39], 0
	s_mov_b64 s[38:39], s[0:1]
	s_cselect_b64 s[40:41], -1, 0
	v_lshl_add_u64 v[16:17], v[16:17], 0, 1
	v_lshl_add_u64 v[22:23], v[22:23], 0, 1
	s_waitcnt vmcnt(0)
	v_cmp_ne_u16_e64 s[0:1], v19, v24
	s_or_b64 s[0:1], s[0:1], s[40:41]
	s_and_b64 s[0:1], exec, s[0:1]
	v_cmp_eq_u16_e32 vcc, v19, v24
	s_or_b64 s[6:7], s[0:1], s[6:7]
	s_andn2_b64 s[0:1], s[14:15], exec
	s_and_b64 s[14:15], vcc, exec
	s_or_b64 s[14:15], s[0:1], s[14:15]
	s_andn2_b64 exec, exec, s[6:7]
	s_cbranch_execnz .LBB196_52
; %bb.53:
	s_or_b64 exec, exec, s[6:7]
	s_xor_b64 s[0:1], s[14:15], -1
.LBB196_54:
	s_and_b64 s[6:7], s[0:1], exec
.LBB196_55:
	s_or_b64 exec, exec, s[12:13]
	v_add_u32_e32 v16, 5, v1
	v_cmp_gt_u32_e32 vcc, s50, v16
	s_and_saveexec_b64 s[12:13], vcc
	s_cbranch_execz .LBB196_61
; %bb.56:
	s_and_b64 vcc, exec, s[4:5]
	s_mov_b64 s[0:1], 0
	s_cbranch_vccnz .LBB196_60
; %bb.57:
	v_mov_b64_e32 v[22:23], s[28:29]
	v_mad_u64_u32 v[16:17], s[0:1], v2, s26, v[22:23]
	v_mul_lo_u32 v19, v2, s27
	s_waitcnt lgkmcnt(0)
	v_mul_lo_u32 v24, v3, s26
	v_add3_u32 v17, v24, v17, v19
	v_mad_u64_u32 v[22:23], s[0:1], v4, s26, v[22:23]
	v_mul_lo_u32 v19, v4, s27
	v_mul_lo_u32 v24, v5, s26
	s_add_u32 s38, s26, -1
	v_add3_u32 v23, v24, v23, v19
	s_addc_u32 s39, s27, -1
	s_mov_b64 s[10:11], 0
                                        ; implicit-def: $sgpr14_sgpr15
.LBB196_58:                             ; =>This Inner Loop Header: Depth=1
	global_load_ubyte v19, v[16:17], off
	global_load_ubyte v24, v[22:23], off
	s_add_u32 s0, s38, -1
	s_addc_u32 s1, s39, -1
	s_cmp_eq_u64 s[38:39], 0
	s_mov_b64 s[38:39], s[0:1]
	s_cselect_b64 s[40:41], -1, 0
	v_lshl_add_u64 v[16:17], v[16:17], 0, 1
	v_lshl_add_u64 v[22:23], v[22:23], 0, 1
	s_waitcnt vmcnt(0)
	v_cmp_ne_u16_e64 s[0:1], v19, v24
	s_or_b64 s[0:1], s[0:1], s[40:41]
	s_and_b64 s[0:1], exec, s[0:1]
	v_cmp_eq_u16_e32 vcc, v19, v24
	s_or_b64 s[10:11], s[0:1], s[10:11]
	s_andn2_b64 s[0:1], s[14:15], exec
	s_and_b64 s[14:15], vcc, exec
	s_or_b64 s[14:15], s[0:1], s[14:15]
	s_andn2_b64 exec, exec, s[10:11]
	s_cbranch_execnz .LBB196_58
; %bb.59:
	s_or_b64 exec, exec, s[10:11]
	s_xor_b64 s[0:1], s[14:15], -1
.LBB196_60:
	s_and_b64 s[10:11], s[0:1], exec
.LBB196_61:
	s_or_b64 exec, exec, s[12:13]
	v_add_u32_e32 v16, 4, v1
	v_cmp_gt_u32_e32 vcc, s50, v16
	s_mov_b64 s[14:15], 0
	s_mov_b64 s[12:13], 0
	s_and_saveexec_b64 s[38:39], vcc
	s_cbranch_execz .LBB196_67
; %bb.62:
	s_and_b64 vcc, exec, s[4:5]
	s_mov_b64 s[0:1], 0
	s_cbranch_vccnz .LBB196_66
; %bb.63:
	v_mov_b64_e32 v[22:23], s[28:29]
	v_mad_u64_u32 v[16:17], s[0:1], v8, s26, v[22:23]
	v_mul_lo_u32 v19, v8, s27
	s_waitcnt lgkmcnt(0)
	v_mul_lo_u32 v24, v9, s26
	v_add3_u32 v17, v24, v17, v19
	v_mad_u64_u32 v[22:23], s[0:1], v2, s26, v[22:23]
	v_mul_lo_u32 v19, v2, s27
	v_mul_lo_u32 v24, v3, s26
	s_add_u32 s42, s26, -1
	v_add3_u32 v23, v24, v23, v19
	s_addc_u32 s43, s27, -1
                                        ; implicit-def: $sgpr40_sgpr41
.LBB196_64:                             ; =>This Inner Loop Header: Depth=1
	global_load_ubyte v19, v[16:17], off
	global_load_ubyte v24, v[22:23], off
	s_add_u32 s0, s42, -1
	s_addc_u32 s1, s43, -1
	s_cmp_eq_u64 s[42:43], 0
	s_mov_b64 s[42:43], s[0:1]
	s_cselect_b64 s[44:45], -1, 0
	v_lshl_add_u64 v[16:17], v[16:17], 0, 1
	v_lshl_add_u64 v[22:23], v[22:23], 0, 1
	s_waitcnt vmcnt(0)
	v_cmp_ne_u16_e64 s[0:1], v19, v24
	s_or_b64 s[0:1], s[0:1], s[44:45]
	s_and_b64 s[0:1], exec, s[0:1]
	v_cmp_eq_u16_e32 vcc, v19, v24
	s_or_b64 s[12:13], s[0:1], s[12:13]
	s_andn2_b64 s[0:1], s[40:41], exec
	s_and_b64 s[40:41], vcc, exec
	s_or_b64 s[40:41], s[0:1], s[40:41]
	s_andn2_b64 exec, exec, s[12:13]
	s_cbranch_execnz .LBB196_64
; %bb.65:
	s_or_b64 exec, exec, s[12:13]
	s_xor_b64 s[0:1], s[40:41], -1
.LBB196_66:
	s_and_b64 s[12:13], s[0:1], exec
.LBB196_67:
	s_or_b64 exec, exec, s[38:39]
	v_add_u32_e32 v16, 3, v1
	v_cmp_gt_u32_e32 vcc, s50, v16
	s_and_saveexec_b64 s[38:39], vcc
	s_cbranch_execz .LBB196_73
; %bb.68:
	s_and_b64 vcc, exec, s[4:5]
	s_mov_b64 s[0:1], 0
	s_cbranch_vccnz .LBB196_72
; %bb.69:
	v_mov_b64_e32 v[22:23], s[28:29]
	v_mad_u64_u32 v[16:17], s[0:1], v6, s26, v[22:23]
	v_mul_lo_u32 v19, v6, s27
	s_waitcnt lgkmcnt(0)
	v_mul_lo_u32 v24, v7, s26
	v_add3_u32 v17, v24, v17, v19
	v_mad_u64_u32 v[22:23], s[0:1], v8, s26, v[22:23]
	v_mul_lo_u32 v19, v8, s27
	v_mul_lo_u32 v24, v9, s26
	s_add_u32 s42, s26, -1
	v_add3_u32 v23, v24, v23, v19
	s_addc_u32 s43, s27, -1
	s_mov_b64 s[14:15], 0
                                        ; implicit-def: $sgpr40_sgpr41
.LBB196_70:                             ; =>This Inner Loop Header: Depth=1
	global_load_ubyte v19, v[16:17], off
	global_load_ubyte v24, v[22:23], off
	s_add_u32 s0, s42, -1
	s_addc_u32 s1, s43, -1
	s_cmp_eq_u64 s[42:43], 0
	s_mov_b64 s[42:43], s[0:1]
	s_cselect_b64 s[44:45], -1, 0
	v_lshl_add_u64 v[16:17], v[16:17], 0, 1
	v_lshl_add_u64 v[22:23], v[22:23], 0, 1
	s_waitcnt vmcnt(0)
	v_cmp_ne_u16_e64 s[0:1], v19, v24
	s_or_b64 s[0:1], s[0:1], s[44:45]
	s_and_b64 s[0:1], exec, s[0:1]
	v_cmp_eq_u16_e32 vcc, v19, v24
	s_or_b64 s[14:15], s[0:1], s[14:15]
	s_andn2_b64 s[0:1], s[40:41], exec
	s_and_b64 s[40:41], vcc, exec
	s_or_b64 s[40:41], s[0:1], s[40:41]
	s_andn2_b64 exec, exec, s[14:15]
	s_cbranch_execnz .LBB196_70
; %bb.71:
	s_or_b64 exec, exec, s[14:15]
	s_xor_b64 s[0:1], s[40:41], -1
.LBB196_72:
	s_and_b64 s[14:15], s[0:1], exec
.LBB196_73:
	s_or_b64 exec, exec, s[38:39]
	v_add_u32_e32 v16, 2, v1
	v_cmp_gt_u32_e32 vcc, s50, v16
	s_mov_b64 s[38:39], 0
	s_mov_b64 s[40:41], 0
	s_and_saveexec_b64 s[42:43], vcc
	s_cbranch_execz .LBB196_79
; %bb.74:
	s_and_b64 vcc, exec, s[4:5]
	s_mov_b64 s[0:1], 0
	s_cbranch_vccnz .LBB196_78
; %bb.75:
	v_mov_b64_e32 v[22:23], s[28:29]
	v_mad_u64_u32 v[16:17], s[0:1], v12, s26, v[22:23]
	v_mul_lo_u32 v19, v12, s27
	s_waitcnt lgkmcnt(0)
	v_mul_lo_u32 v24, v13, s26
	v_add3_u32 v17, v24, v17, v19
	v_mad_u64_u32 v[22:23], s[0:1], v6, s26, v[22:23]
	v_mul_lo_u32 v19, v6, s27
	v_mul_lo_u32 v24, v7, s26
	s_add_u32 s46, s26, -1
	v_add3_u32 v23, v24, v23, v19
	s_addc_u32 s47, s27, -1
                                        ; implicit-def: $sgpr44_sgpr45
.LBB196_76:                             ; =>This Inner Loop Header: Depth=1
	global_load_ubyte v19, v[16:17], off
	global_load_ubyte v24, v[22:23], off
	s_add_u32 s0, s46, -1
	s_addc_u32 s1, s47, -1
	s_cmp_eq_u64 s[46:47], 0
	s_mov_b64 s[46:47], s[0:1]
	s_cselect_b64 s[48:49], -1, 0
	v_lshl_add_u64 v[16:17], v[16:17], 0, 1
	v_lshl_add_u64 v[22:23], v[22:23], 0, 1
	s_waitcnt vmcnt(0)
	v_cmp_ne_u16_e64 s[0:1], v19, v24
	s_or_b64 s[0:1], s[0:1], s[48:49]
	s_and_b64 s[0:1], exec, s[0:1]
	v_cmp_eq_u16_e32 vcc, v19, v24
	s_or_b64 s[40:41], s[0:1], s[40:41]
	s_andn2_b64 s[0:1], s[44:45], exec
	s_and_b64 s[44:45], vcc, exec
	s_or_b64 s[44:45], s[0:1], s[44:45]
	s_andn2_b64 exec, exec, s[40:41]
	s_cbranch_execnz .LBB196_76
; %bb.77:
	s_or_b64 exec, exec, s[40:41]
	s_xor_b64 s[0:1], s[44:45], -1
.LBB196_78:
	s_and_b64 s[40:41], s[0:1], exec
.LBB196_79:
	s_or_b64 exec, exec, s[42:43]
	v_add_u32_e32 v16, 1, v1
	v_cmp_gt_u32_e32 vcc, s50, v16
	s_and_saveexec_b64 s[42:43], vcc
	s_cbranch_execz .LBB196_85
; %bb.80:
	s_and_b64 vcc, exec, s[4:5]
	s_mov_b64 s[0:1], 0
	s_cbranch_vccnz .LBB196_84
; %bb.81:
	v_mov_b64_e32 v[22:23], s[28:29]
	v_mad_u64_u32 v[16:17], s[0:1], v10, s26, v[22:23]
	v_mul_lo_u32 v19, v10, s27
	s_waitcnt lgkmcnt(0)
	v_mul_lo_u32 v24, v11, s26
	v_add3_u32 v17, v24, v17, v19
	v_mad_u64_u32 v[22:23], s[0:1], v12, s26, v[22:23]
	v_mul_lo_u32 v19, v12, s27
	v_mul_lo_u32 v24, v13, s26
	s_add_u32 s46, s26, -1
	v_add3_u32 v23, v24, v23, v19
	s_addc_u32 s47, s27, -1
	s_mov_b64 s[38:39], 0
                                        ; implicit-def: $sgpr44_sgpr45
.LBB196_82:                             ; =>This Inner Loop Header: Depth=1
	global_load_ubyte v19, v[16:17], off
	global_load_ubyte v24, v[22:23], off
	s_add_u32 s0, s46, -1
	s_addc_u32 s1, s47, -1
	s_cmp_eq_u64 s[46:47], 0
	s_mov_b64 s[46:47], s[0:1]
	s_cselect_b64 s[48:49], -1, 0
	v_lshl_add_u64 v[16:17], v[16:17], 0, 1
	v_lshl_add_u64 v[22:23], v[22:23], 0, 1
	s_waitcnt vmcnt(0)
	v_cmp_ne_u16_e64 s[0:1], v19, v24
	s_or_b64 s[0:1], s[0:1], s[48:49]
	s_and_b64 s[0:1], exec, s[0:1]
	v_cmp_eq_u16_e32 vcc, v19, v24
	s_or_b64 s[38:39], s[0:1], s[38:39]
	s_andn2_b64 s[0:1], s[44:45], exec
	s_and_b64 s[44:45], vcc, exec
	s_or_b64 s[44:45], s[0:1], s[44:45]
	s_andn2_b64 exec, exec, s[38:39]
	s_cbranch_execnz .LBB196_82
; %bb.83:
	s_or_b64 exec, exec, s[38:39]
	s_xor_b64 s[0:1], s[44:45], -1
.LBB196_84:
	s_and_b64 s[38:39], s[0:1], exec
.LBB196_85:
	s_or_b64 exec, exec, s[42:43]
	s_waitcnt lgkmcnt(0)
	s_barrier
	s_and_saveexec_b64 s[0:1], s[2:3]
	s_cbranch_execz .LBB196_87
; %bb.86:
	v_add_u32_e32 v16, -8, v27
	s_waitcnt vmcnt(0)
	ds_read_b64 v[20:21], v16
.LBB196_87:
	s_or_b64 exec, exec, s[0:1]
	v_cndmask_b32_e64 v17, 0, 1, s[14:15]
	v_cndmask_b32_e64 v16, 0, 1, s[40:41]
	;; [unrolled: 1-line block ×3, first 2 shown]
	v_lshlrev_b16_e32 v17, 8, v17
	v_cmp_gt_u32_e32 vcc, s50, v1
	v_lshlrev_b16_e32 v22, 8, v19
	v_or_b32_sdwa v23, v16, v17 dst_sel:WORD_1 dst_unused:UNUSED_PAD src0_sel:DWORD src1_sel:DWORD
	s_mov_b64 s[0:1], 0
	s_and_saveexec_b64 s[14:15], vcc
	s_cbranch_execz .LBB196_93
; %bb.88:
	s_and_b64 vcc, exec, s[4:5]
	s_cbranch_vccnz .LBB196_92
; %bb.89:
	v_mov_b64_e32 v[24:25], s[28:29]
	s_waitcnt vmcnt(0) lgkmcnt(0)
	v_mad_u64_u32 v[16:17], s[0:1], v20, s26, v[24:25]
	v_mul_lo_u32 v19, v20, s27
	v_mul_lo_u32 v20, v21, s26
	v_add3_u32 v17, v20, v17, v19
	v_mad_u64_u32 v[20:21], s[0:1], v10, s26, v[24:25]
	v_mul_lo_u32 v19, v10, s27
	v_mul_lo_u32 v24, v11, s26
	s_add_u32 s40, s26, -1
	v_add3_u32 v21, v24, v21, v19
	s_addc_u32 s41, s27, -1
	s_mov_b64 s[4:5], 0
                                        ; implicit-def: $sgpr38_sgpr39
.LBB196_90:                             ; =>This Inner Loop Header: Depth=1
	global_load_ubyte v19, v[16:17], off
	global_load_ubyte v24, v[20:21], off
	s_add_u32 s0, s40, -1
	s_addc_u32 s1, s41, -1
	s_cmp_eq_u64 s[40:41], 0
	s_mov_b64 s[40:41], s[0:1]
	s_cselect_b64 s[42:43], -1, 0
	v_lshl_add_u64 v[16:17], v[16:17], 0, 1
	v_lshl_add_u64 v[20:21], v[20:21], 0, 1
	s_waitcnt vmcnt(0)
	v_cmp_ne_u16_e64 s[0:1], v19, v24
	s_or_b64 s[0:1], s[0:1], s[42:43]
	s_and_b64 s[0:1], exec, s[0:1]
	v_cmp_eq_u16_e32 vcc, v19, v24
	s_or_b64 s[4:5], s[0:1], s[4:5]
	s_andn2_b64 s[0:1], s[38:39], exec
	s_and_b64 s[38:39], vcc, exec
	s_or_b64 s[38:39], s[0:1], s[38:39]
	s_andn2_b64 exec, exec, s[4:5]
	s_cbranch_execnz .LBB196_90
; %bb.91:
	s_or_b64 exec, exec, s[4:5]
	s_xor_b64 s[0:1], s[38:39], -1
.LBB196_92:
	s_and_b64 s[0:1], s[0:1], exec
.LBB196_93:
	s_or_b64 exec, exec, s[14:15]
	v_cndmask_b32_e64 v17, 0, 1, s[12:13]
	v_cndmask_b32_e64 v40, 0, 1, s[10:11]
	;; [unrolled: 1-line block ×3, first 2 shown]
	v_or_b32_e32 v22, v22, v23
.LBB196_94:
	s_mov_b64 s[10:11], -1
	s_cbranch_execnz .LBB196_39
.LBB196_95:
	s_movk_i32 s0, 0xffd0
	v_mad_i32_i24 v26, v0, s0, v26
	s_mov_b64 s[0:1], 0
	v_cmp_gt_i64_e64 s[6:7], s[26:27], 0
	s_and_b64 vcc, exec, s[36:37]
	ds_write_b64 v26, v[14:15]
	s_cbranch_vccz .LBB196_110
; %bb.96:
	v_cndmask_b32_e64 v16, 0, 1, s[6:7]
	v_cmp_ne_u32_e64 s[4:5], 1, v16
	s_andn2_b64 vcc, exec, s[6:7]
	s_cbranch_vccnz .LBB196_111
; %bb.97:
	s_waitcnt vmcnt(0) lgkmcnt(1)
	v_mov_b64_e32 v[20:21], s[28:29]
	v_mad_u64_u32 v[16:17], s[0:1], v4, s26, v[20:21]
	v_mul_lo_u32 v19, v4, s27
	v_mul_lo_u32 v22, v5, s26
	s_add_u32 s14, s26, -1
	v_add3_u32 v17, v22, v17, v19
	v_mad_u64_u32 v[20:21], s[0:1], v14, s26, v[20:21]
	v_mul_lo_u32 v19, v14, s27
	v_mul_lo_u32 v22, v15, s26
	s_addc_u32 s15, s27, -1
	v_add3_u32 v21, v22, v21, v19
	s_mov_b64 s[38:39], 0
	s_mov_b64 s[40:41], s[14:15]
	v_mov_b64_e32 v[22:23], v[16:17]
                                        ; implicit-def: $sgpr12_sgpr13
.LBB196_98:                             ; =>This Inner Loop Header: Depth=1
	global_load_ubyte v19, v[22:23], off
	global_load_ubyte v24, v[20:21], off
	s_add_u32 s0, s40, -1
	s_addc_u32 s1, s41, -1
	s_cmp_eq_u64 s[40:41], 0
	s_mov_b64 s[40:41], s[0:1]
	s_cselect_b64 s[42:43], -1, 0
	v_lshl_add_u64 v[22:23], v[22:23], 0, 1
	v_lshl_add_u64 v[20:21], v[20:21], 0, 1
	s_waitcnt vmcnt(0)
	v_cmp_ne_u16_e64 s[0:1], v19, v24
	s_or_b64 s[0:1], s[0:1], s[42:43]
	s_and_b64 s[0:1], exec, s[0:1]
	v_cmp_eq_u16_e32 vcc, v19, v24
	s_or_b64 s[38:39], s[0:1], s[38:39]
	s_andn2_b64 s[0:1], s[12:13], exec
	s_and_b64 s[12:13], vcc, exec
	s_or_b64 s[12:13], s[0:1], s[12:13]
	s_andn2_b64 exec, exec, s[38:39]
	s_cbranch_execnz .LBB196_98
; %bb.99:
	s_or_b64 exec, exec, s[38:39]
	v_mov_b64_e32 v[20:21], s[28:29]
	v_mad_u64_u32 v[20:21], s[0:1], v2, s26, v[20:21]
	v_mul_lo_u32 v19, v2, s27
	v_mul_lo_u32 v22, v3, s26
	v_add3_u32 v21, v22, v21, v19
	s_mov_b64 s[40:41], 0
	s_mov_b64 s[42:43], s[14:15]
	v_mov_b64_e32 v[22:23], v[20:21]
                                        ; implicit-def: $sgpr38_sgpr39
.LBB196_100:                            ; =>This Inner Loop Header: Depth=1
	global_load_ubyte v19, v[22:23], off
	global_load_ubyte v24, v[16:17], off
	s_add_u32 s0, s42, -1
	s_addc_u32 s1, s43, -1
	s_cmp_eq_u64 s[42:43], 0
	s_mov_b64 s[42:43], s[0:1]
	s_cselect_b64 s[44:45], -1, 0
	v_lshl_add_u64 v[22:23], v[22:23], 0, 1
	v_lshl_add_u64 v[16:17], v[16:17], 0, 1
	s_waitcnt vmcnt(0)
	v_cmp_ne_u16_e64 s[0:1], v19, v24
	s_or_b64 s[0:1], s[0:1], s[44:45]
	s_and_b64 s[0:1], exec, s[0:1]
	v_cmp_eq_u16_e32 vcc, v19, v24
	s_or_b64 s[40:41], s[0:1], s[40:41]
	s_andn2_b64 s[0:1], s[38:39], exec
	s_and_b64 s[38:39], vcc, exec
	s_or_b64 s[38:39], s[0:1], s[38:39]
	s_andn2_b64 exec, exec, s[40:41]
	s_cbranch_execnz .LBB196_100
; %bb.101:
	s_or_b64 exec, exec, s[40:41]
	v_mov_b64_e32 v[16:17], s[28:29]
	v_mad_u64_u32 v[16:17], s[0:1], v8, s26, v[16:17]
	v_mul_lo_u32 v19, v8, s27
	v_mul_lo_u32 v22, v9, s26
	v_add3_u32 v17, v22, v17, v19
	s_mov_b64 s[42:43], 0
	s_mov_b64 s[44:45], s[14:15]
	v_mov_b64_e32 v[22:23], v[16:17]
                                        ; implicit-def: $sgpr40_sgpr41
.LBB196_102:                            ; =>This Inner Loop Header: Depth=1
	global_load_ubyte v19, v[22:23], off
	global_load_ubyte v24, v[20:21], off
	s_add_u32 s0, s44, -1
	s_addc_u32 s1, s45, -1
	s_cmp_eq_u64 s[44:45], 0
	s_mov_b64 s[44:45], s[0:1]
	s_cselect_b64 s[46:47], -1, 0
	v_lshl_add_u64 v[22:23], v[22:23], 0, 1
	v_lshl_add_u64 v[20:21], v[20:21], 0, 1
	s_waitcnt vmcnt(0)
	v_cmp_ne_u16_e64 s[0:1], v19, v24
	s_or_b64 s[0:1], s[0:1], s[46:47]
	s_and_b64 s[0:1], exec, s[0:1]
	v_cmp_eq_u16_e32 vcc, v19, v24
	s_or_b64 s[42:43], s[0:1], s[42:43]
	s_andn2_b64 s[0:1], s[40:41], exec
	s_and_b64 s[40:41], vcc, exec
	s_or_b64 s[40:41], s[0:1], s[40:41]
	s_andn2_b64 exec, exec, s[42:43]
	s_cbranch_execnz .LBB196_102
; %bb.103:
	s_or_b64 exec, exec, s[42:43]
	v_mov_b64_e32 v[20:21], s[28:29]
	v_mad_u64_u32 v[20:21], s[0:1], v6, s26, v[20:21]
	v_mul_lo_u32 v19, v6, s27
	v_mul_lo_u32 v22, v7, s26
	v_add3_u32 v21, v22, v21, v19
	s_mov_b64 s[44:45], 0
	s_mov_b64 s[46:47], s[14:15]
	v_mov_b64_e32 v[22:23], v[20:21]
                                        ; implicit-def: $sgpr42_sgpr43
.LBB196_104:                            ; =>This Inner Loop Header: Depth=1
	global_load_ubyte v19, v[22:23], off
	global_load_ubyte v24, v[16:17], off
	s_add_u32 s0, s46, -1
	s_addc_u32 s1, s47, -1
	s_cmp_eq_u64 s[46:47], 0
	s_mov_b64 s[46:47], s[0:1]
	s_cselect_b64 s[48:49], -1, 0
	v_lshl_add_u64 v[22:23], v[22:23], 0, 1
	v_lshl_add_u64 v[16:17], v[16:17], 0, 1
	s_waitcnt vmcnt(0)
	v_cmp_ne_u16_e64 s[0:1], v19, v24
	s_or_b64 s[0:1], s[0:1], s[48:49]
	s_and_b64 s[0:1], exec, s[0:1]
	v_cmp_eq_u16_e32 vcc, v19, v24
	s_or_b64 s[44:45], s[0:1], s[44:45]
	s_andn2_b64 s[0:1], s[42:43], exec
	s_and_b64 s[42:43], vcc, exec
	s_or_b64 s[42:43], s[0:1], s[42:43]
	s_andn2_b64 exec, exec, s[44:45]
	s_cbranch_execnz .LBB196_104
; %bb.105:
	s_or_b64 exec, exec, s[44:45]
	v_mov_b64_e32 v[16:17], s[28:29]
	v_mad_u64_u32 v[16:17], s[0:1], v12, s26, v[16:17]
	v_mul_lo_u32 v19, v12, s27
	v_mul_lo_u32 v22, v13, s26
	v_add3_u32 v17, v22, v17, v19
	s_mov_b64 s[46:47], 0
	s_mov_b64 s[48:49], s[14:15]
	v_mov_b64_e32 v[22:23], v[16:17]
                                        ; implicit-def: $sgpr44_sgpr45
.LBB196_106:                            ; =>This Inner Loop Header: Depth=1
	global_load_ubyte v19, v[22:23], off
	global_load_ubyte v24, v[20:21], off
	s_add_u32 s0, s48, -1
	s_addc_u32 s1, s49, -1
	s_cmp_eq_u64 s[48:49], 0
	s_mov_b64 s[48:49], s[0:1]
	s_cselect_b64 s[52:53], -1, 0
	v_lshl_add_u64 v[22:23], v[22:23], 0, 1
	v_lshl_add_u64 v[20:21], v[20:21], 0, 1
	s_waitcnt vmcnt(0)
	v_cmp_ne_u16_e64 s[0:1], v19, v24
	s_or_b64 s[0:1], s[0:1], s[52:53]
	s_and_b64 s[0:1], exec, s[0:1]
	v_cmp_eq_u16_e32 vcc, v19, v24
	s_or_b64 s[46:47], s[0:1], s[46:47]
	s_andn2_b64 s[0:1], s[44:45], exec
	s_and_b64 s[44:45], vcc, exec
	s_or_b64 s[44:45], s[0:1], s[44:45]
	s_andn2_b64 exec, exec, s[46:47]
	s_cbranch_execnz .LBB196_106
; %bb.107:
	s_or_b64 exec, exec, s[46:47]
	v_mov_b64_e32 v[20:21], s[28:29]
	v_mad_u64_u32 v[20:21], s[0:1], v10, s26, v[20:21]
	v_mul_lo_u32 v19, v10, s27
	v_mul_lo_u32 v22, v11, s26
	v_add3_u32 v21, v22, v21, v19
	s_mov_b64 s[48:49], 0
                                        ; implicit-def: $sgpr46_sgpr47
.LBB196_108:                            ; =>This Inner Loop Header: Depth=1
	global_load_ubyte v19, v[20:21], off
	global_load_ubyte v22, v[16:17], off
	s_add_u32 s0, s14, -1
	s_addc_u32 s1, s15, -1
	s_cmp_eq_u64 s[14:15], 0
	s_mov_b64 s[14:15], s[0:1]
	s_cselect_b64 s[52:53], -1, 0
	v_lshl_add_u64 v[20:21], v[20:21], 0, 1
	v_lshl_add_u64 v[16:17], v[16:17], 0, 1
	s_waitcnt vmcnt(0)
	v_cmp_ne_u16_e64 s[0:1], v19, v22
	s_or_b64 s[0:1], s[0:1], s[52:53]
	s_and_b64 s[0:1], exec, s[0:1]
	v_cmp_eq_u16_e32 vcc, v19, v22
	s_or_b64 s[48:49], s[0:1], s[48:49]
	s_andn2_b64 s[0:1], s[46:47], exec
	s_and_b64 s[46:47], vcc, exec
	s_or_b64 s[46:47], s[0:1], s[46:47]
	s_andn2_b64 exec, exec, s[48:49]
	s_cbranch_execnz .LBB196_108
; %bb.109:
	s_or_b64 exec, exec, s[48:49]
	s_xor_b64 s[0:1], s[38:39], -1
	v_cndmask_b32_e64 v40, 0, 1, s[0:1]
	s_xor_b64 s[0:1], s[42:43], -1
	v_cndmask_b32_e64 v16, 0, 1, s[0:1]
	v_lshlrev_b16_e32 v16, 8, v16
	s_xor_b64 s[0:1], s[12:13], -1
	v_lshrrev_b32_e32 v16, 8, v16
	v_mov_b32_e32 v20, 1
	s_xor_b64 s[12:13], s[44:45], -1
	v_cndmask_b32_e64 v19, 0, 1, s[0:1]
	s_xor_b64 s[0:1], s[40:41], -1
	v_and_b32_sdwa v16, v16, v20 dst_sel:BYTE_1 dst_unused:UNUSED_PAD src0_sel:DWORD src1_sel:DWORD
	v_cndmask_b32_e64 v20, 0, 1, s[12:13]
	v_cndmask_b32_e64 v17, 0, 1, s[0:1]
	s_xor_b64 s[0:1], s[46:47], -1
	v_or_b32_sdwa v16, v20, v16 dst_sel:WORD_1 dst_unused:UNUSED_PAD src0_sel:DWORD src1_sel:DWORD
	s_branch .LBB196_112
.LBB196_110:
                                        ; implicit-def: $sgpr0_sgpr1
                                        ; implicit-def: $vgpr19
                                        ; implicit-def: $vgpr40
                                        ; implicit-def: $vgpr17
                                        ; implicit-def: $vgpr22
                                        ; implicit-def: $vgpr42
                                        ; implicit-def: $vgpr41
                                        ; implicit-def: $vgpr20
	s_cbranch_execnz .LBB196_119
	s_branch .LBB196_164
.LBB196_111:
	v_mov_b32_e32 v16, 0
	v_mov_b32_e32 v19, 0
	;; [unrolled: 1-line block ×4, first 2 shown]
.LBB196_112:
	v_lshrrev_b32_e32 v41, 16, v16
	s_waitcnt vmcnt(0) lgkmcnt(1)
	v_lshrrev_b32_e32 v20, 24, v16
	v_cndmask_b32_e64 v42, 0, 1, s[0:1]
	v_mov_b32_e32 v16, 1
	s_waitcnt lgkmcnt(0)
	s_barrier
                                        ; implicit-def: $sgpr0_sgpr1
                                        ; implicit-def: $vgpr22
	s_and_saveexec_b64 s[12:13], s[2:3]
	s_xor_b64 s[12:13], exec, s[12:13]
	s_cbranch_execz .LBB196_118
; %bb.113:
	v_lshlrev_b16_e32 v21, 8, v20
	s_movk_i32 s0, 0xff
	v_bitop3_b16 v21, v41, v21, s0 bitop3:0xec
	v_lshlrev_b16_e32 v22, 8, v42
	v_lshlrev_b32_e32 v21, 16, v21
	v_or_b32_e32 v22, 1, v22
	v_or_b32_sdwa v21, v22, v21 dst_sel:DWORD dst_unused:UNUSED_PAD src0_sel:WORD_0 src1_sel:DWORD
	s_mov_b32 s40, 0x3020104
	s_and_b64 vcc, exec, s[4:5]
	s_mov_b64 s[0:1], 0
	s_cbranch_vccnz .LBB196_117
; %bb.114:
	v_add_u32_e32 v22, -8, v26
	ds_read_b64 v[22:23], v22
	v_mov_b64_e32 v[24:25], s[28:29]
	s_add_u32 s38, s26, -1
	s_addc_u32 s39, s27, -1
	s_mov_b64 s[4:5], 0
	s_waitcnt lgkmcnt(0)
	v_mul_lo_u32 v27, v22, s27
	v_mul_lo_u32 v28, v23, s26
	v_mad_u64_u32 v[22:23], s[0:1], v22, s26, v[24:25]
	v_add3_u32 v23, v28, v23, v27
	v_mad_u64_u32 v[24:25], s[0:1], v10, s26, v[24:25]
	v_mul_lo_u32 v27, v10, s27
	v_mul_lo_u32 v28, v11, s26
	v_add3_u32 v25, v28, v25, v27
                                        ; implicit-def: $sgpr14_sgpr15
.LBB196_115:                            ; =>This Inner Loop Header: Depth=1
	global_load_ubyte v27, v[22:23], off
	global_load_ubyte v28, v[24:25], off
	s_add_u32 s0, s38, -1
	s_addc_u32 s1, s39, -1
	s_cmp_eq_u64 s[38:39], 0
	s_mov_b64 s[38:39], s[0:1]
	s_cselect_b64 s[42:43], -1, 0
	v_lshl_add_u64 v[22:23], v[22:23], 0, 1
	v_lshl_add_u64 v[24:25], v[24:25], 0, 1
	s_waitcnt vmcnt(0)
	v_cmp_ne_u16_e64 s[0:1], v27, v28
	s_or_b64 s[0:1], s[0:1], s[42:43]
	s_and_b64 s[0:1], exec, s[0:1]
	v_cmp_eq_u16_e32 vcc, v27, v28
	s_or_b64 s[4:5], s[0:1], s[4:5]
	s_andn2_b64 s[0:1], s[14:15], exec
	s_and_b64 s[14:15], vcc, exec
	s_or_b64 s[14:15], s[0:1], s[14:15]
	s_andn2_b64 exec, exec, s[4:5]
	s_cbranch_execnz .LBB196_115
; %bb.116:
	s_or_b64 exec, exec, s[4:5]
	s_xor_b64 s[0:1], s[14:15], -1
.LBB196_117:
	v_perm_b32 v22, v21, v21, s40
	s_or_b64 s[10:11], s[10:11], exec
.LBB196_118:
	s_or_b64 exec, exec, s[12:13]
	s_branch .LBB196_164
.LBB196_119:
	v_add_u32_e32 v16, 6, v1
	v_cmp_gt_u32_e32 vcc, s50, v16
	s_mov_b64 s[12:13], 0
	s_mov_b64 s[4:5], 0
	s_and_saveexec_b64 s[14:15], vcc
	s_cbranch_execz .LBB196_125
; %bb.120:
	s_andn2_b64 vcc, exec, s[6:7]
	s_mov_b64 s[0:1], 0
	s_cbranch_vccnz .LBB196_124
; %bb.121:
	s_waitcnt vmcnt(0) lgkmcnt(1)
	v_mov_b64_e32 v[20:21], s[28:29]
	v_mad_u64_u32 v[16:17], s[0:1], v4, s26, v[20:21]
	v_mul_lo_u32 v19, v4, s27
	v_mul_lo_u32 v22, v5, s26
	v_add3_u32 v17, v22, v17, v19
	v_mad_u64_u32 v[20:21], s[0:1], v14, s26, v[20:21]
	v_mul_lo_u32 v19, v14, s27
	v_mul_lo_u32 v22, v15, s26
	s_add_u32 s40, s26, -1
	v_add3_u32 v21, v22, v21, v19
	s_addc_u32 s41, s27, -1
                                        ; implicit-def: $sgpr38_sgpr39
.LBB196_122:                            ; =>This Inner Loop Header: Depth=1
	global_load_ubyte v19, v[16:17], off
	global_load_ubyte v22, v[20:21], off
	s_add_u32 s0, s40, -1
	s_addc_u32 s1, s41, -1
	s_cmp_eq_u64 s[40:41], 0
	s_mov_b64 s[40:41], s[0:1]
	s_cselect_b64 s[42:43], -1, 0
	v_lshl_add_u64 v[16:17], v[16:17], 0, 1
	v_lshl_add_u64 v[20:21], v[20:21], 0, 1
	s_waitcnt vmcnt(0)
	v_cmp_ne_u16_e64 s[0:1], v19, v22
	s_or_b64 s[0:1], s[0:1], s[42:43]
	s_and_b64 s[0:1], exec, s[0:1]
	v_cmp_eq_u16_e32 vcc, v19, v22
	s_or_b64 s[4:5], s[0:1], s[4:5]
	s_andn2_b64 s[0:1], s[38:39], exec
	s_and_b64 s[38:39], vcc, exec
	s_or_b64 s[38:39], s[0:1], s[38:39]
	s_andn2_b64 exec, exec, s[4:5]
	s_cbranch_execnz .LBB196_122
; %bb.123:
	s_or_b64 exec, exec, s[4:5]
	s_xor_b64 s[0:1], s[38:39], -1
.LBB196_124:
	s_and_b64 s[4:5], s[0:1], exec
.LBB196_125:
	s_or_b64 exec, exec, s[14:15]
	v_add_u32_e32 v16, 5, v1
	v_cmp_gt_u32_e32 vcc, s50, v16
	s_and_saveexec_b64 s[14:15], vcc
	s_cbranch_execz .LBB196_131
; %bb.126:
	s_andn2_b64 vcc, exec, s[6:7]
	s_mov_b64 s[0:1], 0
	s_cbranch_vccnz .LBB196_130
; %bb.127:
	s_waitcnt vmcnt(0) lgkmcnt(1)
	v_mov_b64_e32 v[20:21], s[28:29]
	v_mad_u64_u32 v[16:17], s[0:1], v2, s26, v[20:21]
	v_mul_lo_u32 v19, v2, s27
	v_mul_lo_u32 v22, v3, s26
	v_add3_u32 v17, v22, v17, v19
	v_mad_u64_u32 v[20:21], s[0:1], v4, s26, v[20:21]
	v_mul_lo_u32 v19, v4, s27
	v_mul_lo_u32 v22, v5, s26
	s_add_u32 s40, s26, -1
	v_add3_u32 v21, v22, v21, v19
	s_addc_u32 s41, s27, -1
	s_mov_b64 s[12:13], 0
                                        ; implicit-def: $sgpr38_sgpr39
.LBB196_128:                            ; =>This Inner Loop Header: Depth=1
	global_load_ubyte v19, v[16:17], off
	global_load_ubyte v22, v[20:21], off
	s_add_u32 s0, s40, -1
	s_addc_u32 s1, s41, -1
	s_cmp_eq_u64 s[40:41], 0
	s_mov_b64 s[40:41], s[0:1]
	s_cselect_b64 s[42:43], -1, 0
	v_lshl_add_u64 v[16:17], v[16:17], 0, 1
	v_lshl_add_u64 v[20:21], v[20:21], 0, 1
	s_waitcnt vmcnt(0)
	v_cmp_ne_u16_e64 s[0:1], v19, v22
	s_or_b64 s[0:1], s[0:1], s[42:43]
	s_and_b64 s[0:1], exec, s[0:1]
	v_cmp_eq_u16_e32 vcc, v19, v22
	s_or_b64 s[12:13], s[0:1], s[12:13]
	s_andn2_b64 s[0:1], s[38:39], exec
	s_and_b64 s[38:39], vcc, exec
	s_or_b64 s[38:39], s[0:1], s[38:39]
	s_andn2_b64 exec, exec, s[12:13]
	s_cbranch_execnz .LBB196_128
; %bb.129:
	s_or_b64 exec, exec, s[12:13]
	s_xor_b64 s[0:1], s[38:39], -1
.LBB196_130:
	s_and_b64 s[12:13], s[0:1], exec
.LBB196_131:
	s_or_b64 exec, exec, s[14:15]
	v_add_u32_e32 v16, 4, v1
	v_cmp_gt_u32_e32 vcc, s50, v16
	s_mov_b64 s[14:15], 0
	s_mov_b64 s[38:39], 0
	s_and_saveexec_b64 s[40:41], vcc
	s_cbranch_execz .LBB196_137
; %bb.132:
	s_andn2_b64 vcc, exec, s[6:7]
	s_mov_b64 s[0:1], 0
	s_cbranch_vccnz .LBB196_136
; %bb.133:
	s_waitcnt vmcnt(0) lgkmcnt(1)
	v_mov_b64_e32 v[20:21], s[28:29]
	v_mad_u64_u32 v[16:17], s[0:1], v8, s26, v[20:21]
	v_mul_lo_u32 v19, v8, s27
	v_mul_lo_u32 v22, v9, s26
	v_add3_u32 v17, v22, v17, v19
	v_mad_u64_u32 v[20:21], s[0:1], v2, s26, v[20:21]
	v_mul_lo_u32 v19, v2, s27
	v_mul_lo_u32 v22, v3, s26
	s_add_u32 s44, s26, -1
	v_add3_u32 v21, v22, v21, v19
	s_addc_u32 s45, s27, -1
                                        ; implicit-def: $sgpr42_sgpr43
.LBB196_134:                            ; =>This Inner Loop Header: Depth=1
	global_load_ubyte v19, v[16:17], off
	global_load_ubyte v22, v[20:21], off
	s_add_u32 s0, s44, -1
	s_addc_u32 s1, s45, -1
	s_cmp_eq_u64 s[44:45], 0
	s_mov_b64 s[44:45], s[0:1]
	s_cselect_b64 s[46:47], -1, 0
	v_lshl_add_u64 v[16:17], v[16:17], 0, 1
	v_lshl_add_u64 v[20:21], v[20:21], 0, 1
	s_waitcnt vmcnt(0)
	v_cmp_ne_u16_e64 s[0:1], v19, v22
	s_or_b64 s[0:1], s[0:1], s[46:47]
	s_and_b64 s[0:1], exec, s[0:1]
	v_cmp_eq_u16_e32 vcc, v19, v22
	s_or_b64 s[38:39], s[0:1], s[38:39]
	s_andn2_b64 s[0:1], s[42:43], exec
	s_and_b64 s[42:43], vcc, exec
	s_or_b64 s[42:43], s[0:1], s[42:43]
	s_andn2_b64 exec, exec, s[38:39]
	s_cbranch_execnz .LBB196_134
; %bb.135:
	s_or_b64 exec, exec, s[38:39]
	s_xor_b64 s[0:1], s[42:43], -1
.LBB196_136:
	s_and_b64 s[38:39], s[0:1], exec
.LBB196_137:
	s_or_b64 exec, exec, s[40:41]
	v_add_u32_e32 v16, 3, v1
	v_cmp_gt_u32_e32 vcc, s50, v16
	s_and_saveexec_b64 s[40:41], vcc
	s_cbranch_execz .LBB196_143
; %bb.138:
	s_andn2_b64 vcc, exec, s[6:7]
	s_mov_b64 s[0:1], 0
	s_cbranch_vccnz .LBB196_142
; %bb.139:
	s_waitcnt vmcnt(0) lgkmcnt(1)
	v_mov_b64_e32 v[20:21], s[28:29]
	v_mad_u64_u32 v[16:17], s[0:1], v6, s26, v[20:21]
	v_mul_lo_u32 v19, v6, s27
	v_mul_lo_u32 v22, v7, s26
	v_add3_u32 v17, v22, v17, v19
	v_mad_u64_u32 v[20:21], s[0:1], v8, s26, v[20:21]
	v_mul_lo_u32 v19, v8, s27
	v_mul_lo_u32 v22, v9, s26
	s_add_u32 s44, s26, -1
	v_add3_u32 v21, v22, v21, v19
	s_addc_u32 s45, s27, -1
	s_mov_b64 s[14:15], 0
                                        ; implicit-def: $sgpr42_sgpr43
.LBB196_140:                            ; =>This Inner Loop Header: Depth=1
	global_load_ubyte v19, v[16:17], off
	global_load_ubyte v22, v[20:21], off
	s_add_u32 s0, s44, -1
	s_addc_u32 s1, s45, -1
	s_cmp_eq_u64 s[44:45], 0
	s_mov_b64 s[44:45], s[0:1]
	s_cselect_b64 s[46:47], -1, 0
	v_lshl_add_u64 v[16:17], v[16:17], 0, 1
	v_lshl_add_u64 v[20:21], v[20:21], 0, 1
	s_waitcnt vmcnt(0)
	v_cmp_ne_u16_e64 s[0:1], v19, v22
	s_or_b64 s[0:1], s[0:1], s[46:47]
	s_and_b64 s[0:1], exec, s[0:1]
	v_cmp_eq_u16_e32 vcc, v19, v22
	s_or_b64 s[14:15], s[0:1], s[14:15]
	s_andn2_b64 s[0:1], s[42:43], exec
	s_and_b64 s[42:43], vcc, exec
	s_or_b64 s[42:43], s[0:1], s[42:43]
	s_andn2_b64 exec, exec, s[14:15]
	s_cbranch_execnz .LBB196_140
; %bb.141:
	s_or_b64 exec, exec, s[14:15]
	s_xor_b64 s[0:1], s[42:43], -1
.LBB196_142:
	s_and_b64 s[14:15], s[0:1], exec
.LBB196_143:
	s_or_b64 exec, exec, s[40:41]
	v_add_u32_e32 v16, 2, v1
	v_cmp_gt_u32_e32 vcc, s50, v16
	s_mov_b64 s[40:41], 0
	s_mov_b64 s[42:43], 0
	s_and_saveexec_b64 s[44:45], vcc
	s_cbranch_execz .LBB196_149
; %bb.144:
	s_andn2_b64 vcc, exec, s[6:7]
	s_mov_b64 s[0:1], 0
	s_cbranch_vccnz .LBB196_148
; %bb.145:
	s_waitcnt vmcnt(0) lgkmcnt(1)
	v_mov_b64_e32 v[20:21], s[28:29]
	v_mad_u64_u32 v[16:17], s[0:1], v12, s26, v[20:21]
	v_mul_lo_u32 v19, v12, s27
	v_mul_lo_u32 v22, v13, s26
	v_add3_u32 v17, v22, v17, v19
	v_mad_u64_u32 v[20:21], s[0:1], v6, s26, v[20:21]
	v_mul_lo_u32 v19, v6, s27
	v_mul_lo_u32 v22, v7, s26
	s_add_u32 s48, s26, -1
	v_add3_u32 v21, v22, v21, v19
	s_addc_u32 s49, s27, -1
                                        ; implicit-def: $sgpr46_sgpr47
.LBB196_146:                            ; =>This Inner Loop Header: Depth=1
	global_load_ubyte v19, v[16:17], off
	global_load_ubyte v22, v[20:21], off
	s_add_u32 s0, s48, -1
	s_addc_u32 s1, s49, -1
	s_cmp_eq_u64 s[48:49], 0
	s_mov_b64 s[48:49], s[0:1]
	s_cselect_b64 s[52:53], -1, 0
	v_lshl_add_u64 v[16:17], v[16:17], 0, 1
	v_lshl_add_u64 v[20:21], v[20:21], 0, 1
	s_waitcnt vmcnt(0)
	v_cmp_ne_u16_e64 s[0:1], v19, v22
	s_or_b64 s[0:1], s[0:1], s[52:53]
	s_and_b64 s[0:1], exec, s[0:1]
	v_cmp_eq_u16_e32 vcc, v19, v22
	s_or_b64 s[42:43], s[0:1], s[42:43]
	s_andn2_b64 s[0:1], s[46:47], exec
	s_and_b64 s[46:47], vcc, exec
	s_or_b64 s[46:47], s[0:1], s[46:47]
	s_andn2_b64 exec, exec, s[42:43]
	s_cbranch_execnz .LBB196_146
; %bb.147:
	s_or_b64 exec, exec, s[42:43]
	s_xor_b64 s[0:1], s[46:47], -1
.LBB196_148:
	s_and_b64 s[42:43], s[0:1], exec
.LBB196_149:
	s_or_b64 exec, exec, s[44:45]
	v_add_u32_e32 v16, 1, v1
	v_cmp_gt_u32_e32 vcc, s50, v16
	s_and_saveexec_b64 s[44:45], vcc
	s_cbranch_execz .LBB196_155
; %bb.150:
	s_andn2_b64 vcc, exec, s[6:7]
	s_mov_b64 s[0:1], 0
	s_cbranch_vccnz .LBB196_154
; %bb.151:
	s_waitcnt vmcnt(0) lgkmcnt(1)
	v_mov_b64_e32 v[20:21], s[28:29]
	v_mad_u64_u32 v[16:17], s[0:1], v10, s26, v[20:21]
	v_mul_lo_u32 v19, v10, s27
	v_mul_lo_u32 v22, v11, s26
	v_add3_u32 v17, v22, v17, v19
	v_mad_u64_u32 v[20:21], s[0:1], v12, s26, v[20:21]
	v_mul_lo_u32 v19, v12, s27
	v_mul_lo_u32 v22, v13, s26
	s_add_u32 s48, s26, -1
	v_add3_u32 v21, v22, v21, v19
	s_addc_u32 s49, s27, -1
	s_mov_b64 s[40:41], 0
                                        ; implicit-def: $sgpr46_sgpr47
.LBB196_152:                            ; =>This Inner Loop Header: Depth=1
	global_load_ubyte v19, v[16:17], off
	global_load_ubyte v22, v[20:21], off
	s_add_u32 s0, s48, -1
	s_addc_u32 s1, s49, -1
	s_cmp_eq_u64 s[48:49], 0
	s_mov_b64 s[48:49], s[0:1]
	s_cselect_b64 s[52:53], -1, 0
	v_lshl_add_u64 v[16:17], v[16:17], 0, 1
	v_lshl_add_u64 v[20:21], v[20:21], 0, 1
	s_waitcnt vmcnt(0)
	v_cmp_ne_u16_e64 s[0:1], v19, v22
	s_or_b64 s[0:1], s[0:1], s[52:53]
	s_and_b64 s[0:1], exec, s[0:1]
	v_cmp_eq_u16_e32 vcc, v19, v22
	s_or_b64 s[40:41], s[0:1], s[40:41]
	s_andn2_b64 s[0:1], s[46:47], exec
	s_and_b64 s[46:47], vcc, exec
	s_or_b64 s[46:47], s[0:1], s[46:47]
	s_andn2_b64 exec, exec, s[40:41]
	s_cbranch_execnz .LBB196_152
; %bb.153:
	s_or_b64 exec, exec, s[40:41]
	s_xor_b64 s[0:1], s[46:47], -1
.LBB196_154:
	s_and_b64 s[40:41], s[0:1], exec
.LBB196_155:
	s_or_b64 exec, exec, s[44:45]
	v_cndmask_b32_e64 v17, 0, 1, s[38:39]
	v_cndmask_b32_e64 v40, 0, 1, s[12:13]
	;; [unrolled: 1-line block ×4, first 2 shown]
	s_waitcnt vmcnt(0) lgkmcnt(1)
	v_cndmask_b32_e64 v20, 0, 1, s[14:15]
	v_cndmask_b32_e64 v42, 0, 1, s[40:41]
	v_mov_b32_e32 v16, 1
	s_waitcnt lgkmcnt(0)
	s_barrier
                                        ; implicit-def: $sgpr0_sgpr1
                                        ; implicit-def: $vgpr22
	s_and_saveexec_b64 s[4:5], s[2:3]
	s_cbranch_execz .LBB196_163
; %bb.156:
	v_lshlrev_b16_e32 v21, 8, v42
	v_lshlrev_b16_e32 v22, 8, v20
	v_or_b32_e32 v21, 1, v21
	v_or_b32_sdwa v22, v41, v22 dst_sel:WORD_1 dst_unused:UNUSED_PAD src0_sel:DWORD src1_sel:DWORD
	v_cmp_gt_u32_e32 vcc, s50, v1
	v_or_b32_sdwa v21, v21, v22 dst_sel:DWORD dst_unused:UNUSED_PAD src0_sel:WORD_0 src1_sel:DWORD
	s_mov_b32 s38, 0x3020104
	s_mov_b64 s[0:1], 0
	s_and_saveexec_b64 s[2:3], vcc
	s_cbranch_execz .LBB196_162
; %bb.157:
	s_andn2_b64 vcc, exec, s[6:7]
	s_cbranch_vccnz .LBB196_161
; %bb.158:
	v_add_u32_e32 v22, -8, v26
	ds_read_b64 v[22:23], v22
	v_mov_b64_e32 v[24:25], s[28:29]
	s_add_u32 s14, s26, -1
	s_addc_u32 s15, s27, -1
	s_mov_b64 s[6:7], 0
	s_waitcnt lgkmcnt(0)
	v_mul_lo_u32 v26, v22, s27
	v_mul_lo_u32 v27, v23, s26
	v_mad_u64_u32 v[22:23], s[0:1], v22, s26, v[24:25]
	v_add3_u32 v23, v27, v23, v26
	v_mad_u64_u32 v[24:25], s[0:1], v10, s26, v[24:25]
	v_mul_lo_u32 v26, v10, s27
	v_mul_lo_u32 v27, v11, s26
	v_add3_u32 v25, v27, v25, v26
                                        ; implicit-def: $sgpr12_sgpr13
.LBB196_159:                            ; =>This Inner Loop Header: Depth=1
	global_load_ubyte v26, v[22:23], off
	global_load_ubyte v27, v[24:25], off
	s_add_u32 s0, s14, -1
	s_addc_u32 s1, s15, -1
	s_cmp_eq_u64 s[14:15], 0
	s_mov_b64 s[14:15], s[0:1]
	s_cselect_b64 s[26:27], -1, 0
	v_lshl_add_u64 v[22:23], v[22:23], 0, 1
	v_lshl_add_u64 v[24:25], v[24:25], 0, 1
	s_waitcnt vmcnt(0)
	v_cmp_ne_u16_e64 s[0:1], v26, v27
	s_or_b64 s[0:1], s[0:1], s[26:27]
	s_and_b64 s[0:1], exec, s[0:1]
	v_cmp_eq_u16_e32 vcc, v26, v27
	s_or_b64 s[6:7], s[0:1], s[6:7]
	s_andn2_b64 s[0:1], s[12:13], exec
	s_and_b64 s[12:13], vcc, exec
	s_or_b64 s[12:13], s[0:1], s[12:13]
	s_andn2_b64 exec, exec, s[6:7]
	s_cbranch_execnz .LBB196_159
; %bb.160:
	s_or_b64 exec, exec, s[6:7]
	s_xor_b64 s[0:1], s[12:13], -1
.LBB196_161:
	s_and_b64 s[0:1], s[0:1], exec
.LBB196_162:
	s_or_b64 exec, exec, s[2:3]
	v_perm_b32 v22, v21, v21, s38
	s_or_b64 s[10:11], s[10:11], exec
.LBB196_163:
	s_or_b64 exec, exec, s[4:5]
.LBB196_164:
	s_and_saveexec_b64 s[2:3], s[10:11]
	s_cbranch_execz .LBB196_166
; %bb.165:
	s_waitcnt vmcnt(0) lgkmcnt(0)
	v_lshrrev_b32_e32 v20, 24, v22
	v_lshrrev_b32_e32 v41, 16, v22
	;; [unrolled: 1-line block ×3, first 2 shown]
	v_cndmask_b32_e64 v16, 0, 1, s[0:1]
.LBB196_166:
	s_or_b64 exec, exec, s[2:3]
	s_andn2_b64 vcc, exec, s[8:9]
	s_cbranch_vccnz .LBB196_170
; %bb.167:
	s_mov_b32 s0, 0xc0c0004
	s_waitcnt vmcnt(0) lgkmcnt(0)
	v_perm_b32 v20, v41, v20, s0
	v_perm_b32 v16, v16, v42, s0
	v_lshlrev_b32_e32 v20, 16, v20
	v_or_b32_e32 v16, v16, v20
	v_cmp_gt_u32_e32 vcc, s50, v1
	v_add_u32_e32 v22, 1, v1
	v_perm_b32 v17, v17, v40, s0
	v_cndmask_b32_e32 v20, v20, v16, vcc
	v_and_b32_e32 v20, 0xffff00ff, v20
	v_cmp_gt_u32_e32 vcc, s50, v22
	v_add_u32_e32 v22, 2, v1
	s_mov_b32 s0, 0x40c0100
	v_cndmask_b32_e32 v20, v20, v16, vcc
	v_lshrrev_b32_e32 v23, 24, v20
	v_and_b32_e32 v19, 0xff, v19
	v_perm_b32 v20, v23, v20, s0
	v_cmp_gt_u32_e32 vcc, s50, v22
	v_lshlrev_b32_e32 v19, 16, v19
	v_add_u32_e32 v22, 3, v1
	v_cndmask_b32_e32 v20, v20, v16, vcc
	s_mov_b32 s0, 0xffff00
	v_or_b32_e32 v21, v17, v19
	v_and_b32_e32 v20, 0xffffff, v20
	v_cmp_gt_u32_e32 vcc, s50, v22
	v_bitop3_b32 v17, v17, s0, v19 bitop3:0xc8
	v_add_u32_e32 v19, 4, v1
	v_cndmask_b32_e32 v20, v20, v16, vcc
	v_cmp_gt_u32_e32 vcc, s50, v19
	v_add_u32_e32 v19, 5, v1
	v_cmp_gt_u32_e64 s[0:1], s50, v19
	v_cndmask_b32_e32 v17, v17, v21, vcc
	v_and_b32_e32 v17, 0xffff00ff, v17
	s_or_b64 vcc, s[0:1], vcc
	v_cndmask_b32_e64 v17, v17, v21, s[0:1]
	v_cndmask_b32_e32 v16, v20, v16, vcc
	v_add_u32_e32 v1, 6, v1
	v_lshrrev_b32_e32 v41, 16, v16
	v_lshrrev_b32_e32 v42, 8, v16
	v_lshrrev_b64 v[20:21], 24, v[16:17]
	v_lshrrev_b32_e32 v19, 16, v17
	v_lshrrev_b32_e32 v40, 8, v17
	v_cmp_le_u32_e32 vcc, s50, v1
	s_and_saveexec_b64 s[0:1], vcc
; %bb.168:
	v_mov_b32_e32 v19, 0
; %bb.169:
	s_or_b64 exec, exec, s[0:1]
.LBB196_170:
	v_and_b32_e32 v1, 0xff, v16
	s_waitcnt vmcnt(0) lgkmcnt(0)
	v_and_b32_e32 v21, 0xff, v42
	v_and_b32_e32 v33, 0xff, v41
	;; [unrolled: 1-line block ×4, first 2 shown]
	v_add3_u32 v23, v21, v1, v33
	v_and_b32_e32 v39, 0xff, v40
	v_and_b32_e32 v22, 0xff, v19
	v_add3_u32 v23, v23, v35, v37
	v_add3_u32 v45, v23, v39, v22
	v_mbcnt_lo_u32_b32 v22, -1, 0
	v_mbcnt_hi_u32_b32 v43, -1, v22
	v_and_b32_e32 v22, 15, v43
	v_cmp_eq_u32_e64 s[14:15], 0, v22
	v_cmp_lt_u32_e64 s[12:13], 1, v22
	v_cmp_lt_u32_e64 s[10:11], 3, v22
	;; [unrolled: 1-line block ×3, first 2 shown]
	v_and_b32_e32 v22, 16, v43
	v_cmp_eq_u32_e64 s[6:7], 0, v22
	v_or_b32_e32 v22, 63, v0
	v_cmp_lt_u32_e64 s[2:3], 31, v43
	v_lshrrev_b32_e32 v44, 6, v0
	v_cmp_eq_u32_e64 s[4:5], v0, v22
	s_and_b64 vcc, exec, s[16:17]
	s_barrier
	s_cbranch_vccz .LBB196_192
; %bb.171:
	v_mov_b32_dpp v22, v45 row_shr:1 row_mask:0xf bank_mask:0xf
	v_cndmask_b32_e64 v22, v22, 0, s[14:15]
	v_add_u32_e32 v22, v22, v45
	s_nop 1
	v_mov_b32_dpp v23, v22 row_shr:2 row_mask:0xf bank_mask:0xf
	v_cndmask_b32_e64 v23, 0, v23, s[12:13]
	v_add_u32_e32 v22, v22, v23
	s_nop 1
	;; [unrolled: 4-line block ×4, first 2 shown]
	v_mov_b32_dpp v23, v22 row_bcast:15 row_mask:0xf bank_mask:0xf
	v_cndmask_b32_e64 v23, v23, 0, s[6:7]
	v_add_u32_e32 v22, v22, v23
	s_nop 1
	v_mov_b32_dpp v23, v22 row_bcast:31 row_mask:0xf bank_mask:0xf
	v_cndmask_b32_e64 v23, 0, v23, s[2:3]
	v_add_u32_e32 v22, v22, v23
	s_and_saveexec_b64 s[0:1], s[4:5]
; %bb.172:
	v_lshlrev_b32_e32 v23, 2, v44
	ds_write_b32 v23, v22
; %bb.173:
	s_or_b64 exec, exec, s[0:1]
	v_cmp_gt_u32_e32 vcc, 8, v0
	s_waitcnt lgkmcnt(0)
	s_barrier
	s_and_saveexec_b64 s[0:1], vcc
	s_cbranch_execz .LBB196_175
; %bb.174:
	v_lshlrev_b32_e32 v23, 2, v0
	ds_read_b32 v24, v23
	v_and_b32_e32 v25, 7, v43
	v_cmp_ne_u32_e32 vcc, 0, v25
	s_waitcnt lgkmcnt(0)
	v_mov_b32_dpp v26, v24 row_shr:1 row_mask:0xf bank_mask:0xf
	v_cndmask_b32_e32 v26, 0, v26, vcc
	v_add_u32_e32 v24, v26, v24
	v_cmp_lt_u32_e32 vcc, 1, v25
	s_nop 0
	v_mov_b32_dpp v26, v24 row_shr:2 row_mask:0xf bank_mask:0xf
	v_cndmask_b32_e32 v26, 0, v26, vcc
	v_add_u32_e32 v24, v24, v26
	v_cmp_lt_u32_e32 vcc, 3, v25
	s_nop 0
	v_mov_b32_dpp v26, v24 row_shr:4 row_mask:0xf bank_mask:0xf
	v_cndmask_b32_e32 v25, 0, v26, vcc
	v_add_u32_e32 v24, v24, v25
	ds_write_b32 v23, v24
.LBB196_175:
	s_or_b64 exec, exec, s[0:1]
	v_cmp_gt_u32_e32 vcc, 64, v0
	v_cmp_lt_u32_e64 s[0:1], 63, v0
	s_waitcnt lgkmcnt(0)
	s_barrier
                                        ; implicit-def: $vgpr32
	s_and_saveexec_b64 s[16:17], s[0:1]
	s_cbranch_execz .LBB196_177
; %bb.176:
	v_lshl_add_u32 v23, v44, 2, -4
	ds_read_b32 v32, v23
	s_waitcnt lgkmcnt(0)
	v_add_u32_e32 v22, v32, v22
.LBB196_177:
	s_or_b64 exec, exec, s[16:17]
	v_subrev_co_u32_e64 v23, s[16:17], 1, v43
	v_and_b32_e32 v24, 64, v43
	v_cmp_lt_i32_e64 s[0:1], v23, v24
	s_nop 1
	v_cndmask_b32_e64 v23, v23, v43, s[0:1]
	v_lshlrev_b32_e32 v23, 2, v23
	ds_bpermute_b32 v34, v23, v22
	s_and_saveexec_b64 s[0:1], vcc
	s_cbranch_execz .LBB196_197
; %bb.178:
	v_mov_b32_e32 v29, 0
	ds_read_b32 v22, v29 offset:28
	s_and_saveexec_b64 s[26:27], s[16:17]
	s_cbranch_execz .LBB196_180
; %bb.179:
	s_add_i32 s28, s33, 64
	s_mov_b32 s29, 0
	s_lshl_b64 s[28:29], s[28:29], 3
	s_add_u32 s28, s30, s28
	v_mov_b32_e32 v23, 1
	s_addc_u32 s29, s31, s29
	s_waitcnt lgkmcnt(0)
	global_store_dwordx2 v29, v[22:23], s[28:29] sc1
.LBB196_180:
	s_or_b64 exec, exec, s[26:27]
	v_xad_u32 v24, v43, -1, s33
	v_add_u32_e32 v28, 64, v24
	v_lshl_add_u64 v[30:31], v[28:29], 3, s[30:31]
	global_load_dwordx2 v[26:27], v[30:31], off sc1
	s_waitcnt vmcnt(0)
	v_cmp_eq_u16_sdwa s[28:29], v27, v29 src0_sel:BYTE_0 src1_sel:DWORD
	s_and_saveexec_b64 s[26:27], s[28:29]
	s_cbranch_execz .LBB196_184
; %bb.181:
	s_mov_b64 s[28:29], 0
	v_mov_b32_e32 v23, 0
.LBB196_182:                            ; =>This Inner Loop Header: Depth=1
	global_load_dwordx2 v[26:27], v[30:31], off sc1
	s_waitcnt vmcnt(0)
	v_cmp_ne_u16_sdwa s[38:39], v27, v23 src0_sel:BYTE_0 src1_sel:DWORD
	s_or_b64 s[28:29], s[38:39], s[28:29]
	s_andn2_b64 exec, exec, s[28:29]
	s_cbranch_execnz .LBB196_182
; %bb.183:
	s_or_b64 exec, exec, s[28:29]
.LBB196_184:
	s_or_b64 exec, exec, s[26:27]
	v_and_b32_e32 v38, 63, v43
	v_mov_b32_e32 v36, 2
	v_cmp_ne_u32_e32 vcc, 63, v38
	v_cmp_eq_u16_sdwa s[26:27], v27, v36 src0_sel:BYTE_0 src1_sel:DWORD
	v_lshlrev_b64 v[28:29], v43, -1
	v_addc_co_u32_e32 v30, vcc, 0, v43, vcc
	v_and_b32_e32 v23, s27, v29
	v_lshlrev_b32_e32 v46, 2, v30
	v_or_b32_e32 v23, 0x80000000, v23
	ds_bpermute_b32 v30, v46, v26
	v_and_b32_e32 v25, s26, v28
	v_ffbl_b32_e32 v23, v23
	v_add_u32_e32 v23, 32, v23
	v_ffbl_b32_e32 v25, v25
	v_min_u32_e32 v23, v25, v23
	v_cmp_lt_u32_e32 vcc, v38, v23
	v_add_u32_e32 v48, 2, v38
	v_add_u32_e32 v50, 4, v38
	s_waitcnt lgkmcnt(0)
	v_cndmask_b32_e32 v25, 0, v30, vcc
	v_cmp_gt_u32_e32 vcc, 62, v38
	v_add_u32_e32 v25, v25, v26
	v_add_u32_e32 v52, 8, v38
	v_cndmask_b32_e64 v26, 0, 2, vcc
	v_add_lshl_u32 v47, v26, v43, 2
	ds_bpermute_b32 v26, v47, v25
	v_cmp_le_u32_e32 vcc, v48, v23
	v_add_u32_e32 v54, 16, v38
	v_add_u32_e32 v56, 32, v38
	s_waitcnt lgkmcnt(0)
	v_cndmask_b32_e32 v26, 0, v26, vcc
	v_cmp_gt_u32_e32 vcc, 60, v38
	v_add_u32_e32 v25, v25, v26
	s_nop 0
	v_cndmask_b32_e64 v26, 0, 4, vcc
	v_add_lshl_u32 v49, v26, v43, 2
	ds_bpermute_b32 v26, v49, v25
	v_cmp_le_u32_e32 vcc, v50, v23
	s_waitcnt lgkmcnt(0)
	s_nop 0
	v_cndmask_b32_e32 v26, 0, v26, vcc
	v_cmp_gt_u32_e32 vcc, 56, v38
	v_add_u32_e32 v25, v25, v26
	s_nop 0
	v_cndmask_b32_e64 v26, 0, 8, vcc
	v_add_lshl_u32 v51, v26, v43, 2
	ds_bpermute_b32 v26, v51, v25
	v_cmp_le_u32_e32 vcc, v52, v23
	s_waitcnt lgkmcnt(0)
	s_nop 0
	;; [unrolled: 10-line block ×3, first 2 shown]
	v_cndmask_b32_e32 v26, 0, v26, vcc
	v_add_u32_e32 v25, v25, v26
	v_mov_b32_e32 v26, 0x80
	v_lshl_or_b32 v55, v43, 2, v26
	ds_bpermute_b32 v26, v55, v25
	v_cmp_le_u32_e32 vcc, v56, v23
	s_waitcnt lgkmcnt(0)
	s_nop 0
	v_cndmask_b32_e32 v23, 0, v26, vcc
	v_add_u32_e32 v26, v25, v23
	v_mov_b32_e32 v25, 0
	s_branch .LBB196_187
.LBB196_185:                            ;   in Loop: Header=BB196_187 Depth=1
	s_or_b64 exec, exec, s[26:27]
	v_cmp_eq_u16_sdwa s[26:27], v27, v36 src0_sel:BYTE_0 src1_sel:DWORD
	ds_bpermute_b32 v57, v46, v26
	v_subrev_u32_e32 v24, 64, v24
	v_and_b32_e32 v30, s27, v29
	v_or_b32_e32 v30, 0x80000000, v30
	v_and_b32_e32 v31, s26, v28
	v_ffbl_b32_e32 v30, v30
	v_add_u32_e32 v30, 32, v30
	v_ffbl_b32_e32 v31, v31
	v_min_u32_e32 v30, v31, v30
	v_cmp_lt_u32_e32 vcc, v38, v30
	s_mov_b64 s[26:27], 0
	s_waitcnt lgkmcnt(0)
	v_cndmask_b32_e32 v31, 0, v57, vcc
	v_add_u32_e32 v26, v31, v26
	ds_bpermute_b32 v31, v47, v26
	v_cmp_le_u32_e32 vcc, v48, v30
	s_waitcnt lgkmcnt(0)
	s_nop 0
	v_cndmask_b32_e32 v31, 0, v31, vcc
	v_add_u32_e32 v26, v26, v31
	ds_bpermute_b32 v31, v49, v26
	v_cmp_le_u32_e32 vcc, v50, v30
	s_waitcnt lgkmcnt(0)
	s_nop 0
	;; [unrolled: 6-line block ×5, first 2 shown]
	v_cndmask_b32_e32 v30, 0, v31, vcc
	v_add3_u32 v26, v30, v23, v26
.LBB196_186:                            ;   in Loop: Header=BB196_187 Depth=1
	s_and_b64 vcc, exec, s[26:27]
	s_cbranch_vccnz .LBB196_193
.LBB196_187:                            ; =>This Loop Header: Depth=1
                                        ;     Child Loop BB196_190 Depth 2
	v_cmp_ne_u16_sdwa s[26:27], v27, v36 src0_sel:BYTE_0 src1_sel:DWORD
	v_mov_b32_e32 v23, v26
	s_cmp_lg_u64 s[26:27], exec
	s_mov_b64 s[26:27], -1
                                        ; implicit-def: $vgpr26
                                        ; implicit-def: $vgpr27
	s_cbranch_scc1 .LBB196_186
; %bb.188:                              ;   in Loop: Header=BB196_187 Depth=1
	v_lshl_add_u64 v[30:31], v[24:25], 3, s[30:31]
	global_load_dwordx2 v[26:27], v[30:31], off sc1
	s_waitcnt vmcnt(0)
	v_cmp_eq_u16_sdwa s[28:29], v27, v25 src0_sel:BYTE_0 src1_sel:DWORD
	s_and_saveexec_b64 s[26:27], s[28:29]
	s_cbranch_execz .LBB196_185
; %bb.189:                              ;   in Loop: Header=BB196_187 Depth=1
	s_mov_b64 s[28:29], 0
.LBB196_190:                            ;   Parent Loop BB196_187 Depth=1
                                        ; =>  This Inner Loop Header: Depth=2
	global_load_dwordx2 v[26:27], v[30:31], off sc1
	s_waitcnt vmcnt(0)
	v_cmp_ne_u16_sdwa s[38:39], v27, v25 src0_sel:BYTE_0 src1_sel:DWORD
	s_or_b64 s[28:29], s[38:39], s[28:29]
	s_andn2_b64 exec, exec, s[28:29]
	s_cbranch_execnz .LBB196_190
; %bb.191:                              ;   in Loop: Header=BB196_187 Depth=1
	s_or_b64 exec, exec, s[28:29]
	s_branch .LBB196_185
.LBB196_192:
                                        ; implicit-def: $vgpr26
                                        ; implicit-def: $vgpr28
                                        ; implicit-def: $vgpr30
                                        ; implicit-def: $vgpr32
                                        ; implicit-def: $vgpr34
                                        ; implicit-def: $vgpr36
                                        ; implicit-def: $vgpr38
                                        ; implicit-def: $vgpr24
                                        ; implicit-def: $vgpr22
	s_cbranch_execnz .LBB196_198
	s_branch .LBB196_207
.LBB196_193:
	s_and_saveexec_b64 s[26:27], s[16:17]
	s_cbranch_execz .LBB196_195
; %bb.194:
	s_add_i32 s28, s33, 64
	s_mov_b32 s29, 0
	s_lshl_b64 s[28:29], s[28:29], 3
	s_add_u32 s28, s30, s28
	v_add_u32_e32 v24, v23, v22
	v_mov_b32_e32 v25, 2
	s_addc_u32 s29, s31, s29
	v_mov_b32_e32 v26, 0
	global_store_dwordx2 v26, v[24:25], s[28:29] sc1
	ds_write_b64 v26, v[22:23] offset:28672
.LBB196_195:
	s_or_b64 exec, exec, s[26:27]
	s_and_b64 exec, exec, s[18:19]
; %bb.196:
	v_mov_b32_e32 v22, 0
	ds_write_b32 v22, v23 offset:28
.LBB196_197:
	s_or_b64 exec, exec, s[0:1]
	v_mov_b32_e32 v22, 0
	s_waitcnt lgkmcnt(0)
	s_barrier
	ds_read_b32 v23, v22 offset:28
	v_cndmask_b32_e64 v24, v34, v32, s[16:17]
	v_cndmask_b32_e64 v24, v24, 0, s[18:19]
	s_waitcnt lgkmcnt(0)
	s_barrier
	v_add_u32_e32 v38, v23, v24
	v_add_u32_e32 v36, v38, v1
	ds_read_b64 v[22:23], v22 offset:28672
	v_add_u32_e32 v34, v36, v21
	v_add_u32_e32 v32, v34, v33
	;; [unrolled: 1-line block ×5, first 2 shown]
	s_waitcnt lgkmcnt(0)
	v_mov_b32_e32 v24, v23
	s_branch .LBB196_207
.LBB196_198:
	v_mov_b32_dpp v22, v45 row_shr:1 row_mask:0xf bank_mask:0xf
	v_cndmask_b32_e64 v22, v22, 0, s[14:15]
	v_add_u32_e32 v22, v22, v45
	s_nop 1
	v_mov_b32_dpp v23, v22 row_shr:2 row_mask:0xf bank_mask:0xf
	v_cndmask_b32_e64 v23, 0, v23, s[12:13]
	v_add_u32_e32 v22, v22, v23
	s_nop 1
	;; [unrolled: 4-line block ×4, first 2 shown]
	v_mov_b32_dpp v23, v22 row_bcast:15 row_mask:0xf bank_mask:0xf
	v_cndmask_b32_e64 v23, v23, 0, s[6:7]
	v_add_u32_e32 v22, v22, v23
	s_nop 1
	v_mov_b32_dpp v23, v22 row_bcast:31 row_mask:0xf bank_mask:0xf
	v_cndmask_b32_e64 v23, 0, v23, s[2:3]
	v_add_u32_e32 v22, v22, v23
	s_and_saveexec_b64 s[0:1], s[4:5]
; %bb.199:
	v_lshlrev_b32_e32 v23, 2, v44
	ds_write_b32 v23, v22
; %bb.200:
	s_or_b64 exec, exec, s[0:1]
	v_cmp_gt_u32_e32 vcc, 8, v0
	s_waitcnt lgkmcnt(0)
	s_barrier
	s_and_saveexec_b64 s[0:1], vcc
	s_cbranch_execz .LBB196_202
; %bb.201:
	v_lshlrev_b32_e32 v23, 2, v0
	ds_read_b32 v24, v23
	v_and_b32_e32 v25, 7, v43
	v_cmp_ne_u32_e32 vcc, 0, v25
	s_waitcnt lgkmcnt(0)
	v_mov_b32_dpp v26, v24 row_shr:1 row_mask:0xf bank_mask:0xf
	v_cndmask_b32_e32 v26, 0, v26, vcc
	v_add_u32_e32 v24, v26, v24
	v_cmp_lt_u32_e32 vcc, 1, v25
	s_nop 0
	v_mov_b32_dpp v26, v24 row_shr:2 row_mask:0xf bank_mask:0xf
	v_cndmask_b32_e32 v26, 0, v26, vcc
	v_add_u32_e32 v24, v24, v26
	v_cmp_lt_u32_e32 vcc, 3, v25
	s_nop 0
	v_mov_b32_dpp v26, v24 row_shr:4 row_mask:0xf bank_mask:0xf
	v_cndmask_b32_e32 v25, 0, v26, vcc
	v_add_u32_e32 v24, v24, v25
	ds_write_b32 v23, v24
.LBB196_202:
	s_or_b64 exec, exec, s[0:1]
	v_cmp_lt_u32_e32 vcc, 63, v0
	v_mov_b32_e32 v23, 0
	v_mov_b32_e32 v24, 0
	s_waitcnt lgkmcnt(0)
	s_barrier
	s_and_saveexec_b64 s[0:1], vcc
; %bb.203:
	v_lshl_add_u32 v24, v44, 2, -4
	ds_read_b32 v24, v24
; %bb.204:
	s_or_b64 exec, exec, s[0:1]
	v_subrev_co_u32_e32 v25, vcc, 1, v43
	v_and_b32_e32 v26, 64, v43
	v_cmp_lt_i32_e64 s[0:1], v25, v26
	s_waitcnt lgkmcnt(0)
	v_add_u32_e32 v22, v24, v22
	v_cndmask_b32_e64 v25, v25, v43, s[0:1]
	v_lshlrev_b32_e32 v25, 2, v25
	ds_bpermute_b32 v25, v25, v22
	ds_read_b32 v22, v23 offset:28
	s_and_saveexec_b64 s[0:1], s[18:19]
	s_cbranch_execz .LBB196_206
; %bb.205:
	v_mov_b32_e32 v26, 0
	v_mov_b32_e32 v23, 2
	s_waitcnt lgkmcnt(0)
	global_store_dwordx2 v26, v[22:23], s[30:31] offset:512 sc1
.LBB196_206:
	s_or_b64 exec, exec, s[0:1]
	s_waitcnt lgkmcnt(1)
	v_cndmask_b32_e32 v23, v25, v24, vcc
	v_cndmask_b32_e64 v38, v23, 0, s[18:19]
	v_add_u32_e32 v36, v38, v1
	v_add_u32_e32 v34, v36, v21
	;; [unrolled: 1-line block ×6, first 2 shown]
	s_waitcnt lgkmcnt(0)
	s_barrier
	v_mov_b32_e32 v24, 0
.LBB196_207:
	s_movk_i32 s0, 0x201
	v_cmp_gt_u32_e32 vcc, s0, v22
	v_and_b32_e32 v1, 1, v16
	s_mov_b64 s[2:3], -1
	v_cmp_eq_u32_e64 s[0:1], 1, v1
	s_cbranch_vccnz .LBB196_211
; %bb.208:
	s_and_b64 vcc, exec, s[2:3]
	s_cbranch_vccnz .LBB196_226
.LBB196_209:
	s_and_b64 s[0:1], s[18:19], s[24:25]
	s_and_saveexec_b64 s[2:3], s[0:1]
	s_cbranch_execnz .LBB196_243
.LBB196_210:
	s_endpgm
.LBB196_211:
	v_add_u32_e32 v16, v24, v22
	v_cmp_lt_u32_e32 vcc, v38, v16
	s_or_b64 s[2:3], s[36:37], vcc
	s_and_b64 s[2:3], s[2:3], s[0:1]
	s_and_saveexec_b64 s[0:1], s[2:3]
	s_cbranch_execz .LBB196_213
; %bb.212:
	s_lshl_b64 s[2:3], s[22:23], 3
	s_add_u32 s2, s34, s2
	s_addc_u32 s3, s35, s3
	v_mov_b32_e32 v39, 0
	v_lshl_add_u64 v[44:45], v[38:39], 3, s[2:3]
	global_store_dwordx2 v[44:45], v[10:11], off
.LBB196_213:
	s_or_b64 exec, exec, s[0:1]
	v_cmp_lt_u32_e32 vcc, v36, v16
	v_and_b32_e32 v21, 1, v42
	s_or_b64 s[0:1], s[36:37], vcc
	v_cmp_eq_u32_e32 vcc, 1, v21
	s_and_b64 s[2:3], s[0:1], vcc
	s_and_saveexec_b64 s[0:1], s[2:3]
	s_cbranch_execz .LBB196_215
; %bb.214:
	s_lshl_b64 s[2:3], s[22:23], 3
	s_add_u32 s2, s34, s2
	s_addc_u32 s3, s35, s3
	v_mov_b32_e32 v37, 0
	v_lshl_add_u64 v[44:45], v[36:37], 3, s[2:3]
	global_store_dwordx2 v[44:45], v[12:13], off
.LBB196_215:
	s_or_b64 exec, exec, s[0:1]
	v_cmp_lt_u32_e32 vcc, v34, v16
	v_and_b32_e32 v21, 1, v41
	s_or_b64 s[0:1], s[36:37], vcc
	v_cmp_eq_u32_e32 vcc, 1, v21
	s_and_b64 s[2:3], s[0:1], vcc
	;; [unrolled: 16-line block ×6, first 2 shown]
	s_and_saveexec_b64 s[0:1], s[2:3]
	s_cbranch_execz .LBB196_225
; %bb.224:
	s_lshl_b64 s[2:3], s[22:23], 3
	s_add_u32 s2, s34, s2
	s_addc_u32 s3, s35, s3
	v_mov_b32_e32 v27, 0
	v_lshl_add_u64 v[44:45], v[26:27], 3, s[2:3]
	global_store_dwordx2 v[44:45], v[14:15], off
.LBB196_225:
	s_or_b64 exec, exec, s[0:1]
	s_branch .LBB196_209
.LBB196_226:
	v_cmp_eq_u32_e32 vcc, 1, v1
	s_and_saveexec_b64 s[0:1], vcc
; %bb.227:
	v_sub_u32_e32 v1, v38, v24
	v_lshlrev_b32_e32 v1, 3, v1
	ds_write_b64 v1, v[10:11]
; %bb.228:
	s_or_b64 exec, exec, s[0:1]
	v_and_b32_e32 v1, 1, v42
	v_cmp_eq_u32_e32 vcc, 1, v1
	s_and_saveexec_b64 s[0:1], vcc
; %bb.229:
	v_sub_u32_e32 v1, v36, v24
	v_lshlrev_b32_e32 v1, 3, v1
	ds_write_b64 v1, v[12:13]
; %bb.230:
	s_or_b64 exec, exec, s[0:1]
	v_and_b32_e32 v1, 1, v41
	;; [unrolled: 9-line block ×6, first 2 shown]
	v_cmp_eq_u32_e32 vcc, 1, v1
	s_and_saveexec_b64 s[0:1], vcc
; %bb.239:
	v_sub_u32_e32 v1, v26, v24
	v_lshlrev_b32_e32 v1, 3, v1
	ds_write_b64 v1, v[14:15]
; %bb.240:
	s_or_b64 exec, exec, s[0:1]
	v_mov_b32_e32 v25, 0
	s_lshl_b64 s[0:1], s[22:23], 3
	v_lshlrev_b64 v[2:3], 3, v[24:25]
	v_lshl_add_u64 v[2:3], s[0:1], 0, v[2:3]
	v_mov_b32_e32 v19, v25
	v_lshl_add_u64 v[2:3], s[34:35], 0, v[2:3]
	v_lshl_add_u64 v[2:3], v[2:3], 0, v[18:19]
	s_mov_b64 s[0:1], 0
	s_mov_b64 s[2:3], 0x1000
	s_waitcnt lgkmcnt(0)
	s_barrier
.LBB196_241:                            ; =>This Inner Loop Header: Depth=1
	ds_read_b64 v[4:5], v18
	v_add_u32_e32 v0, 0x200, v0
	v_cmp_ge_u32_e32 vcc, v0, v22
	v_add_u32_e32 v18, 0x1000, v18
	s_or_b64 s[0:1], vcc, s[0:1]
	s_waitcnt lgkmcnt(0)
	global_store_dwordx2 v[2:3], v[4:5], off
	v_lshl_add_u64 v[2:3], v[2:3], 0, s[2:3]
	s_andn2_b64 exec, exec, s[0:1]
	s_cbranch_execnz .LBB196_241
; %bb.242:
	s_or_b64 exec, exec, s[0:1]
	s_and_b64 s[0:1], s[18:19], s[24:25]
	s_and_saveexec_b64 s[2:3], s[0:1]
	s_cbranch_execz .LBB196_210
.LBB196_243:
	v_mov_b32_e32 v23, 0
	v_lshl_add_u64 v[0:1], s[22:23], 0, v[22:23]
	v_mov_b32_e32 v25, v23
	v_lshl_add_u64 v[0:1], v[0:1], 0, v[24:25]
	global_store_dwordx2 v23, v[0:1], s[20:21]
	s_endpgm
	.section	.rodata,"a",@progbits
	.p2align	6, 0x0
	.amdhsa_kernel _ZN7rocprim17ROCPRIM_400000_NS6detail17trampoline_kernelINS0_14default_configENS1_25partition_config_selectorILNS1_17partition_subalgoE8ElNS0_10empty_typeEbEEZZNS1_14partition_implILS5_8ELb0ES3_jPlPS6_PKS6_NS0_5tupleIJS9_S6_EEENSD_IJSA_SA_EEENS0_18inequality_wrapperIZN2at6native12_GLOBAL__N_124unique_dim_cuda_templateIhEESt5tupleIJNSH_6TensorESM_SM_EERKSM_lbbbEUlllE0_EEPmJS6_EEE10hipError_tPvRmT3_T4_T5_T6_T7_T9_mT8_P12ihipStream_tbDpT10_ENKUlT_T0_E_clISt17integral_constantIbLb0EES1B_IbLb1EEEEDaS17_S18_EUlS17_E_NS1_11comp_targetILNS1_3genE0ELNS1_11target_archE4294967295ELNS1_3gpuE0ELNS1_3repE0EEENS1_30default_config_static_selectorELNS0_4arch9wavefront6targetE1EEEvT1_
		.amdhsa_group_segment_fixed_size 28680
		.amdhsa_private_segment_fixed_size 0
		.amdhsa_kernarg_size 136
		.amdhsa_user_sgpr_count 2
		.amdhsa_user_sgpr_dispatch_ptr 0
		.amdhsa_user_sgpr_queue_ptr 0
		.amdhsa_user_sgpr_kernarg_segment_ptr 1
		.amdhsa_user_sgpr_dispatch_id 0
		.amdhsa_user_sgpr_kernarg_preload_length 0
		.amdhsa_user_sgpr_kernarg_preload_offset 0
		.amdhsa_user_sgpr_private_segment_size 0
		.amdhsa_uses_dynamic_stack 0
		.amdhsa_enable_private_segment 0
		.amdhsa_system_sgpr_workgroup_id_x 1
		.amdhsa_system_sgpr_workgroup_id_y 0
		.amdhsa_system_sgpr_workgroup_id_z 0
		.amdhsa_system_sgpr_workgroup_info 0
		.amdhsa_system_vgpr_workitem_id 0
		.amdhsa_next_free_vgpr 58
		.amdhsa_next_free_sgpr 54
		.amdhsa_accum_offset 60
		.amdhsa_reserve_vcc 1
		.amdhsa_float_round_mode_32 0
		.amdhsa_float_round_mode_16_64 0
		.amdhsa_float_denorm_mode_32 3
		.amdhsa_float_denorm_mode_16_64 3
		.amdhsa_dx10_clamp 1
		.amdhsa_ieee_mode 1
		.amdhsa_fp16_overflow 0
		.amdhsa_tg_split 0
		.amdhsa_exception_fp_ieee_invalid_op 0
		.amdhsa_exception_fp_denorm_src 0
		.amdhsa_exception_fp_ieee_div_zero 0
		.amdhsa_exception_fp_ieee_overflow 0
		.amdhsa_exception_fp_ieee_underflow 0
		.amdhsa_exception_fp_ieee_inexact 0
		.amdhsa_exception_int_div_zero 0
	.end_amdhsa_kernel
	.section	.text._ZN7rocprim17ROCPRIM_400000_NS6detail17trampoline_kernelINS0_14default_configENS1_25partition_config_selectorILNS1_17partition_subalgoE8ElNS0_10empty_typeEbEEZZNS1_14partition_implILS5_8ELb0ES3_jPlPS6_PKS6_NS0_5tupleIJS9_S6_EEENSD_IJSA_SA_EEENS0_18inequality_wrapperIZN2at6native12_GLOBAL__N_124unique_dim_cuda_templateIhEESt5tupleIJNSH_6TensorESM_SM_EERKSM_lbbbEUlllE0_EEPmJS6_EEE10hipError_tPvRmT3_T4_T5_T6_T7_T9_mT8_P12ihipStream_tbDpT10_ENKUlT_T0_E_clISt17integral_constantIbLb0EES1B_IbLb1EEEEDaS17_S18_EUlS17_E_NS1_11comp_targetILNS1_3genE0ELNS1_11target_archE4294967295ELNS1_3gpuE0ELNS1_3repE0EEENS1_30default_config_static_selectorELNS0_4arch9wavefront6targetE1EEEvT1_,"axG",@progbits,_ZN7rocprim17ROCPRIM_400000_NS6detail17trampoline_kernelINS0_14default_configENS1_25partition_config_selectorILNS1_17partition_subalgoE8ElNS0_10empty_typeEbEEZZNS1_14partition_implILS5_8ELb0ES3_jPlPS6_PKS6_NS0_5tupleIJS9_S6_EEENSD_IJSA_SA_EEENS0_18inequality_wrapperIZN2at6native12_GLOBAL__N_124unique_dim_cuda_templateIhEESt5tupleIJNSH_6TensorESM_SM_EERKSM_lbbbEUlllE0_EEPmJS6_EEE10hipError_tPvRmT3_T4_T5_T6_T7_T9_mT8_P12ihipStream_tbDpT10_ENKUlT_T0_E_clISt17integral_constantIbLb0EES1B_IbLb1EEEEDaS17_S18_EUlS17_E_NS1_11comp_targetILNS1_3genE0ELNS1_11target_archE4294967295ELNS1_3gpuE0ELNS1_3repE0EEENS1_30default_config_static_selectorELNS0_4arch9wavefront6targetE1EEEvT1_,comdat
.Lfunc_end196:
	.size	_ZN7rocprim17ROCPRIM_400000_NS6detail17trampoline_kernelINS0_14default_configENS1_25partition_config_selectorILNS1_17partition_subalgoE8ElNS0_10empty_typeEbEEZZNS1_14partition_implILS5_8ELb0ES3_jPlPS6_PKS6_NS0_5tupleIJS9_S6_EEENSD_IJSA_SA_EEENS0_18inequality_wrapperIZN2at6native12_GLOBAL__N_124unique_dim_cuda_templateIhEESt5tupleIJNSH_6TensorESM_SM_EERKSM_lbbbEUlllE0_EEPmJS6_EEE10hipError_tPvRmT3_T4_T5_T6_T7_T9_mT8_P12ihipStream_tbDpT10_ENKUlT_T0_E_clISt17integral_constantIbLb0EES1B_IbLb1EEEEDaS17_S18_EUlS17_E_NS1_11comp_targetILNS1_3genE0ELNS1_11target_archE4294967295ELNS1_3gpuE0ELNS1_3repE0EEENS1_30default_config_static_selectorELNS0_4arch9wavefront6targetE1EEEvT1_, .Lfunc_end196-_ZN7rocprim17ROCPRIM_400000_NS6detail17trampoline_kernelINS0_14default_configENS1_25partition_config_selectorILNS1_17partition_subalgoE8ElNS0_10empty_typeEbEEZZNS1_14partition_implILS5_8ELb0ES3_jPlPS6_PKS6_NS0_5tupleIJS9_S6_EEENSD_IJSA_SA_EEENS0_18inequality_wrapperIZN2at6native12_GLOBAL__N_124unique_dim_cuda_templateIhEESt5tupleIJNSH_6TensorESM_SM_EERKSM_lbbbEUlllE0_EEPmJS6_EEE10hipError_tPvRmT3_T4_T5_T6_T7_T9_mT8_P12ihipStream_tbDpT10_ENKUlT_T0_E_clISt17integral_constantIbLb0EES1B_IbLb1EEEEDaS17_S18_EUlS17_E_NS1_11comp_targetILNS1_3genE0ELNS1_11target_archE4294967295ELNS1_3gpuE0ELNS1_3repE0EEENS1_30default_config_static_selectorELNS0_4arch9wavefront6targetE1EEEvT1_
                                        ; -- End function
	.set _ZN7rocprim17ROCPRIM_400000_NS6detail17trampoline_kernelINS0_14default_configENS1_25partition_config_selectorILNS1_17partition_subalgoE8ElNS0_10empty_typeEbEEZZNS1_14partition_implILS5_8ELb0ES3_jPlPS6_PKS6_NS0_5tupleIJS9_S6_EEENSD_IJSA_SA_EEENS0_18inequality_wrapperIZN2at6native12_GLOBAL__N_124unique_dim_cuda_templateIhEESt5tupleIJNSH_6TensorESM_SM_EERKSM_lbbbEUlllE0_EEPmJS6_EEE10hipError_tPvRmT3_T4_T5_T6_T7_T9_mT8_P12ihipStream_tbDpT10_ENKUlT_T0_E_clISt17integral_constantIbLb0EES1B_IbLb1EEEEDaS17_S18_EUlS17_E_NS1_11comp_targetILNS1_3genE0ELNS1_11target_archE4294967295ELNS1_3gpuE0ELNS1_3repE0EEENS1_30default_config_static_selectorELNS0_4arch9wavefront6targetE1EEEvT1_.num_vgpr, 58
	.set _ZN7rocprim17ROCPRIM_400000_NS6detail17trampoline_kernelINS0_14default_configENS1_25partition_config_selectorILNS1_17partition_subalgoE8ElNS0_10empty_typeEbEEZZNS1_14partition_implILS5_8ELb0ES3_jPlPS6_PKS6_NS0_5tupleIJS9_S6_EEENSD_IJSA_SA_EEENS0_18inequality_wrapperIZN2at6native12_GLOBAL__N_124unique_dim_cuda_templateIhEESt5tupleIJNSH_6TensorESM_SM_EERKSM_lbbbEUlllE0_EEPmJS6_EEE10hipError_tPvRmT3_T4_T5_T6_T7_T9_mT8_P12ihipStream_tbDpT10_ENKUlT_T0_E_clISt17integral_constantIbLb0EES1B_IbLb1EEEEDaS17_S18_EUlS17_E_NS1_11comp_targetILNS1_3genE0ELNS1_11target_archE4294967295ELNS1_3gpuE0ELNS1_3repE0EEENS1_30default_config_static_selectorELNS0_4arch9wavefront6targetE1EEEvT1_.num_agpr, 0
	.set _ZN7rocprim17ROCPRIM_400000_NS6detail17trampoline_kernelINS0_14default_configENS1_25partition_config_selectorILNS1_17partition_subalgoE8ElNS0_10empty_typeEbEEZZNS1_14partition_implILS5_8ELb0ES3_jPlPS6_PKS6_NS0_5tupleIJS9_S6_EEENSD_IJSA_SA_EEENS0_18inequality_wrapperIZN2at6native12_GLOBAL__N_124unique_dim_cuda_templateIhEESt5tupleIJNSH_6TensorESM_SM_EERKSM_lbbbEUlllE0_EEPmJS6_EEE10hipError_tPvRmT3_T4_T5_T6_T7_T9_mT8_P12ihipStream_tbDpT10_ENKUlT_T0_E_clISt17integral_constantIbLb0EES1B_IbLb1EEEEDaS17_S18_EUlS17_E_NS1_11comp_targetILNS1_3genE0ELNS1_11target_archE4294967295ELNS1_3gpuE0ELNS1_3repE0EEENS1_30default_config_static_selectorELNS0_4arch9wavefront6targetE1EEEvT1_.numbered_sgpr, 54
	.set _ZN7rocprim17ROCPRIM_400000_NS6detail17trampoline_kernelINS0_14default_configENS1_25partition_config_selectorILNS1_17partition_subalgoE8ElNS0_10empty_typeEbEEZZNS1_14partition_implILS5_8ELb0ES3_jPlPS6_PKS6_NS0_5tupleIJS9_S6_EEENSD_IJSA_SA_EEENS0_18inequality_wrapperIZN2at6native12_GLOBAL__N_124unique_dim_cuda_templateIhEESt5tupleIJNSH_6TensorESM_SM_EERKSM_lbbbEUlllE0_EEPmJS6_EEE10hipError_tPvRmT3_T4_T5_T6_T7_T9_mT8_P12ihipStream_tbDpT10_ENKUlT_T0_E_clISt17integral_constantIbLb0EES1B_IbLb1EEEEDaS17_S18_EUlS17_E_NS1_11comp_targetILNS1_3genE0ELNS1_11target_archE4294967295ELNS1_3gpuE0ELNS1_3repE0EEENS1_30default_config_static_selectorELNS0_4arch9wavefront6targetE1EEEvT1_.num_named_barrier, 0
	.set _ZN7rocprim17ROCPRIM_400000_NS6detail17trampoline_kernelINS0_14default_configENS1_25partition_config_selectorILNS1_17partition_subalgoE8ElNS0_10empty_typeEbEEZZNS1_14partition_implILS5_8ELb0ES3_jPlPS6_PKS6_NS0_5tupleIJS9_S6_EEENSD_IJSA_SA_EEENS0_18inequality_wrapperIZN2at6native12_GLOBAL__N_124unique_dim_cuda_templateIhEESt5tupleIJNSH_6TensorESM_SM_EERKSM_lbbbEUlllE0_EEPmJS6_EEE10hipError_tPvRmT3_T4_T5_T6_T7_T9_mT8_P12ihipStream_tbDpT10_ENKUlT_T0_E_clISt17integral_constantIbLb0EES1B_IbLb1EEEEDaS17_S18_EUlS17_E_NS1_11comp_targetILNS1_3genE0ELNS1_11target_archE4294967295ELNS1_3gpuE0ELNS1_3repE0EEENS1_30default_config_static_selectorELNS0_4arch9wavefront6targetE1EEEvT1_.private_seg_size, 0
	.set _ZN7rocprim17ROCPRIM_400000_NS6detail17trampoline_kernelINS0_14default_configENS1_25partition_config_selectorILNS1_17partition_subalgoE8ElNS0_10empty_typeEbEEZZNS1_14partition_implILS5_8ELb0ES3_jPlPS6_PKS6_NS0_5tupleIJS9_S6_EEENSD_IJSA_SA_EEENS0_18inequality_wrapperIZN2at6native12_GLOBAL__N_124unique_dim_cuda_templateIhEESt5tupleIJNSH_6TensorESM_SM_EERKSM_lbbbEUlllE0_EEPmJS6_EEE10hipError_tPvRmT3_T4_T5_T6_T7_T9_mT8_P12ihipStream_tbDpT10_ENKUlT_T0_E_clISt17integral_constantIbLb0EES1B_IbLb1EEEEDaS17_S18_EUlS17_E_NS1_11comp_targetILNS1_3genE0ELNS1_11target_archE4294967295ELNS1_3gpuE0ELNS1_3repE0EEENS1_30default_config_static_selectorELNS0_4arch9wavefront6targetE1EEEvT1_.uses_vcc, 1
	.set _ZN7rocprim17ROCPRIM_400000_NS6detail17trampoline_kernelINS0_14default_configENS1_25partition_config_selectorILNS1_17partition_subalgoE8ElNS0_10empty_typeEbEEZZNS1_14partition_implILS5_8ELb0ES3_jPlPS6_PKS6_NS0_5tupleIJS9_S6_EEENSD_IJSA_SA_EEENS0_18inequality_wrapperIZN2at6native12_GLOBAL__N_124unique_dim_cuda_templateIhEESt5tupleIJNSH_6TensorESM_SM_EERKSM_lbbbEUlllE0_EEPmJS6_EEE10hipError_tPvRmT3_T4_T5_T6_T7_T9_mT8_P12ihipStream_tbDpT10_ENKUlT_T0_E_clISt17integral_constantIbLb0EES1B_IbLb1EEEEDaS17_S18_EUlS17_E_NS1_11comp_targetILNS1_3genE0ELNS1_11target_archE4294967295ELNS1_3gpuE0ELNS1_3repE0EEENS1_30default_config_static_selectorELNS0_4arch9wavefront6targetE1EEEvT1_.uses_flat_scratch, 0
	.set _ZN7rocprim17ROCPRIM_400000_NS6detail17trampoline_kernelINS0_14default_configENS1_25partition_config_selectorILNS1_17partition_subalgoE8ElNS0_10empty_typeEbEEZZNS1_14partition_implILS5_8ELb0ES3_jPlPS6_PKS6_NS0_5tupleIJS9_S6_EEENSD_IJSA_SA_EEENS0_18inequality_wrapperIZN2at6native12_GLOBAL__N_124unique_dim_cuda_templateIhEESt5tupleIJNSH_6TensorESM_SM_EERKSM_lbbbEUlllE0_EEPmJS6_EEE10hipError_tPvRmT3_T4_T5_T6_T7_T9_mT8_P12ihipStream_tbDpT10_ENKUlT_T0_E_clISt17integral_constantIbLb0EES1B_IbLb1EEEEDaS17_S18_EUlS17_E_NS1_11comp_targetILNS1_3genE0ELNS1_11target_archE4294967295ELNS1_3gpuE0ELNS1_3repE0EEENS1_30default_config_static_selectorELNS0_4arch9wavefront6targetE1EEEvT1_.has_dyn_sized_stack, 0
	.set _ZN7rocprim17ROCPRIM_400000_NS6detail17trampoline_kernelINS0_14default_configENS1_25partition_config_selectorILNS1_17partition_subalgoE8ElNS0_10empty_typeEbEEZZNS1_14partition_implILS5_8ELb0ES3_jPlPS6_PKS6_NS0_5tupleIJS9_S6_EEENSD_IJSA_SA_EEENS0_18inequality_wrapperIZN2at6native12_GLOBAL__N_124unique_dim_cuda_templateIhEESt5tupleIJNSH_6TensorESM_SM_EERKSM_lbbbEUlllE0_EEPmJS6_EEE10hipError_tPvRmT3_T4_T5_T6_T7_T9_mT8_P12ihipStream_tbDpT10_ENKUlT_T0_E_clISt17integral_constantIbLb0EES1B_IbLb1EEEEDaS17_S18_EUlS17_E_NS1_11comp_targetILNS1_3genE0ELNS1_11target_archE4294967295ELNS1_3gpuE0ELNS1_3repE0EEENS1_30default_config_static_selectorELNS0_4arch9wavefront6targetE1EEEvT1_.has_recursion, 0
	.set _ZN7rocprim17ROCPRIM_400000_NS6detail17trampoline_kernelINS0_14default_configENS1_25partition_config_selectorILNS1_17partition_subalgoE8ElNS0_10empty_typeEbEEZZNS1_14partition_implILS5_8ELb0ES3_jPlPS6_PKS6_NS0_5tupleIJS9_S6_EEENSD_IJSA_SA_EEENS0_18inequality_wrapperIZN2at6native12_GLOBAL__N_124unique_dim_cuda_templateIhEESt5tupleIJNSH_6TensorESM_SM_EERKSM_lbbbEUlllE0_EEPmJS6_EEE10hipError_tPvRmT3_T4_T5_T6_T7_T9_mT8_P12ihipStream_tbDpT10_ENKUlT_T0_E_clISt17integral_constantIbLb0EES1B_IbLb1EEEEDaS17_S18_EUlS17_E_NS1_11comp_targetILNS1_3genE0ELNS1_11target_archE4294967295ELNS1_3gpuE0ELNS1_3repE0EEENS1_30default_config_static_selectorELNS0_4arch9wavefront6targetE1EEEvT1_.has_indirect_call, 0
	.section	.AMDGPU.csdata,"",@progbits
; Kernel info:
; codeLenInByte = 10772
; TotalNumSgprs: 60
; NumVgprs: 58
; NumAgprs: 0
; TotalNumVgprs: 58
; ScratchSize: 0
; MemoryBound: 0
; FloatMode: 240
; IeeeMode: 1
; LDSByteSize: 28680 bytes/workgroup (compile time only)
; SGPRBlocks: 7
; VGPRBlocks: 7
; NumSGPRsForWavesPerEU: 60
; NumVGPRsForWavesPerEU: 58
; AccumOffset: 60
; Occupancy: 8
; WaveLimiterHint : 1
; COMPUTE_PGM_RSRC2:SCRATCH_EN: 0
; COMPUTE_PGM_RSRC2:USER_SGPR: 2
; COMPUTE_PGM_RSRC2:TRAP_HANDLER: 0
; COMPUTE_PGM_RSRC2:TGID_X_EN: 1
; COMPUTE_PGM_RSRC2:TGID_Y_EN: 0
; COMPUTE_PGM_RSRC2:TGID_Z_EN: 0
; COMPUTE_PGM_RSRC2:TIDIG_COMP_CNT: 0
; COMPUTE_PGM_RSRC3_GFX90A:ACCUM_OFFSET: 14
; COMPUTE_PGM_RSRC3_GFX90A:TG_SPLIT: 0
	.section	.text._ZN7rocprim17ROCPRIM_400000_NS6detail17trampoline_kernelINS0_14default_configENS1_25partition_config_selectorILNS1_17partition_subalgoE8ElNS0_10empty_typeEbEEZZNS1_14partition_implILS5_8ELb0ES3_jPlPS6_PKS6_NS0_5tupleIJS9_S6_EEENSD_IJSA_SA_EEENS0_18inequality_wrapperIZN2at6native12_GLOBAL__N_124unique_dim_cuda_templateIhEESt5tupleIJNSH_6TensorESM_SM_EERKSM_lbbbEUlllE0_EEPmJS6_EEE10hipError_tPvRmT3_T4_T5_T6_T7_T9_mT8_P12ihipStream_tbDpT10_ENKUlT_T0_E_clISt17integral_constantIbLb0EES1B_IbLb1EEEEDaS17_S18_EUlS17_E_NS1_11comp_targetILNS1_3genE5ELNS1_11target_archE942ELNS1_3gpuE9ELNS1_3repE0EEENS1_30default_config_static_selectorELNS0_4arch9wavefront6targetE1EEEvT1_,"axG",@progbits,_ZN7rocprim17ROCPRIM_400000_NS6detail17trampoline_kernelINS0_14default_configENS1_25partition_config_selectorILNS1_17partition_subalgoE8ElNS0_10empty_typeEbEEZZNS1_14partition_implILS5_8ELb0ES3_jPlPS6_PKS6_NS0_5tupleIJS9_S6_EEENSD_IJSA_SA_EEENS0_18inequality_wrapperIZN2at6native12_GLOBAL__N_124unique_dim_cuda_templateIhEESt5tupleIJNSH_6TensorESM_SM_EERKSM_lbbbEUlllE0_EEPmJS6_EEE10hipError_tPvRmT3_T4_T5_T6_T7_T9_mT8_P12ihipStream_tbDpT10_ENKUlT_T0_E_clISt17integral_constantIbLb0EES1B_IbLb1EEEEDaS17_S18_EUlS17_E_NS1_11comp_targetILNS1_3genE5ELNS1_11target_archE942ELNS1_3gpuE9ELNS1_3repE0EEENS1_30default_config_static_selectorELNS0_4arch9wavefront6targetE1EEEvT1_,comdat
	.globl	_ZN7rocprim17ROCPRIM_400000_NS6detail17trampoline_kernelINS0_14default_configENS1_25partition_config_selectorILNS1_17partition_subalgoE8ElNS0_10empty_typeEbEEZZNS1_14partition_implILS5_8ELb0ES3_jPlPS6_PKS6_NS0_5tupleIJS9_S6_EEENSD_IJSA_SA_EEENS0_18inequality_wrapperIZN2at6native12_GLOBAL__N_124unique_dim_cuda_templateIhEESt5tupleIJNSH_6TensorESM_SM_EERKSM_lbbbEUlllE0_EEPmJS6_EEE10hipError_tPvRmT3_T4_T5_T6_T7_T9_mT8_P12ihipStream_tbDpT10_ENKUlT_T0_E_clISt17integral_constantIbLb0EES1B_IbLb1EEEEDaS17_S18_EUlS17_E_NS1_11comp_targetILNS1_3genE5ELNS1_11target_archE942ELNS1_3gpuE9ELNS1_3repE0EEENS1_30default_config_static_selectorELNS0_4arch9wavefront6targetE1EEEvT1_ ; -- Begin function _ZN7rocprim17ROCPRIM_400000_NS6detail17trampoline_kernelINS0_14default_configENS1_25partition_config_selectorILNS1_17partition_subalgoE8ElNS0_10empty_typeEbEEZZNS1_14partition_implILS5_8ELb0ES3_jPlPS6_PKS6_NS0_5tupleIJS9_S6_EEENSD_IJSA_SA_EEENS0_18inequality_wrapperIZN2at6native12_GLOBAL__N_124unique_dim_cuda_templateIhEESt5tupleIJNSH_6TensorESM_SM_EERKSM_lbbbEUlllE0_EEPmJS6_EEE10hipError_tPvRmT3_T4_T5_T6_T7_T9_mT8_P12ihipStream_tbDpT10_ENKUlT_T0_E_clISt17integral_constantIbLb0EES1B_IbLb1EEEEDaS17_S18_EUlS17_E_NS1_11comp_targetILNS1_3genE5ELNS1_11target_archE942ELNS1_3gpuE9ELNS1_3repE0EEENS1_30default_config_static_selectorELNS0_4arch9wavefront6targetE1EEEvT1_
	.p2align	8
	.type	_ZN7rocprim17ROCPRIM_400000_NS6detail17trampoline_kernelINS0_14default_configENS1_25partition_config_selectorILNS1_17partition_subalgoE8ElNS0_10empty_typeEbEEZZNS1_14partition_implILS5_8ELb0ES3_jPlPS6_PKS6_NS0_5tupleIJS9_S6_EEENSD_IJSA_SA_EEENS0_18inequality_wrapperIZN2at6native12_GLOBAL__N_124unique_dim_cuda_templateIhEESt5tupleIJNSH_6TensorESM_SM_EERKSM_lbbbEUlllE0_EEPmJS6_EEE10hipError_tPvRmT3_T4_T5_T6_T7_T9_mT8_P12ihipStream_tbDpT10_ENKUlT_T0_E_clISt17integral_constantIbLb0EES1B_IbLb1EEEEDaS17_S18_EUlS17_E_NS1_11comp_targetILNS1_3genE5ELNS1_11target_archE942ELNS1_3gpuE9ELNS1_3repE0EEENS1_30default_config_static_selectorELNS0_4arch9wavefront6targetE1EEEvT1_,@function
_ZN7rocprim17ROCPRIM_400000_NS6detail17trampoline_kernelINS0_14default_configENS1_25partition_config_selectorILNS1_17partition_subalgoE8ElNS0_10empty_typeEbEEZZNS1_14partition_implILS5_8ELb0ES3_jPlPS6_PKS6_NS0_5tupleIJS9_S6_EEENSD_IJSA_SA_EEENS0_18inequality_wrapperIZN2at6native12_GLOBAL__N_124unique_dim_cuda_templateIhEESt5tupleIJNSH_6TensorESM_SM_EERKSM_lbbbEUlllE0_EEPmJS6_EEE10hipError_tPvRmT3_T4_T5_T6_T7_T9_mT8_P12ihipStream_tbDpT10_ENKUlT_T0_E_clISt17integral_constantIbLb0EES1B_IbLb1EEEEDaS17_S18_EUlS17_E_NS1_11comp_targetILNS1_3genE5ELNS1_11target_archE942ELNS1_3gpuE9ELNS1_3repE0EEENS1_30default_config_static_selectorELNS0_4arch9wavefront6targetE1EEEvT1_: ; @_ZN7rocprim17ROCPRIM_400000_NS6detail17trampoline_kernelINS0_14default_configENS1_25partition_config_selectorILNS1_17partition_subalgoE8ElNS0_10empty_typeEbEEZZNS1_14partition_implILS5_8ELb0ES3_jPlPS6_PKS6_NS0_5tupleIJS9_S6_EEENSD_IJSA_SA_EEENS0_18inequality_wrapperIZN2at6native12_GLOBAL__N_124unique_dim_cuda_templateIhEESt5tupleIJNSH_6TensorESM_SM_EERKSM_lbbbEUlllE0_EEPmJS6_EEE10hipError_tPvRmT3_T4_T5_T6_T7_T9_mT8_P12ihipStream_tbDpT10_ENKUlT_T0_E_clISt17integral_constantIbLb0EES1B_IbLb1EEEEDaS17_S18_EUlS17_E_NS1_11comp_targetILNS1_3genE5ELNS1_11target_archE942ELNS1_3gpuE9ELNS1_3repE0EEENS1_30default_config_static_selectorELNS0_4arch9wavefront6targetE1EEEvT1_
; %bb.0:
	.section	.rodata,"a",@progbits
	.p2align	6, 0x0
	.amdhsa_kernel _ZN7rocprim17ROCPRIM_400000_NS6detail17trampoline_kernelINS0_14default_configENS1_25partition_config_selectorILNS1_17partition_subalgoE8ElNS0_10empty_typeEbEEZZNS1_14partition_implILS5_8ELb0ES3_jPlPS6_PKS6_NS0_5tupleIJS9_S6_EEENSD_IJSA_SA_EEENS0_18inequality_wrapperIZN2at6native12_GLOBAL__N_124unique_dim_cuda_templateIhEESt5tupleIJNSH_6TensorESM_SM_EERKSM_lbbbEUlllE0_EEPmJS6_EEE10hipError_tPvRmT3_T4_T5_T6_T7_T9_mT8_P12ihipStream_tbDpT10_ENKUlT_T0_E_clISt17integral_constantIbLb0EES1B_IbLb1EEEEDaS17_S18_EUlS17_E_NS1_11comp_targetILNS1_3genE5ELNS1_11target_archE942ELNS1_3gpuE9ELNS1_3repE0EEENS1_30default_config_static_selectorELNS0_4arch9wavefront6targetE1EEEvT1_
		.amdhsa_group_segment_fixed_size 0
		.amdhsa_private_segment_fixed_size 0
		.amdhsa_kernarg_size 136
		.amdhsa_user_sgpr_count 2
		.amdhsa_user_sgpr_dispatch_ptr 0
		.amdhsa_user_sgpr_queue_ptr 0
		.amdhsa_user_sgpr_kernarg_segment_ptr 1
		.amdhsa_user_sgpr_dispatch_id 0
		.amdhsa_user_sgpr_kernarg_preload_length 0
		.amdhsa_user_sgpr_kernarg_preload_offset 0
		.amdhsa_user_sgpr_private_segment_size 0
		.amdhsa_uses_dynamic_stack 0
		.amdhsa_enable_private_segment 0
		.amdhsa_system_sgpr_workgroup_id_x 1
		.amdhsa_system_sgpr_workgroup_id_y 0
		.amdhsa_system_sgpr_workgroup_id_z 0
		.amdhsa_system_sgpr_workgroup_info 0
		.amdhsa_system_vgpr_workitem_id 0
		.amdhsa_next_free_vgpr 1
		.amdhsa_next_free_sgpr 0
		.amdhsa_accum_offset 4
		.amdhsa_reserve_vcc 0
		.amdhsa_float_round_mode_32 0
		.amdhsa_float_round_mode_16_64 0
		.amdhsa_float_denorm_mode_32 3
		.amdhsa_float_denorm_mode_16_64 3
		.amdhsa_dx10_clamp 1
		.amdhsa_ieee_mode 1
		.amdhsa_fp16_overflow 0
		.amdhsa_tg_split 0
		.amdhsa_exception_fp_ieee_invalid_op 0
		.amdhsa_exception_fp_denorm_src 0
		.amdhsa_exception_fp_ieee_div_zero 0
		.amdhsa_exception_fp_ieee_overflow 0
		.amdhsa_exception_fp_ieee_underflow 0
		.amdhsa_exception_fp_ieee_inexact 0
		.amdhsa_exception_int_div_zero 0
	.end_amdhsa_kernel
	.section	.text._ZN7rocprim17ROCPRIM_400000_NS6detail17trampoline_kernelINS0_14default_configENS1_25partition_config_selectorILNS1_17partition_subalgoE8ElNS0_10empty_typeEbEEZZNS1_14partition_implILS5_8ELb0ES3_jPlPS6_PKS6_NS0_5tupleIJS9_S6_EEENSD_IJSA_SA_EEENS0_18inequality_wrapperIZN2at6native12_GLOBAL__N_124unique_dim_cuda_templateIhEESt5tupleIJNSH_6TensorESM_SM_EERKSM_lbbbEUlllE0_EEPmJS6_EEE10hipError_tPvRmT3_T4_T5_T6_T7_T9_mT8_P12ihipStream_tbDpT10_ENKUlT_T0_E_clISt17integral_constantIbLb0EES1B_IbLb1EEEEDaS17_S18_EUlS17_E_NS1_11comp_targetILNS1_3genE5ELNS1_11target_archE942ELNS1_3gpuE9ELNS1_3repE0EEENS1_30default_config_static_selectorELNS0_4arch9wavefront6targetE1EEEvT1_,"axG",@progbits,_ZN7rocprim17ROCPRIM_400000_NS6detail17trampoline_kernelINS0_14default_configENS1_25partition_config_selectorILNS1_17partition_subalgoE8ElNS0_10empty_typeEbEEZZNS1_14partition_implILS5_8ELb0ES3_jPlPS6_PKS6_NS0_5tupleIJS9_S6_EEENSD_IJSA_SA_EEENS0_18inequality_wrapperIZN2at6native12_GLOBAL__N_124unique_dim_cuda_templateIhEESt5tupleIJNSH_6TensorESM_SM_EERKSM_lbbbEUlllE0_EEPmJS6_EEE10hipError_tPvRmT3_T4_T5_T6_T7_T9_mT8_P12ihipStream_tbDpT10_ENKUlT_T0_E_clISt17integral_constantIbLb0EES1B_IbLb1EEEEDaS17_S18_EUlS17_E_NS1_11comp_targetILNS1_3genE5ELNS1_11target_archE942ELNS1_3gpuE9ELNS1_3repE0EEENS1_30default_config_static_selectorELNS0_4arch9wavefront6targetE1EEEvT1_,comdat
.Lfunc_end197:
	.size	_ZN7rocprim17ROCPRIM_400000_NS6detail17trampoline_kernelINS0_14default_configENS1_25partition_config_selectorILNS1_17partition_subalgoE8ElNS0_10empty_typeEbEEZZNS1_14partition_implILS5_8ELb0ES3_jPlPS6_PKS6_NS0_5tupleIJS9_S6_EEENSD_IJSA_SA_EEENS0_18inequality_wrapperIZN2at6native12_GLOBAL__N_124unique_dim_cuda_templateIhEESt5tupleIJNSH_6TensorESM_SM_EERKSM_lbbbEUlllE0_EEPmJS6_EEE10hipError_tPvRmT3_T4_T5_T6_T7_T9_mT8_P12ihipStream_tbDpT10_ENKUlT_T0_E_clISt17integral_constantIbLb0EES1B_IbLb1EEEEDaS17_S18_EUlS17_E_NS1_11comp_targetILNS1_3genE5ELNS1_11target_archE942ELNS1_3gpuE9ELNS1_3repE0EEENS1_30default_config_static_selectorELNS0_4arch9wavefront6targetE1EEEvT1_, .Lfunc_end197-_ZN7rocprim17ROCPRIM_400000_NS6detail17trampoline_kernelINS0_14default_configENS1_25partition_config_selectorILNS1_17partition_subalgoE8ElNS0_10empty_typeEbEEZZNS1_14partition_implILS5_8ELb0ES3_jPlPS6_PKS6_NS0_5tupleIJS9_S6_EEENSD_IJSA_SA_EEENS0_18inequality_wrapperIZN2at6native12_GLOBAL__N_124unique_dim_cuda_templateIhEESt5tupleIJNSH_6TensorESM_SM_EERKSM_lbbbEUlllE0_EEPmJS6_EEE10hipError_tPvRmT3_T4_T5_T6_T7_T9_mT8_P12ihipStream_tbDpT10_ENKUlT_T0_E_clISt17integral_constantIbLb0EES1B_IbLb1EEEEDaS17_S18_EUlS17_E_NS1_11comp_targetILNS1_3genE5ELNS1_11target_archE942ELNS1_3gpuE9ELNS1_3repE0EEENS1_30default_config_static_selectorELNS0_4arch9wavefront6targetE1EEEvT1_
                                        ; -- End function
	.set _ZN7rocprim17ROCPRIM_400000_NS6detail17trampoline_kernelINS0_14default_configENS1_25partition_config_selectorILNS1_17partition_subalgoE8ElNS0_10empty_typeEbEEZZNS1_14partition_implILS5_8ELb0ES3_jPlPS6_PKS6_NS0_5tupleIJS9_S6_EEENSD_IJSA_SA_EEENS0_18inequality_wrapperIZN2at6native12_GLOBAL__N_124unique_dim_cuda_templateIhEESt5tupleIJNSH_6TensorESM_SM_EERKSM_lbbbEUlllE0_EEPmJS6_EEE10hipError_tPvRmT3_T4_T5_T6_T7_T9_mT8_P12ihipStream_tbDpT10_ENKUlT_T0_E_clISt17integral_constantIbLb0EES1B_IbLb1EEEEDaS17_S18_EUlS17_E_NS1_11comp_targetILNS1_3genE5ELNS1_11target_archE942ELNS1_3gpuE9ELNS1_3repE0EEENS1_30default_config_static_selectorELNS0_4arch9wavefront6targetE1EEEvT1_.num_vgpr, 0
	.set _ZN7rocprim17ROCPRIM_400000_NS6detail17trampoline_kernelINS0_14default_configENS1_25partition_config_selectorILNS1_17partition_subalgoE8ElNS0_10empty_typeEbEEZZNS1_14partition_implILS5_8ELb0ES3_jPlPS6_PKS6_NS0_5tupleIJS9_S6_EEENSD_IJSA_SA_EEENS0_18inequality_wrapperIZN2at6native12_GLOBAL__N_124unique_dim_cuda_templateIhEESt5tupleIJNSH_6TensorESM_SM_EERKSM_lbbbEUlllE0_EEPmJS6_EEE10hipError_tPvRmT3_T4_T5_T6_T7_T9_mT8_P12ihipStream_tbDpT10_ENKUlT_T0_E_clISt17integral_constantIbLb0EES1B_IbLb1EEEEDaS17_S18_EUlS17_E_NS1_11comp_targetILNS1_3genE5ELNS1_11target_archE942ELNS1_3gpuE9ELNS1_3repE0EEENS1_30default_config_static_selectorELNS0_4arch9wavefront6targetE1EEEvT1_.num_agpr, 0
	.set _ZN7rocprim17ROCPRIM_400000_NS6detail17trampoline_kernelINS0_14default_configENS1_25partition_config_selectorILNS1_17partition_subalgoE8ElNS0_10empty_typeEbEEZZNS1_14partition_implILS5_8ELb0ES3_jPlPS6_PKS6_NS0_5tupleIJS9_S6_EEENSD_IJSA_SA_EEENS0_18inequality_wrapperIZN2at6native12_GLOBAL__N_124unique_dim_cuda_templateIhEESt5tupleIJNSH_6TensorESM_SM_EERKSM_lbbbEUlllE0_EEPmJS6_EEE10hipError_tPvRmT3_T4_T5_T6_T7_T9_mT8_P12ihipStream_tbDpT10_ENKUlT_T0_E_clISt17integral_constantIbLb0EES1B_IbLb1EEEEDaS17_S18_EUlS17_E_NS1_11comp_targetILNS1_3genE5ELNS1_11target_archE942ELNS1_3gpuE9ELNS1_3repE0EEENS1_30default_config_static_selectorELNS0_4arch9wavefront6targetE1EEEvT1_.numbered_sgpr, 0
	.set _ZN7rocprim17ROCPRIM_400000_NS6detail17trampoline_kernelINS0_14default_configENS1_25partition_config_selectorILNS1_17partition_subalgoE8ElNS0_10empty_typeEbEEZZNS1_14partition_implILS5_8ELb0ES3_jPlPS6_PKS6_NS0_5tupleIJS9_S6_EEENSD_IJSA_SA_EEENS0_18inequality_wrapperIZN2at6native12_GLOBAL__N_124unique_dim_cuda_templateIhEESt5tupleIJNSH_6TensorESM_SM_EERKSM_lbbbEUlllE0_EEPmJS6_EEE10hipError_tPvRmT3_T4_T5_T6_T7_T9_mT8_P12ihipStream_tbDpT10_ENKUlT_T0_E_clISt17integral_constantIbLb0EES1B_IbLb1EEEEDaS17_S18_EUlS17_E_NS1_11comp_targetILNS1_3genE5ELNS1_11target_archE942ELNS1_3gpuE9ELNS1_3repE0EEENS1_30default_config_static_selectorELNS0_4arch9wavefront6targetE1EEEvT1_.num_named_barrier, 0
	.set _ZN7rocprim17ROCPRIM_400000_NS6detail17trampoline_kernelINS0_14default_configENS1_25partition_config_selectorILNS1_17partition_subalgoE8ElNS0_10empty_typeEbEEZZNS1_14partition_implILS5_8ELb0ES3_jPlPS6_PKS6_NS0_5tupleIJS9_S6_EEENSD_IJSA_SA_EEENS0_18inequality_wrapperIZN2at6native12_GLOBAL__N_124unique_dim_cuda_templateIhEESt5tupleIJNSH_6TensorESM_SM_EERKSM_lbbbEUlllE0_EEPmJS6_EEE10hipError_tPvRmT3_T4_T5_T6_T7_T9_mT8_P12ihipStream_tbDpT10_ENKUlT_T0_E_clISt17integral_constantIbLb0EES1B_IbLb1EEEEDaS17_S18_EUlS17_E_NS1_11comp_targetILNS1_3genE5ELNS1_11target_archE942ELNS1_3gpuE9ELNS1_3repE0EEENS1_30default_config_static_selectorELNS0_4arch9wavefront6targetE1EEEvT1_.private_seg_size, 0
	.set _ZN7rocprim17ROCPRIM_400000_NS6detail17trampoline_kernelINS0_14default_configENS1_25partition_config_selectorILNS1_17partition_subalgoE8ElNS0_10empty_typeEbEEZZNS1_14partition_implILS5_8ELb0ES3_jPlPS6_PKS6_NS0_5tupleIJS9_S6_EEENSD_IJSA_SA_EEENS0_18inequality_wrapperIZN2at6native12_GLOBAL__N_124unique_dim_cuda_templateIhEESt5tupleIJNSH_6TensorESM_SM_EERKSM_lbbbEUlllE0_EEPmJS6_EEE10hipError_tPvRmT3_T4_T5_T6_T7_T9_mT8_P12ihipStream_tbDpT10_ENKUlT_T0_E_clISt17integral_constantIbLb0EES1B_IbLb1EEEEDaS17_S18_EUlS17_E_NS1_11comp_targetILNS1_3genE5ELNS1_11target_archE942ELNS1_3gpuE9ELNS1_3repE0EEENS1_30default_config_static_selectorELNS0_4arch9wavefront6targetE1EEEvT1_.uses_vcc, 0
	.set _ZN7rocprim17ROCPRIM_400000_NS6detail17trampoline_kernelINS0_14default_configENS1_25partition_config_selectorILNS1_17partition_subalgoE8ElNS0_10empty_typeEbEEZZNS1_14partition_implILS5_8ELb0ES3_jPlPS6_PKS6_NS0_5tupleIJS9_S6_EEENSD_IJSA_SA_EEENS0_18inequality_wrapperIZN2at6native12_GLOBAL__N_124unique_dim_cuda_templateIhEESt5tupleIJNSH_6TensorESM_SM_EERKSM_lbbbEUlllE0_EEPmJS6_EEE10hipError_tPvRmT3_T4_T5_T6_T7_T9_mT8_P12ihipStream_tbDpT10_ENKUlT_T0_E_clISt17integral_constantIbLb0EES1B_IbLb1EEEEDaS17_S18_EUlS17_E_NS1_11comp_targetILNS1_3genE5ELNS1_11target_archE942ELNS1_3gpuE9ELNS1_3repE0EEENS1_30default_config_static_selectorELNS0_4arch9wavefront6targetE1EEEvT1_.uses_flat_scratch, 0
	.set _ZN7rocprim17ROCPRIM_400000_NS6detail17trampoline_kernelINS0_14default_configENS1_25partition_config_selectorILNS1_17partition_subalgoE8ElNS0_10empty_typeEbEEZZNS1_14partition_implILS5_8ELb0ES3_jPlPS6_PKS6_NS0_5tupleIJS9_S6_EEENSD_IJSA_SA_EEENS0_18inequality_wrapperIZN2at6native12_GLOBAL__N_124unique_dim_cuda_templateIhEESt5tupleIJNSH_6TensorESM_SM_EERKSM_lbbbEUlllE0_EEPmJS6_EEE10hipError_tPvRmT3_T4_T5_T6_T7_T9_mT8_P12ihipStream_tbDpT10_ENKUlT_T0_E_clISt17integral_constantIbLb0EES1B_IbLb1EEEEDaS17_S18_EUlS17_E_NS1_11comp_targetILNS1_3genE5ELNS1_11target_archE942ELNS1_3gpuE9ELNS1_3repE0EEENS1_30default_config_static_selectorELNS0_4arch9wavefront6targetE1EEEvT1_.has_dyn_sized_stack, 0
	.set _ZN7rocprim17ROCPRIM_400000_NS6detail17trampoline_kernelINS0_14default_configENS1_25partition_config_selectorILNS1_17partition_subalgoE8ElNS0_10empty_typeEbEEZZNS1_14partition_implILS5_8ELb0ES3_jPlPS6_PKS6_NS0_5tupleIJS9_S6_EEENSD_IJSA_SA_EEENS0_18inequality_wrapperIZN2at6native12_GLOBAL__N_124unique_dim_cuda_templateIhEESt5tupleIJNSH_6TensorESM_SM_EERKSM_lbbbEUlllE0_EEPmJS6_EEE10hipError_tPvRmT3_T4_T5_T6_T7_T9_mT8_P12ihipStream_tbDpT10_ENKUlT_T0_E_clISt17integral_constantIbLb0EES1B_IbLb1EEEEDaS17_S18_EUlS17_E_NS1_11comp_targetILNS1_3genE5ELNS1_11target_archE942ELNS1_3gpuE9ELNS1_3repE0EEENS1_30default_config_static_selectorELNS0_4arch9wavefront6targetE1EEEvT1_.has_recursion, 0
	.set _ZN7rocprim17ROCPRIM_400000_NS6detail17trampoline_kernelINS0_14default_configENS1_25partition_config_selectorILNS1_17partition_subalgoE8ElNS0_10empty_typeEbEEZZNS1_14partition_implILS5_8ELb0ES3_jPlPS6_PKS6_NS0_5tupleIJS9_S6_EEENSD_IJSA_SA_EEENS0_18inequality_wrapperIZN2at6native12_GLOBAL__N_124unique_dim_cuda_templateIhEESt5tupleIJNSH_6TensorESM_SM_EERKSM_lbbbEUlllE0_EEPmJS6_EEE10hipError_tPvRmT3_T4_T5_T6_T7_T9_mT8_P12ihipStream_tbDpT10_ENKUlT_T0_E_clISt17integral_constantIbLb0EES1B_IbLb1EEEEDaS17_S18_EUlS17_E_NS1_11comp_targetILNS1_3genE5ELNS1_11target_archE942ELNS1_3gpuE9ELNS1_3repE0EEENS1_30default_config_static_selectorELNS0_4arch9wavefront6targetE1EEEvT1_.has_indirect_call, 0
	.section	.AMDGPU.csdata,"",@progbits
; Kernel info:
; codeLenInByte = 0
; TotalNumSgprs: 6
; NumVgprs: 0
; NumAgprs: 0
; TotalNumVgprs: 0
; ScratchSize: 0
; MemoryBound: 0
; FloatMode: 240
; IeeeMode: 1
; LDSByteSize: 0 bytes/workgroup (compile time only)
; SGPRBlocks: 0
; VGPRBlocks: 0
; NumSGPRsForWavesPerEU: 6
; NumVGPRsForWavesPerEU: 1
; AccumOffset: 4
; Occupancy: 8
; WaveLimiterHint : 0
; COMPUTE_PGM_RSRC2:SCRATCH_EN: 0
; COMPUTE_PGM_RSRC2:USER_SGPR: 2
; COMPUTE_PGM_RSRC2:TRAP_HANDLER: 0
; COMPUTE_PGM_RSRC2:TGID_X_EN: 1
; COMPUTE_PGM_RSRC2:TGID_Y_EN: 0
; COMPUTE_PGM_RSRC2:TGID_Z_EN: 0
; COMPUTE_PGM_RSRC2:TIDIG_COMP_CNT: 0
; COMPUTE_PGM_RSRC3_GFX90A:ACCUM_OFFSET: 0
; COMPUTE_PGM_RSRC3_GFX90A:TG_SPLIT: 0
	.section	.text._ZN7rocprim17ROCPRIM_400000_NS6detail17trampoline_kernelINS0_14default_configENS1_25partition_config_selectorILNS1_17partition_subalgoE8ElNS0_10empty_typeEbEEZZNS1_14partition_implILS5_8ELb0ES3_jPlPS6_PKS6_NS0_5tupleIJS9_S6_EEENSD_IJSA_SA_EEENS0_18inequality_wrapperIZN2at6native12_GLOBAL__N_124unique_dim_cuda_templateIhEESt5tupleIJNSH_6TensorESM_SM_EERKSM_lbbbEUlllE0_EEPmJS6_EEE10hipError_tPvRmT3_T4_T5_T6_T7_T9_mT8_P12ihipStream_tbDpT10_ENKUlT_T0_E_clISt17integral_constantIbLb0EES1B_IbLb1EEEEDaS17_S18_EUlS17_E_NS1_11comp_targetILNS1_3genE4ELNS1_11target_archE910ELNS1_3gpuE8ELNS1_3repE0EEENS1_30default_config_static_selectorELNS0_4arch9wavefront6targetE1EEEvT1_,"axG",@progbits,_ZN7rocprim17ROCPRIM_400000_NS6detail17trampoline_kernelINS0_14default_configENS1_25partition_config_selectorILNS1_17partition_subalgoE8ElNS0_10empty_typeEbEEZZNS1_14partition_implILS5_8ELb0ES3_jPlPS6_PKS6_NS0_5tupleIJS9_S6_EEENSD_IJSA_SA_EEENS0_18inequality_wrapperIZN2at6native12_GLOBAL__N_124unique_dim_cuda_templateIhEESt5tupleIJNSH_6TensorESM_SM_EERKSM_lbbbEUlllE0_EEPmJS6_EEE10hipError_tPvRmT3_T4_T5_T6_T7_T9_mT8_P12ihipStream_tbDpT10_ENKUlT_T0_E_clISt17integral_constantIbLb0EES1B_IbLb1EEEEDaS17_S18_EUlS17_E_NS1_11comp_targetILNS1_3genE4ELNS1_11target_archE910ELNS1_3gpuE8ELNS1_3repE0EEENS1_30default_config_static_selectorELNS0_4arch9wavefront6targetE1EEEvT1_,comdat
	.globl	_ZN7rocprim17ROCPRIM_400000_NS6detail17trampoline_kernelINS0_14default_configENS1_25partition_config_selectorILNS1_17partition_subalgoE8ElNS0_10empty_typeEbEEZZNS1_14partition_implILS5_8ELb0ES3_jPlPS6_PKS6_NS0_5tupleIJS9_S6_EEENSD_IJSA_SA_EEENS0_18inequality_wrapperIZN2at6native12_GLOBAL__N_124unique_dim_cuda_templateIhEESt5tupleIJNSH_6TensorESM_SM_EERKSM_lbbbEUlllE0_EEPmJS6_EEE10hipError_tPvRmT3_T4_T5_T6_T7_T9_mT8_P12ihipStream_tbDpT10_ENKUlT_T0_E_clISt17integral_constantIbLb0EES1B_IbLb1EEEEDaS17_S18_EUlS17_E_NS1_11comp_targetILNS1_3genE4ELNS1_11target_archE910ELNS1_3gpuE8ELNS1_3repE0EEENS1_30default_config_static_selectorELNS0_4arch9wavefront6targetE1EEEvT1_ ; -- Begin function _ZN7rocprim17ROCPRIM_400000_NS6detail17trampoline_kernelINS0_14default_configENS1_25partition_config_selectorILNS1_17partition_subalgoE8ElNS0_10empty_typeEbEEZZNS1_14partition_implILS5_8ELb0ES3_jPlPS6_PKS6_NS0_5tupleIJS9_S6_EEENSD_IJSA_SA_EEENS0_18inequality_wrapperIZN2at6native12_GLOBAL__N_124unique_dim_cuda_templateIhEESt5tupleIJNSH_6TensorESM_SM_EERKSM_lbbbEUlllE0_EEPmJS6_EEE10hipError_tPvRmT3_T4_T5_T6_T7_T9_mT8_P12ihipStream_tbDpT10_ENKUlT_T0_E_clISt17integral_constantIbLb0EES1B_IbLb1EEEEDaS17_S18_EUlS17_E_NS1_11comp_targetILNS1_3genE4ELNS1_11target_archE910ELNS1_3gpuE8ELNS1_3repE0EEENS1_30default_config_static_selectorELNS0_4arch9wavefront6targetE1EEEvT1_
	.p2align	8
	.type	_ZN7rocprim17ROCPRIM_400000_NS6detail17trampoline_kernelINS0_14default_configENS1_25partition_config_selectorILNS1_17partition_subalgoE8ElNS0_10empty_typeEbEEZZNS1_14partition_implILS5_8ELb0ES3_jPlPS6_PKS6_NS0_5tupleIJS9_S6_EEENSD_IJSA_SA_EEENS0_18inequality_wrapperIZN2at6native12_GLOBAL__N_124unique_dim_cuda_templateIhEESt5tupleIJNSH_6TensorESM_SM_EERKSM_lbbbEUlllE0_EEPmJS6_EEE10hipError_tPvRmT3_T4_T5_T6_T7_T9_mT8_P12ihipStream_tbDpT10_ENKUlT_T0_E_clISt17integral_constantIbLb0EES1B_IbLb1EEEEDaS17_S18_EUlS17_E_NS1_11comp_targetILNS1_3genE4ELNS1_11target_archE910ELNS1_3gpuE8ELNS1_3repE0EEENS1_30default_config_static_selectorELNS0_4arch9wavefront6targetE1EEEvT1_,@function
_ZN7rocprim17ROCPRIM_400000_NS6detail17trampoline_kernelINS0_14default_configENS1_25partition_config_selectorILNS1_17partition_subalgoE8ElNS0_10empty_typeEbEEZZNS1_14partition_implILS5_8ELb0ES3_jPlPS6_PKS6_NS0_5tupleIJS9_S6_EEENSD_IJSA_SA_EEENS0_18inequality_wrapperIZN2at6native12_GLOBAL__N_124unique_dim_cuda_templateIhEESt5tupleIJNSH_6TensorESM_SM_EERKSM_lbbbEUlllE0_EEPmJS6_EEE10hipError_tPvRmT3_T4_T5_T6_T7_T9_mT8_P12ihipStream_tbDpT10_ENKUlT_T0_E_clISt17integral_constantIbLb0EES1B_IbLb1EEEEDaS17_S18_EUlS17_E_NS1_11comp_targetILNS1_3genE4ELNS1_11target_archE910ELNS1_3gpuE8ELNS1_3repE0EEENS1_30default_config_static_selectorELNS0_4arch9wavefront6targetE1EEEvT1_: ; @_ZN7rocprim17ROCPRIM_400000_NS6detail17trampoline_kernelINS0_14default_configENS1_25partition_config_selectorILNS1_17partition_subalgoE8ElNS0_10empty_typeEbEEZZNS1_14partition_implILS5_8ELb0ES3_jPlPS6_PKS6_NS0_5tupleIJS9_S6_EEENSD_IJSA_SA_EEENS0_18inequality_wrapperIZN2at6native12_GLOBAL__N_124unique_dim_cuda_templateIhEESt5tupleIJNSH_6TensorESM_SM_EERKSM_lbbbEUlllE0_EEPmJS6_EEE10hipError_tPvRmT3_T4_T5_T6_T7_T9_mT8_P12ihipStream_tbDpT10_ENKUlT_T0_E_clISt17integral_constantIbLb0EES1B_IbLb1EEEEDaS17_S18_EUlS17_E_NS1_11comp_targetILNS1_3genE4ELNS1_11target_archE910ELNS1_3gpuE8ELNS1_3repE0EEENS1_30default_config_static_selectorELNS0_4arch9wavefront6targetE1EEEvT1_
; %bb.0:
	.section	.rodata,"a",@progbits
	.p2align	6, 0x0
	.amdhsa_kernel _ZN7rocprim17ROCPRIM_400000_NS6detail17trampoline_kernelINS0_14default_configENS1_25partition_config_selectorILNS1_17partition_subalgoE8ElNS0_10empty_typeEbEEZZNS1_14partition_implILS5_8ELb0ES3_jPlPS6_PKS6_NS0_5tupleIJS9_S6_EEENSD_IJSA_SA_EEENS0_18inequality_wrapperIZN2at6native12_GLOBAL__N_124unique_dim_cuda_templateIhEESt5tupleIJNSH_6TensorESM_SM_EERKSM_lbbbEUlllE0_EEPmJS6_EEE10hipError_tPvRmT3_T4_T5_T6_T7_T9_mT8_P12ihipStream_tbDpT10_ENKUlT_T0_E_clISt17integral_constantIbLb0EES1B_IbLb1EEEEDaS17_S18_EUlS17_E_NS1_11comp_targetILNS1_3genE4ELNS1_11target_archE910ELNS1_3gpuE8ELNS1_3repE0EEENS1_30default_config_static_selectorELNS0_4arch9wavefront6targetE1EEEvT1_
		.amdhsa_group_segment_fixed_size 0
		.amdhsa_private_segment_fixed_size 0
		.amdhsa_kernarg_size 136
		.amdhsa_user_sgpr_count 2
		.amdhsa_user_sgpr_dispatch_ptr 0
		.amdhsa_user_sgpr_queue_ptr 0
		.amdhsa_user_sgpr_kernarg_segment_ptr 1
		.amdhsa_user_sgpr_dispatch_id 0
		.amdhsa_user_sgpr_kernarg_preload_length 0
		.amdhsa_user_sgpr_kernarg_preload_offset 0
		.amdhsa_user_sgpr_private_segment_size 0
		.amdhsa_uses_dynamic_stack 0
		.amdhsa_enable_private_segment 0
		.amdhsa_system_sgpr_workgroup_id_x 1
		.amdhsa_system_sgpr_workgroup_id_y 0
		.amdhsa_system_sgpr_workgroup_id_z 0
		.amdhsa_system_sgpr_workgroup_info 0
		.amdhsa_system_vgpr_workitem_id 0
		.amdhsa_next_free_vgpr 1
		.amdhsa_next_free_sgpr 0
		.amdhsa_accum_offset 4
		.amdhsa_reserve_vcc 0
		.amdhsa_float_round_mode_32 0
		.amdhsa_float_round_mode_16_64 0
		.amdhsa_float_denorm_mode_32 3
		.amdhsa_float_denorm_mode_16_64 3
		.amdhsa_dx10_clamp 1
		.amdhsa_ieee_mode 1
		.amdhsa_fp16_overflow 0
		.amdhsa_tg_split 0
		.amdhsa_exception_fp_ieee_invalid_op 0
		.amdhsa_exception_fp_denorm_src 0
		.amdhsa_exception_fp_ieee_div_zero 0
		.amdhsa_exception_fp_ieee_overflow 0
		.amdhsa_exception_fp_ieee_underflow 0
		.amdhsa_exception_fp_ieee_inexact 0
		.amdhsa_exception_int_div_zero 0
	.end_amdhsa_kernel
	.section	.text._ZN7rocprim17ROCPRIM_400000_NS6detail17trampoline_kernelINS0_14default_configENS1_25partition_config_selectorILNS1_17partition_subalgoE8ElNS0_10empty_typeEbEEZZNS1_14partition_implILS5_8ELb0ES3_jPlPS6_PKS6_NS0_5tupleIJS9_S6_EEENSD_IJSA_SA_EEENS0_18inequality_wrapperIZN2at6native12_GLOBAL__N_124unique_dim_cuda_templateIhEESt5tupleIJNSH_6TensorESM_SM_EERKSM_lbbbEUlllE0_EEPmJS6_EEE10hipError_tPvRmT3_T4_T5_T6_T7_T9_mT8_P12ihipStream_tbDpT10_ENKUlT_T0_E_clISt17integral_constantIbLb0EES1B_IbLb1EEEEDaS17_S18_EUlS17_E_NS1_11comp_targetILNS1_3genE4ELNS1_11target_archE910ELNS1_3gpuE8ELNS1_3repE0EEENS1_30default_config_static_selectorELNS0_4arch9wavefront6targetE1EEEvT1_,"axG",@progbits,_ZN7rocprim17ROCPRIM_400000_NS6detail17trampoline_kernelINS0_14default_configENS1_25partition_config_selectorILNS1_17partition_subalgoE8ElNS0_10empty_typeEbEEZZNS1_14partition_implILS5_8ELb0ES3_jPlPS6_PKS6_NS0_5tupleIJS9_S6_EEENSD_IJSA_SA_EEENS0_18inequality_wrapperIZN2at6native12_GLOBAL__N_124unique_dim_cuda_templateIhEESt5tupleIJNSH_6TensorESM_SM_EERKSM_lbbbEUlllE0_EEPmJS6_EEE10hipError_tPvRmT3_T4_T5_T6_T7_T9_mT8_P12ihipStream_tbDpT10_ENKUlT_T0_E_clISt17integral_constantIbLb0EES1B_IbLb1EEEEDaS17_S18_EUlS17_E_NS1_11comp_targetILNS1_3genE4ELNS1_11target_archE910ELNS1_3gpuE8ELNS1_3repE0EEENS1_30default_config_static_selectorELNS0_4arch9wavefront6targetE1EEEvT1_,comdat
.Lfunc_end198:
	.size	_ZN7rocprim17ROCPRIM_400000_NS6detail17trampoline_kernelINS0_14default_configENS1_25partition_config_selectorILNS1_17partition_subalgoE8ElNS0_10empty_typeEbEEZZNS1_14partition_implILS5_8ELb0ES3_jPlPS6_PKS6_NS0_5tupleIJS9_S6_EEENSD_IJSA_SA_EEENS0_18inequality_wrapperIZN2at6native12_GLOBAL__N_124unique_dim_cuda_templateIhEESt5tupleIJNSH_6TensorESM_SM_EERKSM_lbbbEUlllE0_EEPmJS6_EEE10hipError_tPvRmT3_T4_T5_T6_T7_T9_mT8_P12ihipStream_tbDpT10_ENKUlT_T0_E_clISt17integral_constantIbLb0EES1B_IbLb1EEEEDaS17_S18_EUlS17_E_NS1_11comp_targetILNS1_3genE4ELNS1_11target_archE910ELNS1_3gpuE8ELNS1_3repE0EEENS1_30default_config_static_selectorELNS0_4arch9wavefront6targetE1EEEvT1_, .Lfunc_end198-_ZN7rocprim17ROCPRIM_400000_NS6detail17trampoline_kernelINS0_14default_configENS1_25partition_config_selectorILNS1_17partition_subalgoE8ElNS0_10empty_typeEbEEZZNS1_14partition_implILS5_8ELb0ES3_jPlPS6_PKS6_NS0_5tupleIJS9_S6_EEENSD_IJSA_SA_EEENS0_18inequality_wrapperIZN2at6native12_GLOBAL__N_124unique_dim_cuda_templateIhEESt5tupleIJNSH_6TensorESM_SM_EERKSM_lbbbEUlllE0_EEPmJS6_EEE10hipError_tPvRmT3_T4_T5_T6_T7_T9_mT8_P12ihipStream_tbDpT10_ENKUlT_T0_E_clISt17integral_constantIbLb0EES1B_IbLb1EEEEDaS17_S18_EUlS17_E_NS1_11comp_targetILNS1_3genE4ELNS1_11target_archE910ELNS1_3gpuE8ELNS1_3repE0EEENS1_30default_config_static_selectorELNS0_4arch9wavefront6targetE1EEEvT1_
                                        ; -- End function
	.set _ZN7rocprim17ROCPRIM_400000_NS6detail17trampoline_kernelINS0_14default_configENS1_25partition_config_selectorILNS1_17partition_subalgoE8ElNS0_10empty_typeEbEEZZNS1_14partition_implILS5_8ELb0ES3_jPlPS6_PKS6_NS0_5tupleIJS9_S6_EEENSD_IJSA_SA_EEENS0_18inequality_wrapperIZN2at6native12_GLOBAL__N_124unique_dim_cuda_templateIhEESt5tupleIJNSH_6TensorESM_SM_EERKSM_lbbbEUlllE0_EEPmJS6_EEE10hipError_tPvRmT3_T4_T5_T6_T7_T9_mT8_P12ihipStream_tbDpT10_ENKUlT_T0_E_clISt17integral_constantIbLb0EES1B_IbLb1EEEEDaS17_S18_EUlS17_E_NS1_11comp_targetILNS1_3genE4ELNS1_11target_archE910ELNS1_3gpuE8ELNS1_3repE0EEENS1_30default_config_static_selectorELNS0_4arch9wavefront6targetE1EEEvT1_.num_vgpr, 0
	.set _ZN7rocprim17ROCPRIM_400000_NS6detail17trampoline_kernelINS0_14default_configENS1_25partition_config_selectorILNS1_17partition_subalgoE8ElNS0_10empty_typeEbEEZZNS1_14partition_implILS5_8ELb0ES3_jPlPS6_PKS6_NS0_5tupleIJS9_S6_EEENSD_IJSA_SA_EEENS0_18inequality_wrapperIZN2at6native12_GLOBAL__N_124unique_dim_cuda_templateIhEESt5tupleIJNSH_6TensorESM_SM_EERKSM_lbbbEUlllE0_EEPmJS6_EEE10hipError_tPvRmT3_T4_T5_T6_T7_T9_mT8_P12ihipStream_tbDpT10_ENKUlT_T0_E_clISt17integral_constantIbLb0EES1B_IbLb1EEEEDaS17_S18_EUlS17_E_NS1_11comp_targetILNS1_3genE4ELNS1_11target_archE910ELNS1_3gpuE8ELNS1_3repE0EEENS1_30default_config_static_selectorELNS0_4arch9wavefront6targetE1EEEvT1_.num_agpr, 0
	.set _ZN7rocprim17ROCPRIM_400000_NS6detail17trampoline_kernelINS0_14default_configENS1_25partition_config_selectorILNS1_17partition_subalgoE8ElNS0_10empty_typeEbEEZZNS1_14partition_implILS5_8ELb0ES3_jPlPS6_PKS6_NS0_5tupleIJS9_S6_EEENSD_IJSA_SA_EEENS0_18inequality_wrapperIZN2at6native12_GLOBAL__N_124unique_dim_cuda_templateIhEESt5tupleIJNSH_6TensorESM_SM_EERKSM_lbbbEUlllE0_EEPmJS6_EEE10hipError_tPvRmT3_T4_T5_T6_T7_T9_mT8_P12ihipStream_tbDpT10_ENKUlT_T0_E_clISt17integral_constantIbLb0EES1B_IbLb1EEEEDaS17_S18_EUlS17_E_NS1_11comp_targetILNS1_3genE4ELNS1_11target_archE910ELNS1_3gpuE8ELNS1_3repE0EEENS1_30default_config_static_selectorELNS0_4arch9wavefront6targetE1EEEvT1_.numbered_sgpr, 0
	.set _ZN7rocprim17ROCPRIM_400000_NS6detail17trampoline_kernelINS0_14default_configENS1_25partition_config_selectorILNS1_17partition_subalgoE8ElNS0_10empty_typeEbEEZZNS1_14partition_implILS5_8ELb0ES3_jPlPS6_PKS6_NS0_5tupleIJS9_S6_EEENSD_IJSA_SA_EEENS0_18inequality_wrapperIZN2at6native12_GLOBAL__N_124unique_dim_cuda_templateIhEESt5tupleIJNSH_6TensorESM_SM_EERKSM_lbbbEUlllE0_EEPmJS6_EEE10hipError_tPvRmT3_T4_T5_T6_T7_T9_mT8_P12ihipStream_tbDpT10_ENKUlT_T0_E_clISt17integral_constantIbLb0EES1B_IbLb1EEEEDaS17_S18_EUlS17_E_NS1_11comp_targetILNS1_3genE4ELNS1_11target_archE910ELNS1_3gpuE8ELNS1_3repE0EEENS1_30default_config_static_selectorELNS0_4arch9wavefront6targetE1EEEvT1_.num_named_barrier, 0
	.set _ZN7rocprim17ROCPRIM_400000_NS6detail17trampoline_kernelINS0_14default_configENS1_25partition_config_selectorILNS1_17partition_subalgoE8ElNS0_10empty_typeEbEEZZNS1_14partition_implILS5_8ELb0ES3_jPlPS6_PKS6_NS0_5tupleIJS9_S6_EEENSD_IJSA_SA_EEENS0_18inequality_wrapperIZN2at6native12_GLOBAL__N_124unique_dim_cuda_templateIhEESt5tupleIJNSH_6TensorESM_SM_EERKSM_lbbbEUlllE0_EEPmJS6_EEE10hipError_tPvRmT3_T4_T5_T6_T7_T9_mT8_P12ihipStream_tbDpT10_ENKUlT_T0_E_clISt17integral_constantIbLb0EES1B_IbLb1EEEEDaS17_S18_EUlS17_E_NS1_11comp_targetILNS1_3genE4ELNS1_11target_archE910ELNS1_3gpuE8ELNS1_3repE0EEENS1_30default_config_static_selectorELNS0_4arch9wavefront6targetE1EEEvT1_.private_seg_size, 0
	.set _ZN7rocprim17ROCPRIM_400000_NS6detail17trampoline_kernelINS0_14default_configENS1_25partition_config_selectorILNS1_17partition_subalgoE8ElNS0_10empty_typeEbEEZZNS1_14partition_implILS5_8ELb0ES3_jPlPS6_PKS6_NS0_5tupleIJS9_S6_EEENSD_IJSA_SA_EEENS0_18inequality_wrapperIZN2at6native12_GLOBAL__N_124unique_dim_cuda_templateIhEESt5tupleIJNSH_6TensorESM_SM_EERKSM_lbbbEUlllE0_EEPmJS6_EEE10hipError_tPvRmT3_T4_T5_T6_T7_T9_mT8_P12ihipStream_tbDpT10_ENKUlT_T0_E_clISt17integral_constantIbLb0EES1B_IbLb1EEEEDaS17_S18_EUlS17_E_NS1_11comp_targetILNS1_3genE4ELNS1_11target_archE910ELNS1_3gpuE8ELNS1_3repE0EEENS1_30default_config_static_selectorELNS0_4arch9wavefront6targetE1EEEvT1_.uses_vcc, 0
	.set _ZN7rocprim17ROCPRIM_400000_NS6detail17trampoline_kernelINS0_14default_configENS1_25partition_config_selectorILNS1_17partition_subalgoE8ElNS0_10empty_typeEbEEZZNS1_14partition_implILS5_8ELb0ES3_jPlPS6_PKS6_NS0_5tupleIJS9_S6_EEENSD_IJSA_SA_EEENS0_18inequality_wrapperIZN2at6native12_GLOBAL__N_124unique_dim_cuda_templateIhEESt5tupleIJNSH_6TensorESM_SM_EERKSM_lbbbEUlllE0_EEPmJS6_EEE10hipError_tPvRmT3_T4_T5_T6_T7_T9_mT8_P12ihipStream_tbDpT10_ENKUlT_T0_E_clISt17integral_constantIbLb0EES1B_IbLb1EEEEDaS17_S18_EUlS17_E_NS1_11comp_targetILNS1_3genE4ELNS1_11target_archE910ELNS1_3gpuE8ELNS1_3repE0EEENS1_30default_config_static_selectorELNS0_4arch9wavefront6targetE1EEEvT1_.uses_flat_scratch, 0
	.set _ZN7rocprim17ROCPRIM_400000_NS6detail17trampoline_kernelINS0_14default_configENS1_25partition_config_selectorILNS1_17partition_subalgoE8ElNS0_10empty_typeEbEEZZNS1_14partition_implILS5_8ELb0ES3_jPlPS6_PKS6_NS0_5tupleIJS9_S6_EEENSD_IJSA_SA_EEENS0_18inequality_wrapperIZN2at6native12_GLOBAL__N_124unique_dim_cuda_templateIhEESt5tupleIJNSH_6TensorESM_SM_EERKSM_lbbbEUlllE0_EEPmJS6_EEE10hipError_tPvRmT3_T4_T5_T6_T7_T9_mT8_P12ihipStream_tbDpT10_ENKUlT_T0_E_clISt17integral_constantIbLb0EES1B_IbLb1EEEEDaS17_S18_EUlS17_E_NS1_11comp_targetILNS1_3genE4ELNS1_11target_archE910ELNS1_3gpuE8ELNS1_3repE0EEENS1_30default_config_static_selectorELNS0_4arch9wavefront6targetE1EEEvT1_.has_dyn_sized_stack, 0
	.set _ZN7rocprim17ROCPRIM_400000_NS6detail17trampoline_kernelINS0_14default_configENS1_25partition_config_selectorILNS1_17partition_subalgoE8ElNS0_10empty_typeEbEEZZNS1_14partition_implILS5_8ELb0ES3_jPlPS6_PKS6_NS0_5tupleIJS9_S6_EEENSD_IJSA_SA_EEENS0_18inequality_wrapperIZN2at6native12_GLOBAL__N_124unique_dim_cuda_templateIhEESt5tupleIJNSH_6TensorESM_SM_EERKSM_lbbbEUlllE0_EEPmJS6_EEE10hipError_tPvRmT3_T4_T5_T6_T7_T9_mT8_P12ihipStream_tbDpT10_ENKUlT_T0_E_clISt17integral_constantIbLb0EES1B_IbLb1EEEEDaS17_S18_EUlS17_E_NS1_11comp_targetILNS1_3genE4ELNS1_11target_archE910ELNS1_3gpuE8ELNS1_3repE0EEENS1_30default_config_static_selectorELNS0_4arch9wavefront6targetE1EEEvT1_.has_recursion, 0
	.set _ZN7rocprim17ROCPRIM_400000_NS6detail17trampoline_kernelINS0_14default_configENS1_25partition_config_selectorILNS1_17partition_subalgoE8ElNS0_10empty_typeEbEEZZNS1_14partition_implILS5_8ELb0ES3_jPlPS6_PKS6_NS0_5tupleIJS9_S6_EEENSD_IJSA_SA_EEENS0_18inequality_wrapperIZN2at6native12_GLOBAL__N_124unique_dim_cuda_templateIhEESt5tupleIJNSH_6TensorESM_SM_EERKSM_lbbbEUlllE0_EEPmJS6_EEE10hipError_tPvRmT3_T4_T5_T6_T7_T9_mT8_P12ihipStream_tbDpT10_ENKUlT_T0_E_clISt17integral_constantIbLb0EES1B_IbLb1EEEEDaS17_S18_EUlS17_E_NS1_11comp_targetILNS1_3genE4ELNS1_11target_archE910ELNS1_3gpuE8ELNS1_3repE0EEENS1_30default_config_static_selectorELNS0_4arch9wavefront6targetE1EEEvT1_.has_indirect_call, 0
	.section	.AMDGPU.csdata,"",@progbits
; Kernel info:
; codeLenInByte = 0
; TotalNumSgprs: 6
; NumVgprs: 0
; NumAgprs: 0
; TotalNumVgprs: 0
; ScratchSize: 0
; MemoryBound: 0
; FloatMode: 240
; IeeeMode: 1
; LDSByteSize: 0 bytes/workgroup (compile time only)
; SGPRBlocks: 0
; VGPRBlocks: 0
; NumSGPRsForWavesPerEU: 6
; NumVGPRsForWavesPerEU: 1
; AccumOffset: 4
; Occupancy: 8
; WaveLimiterHint : 0
; COMPUTE_PGM_RSRC2:SCRATCH_EN: 0
; COMPUTE_PGM_RSRC2:USER_SGPR: 2
; COMPUTE_PGM_RSRC2:TRAP_HANDLER: 0
; COMPUTE_PGM_RSRC2:TGID_X_EN: 1
; COMPUTE_PGM_RSRC2:TGID_Y_EN: 0
; COMPUTE_PGM_RSRC2:TGID_Z_EN: 0
; COMPUTE_PGM_RSRC2:TIDIG_COMP_CNT: 0
; COMPUTE_PGM_RSRC3_GFX90A:ACCUM_OFFSET: 0
; COMPUTE_PGM_RSRC3_GFX90A:TG_SPLIT: 0
	.section	.text._ZN7rocprim17ROCPRIM_400000_NS6detail17trampoline_kernelINS0_14default_configENS1_25partition_config_selectorILNS1_17partition_subalgoE8ElNS0_10empty_typeEbEEZZNS1_14partition_implILS5_8ELb0ES3_jPlPS6_PKS6_NS0_5tupleIJS9_S6_EEENSD_IJSA_SA_EEENS0_18inequality_wrapperIZN2at6native12_GLOBAL__N_124unique_dim_cuda_templateIhEESt5tupleIJNSH_6TensorESM_SM_EERKSM_lbbbEUlllE0_EEPmJS6_EEE10hipError_tPvRmT3_T4_T5_T6_T7_T9_mT8_P12ihipStream_tbDpT10_ENKUlT_T0_E_clISt17integral_constantIbLb0EES1B_IbLb1EEEEDaS17_S18_EUlS17_E_NS1_11comp_targetILNS1_3genE3ELNS1_11target_archE908ELNS1_3gpuE7ELNS1_3repE0EEENS1_30default_config_static_selectorELNS0_4arch9wavefront6targetE1EEEvT1_,"axG",@progbits,_ZN7rocprim17ROCPRIM_400000_NS6detail17trampoline_kernelINS0_14default_configENS1_25partition_config_selectorILNS1_17partition_subalgoE8ElNS0_10empty_typeEbEEZZNS1_14partition_implILS5_8ELb0ES3_jPlPS6_PKS6_NS0_5tupleIJS9_S6_EEENSD_IJSA_SA_EEENS0_18inequality_wrapperIZN2at6native12_GLOBAL__N_124unique_dim_cuda_templateIhEESt5tupleIJNSH_6TensorESM_SM_EERKSM_lbbbEUlllE0_EEPmJS6_EEE10hipError_tPvRmT3_T4_T5_T6_T7_T9_mT8_P12ihipStream_tbDpT10_ENKUlT_T0_E_clISt17integral_constantIbLb0EES1B_IbLb1EEEEDaS17_S18_EUlS17_E_NS1_11comp_targetILNS1_3genE3ELNS1_11target_archE908ELNS1_3gpuE7ELNS1_3repE0EEENS1_30default_config_static_selectorELNS0_4arch9wavefront6targetE1EEEvT1_,comdat
	.globl	_ZN7rocprim17ROCPRIM_400000_NS6detail17trampoline_kernelINS0_14default_configENS1_25partition_config_selectorILNS1_17partition_subalgoE8ElNS0_10empty_typeEbEEZZNS1_14partition_implILS5_8ELb0ES3_jPlPS6_PKS6_NS0_5tupleIJS9_S6_EEENSD_IJSA_SA_EEENS0_18inequality_wrapperIZN2at6native12_GLOBAL__N_124unique_dim_cuda_templateIhEESt5tupleIJNSH_6TensorESM_SM_EERKSM_lbbbEUlllE0_EEPmJS6_EEE10hipError_tPvRmT3_T4_T5_T6_T7_T9_mT8_P12ihipStream_tbDpT10_ENKUlT_T0_E_clISt17integral_constantIbLb0EES1B_IbLb1EEEEDaS17_S18_EUlS17_E_NS1_11comp_targetILNS1_3genE3ELNS1_11target_archE908ELNS1_3gpuE7ELNS1_3repE0EEENS1_30default_config_static_selectorELNS0_4arch9wavefront6targetE1EEEvT1_ ; -- Begin function _ZN7rocprim17ROCPRIM_400000_NS6detail17trampoline_kernelINS0_14default_configENS1_25partition_config_selectorILNS1_17partition_subalgoE8ElNS0_10empty_typeEbEEZZNS1_14partition_implILS5_8ELb0ES3_jPlPS6_PKS6_NS0_5tupleIJS9_S6_EEENSD_IJSA_SA_EEENS0_18inequality_wrapperIZN2at6native12_GLOBAL__N_124unique_dim_cuda_templateIhEESt5tupleIJNSH_6TensorESM_SM_EERKSM_lbbbEUlllE0_EEPmJS6_EEE10hipError_tPvRmT3_T4_T5_T6_T7_T9_mT8_P12ihipStream_tbDpT10_ENKUlT_T0_E_clISt17integral_constantIbLb0EES1B_IbLb1EEEEDaS17_S18_EUlS17_E_NS1_11comp_targetILNS1_3genE3ELNS1_11target_archE908ELNS1_3gpuE7ELNS1_3repE0EEENS1_30default_config_static_selectorELNS0_4arch9wavefront6targetE1EEEvT1_
	.p2align	8
	.type	_ZN7rocprim17ROCPRIM_400000_NS6detail17trampoline_kernelINS0_14default_configENS1_25partition_config_selectorILNS1_17partition_subalgoE8ElNS0_10empty_typeEbEEZZNS1_14partition_implILS5_8ELb0ES3_jPlPS6_PKS6_NS0_5tupleIJS9_S6_EEENSD_IJSA_SA_EEENS0_18inequality_wrapperIZN2at6native12_GLOBAL__N_124unique_dim_cuda_templateIhEESt5tupleIJNSH_6TensorESM_SM_EERKSM_lbbbEUlllE0_EEPmJS6_EEE10hipError_tPvRmT3_T4_T5_T6_T7_T9_mT8_P12ihipStream_tbDpT10_ENKUlT_T0_E_clISt17integral_constantIbLb0EES1B_IbLb1EEEEDaS17_S18_EUlS17_E_NS1_11comp_targetILNS1_3genE3ELNS1_11target_archE908ELNS1_3gpuE7ELNS1_3repE0EEENS1_30default_config_static_selectorELNS0_4arch9wavefront6targetE1EEEvT1_,@function
_ZN7rocprim17ROCPRIM_400000_NS6detail17trampoline_kernelINS0_14default_configENS1_25partition_config_selectorILNS1_17partition_subalgoE8ElNS0_10empty_typeEbEEZZNS1_14partition_implILS5_8ELb0ES3_jPlPS6_PKS6_NS0_5tupleIJS9_S6_EEENSD_IJSA_SA_EEENS0_18inequality_wrapperIZN2at6native12_GLOBAL__N_124unique_dim_cuda_templateIhEESt5tupleIJNSH_6TensorESM_SM_EERKSM_lbbbEUlllE0_EEPmJS6_EEE10hipError_tPvRmT3_T4_T5_T6_T7_T9_mT8_P12ihipStream_tbDpT10_ENKUlT_T0_E_clISt17integral_constantIbLb0EES1B_IbLb1EEEEDaS17_S18_EUlS17_E_NS1_11comp_targetILNS1_3genE3ELNS1_11target_archE908ELNS1_3gpuE7ELNS1_3repE0EEENS1_30default_config_static_selectorELNS0_4arch9wavefront6targetE1EEEvT1_: ; @_ZN7rocprim17ROCPRIM_400000_NS6detail17trampoline_kernelINS0_14default_configENS1_25partition_config_selectorILNS1_17partition_subalgoE8ElNS0_10empty_typeEbEEZZNS1_14partition_implILS5_8ELb0ES3_jPlPS6_PKS6_NS0_5tupleIJS9_S6_EEENSD_IJSA_SA_EEENS0_18inequality_wrapperIZN2at6native12_GLOBAL__N_124unique_dim_cuda_templateIhEESt5tupleIJNSH_6TensorESM_SM_EERKSM_lbbbEUlllE0_EEPmJS6_EEE10hipError_tPvRmT3_T4_T5_T6_T7_T9_mT8_P12ihipStream_tbDpT10_ENKUlT_T0_E_clISt17integral_constantIbLb0EES1B_IbLb1EEEEDaS17_S18_EUlS17_E_NS1_11comp_targetILNS1_3genE3ELNS1_11target_archE908ELNS1_3gpuE7ELNS1_3repE0EEENS1_30default_config_static_selectorELNS0_4arch9wavefront6targetE1EEEvT1_
; %bb.0:
	.section	.rodata,"a",@progbits
	.p2align	6, 0x0
	.amdhsa_kernel _ZN7rocprim17ROCPRIM_400000_NS6detail17trampoline_kernelINS0_14default_configENS1_25partition_config_selectorILNS1_17partition_subalgoE8ElNS0_10empty_typeEbEEZZNS1_14partition_implILS5_8ELb0ES3_jPlPS6_PKS6_NS0_5tupleIJS9_S6_EEENSD_IJSA_SA_EEENS0_18inequality_wrapperIZN2at6native12_GLOBAL__N_124unique_dim_cuda_templateIhEESt5tupleIJNSH_6TensorESM_SM_EERKSM_lbbbEUlllE0_EEPmJS6_EEE10hipError_tPvRmT3_T4_T5_T6_T7_T9_mT8_P12ihipStream_tbDpT10_ENKUlT_T0_E_clISt17integral_constantIbLb0EES1B_IbLb1EEEEDaS17_S18_EUlS17_E_NS1_11comp_targetILNS1_3genE3ELNS1_11target_archE908ELNS1_3gpuE7ELNS1_3repE0EEENS1_30default_config_static_selectorELNS0_4arch9wavefront6targetE1EEEvT1_
		.amdhsa_group_segment_fixed_size 0
		.amdhsa_private_segment_fixed_size 0
		.amdhsa_kernarg_size 136
		.amdhsa_user_sgpr_count 2
		.amdhsa_user_sgpr_dispatch_ptr 0
		.amdhsa_user_sgpr_queue_ptr 0
		.amdhsa_user_sgpr_kernarg_segment_ptr 1
		.amdhsa_user_sgpr_dispatch_id 0
		.amdhsa_user_sgpr_kernarg_preload_length 0
		.amdhsa_user_sgpr_kernarg_preload_offset 0
		.amdhsa_user_sgpr_private_segment_size 0
		.amdhsa_uses_dynamic_stack 0
		.amdhsa_enable_private_segment 0
		.amdhsa_system_sgpr_workgroup_id_x 1
		.amdhsa_system_sgpr_workgroup_id_y 0
		.amdhsa_system_sgpr_workgroup_id_z 0
		.amdhsa_system_sgpr_workgroup_info 0
		.amdhsa_system_vgpr_workitem_id 0
		.amdhsa_next_free_vgpr 1
		.amdhsa_next_free_sgpr 0
		.amdhsa_accum_offset 4
		.amdhsa_reserve_vcc 0
		.amdhsa_float_round_mode_32 0
		.amdhsa_float_round_mode_16_64 0
		.amdhsa_float_denorm_mode_32 3
		.amdhsa_float_denorm_mode_16_64 3
		.amdhsa_dx10_clamp 1
		.amdhsa_ieee_mode 1
		.amdhsa_fp16_overflow 0
		.amdhsa_tg_split 0
		.amdhsa_exception_fp_ieee_invalid_op 0
		.amdhsa_exception_fp_denorm_src 0
		.amdhsa_exception_fp_ieee_div_zero 0
		.amdhsa_exception_fp_ieee_overflow 0
		.amdhsa_exception_fp_ieee_underflow 0
		.amdhsa_exception_fp_ieee_inexact 0
		.amdhsa_exception_int_div_zero 0
	.end_amdhsa_kernel
	.section	.text._ZN7rocprim17ROCPRIM_400000_NS6detail17trampoline_kernelINS0_14default_configENS1_25partition_config_selectorILNS1_17partition_subalgoE8ElNS0_10empty_typeEbEEZZNS1_14partition_implILS5_8ELb0ES3_jPlPS6_PKS6_NS0_5tupleIJS9_S6_EEENSD_IJSA_SA_EEENS0_18inequality_wrapperIZN2at6native12_GLOBAL__N_124unique_dim_cuda_templateIhEESt5tupleIJNSH_6TensorESM_SM_EERKSM_lbbbEUlllE0_EEPmJS6_EEE10hipError_tPvRmT3_T4_T5_T6_T7_T9_mT8_P12ihipStream_tbDpT10_ENKUlT_T0_E_clISt17integral_constantIbLb0EES1B_IbLb1EEEEDaS17_S18_EUlS17_E_NS1_11comp_targetILNS1_3genE3ELNS1_11target_archE908ELNS1_3gpuE7ELNS1_3repE0EEENS1_30default_config_static_selectorELNS0_4arch9wavefront6targetE1EEEvT1_,"axG",@progbits,_ZN7rocprim17ROCPRIM_400000_NS6detail17trampoline_kernelINS0_14default_configENS1_25partition_config_selectorILNS1_17partition_subalgoE8ElNS0_10empty_typeEbEEZZNS1_14partition_implILS5_8ELb0ES3_jPlPS6_PKS6_NS0_5tupleIJS9_S6_EEENSD_IJSA_SA_EEENS0_18inequality_wrapperIZN2at6native12_GLOBAL__N_124unique_dim_cuda_templateIhEESt5tupleIJNSH_6TensorESM_SM_EERKSM_lbbbEUlllE0_EEPmJS6_EEE10hipError_tPvRmT3_T4_T5_T6_T7_T9_mT8_P12ihipStream_tbDpT10_ENKUlT_T0_E_clISt17integral_constantIbLb0EES1B_IbLb1EEEEDaS17_S18_EUlS17_E_NS1_11comp_targetILNS1_3genE3ELNS1_11target_archE908ELNS1_3gpuE7ELNS1_3repE0EEENS1_30default_config_static_selectorELNS0_4arch9wavefront6targetE1EEEvT1_,comdat
.Lfunc_end199:
	.size	_ZN7rocprim17ROCPRIM_400000_NS6detail17trampoline_kernelINS0_14default_configENS1_25partition_config_selectorILNS1_17partition_subalgoE8ElNS0_10empty_typeEbEEZZNS1_14partition_implILS5_8ELb0ES3_jPlPS6_PKS6_NS0_5tupleIJS9_S6_EEENSD_IJSA_SA_EEENS0_18inequality_wrapperIZN2at6native12_GLOBAL__N_124unique_dim_cuda_templateIhEESt5tupleIJNSH_6TensorESM_SM_EERKSM_lbbbEUlllE0_EEPmJS6_EEE10hipError_tPvRmT3_T4_T5_T6_T7_T9_mT8_P12ihipStream_tbDpT10_ENKUlT_T0_E_clISt17integral_constantIbLb0EES1B_IbLb1EEEEDaS17_S18_EUlS17_E_NS1_11comp_targetILNS1_3genE3ELNS1_11target_archE908ELNS1_3gpuE7ELNS1_3repE0EEENS1_30default_config_static_selectorELNS0_4arch9wavefront6targetE1EEEvT1_, .Lfunc_end199-_ZN7rocprim17ROCPRIM_400000_NS6detail17trampoline_kernelINS0_14default_configENS1_25partition_config_selectorILNS1_17partition_subalgoE8ElNS0_10empty_typeEbEEZZNS1_14partition_implILS5_8ELb0ES3_jPlPS6_PKS6_NS0_5tupleIJS9_S6_EEENSD_IJSA_SA_EEENS0_18inequality_wrapperIZN2at6native12_GLOBAL__N_124unique_dim_cuda_templateIhEESt5tupleIJNSH_6TensorESM_SM_EERKSM_lbbbEUlllE0_EEPmJS6_EEE10hipError_tPvRmT3_T4_T5_T6_T7_T9_mT8_P12ihipStream_tbDpT10_ENKUlT_T0_E_clISt17integral_constantIbLb0EES1B_IbLb1EEEEDaS17_S18_EUlS17_E_NS1_11comp_targetILNS1_3genE3ELNS1_11target_archE908ELNS1_3gpuE7ELNS1_3repE0EEENS1_30default_config_static_selectorELNS0_4arch9wavefront6targetE1EEEvT1_
                                        ; -- End function
	.set _ZN7rocprim17ROCPRIM_400000_NS6detail17trampoline_kernelINS0_14default_configENS1_25partition_config_selectorILNS1_17partition_subalgoE8ElNS0_10empty_typeEbEEZZNS1_14partition_implILS5_8ELb0ES3_jPlPS6_PKS6_NS0_5tupleIJS9_S6_EEENSD_IJSA_SA_EEENS0_18inequality_wrapperIZN2at6native12_GLOBAL__N_124unique_dim_cuda_templateIhEESt5tupleIJNSH_6TensorESM_SM_EERKSM_lbbbEUlllE0_EEPmJS6_EEE10hipError_tPvRmT3_T4_T5_T6_T7_T9_mT8_P12ihipStream_tbDpT10_ENKUlT_T0_E_clISt17integral_constantIbLb0EES1B_IbLb1EEEEDaS17_S18_EUlS17_E_NS1_11comp_targetILNS1_3genE3ELNS1_11target_archE908ELNS1_3gpuE7ELNS1_3repE0EEENS1_30default_config_static_selectorELNS0_4arch9wavefront6targetE1EEEvT1_.num_vgpr, 0
	.set _ZN7rocprim17ROCPRIM_400000_NS6detail17trampoline_kernelINS0_14default_configENS1_25partition_config_selectorILNS1_17partition_subalgoE8ElNS0_10empty_typeEbEEZZNS1_14partition_implILS5_8ELb0ES3_jPlPS6_PKS6_NS0_5tupleIJS9_S6_EEENSD_IJSA_SA_EEENS0_18inequality_wrapperIZN2at6native12_GLOBAL__N_124unique_dim_cuda_templateIhEESt5tupleIJNSH_6TensorESM_SM_EERKSM_lbbbEUlllE0_EEPmJS6_EEE10hipError_tPvRmT3_T4_T5_T6_T7_T9_mT8_P12ihipStream_tbDpT10_ENKUlT_T0_E_clISt17integral_constantIbLb0EES1B_IbLb1EEEEDaS17_S18_EUlS17_E_NS1_11comp_targetILNS1_3genE3ELNS1_11target_archE908ELNS1_3gpuE7ELNS1_3repE0EEENS1_30default_config_static_selectorELNS0_4arch9wavefront6targetE1EEEvT1_.num_agpr, 0
	.set _ZN7rocprim17ROCPRIM_400000_NS6detail17trampoline_kernelINS0_14default_configENS1_25partition_config_selectorILNS1_17partition_subalgoE8ElNS0_10empty_typeEbEEZZNS1_14partition_implILS5_8ELb0ES3_jPlPS6_PKS6_NS0_5tupleIJS9_S6_EEENSD_IJSA_SA_EEENS0_18inequality_wrapperIZN2at6native12_GLOBAL__N_124unique_dim_cuda_templateIhEESt5tupleIJNSH_6TensorESM_SM_EERKSM_lbbbEUlllE0_EEPmJS6_EEE10hipError_tPvRmT3_T4_T5_T6_T7_T9_mT8_P12ihipStream_tbDpT10_ENKUlT_T0_E_clISt17integral_constantIbLb0EES1B_IbLb1EEEEDaS17_S18_EUlS17_E_NS1_11comp_targetILNS1_3genE3ELNS1_11target_archE908ELNS1_3gpuE7ELNS1_3repE0EEENS1_30default_config_static_selectorELNS0_4arch9wavefront6targetE1EEEvT1_.numbered_sgpr, 0
	.set _ZN7rocprim17ROCPRIM_400000_NS6detail17trampoline_kernelINS0_14default_configENS1_25partition_config_selectorILNS1_17partition_subalgoE8ElNS0_10empty_typeEbEEZZNS1_14partition_implILS5_8ELb0ES3_jPlPS6_PKS6_NS0_5tupleIJS9_S6_EEENSD_IJSA_SA_EEENS0_18inequality_wrapperIZN2at6native12_GLOBAL__N_124unique_dim_cuda_templateIhEESt5tupleIJNSH_6TensorESM_SM_EERKSM_lbbbEUlllE0_EEPmJS6_EEE10hipError_tPvRmT3_T4_T5_T6_T7_T9_mT8_P12ihipStream_tbDpT10_ENKUlT_T0_E_clISt17integral_constantIbLb0EES1B_IbLb1EEEEDaS17_S18_EUlS17_E_NS1_11comp_targetILNS1_3genE3ELNS1_11target_archE908ELNS1_3gpuE7ELNS1_3repE0EEENS1_30default_config_static_selectorELNS0_4arch9wavefront6targetE1EEEvT1_.num_named_barrier, 0
	.set _ZN7rocprim17ROCPRIM_400000_NS6detail17trampoline_kernelINS0_14default_configENS1_25partition_config_selectorILNS1_17partition_subalgoE8ElNS0_10empty_typeEbEEZZNS1_14partition_implILS5_8ELb0ES3_jPlPS6_PKS6_NS0_5tupleIJS9_S6_EEENSD_IJSA_SA_EEENS0_18inequality_wrapperIZN2at6native12_GLOBAL__N_124unique_dim_cuda_templateIhEESt5tupleIJNSH_6TensorESM_SM_EERKSM_lbbbEUlllE0_EEPmJS6_EEE10hipError_tPvRmT3_T4_T5_T6_T7_T9_mT8_P12ihipStream_tbDpT10_ENKUlT_T0_E_clISt17integral_constantIbLb0EES1B_IbLb1EEEEDaS17_S18_EUlS17_E_NS1_11comp_targetILNS1_3genE3ELNS1_11target_archE908ELNS1_3gpuE7ELNS1_3repE0EEENS1_30default_config_static_selectorELNS0_4arch9wavefront6targetE1EEEvT1_.private_seg_size, 0
	.set _ZN7rocprim17ROCPRIM_400000_NS6detail17trampoline_kernelINS0_14default_configENS1_25partition_config_selectorILNS1_17partition_subalgoE8ElNS0_10empty_typeEbEEZZNS1_14partition_implILS5_8ELb0ES3_jPlPS6_PKS6_NS0_5tupleIJS9_S6_EEENSD_IJSA_SA_EEENS0_18inequality_wrapperIZN2at6native12_GLOBAL__N_124unique_dim_cuda_templateIhEESt5tupleIJNSH_6TensorESM_SM_EERKSM_lbbbEUlllE0_EEPmJS6_EEE10hipError_tPvRmT3_T4_T5_T6_T7_T9_mT8_P12ihipStream_tbDpT10_ENKUlT_T0_E_clISt17integral_constantIbLb0EES1B_IbLb1EEEEDaS17_S18_EUlS17_E_NS1_11comp_targetILNS1_3genE3ELNS1_11target_archE908ELNS1_3gpuE7ELNS1_3repE0EEENS1_30default_config_static_selectorELNS0_4arch9wavefront6targetE1EEEvT1_.uses_vcc, 0
	.set _ZN7rocprim17ROCPRIM_400000_NS6detail17trampoline_kernelINS0_14default_configENS1_25partition_config_selectorILNS1_17partition_subalgoE8ElNS0_10empty_typeEbEEZZNS1_14partition_implILS5_8ELb0ES3_jPlPS6_PKS6_NS0_5tupleIJS9_S6_EEENSD_IJSA_SA_EEENS0_18inequality_wrapperIZN2at6native12_GLOBAL__N_124unique_dim_cuda_templateIhEESt5tupleIJNSH_6TensorESM_SM_EERKSM_lbbbEUlllE0_EEPmJS6_EEE10hipError_tPvRmT3_T4_T5_T6_T7_T9_mT8_P12ihipStream_tbDpT10_ENKUlT_T0_E_clISt17integral_constantIbLb0EES1B_IbLb1EEEEDaS17_S18_EUlS17_E_NS1_11comp_targetILNS1_3genE3ELNS1_11target_archE908ELNS1_3gpuE7ELNS1_3repE0EEENS1_30default_config_static_selectorELNS0_4arch9wavefront6targetE1EEEvT1_.uses_flat_scratch, 0
	.set _ZN7rocprim17ROCPRIM_400000_NS6detail17trampoline_kernelINS0_14default_configENS1_25partition_config_selectorILNS1_17partition_subalgoE8ElNS0_10empty_typeEbEEZZNS1_14partition_implILS5_8ELb0ES3_jPlPS6_PKS6_NS0_5tupleIJS9_S6_EEENSD_IJSA_SA_EEENS0_18inequality_wrapperIZN2at6native12_GLOBAL__N_124unique_dim_cuda_templateIhEESt5tupleIJNSH_6TensorESM_SM_EERKSM_lbbbEUlllE0_EEPmJS6_EEE10hipError_tPvRmT3_T4_T5_T6_T7_T9_mT8_P12ihipStream_tbDpT10_ENKUlT_T0_E_clISt17integral_constantIbLb0EES1B_IbLb1EEEEDaS17_S18_EUlS17_E_NS1_11comp_targetILNS1_3genE3ELNS1_11target_archE908ELNS1_3gpuE7ELNS1_3repE0EEENS1_30default_config_static_selectorELNS0_4arch9wavefront6targetE1EEEvT1_.has_dyn_sized_stack, 0
	.set _ZN7rocprim17ROCPRIM_400000_NS6detail17trampoline_kernelINS0_14default_configENS1_25partition_config_selectorILNS1_17partition_subalgoE8ElNS0_10empty_typeEbEEZZNS1_14partition_implILS5_8ELb0ES3_jPlPS6_PKS6_NS0_5tupleIJS9_S6_EEENSD_IJSA_SA_EEENS0_18inequality_wrapperIZN2at6native12_GLOBAL__N_124unique_dim_cuda_templateIhEESt5tupleIJNSH_6TensorESM_SM_EERKSM_lbbbEUlllE0_EEPmJS6_EEE10hipError_tPvRmT3_T4_T5_T6_T7_T9_mT8_P12ihipStream_tbDpT10_ENKUlT_T0_E_clISt17integral_constantIbLb0EES1B_IbLb1EEEEDaS17_S18_EUlS17_E_NS1_11comp_targetILNS1_3genE3ELNS1_11target_archE908ELNS1_3gpuE7ELNS1_3repE0EEENS1_30default_config_static_selectorELNS0_4arch9wavefront6targetE1EEEvT1_.has_recursion, 0
	.set _ZN7rocprim17ROCPRIM_400000_NS6detail17trampoline_kernelINS0_14default_configENS1_25partition_config_selectorILNS1_17partition_subalgoE8ElNS0_10empty_typeEbEEZZNS1_14partition_implILS5_8ELb0ES3_jPlPS6_PKS6_NS0_5tupleIJS9_S6_EEENSD_IJSA_SA_EEENS0_18inequality_wrapperIZN2at6native12_GLOBAL__N_124unique_dim_cuda_templateIhEESt5tupleIJNSH_6TensorESM_SM_EERKSM_lbbbEUlllE0_EEPmJS6_EEE10hipError_tPvRmT3_T4_T5_T6_T7_T9_mT8_P12ihipStream_tbDpT10_ENKUlT_T0_E_clISt17integral_constantIbLb0EES1B_IbLb1EEEEDaS17_S18_EUlS17_E_NS1_11comp_targetILNS1_3genE3ELNS1_11target_archE908ELNS1_3gpuE7ELNS1_3repE0EEENS1_30default_config_static_selectorELNS0_4arch9wavefront6targetE1EEEvT1_.has_indirect_call, 0
	.section	.AMDGPU.csdata,"",@progbits
; Kernel info:
; codeLenInByte = 0
; TotalNumSgprs: 6
; NumVgprs: 0
; NumAgprs: 0
; TotalNumVgprs: 0
; ScratchSize: 0
; MemoryBound: 0
; FloatMode: 240
; IeeeMode: 1
; LDSByteSize: 0 bytes/workgroup (compile time only)
; SGPRBlocks: 0
; VGPRBlocks: 0
; NumSGPRsForWavesPerEU: 6
; NumVGPRsForWavesPerEU: 1
; AccumOffset: 4
; Occupancy: 8
; WaveLimiterHint : 0
; COMPUTE_PGM_RSRC2:SCRATCH_EN: 0
; COMPUTE_PGM_RSRC2:USER_SGPR: 2
; COMPUTE_PGM_RSRC2:TRAP_HANDLER: 0
; COMPUTE_PGM_RSRC2:TGID_X_EN: 1
; COMPUTE_PGM_RSRC2:TGID_Y_EN: 0
; COMPUTE_PGM_RSRC2:TGID_Z_EN: 0
; COMPUTE_PGM_RSRC2:TIDIG_COMP_CNT: 0
; COMPUTE_PGM_RSRC3_GFX90A:ACCUM_OFFSET: 0
; COMPUTE_PGM_RSRC3_GFX90A:TG_SPLIT: 0
	.section	.text._ZN7rocprim17ROCPRIM_400000_NS6detail17trampoline_kernelINS0_14default_configENS1_25partition_config_selectorILNS1_17partition_subalgoE8ElNS0_10empty_typeEbEEZZNS1_14partition_implILS5_8ELb0ES3_jPlPS6_PKS6_NS0_5tupleIJS9_S6_EEENSD_IJSA_SA_EEENS0_18inequality_wrapperIZN2at6native12_GLOBAL__N_124unique_dim_cuda_templateIhEESt5tupleIJNSH_6TensorESM_SM_EERKSM_lbbbEUlllE0_EEPmJS6_EEE10hipError_tPvRmT3_T4_T5_T6_T7_T9_mT8_P12ihipStream_tbDpT10_ENKUlT_T0_E_clISt17integral_constantIbLb0EES1B_IbLb1EEEEDaS17_S18_EUlS17_E_NS1_11comp_targetILNS1_3genE2ELNS1_11target_archE906ELNS1_3gpuE6ELNS1_3repE0EEENS1_30default_config_static_selectorELNS0_4arch9wavefront6targetE1EEEvT1_,"axG",@progbits,_ZN7rocprim17ROCPRIM_400000_NS6detail17trampoline_kernelINS0_14default_configENS1_25partition_config_selectorILNS1_17partition_subalgoE8ElNS0_10empty_typeEbEEZZNS1_14partition_implILS5_8ELb0ES3_jPlPS6_PKS6_NS0_5tupleIJS9_S6_EEENSD_IJSA_SA_EEENS0_18inequality_wrapperIZN2at6native12_GLOBAL__N_124unique_dim_cuda_templateIhEESt5tupleIJNSH_6TensorESM_SM_EERKSM_lbbbEUlllE0_EEPmJS6_EEE10hipError_tPvRmT3_T4_T5_T6_T7_T9_mT8_P12ihipStream_tbDpT10_ENKUlT_T0_E_clISt17integral_constantIbLb0EES1B_IbLb1EEEEDaS17_S18_EUlS17_E_NS1_11comp_targetILNS1_3genE2ELNS1_11target_archE906ELNS1_3gpuE6ELNS1_3repE0EEENS1_30default_config_static_selectorELNS0_4arch9wavefront6targetE1EEEvT1_,comdat
	.globl	_ZN7rocprim17ROCPRIM_400000_NS6detail17trampoline_kernelINS0_14default_configENS1_25partition_config_selectorILNS1_17partition_subalgoE8ElNS0_10empty_typeEbEEZZNS1_14partition_implILS5_8ELb0ES3_jPlPS6_PKS6_NS0_5tupleIJS9_S6_EEENSD_IJSA_SA_EEENS0_18inequality_wrapperIZN2at6native12_GLOBAL__N_124unique_dim_cuda_templateIhEESt5tupleIJNSH_6TensorESM_SM_EERKSM_lbbbEUlllE0_EEPmJS6_EEE10hipError_tPvRmT3_T4_T5_T6_T7_T9_mT8_P12ihipStream_tbDpT10_ENKUlT_T0_E_clISt17integral_constantIbLb0EES1B_IbLb1EEEEDaS17_S18_EUlS17_E_NS1_11comp_targetILNS1_3genE2ELNS1_11target_archE906ELNS1_3gpuE6ELNS1_3repE0EEENS1_30default_config_static_selectorELNS0_4arch9wavefront6targetE1EEEvT1_ ; -- Begin function _ZN7rocprim17ROCPRIM_400000_NS6detail17trampoline_kernelINS0_14default_configENS1_25partition_config_selectorILNS1_17partition_subalgoE8ElNS0_10empty_typeEbEEZZNS1_14partition_implILS5_8ELb0ES3_jPlPS6_PKS6_NS0_5tupleIJS9_S6_EEENSD_IJSA_SA_EEENS0_18inequality_wrapperIZN2at6native12_GLOBAL__N_124unique_dim_cuda_templateIhEESt5tupleIJNSH_6TensorESM_SM_EERKSM_lbbbEUlllE0_EEPmJS6_EEE10hipError_tPvRmT3_T4_T5_T6_T7_T9_mT8_P12ihipStream_tbDpT10_ENKUlT_T0_E_clISt17integral_constantIbLb0EES1B_IbLb1EEEEDaS17_S18_EUlS17_E_NS1_11comp_targetILNS1_3genE2ELNS1_11target_archE906ELNS1_3gpuE6ELNS1_3repE0EEENS1_30default_config_static_selectorELNS0_4arch9wavefront6targetE1EEEvT1_
	.p2align	8
	.type	_ZN7rocprim17ROCPRIM_400000_NS6detail17trampoline_kernelINS0_14default_configENS1_25partition_config_selectorILNS1_17partition_subalgoE8ElNS0_10empty_typeEbEEZZNS1_14partition_implILS5_8ELb0ES3_jPlPS6_PKS6_NS0_5tupleIJS9_S6_EEENSD_IJSA_SA_EEENS0_18inequality_wrapperIZN2at6native12_GLOBAL__N_124unique_dim_cuda_templateIhEESt5tupleIJNSH_6TensorESM_SM_EERKSM_lbbbEUlllE0_EEPmJS6_EEE10hipError_tPvRmT3_T4_T5_T6_T7_T9_mT8_P12ihipStream_tbDpT10_ENKUlT_T0_E_clISt17integral_constantIbLb0EES1B_IbLb1EEEEDaS17_S18_EUlS17_E_NS1_11comp_targetILNS1_3genE2ELNS1_11target_archE906ELNS1_3gpuE6ELNS1_3repE0EEENS1_30default_config_static_selectorELNS0_4arch9wavefront6targetE1EEEvT1_,@function
_ZN7rocprim17ROCPRIM_400000_NS6detail17trampoline_kernelINS0_14default_configENS1_25partition_config_selectorILNS1_17partition_subalgoE8ElNS0_10empty_typeEbEEZZNS1_14partition_implILS5_8ELb0ES3_jPlPS6_PKS6_NS0_5tupleIJS9_S6_EEENSD_IJSA_SA_EEENS0_18inequality_wrapperIZN2at6native12_GLOBAL__N_124unique_dim_cuda_templateIhEESt5tupleIJNSH_6TensorESM_SM_EERKSM_lbbbEUlllE0_EEPmJS6_EEE10hipError_tPvRmT3_T4_T5_T6_T7_T9_mT8_P12ihipStream_tbDpT10_ENKUlT_T0_E_clISt17integral_constantIbLb0EES1B_IbLb1EEEEDaS17_S18_EUlS17_E_NS1_11comp_targetILNS1_3genE2ELNS1_11target_archE906ELNS1_3gpuE6ELNS1_3repE0EEENS1_30default_config_static_selectorELNS0_4arch9wavefront6targetE1EEEvT1_: ; @_ZN7rocprim17ROCPRIM_400000_NS6detail17trampoline_kernelINS0_14default_configENS1_25partition_config_selectorILNS1_17partition_subalgoE8ElNS0_10empty_typeEbEEZZNS1_14partition_implILS5_8ELb0ES3_jPlPS6_PKS6_NS0_5tupleIJS9_S6_EEENSD_IJSA_SA_EEENS0_18inequality_wrapperIZN2at6native12_GLOBAL__N_124unique_dim_cuda_templateIhEESt5tupleIJNSH_6TensorESM_SM_EERKSM_lbbbEUlllE0_EEPmJS6_EEE10hipError_tPvRmT3_T4_T5_T6_T7_T9_mT8_P12ihipStream_tbDpT10_ENKUlT_T0_E_clISt17integral_constantIbLb0EES1B_IbLb1EEEEDaS17_S18_EUlS17_E_NS1_11comp_targetILNS1_3genE2ELNS1_11target_archE906ELNS1_3gpuE6ELNS1_3repE0EEENS1_30default_config_static_selectorELNS0_4arch9wavefront6targetE1EEEvT1_
; %bb.0:
	.section	.rodata,"a",@progbits
	.p2align	6, 0x0
	.amdhsa_kernel _ZN7rocprim17ROCPRIM_400000_NS6detail17trampoline_kernelINS0_14default_configENS1_25partition_config_selectorILNS1_17partition_subalgoE8ElNS0_10empty_typeEbEEZZNS1_14partition_implILS5_8ELb0ES3_jPlPS6_PKS6_NS0_5tupleIJS9_S6_EEENSD_IJSA_SA_EEENS0_18inequality_wrapperIZN2at6native12_GLOBAL__N_124unique_dim_cuda_templateIhEESt5tupleIJNSH_6TensorESM_SM_EERKSM_lbbbEUlllE0_EEPmJS6_EEE10hipError_tPvRmT3_T4_T5_T6_T7_T9_mT8_P12ihipStream_tbDpT10_ENKUlT_T0_E_clISt17integral_constantIbLb0EES1B_IbLb1EEEEDaS17_S18_EUlS17_E_NS1_11comp_targetILNS1_3genE2ELNS1_11target_archE906ELNS1_3gpuE6ELNS1_3repE0EEENS1_30default_config_static_selectorELNS0_4arch9wavefront6targetE1EEEvT1_
		.amdhsa_group_segment_fixed_size 0
		.amdhsa_private_segment_fixed_size 0
		.amdhsa_kernarg_size 136
		.amdhsa_user_sgpr_count 2
		.amdhsa_user_sgpr_dispatch_ptr 0
		.amdhsa_user_sgpr_queue_ptr 0
		.amdhsa_user_sgpr_kernarg_segment_ptr 1
		.amdhsa_user_sgpr_dispatch_id 0
		.amdhsa_user_sgpr_kernarg_preload_length 0
		.amdhsa_user_sgpr_kernarg_preload_offset 0
		.amdhsa_user_sgpr_private_segment_size 0
		.amdhsa_uses_dynamic_stack 0
		.amdhsa_enable_private_segment 0
		.amdhsa_system_sgpr_workgroup_id_x 1
		.amdhsa_system_sgpr_workgroup_id_y 0
		.amdhsa_system_sgpr_workgroup_id_z 0
		.amdhsa_system_sgpr_workgroup_info 0
		.amdhsa_system_vgpr_workitem_id 0
		.amdhsa_next_free_vgpr 1
		.amdhsa_next_free_sgpr 0
		.amdhsa_accum_offset 4
		.amdhsa_reserve_vcc 0
		.amdhsa_float_round_mode_32 0
		.amdhsa_float_round_mode_16_64 0
		.amdhsa_float_denorm_mode_32 3
		.amdhsa_float_denorm_mode_16_64 3
		.amdhsa_dx10_clamp 1
		.amdhsa_ieee_mode 1
		.amdhsa_fp16_overflow 0
		.amdhsa_tg_split 0
		.amdhsa_exception_fp_ieee_invalid_op 0
		.amdhsa_exception_fp_denorm_src 0
		.amdhsa_exception_fp_ieee_div_zero 0
		.amdhsa_exception_fp_ieee_overflow 0
		.amdhsa_exception_fp_ieee_underflow 0
		.amdhsa_exception_fp_ieee_inexact 0
		.amdhsa_exception_int_div_zero 0
	.end_amdhsa_kernel
	.section	.text._ZN7rocprim17ROCPRIM_400000_NS6detail17trampoline_kernelINS0_14default_configENS1_25partition_config_selectorILNS1_17partition_subalgoE8ElNS0_10empty_typeEbEEZZNS1_14partition_implILS5_8ELb0ES3_jPlPS6_PKS6_NS0_5tupleIJS9_S6_EEENSD_IJSA_SA_EEENS0_18inequality_wrapperIZN2at6native12_GLOBAL__N_124unique_dim_cuda_templateIhEESt5tupleIJNSH_6TensorESM_SM_EERKSM_lbbbEUlllE0_EEPmJS6_EEE10hipError_tPvRmT3_T4_T5_T6_T7_T9_mT8_P12ihipStream_tbDpT10_ENKUlT_T0_E_clISt17integral_constantIbLb0EES1B_IbLb1EEEEDaS17_S18_EUlS17_E_NS1_11comp_targetILNS1_3genE2ELNS1_11target_archE906ELNS1_3gpuE6ELNS1_3repE0EEENS1_30default_config_static_selectorELNS0_4arch9wavefront6targetE1EEEvT1_,"axG",@progbits,_ZN7rocprim17ROCPRIM_400000_NS6detail17trampoline_kernelINS0_14default_configENS1_25partition_config_selectorILNS1_17partition_subalgoE8ElNS0_10empty_typeEbEEZZNS1_14partition_implILS5_8ELb0ES3_jPlPS6_PKS6_NS0_5tupleIJS9_S6_EEENSD_IJSA_SA_EEENS0_18inequality_wrapperIZN2at6native12_GLOBAL__N_124unique_dim_cuda_templateIhEESt5tupleIJNSH_6TensorESM_SM_EERKSM_lbbbEUlllE0_EEPmJS6_EEE10hipError_tPvRmT3_T4_T5_T6_T7_T9_mT8_P12ihipStream_tbDpT10_ENKUlT_T0_E_clISt17integral_constantIbLb0EES1B_IbLb1EEEEDaS17_S18_EUlS17_E_NS1_11comp_targetILNS1_3genE2ELNS1_11target_archE906ELNS1_3gpuE6ELNS1_3repE0EEENS1_30default_config_static_selectorELNS0_4arch9wavefront6targetE1EEEvT1_,comdat
.Lfunc_end200:
	.size	_ZN7rocprim17ROCPRIM_400000_NS6detail17trampoline_kernelINS0_14default_configENS1_25partition_config_selectorILNS1_17partition_subalgoE8ElNS0_10empty_typeEbEEZZNS1_14partition_implILS5_8ELb0ES3_jPlPS6_PKS6_NS0_5tupleIJS9_S6_EEENSD_IJSA_SA_EEENS0_18inequality_wrapperIZN2at6native12_GLOBAL__N_124unique_dim_cuda_templateIhEESt5tupleIJNSH_6TensorESM_SM_EERKSM_lbbbEUlllE0_EEPmJS6_EEE10hipError_tPvRmT3_T4_T5_T6_T7_T9_mT8_P12ihipStream_tbDpT10_ENKUlT_T0_E_clISt17integral_constantIbLb0EES1B_IbLb1EEEEDaS17_S18_EUlS17_E_NS1_11comp_targetILNS1_3genE2ELNS1_11target_archE906ELNS1_3gpuE6ELNS1_3repE0EEENS1_30default_config_static_selectorELNS0_4arch9wavefront6targetE1EEEvT1_, .Lfunc_end200-_ZN7rocprim17ROCPRIM_400000_NS6detail17trampoline_kernelINS0_14default_configENS1_25partition_config_selectorILNS1_17partition_subalgoE8ElNS0_10empty_typeEbEEZZNS1_14partition_implILS5_8ELb0ES3_jPlPS6_PKS6_NS0_5tupleIJS9_S6_EEENSD_IJSA_SA_EEENS0_18inequality_wrapperIZN2at6native12_GLOBAL__N_124unique_dim_cuda_templateIhEESt5tupleIJNSH_6TensorESM_SM_EERKSM_lbbbEUlllE0_EEPmJS6_EEE10hipError_tPvRmT3_T4_T5_T6_T7_T9_mT8_P12ihipStream_tbDpT10_ENKUlT_T0_E_clISt17integral_constantIbLb0EES1B_IbLb1EEEEDaS17_S18_EUlS17_E_NS1_11comp_targetILNS1_3genE2ELNS1_11target_archE906ELNS1_3gpuE6ELNS1_3repE0EEENS1_30default_config_static_selectorELNS0_4arch9wavefront6targetE1EEEvT1_
                                        ; -- End function
	.set _ZN7rocprim17ROCPRIM_400000_NS6detail17trampoline_kernelINS0_14default_configENS1_25partition_config_selectorILNS1_17partition_subalgoE8ElNS0_10empty_typeEbEEZZNS1_14partition_implILS5_8ELb0ES3_jPlPS6_PKS6_NS0_5tupleIJS9_S6_EEENSD_IJSA_SA_EEENS0_18inequality_wrapperIZN2at6native12_GLOBAL__N_124unique_dim_cuda_templateIhEESt5tupleIJNSH_6TensorESM_SM_EERKSM_lbbbEUlllE0_EEPmJS6_EEE10hipError_tPvRmT3_T4_T5_T6_T7_T9_mT8_P12ihipStream_tbDpT10_ENKUlT_T0_E_clISt17integral_constantIbLb0EES1B_IbLb1EEEEDaS17_S18_EUlS17_E_NS1_11comp_targetILNS1_3genE2ELNS1_11target_archE906ELNS1_3gpuE6ELNS1_3repE0EEENS1_30default_config_static_selectorELNS0_4arch9wavefront6targetE1EEEvT1_.num_vgpr, 0
	.set _ZN7rocprim17ROCPRIM_400000_NS6detail17trampoline_kernelINS0_14default_configENS1_25partition_config_selectorILNS1_17partition_subalgoE8ElNS0_10empty_typeEbEEZZNS1_14partition_implILS5_8ELb0ES3_jPlPS6_PKS6_NS0_5tupleIJS9_S6_EEENSD_IJSA_SA_EEENS0_18inequality_wrapperIZN2at6native12_GLOBAL__N_124unique_dim_cuda_templateIhEESt5tupleIJNSH_6TensorESM_SM_EERKSM_lbbbEUlllE0_EEPmJS6_EEE10hipError_tPvRmT3_T4_T5_T6_T7_T9_mT8_P12ihipStream_tbDpT10_ENKUlT_T0_E_clISt17integral_constantIbLb0EES1B_IbLb1EEEEDaS17_S18_EUlS17_E_NS1_11comp_targetILNS1_3genE2ELNS1_11target_archE906ELNS1_3gpuE6ELNS1_3repE0EEENS1_30default_config_static_selectorELNS0_4arch9wavefront6targetE1EEEvT1_.num_agpr, 0
	.set _ZN7rocprim17ROCPRIM_400000_NS6detail17trampoline_kernelINS0_14default_configENS1_25partition_config_selectorILNS1_17partition_subalgoE8ElNS0_10empty_typeEbEEZZNS1_14partition_implILS5_8ELb0ES3_jPlPS6_PKS6_NS0_5tupleIJS9_S6_EEENSD_IJSA_SA_EEENS0_18inequality_wrapperIZN2at6native12_GLOBAL__N_124unique_dim_cuda_templateIhEESt5tupleIJNSH_6TensorESM_SM_EERKSM_lbbbEUlllE0_EEPmJS6_EEE10hipError_tPvRmT3_T4_T5_T6_T7_T9_mT8_P12ihipStream_tbDpT10_ENKUlT_T0_E_clISt17integral_constantIbLb0EES1B_IbLb1EEEEDaS17_S18_EUlS17_E_NS1_11comp_targetILNS1_3genE2ELNS1_11target_archE906ELNS1_3gpuE6ELNS1_3repE0EEENS1_30default_config_static_selectorELNS0_4arch9wavefront6targetE1EEEvT1_.numbered_sgpr, 0
	.set _ZN7rocprim17ROCPRIM_400000_NS6detail17trampoline_kernelINS0_14default_configENS1_25partition_config_selectorILNS1_17partition_subalgoE8ElNS0_10empty_typeEbEEZZNS1_14partition_implILS5_8ELb0ES3_jPlPS6_PKS6_NS0_5tupleIJS9_S6_EEENSD_IJSA_SA_EEENS0_18inequality_wrapperIZN2at6native12_GLOBAL__N_124unique_dim_cuda_templateIhEESt5tupleIJNSH_6TensorESM_SM_EERKSM_lbbbEUlllE0_EEPmJS6_EEE10hipError_tPvRmT3_T4_T5_T6_T7_T9_mT8_P12ihipStream_tbDpT10_ENKUlT_T0_E_clISt17integral_constantIbLb0EES1B_IbLb1EEEEDaS17_S18_EUlS17_E_NS1_11comp_targetILNS1_3genE2ELNS1_11target_archE906ELNS1_3gpuE6ELNS1_3repE0EEENS1_30default_config_static_selectorELNS0_4arch9wavefront6targetE1EEEvT1_.num_named_barrier, 0
	.set _ZN7rocprim17ROCPRIM_400000_NS6detail17trampoline_kernelINS0_14default_configENS1_25partition_config_selectorILNS1_17partition_subalgoE8ElNS0_10empty_typeEbEEZZNS1_14partition_implILS5_8ELb0ES3_jPlPS6_PKS6_NS0_5tupleIJS9_S6_EEENSD_IJSA_SA_EEENS0_18inequality_wrapperIZN2at6native12_GLOBAL__N_124unique_dim_cuda_templateIhEESt5tupleIJNSH_6TensorESM_SM_EERKSM_lbbbEUlllE0_EEPmJS6_EEE10hipError_tPvRmT3_T4_T5_T6_T7_T9_mT8_P12ihipStream_tbDpT10_ENKUlT_T0_E_clISt17integral_constantIbLb0EES1B_IbLb1EEEEDaS17_S18_EUlS17_E_NS1_11comp_targetILNS1_3genE2ELNS1_11target_archE906ELNS1_3gpuE6ELNS1_3repE0EEENS1_30default_config_static_selectorELNS0_4arch9wavefront6targetE1EEEvT1_.private_seg_size, 0
	.set _ZN7rocprim17ROCPRIM_400000_NS6detail17trampoline_kernelINS0_14default_configENS1_25partition_config_selectorILNS1_17partition_subalgoE8ElNS0_10empty_typeEbEEZZNS1_14partition_implILS5_8ELb0ES3_jPlPS6_PKS6_NS0_5tupleIJS9_S6_EEENSD_IJSA_SA_EEENS0_18inequality_wrapperIZN2at6native12_GLOBAL__N_124unique_dim_cuda_templateIhEESt5tupleIJNSH_6TensorESM_SM_EERKSM_lbbbEUlllE0_EEPmJS6_EEE10hipError_tPvRmT3_T4_T5_T6_T7_T9_mT8_P12ihipStream_tbDpT10_ENKUlT_T0_E_clISt17integral_constantIbLb0EES1B_IbLb1EEEEDaS17_S18_EUlS17_E_NS1_11comp_targetILNS1_3genE2ELNS1_11target_archE906ELNS1_3gpuE6ELNS1_3repE0EEENS1_30default_config_static_selectorELNS0_4arch9wavefront6targetE1EEEvT1_.uses_vcc, 0
	.set _ZN7rocprim17ROCPRIM_400000_NS6detail17trampoline_kernelINS0_14default_configENS1_25partition_config_selectorILNS1_17partition_subalgoE8ElNS0_10empty_typeEbEEZZNS1_14partition_implILS5_8ELb0ES3_jPlPS6_PKS6_NS0_5tupleIJS9_S6_EEENSD_IJSA_SA_EEENS0_18inequality_wrapperIZN2at6native12_GLOBAL__N_124unique_dim_cuda_templateIhEESt5tupleIJNSH_6TensorESM_SM_EERKSM_lbbbEUlllE0_EEPmJS6_EEE10hipError_tPvRmT3_T4_T5_T6_T7_T9_mT8_P12ihipStream_tbDpT10_ENKUlT_T0_E_clISt17integral_constantIbLb0EES1B_IbLb1EEEEDaS17_S18_EUlS17_E_NS1_11comp_targetILNS1_3genE2ELNS1_11target_archE906ELNS1_3gpuE6ELNS1_3repE0EEENS1_30default_config_static_selectorELNS0_4arch9wavefront6targetE1EEEvT1_.uses_flat_scratch, 0
	.set _ZN7rocprim17ROCPRIM_400000_NS6detail17trampoline_kernelINS0_14default_configENS1_25partition_config_selectorILNS1_17partition_subalgoE8ElNS0_10empty_typeEbEEZZNS1_14partition_implILS5_8ELb0ES3_jPlPS6_PKS6_NS0_5tupleIJS9_S6_EEENSD_IJSA_SA_EEENS0_18inequality_wrapperIZN2at6native12_GLOBAL__N_124unique_dim_cuda_templateIhEESt5tupleIJNSH_6TensorESM_SM_EERKSM_lbbbEUlllE0_EEPmJS6_EEE10hipError_tPvRmT3_T4_T5_T6_T7_T9_mT8_P12ihipStream_tbDpT10_ENKUlT_T0_E_clISt17integral_constantIbLb0EES1B_IbLb1EEEEDaS17_S18_EUlS17_E_NS1_11comp_targetILNS1_3genE2ELNS1_11target_archE906ELNS1_3gpuE6ELNS1_3repE0EEENS1_30default_config_static_selectorELNS0_4arch9wavefront6targetE1EEEvT1_.has_dyn_sized_stack, 0
	.set _ZN7rocprim17ROCPRIM_400000_NS6detail17trampoline_kernelINS0_14default_configENS1_25partition_config_selectorILNS1_17partition_subalgoE8ElNS0_10empty_typeEbEEZZNS1_14partition_implILS5_8ELb0ES3_jPlPS6_PKS6_NS0_5tupleIJS9_S6_EEENSD_IJSA_SA_EEENS0_18inequality_wrapperIZN2at6native12_GLOBAL__N_124unique_dim_cuda_templateIhEESt5tupleIJNSH_6TensorESM_SM_EERKSM_lbbbEUlllE0_EEPmJS6_EEE10hipError_tPvRmT3_T4_T5_T6_T7_T9_mT8_P12ihipStream_tbDpT10_ENKUlT_T0_E_clISt17integral_constantIbLb0EES1B_IbLb1EEEEDaS17_S18_EUlS17_E_NS1_11comp_targetILNS1_3genE2ELNS1_11target_archE906ELNS1_3gpuE6ELNS1_3repE0EEENS1_30default_config_static_selectorELNS0_4arch9wavefront6targetE1EEEvT1_.has_recursion, 0
	.set _ZN7rocprim17ROCPRIM_400000_NS6detail17trampoline_kernelINS0_14default_configENS1_25partition_config_selectorILNS1_17partition_subalgoE8ElNS0_10empty_typeEbEEZZNS1_14partition_implILS5_8ELb0ES3_jPlPS6_PKS6_NS0_5tupleIJS9_S6_EEENSD_IJSA_SA_EEENS0_18inequality_wrapperIZN2at6native12_GLOBAL__N_124unique_dim_cuda_templateIhEESt5tupleIJNSH_6TensorESM_SM_EERKSM_lbbbEUlllE0_EEPmJS6_EEE10hipError_tPvRmT3_T4_T5_T6_T7_T9_mT8_P12ihipStream_tbDpT10_ENKUlT_T0_E_clISt17integral_constantIbLb0EES1B_IbLb1EEEEDaS17_S18_EUlS17_E_NS1_11comp_targetILNS1_3genE2ELNS1_11target_archE906ELNS1_3gpuE6ELNS1_3repE0EEENS1_30default_config_static_selectorELNS0_4arch9wavefront6targetE1EEEvT1_.has_indirect_call, 0
	.section	.AMDGPU.csdata,"",@progbits
; Kernel info:
; codeLenInByte = 0
; TotalNumSgprs: 6
; NumVgprs: 0
; NumAgprs: 0
; TotalNumVgprs: 0
; ScratchSize: 0
; MemoryBound: 0
; FloatMode: 240
; IeeeMode: 1
; LDSByteSize: 0 bytes/workgroup (compile time only)
; SGPRBlocks: 0
; VGPRBlocks: 0
; NumSGPRsForWavesPerEU: 6
; NumVGPRsForWavesPerEU: 1
; AccumOffset: 4
; Occupancy: 8
; WaveLimiterHint : 0
; COMPUTE_PGM_RSRC2:SCRATCH_EN: 0
; COMPUTE_PGM_RSRC2:USER_SGPR: 2
; COMPUTE_PGM_RSRC2:TRAP_HANDLER: 0
; COMPUTE_PGM_RSRC2:TGID_X_EN: 1
; COMPUTE_PGM_RSRC2:TGID_Y_EN: 0
; COMPUTE_PGM_RSRC2:TGID_Z_EN: 0
; COMPUTE_PGM_RSRC2:TIDIG_COMP_CNT: 0
; COMPUTE_PGM_RSRC3_GFX90A:ACCUM_OFFSET: 0
; COMPUTE_PGM_RSRC3_GFX90A:TG_SPLIT: 0
	.section	.text._ZN7rocprim17ROCPRIM_400000_NS6detail17trampoline_kernelINS0_14default_configENS1_25partition_config_selectorILNS1_17partition_subalgoE8ElNS0_10empty_typeEbEEZZNS1_14partition_implILS5_8ELb0ES3_jPlPS6_PKS6_NS0_5tupleIJS9_S6_EEENSD_IJSA_SA_EEENS0_18inequality_wrapperIZN2at6native12_GLOBAL__N_124unique_dim_cuda_templateIhEESt5tupleIJNSH_6TensorESM_SM_EERKSM_lbbbEUlllE0_EEPmJS6_EEE10hipError_tPvRmT3_T4_T5_T6_T7_T9_mT8_P12ihipStream_tbDpT10_ENKUlT_T0_E_clISt17integral_constantIbLb0EES1B_IbLb1EEEEDaS17_S18_EUlS17_E_NS1_11comp_targetILNS1_3genE10ELNS1_11target_archE1200ELNS1_3gpuE4ELNS1_3repE0EEENS1_30default_config_static_selectorELNS0_4arch9wavefront6targetE1EEEvT1_,"axG",@progbits,_ZN7rocprim17ROCPRIM_400000_NS6detail17trampoline_kernelINS0_14default_configENS1_25partition_config_selectorILNS1_17partition_subalgoE8ElNS0_10empty_typeEbEEZZNS1_14partition_implILS5_8ELb0ES3_jPlPS6_PKS6_NS0_5tupleIJS9_S6_EEENSD_IJSA_SA_EEENS0_18inequality_wrapperIZN2at6native12_GLOBAL__N_124unique_dim_cuda_templateIhEESt5tupleIJNSH_6TensorESM_SM_EERKSM_lbbbEUlllE0_EEPmJS6_EEE10hipError_tPvRmT3_T4_T5_T6_T7_T9_mT8_P12ihipStream_tbDpT10_ENKUlT_T0_E_clISt17integral_constantIbLb0EES1B_IbLb1EEEEDaS17_S18_EUlS17_E_NS1_11comp_targetILNS1_3genE10ELNS1_11target_archE1200ELNS1_3gpuE4ELNS1_3repE0EEENS1_30default_config_static_selectorELNS0_4arch9wavefront6targetE1EEEvT1_,comdat
	.globl	_ZN7rocprim17ROCPRIM_400000_NS6detail17trampoline_kernelINS0_14default_configENS1_25partition_config_selectorILNS1_17partition_subalgoE8ElNS0_10empty_typeEbEEZZNS1_14partition_implILS5_8ELb0ES3_jPlPS6_PKS6_NS0_5tupleIJS9_S6_EEENSD_IJSA_SA_EEENS0_18inequality_wrapperIZN2at6native12_GLOBAL__N_124unique_dim_cuda_templateIhEESt5tupleIJNSH_6TensorESM_SM_EERKSM_lbbbEUlllE0_EEPmJS6_EEE10hipError_tPvRmT3_T4_T5_T6_T7_T9_mT8_P12ihipStream_tbDpT10_ENKUlT_T0_E_clISt17integral_constantIbLb0EES1B_IbLb1EEEEDaS17_S18_EUlS17_E_NS1_11comp_targetILNS1_3genE10ELNS1_11target_archE1200ELNS1_3gpuE4ELNS1_3repE0EEENS1_30default_config_static_selectorELNS0_4arch9wavefront6targetE1EEEvT1_ ; -- Begin function _ZN7rocprim17ROCPRIM_400000_NS6detail17trampoline_kernelINS0_14default_configENS1_25partition_config_selectorILNS1_17partition_subalgoE8ElNS0_10empty_typeEbEEZZNS1_14partition_implILS5_8ELb0ES3_jPlPS6_PKS6_NS0_5tupleIJS9_S6_EEENSD_IJSA_SA_EEENS0_18inequality_wrapperIZN2at6native12_GLOBAL__N_124unique_dim_cuda_templateIhEESt5tupleIJNSH_6TensorESM_SM_EERKSM_lbbbEUlllE0_EEPmJS6_EEE10hipError_tPvRmT3_T4_T5_T6_T7_T9_mT8_P12ihipStream_tbDpT10_ENKUlT_T0_E_clISt17integral_constantIbLb0EES1B_IbLb1EEEEDaS17_S18_EUlS17_E_NS1_11comp_targetILNS1_3genE10ELNS1_11target_archE1200ELNS1_3gpuE4ELNS1_3repE0EEENS1_30default_config_static_selectorELNS0_4arch9wavefront6targetE1EEEvT1_
	.p2align	8
	.type	_ZN7rocprim17ROCPRIM_400000_NS6detail17trampoline_kernelINS0_14default_configENS1_25partition_config_selectorILNS1_17partition_subalgoE8ElNS0_10empty_typeEbEEZZNS1_14partition_implILS5_8ELb0ES3_jPlPS6_PKS6_NS0_5tupleIJS9_S6_EEENSD_IJSA_SA_EEENS0_18inequality_wrapperIZN2at6native12_GLOBAL__N_124unique_dim_cuda_templateIhEESt5tupleIJNSH_6TensorESM_SM_EERKSM_lbbbEUlllE0_EEPmJS6_EEE10hipError_tPvRmT3_T4_T5_T6_T7_T9_mT8_P12ihipStream_tbDpT10_ENKUlT_T0_E_clISt17integral_constantIbLb0EES1B_IbLb1EEEEDaS17_S18_EUlS17_E_NS1_11comp_targetILNS1_3genE10ELNS1_11target_archE1200ELNS1_3gpuE4ELNS1_3repE0EEENS1_30default_config_static_selectorELNS0_4arch9wavefront6targetE1EEEvT1_,@function
_ZN7rocprim17ROCPRIM_400000_NS6detail17trampoline_kernelINS0_14default_configENS1_25partition_config_selectorILNS1_17partition_subalgoE8ElNS0_10empty_typeEbEEZZNS1_14partition_implILS5_8ELb0ES3_jPlPS6_PKS6_NS0_5tupleIJS9_S6_EEENSD_IJSA_SA_EEENS0_18inequality_wrapperIZN2at6native12_GLOBAL__N_124unique_dim_cuda_templateIhEESt5tupleIJNSH_6TensorESM_SM_EERKSM_lbbbEUlllE0_EEPmJS6_EEE10hipError_tPvRmT3_T4_T5_T6_T7_T9_mT8_P12ihipStream_tbDpT10_ENKUlT_T0_E_clISt17integral_constantIbLb0EES1B_IbLb1EEEEDaS17_S18_EUlS17_E_NS1_11comp_targetILNS1_3genE10ELNS1_11target_archE1200ELNS1_3gpuE4ELNS1_3repE0EEENS1_30default_config_static_selectorELNS0_4arch9wavefront6targetE1EEEvT1_: ; @_ZN7rocprim17ROCPRIM_400000_NS6detail17trampoline_kernelINS0_14default_configENS1_25partition_config_selectorILNS1_17partition_subalgoE8ElNS0_10empty_typeEbEEZZNS1_14partition_implILS5_8ELb0ES3_jPlPS6_PKS6_NS0_5tupleIJS9_S6_EEENSD_IJSA_SA_EEENS0_18inequality_wrapperIZN2at6native12_GLOBAL__N_124unique_dim_cuda_templateIhEESt5tupleIJNSH_6TensorESM_SM_EERKSM_lbbbEUlllE0_EEPmJS6_EEE10hipError_tPvRmT3_T4_T5_T6_T7_T9_mT8_P12ihipStream_tbDpT10_ENKUlT_T0_E_clISt17integral_constantIbLb0EES1B_IbLb1EEEEDaS17_S18_EUlS17_E_NS1_11comp_targetILNS1_3genE10ELNS1_11target_archE1200ELNS1_3gpuE4ELNS1_3repE0EEENS1_30default_config_static_selectorELNS0_4arch9wavefront6targetE1EEEvT1_
; %bb.0:
	.section	.rodata,"a",@progbits
	.p2align	6, 0x0
	.amdhsa_kernel _ZN7rocprim17ROCPRIM_400000_NS6detail17trampoline_kernelINS0_14default_configENS1_25partition_config_selectorILNS1_17partition_subalgoE8ElNS0_10empty_typeEbEEZZNS1_14partition_implILS5_8ELb0ES3_jPlPS6_PKS6_NS0_5tupleIJS9_S6_EEENSD_IJSA_SA_EEENS0_18inequality_wrapperIZN2at6native12_GLOBAL__N_124unique_dim_cuda_templateIhEESt5tupleIJNSH_6TensorESM_SM_EERKSM_lbbbEUlllE0_EEPmJS6_EEE10hipError_tPvRmT3_T4_T5_T6_T7_T9_mT8_P12ihipStream_tbDpT10_ENKUlT_T0_E_clISt17integral_constantIbLb0EES1B_IbLb1EEEEDaS17_S18_EUlS17_E_NS1_11comp_targetILNS1_3genE10ELNS1_11target_archE1200ELNS1_3gpuE4ELNS1_3repE0EEENS1_30default_config_static_selectorELNS0_4arch9wavefront6targetE1EEEvT1_
		.amdhsa_group_segment_fixed_size 0
		.amdhsa_private_segment_fixed_size 0
		.amdhsa_kernarg_size 136
		.amdhsa_user_sgpr_count 2
		.amdhsa_user_sgpr_dispatch_ptr 0
		.amdhsa_user_sgpr_queue_ptr 0
		.amdhsa_user_sgpr_kernarg_segment_ptr 1
		.amdhsa_user_sgpr_dispatch_id 0
		.amdhsa_user_sgpr_kernarg_preload_length 0
		.amdhsa_user_sgpr_kernarg_preload_offset 0
		.amdhsa_user_sgpr_private_segment_size 0
		.amdhsa_uses_dynamic_stack 0
		.amdhsa_enable_private_segment 0
		.amdhsa_system_sgpr_workgroup_id_x 1
		.amdhsa_system_sgpr_workgroup_id_y 0
		.amdhsa_system_sgpr_workgroup_id_z 0
		.amdhsa_system_sgpr_workgroup_info 0
		.amdhsa_system_vgpr_workitem_id 0
		.amdhsa_next_free_vgpr 1
		.amdhsa_next_free_sgpr 0
		.amdhsa_accum_offset 4
		.amdhsa_reserve_vcc 0
		.amdhsa_float_round_mode_32 0
		.amdhsa_float_round_mode_16_64 0
		.amdhsa_float_denorm_mode_32 3
		.amdhsa_float_denorm_mode_16_64 3
		.amdhsa_dx10_clamp 1
		.amdhsa_ieee_mode 1
		.amdhsa_fp16_overflow 0
		.amdhsa_tg_split 0
		.amdhsa_exception_fp_ieee_invalid_op 0
		.amdhsa_exception_fp_denorm_src 0
		.amdhsa_exception_fp_ieee_div_zero 0
		.amdhsa_exception_fp_ieee_overflow 0
		.amdhsa_exception_fp_ieee_underflow 0
		.amdhsa_exception_fp_ieee_inexact 0
		.amdhsa_exception_int_div_zero 0
	.end_amdhsa_kernel
	.section	.text._ZN7rocprim17ROCPRIM_400000_NS6detail17trampoline_kernelINS0_14default_configENS1_25partition_config_selectorILNS1_17partition_subalgoE8ElNS0_10empty_typeEbEEZZNS1_14partition_implILS5_8ELb0ES3_jPlPS6_PKS6_NS0_5tupleIJS9_S6_EEENSD_IJSA_SA_EEENS0_18inequality_wrapperIZN2at6native12_GLOBAL__N_124unique_dim_cuda_templateIhEESt5tupleIJNSH_6TensorESM_SM_EERKSM_lbbbEUlllE0_EEPmJS6_EEE10hipError_tPvRmT3_T4_T5_T6_T7_T9_mT8_P12ihipStream_tbDpT10_ENKUlT_T0_E_clISt17integral_constantIbLb0EES1B_IbLb1EEEEDaS17_S18_EUlS17_E_NS1_11comp_targetILNS1_3genE10ELNS1_11target_archE1200ELNS1_3gpuE4ELNS1_3repE0EEENS1_30default_config_static_selectorELNS0_4arch9wavefront6targetE1EEEvT1_,"axG",@progbits,_ZN7rocprim17ROCPRIM_400000_NS6detail17trampoline_kernelINS0_14default_configENS1_25partition_config_selectorILNS1_17partition_subalgoE8ElNS0_10empty_typeEbEEZZNS1_14partition_implILS5_8ELb0ES3_jPlPS6_PKS6_NS0_5tupleIJS9_S6_EEENSD_IJSA_SA_EEENS0_18inequality_wrapperIZN2at6native12_GLOBAL__N_124unique_dim_cuda_templateIhEESt5tupleIJNSH_6TensorESM_SM_EERKSM_lbbbEUlllE0_EEPmJS6_EEE10hipError_tPvRmT3_T4_T5_T6_T7_T9_mT8_P12ihipStream_tbDpT10_ENKUlT_T0_E_clISt17integral_constantIbLb0EES1B_IbLb1EEEEDaS17_S18_EUlS17_E_NS1_11comp_targetILNS1_3genE10ELNS1_11target_archE1200ELNS1_3gpuE4ELNS1_3repE0EEENS1_30default_config_static_selectorELNS0_4arch9wavefront6targetE1EEEvT1_,comdat
.Lfunc_end201:
	.size	_ZN7rocprim17ROCPRIM_400000_NS6detail17trampoline_kernelINS0_14default_configENS1_25partition_config_selectorILNS1_17partition_subalgoE8ElNS0_10empty_typeEbEEZZNS1_14partition_implILS5_8ELb0ES3_jPlPS6_PKS6_NS0_5tupleIJS9_S6_EEENSD_IJSA_SA_EEENS0_18inequality_wrapperIZN2at6native12_GLOBAL__N_124unique_dim_cuda_templateIhEESt5tupleIJNSH_6TensorESM_SM_EERKSM_lbbbEUlllE0_EEPmJS6_EEE10hipError_tPvRmT3_T4_T5_T6_T7_T9_mT8_P12ihipStream_tbDpT10_ENKUlT_T0_E_clISt17integral_constantIbLb0EES1B_IbLb1EEEEDaS17_S18_EUlS17_E_NS1_11comp_targetILNS1_3genE10ELNS1_11target_archE1200ELNS1_3gpuE4ELNS1_3repE0EEENS1_30default_config_static_selectorELNS0_4arch9wavefront6targetE1EEEvT1_, .Lfunc_end201-_ZN7rocprim17ROCPRIM_400000_NS6detail17trampoline_kernelINS0_14default_configENS1_25partition_config_selectorILNS1_17partition_subalgoE8ElNS0_10empty_typeEbEEZZNS1_14partition_implILS5_8ELb0ES3_jPlPS6_PKS6_NS0_5tupleIJS9_S6_EEENSD_IJSA_SA_EEENS0_18inequality_wrapperIZN2at6native12_GLOBAL__N_124unique_dim_cuda_templateIhEESt5tupleIJNSH_6TensorESM_SM_EERKSM_lbbbEUlllE0_EEPmJS6_EEE10hipError_tPvRmT3_T4_T5_T6_T7_T9_mT8_P12ihipStream_tbDpT10_ENKUlT_T0_E_clISt17integral_constantIbLb0EES1B_IbLb1EEEEDaS17_S18_EUlS17_E_NS1_11comp_targetILNS1_3genE10ELNS1_11target_archE1200ELNS1_3gpuE4ELNS1_3repE0EEENS1_30default_config_static_selectorELNS0_4arch9wavefront6targetE1EEEvT1_
                                        ; -- End function
	.set _ZN7rocprim17ROCPRIM_400000_NS6detail17trampoline_kernelINS0_14default_configENS1_25partition_config_selectorILNS1_17partition_subalgoE8ElNS0_10empty_typeEbEEZZNS1_14partition_implILS5_8ELb0ES3_jPlPS6_PKS6_NS0_5tupleIJS9_S6_EEENSD_IJSA_SA_EEENS0_18inequality_wrapperIZN2at6native12_GLOBAL__N_124unique_dim_cuda_templateIhEESt5tupleIJNSH_6TensorESM_SM_EERKSM_lbbbEUlllE0_EEPmJS6_EEE10hipError_tPvRmT3_T4_T5_T6_T7_T9_mT8_P12ihipStream_tbDpT10_ENKUlT_T0_E_clISt17integral_constantIbLb0EES1B_IbLb1EEEEDaS17_S18_EUlS17_E_NS1_11comp_targetILNS1_3genE10ELNS1_11target_archE1200ELNS1_3gpuE4ELNS1_3repE0EEENS1_30default_config_static_selectorELNS0_4arch9wavefront6targetE1EEEvT1_.num_vgpr, 0
	.set _ZN7rocprim17ROCPRIM_400000_NS6detail17trampoline_kernelINS0_14default_configENS1_25partition_config_selectorILNS1_17partition_subalgoE8ElNS0_10empty_typeEbEEZZNS1_14partition_implILS5_8ELb0ES3_jPlPS6_PKS6_NS0_5tupleIJS9_S6_EEENSD_IJSA_SA_EEENS0_18inequality_wrapperIZN2at6native12_GLOBAL__N_124unique_dim_cuda_templateIhEESt5tupleIJNSH_6TensorESM_SM_EERKSM_lbbbEUlllE0_EEPmJS6_EEE10hipError_tPvRmT3_T4_T5_T6_T7_T9_mT8_P12ihipStream_tbDpT10_ENKUlT_T0_E_clISt17integral_constantIbLb0EES1B_IbLb1EEEEDaS17_S18_EUlS17_E_NS1_11comp_targetILNS1_3genE10ELNS1_11target_archE1200ELNS1_3gpuE4ELNS1_3repE0EEENS1_30default_config_static_selectorELNS0_4arch9wavefront6targetE1EEEvT1_.num_agpr, 0
	.set _ZN7rocprim17ROCPRIM_400000_NS6detail17trampoline_kernelINS0_14default_configENS1_25partition_config_selectorILNS1_17partition_subalgoE8ElNS0_10empty_typeEbEEZZNS1_14partition_implILS5_8ELb0ES3_jPlPS6_PKS6_NS0_5tupleIJS9_S6_EEENSD_IJSA_SA_EEENS0_18inequality_wrapperIZN2at6native12_GLOBAL__N_124unique_dim_cuda_templateIhEESt5tupleIJNSH_6TensorESM_SM_EERKSM_lbbbEUlllE0_EEPmJS6_EEE10hipError_tPvRmT3_T4_T5_T6_T7_T9_mT8_P12ihipStream_tbDpT10_ENKUlT_T0_E_clISt17integral_constantIbLb0EES1B_IbLb1EEEEDaS17_S18_EUlS17_E_NS1_11comp_targetILNS1_3genE10ELNS1_11target_archE1200ELNS1_3gpuE4ELNS1_3repE0EEENS1_30default_config_static_selectorELNS0_4arch9wavefront6targetE1EEEvT1_.numbered_sgpr, 0
	.set _ZN7rocprim17ROCPRIM_400000_NS6detail17trampoline_kernelINS0_14default_configENS1_25partition_config_selectorILNS1_17partition_subalgoE8ElNS0_10empty_typeEbEEZZNS1_14partition_implILS5_8ELb0ES3_jPlPS6_PKS6_NS0_5tupleIJS9_S6_EEENSD_IJSA_SA_EEENS0_18inequality_wrapperIZN2at6native12_GLOBAL__N_124unique_dim_cuda_templateIhEESt5tupleIJNSH_6TensorESM_SM_EERKSM_lbbbEUlllE0_EEPmJS6_EEE10hipError_tPvRmT3_T4_T5_T6_T7_T9_mT8_P12ihipStream_tbDpT10_ENKUlT_T0_E_clISt17integral_constantIbLb0EES1B_IbLb1EEEEDaS17_S18_EUlS17_E_NS1_11comp_targetILNS1_3genE10ELNS1_11target_archE1200ELNS1_3gpuE4ELNS1_3repE0EEENS1_30default_config_static_selectorELNS0_4arch9wavefront6targetE1EEEvT1_.num_named_barrier, 0
	.set _ZN7rocprim17ROCPRIM_400000_NS6detail17trampoline_kernelINS0_14default_configENS1_25partition_config_selectorILNS1_17partition_subalgoE8ElNS0_10empty_typeEbEEZZNS1_14partition_implILS5_8ELb0ES3_jPlPS6_PKS6_NS0_5tupleIJS9_S6_EEENSD_IJSA_SA_EEENS0_18inequality_wrapperIZN2at6native12_GLOBAL__N_124unique_dim_cuda_templateIhEESt5tupleIJNSH_6TensorESM_SM_EERKSM_lbbbEUlllE0_EEPmJS6_EEE10hipError_tPvRmT3_T4_T5_T6_T7_T9_mT8_P12ihipStream_tbDpT10_ENKUlT_T0_E_clISt17integral_constantIbLb0EES1B_IbLb1EEEEDaS17_S18_EUlS17_E_NS1_11comp_targetILNS1_3genE10ELNS1_11target_archE1200ELNS1_3gpuE4ELNS1_3repE0EEENS1_30default_config_static_selectorELNS0_4arch9wavefront6targetE1EEEvT1_.private_seg_size, 0
	.set _ZN7rocprim17ROCPRIM_400000_NS6detail17trampoline_kernelINS0_14default_configENS1_25partition_config_selectorILNS1_17partition_subalgoE8ElNS0_10empty_typeEbEEZZNS1_14partition_implILS5_8ELb0ES3_jPlPS6_PKS6_NS0_5tupleIJS9_S6_EEENSD_IJSA_SA_EEENS0_18inequality_wrapperIZN2at6native12_GLOBAL__N_124unique_dim_cuda_templateIhEESt5tupleIJNSH_6TensorESM_SM_EERKSM_lbbbEUlllE0_EEPmJS6_EEE10hipError_tPvRmT3_T4_T5_T6_T7_T9_mT8_P12ihipStream_tbDpT10_ENKUlT_T0_E_clISt17integral_constantIbLb0EES1B_IbLb1EEEEDaS17_S18_EUlS17_E_NS1_11comp_targetILNS1_3genE10ELNS1_11target_archE1200ELNS1_3gpuE4ELNS1_3repE0EEENS1_30default_config_static_selectorELNS0_4arch9wavefront6targetE1EEEvT1_.uses_vcc, 0
	.set _ZN7rocprim17ROCPRIM_400000_NS6detail17trampoline_kernelINS0_14default_configENS1_25partition_config_selectorILNS1_17partition_subalgoE8ElNS0_10empty_typeEbEEZZNS1_14partition_implILS5_8ELb0ES3_jPlPS6_PKS6_NS0_5tupleIJS9_S6_EEENSD_IJSA_SA_EEENS0_18inequality_wrapperIZN2at6native12_GLOBAL__N_124unique_dim_cuda_templateIhEESt5tupleIJNSH_6TensorESM_SM_EERKSM_lbbbEUlllE0_EEPmJS6_EEE10hipError_tPvRmT3_T4_T5_T6_T7_T9_mT8_P12ihipStream_tbDpT10_ENKUlT_T0_E_clISt17integral_constantIbLb0EES1B_IbLb1EEEEDaS17_S18_EUlS17_E_NS1_11comp_targetILNS1_3genE10ELNS1_11target_archE1200ELNS1_3gpuE4ELNS1_3repE0EEENS1_30default_config_static_selectorELNS0_4arch9wavefront6targetE1EEEvT1_.uses_flat_scratch, 0
	.set _ZN7rocprim17ROCPRIM_400000_NS6detail17trampoline_kernelINS0_14default_configENS1_25partition_config_selectorILNS1_17partition_subalgoE8ElNS0_10empty_typeEbEEZZNS1_14partition_implILS5_8ELb0ES3_jPlPS6_PKS6_NS0_5tupleIJS9_S6_EEENSD_IJSA_SA_EEENS0_18inequality_wrapperIZN2at6native12_GLOBAL__N_124unique_dim_cuda_templateIhEESt5tupleIJNSH_6TensorESM_SM_EERKSM_lbbbEUlllE0_EEPmJS6_EEE10hipError_tPvRmT3_T4_T5_T6_T7_T9_mT8_P12ihipStream_tbDpT10_ENKUlT_T0_E_clISt17integral_constantIbLb0EES1B_IbLb1EEEEDaS17_S18_EUlS17_E_NS1_11comp_targetILNS1_3genE10ELNS1_11target_archE1200ELNS1_3gpuE4ELNS1_3repE0EEENS1_30default_config_static_selectorELNS0_4arch9wavefront6targetE1EEEvT1_.has_dyn_sized_stack, 0
	.set _ZN7rocprim17ROCPRIM_400000_NS6detail17trampoline_kernelINS0_14default_configENS1_25partition_config_selectorILNS1_17partition_subalgoE8ElNS0_10empty_typeEbEEZZNS1_14partition_implILS5_8ELb0ES3_jPlPS6_PKS6_NS0_5tupleIJS9_S6_EEENSD_IJSA_SA_EEENS0_18inequality_wrapperIZN2at6native12_GLOBAL__N_124unique_dim_cuda_templateIhEESt5tupleIJNSH_6TensorESM_SM_EERKSM_lbbbEUlllE0_EEPmJS6_EEE10hipError_tPvRmT3_T4_T5_T6_T7_T9_mT8_P12ihipStream_tbDpT10_ENKUlT_T0_E_clISt17integral_constantIbLb0EES1B_IbLb1EEEEDaS17_S18_EUlS17_E_NS1_11comp_targetILNS1_3genE10ELNS1_11target_archE1200ELNS1_3gpuE4ELNS1_3repE0EEENS1_30default_config_static_selectorELNS0_4arch9wavefront6targetE1EEEvT1_.has_recursion, 0
	.set _ZN7rocprim17ROCPRIM_400000_NS6detail17trampoline_kernelINS0_14default_configENS1_25partition_config_selectorILNS1_17partition_subalgoE8ElNS0_10empty_typeEbEEZZNS1_14partition_implILS5_8ELb0ES3_jPlPS6_PKS6_NS0_5tupleIJS9_S6_EEENSD_IJSA_SA_EEENS0_18inequality_wrapperIZN2at6native12_GLOBAL__N_124unique_dim_cuda_templateIhEESt5tupleIJNSH_6TensorESM_SM_EERKSM_lbbbEUlllE0_EEPmJS6_EEE10hipError_tPvRmT3_T4_T5_T6_T7_T9_mT8_P12ihipStream_tbDpT10_ENKUlT_T0_E_clISt17integral_constantIbLb0EES1B_IbLb1EEEEDaS17_S18_EUlS17_E_NS1_11comp_targetILNS1_3genE10ELNS1_11target_archE1200ELNS1_3gpuE4ELNS1_3repE0EEENS1_30default_config_static_selectorELNS0_4arch9wavefront6targetE1EEEvT1_.has_indirect_call, 0
	.section	.AMDGPU.csdata,"",@progbits
; Kernel info:
; codeLenInByte = 0
; TotalNumSgprs: 6
; NumVgprs: 0
; NumAgprs: 0
; TotalNumVgprs: 0
; ScratchSize: 0
; MemoryBound: 0
; FloatMode: 240
; IeeeMode: 1
; LDSByteSize: 0 bytes/workgroup (compile time only)
; SGPRBlocks: 0
; VGPRBlocks: 0
; NumSGPRsForWavesPerEU: 6
; NumVGPRsForWavesPerEU: 1
; AccumOffset: 4
; Occupancy: 8
; WaveLimiterHint : 0
; COMPUTE_PGM_RSRC2:SCRATCH_EN: 0
; COMPUTE_PGM_RSRC2:USER_SGPR: 2
; COMPUTE_PGM_RSRC2:TRAP_HANDLER: 0
; COMPUTE_PGM_RSRC2:TGID_X_EN: 1
; COMPUTE_PGM_RSRC2:TGID_Y_EN: 0
; COMPUTE_PGM_RSRC2:TGID_Z_EN: 0
; COMPUTE_PGM_RSRC2:TIDIG_COMP_CNT: 0
; COMPUTE_PGM_RSRC3_GFX90A:ACCUM_OFFSET: 0
; COMPUTE_PGM_RSRC3_GFX90A:TG_SPLIT: 0
	.section	.text._ZN7rocprim17ROCPRIM_400000_NS6detail17trampoline_kernelINS0_14default_configENS1_25partition_config_selectorILNS1_17partition_subalgoE8ElNS0_10empty_typeEbEEZZNS1_14partition_implILS5_8ELb0ES3_jPlPS6_PKS6_NS0_5tupleIJS9_S6_EEENSD_IJSA_SA_EEENS0_18inequality_wrapperIZN2at6native12_GLOBAL__N_124unique_dim_cuda_templateIhEESt5tupleIJNSH_6TensorESM_SM_EERKSM_lbbbEUlllE0_EEPmJS6_EEE10hipError_tPvRmT3_T4_T5_T6_T7_T9_mT8_P12ihipStream_tbDpT10_ENKUlT_T0_E_clISt17integral_constantIbLb0EES1B_IbLb1EEEEDaS17_S18_EUlS17_E_NS1_11comp_targetILNS1_3genE9ELNS1_11target_archE1100ELNS1_3gpuE3ELNS1_3repE0EEENS1_30default_config_static_selectorELNS0_4arch9wavefront6targetE1EEEvT1_,"axG",@progbits,_ZN7rocprim17ROCPRIM_400000_NS6detail17trampoline_kernelINS0_14default_configENS1_25partition_config_selectorILNS1_17partition_subalgoE8ElNS0_10empty_typeEbEEZZNS1_14partition_implILS5_8ELb0ES3_jPlPS6_PKS6_NS0_5tupleIJS9_S6_EEENSD_IJSA_SA_EEENS0_18inequality_wrapperIZN2at6native12_GLOBAL__N_124unique_dim_cuda_templateIhEESt5tupleIJNSH_6TensorESM_SM_EERKSM_lbbbEUlllE0_EEPmJS6_EEE10hipError_tPvRmT3_T4_T5_T6_T7_T9_mT8_P12ihipStream_tbDpT10_ENKUlT_T0_E_clISt17integral_constantIbLb0EES1B_IbLb1EEEEDaS17_S18_EUlS17_E_NS1_11comp_targetILNS1_3genE9ELNS1_11target_archE1100ELNS1_3gpuE3ELNS1_3repE0EEENS1_30default_config_static_selectorELNS0_4arch9wavefront6targetE1EEEvT1_,comdat
	.globl	_ZN7rocprim17ROCPRIM_400000_NS6detail17trampoline_kernelINS0_14default_configENS1_25partition_config_selectorILNS1_17partition_subalgoE8ElNS0_10empty_typeEbEEZZNS1_14partition_implILS5_8ELb0ES3_jPlPS6_PKS6_NS0_5tupleIJS9_S6_EEENSD_IJSA_SA_EEENS0_18inequality_wrapperIZN2at6native12_GLOBAL__N_124unique_dim_cuda_templateIhEESt5tupleIJNSH_6TensorESM_SM_EERKSM_lbbbEUlllE0_EEPmJS6_EEE10hipError_tPvRmT3_T4_T5_T6_T7_T9_mT8_P12ihipStream_tbDpT10_ENKUlT_T0_E_clISt17integral_constantIbLb0EES1B_IbLb1EEEEDaS17_S18_EUlS17_E_NS1_11comp_targetILNS1_3genE9ELNS1_11target_archE1100ELNS1_3gpuE3ELNS1_3repE0EEENS1_30default_config_static_selectorELNS0_4arch9wavefront6targetE1EEEvT1_ ; -- Begin function _ZN7rocprim17ROCPRIM_400000_NS6detail17trampoline_kernelINS0_14default_configENS1_25partition_config_selectorILNS1_17partition_subalgoE8ElNS0_10empty_typeEbEEZZNS1_14partition_implILS5_8ELb0ES3_jPlPS6_PKS6_NS0_5tupleIJS9_S6_EEENSD_IJSA_SA_EEENS0_18inequality_wrapperIZN2at6native12_GLOBAL__N_124unique_dim_cuda_templateIhEESt5tupleIJNSH_6TensorESM_SM_EERKSM_lbbbEUlllE0_EEPmJS6_EEE10hipError_tPvRmT3_T4_T5_T6_T7_T9_mT8_P12ihipStream_tbDpT10_ENKUlT_T0_E_clISt17integral_constantIbLb0EES1B_IbLb1EEEEDaS17_S18_EUlS17_E_NS1_11comp_targetILNS1_3genE9ELNS1_11target_archE1100ELNS1_3gpuE3ELNS1_3repE0EEENS1_30default_config_static_selectorELNS0_4arch9wavefront6targetE1EEEvT1_
	.p2align	8
	.type	_ZN7rocprim17ROCPRIM_400000_NS6detail17trampoline_kernelINS0_14default_configENS1_25partition_config_selectorILNS1_17partition_subalgoE8ElNS0_10empty_typeEbEEZZNS1_14partition_implILS5_8ELb0ES3_jPlPS6_PKS6_NS0_5tupleIJS9_S6_EEENSD_IJSA_SA_EEENS0_18inequality_wrapperIZN2at6native12_GLOBAL__N_124unique_dim_cuda_templateIhEESt5tupleIJNSH_6TensorESM_SM_EERKSM_lbbbEUlllE0_EEPmJS6_EEE10hipError_tPvRmT3_T4_T5_T6_T7_T9_mT8_P12ihipStream_tbDpT10_ENKUlT_T0_E_clISt17integral_constantIbLb0EES1B_IbLb1EEEEDaS17_S18_EUlS17_E_NS1_11comp_targetILNS1_3genE9ELNS1_11target_archE1100ELNS1_3gpuE3ELNS1_3repE0EEENS1_30default_config_static_selectorELNS0_4arch9wavefront6targetE1EEEvT1_,@function
_ZN7rocprim17ROCPRIM_400000_NS6detail17trampoline_kernelINS0_14default_configENS1_25partition_config_selectorILNS1_17partition_subalgoE8ElNS0_10empty_typeEbEEZZNS1_14partition_implILS5_8ELb0ES3_jPlPS6_PKS6_NS0_5tupleIJS9_S6_EEENSD_IJSA_SA_EEENS0_18inequality_wrapperIZN2at6native12_GLOBAL__N_124unique_dim_cuda_templateIhEESt5tupleIJNSH_6TensorESM_SM_EERKSM_lbbbEUlllE0_EEPmJS6_EEE10hipError_tPvRmT3_T4_T5_T6_T7_T9_mT8_P12ihipStream_tbDpT10_ENKUlT_T0_E_clISt17integral_constantIbLb0EES1B_IbLb1EEEEDaS17_S18_EUlS17_E_NS1_11comp_targetILNS1_3genE9ELNS1_11target_archE1100ELNS1_3gpuE3ELNS1_3repE0EEENS1_30default_config_static_selectorELNS0_4arch9wavefront6targetE1EEEvT1_: ; @_ZN7rocprim17ROCPRIM_400000_NS6detail17trampoline_kernelINS0_14default_configENS1_25partition_config_selectorILNS1_17partition_subalgoE8ElNS0_10empty_typeEbEEZZNS1_14partition_implILS5_8ELb0ES3_jPlPS6_PKS6_NS0_5tupleIJS9_S6_EEENSD_IJSA_SA_EEENS0_18inequality_wrapperIZN2at6native12_GLOBAL__N_124unique_dim_cuda_templateIhEESt5tupleIJNSH_6TensorESM_SM_EERKSM_lbbbEUlllE0_EEPmJS6_EEE10hipError_tPvRmT3_T4_T5_T6_T7_T9_mT8_P12ihipStream_tbDpT10_ENKUlT_T0_E_clISt17integral_constantIbLb0EES1B_IbLb1EEEEDaS17_S18_EUlS17_E_NS1_11comp_targetILNS1_3genE9ELNS1_11target_archE1100ELNS1_3gpuE3ELNS1_3repE0EEENS1_30default_config_static_selectorELNS0_4arch9wavefront6targetE1EEEvT1_
; %bb.0:
	.section	.rodata,"a",@progbits
	.p2align	6, 0x0
	.amdhsa_kernel _ZN7rocprim17ROCPRIM_400000_NS6detail17trampoline_kernelINS0_14default_configENS1_25partition_config_selectorILNS1_17partition_subalgoE8ElNS0_10empty_typeEbEEZZNS1_14partition_implILS5_8ELb0ES3_jPlPS6_PKS6_NS0_5tupleIJS9_S6_EEENSD_IJSA_SA_EEENS0_18inequality_wrapperIZN2at6native12_GLOBAL__N_124unique_dim_cuda_templateIhEESt5tupleIJNSH_6TensorESM_SM_EERKSM_lbbbEUlllE0_EEPmJS6_EEE10hipError_tPvRmT3_T4_T5_T6_T7_T9_mT8_P12ihipStream_tbDpT10_ENKUlT_T0_E_clISt17integral_constantIbLb0EES1B_IbLb1EEEEDaS17_S18_EUlS17_E_NS1_11comp_targetILNS1_3genE9ELNS1_11target_archE1100ELNS1_3gpuE3ELNS1_3repE0EEENS1_30default_config_static_selectorELNS0_4arch9wavefront6targetE1EEEvT1_
		.amdhsa_group_segment_fixed_size 0
		.amdhsa_private_segment_fixed_size 0
		.amdhsa_kernarg_size 136
		.amdhsa_user_sgpr_count 2
		.amdhsa_user_sgpr_dispatch_ptr 0
		.amdhsa_user_sgpr_queue_ptr 0
		.amdhsa_user_sgpr_kernarg_segment_ptr 1
		.amdhsa_user_sgpr_dispatch_id 0
		.amdhsa_user_sgpr_kernarg_preload_length 0
		.amdhsa_user_sgpr_kernarg_preload_offset 0
		.amdhsa_user_sgpr_private_segment_size 0
		.amdhsa_uses_dynamic_stack 0
		.amdhsa_enable_private_segment 0
		.amdhsa_system_sgpr_workgroup_id_x 1
		.amdhsa_system_sgpr_workgroup_id_y 0
		.amdhsa_system_sgpr_workgroup_id_z 0
		.amdhsa_system_sgpr_workgroup_info 0
		.amdhsa_system_vgpr_workitem_id 0
		.amdhsa_next_free_vgpr 1
		.amdhsa_next_free_sgpr 0
		.amdhsa_accum_offset 4
		.amdhsa_reserve_vcc 0
		.amdhsa_float_round_mode_32 0
		.amdhsa_float_round_mode_16_64 0
		.amdhsa_float_denorm_mode_32 3
		.amdhsa_float_denorm_mode_16_64 3
		.amdhsa_dx10_clamp 1
		.amdhsa_ieee_mode 1
		.amdhsa_fp16_overflow 0
		.amdhsa_tg_split 0
		.amdhsa_exception_fp_ieee_invalid_op 0
		.amdhsa_exception_fp_denorm_src 0
		.amdhsa_exception_fp_ieee_div_zero 0
		.amdhsa_exception_fp_ieee_overflow 0
		.amdhsa_exception_fp_ieee_underflow 0
		.amdhsa_exception_fp_ieee_inexact 0
		.amdhsa_exception_int_div_zero 0
	.end_amdhsa_kernel
	.section	.text._ZN7rocprim17ROCPRIM_400000_NS6detail17trampoline_kernelINS0_14default_configENS1_25partition_config_selectorILNS1_17partition_subalgoE8ElNS0_10empty_typeEbEEZZNS1_14partition_implILS5_8ELb0ES3_jPlPS6_PKS6_NS0_5tupleIJS9_S6_EEENSD_IJSA_SA_EEENS0_18inequality_wrapperIZN2at6native12_GLOBAL__N_124unique_dim_cuda_templateIhEESt5tupleIJNSH_6TensorESM_SM_EERKSM_lbbbEUlllE0_EEPmJS6_EEE10hipError_tPvRmT3_T4_T5_T6_T7_T9_mT8_P12ihipStream_tbDpT10_ENKUlT_T0_E_clISt17integral_constantIbLb0EES1B_IbLb1EEEEDaS17_S18_EUlS17_E_NS1_11comp_targetILNS1_3genE9ELNS1_11target_archE1100ELNS1_3gpuE3ELNS1_3repE0EEENS1_30default_config_static_selectorELNS0_4arch9wavefront6targetE1EEEvT1_,"axG",@progbits,_ZN7rocprim17ROCPRIM_400000_NS6detail17trampoline_kernelINS0_14default_configENS1_25partition_config_selectorILNS1_17partition_subalgoE8ElNS0_10empty_typeEbEEZZNS1_14partition_implILS5_8ELb0ES3_jPlPS6_PKS6_NS0_5tupleIJS9_S6_EEENSD_IJSA_SA_EEENS0_18inequality_wrapperIZN2at6native12_GLOBAL__N_124unique_dim_cuda_templateIhEESt5tupleIJNSH_6TensorESM_SM_EERKSM_lbbbEUlllE0_EEPmJS6_EEE10hipError_tPvRmT3_T4_T5_T6_T7_T9_mT8_P12ihipStream_tbDpT10_ENKUlT_T0_E_clISt17integral_constantIbLb0EES1B_IbLb1EEEEDaS17_S18_EUlS17_E_NS1_11comp_targetILNS1_3genE9ELNS1_11target_archE1100ELNS1_3gpuE3ELNS1_3repE0EEENS1_30default_config_static_selectorELNS0_4arch9wavefront6targetE1EEEvT1_,comdat
.Lfunc_end202:
	.size	_ZN7rocprim17ROCPRIM_400000_NS6detail17trampoline_kernelINS0_14default_configENS1_25partition_config_selectorILNS1_17partition_subalgoE8ElNS0_10empty_typeEbEEZZNS1_14partition_implILS5_8ELb0ES3_jPlPS6_PKS6_NS0_5tupleIJS9_S6_EEENSD_IJSA_SA_EEENS0_18inequality_wrapperIZN2at6native12_GLOBAL__N_124unique_dim_cuda_templateIhEESt5tupleIJNSH_6TensorESM_SM_EERKSM_lbbbEUlllE0_EEPmJS6_EEE10hipError_tPvRmT3_T4_T5_T6_T7_T9_mT8_P12ihipStream_tbDpT10_ENKUlT_T0_E_clISt17integral_constantIbLb0EES1B_IbLb1EEEEDaS17_S18_EUlS17_E_NS1_11comp_targetILNS1_3genE9ELNS1_11target_archE1100ELNS1_3gpuE3ELNS1_3repE0EEENS1_30default_config_static_selectorELNS0_4arch9wavefront6targetE1EEEvT1_, .Lfunc_end202-_ZN7rocprim17ROCPRIM_400000_NS6detail17trampoline_kernelINS0_14default_configENS1_25partition_config_selectorILNS1_17partition_subalgoE8ElNS0_10empty_typeEbEEZZNS1_14partition_implILS5_8ELb0ES3_jPlPS6_PKS6_NS0_5tupleIJS9_S6_EEENSD_IJSA_SA_EEENS0_18inequality_wrapperIZN2at6native12_GLOBAL__N_124unique_dim_cuda_templateIhEESt5tupleIJNSH_6TensorESM_SM_EERKSM_lbbbEUlllE0_EEPmJS6_EEE10hipError_tPvRmT3_T4_T5_T6_T7_T9_mT8_P12ihipStream_tbDpT10_ENKUlT_T0_E_clISt17integral_constantIbLb0EES1B_IbLb1EEEEDaS17_S18_EUlS17_E_NS1_11comp_targetILNS1_3genE9ELNS1_11target_archE1100ELNS1_3gpuE3ELNS1_3repE0EEENS1_30default_config_static_selectorELNS0_4arch9wavefront6targetE1EEEvT1_
                                        ; -- End function
	.set _ZN7rocprim17ROCPRIM_400000_NS6detail17trampoline_kernelINS0_14default_configENS1_25partition_config_selectorILNS1_17partition_subalgoE8ElNS0_10empty_typeEbEEZZNS1_14partition_implILS5_8ELb0ES3_jPlPS6_PKS6_NS0_5tupleIJS9_S6_EEENSD_IJSA_SA_EEENS0_18inequality_wrapperIZN2at6native12_GLOBAL__N_124unique_dim_cuda_templateIhEESt5tupleIJNSH_6TensorESM_SM_EERKSM_lbbbEUlllE0_EEPmJS6_EEE10hipError_tPvRmT3_T4_T5_T6_T7_T9_mT8_P12ihipStream_tbDpT10_ENKUlT_T0_E_clISt17integral_constantIbLb0EES1B_IbLb1EEEEDaS17_S18_EUlS17_E_NS1_11comp_targetILNS1_3genE9ELNS1_11target_archE1100ELNS1_3gpuE3ELNS1_3repE0EEENS1_30default_config_static_selectorELNS0_4arch9wavefront6targetE1EEEvT1_.num_vgpr, 0
	.set _ZN7rocprim17ROCPRIM_400000_NS6detail17trampoline_kernelINS0_14default_configENS1_25partition_config_selectorILNS1_17partition_subalgoE8ElNS0_10empty_typeEbEEZZNS1_14partition_implILS5_8ELb0ES3_jPlPS6_PKS6_NS0_5tupleIJS9_S6_EEENSD_IJSA_SA_EEENS0_18inequality_wrapperIZN2at6native12_GLOBAL__N_124unique_dim_cuda_templateIhEESt5tupleIJNSH_6TensorESM_SM_EERKSM_lbbbEUlllE0_EEPmJS6_EEE10hipError_tPvRmT3_T4_T5_T6_T7_T9_mT8_P12ihipStream_tbDpT10_ENKUlT_T0_E_clISt17integral_constantIbLb0EES1B_IbLb1EEEEDaS17_S18_EUlS17_E_NS1_11comp_targetILNS1_3genE9ELNS1_11target_archE1100ELNS1_3gpuE3ELNS1_3repE0EEENS1_30default_config_static_selectorELNS0_4arch9wavefront6targetE1EEEvT1_.num_agpr, 0
	.set _ZN7rocprim17ROCPRIM_400000_NS6detail17trampoline_kernelINS0_14default_configENS1_25partition_config_selectorILNS1_17partition_subalgoE8ElNS0_10empty_typeEbEEZZNS1_14partition_implILS5_8ELb0ES3_jPlPS6_PKS6_NS0_5tupleIJS9_S6_EEENSD_IJSA_SA_EEENS0_18inequality_wrapperIZN2at6native12_GLOBAL__N_124unique_dim_cuda_templateIhEESt5tupleIJNSH_6TensorESM_SM_EERKSM_lbbbEUlllE0_EEPmJS6_EEE10hipError_tPvRmT3_T4_T5_T6_T7_T9_mT8_P12ihipStream_tbDpT10_ENKUlT_T0_E_clISt17integral_constantIbLb0EES1B_IbLb1EEEEDaS17_S18_EUlS17_E_NS1_11comp_targetILNS1_3genE9ELNS1_11target_archE1100ELNS1_3gpuE3ELNS1_3repE0EEENS1_30default_config_static_selectorELNS0_4arch9wavefront6targetE1EEEvT1_.numbered_sgpr, 0
	.set _ZN7rocprim17ROCPRIM_400000_NS6detail17trampoline_kernelINS0_14default_configENS1_25partition_config_selectorILNS1_17partition_subalgoE8ElNS0_10empty_typeEbEEZZNS1_14partition_implILS5_8ELb0ES3_jPlPS6_PKS6_NS0_5tupleIJS9_S6_EEENSD_IJSA_SA_EEENS0_18inequality_wrapperIZN2at6native12_GLOBAL__N_124unique_dim_cuda_templateIhEESt5tupleIJNSH_6TensorESM_SM_EERKSM_lbbbEUlllE0_EEPmJS6_EEE10hipError_tPvRmT3_T4_T5_T6_T7_T9_mT8_P12ihipStream_tbDpT10_ENKUlT_T0_E_clISt17integral_constantIbLb0EES1B_IbLb1EEEEDaS17_S18_EUlS17_E_NS1_11comp_targetILNS1_3genE9ELNS1_11target_archE1100ELNS1_3gpuE3ELNS1_3repE0EEENS1_30default_config_static_selectorELNS0_4arch9wavefront6targetE1EEEvT1_.num_named_barrier, 0
	.set _ZN7rocprim17ROCPRIM_400000_NS6detail17trampoline_kernelINS0_14default_configENS1_25partition_config_selectorILNS1_17partition_subalgoE8ElNS0_10empty_typeEbEEZZNS1_14partition_implILS5_8ELb0ES3_jPlPS6_PKS6_NS0_5tupleIJS9_S6_EEENSD_IJSA_SA_EEENS0_18inequality_wrapperIZN2at6native12_GLOBAL__N_124unique_dim_cuda_templateIhEESt5tupleIJNSH_6TensorESM_SM_EERKSM_lbbbEUlllE0_EEPmJS6_EEE10hipError_tPvRmT3_T4_T5_T6_T7_T9_mT8_P12ihipStream_tbDpT10_ENKUlT_T0_E_clISt17integral_constantIbLb0EES1B_IbLb1EEEEDaS17_S18_EUlS17_E_NS1_11comp_targetILNS1_3genE9ELNS1_11target_archE1100ELNS1_3gpuE3ELNS1_3repE0EEENS1_30default_config_static_selectorELNS0_4arch9wavefront6targetE1EEEvT1_.private_seg_size, 0
	.set _ZN7rocprim17ROCPRIM_400000_NS6detail17trampoline_kernelINS0_14default_configENS1_25partition_config_selectorILNS1_17partition_subalgoE8ElNS0_10empty_typeEbEEZZNS1_14partition_implILS5_8ELb0ES3_jPlPS6_PKS6_NS0_5tupleIJS9_S6_EEENSD_IJSA_SA_EEENS0_18inequality_wrapperIZN2at6native12_GLOBAL__N_124unique_dim_cuda_templateIhEESt5tupleIJNSH_6TensorESM_SM_EERKSM_lbbbEUlllE0_EEPmJS6_EEE10hipError_tPvRmT3_T4_T5_T6_T7_T9_mT8_P12ihipStream_tbDpT10_ENKUlT_T0_E_clISt17integral_constantIbLb0EES1B_IbLb1EEEEDaS17_S18_EUlS17_E_NS1_11comp_targetILNS1_3genE9ELNS1_11target_archE1100ELNS1_3gpuE3ELNS1_3repE0EEENS1_30default_config_static_selectorELNS0_4arch9wavefront6targetE1EEEvT1_.uses_vcc, 0
	.set _ZN7rocprim17ROCPRIM_400000_NS6detail17trampoline_kernelINS0_14default_configENS1_25partition_config_selectorILNS1_17partition_subalgoE8ElNS0_10empty_typeEbEEZZNS1_14partition_implILS5_8ELb0ES3_jPlPS6_PKS6_NS0_5tupleIJS9_S6_EEENSD_IJSA_SA_EEENS0_18inequality_wrapperIZN2at6native12_GLOBAL__N_124unique_dim_cuda_templateIhEESt5tupleIJNSH_6TensorESM_SM_EERKSM_lbbbEUlllE0_EEPmJS6_EEE10hipError_tPvRmT3_T4_T5_T6_T7_T9_mT8_P12ihipStream_tbDpT10_ENKUlT_T0_E_clISt17integral_constantIbLb0EES1B_IbLb1EEEEDaS17_S18_EUlS17_E_NS1_11comp_targetILNS1_3genE9ELNS1_11target_archE1100ELNS1_3gpuE3ELNS1_3repE0EEENS1_30default_config_static_selectorELNS0_4arch9wavefront6targetE1EEEvT1_.uses_flat_scratch, 0
	.set _ZN7rocprim17ROCPRIM_400000_NS6detail17trampoline_kernelINS0_14default_configENS1_25partition_config_selectorILNS1_17partition_subalgoE8ElNS0_10empty_typeEbEEZZNS1_14partition_implILS5_8ELb0ES3_jPlPS6_PKS6_NS0_5tupleIJS9_S6_EEENSD_IJSA_SA_EEENS0_18inequality_wrapperIZN2at6native12_GLOBAL__N_124unique_dim_cuda_templateIhEESt5tupleIJNSH_6TensorESM_SM_EERKSM_lbbbEUlllE0_EEPmJS6_EEE10hipError_tPvRmT3_T4_T5_T6_T7_T9_mT8_P12ihipStream_tbDpT10_ENKUlT_T0_E_clISt17integral_constantIbLb0EES1B_IbLb1EEEEDaS17_S18_EUlS17_E_NS1_11comp_targetILNS1_3genE9ELNS1_11target_archE1100ELNS1_3gpuE3ELNS1_3repE0EEENS1_30default_config_static_selectorELNS0_4arch9wavefront6targetE1EEEvT1_.has_dyn_sized_stack, 0
	.set _ZN7rocprim17ROCPRIM_400000_NS6detail17trampoline_kernelINS0_14default_configENS1_25partition_config_selectorILNS1_17partition_subalgoE8ElNS0_10empty_typeEbEEZZNS1_14partition_implILS5_8ELb0ES3_jPlPS6_PKS6_NS0_5tupleIJS9_S6_EEENSD_IJSA_SA_EEENS0_18inequality_wrapperIZN2at6native12_GLOBAL__N_124unique_dim_cuda_templateIhEESt5tupleIJNSH_6TensorESM_SM_EERKSM_lbbbEUlllE0_EEPmJS6_EEE10hipError_tPvRmT3_T4_T5_T6_T7_T9_mT8_P12ihipStream_tbDpT10_ENKUlT_T0_E_clISt17integral_constantIbLb0EES1B_IbLb1EEEEDaS17_S18_EUlS17_E_NS1_11comp_targetILNS1_3genE9ELNS1_11target_archE1100ELNS1_3gpuE3ELNS1_3repE0EEENS1_30default_config_static_selectorELNS0_4arch9wavefront6targetE1EEEvT1_.has_recursion, 0
	.set _ZN7rocprim17ROCPRIM_400000_NS6detail17trampoline_kernelINS0_14default_configENS1_25partition_config_selectorILNS1_17partition_subalgoE8ElNS0_10empty_typeEbEEZZNS1_14partition_implILS5_8ELb0ES3_jPlPS6_PKS6_NS0_5tupleIJS9_S6_EEENSD_IJSA_SA_EEENS0_18inequality_wrapperIZN2at6native12_GLOBAL__N_124unique_dim_cuda_templateIhEESt5tupleIJNSH_6TensorESM_SM_EERKSM_lbbbEUlllE0_EEPmJS6_EEE10hipError_tPvRmT3_T4_T5_T6_T7_T9_mT8_P12ihipStream_tbDpT10_ENKUlT_T0_E_clISt17integral_constantIbLb0EES1B_IbLb1EEEEDaS17_S18_EUlS17_E_NS1_11comp_targetILNS1_3genE9ELNS1_11target_archE1100ELNS1_3gpuE3ELNS1_3repE0EEENS1_30default_config_static_selectorELNS0_4arch9wavefront6targetE1EEEvT1_.has_indirect_call, 0
	.section	.AMDGPU.csdata,"",@progbits
; Kernel info:
; codeLenInByte = 0
; TotalNumSgprs: 6
; NumVgprs: 0
; NumAgprs: 0
; TotalNumVgprs: 0
; ScratchSize: 0
; MemoryBound: 0
; FloatMode: 240
; IeeeMode: 1
; LDSByteSize: 0 bytes/workgroup (compile time only)
; SGPRBlocks: 0
; VGPRBlocks: 0
; NumSGPRsForWavesPerEU: 6
; NumVGPRsForWavesPerEU: 1
; AccumOffset: 4
; Occupancy: 8
; WaveLimiterHint : 0
; COMPUTE_PGM_RSRC2:SCRATCH_EN: 0
; COMPUTE_PGM_RSRC2:USER_SGPR: 2
; COMPUTE_PGM_RSRC2:TRAP_HANDLER: 0
; COMPUTE_PGM_RSRC2:TGID_X_EN: 1
; COMPUTE_PGM_RSRC2:TGID_Y_EN: 0
; COMPUTE_PGM_RSRC2:TGID_Z_EN: 0
; COMPUTE_PGM_RSRC2:TIDIG_COMP_CNT: 0
; COMPUTE_PGM_RSRC3_GFX90A:ACCUM_OFFSET: 0
; COMPUTE_PGM_RSRC3_GFX90A:TG_SPLIT: 0
	.section	.text._ZN7rocprim17ROCPRIM_400000_NS6detail17trampoline_kernelINS0_14default_configENS1_25partition_config_selectorILNS1_17partition_subalgoE8ElNS0_10empty_typeEbEEZZNS1_14partition_implILS5_8ELb0ES3_jPlPS6_PKS6_NS0_5tupleIJS9_S6_EEENSD_IJSA_SA_EEENS0_18inequality_wrapperIZN2at6native12_GLOBAL__N_124unique_dim_cuda_templateIhEESt5tupleIJNSH_6TensorESM_SM_EERKSM_lbbbEUlllE0_EEPmJS6_EEE10hipError_tPvRmT3_T4_T5_T6_T7_T9_mT8_P12ihipStream_tbDpT10_ENKUlT_T0_E_clISt17integral_constantIbLb0EES1B_IbLb1EEEEDaS17_S18_EUlS17_E_NS1_11comp_targetILNS1_3genE8ELNS1_11target_archE1030ELNS1_3gpuE2ELNS1_3repE0EEENS1_30default_config_static_selectorELNS0_4arch9wavefront6targetE1EEEvT1_,"axG",@progbits,_ZN7rocprim17ROCPRIM_400000_NS6detail17trampoline_kernelINS0_14default_configENS1_25partition_config_selectorILNS1_17partition_subalgoE8ElNS0_10empty_typeEbEEZZNS1_14partition_implILS5_8ELb0ES3_jPlPS6_PKS6_NS0_5tupleIJS9_S6_EEENSD_IJSA_SA_EEENS0_18inequality_wrapperIZN2at6native12_GLOBAL__N_124unique_dim_cuda_templateIhEESt5tupleIJNSH_6TensorESM_SM_EERKSM_lbbbEUlllE0_EEPmJS6_EEE10hipError_tPvRmT3_T4_T5_T6_T7_T9_mT8_P12ihipStream_tbDpT10_ENKUlT_T0_E_clISt17integral_constantIbLb0EES1B_IbLb1EEEEDaS17_S18_EUlS17_E_NS1_11comp_targetILNS1_3genE8ELNS1_11target_archE1030ELNS1_3gpuE2ELNS1_3repE0EEENS1_30default_config_static_selectorELNS0_4arch9wavefront6targetE1EEEvT1_,comdat
	.globl	_ZN7rocprim17ROCPRIM_400000_NS6detail17trampoline_kernelINS0_14default_configENS1_25partition_config_selectorILNS1_17partition_subalgoE8ElNS0_10empty_typeEbEEZZNS1_14partition_implILS5_8ELb0ES3_jPlPS6_PKS6_NS0_5tupleIJS9_S6_EEENSD_IJSA_SA_EEENS0_18inequality_wrapperIZN2at6native12_GLOBAL__N_124unique_dim_cuda_templateIhEESt5tupleIJNSH_6TensorESM_SM_EERKSM_lbbbEUlllE0_EEPmJS6_EEE10hipError_tPvRmT3_T4_T5_T6_T7_T9_mT8_P12ihipStream_tbDpT10_ENKUlT_T0_E_clISt17integral_constantIbLb0EES1B_IbLb1EEEEDaS17_S18_EUlS17_E_NS1_11comp_targetILNS1_3genE8ELNS1_11target_archE1030ELNS1_3gpuE2ELNS1_3repE0EEENS1_30default_config_static_selectorELNS0_4arch9wavefront6targetE1EEEvT1_ ; -- Begin function _ZN7rocprim17ROCPRIM_400000_NS6detail17trampoline_kernelINS0_14default_configENS1_25partition_config_selectorILNS1_17partition_subalgoE8ElNS0_10empty_typeEbEEZZNS1_14partition_implILS5_8ELb0ES3_jPlPS6_PKS6_NS0_5tupleIJS9_S6_EEENSD_IJSA_SA_EEENS0_18inequality_wrapperIZN2at6native12_GLOBAL__N_124unique_dim_cuda_templateIhEESt5tupleIJNSH_6TensorESM_SM_EERKSM_lbbbEUlllE0_EEPmJS6_EEE10hipError_tPvRmT3_T4_T5_T6_T7_T9_mT8_P12ihipStream_tbDpT10_ENKUlT_T0_E_clISt17integral_constantIbLb0EES1B_IbLb1EEEEDaS17_S18_EUlS17_E_NS1_11comp_targetILNS1_3genE8ELNS1_11target_archE1030ELNS1_3gpuE2ELNS1_3repE0EEENS1_30default_config_static_selectorELNS0_4arch9wavefront6targetE1EEEvT1_
	.p2align	8
	.type	_ZN7rocprim17ROCPRIM_400000_NS6detail17trampoline_kernelINS0_14default_configENS1_25partition_config_selectorILNS1_17partition_subalgoE8ElNS0_10empty_typeEbEEZZNS1_14partition_implILS5_8ELb0ES3_jPlPS6_PKS6_NS0_5tupleIJS9_S6_EEENSD_IJSA_SA_EEENS0_18inequality_wrapperIZN2at6native12_GLOBAL__N_124unique_dim_cuda_templateIhEESt5tupleIJNSH_6TensorESM_SM_EERKSM_lbbbEUlllE0_EEPmJS6_EEE10hipError_tPvRmT3_T4_T5_T6_T7_T9_mT8_P12ihipStream_tbDpT10_ENKUlT_T0_E_clISt17integral_constantIbLb0EES1B_IbLb1EEEEDaS17_S18_EUlS17_E_NS1_11comp_targetILNS1_3genE8ELNS1_11target_archE1030ELNS1_3gpuE2ELNS1_3repE0EEENS1_30default_config_static_selectorELNS0_4arch9wavefront6targetE1EEEvT1_,@function
_ZN7rocprim17ROCPRIM_400000_NS6detail17trampoline_kernelINS0_14default_configENS1_25partition_config_selectorILNS1_17partition_subalgoE8ElNS0_10empty_typeEbEEZZNS1_14partition_implILS5_8ELb0ES3_jPlPS6_PKS6_NS0_5tupleIJS9_S6_EEENSD_IJSA_SA_EEENS0_18inequality_wrapperIZN2at6native12_GLOBAL__N_124unique_dim_cuda_templateIhEESt5tupleIJNSH_6TensorESM_SM_EERKSM_lbbbEUlllE0_EEPmJS6_EEE10hipError_tPvRmT3_T4_T5_T6_T7_T9_mT8_P12ihipStream_tbDpT10_ENKUlT_T0_E_clISt17integral_constantIbLb0EES1B_IbLb1EEEEDaS17_S18_EUlS17_E_NS1_11comp_targetILNS1_3genE8ELNS1_11target_archE1030ELNS1_3gpuE2ELNS1_3repE0EEENS1_30default_config_static_selectorELNS0_4arch9wavefront6targetE1EEEvT1_: ; @_ZN7rocprim17ROCPRIM_400000_NS6detail17trampoline_kernelINS0_14default_configENS1_25partition_config_selectorILNS1_17partition_subalgoE8ElNS0_10empty_typeEbEEZZNS1_14partition_implILS5_8ELb0ES3_jPlPS6_PKS6_NS0_5tupleIJS9_S6_EEENSD_IJSA_SA_EEENS0_18inequality_wrapperIZN2at6native12_GLOBAL__N_124unique_dim_cuda_templateIhEESt5tupleIJNSH_6TensorESM_SM_EERKSM_lbbbEUlllE0_EEPmJS6_EEE10hipError_tPvRmT3_T4_T5_T6_T7_T9_mT8_P12ihipStream_tbDpT10_ENKUlT_T0_E_clISt17integral_constantIbLb0EES1B_IbLb1EEEEDaS17_S18_EUlS17_E_NS1_11comp_targetILNS1_3genE8ELNS1_11target_archE1030ELNS1_3gpuE2ELNS1_3repE0EEENS1_30default_config_static_selectorELNS0_4arch9wavefront6targetE1EEEvT1_
; %bb.0:
	.section	.rodata,"a",@progbits
	.p2align	6, 0x0
	.amdhsa_kernel _ZN7rocprim17ROCPRIM_400000_NS6detail17trampoline_kernelINS0_14default_configENS1_25partition_config_selectorILNS1_17partition_subalgoE8ElNS0_10empty_typeEbEEZZNS1_14partition_implILS5_8ELb0ES3_jPlPS6_PKS6_NS0_5tupleIJS9_S6_EEENSD_IJSA_SA_EEENS0_18inequality_wrapperIZN2at6native12_GLOBAL__N_124unique_dim_cuda_templateIhEESt5tupleIJNSH_6TensorESM_SM_EERKSM_lbbbEUlllE0_EEPmJS6_EEE10hipError_tPvRmT3_T4_T5_T6_T7_T9_mT8_P12ihipStream_tbDpT10_ENKUlT_T0_E_clISt17integral_constantIbLb0EES1B_IbLb1EEEEDaS17_S18_EUlS17_E_NS1_11comp_targetILNS1_3genE8ELNS1_11target_archE1030ELNS1_3gpuE2ELNS1_3repE0EEENS1_30default_config_static_selectorELNS0_4arch9wavefront6targetE1EEEvT1_
		.amdhsa_group_segment_fixed_size 0
		.amdhsa_private_segment_fixed_size 0
		.amdhsa_kernarg_size 136
		.amdhsa_user_sgpr_count 2
		.amdhsa_user_sgpr_dispatch_ptr 0
		.amdhsa_user_sgpr_queue_ptr 0
		.amdhsa_user_sgpr_kernarg_segment_ptr 1
		.amdhsa_user_sgpr_dispatch_id 0
		.amdhsa_user_sgpr_kernarg_preload_length 0
		.amdhsa_user_sgpr_kernarg_preload_offset 0
		.amdhsa_user_sgpr_private_segment_size 0
		.amdhsa_uses_dynamic_stack 0
		.amdhsa_enable_private_segment 0
		.amdhsa_system_sgpr_workgroup_id_x 1
		.amdhsa_system_sgpr_workgroup_id_y 0
		.amdhsa_system_sgpr_workgroup_id_z 0
		.amdhsa_system_sgpr_workgroup_info 0
		.amdhsa_system_vgpr_workitem_id 0
		.amdhsa_next_free_vgpr 1
		.amdhsa_next_free_sgpr 0
		.amdhsa_accum_offset 4
		.amdhsa_reserve_vcc 0
		.amdhsa_float_round_mode_32 0
		.amdhsa_float_round_mode_16_64 0
		.amdhsa_float_denorm_mode_32 3
		.amdhsa_float_denorm_mode_16_64 3
		.amdhsa_dx10_clamp 1
		.amdhsa_ieee_mode 1
		.amdhsa_fp16_overflow 0
		.amdhsa_tg_split 0
		.amdhsa_exception_fp_ieee_invalid_op 0
		.amdhsa_exception_fp_denorm_src 0
		.amdhsa_exception_fp_ieee_div_zero 0
		.amdhsa_exception_fp_ieee_overflow 0
		.amdhsa_exception_fp_ieee_underflow 0
		.amdhsa_exception_fp_ieee_inexact 0
		.amdhsa_exception_int_div_zero 0
	.end_amdhsa_kernel
	.section	.text._ZN7rocprim17ROCPRIM_400000_NS6detail17trampoline_kernelINS0_14default_configENS1_25partition_config_selectorILNS1_17partition_subalgoE8ElNS0_10empty_typeEbEEZZNS1_14partition_implILS5_8ELb0ES3_jPlPS6_PKS6_NS0_5tupleIJS9_S6_EEENSD_IJSA_SA_EEENS0_18inequality_wrapperIZN2at6native12_GLOBAL__N_124unique_dim_cuda_templateIhEESt5tupleIJNSH_6TensorESM_SM_EERKSM_lbbbEUlllE0_EEPmJS6_EEE10hipError_tPvRmT3_T4_T5_T6_T7_T9_mT8_P12ihipStream_tbDpT10_ENKUlT_T0_E_clISt17integral_constantIbLb0EES1B_IbLb1EEEEDaS17_S18_EUlS17_E_NS1_11comp_targetILNS1_3genE8ELNS1_11target_archE1030ELNS1_3gpuE2ELNS1_3repE0EEENS1_30default_config_static_selectorELNS0_4arch9wavefront6targetE1EEEvT1_,"axG",@progbits,_ZN7rocprim17ROCPRIM_400000_NS6detail17trampoline_kernelINS0_14default_configENS1_25partition_config_selectorILNS1_17partition_subalgoE8ElNS0_10empty_typeEbEEZZNS1_14partition_implILS5_8ELb0ES3_jPlPS6_PKS6_NS0_5tupleIJS9_S6_EEENSD_IJSA_SA_EEENS0_18inequality_wrapperIZN2at6native12_GLOBAL__N_124unique_dim_cuda_templateIhEESt5tupleIJNSH_6TensorESM_SM_EERKSM_lbbbEUlllE0_EEPmJS6_EEE10hipError_tPvRmT3_T4_T5_T6_T7_T9_mT8_P12ihipStream_tbDpT10_ENKUlT_T0_E_clISt17integral_constantIbLb0EES1B_IbLb1EEEEDaS17_S18_EUlS17_E_NS1_11comp_targetILNS1_3genE8ELNS1_11target_archE1030ELNS1_3gpuE2ELNS1_3repE0EEENS1_30default_config_static_selectorELNS0_4arch9wavefront6targetE1EEEvT1_,comdat
.Lfunc_end203:
	.size	_ZN7rocprim17ROCPRIM_400000_NS6detail17trampoline_kernelINS0_14default_configENS1_25partition_config_selectorILNS1_17partition_subalgoE8ElNS0_10empty_typeEbEEZZNS1_14partition_implILS5_8ELb0ES3_jPlPS6_PKS6_NS0_5tupleIJS9_S6_EEENSD_IJSA_SA_EEENS0_18inequality_wrapperIZN2at6native12_GLOBAL__N_124unique_dim_cuda_templateIhEESt5tupleIJNSH_6TensorESM_SM_EERKSM_lbbbEUlllE0_EEPmJS6_EEE10hipError_tPvRmT3_T4_T5_T6_T7_T9_mT8_P12ihipStream_tbDpT10_ENKUlT_T0_E_clISt17integral_constantIbLb0EES1B_IbLb1EEEEDaS17_S18_EUlS17_E_NS1_11comp_targetILNS1_3genE8ELNS1_11target_archE1030ELNS1_3gpuE2ELNS1_3repE0EEENS1_30default_config_static_selectorELNS0_4arch9wavefront6targetE1EEEvT1_, .Lfunc_end203-_ZN7rocprim17ROCPRIM_400000_NS6detail17trampoline_kernelINS0_14default_configENS1_25partition_config_selectorILNS1_17partition_subalgoE8ElNS0_10empty_typeEbEEZZNS1_14partition_implILS5_8ELb0ES3_jPlPS6_PKS6_NS0_5tupleIJS9_S6_EEENSD_IJSA_SA_EEENS0_18inequality_wrapperIZN2at6native12_GLOBAL__N_124unique_dim_cuda_templateIhEESt5tupleIJNSH_6TensorESM_SM_EERKSM_lbbbEUlllE0_EEPmJS6_EEE10hipError_tPvRmT3_T4_T5_T6_T7_T9_mT8_P12ihipStream_tbDpT10_ENKUlT_T0_E_clISt17integral_constantIbLb0EES1B_IbLb1EEEEDaS17_S18_EUlS17_E_NS1_11comp_targetILNS1_3genE8ELNS1_11target_archE1030ELNS1_3gpuE2ELNS1_3repE0EEENS1_30default_config_static_selectorELNS0_4arch9wavefront6targetE1EEEvT1_
                                        ; -- End function
	.set _ZN7rocprim17ROCPRIM_400000_NS6detail17trampoline_kernelINS0_14default_configENS1_25partition_config_selectorILNS1_17partition_subalgoE8ElNS0_10empty_typeEbEEZZNS1_14partition_implILS5_8ELb0ES3_jPlPS6_PKS6_NS0_5tupleIJS9_S6_EEENSD_IJSA_SA_EEENS0_18inequality_wrapperIZN2at6native12_GLOBAL__N_124unique_dim_cuda_templateIhEESt5tupleIJNSH_6TensorESM_SM_EERKSM_lbbbEUlllE0_EEPmJS6_EEE10hipError_tPvRmT3_T4_T5_T6_T7_T9_mT8_P12ihipStream_tbDpT10_ENKUlT_T0_E_clISt17integral_constantIbLb0EES1B_IbLb1EEEEDaS17_S18_EUlS17_E_NS1_11comp_targetILNS1_3genE8ELNS1_11target_archE1030ELNS1_3gpuE2ELNS1_3repE0EEENS1_30default_config_static_selectorELNS0_4arch9wavefront6targetE1EEEvT1_.num_vgpr, 0
	.set _ZN7rocprim17ROCPRIM_400000_NS6detail17trampoline_kernelINS0_14default_configENS1_25partition_config_selectorILNS1_17partition_subalgoE8ElNS0_10empty_typeEbEEZZNS1_14partition_implILS5_8ELb0ES3_jPlPS6_PKS6_NS0_5tupleIJS9_S6_EEENSD_IJSA_SA_EEENS0_18inequality_wrapperIZN2at6native12_GLOBAL__N_124unique_dim_cuda_templateIhEESt5tupleIJNSH_6TensorESM_SM_EERKSM_lbbbEUlllE0_EEPmJS6_EEE10hipError_tPvRmT3_T4_T5_T6_T7_T9_mT8_P12ihipStream_tbDpT10_ENKUlT_T0_E_clISt17integral_constantIbLb0EES1B_IbLb1EEEEDaS17_S18_EUlS17_E_NS1_11comp_targetILNS1_3genE8ELNS1_11target_archE1030ELNS1_3gpuE2ELNS1_3repE0EEENS1_30default_config_static_selectorELNS0_4arch9wavefront6targetE1EEEvT1_.num_agpr, 0
	.set _ZN7rocprim17ROCPRIM_400000_NS6detail17trampoline_kernelINS0_14default_configENS1_25partition_config_selectorILNS1_17partition_subalgoE8ElNS0_10empty_typeEbEEZZNS1_14partition_implILS5_8ELb0ES3_jPlPS6_PKS6_NS0_5tupleIJS9_S6_EEENSD_IJSA_SA_EEENS0_18inequality_wrapperIZN2at6native12_GLOBAL__N_124unique_dim_cuda_templateIhEESt5tupleIJNSH_6TensorESM_SM_EERKSM_lbbbEUlllE0_EEPmJS6_EEE10hipError_tPvRmT3_T4_T5_T6_T7_T9_mT8_P12ihipStream_tbDpT10_ENKUlT_T0_E_clISt17integral_constantIbLb0EES1B_IbLb1EEEEDaS17_S18_EUlS17_E_NS1_11comp_targetILNS1_3genE8ELNS1_11target_archE1030ELNS1_3gpuE2ELNS1_3repE0EEENS1_30default_config_static_selectorELNS0_4arch9wavefront6targetE1EEEvT1_.numbered_sgpr, 0
	.set _ZN7rocprim17ROCPRIM_400000_NS6detail17trampoline_kernelINS0_14default_configENS1_25partition_config_selectorILNS1_17partition_subalgoE8ElNS0_10empty_typeEbEEZZNS1_14partition_implILS5_8ELb0ES3_jPlPS6_PKS6_NS0_5tupleIJS9_S6_EEENSD_IJSA_SA_EEENS0_18inequality_wrapperIZN2at6native12_GLOBAL__N_124unique_dim_cuda_templateIhEESt5tupleIJNSH_6TensorESM_SM_EERKSM_lbbbEUlllE0_EEPmJS6_EEE10hipError_tPvRmT3_T4_T5_T6_T7_T9_mT8_P12ihipStream_tbDpT10_ENKUlT_T0_E_clISt17integral_constantIbLb0EES1B_IbLb1EEEEDaS17_S18_EUlS17_E_NS1_11comp_targetILNS1_3genE8ELNS1_11target_archE1030ELNS1_3gpuE2ELNS1_3repE0EEENS1_30default_config_static_selectorELNS0_4arch9wavefront6targetE1EEEvT1_.num_named_barrier, 0
	.set _ZN7rocprim17ROCPRIM_400000_NS6detail17trampoline_kernelINS0_14default_configENS1_25partition_config_selectorILNS1_17partition_subalgoE8ElNS0_10empty_typeEbEEZZNS1_14partition_implILS5_8ELb0ES3_jPlPS6_PKS6_NS0_5tupleIJS9_S6_EEENSD_IJSA_SA_EEENS0_18inequality_wrapperIZN2at6native12_GLOBAL__N_124unique_dim_cuda_templateIhEESt5tupleIJNSH_6TensorESM_SM_EERKSM_lbbbEUlllE0_EEPmJS6_EEE10hipError_tPvRmT3_T4_T5_T6_T7_T9_mT8_P12ihipStream_tbDpT10_ENKUlT_T0_E_clISt17integral_constantIbLb0EES1B_IbLb1EEEEDaS17_S18_EUlS17_E_NS1_11comp_targetILNS1_3genE8ELNS1_11target_archE1030ELNS1_3gpuE2ELNS1_3repE0EEENS1_30default_config_static_selectorELNS0_4arch9wavefront6targetE1EEEvT1_.private_seg_size, 0
	.set _ZN7rocprim17ROCPRIM_400000_NS6detail17trampoline_kernelINS0_14default_configENS1_25partition_config_selectorILNS1_17partition_subalgoE8ElNS0_10empty_typeEbEEZZNS1_14partition_implILS5_8ELb0ES3_jPlPS6_PKS6_NS0_5tupleIJS9_S6_EEENSD_IJSA_SA_EEENS0_18inequality_wrapperIZN2at6native12_GLOBAL__N_124unique_dim_cuda_templateIhEESt5tupleIJNSH_6TensorESM_SM_EERKSM_lbbbEUlllE0_EEPmJS6_EEE10hipError_tPvRmT3_T4_T5_T6_T7_T9_mT8_P12ihipStream_tbDpT10_ENKUlT_T0_E_clISt17integral_constantIbLb0EES1B_IbLb1EEEEDaS17_S18_EUlS17_E_NS1_11comp_targetILNS1_3genE8ELNS1_11target_archE1030ELNS1_3gpuE2ELNS1_3repE0EEENS1_30default_config_static_selectorELNS0_4arch9wavefront6targetE1EEEvT1_.uses_vcc, 0
	.set _ZN7rocprim17ROCPRIM_400000_NS6detail17trampoline_kernelINS0_14default_configENS1_25partition_config_selectorILNS1_17partition_subalgoE8ElNS0_10empty_typeEbEEZZNS1_14partition_implILS5_8ELb0ES3_jPlPS6_PKS6_NS0_5tupleIJS9_S6_EEENSD_IJSA_SA_EEENS0_18inequality_wrapperIZN2at6native12_GLOBAL__N_124unique_dim_cuda_templateIhEESt5tupleIJNSH_6TensorESM_SM_EERKSM_lbbbEUlllE0_EEPmJS6_EEE10hipError_tPvRmT3_T4_T5_T6_T7_T9_mT8_P12ihipStream_tbDpT10_ENKUlT_T0_E_clISt17integral_constantIbLb0EES1B_IbLb1EEEEDaS17_S18_EUlS17_E_NS1_11comp_targetILNS1_3genE8ELNS1_11target_archE1030ELNS1_3gpuE2ELNS1_3repE0EEENS1_30default_config_static_selectorELNS0_4arch9wavefront6targetE1EEEvT1_.uses_flat_scratch, 0
	.set _ZN7rocprim17ROCPRIM_400000_NS6detail17trampoline_kernelINS0_14default_configENS1_25partition_config_selectorILNS1_17partition_subalgoE8ElNS0_10empty_typeEbEEZZNS1_14partition_implILS5_8ELb0ES3_jPlPS6_PKS6_NS0_5tupleIJS9_S6_EEENSD_IJSA_SA_EEENS0_18inequality_wrapperIZN2at6native12_GLOBAL__N_124unique_dim_cuda_templateIhEESt5tupleIJNSH_6TensorESM_SM_EERKSM_lbbbEUlllE0_EEPmJS6_EEE10hipError_tPvRmT3_T4_T5_T6_T7_T9_mT8_P12ihipStream_tbDpT10_ENKUlT_T0_E_clISt17integral_constantIbLb0EES1B_IbLb1EEEEDaS17_S18_EUlS17_E_NS1_11comp_targetILNS1_3genE8ELNS1_11target_archE1030ELNS1_3gpuE2ELNS1_3repE0EEENS1_30default_config_static_selectorELNS0_4arch9wavefront6targetE1EEEvT1_.has_dyn_sized_stack, 0
	.set _ZN7rocprim17ROCPRIM_400000_NS6detail17trampoline_kernelINS0_14default_configENS1_25partition_config_selectorILNS1_17partition_subalgoE8ElNS0_10empty_typeEbEEZZNS1_14partition_implILS5_8ELb0ES3_jPlPS6_PKS6_NS0_5tupleIJS9_S6_EEENSD_IJSA_SA_EEENS0_18inequality_wrapperIZN2at6native12_GLOBAL__N_124unique_dim_cuda_templateIhEESt5tupleIJNSH_6TensorESM_SM_EERKSM_lbbbEUlllE0_EEPmJS6_EEE10hipError_tPvRmT3_T4_T5_T6_T7_T9_mT8_P12ihipStream_tbDpT10_ENKUlT_T0_E_clISt17integral_constantIbLb0EES1B_IbLb1EEEEDaS17_S18_EUlS17_E_NS1_11comp_targetILNS1_3genE8ELNS1_11target_archE1030ELNS1_3gpuE2ELNS1_3repE0EEENS1_30default_config_static_selectorELNS0_4arch9wavefront6targetE1EEEvT1_.has_recursion, 0
	.set _ZN7rocprim17ROCPRIM_400000_NS6detail17trampoline_kernelINS0_14default_configENS1_25partition_config_selectorILNS1_17partition_subalgoE8ElNS0_10empty_typeEbEEZZNS1_14partition_implILS5_8ELb0ES3_jPlPS6_PKS6_NS0_5tupleIJS9_S6_EEENSD_IJSA_SA_EEENS0_18inequality_wrapperIZN2at6native12_GLOBAL__N_124unique_dim_cuda_templateIhEESt5tupleIJNSH_6TensorESM_SM_EERKSM_lbbbEUlllE0_EEPmJS6_EEE10hipError_tPvRmT3_T4_T5_T6_T7_T9_mT8_P12ihipStream_tbDpT10_ENKUlT_T0_E_clISt17integral_constantIbLb0EES1B_IbLb1EEEEDaS17_S18_EUlS17_E_NS1_11comp_targetILNS1_3genE8ELNS1_11target_archE1030ELNS1_3gpuE2ELNS1_3repE0EEENS1_30default_config_static_selectorELNS0_4arch9wavefront6targetE1EEEvT1_.has_indirect_call, 0
	.section	.AMDGPU.csdata,"",@progbits
; Kernel info:
; codeLenInByte = 0
; TotalNumSgprs: 6
; NumVgprs: 0
; NumAgprs: 0
; TotalNumVgprs: 0
; ScratchSize: 0
; MemoryBound: 0
; FloatMode: 240
; IeeeMode: 1
; LDSByteSize: 0 bytes/workgroup (compile time only)
; SGPRBlocks: 0
; VGPRBlocks: 0
; NumSGPRsForWavesPerEU: 6
; NumVGPRsForWavesPerEU: 1
; AccumOffset: 4
; Occupancy: 8
; WaveLimiterHint : 0
; COMPUTE_PGM_RSRC2:SCRATCH_EN: 0
; COMPUTE_PGM_RSRC2:USER_SGPR: 2
; COMPUTE_PGM_RSRC2:TRAP_HANDLER: 0
; COMPUTE_PGM_RSRC2:TGID_X_EN: 1
; COMPUTE_PGM_RSRC2:TGID_Y_EN: 0
; COMPUTE_PGM_RSRC2:TGID_Z_EN: 0
; COMPUTE_PGM_RSRC2:TIDIG_COMP_CNT: 0
; COMPUTE_PGM_RSRC3_GFX90A:ACCUM_OFFSET: 0
; COMPUTE_PGM_RSRC3_GFX90A:TG_SPLIT: 0
	.section	.text._ZN7rocprim17ROCPRIM_400000_NS6detail17trampoline_kernelINS0_14default_configENS1_25partition_config_selectorILNS1_17partition_subalgoE9EllbEEZZNS1_14partition_implILS5_9ELb0ES3_jPlS8_PNS0_10empty_typeENS0_5tupleIJS8_S9_EEENSB_IJS8_SA_EEENS0_18inequality_wrapperIZN2at6native12_GLOBAL__N_124unique_dim_cuda_templateIhEESt5tupleIJNSF_6TensorESK_SK_EERKSK_lbbbEUlllE0_EEPmJS9_EEE10hipError_tPvRmT3_T4_T5_T6_T7_T9_mT8_P12ihipStream_tbDpT10_ENKUlT_T0_E_clISt17integral_constantIbLb0EES1A_EEDaS15_S16_EUlS15_E_NS1_11comp_targetILNS1_3genE0ELNS1_11target_archE4294967295ELNS1_3gpuE0ELNS1_3repE0EEENS1_30default_config_static_selectorELNS0_4arch9wavefront6targetE1EEEvT1_,"axG",@progbits,_ZN7rocprim17ROCPRIM_400000_NS6detail17trampoline_kernelINS0_14default_configENS1_25partition_config_selectorILNS1_17partition_subalgoE9EllbEEZZNS1_14partition_implILS5_9ELb0ES3_jPlS8_PNS0_10empty_typeENS0_5tupleIJS8_S9_EEENSB_IJS8_SA_EEENS0_18inequality_wrapperIZN2at6native12_GLOBAL__N_124unique_dim_cuda_templateIhEESt5tupleIJNSF_6TensorESK_SK_EERKSK_lbbbEUlllE0_EEPmJS9_EEE10hipError_tPvRmT3_T4_T5_T6_T7_T9_mT8_P12ihipStream_tbDpT10_ENKUlT_T0_E_clISt17integral_constantIbLb0EES1A_EEDaS15_S16_EUlS15_E_NS1_11comp_targetILNS1_3genE0ELNS1_11target_archE4294967295ELNS1_3gpuE0ELNS1_3repE0EEENS1_30default_config_static_selectorELNS0_4arch9wavefront6targetE1EEEvT1_,comdat
	.globl	_ZN7rocprim17ROCPRIM_400000_NS6detail17trampoline_kernelINS0_14default_configENS1_25partition_config_selectorILNS1_17partition_subalgoE9EllbEEZZNS1_14partition_implILS5_9ELb0ES3_jPlS8_PNS0_10empty_typeENS0_5tupleIJS8_S9_EEENSB_IJS8_SA_EEENS0_18inequality_wrapperIZN2at6native12_GLOBAL__N_124unique_dim_cuda_templateIhEESt5tupleIJNSF_6TensorESK_SK_EERKSK_lbbbEUlllE0_EEPmJS9_EEE10hipError_tPvRmT3_T4_T5_T6_T7_T9_mT8_P12ihipStream_tbDpT10_ENKUlT_T0_E_clISt17integral_constantIbLb0EES1A_EEDaS15_S16_EUlS15_E_NS1_11comp_targetILNS1_3genE0ELNS1_11target_archE4294967295ELNS1_3gpuE0ELNS1_3repE0EEENS1_30default_config_static_selectorELNS0_4arch9wavefront6targetE1EEEvT1_ ; -- Begin function _ZN7rocprim17ROCPRIM_400000_NS6detail17trampoline_kernelINS0_14default_configENS1_25partition_config_selectorILNS1_17partition_subalgoE9EllbEEZZNS1_14partition_implILS5_9ELb0ES3_jPlS8_PNS0_10empty_typeENS0_5tupleIJS8_S9_EEENSB_IJS8_SA_EEENS0_18inequality_wrapperIZN2at6native12_GLOBAL__N_124unique_dim_cuda_templateIhEESt5tupleIJNSF_6TensorESK_SK_EERKSK_lbbbEUlllE0_EEPmJS9_EEE10hipError_tPvRmT3_T4_T5_T6_T7_T9_mT8_P12ihipStream_tbDpT10_ENKUlT_T0_E_clISt17integral_constantIbLb0EES1A_EEDaS15_S16_EUlS15_E_NS1_11comp_targetILNS1_3genE0ELNS1_11target_archE4294967295ELNS1_3gpuE0ELNS1_3repE0EEENS1_30default_config_static_selectorELNS0_4arch9wavefront6targetE1EEEvT1_
	.p2align	8
	.type	_ZN7rocprim17ROCPRIM_400000_NS6detail17trampoline_kernelINS0_14default_configENS1_25partition_config_selectorILNS1_17partition_subalgoE9EllbEEZZNS1_14partition_implILS5_9ELb0ES3_jPlS8_PNS0_10empty_typeENS0_5tupleIJS8_S9_EEENSB_IJS8_SA_EEENS0_18inequality_wrapperIZN2at6native12_GLOBAL__N_124unique_dim_cuda_templateIhEESt5tupleIJNSF_6TensorESK_SK_EERKSK_lbbbEUlllE0_EEPmJS9_EEE10hipError_tPvRmT3_T4_T5_T6_T7_T9_mT8_P12ihipStream_tbDpT10_ENKUlT_T0_E_clISt17integral_constantIbLb0EES1A_EEDaS15_S16_EUlS15_E_NS1_11comp_targetILNS1_3genE0ELNS1_11target_archE4294967295ELNS1_3gpuE0ELNS1_3repE0EEENS1_30default_config_static_selectorELNS0_4arch9wavefront6targetE1EEEvT1_,@function
_ZN7rocprim17ROCPRIM_400000_NS6detail17trampoline_kernelINS0_14default_configENS1_25partition_config_selectorILNS1_17partition_subalgoE9EllbEEZZNS1_14partition_implILS5_9ELb0ES3_jPlS8_PNS0_10empty_typeENS0_5tupleIJS8_S9_EEENSB_IJS8_SA_EEENS0_18inequality_wrapperIZN2at6native12_GLOBAL__N_124unique_dim_cuda_templateIhEESt5tupleIJNSF_6TensorESK_SK_EERKSK_lbbbEUlllE0_EEPmJS9_EEE10hipError_tPvRmT3_T4_T5_T6_T7_T9_mT8_P12ihipStream_tbDpT10_ENKUlT_T0_E_clISt17integral_constantIbLb0EES1A_EEDaS15_S16_EUlS15_E_NS1_11comp_targetILNS1_3genE0ELNS1_11target_archE4294967295ELNS1_3gpuE0ELNS1_3repE0EEENS1_30default_config_static_selectorELNS0_4arch9wavefront6targetE1EEEvT1_: ; @_ZN7rocprim17ROCPRIM_400000_NS6detail17trampoline_kernelINS0_14default_configENS1_25partition_config_selectorILNS1_17partition_subalgoE9EllbEEZZNS1_14partition_implILS5_9ELb0ES3_jPlS8_PNS0_10empty_typeENS0_5tupleIJS8_S9_EEENSB_IJS8_SA_EEENS0_18inequality_wrapperIZN2at6native12_GLOBAL__N_124unique_dim_cuda_templateIhEESt5tupleIJNSF_6TensorESK_SK_EERKSK_lbbbEUlllE0_EEPmJS9_EEE10hipError_tPvRmT3_T4_T5_T6_T7_T9_mT8_P12ihipStream_tbDpT10_ENKUlT_T0_E_clISt17integral_constantIbLb0EES1A_EEDaS15_S16_EUlS15_E_NS1_11comp_targetILNS1_3genE0ELNS1_11target_archE4294967295ELNS1_3gpuE0ELNS1_3repE0EEENS1_30default_config_static_selectorELNS0_4arch9wavefront6targetE1EEEvT1_
; %bb.0:
	s_load_dwordx4 s[4:7], s[0:1], 0x8
	s_load_dwordx2 s[10:11], s[0:1], 0x18
	s_load_dwordx8 s[24:31], s[0:1], 0x40
	s_load_dword s3, s[0:1], 0x70
	s_mul_i32 s12, s2, 0x280
	s_waitcnt lgkmcnt(0)
	s_lshl_b64 s[14:15], s[6:7], 3
	s_add_u32 s18, s4, s14
	s_addc_u32 s19, s5, s15
	s_mul_i32 s4, s3, 0x280
	s_add_i32 s8, s3, -1
	s_add_i32 s3, s4, s6
	s_sub_i32 s3, s28, s3
	s_addk_i32 s3, 0x280
	s_add_u32 s4, s6, s4
	s_addc_u32 s5, s7, 0
	v_mov_b64_e32 v[2:3], s[4:5]
	s_cmp_eq_u32 s2, s8
	s_load_dwordx2 s[26:27], s[26:27], 0x0
	v_cmp_le_u64_e32 vcc, s[28:29], v[2:3]
	s_cselect_b64 s[28:29], -1, 0
	s_mov_b32 s13, 0
	s_and_b64 s[8:9], s[28:29], vcc
	s_xor_b64 s[34:35], s[8:9], -1
	s_lshl_b64 s[16:17], s[12:13], 3
	s_add_u32 s12, s18, s16
	s_mov_b64 s[4:5], -1
	s_addc_u32 s13, s19, s17
	s_and_b64 vcc, exec, s[34:35]
	v_lshlrev_b32_e32 v1, 3, v0
	s_cbranch_vccz .LBB204_2
; %bb.1:
	v_lshlrev_b32_e32 v2, 3, v0
	v_mov_b32_e32 v3, 0
	v_lshl_add_u64 v[4:5], s[12:13], 0, v[2:3]
	v_add_co_u32_e32 v4, vcc, 0x1000, v4
	global_load_dwordx2 v[6:7], v2, s[12:13] offset:3072
	s_nop 0
	v_addc_co_u32_e32 v5, vcc, 0, v5, vcc
	global_load_dwordx2 v[8:9], v2, s[12:13]
	global_load_dwordx2 v[10:11], v2, s[12:13] offset:1024
	global_load_dwordx2 v[12:13], v2, s[12:13] offset:2048
	global_load_dwordx2 v[14:15], v[4:5], off
	s_mov_b64 s[4:5], 0
	s_waitcnt vmcnt(2)
	ds_write2st64_b64 v2, v[8:9], v[10:11] offset1:2
	s_waitcnt vmcnt(1)
	ds_write2st64_b64 v2, v[12:13], v[6:7] offset0:4 offset1:6
	s_waitcnt vmcnt(0)
	ds_write_b64 v2, v[14:15] offset:4096
	s_waitcnt lgkmcnt(0)
	s_barrier
.LBB204_2:
	s_load_dwordx4 s[20:23], s[0:1], 0x60
	s_andn2_b64 vcc, exec, s[4:5]
	v_cmp_gt_u32_e64 s[4:5], s3, v0
	s_cbranch_vccnz .LBB204_14
; %bb.3:
	v_mov_b32_e32 v2, 0
	v_mov_b32_e32 v3, v2
	;; [unrolled: 1-line block ×10, first 2 shown]
	s_and_saveexec_b64 s[18:19], s[4:5]
	s_cbranch_execz .LBB204_5
; %bb.4:
	v_lshlrev_b32_e32 v3, 3, v0
	global_load_dwordx2 v[4:5], v3, s[12:13]
	v_mov_b32_e32 v6, v2
	v_mov_b32_e32 v7, v2
	v_mov_b32_e32 v8, v2
	v_mov_b32_e32 v9, v2
	v_mov_b32_e32 v10, v2
	v_mov_b32_e32 v11, v2
	v_mov_b32_e32 v12, v2
	v_mov_b32_e32 v13, v2
	s_waitcnt vmcnt(0)
	v_mov_b64_e32 v[2:3], v[4:5]
	v_mov_b64_e32 v[4:5], v[6:7]
	;; [unrolled: 1-line block ×8, first 2 shown]
.LBB204_5:
	s_or_b64 exec, exec, s[18:19]
	v_or_b32_e32 v12, 0x80, v0
	v_cmp_gt_u32_e32 vcc, s3, v12
	s_and_saveexec_b64 s[4:5], vcc
	s_cbranch_execz .LBB204_7
; %bb.6:
	v_lshlrev_b32_e32 v4, 3, v0
	global_load_dwordx2 v[4:5], v4, s[12:13] offset:1024
.LBB204_7:
	s_or_b64 exec, exec, s[4:5]
	v_or_b32_e32 v12, 0x100, v0
	v_cmp_gt_u32_e32 vcc, s3, v12
	s_and_saveexec_b64 s[4:5], vcc
	s_cbranch_execz .LBB204_9
; %bb.8:
	v_lshlrev_b32_e32 v6, 3, v0
	global_load_dwordx2 v[6:7], v6, s[12:13] offset:2048
.LBB204_9:
	;; [unrolled: 9-line block ×3, first 2 shown]
	s_or_b64 exec, exec, s[4:5]
	v_or_b32_e32 v12, 0x200, v0
	v_cmp_gt_u32_e32 vcc, s3, v12
	s_and_saveexec_b64 s[4:5], vcc
	s_cbranch_execz .LBB204_13
; %bb.12:
	v_lshlrev_b32_e32 v10, 3, v12
	global_load_dwordx2 v[10:11], v10, s[12:13]
.LBB204_13:
	s_or_b64 exec, exec, s[4:5]
	v_lshlrev_b32_e32 v12, 3, v0
	s_waitcnt vmcnt(0)
	ds_write2st64_b64 v12, v[2:3], v[4:5] offset1:2
	ds_write2st64_b64 v12, v[6:7], v[8:9] offset0:4 offset1:6
	ds_write_b64 v12, v[10:11] offset:4096
	s_waitcnt lgkmcnt(0)
	s_barrier
.LBB204_14:
	v_mul_u32_u24_e32 v22, 5, v0
	v_lshlrev_b32_e32 v20, 3, v22
	s_waitcnt lgkmcnt(0)
	ds_read2_b64 v[6:9], v20 offset1:1
	ds_read2_b64 v[2:5], v20 offset0:2 offset1:3
	ds_read_b64 v[12:13], v20 offset:32
	s_add_u32 s4, s10, s14
	s_addc_u32 s5, s11, s15
	s_add_u32 s4, s4, s16
	s_addc_u32 s5, s5, s17
	s_mov_b64 s[10:11], -1
	s_and_b64 vcc, exec, s[34:35]
	s_waitcnt lgkmcnt(0)
	s_barrier
	s_cbranch_vccz .LBB204_16
; %bb.15:
	v_lshlrev_b32_e32 v10, 3, v0
	v_mov_b32_e32 v11, 0
	v_lshl_add_u64 v[14:15], s[4:5], 0, v[10:11]
	v_add_co_u32_e32 v14, vcc, 0x1000, v14
	global_load_dwordx2 v[16:17], v10, s[4:5] offset:3072
	s_nop 0
	v_addc_co_u32_e32 v15, vcc, 0, v15, vcc
	global_load_dwordx2 v[18:19], v10, s[4:5]
	global_load_dwordx2 v[24:25], v10, s[4:5] offset:1024
	global_load_dwordx2 v[26:27], v10, s[4:5] offset:2048
	global_load_dwordx2 v[28:29], v[14:15], off
	s_mov_b64 s[10:11], 0
	s_waitcnt vmcnt(2)
	ds_write2st64_b64 v10, v[18:19], v[24:25] offset1:2
	s_waitcnt vmcnt(1)
	ds_write2st64_b64 v10, v[26:27], v[16:17] offset0:4 offset1:6
	s_waitcnt vmcnt(0)
	ds_write_b64 v10, v[28:29] offset:4096
	s_waitcnt lgkmcnt(0)
	s_barrier
.LBB204_16:
	s_andn2_b64 vcc, exec, s[10:11]
	s_cbranch_vccnz .LBB204_28
; %bb.17:
	v_cmp_gt_u32_e32 vcc, s3, v0
                                        ; implicit-def: $vgpr10_vgpr11
	s_and_saveexec_b64 s[10:11], vcc
	s_cbranch_execz .LBB204_19
; %bb.18:
	v_lshlrev_b32_e32 v10, 3, v0
	global_load_dwordx2 v[10:11], v10, s[4:5]
.LBB204_19:
	s_or_b64 exec, exec, s[10:11]
	v_or_b32_e32 v14, 0x80, v0
	v_cmp_gt_u32_e32 vcc, s3, v14
                                        ; implicit-def: $vgpr14_vgpr15
	s_and_saveexec_b64 s[10:11], vcc
	s_cbranch_execz .LBB204_21
; %bb.20:
	v_lshlrev_b32_e32 v14, 3, v0
	global_load_dwordx2 v[14:15], v14, s[4:5] offset:1024
.LBB204_21:
	s_or_b64 exec, exec, s[10:11]
	v_or_b32_e32 v16, 0x100, v0
	v_cmp_gt_u32_e32 vcc, s3, v16
                                        ; implicit-def: $vgpr16_vgpr17
	s_and_saveexec_b64 s[10:11], vcc
	s_cbranch_execz .LBB204_23
; %bb.22:
	v_lshlrev_b32_e32 v16, 3, v0
	global_load_dwordx2 v[16:17], v16, s[4:5] offset:2048
.LBB204_23:
	s_or_b64 exec, exec, s[10:11]
	v_or_b32_e32 v18, 0x180, v0
	v_cmp_gt_u32_e32 vcc, s3, v18
                                        ; implicit-def: $vgpr18_vgpr19
	s_and_saveexec_b64 s[10:11], vcc
	s_cbranch_execz .LBB204_25
; %bb.24:
	v_lshlrev_b32_e32 v18, 3, v0
	global_load_dwordx2 v[18:19], v18, s[4:5] offset:3072
.LBB204_25:
	s_or_b64 exec, exec, s[10:11]
	v_or_b32_e32 v21, 0x200, v0
	v_cmp_gt_u32_e32 vcc, s3, v21
                                        ; implicit-def: $vgpr24_vgpr25
	s_and_saveexec_b64 s[10:11], vcc
	s_cbranch_execz .LBB204_27
; %bb.26:
	v_lshlrev_b32_e32 v21, 3, v21
	global_load_dwordx2 v[24:25], v21, s[4:5]
.LBB204_27:
	s_or_b64 exec, exec, s[10:11]
	v_lshlrev_b32_e32 v21, 5, v0
	v_sub_u32_e32 v21, v20, v21
	s_waitcnt vmcnt(0)
	ds_write2st64_b64 v21, v[10:11], v[14:15] offset1:2
	ds_write2st64_b64 v21, v[16:17], v[18:19] offset0:4 offset1:6
	ds_write_b64 v21, v[24:25] offset:4096
	s_waitcnt lgkmcnt(0)
	s_barrier
.LBB204_28:
	ds_read_b64 v[10:11], v20 offset:32
	ds_read2_b64 v[52:55], v20 offset0:2 offset1:3
	ds_read2_b64 v[56:59], v20 offset1:1
	s_cmp_lg_u32 s2, 0
	s_cselect_b64 s[16:17], -1, 0
	s_cmp_lg_u64 s[6:7], 0
	s_cselect_b64 s[4:5], -1, 0
	s_or_b64 s[4:5], s[16:17], s[4:5]
	s_mov_b64 s[10:11], 0
	s_and_b64 vcc, exec, s[4:5]
	v_cmp_gt_i64_e64 s[4:5], s[30:31], 0
	s_waitcnt lgkmcnt(0)
	s_barrier
	s_cbranch_vccz .LBB204_40
; %bb.29:
	s_add_u32 s6, s12, -8
	s_addc_u32 s7, s13, -1
	s_load_dwordx2 s[10:11], s[6:7], 0x0
	v_cndmask_b32_e64 v14, 0, 1, s[4:5]
	v_lshlrev_b32_e32 v21, 3, v0
	s_mov_b64 s[6:7], 0
	s_and_b64 vcc, exec, s[34:35]
	v_cmp_ne_u32_e64 s[4:5], 1, v14
	ds_write_b64 v21, v[12:13]
	s_cbranch_vccz .LBB204_42
; %bb.30:
	s_and_b64 vcc, exec, s[4:5]
	s_cbranch_vccnz .LBB204_43
; %bb.31:
	v_mov_b64_e32 v[16:17], s[20:21]
	v_mad_u64_u32 v[14:15], s[6:7], v4, s30, v[16:17]
	v_mul_lo_u32 v18, v4, s31
	v_mul_lo_u32 v19, v5, s30
	s_add_u32 s14, s30, -1
	v_add3_u32 v15, v19, v15, v18
	v_mad_u64_u32 v[16:17], s[6:7], v12, s30, v[16:17]
	v_mul_lo_u32 v18, v12, s31
	v_mul_lo_u32 v19, v13, s30
	s_addc_u32 s15, s31, -1
	v_add3_u32 v17, v19, v17, v18
	s_mov_b64 s[18:19], 0
	s_mov_b64 s[36:37], s[14:15]
	v_mov_b64_e32 v[18:19], v[14:15]
                                        ; implicit-def: $sgpr12_sgpr13
.LBB204_32:                             ; =>This Inner Loop Header: Depth=1
	global_load_ubyte v23, v[18:19], off
	global_load_ubyte v24, v[16:17], off
	s_add_u32 s6, s36, -1
	s_addc_u32 s7, s37, -1
	s_cmp_eq_u64 s[36:37], 0
	s_mov_b64 s[36:37], s[6:7]
	s_cselect_b64 s[38:39], -1, 0
	v_lshl_add_u64 v[18:19], v[18:19], 0, 1
	v_lshl_add_u64 v[16:17], v[16:17], 0, 1
	s_waitcnt vmcnt(0)
	v_cmp_ne_u16_e64 s[6:7], v23, v24
	s_or_b64 s[6:7], s[6:7], s[38:39]
	s_and_b64 s[6:7], exec, s[6:7]
	v_cmp_eq_u16_e32 vcc, v23, v24
	s_or_b64 s[18:19], s[6:7], s[18:19]
	s_andn2_b64 s[6:7], s[12:13], exec
	s_and_b64 s[12:13], vcc, exec
	s_or_b64 s[12:13], s[6:7], s[12:13]
	s_andn2_b64 exec, exec, s[18:19]
	s_cbranch_execnz .LBB204_32
; %bb.33:
	s_or_b64 exec, exec, s[18:19]
	v_mov_b64_e32 v[16:17], s[20:21]
	v_mad_u64_u32 v[16:17], s[6:7], v2, s30, v[16:17]
	v_mul_lo_u32 v18, v2, s31
	v_mul_lo_u32 v19, v3, s30
	v_add3_u32 v17, v19, v17, v18
	s_mov_b64 s[36:37], 0
	s_mov_b64 s[38:39], s[14:15]
	v_mov_b64_e32 v[18:19], v[16:17]
                                        ; implicit-def: $sgpr18_sgpr19
.LBB204_34:                             ; =>This Inner Loop Header: Depth=1
	global_load_ubyte v23, v[18:19], off
	global_load_ubyte v24, v[14:15], off
	s_add_u32 s6, s38, -1
	s_addc_u32 s7, s39, -1
	s_cmp_eq_u64 s[38:39], 0
	s_mov_b64 s[38:39], s[6:7]
	s_cselect_b64 s[40:41], -1, 0
	v_lshl_add_u64 v[18:19], v[18:19], 0, 1
	v_lshl_add_u64 v[14:15], v[14:15], 0, 1
	s_waitcnt vmcnt(0)
	v_cmp_ne_u16_e64 s[6:7], v23, v24
	s_or_b64 s[6:7], s[6:7], s[40:41]
	s_and_b64 s[6:7], exec, s[6:7]
	v_cmp_eq_u16_e32 vcc, v23, v24
	s_or_b64 s[36:37], s[6:7], s[36:37]
	s_andn2_b64 s[6:7], s[18:19], exec
	s_and_b64 s[18:19], vcc, exec
	s_or_b64 s[18:19], s[6:7], s[18:19]
	s_andn2_b64 exec, exec, s[36:37]
	s_cbranch_execnz .LBB204_34
; %bb.35:
	s_or_b64 exec, exec, s[36:37]
	v_mov_b64_e32 v[14:15], s[20:21]
	v_mad_u64_u32 v[14:15], s[6:7], v8, s30, v[14:15]
	v_mul_lo_u32 v18, v8, s31
	v_mul_lo_u32 v19, v9, s30
	v_add3_u32 v15, v19, v15, v18
	s_mov_b64 s[38:39], 0
	s_mov_b64 s[40:41], s[14:15]
	v_mov_b64_e32 v[18:19], v[14:15]
                                        ; implicit-def: $sgpr36_sgpr37
.LBB204_36:                             ; =>This Inner Loop Header: Depth=1
	global_load_ubyte v23, v[18:19], off
	global_load_ubyte v24, v[16:17], off
	s_add_u32 s6, s40, -1
	s_addc_u32 s7, s41, -1
	s_cmp_eq_u64 s[40:41], 0
	s_mov_b64 s[40:41], s[6:7]
	s_cselect_b64 s[42:43], -1, 0
	v_lshl_add_u64 v[18:19], v[18:19], 0, 1
	v_lshl_add_u64 v[16:17], v[16:17], 0, 1
	s_waitcnt vmcnt(0)
	v_cmp_ne_u16_e64 s[6:7], v23, v24
	s_or_b64 s[6:7], s[6:7], s[42:43]
	s_and_b64 s[6:7], exec, s[6:7]
	v_cmp_eq_u16_e32 vcc, v23, v24
	s_or_b64 s[38:39], s[6:7], s[38:39]
	s_andn2_b64 s[6:7], s[36:37], exec
	s_and_b64 s[36:37], vcc, exec
	s_or_b64 s[36:37], s[6:7], s[36:37]
	s_andn2_b64 exec, exec, s[38:39]
	s_cbranch_execnz .LBB204_36
; %bb.37:
	s_or_b64 exec, exec, s[38:39]
	v_mov_b64_e32 v[16:17], s[20:21]
	v_mad_u64_u32 v[16:17], s[6:7], v6, s30, v[16:17]
	v_mul_lo_u32 v18, v6, s31
	v_mul_lo_u32 v19, v7, s30
	v_add3_u32 v17, v19, v17, v18
	s_mov_b64 s[40:41], 0
                                        ; implicit-def: $sgpr38_sgpr39
.LBB204_38:                             ; =>This Inner Loop Header: Depth=1
	global_load_ubyte v18, v[16:17], off
	global_load_ubyte v19, v[14:15], off
	s_add_u32 s6, s14, -1
	s_addc_u32 s7, s15, -1
	s_cmp_eq_u64 s[14:15], 0
	s_mov_b64 s[14:15], s[6:7]
	s_cselect_b64 s[42:43], -1, 0
	v_lshl_add_u64 v[16:17], v[16:17], 0, 1
	v_lshl_add_u64 v[14:15], v[14:15], 0, 1
	s_waitcnt vmcnt(0)
	v_cmp_ne_u16_e64 s[6:7], v18, v19
	s_or_b64 s[6:7], s[6:7], s[42:43]
	s_and_b64 s[6:7], exec, s[6:7]
	v_cmp_eq_u16_e32 vcc, v18, v19
	s_or_b64 s[40:41], s[6:7], s[40:41]
	s_andn2_b64 s[6:7], s[38:39], exec
	s_and_b64 s[38:39], vcc, exec
	s_or_b64 s[38:39], s[6:7], s[38:39]
	s_andn2_b64 exec, exec, s[40:41]
	s_cbranch_execnz .LBB204_38
; %bb.39:
	s_or_b64 exec, exec, s[40:41]
	s_xor_b64 s[6:7], s[12:13], -1
	v_cndmask_b32_e64 v32, 0, 1, s[6:7]
	s_xor_b64 s[6:7], s[18:19], -1
	v_cndmask_b32_e64 v14, 0, 1, s[6:7]
	v_lshlrev_b16_e32 v14, 8, v14
	v_mov_b32_e32 v15, 8
	s_xor_b64 s[12:13], s[36:37], -1
	v_lshrrev_b32_sdwa v14, v15, v14 dst_sel:BYTE_1 dst_unused:UNUSED_PAD src0_sel:DWORD src1_sel:DWORD
	v_cndmask_b32_e64 v15, 0, 1, s[12:13]
	s_xor_b64 s[6:7], s[38:39], -1
	v_or_b32_sdwa v14, v15, v14 dst_sel:WORD_1 dst_unused:UNUSED_PAD src0_sel:DWORD src1_sel:DWORD
	s_branch .LBB204_44
.LBB204_40:
                                        ; implicit-def: $sgpr6_sgpr7
                                        ; implicit-def: $vgpr32
                                        ; implicit-def: $vgpr15
	s_branch .LBB204_85
.LBB204_41:
                                        ; implicit-def: $vgpr16
                                        ; implicit-def: $vgpr34
                                        ; implicit-def: $vgpr33
                                        ; implicit-def: $vgpr14
	s_branch .LBB204_138
.LBB204_42:
                                        ; implicit-def: $sgpr6_sgpr7
                                        ; implicit-def: $vgpr32
                                        ; implicit-def: $vgpr15
	s_cbranch_execnz .LBB204_51
	s_branch .LBB204_84
.LBB204_43:
	v_mov_b32_e32 v14, 0
	v_mov_b32_e32 v32, 0
.LBB204_44:
	v_cmp_ne_u32_e32 vcc, 0, v0
	s_waitcnt lgkmcnt(0)
	v_mov_b64_e32 v[16:17], s[10:11]
	s_barrier
	s_and_saveexec_b64 s[12:13], vcc
; %bb.45:
	v_add_u32_e32 v15, -8, v21
	ds_read_b64 v[16:17], v15
; %bb.46:
	s_or_b64 exec, exec, s[12:13]
	v_cndmask_b32_e64 v15, 0, 1, s[6:7]
	v_lshrrev_b32_e32 v18, 16, v14
	s_mov_b32 s6, 0xc0c0304
	v_perm_b32 v18, v18, v14, s6
	v_lshlrev_b16_e32 v15, 8, v15
	s_movk_i32 s6, 0xff
	v_bitop3_b16 v14, v14, v15, s6 bitop3:0xec
	v_and_b32_e32 v19, 0xffff, v14
	s_mov_b64 s[12:13], 0
	s_and_b64 vcc, exec, s[4:5]
	s_mov_b64 s[6:7], 0
	s_cbranch_vccnz .LBB204_50
; %bb.47:
	v_mov_b64_e32 v[24:25], s[20:21]
	s_waitcnt lgkmcnt(0)
	v_mad_u64_u32 v[14:15], s[6:7], v16, s30, v[24:25]
	v_mul_lo_u32 v16, v16, s31
	v_mul_lo_u32 v17, v17, s30
	v_add3_u32 v15, v17, v15, v16
	v_mad_u64_u32 v[16:17], s[6:7], v6, s30, v[24:25]
	v_mul_lo_u32 v23, v6, s31
	v_mul_lo_u32 v24, v7, s30
	s_add_u32 s36, s30, -1
	v_add3_u32 v17, v24, v17, v23
	s_addc_u32 s37, s31, -1
	s_mov_b64 s[14:15], 0
                                        ; implicit-def: $sgpr18_sgpr19
.LBB204_48:                             ; =>This Inner Loop Header: Depth=1
	global_load_ubyte v23, v[14:15], off
	global_load_ubyte v24, v[16:17], off
	s_add_u32 s6, s36, -1
	s_addc_u32 s7, s37, -1
	s_cmp_eq_u64 s[36:37], 0
	s_mov_b64 s[36:37], s[6:7]
	s_cselect_b64 s[38:39], -1, 0
	v_lshl_add_u64 v[14:15], v[14:15], 0, 1
	v_lshl_add_u64 v[16:17], v[16:17], 0, 1
	s_waitcnt vmcnt(0)
	v_cmp_ne_u16_e64 s[6:7], v23, v24
	s_or_b64 s[6:7], s[6:7], s[38:39]
	s_and_b64 s[6:7], exec, s[6:7]
	v_cmp_eq_u16_e32 vcc, v23, v24
	s_or_b64 s[14:15], s[6:7], s[14:15]
	s_andn2_b64 s[6:7], s[18:19], exec
	s_and_b64 s[18:19], vcc, exec
	s_or_b64 s[18:19], s[6:7], s[18:19]
	s_andn2_b64 exec, exec, s[14:15]
	s_cbranch_execnz .LBB204_48
; %bb.49:
	s_or_b64 exec, exec, s[14:15]
	s_xor_b64 s[6:7], s[18:19], -1
.LBB204_50:
	v_lshl_or_b32 v15, v18, 16, v19
	s_and_b64 vcc, exec, s[12:13]
	s_cbranch_vccz .LBB204_84
.LBB204_51:
	v_add_u32_e32 v14, 4, v22
	v_cmp_gt_u32_e32 vcc, s3, v14
	s_mov_b64 s[14:15], 0
	s_mov_b64 s[12:13], 0
	s_and_saveexec_b64 s[18:19], vcc
	s_cbranch_execz .LBB204_57
; %bb.52:
	s_and_b64 vcc, exec, s[4:5]
	s_mov_b64 s[6:7], 0
	s_cbranch_vccnz .LBB204_56
; %bb.53:
	s_waitcnt lgkmcnt(0)
	v_mov_b64_e32 v[16:17], s[20:21]
	v_mad_u64_u32 v[14:15], s[6:7], v4, s30, v[16:17]
	v_mul_lo_u32 v18, v4, s31
	v_mul_lo_u32 v19, v5, s30
	v_add3_u32 v15, v19, v15, v18
	v_mad_u64_u32 v[16:17], s[6:7], v12, s30, v[16:17]
	v_mul_lo_u32 v18, v12, s31
	v_mul_lo_u32 v19, v13, s30
	s_add_u32 s38, s30, -1
	v_add3_u32 v17, v19, v17, v18
	s_addc_u32 s39, s31, -1
                                        ; implicit-def: $sgpr36_sgpr37
.LBB204_54:                             ; =>This Inner Loop Header: Depth=1
	global_load_ubyte v18, v[14:15], off
	global_load_ubyte v19, v[16:17], off
	s_add_u32 s6, s38, -1
	s_addc_u32 s7, s39, -1
	s_cmp_eq_u64 s[38:39], 0
	s_mov_b64 s[38:39], s[6:7]
	s_cselect_b64 s[40:41], -1, 0
	v_lshl_add_u64 v[14:15], v[14:15], 0, 1
	v_lshl_add_u64 v[16:17], v[16:17], 0, 1
	s_waitcnt vmcnt(0)
	v_cmp_ne_u16_e64 s[6:7], v18, v19
	s_or_b64 s[6:7], s[6:7], s[40:41]
	s_and_b64 s[6:7], exec, s[6:7]
	v_cmp_eq_u16_e32 vcc, v18, v19
	s_or_b64 s[12:13], s[6:7], s[12:13]
	s_andn2_b64 s[6:7], s[36:37], exec
	s_and_b64 s[36:37], vcc, exec
	s_or_b64 s[36:37], s[6:7], s[36:37]
	s_andn2_b64 exec, exec, s[12:13]
	s_cbranch_execnz .LBB204_54
; %bb.55:
	s_or_b64 exec, exec, s[12:13]
	s_xor_b64 s[6:7], s[36:37], -1
.LBB204_56:
	s_and_b64 s[12:13], s[6:7], exec
.LBB204_57:
	s_or_b64 exec, exec, s[18:19]
	v_add_u32_e32 v14, 3, v22
	v_cmp_gt_u32_e32 vcc, s3, v14
	s_and_saveexec_b64 s[18:19], vcc
	s_cbranch_execz .LBB204_63
; %bb.58:
	s_and_b64 vcc, exec, s[4:5]
	s_mov_b64 s[6:7], 0
	s_cbranch_vccnz .LBB204_62
; %bb.59:
	s_waitcnt lgkmcnt(0)
	v_mov_b64_e32 v[16:17], s[20:21]
	v_mad_u64_u32 v[14:15], s[6:7], v2, s30, v[16:17]
	v_mul_lo_u32 v18, v2, s31
	v_mul_lo_u32 v19, v3, s30
	v_add3_u32 v15, v19, v15, v18
	v_mad_u64_u32 v[16:17], s[6:7], v4, s30, v[16:17]
	v_mul_lo_u32 v18, v4, s31
	v_mul_lo_u32 v19, v5, s30
	s_add_u32 s38, s30, -1
	v_add3_u32 v17, v19, v17, v18
	s_addc_u32 s39, s31, -1
	s_mov_b64 s[14:15], 0
                                        ; implicit-def: $sgpr36_sgpr37
.LBB204_60:                             ; =>This Inner Loop Header: Depth=1
	global_load_ubyte v18, v[14:15], off
	global_load_ubyte v19, v[16:17], off
	s_add_u32 s6, s38, -1
	s_addc_u32 s7, s39, -1
	s_cmp_eq_u64 s[38:39], 0
	s_mov_b64 s[38:39], s[6:7]
	s_cselect_b64 s[40:41], -1, 0
	v_lshl_add_u64 v[14:15], v[14:15], 0, 1
	v_lshl_add_u64 v[16:17], v[16:17], 0, 1
	s_waitcnt vmcnt(0)
	v_cmp_ne_u16_e64 s[6:7], v18, v19
	s_or_b64 s[6:7], s[6:7], s[40:41]
	s_and_b64 s[6:7], exec, s[6:7]
	v_cmp_eq_u16_e32 vcc, v18, v19
	s_or_b64 s[14:15], s[6:7], s[14:15]
	s_andn2_b64 s[6:7], s[36:37], exec
	s_and_b64 s[36:37], vcc, exec
	s_or_b64 s[36:37], s[6:7], s[36:37]
	s_andn2_b64 exec, exec, s[14:15]
	s_cbranch_execnz .LBB204_60
; %bb.61:
	s_or_b64 exec, exec, s[14:15]
	s_xor_b64 s[6:7], s[36:37], -1
.LBB204_62:
	s_and_b64 s[14:15], s[6:7], exec
.LBB204_63:
	s_or_b64 exec, exec, s[18:19]
	v_add_u32_e32 v14, 2, v22
	v_cmp_gt_u32_e32 vcc, s3, v14
	s_mov_b64 s[18:19], 0
	s_mov_b64 s[36:37], 0
	s_and_saveexec_b64 s[38:39], vcc
	s_cbranch_execz .LBB204_69
; %bb.64:
	s_and_b64 vcc, exec, s[4:5]
	s_mov_b64 s[6:7], 0
	s_cbranch_vccnz .LBB204_68
; %bb.65:
	s_waitcnt lgkmcnt(0)
	v_mov_b64_e32 v[16:17], s[20:21]
	v_mad_u64_u32 v[14:15], s[6:7], v8, s30, v[16:17]
	v_mul_lo_u32 v18, v8, s31
	v_mul_lo_u32 v19, v9, s30
	v_add3_u32 v15, v19, v15, v18
	v_mad_u64_u32 v[16:17], s[6:7], v2, s30, v[16:17]
	v_mul_lo_u32 v18, v2, s31
	v_mul_lo_u32 v19, v3, s30
	s_add_u32 s42, s30, -1
	v_add3_u32 v17, v19, v17, v18
	s_addc_u32 s43, s31, -1
                                        ; implicit-def: $sgpr40_sgpr41
.LBB204_66:                             ; =>This Inner Loop Header: Depth=1
	global_load_ubyte v18, v[14:15], off
	global_load_ubyte v19, v[16:17], off
	s_add_u32 s6, s42, -1
	s_addc_u32 s7, s43, -1
	s_cmp_eq_u64 s[42:43], 0
	s_mov_b64 s[42:43], s[6:7]
	s_cselect_b64 s[44:45], -1, 0
	v_lshl_add_u64 v[14:15], v[14:15], 0, 1
	v_lshl_add_u64 v[16:17], v[16:17], 0, 1
	s_waitcnt vmcnt(0)
	v_cmp_ne_u16_e64 s[6:7], v18, v19
	s_or_b64 s[6:7], s[6:7], s[44:45]
	s_and_b64 s[6:7], exec, s[6:7]
	v_cmp_eq_u16_e32 vcc, v18, v19
	s_or_b64 s[36:37], s[6:7], s[36:37]
	s_andn2_b64 s[6:7], s[40:41], exec
	s_and_b64 s[40:41], vcc, exec
	s_or_b64 s[40:41], s[6:7], s[40:41]
	s_andn2_b64 exec, exec, s[36:37]
	s_cbranch_execnz .LBB204_66
; %bb.67:
	s_or_b64 exec, exec, s[36:37]
	s_xor_b64 s[6:7], s[40:41], -1
.LBB204_68:
	s_and_b64 s[36:37], s[6:7], exec
.LBB204_69:
	s_or_b64 exec, exec, s[38:39]
	v_add_u32_e32 v14, 1, v22
	v_cmp_gt_u32_e32 vcc, s3, v14
	s_and_saveexec_b64 s[38:39], vcc
	s_cbranch_execz .LBB204_75
; %bb.70:
	s_and_b64 vcc, exec, s[4:5]
	s_mov_b64 s[6:7], 0
	s_cbranch_vccnz .LBB204_74
; %bb.71:
	s_waitcnt lgkmcnt(0)
	v_mov_b64_e32 v[16:17], s[20:21]
	v_mad_u64_u32 v[14:15], s[6:7], v6, s30, v[16:17]
	v_mul_lo_u32 v18, v6, s31
	v_mul_lo_u32 v19, v7, s30
	v_add3_u32 v15, v19, v15, v18
	v_mad_u64_u32 v[16:17], s[6:7], v8, s30, v[16:17]
	v_mul_lo_u32 v18, v8, s31
	v_mul_lo_u32 v19, v9, s30
	s_add_u32 s42, s30, -1
	v_add3_u32 v17, v19, v17, v18
	s_addc_u32 s43, s31, -1
	s_mov_b64 s[18:19], 0
                                        ; implicit-def: $sgpr40_sgpr41
.LBB204_72:                             ; =>This Inner Loop Header: Depth=1
	global_load_ubyte v18, v[14:15], off
	global_load_ubyte v19, v[16:17], off
	s_add_u32 s6, s42, -1
	s_addc_u32 s7, s43, -1
	s_cmp_eq_u64 s[42:43], 0
	s_mov_b64 s[42:43], s[6:7]
	s_cselect_b64 s[44:45], -1, 0
	v_lshl_add_u64 v[14:15], v[14:15], 0, 1
	v_lshl_add_u64 v[16:17], v[16:17], 0, 1
	s_waitcnt vmcnt(0)
	v_cmp_ne_u16_e64 s[6:7], v18, v19
	s_or_b64 s[6:7], s[6:7], s[44:45]
	s_and_b64 s[6:7], exec, s[6:7]
	v_cmp_eq_u16_e32 vcc, v18, v19
	s_or_b64 s[18:19], s[6:7], s[18:19]
	s_andn2_b64 s[6:7], s[40:41], exec
	s_and_b64 s[40:41], vcc, exec
	s_or_b64 s[40:41], s[6:7], s[40:41]
	s_andn2_b64 exec, exec, s[18:19]
	s_cbranch_execnz .LBB204_72
; %bb.73:
	s_or_b64 exec, exec, s[18:19]
	s_xor_b64 s[6:7], s[40:41], -1
.LBB204_74:
	s_and_b64 s[18:19], s[6:7], exec
.LBB204_75:
	s_or_b64 exec, exec, s[38:39]
	v_cmp_ne_u32_e32 vcc, 0, v0
	s_waitcnt lgkmcnt(0)
	v_mov_b64_e32 v[16:17], s[10:11]
	s_barrier
	s_and_saveexec_b64 s[6:7], vcc
; %bb.76:
	v_add_u32_e32 v14, -8, v21
	ds_read_b64 v[16:17], v14
; %bb.77:
	s_or_b64 exec, exec, s[6:7]
	v_cndmask_b32_e64 v15, 0, 1, s[14:15]
	v_cndmask_b32_e64 v14, 0, 1, s[36:37]
	;; [unrolled: 1-line block ×3, first 2 shown]
	v_lshlrev_b16_e32 v15, 8, v15
	v_cmp_gt_u32_e32 vcc, s3, v22
	v_lshlrev_b16_e32 v18, 8, v18
	v_or_b32_sdwa v19, v14, v15 dst_sel:WORD_1 dst_unused:UNUSED_PAD src0_sel:DWORD src1_sel:DWORD
	s_mov_b64 s[6:7], 0
	s_and_saveexec_b64 s[10:11], vcc
	s_cbranch_execz .LBB204_83
; %bb.78:
	s_and_b64 vcc, exec, s[4:5]
	s_mov_b64 s[4:5], 0
	s_cbranch_vccnz .LBB204_82
; %bb.79:
	v_mov_b64_e32 v[24:25], s[20:21]
	s_waitcnt lgkmcnt(0)
	v_mad_u64_u32 v[14:15], s[4:5], v16, s30, v[24:25]
	v_mul_lo_u32 v16, v16, s31
	v_mul_lo_u32 v17, v17, s30
	v_add3_u32 v15, v17, v15, v16
	v_mad_u64_u32 v[16:17], s[4:5], v6, s30, v[24:25]
	v_mul_lo_u32 v21, v6, s31
	v_mul_lo_u32 v23, v7, s30
	s_add_u32 s18, s30, -1
	v_add3_u32 v17, v23, v17, v21
	s_addc_u32 s19, s31, -1
                                        ; implicit-def: $sgpr14_sgpr15
.LBB204_80:                             ; =>This Inner Loop Header: Depth=1
	global_load_ubyte v21, v[14:15], off
	global_load_ubyte v23, v[16:17], off
	s_add_u32 s4, s18, -1
	s_addc_u32 s5, s19, -1
	s_cmp_eq_u64 s[18:19], 0
	s_mov_b64 s[18:19], s[4:5]
	s_cselect_b64 s[36:37], -1, 0
	v_lshl_add_u64 v[14:15], v[14:15], 0, 1
	v_lshl_add_u64 v[16:17], v[16:17], 0, 1
	s_waitcnt vmcnt(0)
	v_cmp_ne_u16_e64 s[4:5], v21, v23
	s_or_b64 s[4:5], s[4:5], s[36:37]
	s_and_b64 s[4:5], exec, s[4:5]
	v_cmp_eq_u16_e32 vcc, v21, v23
	s_or_b64 s[6:7], s[4:5], s[6:7]
	s_andn2_b64 s[4:5], s[14:15], exec
	s_and_b64 s[14:15], vcc, exec
	s_or_b64 s[14:15], s[4:5], s[14:15]
	s_andn2_b64 exec, exec, s[6:7]
	s_cbranch_execnz .LBB204_80
; %bb.81:
	s_or_b64 exec, exec, s[6:7]
	s_xor_b64 s[4:5], s[14:15], -1
.LBB204_82:
	s_and_b64 s[6:7], s[4:5], exec
.LBB204_83:
	s_or_b64 exec, exec, s[10:11]
	v_cndmask_b32_e64 v32, 0, 1, s[12:13]
	v_or_b32_e32 v15, v18, v19
.LBB204_84:
	s_waitcnt lgkmcnt(0)
	s_mov_b64 s[10:11], -1
	s_cbranch_execnz .LBB204_41
.LBB204_85:
	v_lshlrev_b32_e32 v14, 5, v0
	v_sub_u32_e32 v23, v20, v14
	s_mov_b64 s[6:7], 0
	v_cmp_gt_i64_e64 s[12:13], s[30:31], 0
	s_and_b64 vcc, exec, s[34:35]
	ds_write_b64 v23, v[12:13]
	s_cbranch_vccz .LBB204_96
; %bb.86:
	v_cndmask_b32_e64 v14, 0, 1, s[12:13]
	v_cmp_ne_u32_e64 s[4:5], 1, v14
	s_andn2_b64 vcc, exec, s[12:13]
	s_cbranch_vccnz .LBB204_97
; %bb.87:
	v_mov_b64_e32 v[16:17], s[20:21]
	v_mad_u64_u32 v[14:15], s[6:7], v4, s30, v[16:17]
	v_mul_lo_u32 v18, v4, s31
	v_mul_lo_u32 v19, v5, s30
	s_add_u32 s18, s30, -1
	v_add3_u32 v15, v19, v15, v18
	v_mad_u64_u32 v[16:17], s[6:7], v12, s30, v[16:17]
	v_mul_lo_u32 v18, v12, s31
	v_mul_lo_u32 v19, v13, s30
	s_addc_u32 s19, s31, -1
	v_add3_u32 v17, v19, v17, v18
	s_mov_b64 s[36:37], 0
	s_mov_b64 s[38:39], s[18:19]
	v_mov_b64_e32 v[18:19], v[14:15]
                                        ; implicit-def: $sgpr14_sgpr15
.LBB204_88:                             ; =>This Inner Loop Header: Depth=1
	global_load_ubyte v20, v[18:19], off
	global_load_ubyte v21, v[16:17], off
	s_add_u32 s6, s38, -1
	s_addc_u32 s7, s39, -1
	s_cmp_eq_u64 s[38:39], 0
	s_mov_b64 s[38:39], s[6:7]
	s_cselect_b64 s[40:41], -1, 0
	v_lshl_add_u64 v[18:19], v[18:19], 0, 1
	v_lshl_add_u64 v[16:17], v[16:17], 0, 1
	s_waitcnt vmcnt(0)
	v_cmp_ne_u16_e64 s[6:7], v20, v21
	s_or_b64 s[6:7], s[6:7], s[40:41]
	s_and_b64 s[6:7], exec, s[6:7]
	v_cmp_eq_u16_e32 vcc, v20, v21
	s_or_b64 s[36:37], s[6:7], s[36:37]
	s_andn2_b64 s[6:7], s[14:15], exec
	s_and_b64 s[14:15], vcc, exec
	s_or_b64 s[14:15], s[6:7], s[14:15]
	s_andn2_b64 exec, exec, s[36:37]
	s_cbranch_execnz .LBB204_88
; %bb.89:
	s_or_b64 exec, exec, s[36:37]
	v_mov_b64_e32 v[16:17], s[20:21]
	v_mad_u64_u32 v[16:17], s[6:7], v2, s30, v[16:17]
	v_mul_lo_u32 v18, v2, s31
	v_mul_lo_u32 v19, v3, s30
	v_add3_u32 v17, v19, v17, v18
	s_mov_b64 s[38:39], 0
	s_mov_b64 s[40:41], s[18:19]
	v_mov_b64_e32 v[18:19], v[16:17]
                                        ; implicit-def: $sgpr36_sgpr37
.LBB204_90:                             ; =>This Inner Loop Header: Depth=1
	global_load_ubyte v20, v[18:19], off
	global_load_ubyte v21, v[14:15], off
	s_add_u32 s6, s40, -1
	s_addc_u32 s7, s41, -1
	s_cmp_eq_u64 s[40:41], 0
	s_mov_b64 s[40:41], s[6:7]
	s_cselect_b64 s[42:43], -1, 0
	v_lshl_add_u64 v[18:19], v[18:19], 0, 1
	v_lshl_add_u64 v[14:15], v[14:15], 0, 1
	s_waitcnt vmcnt(0)
	v_cmp_ne_u16_e64 s[6:7], v20, v21
	s_or_b64 s[6:7], s[6:7], s[42:43]
	s_and_b64 s[6:7], exec, s[6:7]
	v_cmp_eq_u16_e32 vcc, v20, v21
	s_or_b64 s[38:39], s[6:7], s[38:39]
	s_andn2_b64 s[6:7], s[36:37], exec
	s_and_b64 s[36:37], vcc, exec
	s_or_b64 s[36:37], s[6:7], s[36:37]
	s_andn2_b64 exec, exec, s[38:39]
	s_cbranch_execnz .LBB204_90
; %bb.91:
	s_or_b64 exec, exec, s[38:39]
	v_mov_b64_e32 v[14:15], s[20:21]
	v_mad_u64_u32 v[14:15], s[6:7], v8, s30, v[14:15]
	v_mul_lo_u32 v18, v8, s31
	v_mul_lo_u32 v19, v9, s30
	v_add3_u32 v15, v19, v15, v18
	s_mov_b64 s[40:41], 0
	s_mov_b64 s[42:43], s[18:19]
	v_mov_b64_e32 v[18:19], v[14:15]
                                        ; implicit-def: $sgpr38_sgpr39
.LBB204_92:                             ; =>This Inner Loop Header: Depth=1
	global_load_ubyte v20, v[18:19], off
	global_load_ubyte v21, v[16:17], off
	s_add_u32 s6, s42, -1
	s_addc_u32 s7, s43, -1
	s_cmp_eq_u64 s[42:43], 0
	s_mov_b64 s[42:43], s[6:7]
	s_cselect_b64 s[44:45], -1, 0
	v_lshl_add_u64 v[18:19], v[18:19], 0, 1
	v_lshl_add_u64 v[16:17], v[16:17], 0, 1
	s_waitcnt vmcnt(0)
	v_cmp_ne_u16_e64 s[6:7], v20, v21
	s_or_b64 s[6:7], s[6:7], s[44:45]
	s_and_b64 s[6:7], exec, s[6:7]
	v_cmp_eq_u16_e32 vcc, v20, v21
	s_or_b64 s[40:41], s[6:7], s[40:41]
	s_andn2_b64 s[6:7], s[38:39], exec
	s_and_b64 s[38:39], vcc, exec
	s_or_b64 s[38:39], s[6:7], s[38:39]
	s_andn2_b64 exec, exec, s[40:41]
	s_cbranch_execnz .LBB204_92
; %bb.93:
	s_or_b64 exec, exec, s[40:41]
	v_mov_b64_e32 v[16:17], s[20:21]
	v_mad_u64_u32 v[16:17], s[6:7], v6, s30, v[16:17]
	v_mul_lo_u32 v18, v6, s31
	v_mul_lo_u32 v19, v7, s30
	v_add3_u32 v17, v19, v17, v18
	s_mov_b64 s[42:43], 0
                                        ; implicit-def: $sgpr40_sgpr41
.LBB204_94:                             ; =>This Inner Loop Header: Depth=1
	global_load_ubyte v18, v[16:17], off
	global_load_ubyte v19, v[14:15], off
	s_add_u32 s6, s18, -1
	s_addc_u32 s7, s19, -1
	s_cmp_eq_u64 s[18:19], 0
	s_mov_b64 s[18:19], s[6:7]
	s_cselect_b64 s[44:45], -1, 0
	v_lshl_add_u64 v[16:17], v[16:17], 0, 1
	v_lshl_add_u64 v[14:15], v[14:15], 0, 1
	s_waitcnt vmcnt(0)
	v_cmp_ne_u16_e64 s[6:7], v18, v19
	s_or_b64 s[6:7], s[6:7], s[44:45]
	s_and_b64 s[6:7], exec, s[6:7]
	v_cmp_eq_u16_e32 vcc, v18, v19
	s_or_b64 s[42:43], s[6:7], s[42:43]
	s_andn2_b64 s[6:7], s[40:41], exec
	s_and_b64 s[40:41], vcc, exec
	s_or_b64 s[40:41], s[6:7], s[40:41]
	s_andn2_b64 exec, exec, s[42:43]
	s_cbranch_execnz .LBB204_94
; %bb.95:
	s_or_b64 exec, exec, s[42:43]
	s_xor_b64 s[6:7], s[14:15], -1
	v_cndmask_b32_e64 v32, 0, 1, s[6:7]
	s_xor_b64 s[6:7], s[36:37], -1
	v_cndmask_b32_e64 v14, 0, 1, s[6:7]
	v_lshlrev_b16_e32 v14, 8, v14
	v_mov_b32_e32 v15, 8
	s_xor_b64 s[14:15], s[38:39], -1
	v_lshrrev_b32_sdwa v14, v15, v14 dst_sel:BYTE_1 dst_unused:UNUSED_PAD src0_sel:DWORD src1_sel:DWORD
	v_cndmask_b32_e64 v15, 0, 1, s[14:15]
	s_xor_b64 s[6:7], s[40:41], -1
	v_or_b32_sdwa v14, v15, v14 dst_sel:WORD_1 dst_unused:UNUSED_PAD src0_sel:DWORD src1_sel:DWORD
	s_branch .LBB204_98
.LBB204_96:
                                        ; implicit-def: $sgpr6_sgpr7
                                        ; implicit-def: $vgpr32
                                        ; implicit-def: $vgpr15
                                        ; implicit-def: $vgpr16
                                        ; implicit-def: $vgpr34
                                        ; implicit-def: $vgpr33
                                        ; implicit-def: $vgpr14
	s_cbranch_execnz .LBB204_105
	s_branch .LBB204_138
.LBB204_97:
	v_mov_b32_e32 v14, 0
	v_mov_b32_e32 v32, 0
.LBB204_98:
	v_lshrrev_b32_e32 v33, 16, v14
	v_lshrrev_b32_e32 v14, 24, v14
	v_cndmask_b32_e64 v34, 0, 1, s[6:7]
	v_mov_b32_e32 v16, 1
	v_cmp_ne_u32_e32 vcc, 0, v0
	s_waitcnt lgkmcnt(0)
	s_barrier
                                        ; implicit-def: $sgpr6_sgpr7
                                        ; implicit-def: $vgpr15
	s_and_saveexec_b64 s[14:15], vcc
	s_xor_b64 s[14:15], exec, s[14:15]
	s_cbranch_execz .LBB204_104
; %bb.99:
	v_lshlrev_b16_e32 v15, 8, v14
	s_movk_i32 s6, 0xff
	v_bitop3_b16 v15, v33, v15, s6 bitop3:0xec
	v_lshlrev_b16_e32 v17, 8, v34
	v_lshlrev_b32_e32 v15, 16, v15
	v_or_b32_e32 v17, 1, v17
	v_or_b32_sdwa v15, v17, v15 dst_sel:DWORD dst_unused:UNUSED_PAD src0_sel:WORD_0 src1_sel:DWORD
	s_mov_b32 s33, 0x3020104
	s_and_b64 vcc, exec, s[4:5]
	s_mov_b64 s[6:7], 0
	s_cbranch_vccnz .LBB204_103
; %bb.100:
	v_add_u32_e32 v17, -8, v23
	ds_read_b64 v[18:19], v17
	v_mov_b64_e32 v[20:21], s[20:21]
	s_add_u32 s36, s30, -1
	s_addc_u32 s37, s31, -1
                                        ; implicit-def: $sgpr18_sgpr19
	s_waitcnt lgkmcnt(0)
	v_mul_lo_u32 v17, v18, s31
	v_mul_lo_u32 v24, v19, s30
	v_mad_u64_u32 v[18:19], s[4:5], v18, s30, v[20:21]
	v_add3_u32 v19, v24, v19, v17
	v_mad_u64_u32 v[20:21], s[4:5], v6, s30, v[20:21]
	v_mul_lo_u32 v17, v6, s31
	v_mul_lo_u32 v24, v7, s30
	v_add3_u32 v21, v24, v21, v17
.LBB204_101:                            ; =>This Inner Loop Header: Depth=1
	global_load_ubyte v17, v[18:19], off
	global_load_ubyte v24, v[20:21], off
	s_add_u32 s4, s36, -1
	s_addc_u32 s5, s37, -1
	s_cmp_eq_u64 s[36:37], 0
	s_mov_b64 s[36:37], s[4:5]
	s_cselect_b64 s[38:39], -1, 0
	v_lshl_add_u64 v[18:19], v[18:19], 0, 1
	v_lshl_add_u64 v[20:21], v[20:21], 0, 1
	s_waitcnt vmcnt(0)
	v_cmp_ne_u16_e64 s[4:5], v17, v24
	s_or_b64 s[4:5], s[4:5], s[38:39]
	s_and_b64 s[4:5], exec, s[4:5]
	v_cmp_eq_u16_e32 vcc, v17, v24
	s_or_b64 s[6:7], s[4:5], s[6:7]
	s_andn2_b64 s[4:5], s[18:19], exec
	s_and_b64 s[18:19], vcc, exec
	s_or_b64 s[18:19], s[4:5], s[18:19]
	s_andn2_b64 exec, exec, s[6:7]
	s_cbranch_execnz .LBB204_101
; %bb.102:
	s_or_b64 exec, exec, s[6:7]
	s_xor_b64 s[6:7], s[18:19], -1
.LBB204_103:
	v_perm_b32 v15, v15, v15, s33
	s_or_b64 s[10:11], s[10:11], exec
.LBB204_104:
	s_or_b64 exec, exec, s[14:15]
	s_branch .LBB204_138
.LBB204_105:
	v_add_u32_e32 v14, 4, v22
	v_cmp_gt_u32_e32 vcc, s3, v14
	s_mov_b64 s[6:7], 0
	s_mov_b64 s[14:15], 0
	s_and_saveexec_b64 s[18:19], vcc
	s_cbranch_execz .LBB204_111
; %bb.106:
	s_andn2_b64 vcc, exec, s[12:13]
	s_mov_b64 s[4:5], 0
	s_cbranch_vccnz .LBB204_110
; %bb.107:
	v_mov_b64_e32 v[16:17], s[20:21]
	v_mad_u64_u32 v[14:15], s[4:5], v4, s30, v[16:17]
	v_mul_lo_u32 v18, v4, s31
	v_mul_lo_u32 v19, v5, s30
	v_add3_u32 v15, v19, v15, v18
	v_mad_u64_u32 v[16:17], s[4:5], v12, s30, v[16:17]
	v_mul_lo_u32 v18, v12, s31
	v_mul_lo_u32 v19, v13, s30
	s_add_u32 s38, s30, -1
	v_add3_u32 v17, v19, v17, v18
	s_addc_u32 s39, s31, -1
                                        ; implicit-def: $sgpr36_sgpr37
.LBB204_108:                            ; =>This Inner Loop Header: Depth=1
	global_load_ubyte v18, v[14:15], off
	global_load_ubyte v19, v[16:17], off
	s_add_u32 s4, s38, -1
	s_addc_u32 s5, s39, -1
	s_cmp_eq_u64 s[38:39], 0
	s_mov_b64 s[38:39], s[4:5]
	s_cselect_b64 s[40:41], -1, 0
	v_lshl_add_u64 v[14:15], v[14:15], 0, 1
	v_lshl_add_u64 v[16:17], v[16:17], 0, 1
	s_waitcnt vmcnt(0)
	v_cmp_ne_u16_e64 s[4:5], v18, v19
	s_or_b64 s[4:5], s[4:5], s[40:41]
	s_and_b64 s[4:5], exec, s[4:5]
	v_cmp_eq_u16_e32 vcc, v18, v19
	s_or_b64 s[14:15], s[4:5], s[14:15]
	s_andn2_b64 s[4:5], s[36:37], exec
	s_and_b64 s[36:37], vcc, exec
	s_or_b64 s[36:37], s[4:5], s[36:37]
	s_andn2_b64 exec, exec, s[14:15]
	s_cbranch_execnz .LBB204_108
; %bb.109:
	s_or_b64 exec, exec, s[14:15]
	s_xor_b64 s[4:5], s[36:37], -1
.LBB204_110:
	s_and_b64 s[14:15], s[4:5], exec
.LBB204_111:
	s_or_b64 exec, exec, s[18:19]
	v_add_u32_e32 v14, 3, v22
	v_cmp_gt_u32_e32 vcc, s3, v14
	s_and_saveexec_b64 s[18:19], vcc
	s_cbranch_execz .LBB204_117
; %bb.112:
	s_andn2_b64 vcc, exec, s[12:13]
	s_mov_b64 s[4:5], 0
	s_cbranch_vccnz .LBB204_116
; %bb.113:
	v_mov_b64_e32 v[16:17], s[20:21]
	v_mad_u64_u32 v[14:15], s[4:5], v2, s30, v[16:17]
	v_mul_lo_u32 v18, v2, s31
	v_mul_lo_u32 v19, v3, s30
	v_add3_u32 v15, v19, v15, v18
	v_mad_u64_u32 v[16:17], s[4:5], v4, s30, v[16:17]
	v_mul_lo_u32 v18, v4, s31
	v_mul_lo_u32 v19, v5, s30
	s_add_u32 s38, s30, -1
	v_add3_u32 v17, v19, v17, v18
	s_addc_u32 s39, s31, -1
	s_mov_b64 s[6:7], 0
                                        ; implicit-def: $sgpr36_sgpr37
.LBB204_114:                            ; =>This Inner Loop Header: Depth=1
	global_load_ubyte v18, v[14:15], off
	global_load_ubyte v19, v[16:17], off
	s_add_u32 s4, s38, -1
	s_addc_u32 s5, s39, -1
	s_cmp_eq_u64 s[38:39], 0
	s_mov_b64 s[38:39], s[4:5]
	s_cselect_b64 s[40:41], -1, 0
	v_lshl_add_u64 v[14:15], v[14:15], 0, 1
	v_lshl_add_u64 v[16:17], v[16:17], 0, 1
	s_waitcnt vmcnt(0)
	v_cmp_ne_u16_e64 s[4:5], v18, v19
	s_or_b64 s[4:5], s[4:5], s[40:41]
	s_and_b64 s[4:5], exec, s[4:5]
	v_cmp_eq_u16_e32 vcc, v18, v19
	s_or_b64 s[6:7], s[4:5], s[6:7]
	s_andn2_b64 s[4:5], s[36:37], exec
	s_and_b64 s[36:37], vcc, exec
	s_or_b64 s[36:37], s[4:5], s[36:37]
	s_andn2_b64 exec, exec, s[6:7]
	s_cbranch_execnz .LBB204_114
; %bb.115:
	s_or_b64 exec, exec, s[6:7]
	s_xor_b64 s[4:5], s[36:37], -1
.LBB204_116:
	s_and_b64 s[6:7], s[4:5], exec
.LBB204_117:
	s_or_b64 exec, exec, s[18:19]
	v_add_u32_e32 v14, 2, v22
	v_cmp_gt_u32_e32 vcc, s3, v14
	s_mov_b64 s[18:19], 0
	s_mov_b64 s[36:37], 0
	s_and_saveexec_b64 s[38:39], vcc
	s_cbranch_execz .LBB204_123
; %bb.118:
	s_andn2_b64 vcc, exec, s[12:13]
	s_mov_b64 s[4:5], 0
	s_cbranch_vccnz .LBB204_122
; %bb.119:
	v_mov_b64_e32 v[16:17], s[20:21]
	v_mad_u64_u32 v[14:15], s[4:5], v8, s30, v[16:17]
	v_mul_lo_u32 v18, v8, s31
	v_mul_lo_u32 v19, v9, s30
	v_add3_u32 v15, v19, v15, v18
	v_mad_u64_u32 v[16:17], s[4:5], v2, s30, v[16:17]
	v_mul_lo_u32 v18, v2, s31
	v_mul_lo_u32 v19, v3, s30
	s_add_u32 s42, s30, -1
	v_add3_u32 v17, v19, v17, v18
	s_addc_u32 s43, s31, -1
                                        ; implicit-def: $sgpr40_sgpr41
.LBB204_120:                            ; =>This Inner Loop Header: Depth=1
	global_load_ubyte v18, v[14:15], off
	global_load_ubyte v19, v[16:17], off
	s_add_u32 s4, s42, -1
	s_addc_u32 s5, s43, -1
	s_cmp_eq_u64 s[42:43], 0
	s_mov_b64 s[42:43], s[4:5]
	s_cselect_b64 s[44:45], -1, 0
	v_lshl_add_u64 v[14:15], v[14:15], 0, 1
	v_lshl_add_u64 v[16:17], v[16:17], 0, 1
	s_waitcnt vmcnt(0)
	v_cmp_ne_u16_e64 s[4:5], v18, v19
	s_or_b64 s[4:5], s[4:5], s[44:45]
	s_and_b64 s[4:5], exec, s[4:5]
	v_cmp_eq_u16_e32 vcc, v18, v19
	s_or_b64 s[36:37], s[4:5], s[36:37]
	s_andn2_b64 s[4:5], s[40:41], exec
	s_and_b64 s[40:41], vcc, exec
	s_or_b64 s[40:41], s[4:5], s[40:41]
	s_andn2_b64 exec, exec, s[36:37]
	s_cbranch_execnz .LBB204_120
; %bb.121:
	s_or_b64 exec, exec, s[36:37]
	s_xor_b64 s[4:5], s[40:41], -1
.LBB204_122:
	s_and_b64 s[36:37], s[4:5], exec
.LBB204_123:
	s_or_b64 exec, exec, s[38:39]
	v_add_u32_e32 v14, 1, v22
	v_cmp_gt_u32_e32 vcc, s3, v14
	s_and_saveexec_b64 s[38:39], vcc
	s_cbranch_execz .LBB204_129
; %bb.124:
	s_andn2_b64 vcc, exec, s[12:13]
	s_mov_b64 s[4:5], 0
	s_cbranch_vccnz .LBB204_128
; %bb.125:
	v_mov_b64_e32 v[16:17], s[20:21]
	v_mad_u64_u32 v[14:15], s[4:5], v6, s30, v[16:17]
	v_mul_lo_u32 v18, v6, s31
	v_mul_lo_u32 v19, v7, s30
	v_add3_u32 v15, v19, v15, v18
	v_mad_u64_u32 v[16:17], s[4:5], v8, s30, v[16:17]
	v_mul_lo_u32 v18, v8, s31
	v_mul_lo_u32 v19, v9, s30
	s_add_u32 s42, s30, -1
	v_add3_u32 v17, v19, v17, v18
	s_addc_u32 s43, s31, -1
	s_mov_b64 s[18:19], 0
                                        ; implicit-def: $sgpr40_sgpr41
.LBB204_126:                            ; =>This Inner Loop Header: Depth=1
	global_load_ubyte v18, v[14:15], off
	global_load_ubyte v19, v[16:17], off
	s_add_u32 s4, s42, -1
	s_addc_u32 s5, s43, -1
	s_cmp_eq_u64 s[42:43], 0
	s_mov_b64 s[42:43], s[4:5]
	s_cselect_b64 s[44:45], -1, 0
	v_lshl_add_u64 v[14:15], v[14:15], 0, 1
	v_lshl_add_u64 v[16:17], v[16:17], 0, 1
	s_waitcnt vmcnt(0)
	v_cmp_ne_u16_e64 s[4:5], v18, v19
	s_or_b64 s[4:5], s[4:5], s[44:45]
	s_and_b64 s[4:5], exec, s[4:5]
	v_cmp_eq_u16_e32 vcc, v18, v19
	s_or_b64 s[18:19], s[4:5], s[18:19]
	s_andn2_b64 s[4:5], s[40:41], exec
	s_and_b64 s[40:41], vcc, exec
	s_or_b64 s[40:41], s[4:5], s[40:41]
	s_andn2_b64 exec, exec, s[18:19]
	s_cbranch_execnz .LBB204_126
; %bb.127:
	s_or_b64 exec, exec, s[18:19]
	s_xor_b64 s[4:5], s[40:41], -1
.LBB204_128:
	s_and_b64 s[18:19], s[4:5], exec
.LBB204_129:
	s_or_b64 exec, exec, s[38:39]
	v_cndmask_b32_e64 v32, 0, 1, s[14:15]
	v_cndmask_b32_e64 v33, 0, 1, s[36:37]
	;; [unrolled: 1-line block ×4, first 2 shown]
	v_mov_b32_e32 v16, 1
	v_cmp_ne_u32_e32 vcc, 0, v0
	s_waitcnt lgkmcnt(0)
	s_barrier
                                        ; implicit-def: $sgpr6_sgpr7
                                        ; implicit-def: $vgpr15
	s_and_saveexec_b64 s[14:15], vcc
	s_cbranch_execz .LBB204_137
; %bb.130:
	v_lshlrev_b16_e32 v15, 8, v34
	v_lshlrev_b16_e32 v17, 8, v14
	v_or_b32_e32 v15, 1, v15
	v_or_b32_sdwa v17, v33, v17 dst_sel:WORD_1 dst_unused:UNUSED_PAD src0_sel:DWORD src1_sel:DWORD
	v_cmp_gt_u32_e32 vcc, s3, v22
	v_or_b32_sdwa v15, v15, v17 dst_sel:DWORD dst_unused:UNUSED_PAD src0_sel:WORD_0 src1_sel:DWORD
	s_mov_b32 s33, 0x3020104
	s_mov_b64 s[6:7], 0
	s_and_saveexec_b64 s[18:19], vcc
	s_cbranch_execz .LBB204_136
; %bb.131:
	s_andn2_b64 vcc, exec, s[12:13]
	s_mov_b64 s[4:5], 0
	s_cbranch_vccnz .LBB204_135
; %bb.132:
	v_add_u32_e32 v17, -8, v23
	ds_read_b64 v[18:19], v17
	v_mov_b64_e32 v[20:21], s[20:21]
	s_add_u32 s20, s30, -1
	s_addc_u32 s21, s31, -1
                                        ; implicit-def: $sgpr12_sgpr13
	s_waitcnt lgkmcnt(0)
	v_mul_lo_u32 v17, v18, s31
	v_mul_lo_u32 v23, v19, s30
	v_mad_u64_u32 v[18:19], s[4:5], v18, s30, v[20:21]
	v_add3_u32 v19, v23, v19, v17
	v_mad_u64_u32 v[20:21], s[4:5], v6, s30, v[20:21]
	v_mul_lo_u32 v17, v6, s31
	v_mul_lo_u32 v23, v7, s30
	v_add3_u32 v21, v23, v21, v17
.LBB204_133:                            ; =>This Inner Loop Header: Depth=1
	global_load_ubyte v17, v[18:19], off
	global_load_ubyte v23, v[20:21], off
	s_add_u32 s4, s20, -1
	s_addc_u32 s5, s21, -1
	s_cmp_eq_u64 s[20:21], 0
	s_mov_b64 s[20:21], s[4:5]
	s_cselect_b64 s[30:31], -1, 0
	v_lshl_add_u64 v[18:19], v[18:19], 0, 1
	v_lshl_add_u64 v[20:21], v[20:21], 0, 1
	s_waitcnt vmcnt(0)
	v_cmp_ne_u16_e64 s[4:5], v17, v23
	s_or_b64 s[4:5], s[4:5], s[30:31]
	s_and_b64 s[4:5], exec, s[4:5]
	v_cmp_eq_u16_e32 vcc, v17, v23
	s_or_b64 s[6:7], s[4:5], s[6:7]
	s_andn2_b64 s[4:5], s[12:13], exec
	s_and_b64 s[12:13], vcc, exec
	s_or_b64 s[12:13], s[4:5], s[12:13]
	s_andn2_b64 exec, exec, s[6:7]
	s_cbranch_execnz .LBB204_133
; %bb.134:
	s_or_b64 exec, exec, s[6:7]
	s_xor_b64 s[4:5], s[12:13], -1
.LBB204_135:
	s_and_b64 s[6:7], s[4:5], exec
.LBB204_136:
	s_or_b64 exec, exec, s[18:19]
	v_perm_b32 v15, v15, v15, s33
	s_or_b64 s[10:11], s[10:11], exec
.LBB204_137:
	s_or_b64 exec, exec, s[14:15]
.LBB204_138:
	s_and_saveexec_b64 s[4:5], s[10:11]
; %bb.139:
	v_lshrrev_b32_e32 v14, 24, v15
	v_lshrrev_b32_e32 v33, 16, v15
	;; [unrolled: 1-line block ×3, first 2 shown]
	v_cndmask_b32_e64 v16, 0, 1, s[6:7]
; %bb.140:
	s_or_b64 exec, exec, s[4:5]
	s_andn2_b64 vcc, exec, s[8:9]
	s_cbranch_vccnz .LBB204_144
; %bb.141:
	s_mov_b32 s4, 0xc0c0004
	v_perm_b32 v14, v33, v14, s4
	v_perm_b32 v15, v16, v34, s4
	v_lshlrev_b32_e32 v14, 16, v14
	v_or_b32_e32 v15, v15, v14
	v_cmp_gt_u32_e32 vcc, s3, v22
	v_add_u32_e32 v16, 1, v22
	s_mov_b32 s4, 0x40c0100
	v_cndmask_b32_e32 v14, v14, v15, vcc
	v_and_b32_e32 v14, 0xffff00ff, v14
	v_cmp_gt_u32_e32 vcc, s3, v16
	v_add_u32_e32 v16, 2, v22
	v_and_b32_e32 v32, 0xff, v32
	v_cndmask_b32_e32 v14, v14, v15, vcc
	v_lshrrev_b32_e32 v18, 24, v14
	v_perm_b32 v14, v18, v14, s4
	v_cmp_gt_u32_e32 vcc, s3, v16
	v_add_u32_e32 v16, 3, v22
	v_and_b32_e32 v17, 0xffff, v32
	v_cndmask_b32_e32 v14, v14, v15, vcc
	v_and_b32_e32 v14, 0xffffff, v14
	v_cmp_gt_u32_e32 vcc, s3, v16
	s_nop 1
	v_cndmask_b32_e32 v16, v14, v15, vcc
	v_lshrrev_b64 v[14:15], 24, v[16:17]
	v_add_u32_e32 v15, 4, v22
	v_lshrrev_b32_e32 v33, 16, v16
	v_lshrrev_b32_e32 v34, 8, v16
	v_cmp_le_u32_e32 vcc, s3, v15
	s_and_saveexec_b64 s[4:5], vcc
; %bb.142:
	v_mov_b32_e32 v32, 0
; %bb.143:
	s_or_b64 exec, exec, s[4:5]
.LBB204_144:
	v_and_b32_e32 v15, 0xff, v16
	v_and_b32_e32 v17, 0xff, v34
	;; [unrolled: 1-line block ×5, first 2 shown]
	v_add3_u32 v19, v17, v15, v29
	v_add3_u32 v37, v19, v31, v18
	v_mbcnt_lo_u32_b32 v18, -1, 0
	v_mbcnt_hi_u32_b32 v35, -1, v18
	v_and_b32_e32 v18, 15, v35
	v_cmp_eq_u32_e64 s[14:15], 0, v18
	v_cmp_lt_u32_e64 s[12:13], 1, v18
	v_cmp_lt_u32_e64 s[10:11], 3, v18
	;; [unrolled: 1-line block ×3, first 2 shown]
	v_and_b32_e32 v18, 16, v35
	v_cmp_eq_u32_e64 s[6:7], 0, v18
	v_or_b32_e32 v18, 63, v0
	v_cmp_lt_u32_e64 s[18:19], 31, v35
	v_lshrrev_b32_e32 v36, 6, v0
	v_cmp_eq_u32_e64 s[4:5], v0, v18
	s_and_b64 vcc, exec, s[16:17]
	s_waitcnt lgkmcnt(0)
	s_barrier
	s_cbranch_vccz .LBB204_166
; %bb.145:
	v_mov_b32_dpp v18, v37 row_shr:1 row_mask:0xf bank_mask:0xf
	v_cndmask_b32_e64 v18, v18, 0, s[14:15]
	v_add_u32_e32 v18, v18, v37
	s_nop 1
	v_mov_b32_dpp v19, v18 row_shr:2 row_mask:0xf bank_mask:0xf
	v_cndmask_b32_e64 v19, 0, v19, s[12:13]
	v_add_u32_e32 v18, v18, v19
	s_nop 1
	;; [unrolled: 4-line block ×4, first 2 shown]
	v_mov_b32_dpp v19, v18 row_bcast:15 row_mask:0xf bank_mask:0xf
	v_cndmask_b32_e64 v19, v19, 0, s[6:7]
	v_add_u32_e32 v18, v18, v19
	s_nop 1
	v_mov_b32_dpp v19, v18 row_bcast:31 row_mask:0xf bank_mask:0xf
	v_cndmask_b32_e64 v19, 0, v19, s[18:19]
	v_add_u32_e32 v18, v18, v19
	s_and_saveexec_b64 s[16:17], s[4:5]
; %bb.146:
	v_lshlrev_b32_e32 v19, 2, v36
	ds_write_b32 v19, v18
; %bb.147:
	s_or_b64 exec, exec, s[16:17]
	v_cmp_gt_u32_e32 vcc, 2, v0
	s_waitcnt lgkmcnt(0)
	s_barrier
	s_and_saveexec_b64 s[16:17], vcc
	s_cbranch_execz .LBB204_149
; %bb.148:
	v_lshlrev_b32_e32 v19, 2, v0
	ds_read_b32 v20, v19
	v_bfe_i32 v21, v35, 0, 1
	s_waitcnt lgkmcnt(0)
	v_mov_b32_dpp v22, v20 row_shr:1 row_mask:0xf bank_mask:0xf
	v_and_b32_e32 v21, v21, v22
	v_add_u32_e32 v20, v21, v20
	ds_write_b32 v19, v20
.LBB204_149:
	s_or_b64 exec, exec, s[16:17]
	v_cmp_gt_u32_e32 vcc, 64, v0
	v_cmp_lt_u32_e64 s[16:17], 63, v0
	s_waitcnt lgkmcnt(0)
	s_barrier
                                        ; implicit-def: $vgpr28
	s_and_saveexec_b64 s[20:21], s[16:17]
	s_cbranch_execz .LBB204_151
; %bb.150:
	v_lshl_add_u32 v19, v36, 2, -4
	ds_read_b32 v28, v19
	s_waitcnt lgkmcnt(0)
	v_add_u32_e32 v18, v28, v18
.LBB204_151:
	s_or_b64 exec, exec, s[20:21]
	v_subrev_co_u32_e64 v19, s[16:17], 1, v35
	v_and_b32_e32 v20, 64, v35
	v_cmp_lt_i32_e64 s[20:21], v19, v20
	s_nop 1
	v_cndmask_b32_e64 v19, v19, v35, s[20:21]
	v_lshlrev_b32_e32 v19, 2, v19
	ds_bpermute_b32 v30, v19, v18
	s_and_saveexec_b64 s[20:21], vcc
	s_cbranch_execz .LBB204_171
; %bb.152:
	v_mov_b32_e32 v25, 0
	ds_read_b32 v18, v25 offset:4
	s_and_saveexec_b64 s[30:31], s[16:17]
	s_cbranch_execz .LBB204_154
; %bb.153:
	s_add_i32 s36, s2, 64
	s_mov_b32 s37, 0
	s_lshl_b64 s[36:37], s[36:37], 3
	s_add_u32 s36, s22, s36
	v_mov_b32_e32 v19, 1
	s_addc_u32 s37, s23, s37
	s_waitcnt lgkmcnt(0)
	global_store_dwordx2 v25, v[18:19], s[36:37] sc1
.LBB204_154:
	s_or_b64 exec, exec, s[30:31]
	v_xad_u32 v20, v35, -1, s2
	v_add_u32_e32 v24, 64, v20
	v_lshl_add_u64 v[26:27], v[24:25], 3, s[22:23]
	global_load_dwordx2 v[22:23], v[26:27], off sc1
	s_waitcnt vmcnt(0)
	v_cmp_eq_u16_sdwa s[36:37], v23, v25 src0_sel:BYTE_0 src1_sel:DWORD
	s_and_saveexec_b64 s[30:31], s[36:37]
	s_cbranch_execz .LBB204_158
; %bb.155:
	s_mov_b64 s[36:37], 0
	v_mov_b32_e32 v19, 0
.LBB204_156:                            ; =>This Inner Loop Header: Depth=1
	global_load_dwordx2 v[22:23], v[26:27], off sc1
	s_waitcnt vmcnt(0)
	v_cmp_ne_u16_sdwa s[38:39], v23, v19 src0_sel:BYTE_0 src1_sel:DWORD
	s_or_b64 s[36:37], s[38:39], s[36:37]
	s_andn2_b64 exec, exec, s[36:37]
	s_cbranch_execnz .LBB204_156
; %bb.157:
	s_or_b64 exec, exec, s[36:37]
.LBB204_158:
	s_or_b64 exec, exec, s[30:31]
	v_and_b32_e32 v39, 63, v35
	v_mov_b32_e32 v38, 2
	v_cmp_ne_u32_e32 vcc, 63, v39
	v_cmp_eq_u16_sdwa s[30:31], v23, v38 src0_sel:BYTE_0 src1_sel:DWORD
	v_lshlrev_b64 v[24:25], v35, -1
	v_addc_co_u32_e32 v26, vcc, 0, v35, vcc
	v_and_b32_e32 v19, s31, v25
	v_lshlrev_b32_e32 v40, 2, v26
	v_or_b32_e32 v19, 0x80000000, v19
	ds_bpermute_b32 v26, v40, v22
	v_and_b32_e32 v21, s30, v24
	v_ffbl_b32_e32 v19, v19
	v_add_u32_e32 v19, 32, v19
	v_ffbl_b32_e32 v21, v21
	v_min_u32_e32 v19, v21, v19
	v_cmp_lt_u32_e32 vcc, v39, v19
	v_add_u32_e32 v42, 2, v39
	v_add_u32_e32 v44, 4, v39
	s_waitcnt lgkmcnt(0)
	v_cndmask_b32_e32 v21, 0, v26, vcc
	v_cmp_gt_u32_e32 vcc, 62, v39
	v_add_u32_e32 v21, v21, v22
	v_add_u32_e32 v46, 8, v39
	v_cndmask_b32_e64 v22, 0, 2, vcc
	v_add_lshl_u32 v41, v22, v35, 2
	ds_bpermute_b32 v22, v41, v21
	v_cmp_le_u32_e32 vcc, v42, v19
	v_add_u32_e32 v48, 16, v39
	v_add_u32_e32 v50, 32, v39
	s_waitcnt lgkmcnt(0)
	v_cndmask_b32_e32 v22, 0, v22, vcc
	v_cmp_gt_u32_e32 vcc, 60, v39
	v_add_u32_e32 v21, v21, v22
	s_nop 0
	v_cndmask_b32_e64 v22, 0, 4, vcc
	v_add_lshl_u32 v43, v22, v35, 2
	ds_bpermute_b32 v22, v43, v21
	v_cmp_le_u32_e32 vcc, v44, v19
	s_waitcnt lgkmcnt(0)
	s_nop 0
	v_cndmask_b32_e32 v22, 0, v22, vcc
	v_cmp_gt_u32_e32 vcc, 56, v39
	v_add_u32_e32 v21, v21, v22
	s_nop 0
	v_cndmask_b32_e64 v22, 0, 8, vcc
	v_add_lshl_u32 v45, v22, v35, 2
	ds_bpermute_b32 v22, v45, v21
	v_cmp_le_u32_e32 vcc, v46, v19
	s_waitcnt lgkmcnt(0)
	s_nop 0
	;; [unrolled: 10-line block ×3, first 2 shown]
	v_cndmask_b32_e32 v22, 0, v22, vcc
	v_add_u32_e32 v21, v21, v22
	v_mov_b32_e32 v22, 0x80
	v_lshl_or_b32 v49, v35, 2, v22
	ds_bpermute_b32 v22, v49, v21
	v_cmp_le_u32_e32 vcc, v50, v19
	s_waitcnt lgkmcnt(0)
	s_nop 0
	v_cndmask_b32_e32 v19, 0, v22, vcc
	v_add_u32_e32 v22, v21, v19
	v_mov_b32_e32 v21, 0
	s_branch .LBB204_161
.LBB204_159:                            ;   in Loop: Header=BB204_161 Depth=1
	s_or_b64 exec, exec, s[30:31]
	v_cmp_eq_u16_sdwa s[30:31], v23, v38 src0_sel:BYTE_0 src1_sel:DWORD
	ds_bpermute_b32 v51, v40, v22
	v_subrev_u32_e32 v20, 64, v20
	v_and_b32_e32 v26, s31, v25
	v_or_b32_e32 v26, 0x80000000, v26
	v_and_b32_e32 v27, s30, v24
	v_ffbl_b32_e32 v26, v26
	v_add_u32_e32 v26, 32, v26
	v_ffbl_b32_e32 v27, v27
	v_min_u32_e32 v26, v27, v26
	v_cmp_lt_u32_e32 vcc, v39, v26
	s_mov_b64 s[30:31], 0
	s_waitcnt lgkmcnt(0)
	v_cndmask_b32_e32 v27, 0, v51, vcc
	v_add_u32_e32 v22, v27, v22
	ds_bpermute_b32 v27, v41, v22
	v_cmp_le_u32_e32 vcc, v42, v26
	s_waitcnt lgkmcnt(0)
	s_nop 0
	v_cndmask_b32_e32 v27, 0, v27, vcc
	v_add_u32_e32 v22, v22, v27
	ds_bpermute_b32 v27, v43, v22
	v_cmp_le_u32_e32 vcc, v44, v26
	s_waitcnt lgkmcnt(0)
	s_nop 0
	;; [unrolled: 6-line block ×5, first 2 shown]
	v_cndmask_b32_e32 v26, 0, v27, vcc
	v_add3_u32 v22, v26, v19, v22
.LBB204_160:                            ;   in Loop: Header=BB204_161 Depth=1
	s_and_b64 vcc, exec, s[30:31]
	s_cbranch_vccnz .LBB204_167
.LBB204_161:                            ; =>This Loop Header: Depth=1
                                        ;     Child Loop BB204_164 Depth 2
	v_cmp_ne_u16_sdwa s[30:31], v23, v38 src0_sel:BYTE_0 src1_sel:DWORD
	v_mov_b32_e32 v19, v22
	s_cmp_lg_u64 s[30:31], exec
	s_mov_b64 s[30:31], -1
                                        ; implicit-def: $vgpr22
                                        ; implicit-def: $vgpr23
	s_cbranch_scc1 .LBB204_160
; %bb.162:                              ;   in Loop: Header=BB204_161 Depth=1
	v_lshl_add_u64 v[26:27], v[20:21], 3, s[22:23]
	global_load_dwordx2 v[22:23], v[26:27], off sc1
	s_waitcnt vmcnt(0)
	v_cmp_eq_u16_sdwa s[36:37], v23, v21 src0_sel:BYTE_0 src1_sel:DWORD
	s_and_saveexec_b64 s[30:31], s[36:37]
	s_cbranch_execz .LBB204_159
; %bb.163:                              ;   in Loop: Header=BB204_161 Depth=1
	s_mov_b64 s[36:37], 0
.LBB204_164:                            ;   Parent Loop BB204_161 Depth=1
                                        ; =>  This Inner Loop Header: Depth=2
	global_load_dwordx2 v[22:23], v[26:27], off sc1
	s_waitcnt vmcnt(0)
	v_cmp_ne_u16_sdwa s[38:39], v23, v21 src0_sel:BYTE_0 src1_sel:DWORD
	s_or_b64 s[36:37], s[38:39], s[36:37]
	s_andn2_b64 exec, exec, s[36:37]
	s_cbranch_execnz .LBB204_164
; %bb.165:                              ;   in Loop: Header=BB204_161 Depth=1
	s_or_b64 exec, exec, s[36:37]
	s_branch .LBB204_159
.LBB204_166:
                                        ; implicit-def: $vgpr22
                                        ; implicit-def: $vgpr24
                                        ; implicit-def: $vgpr26
                                        ; implicit-def: $vgpr28
                                        ; implicit-def: $vgpr30
                                        ; implicit-def: $vgpr20
                                        ; implicit-def: $vgpr18
	s_cbranch_execnz .LBB204_172
	s_branch .LBB204_181
.LBB204_167:
	s_and_saveexec_b64 s[30:31], s[16:17]
	s_cbranch_execz .LBB204_169
; %bb.168:
	s_add_i32 s2, s2, 64
	s_mov_b32 s3, 0
	s_lshl_b64 s[2:3], s[2:3], 3
	s_add_u32 s2, s22, s2
	v_add_u32_e32 v20, v19, v18
	v_mov_b32_e32 v21, 2
	s_addc_u32 s3, s23, s3
	v_mov_b32_e32 v22, 0
	global_store_dwordx2 v22, v[20:21], s[2:3] sc1
	ds_write_b64 v22, v[18:19] offset:5120
.LBB204_169:
	s_or_b64 exec, exec, s[30:31]
	v_cmp_eq_u32_e32 vcc, 0, v0
	s_and_b64 exec, exec, vcc
; %bb.170:
	v_mov_b32_e32 v18, 0
	ds_write_b32 v18, v19 offset:4
.LBB204_171:
	s_or_b64 exec, exec, s[20:21]
	v_mov_b32_e32 v18, 0
	s_waitcnt lgkmcnt(0)
	s_barrier
	ds_read_b32 v19, v18 offset:4
	v_cndmask_b32_e64 v20, v30, v28, s[16:17]
	v_cmp_ne_u32_e32 vcc, 0, v0
	s_waitcnt lgkmcnt(0)
	s_barrier
	v_cndmask_b32_e32 v20, 0, v20, vcc
	v_add_u32_e32 v30, v19, v20
	ds_read_b64 v[18:19], v18 offset:5120
	v_add_u32_e32 v28, v30, v15
	v_add_u32_e32 v26, v28, v17
	;; [unrolled: 1-line block ×4, first 2 shown]
	s_waitcnt lgkmcnt(0)
	v_mov_b32_e32 v20, v19
	s_branch .LBB204_181
.LBB204_172:
	v_mov_b32_dpp v18, v37 row_shr:1 row_mask:0xf bank_mask:0xf
	v_cndmask_b32_e64 v18, v18, 0, s[14:15]
	v_add_u32_e32 v18, v18, v37
	s_nop 1
	v_mov_b32_dpp v19, v18 row_shr:2 row_mask:0xf bank_mask:0xf
	v_cndmask_b32_e64 v19, 0, v19, s[12:13]
	v_add_u32_e32 v18, v18, v19
	s_nop 1
	;; [unrolled: 4-line block ×4, first 2 shown]
	v_mov_b32_dpp v19, v18 row_bcast:15 row_mask:0xf bank_mask:0xf
	v_cndmask_b32_e64 v19, v19, 0, s[6:7]
	v_add_u32_e32 v18, v18, v19
	s_nop 1
	v_mov_b32_dpp v19, v18 row_bcast:31 row_mask:0xf bank_mask:0xf
	v_cndmask_b32_e64 v19, 0, v19, s[18:19]
	v_add_u32_e32 v18, v18, v19
	s_and_saveexec_b64 s[2:3], s[4:5]
; %bb.173:
	v_lshlrev_b32_e32 v19, 2, v36
	ds_write_b32 v19, v18
; %bb.174:
	s_or_b64 exec, exec, s[2:3]
	v_cmp_gt_u32_e32 vcc, 2, v0
	s_waitcnt lgkmcnt(0)
	s_barrier
	s_and_saveexec_b64 s[2:3], vcc
	s_cbranch_execz .LBB204_176
; %bb.175:
	v_lshlrev_b32_e32 v19, 2, v0
	ds_read_b32 v20, v19
	v_bfe_i32 v21, v35, 0, 1
	s_waitcnt lgkmcnt(0)
	v_mov_b32_dpp v22, v20 row_shr:1 row_mask:0xf bank_mask:0xf
	v_and_b32_e32 v21, v21, v22
	v_add_u32_e32 v20, v21, v20
	ds_write_b32 v19, v20
.LBB204_176:
	s_or_b64 exec, exec, s[2:3]
	v_cmp_lt_u32_e32 vcc, 63, v0
	v_mov_b32_e32 v19, 0
	v_mov_b32_e32 v20, 0
	s_waitcnt lgkmcnt(0)
	s_barrier
	s_and_saveexec_b64 s[2:3], vcc
; %bb.177:
	v_lshl_add_u32 v20, v36, 2, -4
	ds_read_b32 v20, v20
; %bb.178:
	s_or_b64 exec, exec, s[2:3]
	v_subrev_co_u32_e32 v21, vcc, 1, v35
	v_and_b32_e32 v22, 64, v35
	v_cmp_lt_i32_e64 s[2:3], v21, v22
	s_waitcnt lgkmcnt(0)
	v_add_u32_e32 v18, v20, v18
	v_cndmask_b32_e64 v21, v21, v35, s[2:3]
	v_lshlrev_b32_e32 v21, 2, v21
	ds_bpermute_b32 v21, v21, v18
	ds_read_b32 v18, v19 offset:4
	v_cmp_eq_u32_e64 s[2:3], 0, v0
	s_and_saveexec_b64 s[4:5], s[2:3]
	s_cbranch_execz .LBB204_180
; %bb.179:
	v_mov_b32_e32 v22, 0
	v_mov_b32_e32 v19, 2
	s_waitcnt lgkmcnt(0)
	global_store_dwordx2 v22, v[18:19], s[22:23] offset:512 sc1
.LBB204_180:
	s_or_b64 exec, exec, s[4:5]
	s_waitcnt lgkmcnt(1)
	v_cndmask_b32_e32 v19, v21, v20, vcc
	v_cndmask_b32_e64 v30, v19, 0, s[2:3]
	v_add_u32_e32 v28, v30, v15
	v_add_u32_e32 v26, v28, v17
	;; [unrolled: 1-line block ×4, first 2 shown]
	s_waitcnt lgkmcnt(0)
	s_barrier
	v_mov_b32_e32 v20, 0
.LBB204_181:
	s_load_dwordx4 s[8:11], s[0:1], 0x28
	s_movk_i32 s0, 0x81
	v_cmp_gt_u32_e64 s[0:1], s0, v18
	v_add_u32_e32 v17, v20, v18
	v_and_b32_e32 v15, 1, v16
	s_mov_b64 s[6:7], -1
	s_and_b64 vcc, exec, s[0:1]
	v_cmp_lt_u32_e64 s[2:3], v30, v17
	v_cmp_eq_u32_e64 s[4:5], 1, v15
	s_cbranch_vccz .LBB204_193
; %bb.182:
	s_or_b64 s[2:3], s[34:35], s[2:3]
	s_and_b64 s[4:5], s[2:3], s[4:5]
	s_and_saveexec_b64 s[2:3], s[4:5]
	s_cbranch_execz .LBB204_184
; %bb.183:
	s_lshl_b64 s[4:5], s[26:27], 3
	s_waitcnt lgkmcnt(0)
	s_add_u32 s4, s8, s4
	s_addc_u32 s5, s9, s5
	v_mov_b32_e32 v31, 0
	v_lshl_add_u64 v[36:37], v[30:31], 3, s[4:5]
	global_store_dwordx2 v[36:37], v[6:7], off
.LBB204_184:
	s_or_b64 exec, exec, s[2:3]
	v_cmp_lt_u32_e32 vcc, v28, v17
	v_and_b32_e32 v16, 1, v34
	s_or_b64 s[2:3], s[34:35], vcc
	v_cmp_eq_u32_e32 vcc, 1, v16
	s_and_b64 s[4:5], s[2:3], vcc
	s_and_saveexec_b64 s[2:3], s[4:5]
	s_cbranch_execz .LBB204_186
; %bb.185:
	s_lshl_b64 s[4:5], s[26:27], 3
	s_waitcnt lgkmcnt(0)
	s_add_u32 s4, s8, s4
	s_addc_u32 s5, s9, s5
	v_mov_b32_e32 v29, 0
	v_lshl_add_u64 v[36:37], v[28:29], 3, s[4:5]
	global_store_dwordx2 v[36:37], v[8:9], off
.LBB204_186:
	s_or_b64 exec, exec, s[2:3]
	v_cmp_lt_u32_e32 vcc, v26, v17
	v_and_b32_e32 v16, 1, v33
	s_or_b64 s[2:3], s[34:35], vcc
	v_cmp_eq_u32_e32 vcc, 1, v16
	s_and_b64 s[4:5], s[2:3], vcc
	;; [unrolled: 17-line block ×4, first 2 shown]
	s_and_saveexec_b64 s[2:3], s[4:5]
	s_cbranch_execz .LBB204_192
; %bb.191:
	s_lshl_b64 s[4:5], s[26:27], 3
	s_waitcnt lgkmcnt(0)
	s_add_u32 s4, s8, s4
	s_addc_u32 s5, s9, s5
	v_mov_b32_e32 v23, 0
	v_lshl_add_u64 v[36:37], v[22:23], 3, s[4:5]
	global_store_dwordx2 v[36:37], v[12:13], off
.LBB204_192:
	s_or_b64 exec, exec, s[2:3]
	s_mov_b64 s[6:7], 0
.LBB204_193:
	s_and_b64 vcc, exec, s[6:7]
	s_cbranch_vccz .LBB204_207
; %bb.194:
	v_cmp_eq_u32_e32 vcc, 1, v15
	s_and_saveexec_b64 s[2:3], vcc
; %bb.195:
	v_sub_u32_e32 v16, v30, v20
	v_lshlrev_b32_e32 v16, 3, v16
	ds_write_b64 v16, v[6:7]
; %bb.196:
	s_or_b64 exec, exec, s[2:3]
	v_and_b32_e32 v6, 1, v34
	v_cmp_eq_u32_e32 vcc, 1, v6
	s_and_saveexec_b64 s[2:3], vcc
; %bb.197:
	v_sub_u32_e32 v6, v28, v20
	v_lshlrev_b32_e32 v6, 3, v6
	ds_write_b64 v6, v[8:9]
; %bb.198:
	s_or_b64 exec, exec, s[2:3]
	v_and_b32_e32 v6, 1, v33
	;; [unrolled: 9-line block ×4, first 2 shown]
	v_cmp_eq_u32_e32 vcc, 1, v2
	s_and_saveexec_b64 s[2:3], vcc
; %bb.203:
	v_sub_u32_e32 v2, v22, v20
	v_lshlrev_b32_e32 v2, 3, v2
	ds_write_b64 v2, v[12:13]
; %bb.204:
	s_or_b64 exec, exec, s[2:3]
	v_mov_b32_e32 v3, 0
	v_mov_b32_e32 v21, v3
	v_lshlrev_b64 v[4:5], 3, v[20:21]
	s_waitcnt lgkmcnt(0)
	v_lshl_add_u64 v[4:5], s[8:9], 0, v[4:5]
	s_lshl_b64 s[2:3], s[26:27], 3
	v_lshl_add_u64 v[4:5], v[4:5], 0, s[2:3]
	v_lshlrev_b32_e32 v6, 3, v0
	s_mov_b64 s[2:3], 0
	v_mov_b32_e32 v2, v0
	s_barrier
.LBB204_205:                            ; =>This Inner Loop Header: Depth=1
	ds_read_b64 v[8:9], v6
	v_lshl_add_u64 v[12:13], v[2:3], 3, v[4:5]
	v_add_u32_e32 v2, 0x80, v2
	v_cmp_ge_u32_e32 vcc, v2, v18
	v_add_u32_e32 v6, 0x400, v6
	s_or_b64 s[2:3], vcc, s[2:3]
	s_waitcnt lgkmcnt(0)
	global_store_dwordx2 v[12:13], v[8:9], off
	s_andn2_b64 exec, exec, s[2:3]
	s_cbranch_execnz .LBB204_205
; %bb.206:
	s_or_b64 exec, exec, s[2:3]
.LBB204_207:
	s_mov_b64 s[2:3], -1
	s_and_b64 vcc, exec, s[0:1]
	s_waitcnt lgkmcnt(0)
	s_barrier
	s_cbranch_vccnz .LBB204_211
; %bb.208:
	s_and_b64 vcc, exec, s[2:3]
	s_cbranch_vccnz .LBB204_222
.LBB204_209:
	v_cmp_eq_u32_e32 vcc, 0, v0
	s_and_b64 s[0:1], vcc, s[28:29]
	s_and_saveexec_b64 s[2:3], s[0:1]
	s_cbranch_execnz .LBB204_235
.LBB204_210:
	s_endpgm
.LBB204_211:
	v_cmp_lt_u32_e32 vcc, v30, v17
	s_or_b64 s[0:1], s[34:35], vcc
	v_cmp_eq_u32_e32 vcc, 1, v15
	s_and_b64 s[2:3], s[0:1], vcc
	s_and_saveexec_b64 s[0:1], s[2:3]
	s_cbranch_execz .LBB204_213
; %bb.212:
	s_lshl_b64 s[2:3], s[26:27], 3
	s_add_u32 s2, s10, s2
	s_addc_u32 s3, s11, s3
	v_mov_b32_e32 v31, 0
	v_lshl_add_u64 v[2:3], v[30:31], 3, s[2:3]
	global_store_dwordx2 v[2:3], v[56:57], off
.LBB204_213:
	s_or_b64 exec, exec, s[0:1]
	v_cmp_lt_u32_e32 vcc, v28, v17
	v_and_b32_e32 v2, 1, v34
	s_or_b64 s[0:1], s[34:35], vcc
	v_cmp_eq_u32_e32 vcc, 1, v2
	s_and_b64 s[2:3], s[0:1], vcc
	s_and_saveexec_b64 s[0:1], s[2:3]
	s_cbranch_execz .LBB204_215
; %bb.214:
	s_lshl_b64 s[2:3], s[26:27], 3
	s_add_u32 s2, s10, s2
	s_addc_u32 s3, s11, s3
	v_mov_b32_e32 v29, 0
	v_lshl_add_u64 v[2:3], v[28:29], 3, s[2:3]
	global_store_dwordx2 v[2:3], v[58:59], off
.LBB204_215:
	s_or_b64 exec, exec, s[0:1]
	v_cmp_lt_u32_e32 vcc, v26, v17
	v_and_b32_e32 v2, 1, v33
	;; [unrolled: 16-line block ×4, first 2 shown]
	s_or_b64 s[0:1], s[34:35], vcc
	v_cmp_eq_u32_e32 vcc, 1, v2
	s_and_b64 s[2:3], s[0:1], vcc
	s_and_saveexec_b64 s[0:1], s[2:3]
	s_cbranch_execz .LBB204_221
; %bb.220:
	s_lshl_b64 s[2:3], s[26:27], 3
	s_add_u32 s2, s10, s2
	s_addc_u32 s3, s11, s3
	v_mov_b32_e32 v23, 0
	v_lshl_add_u64 v[2:3], v[22:23], 3, s[2:3]
	global_store_dwordx2 v[2:3], v[10:11], off
.LBB204_221:
	s_or_b64 exec, exec, s[0:1]
	s_branch .LBB204_209
.LBB204_222:
	v_cmp_eq_u32_e32 vcc, 1, v15
	s_and_saveexec_b64 s[0:1], vcc
; %bb.223:
	v_sub_u32_e32 v2, v30, v20
	v_lshlrev_b32_e32 v2, 3, v2
	ds_write_b64 v2, v[56:57]
; %bb.224:
	s_or_b64 exec, exec, s[0:1]
	v_and_b32_e32 v2, 1, v34
	v_cmp_eq_u32_e32 vcc, 1, v2
	s_and_saveexec_b64 s[0:1], vcc
; %bb.225:
	v_sub_u32_e32 v2, v28, v20
	v_lshlrev_b32_e32 v2, 3, v2
	ds_write_b64 v2, v[58:59]
; %bb.226:
	s_or_b64 exec, exec, s[0:1]
	v_and_b32_e32 v2, 1, v33
	;; [unrolled: 9-line block ×4, first 2 shown]
	v_cmp_eq_u32_e32 vcc, 1, v2
	s_and_saveexec_b64 s[0:1], vcc
; %bb.231:
	v_sub_u32_e32 v2, v22, v20
	v_lshlrev_b32_e32 v2, 3, v2
	ds_write_b64 v2, v[10:11]
; %bb.232:
	s_or_b64 exec, exec, s[0:1]
	v_mov_b32_e32 v3, 0
	v_mov_b32_e32 v21, v3
	v_lshlrev_b64 v[4:5], 3, v[20:21]
	v_lshl_add_u64 v[4:5], s[10:11], 0, v[4:5]
	s_lshl_b64 s[0:1], s[26:27], 3
	v_lshl_add_u64 v[4:5], v[4:5], 0, s[0:1]
	s_mov_b64 s[0:1], 0
	v_mov_b32_e32 v2, v0
	s_waitcnt lgkmcnt(0)
	s_barrier
.LBB204_233:                            ; =>This Inner Loop Header: Depth=1
	ds_read_b64 v[6:7], v1
	v_lshl_add_u64 v[8:9], v[2:3], 3, v[4:5]
	v_add_u32_e32 v2, 0x80, v2
	v_cmp_ge_u32_e32 vcc, v2, v18
	v_add_u32_e32 v1, 0x400, v1
	s_or_b64 s[0:1], vcc, s[0:1]
	s_waitcnt lgkmcnt(0)
	global_store_dwordx2 v[8:9], v[6:7], off
	s_andn2_b64 exec, exec, s[0:1]
	s_cbranch_execnz .LBB204_233
; %bb.234:
	s_or_b64 exec, exec, s[0:1]
	v_cmp_eq_u32_e32 vcc, 0, v0
	s_and_b64 s[0:1], vcc, s[28:29]
	s_and_saveexec_b64 s[2:3], s[0:1]
	s_cbranch_execz .LBB204_210
.LBB204_235:
	v_mov_b32_e32 v19, 0
	v_lshl_add_u64 v[0:1], s[26:27], 0, v[18:19]
	v_mov_b32_e32 v21, v19
	v_lshl_add_u64 v[0:1], v[0:1], 0, v[20:21]
	global_store_dwordx2 v19, v[0:1], s[24:25]
	s_endpgm
	.section	.rodata,"a",@progbits
	.p2align	6, 0x0
	.amdhsa_kernel _ZN7rocprim17ROCPRIM_400000_NS6detail17trampoline_kernelINS0_14default_configENS1_25partition_config_selectorILNS1_17partition_subalgoE9EllbEEZZNS1_14partition_implILS5_9ELb0ES3_jPlS8_PNS0_10empty_typeENS0_5tupleIJS8_S9_EEENSB_IJS8_SA_EEENS0_18inequality_wrapperIZN2at6native12_GLOBAL__N_124unique_dim_cuda_templateIhEESt5tupleIJNSF_6TensorESK_SK_EERKSK_lbbbEUlllE0_EEPmJS9_EEE10hipError_tPvRmT3_T4_T5_T6_T7_T9_mT8_P12ihipStream_tbDpT10_ENKUlT_T0_E_clISt17integral_constantIbLb0EES1A_EEDaS15_S16_EUlS15_E_NS1_11comp_targetILNS1_3genE0ELNS1_11target_archE4294967295ELNS1_3gpuE0ELNS1_3repE0EEENS1_30default_config_static_selectorELNS0_4arch9wavefront6targetE1EEEvT1_
		.amdhsa_group_segment_fixed_size 5128
		.amdhsa_private_segment_fixed_size 0
		.amdhsa_kernarg_size 120
		.amdhsa_user_sgpr_count 2
		.amdhsa_user_sgpr_dispatch_ptr 0
		.amdhsa_user_sgpr_queue_ptr 0
		.amdhsa_user_sgpr_kernarg_segment_ptr 1
		.amdhsa_user_sgpr_dispatch_id 0
		.amdhsa_user_sgpr_kernarg_preload_length 0
		.amdhsa_user_sgpr_kernarg_preload_offset 0
		.amdhsa_user_sgpr_private_segment_size 0
		.amdhsa_uses_dynamic_stack 0
		.amdhsa_enable_private_segment 0
		.amdhsa_system_sgpr_workgroup_id_x 1
		.amdhsa_system_sgpr_workgroup_id_y 0
		.amdhsa_system_sgpr_workgroup_id_z 0
		.amdhsa_system_sgpr_workgroup_info 0
		.amdhsa_system_vgpr_workitem_id 0
		.amdhsa_next_free_vgpr 60
		.amdhsa_next_free_sgpr 46
		.amdhsa_accum_offset 60
		.amdhsa_reserve_vcc 1
		.amdhsa_float_round_mode_32 0
		.amdhsa_float_round_mode_16_64 0
		.amdhsa_float_denorm_mode_32 3
		.amdhsa_float_denorm_mode_16_64 3
		.amdhsa_dx10_clamp 1
		.amdhsa_ieee_mode 1
		.amdhsa_fp16_overflow 0
		.amdhsa_tg_split 0
		.amdhsa_exception_fp_ieee_invalid_op 0
		.amdhsa_exception_fp_denorm_src 0
		.amdhsa_exception_fp_ieee_div_zero 0
		.amdhsa_exception_fp_ieee_overflow 0
		.amdhsa_exception_fp_ieee_underflow 0
		.amdhsa_exception_fp_ieee_inexact 0
		.amdhsa_exception_int_div_zero 0
	.end_amdhsa_kernel
	.section	.text._ZN7rocprim17ROCPRIM_400000_NS6detail17trampoline_kernelINS0_14default_configENS1_25partition_config_selectorILNS1_17partition_subalgoE9EllbEEZZNS1_14partition_implILS5_9ELb0ES3_jPlS8_PNS0_10empty_typeENS0_5tupleIJS8_S9_EEENSB_IJS8_SA_EEENS0_18inequality_wrapperIZN2at6native12_GLOBAL__N_124unique_dim_cuda_templateIhEESt5tupleIJNSF_6TensorESK_SK_EERKSK_lbbbEUlllE0_EEPmJS9_EEE10hipError_tPvRmT3_T4_T5_T6_T7_T9_mT8_P12ihipStream_tbDpT10_ENKUlT_T0_E_clISt17integral_constantIbLb0EES1A_EEDaS15_S16_EUlS15_E_NS1_11comp_targetILNS1_3genE0ELNS1_11target_archE4294967295ELNS1_3gpuE0ELNS1_3repE0EEENS1_30default_config_static_selectorELNS0_4arch9wavefront6targetE1EEEvT1_,"axG",@progbits,_ZN7rocprim17ROCPRIM_400000_NS6detail17trampoline_kernelINS0_14default_configENS1_25partition_config_selectorILNS1_17partition_subalgoE9EllbEEZZNS1_14partition_implILS5_9ELb0ES3_jPlS8_PNS0_10empty_typeENS0_5tupleIJS8_S9_EEENSB_IJS8_SA_EEENS0_18inequality_wrapperIZN2at6native12_GLOBAL__N_124unique_dim_cuda_templateIhEESt5tupleIJNSF_6TensorESK_SK_EERKSK_lbbbEUlllE0_EEPmJS9_EEE10hipError_tPvRmT3_T4_T5_T6_T7_T9_mT8_P12ihipStream_tbDpT10_ENKUlT_T0_E_clISt17integral_constantIbLb0EES1A_EEDaS15_S16_EUlS15_E_NS1_11comp_targetILNS1_3genE0ELNS1_11target_archE4294967295ELNS1_3gpuE0ELNS1_3repE0EEENS1_30default_config_static_selectorELNS0_4arch9wavefront6targetE1EEEvT1_,comdat
.Lfunc_end204:
	.size	_ZN7rocprim17ROCPRIM_400000_NS6detail17trampoline_kernelINS0_14default_configENS1_25partition_config_selectorILNS1_17partition_subalgoE9EllbEEZZNS1_14partition_implILS5_9ELb0ES3_jPlS8_PNS0_10empty_typeENS0_5tupleIJS8_S9_EEENSB_IJS8_SA_EEENS0_18inequality_wrapperIZN2at6native12_GLOBAL__N_124unique_dim_cuda_templateIhEESt5tupleIJNSF_6TensorESK_SK_EERKSK_lbbbEUlllE0_EEPmJS9_EEE10hipError_tPvRmT3_T4_T5_T6_T7_T9_mT8_P12ihipStream_tbDpT10_ENKUlT_T0_E_clISt17integral_constantIbLb0EES1A_EEDaS15_S16_EUlS15_E_NS1_11comp_targetILNS1_3genE0ELNS1_11target_archE4294967295ELNS1_3gpuE0ELNS1_3repE0EEENS1_30default_config_static_selectorELNS0_4arch9wavefront6targetE1EEEvT1_, .Lfunc_end204-_ZN7rocprim17ROCPRIM_400000_NS6detail17trampoline_kernelINS0_14default_configENS1_25partition_config_selectorILNS1_17partition_subalgoE9EllbEEZZNS1_14partition_implILS5_9ELb0ES3_jPlS8_PNS0_10empty_typeENS0_5tupleIJS8_S9_EEENSB_IJS8_SA_EEENS0_18inequality_wrapperIZN2at6native12_GLOBAL__N_124unique_dim_cuda_templateIhEESt5tupleIJNSF_6TensorESK_SK_EERKSK_lbbbEUlllE0_EEPmJS9_EEE10hipError_tPvRmT3_T4_T5_T6_T7_T9_mT8_P12ihipStream_tbDpT10_ENKUlT_T0_E_clISt17integral_constantIbLb0EES1A_EEDaS15_S16_EUlS15_E_NS1_11comp_targetILNS1_3genE0ELNS1_11target_archE4294967295ELNS1_3gpuE0ELNS1_3repE0EEENS1_30default_config_static_selectorELNS0_4arch9wavefront6targetE1EEEvT1_
                                        ; -- End function
	.set _ZN7rocprim17ROCPRIM_400000_NS6detail17trampoline_kernelINS0_14default_configENS1_25partition_config_selectorILNS1_17partition_subalgoE9EllbEEZZNS1_14partition_implILS5_9ELb0ES3_jPlS8_PNS0_10empty_typeENS0_5tupleIJS8_S9_EEENSB_IJS8_SA_EEENS0_18inequality_wrapperIZN2at6native12_GLOBAL__N_124unique_dim_cuda_templateIhEESt5tupleIJNSF_6TensorESK_SK_EERKSK_lbbbEUlllE0_EEPmJS9_EEE10hipError_tPvRmT3_T4_T5_T6_T7_T9_mT8_P12ihipStream_tbDpT10_ENKUlT_T0_E_clISt17integral_constantIbLb0EES1A_EEDaS15_S16_EUlS15_E_NS1_11comp_targetILNS1_3genE0ELNS1_11target_archE4294967295ELNS1_3gpuE0ELNS1_3repE0EEENS1_30default_config_static_selectorELNS0_4arch9wavefront6targetE1EEEvT1_.num_vgpr, 60
	.set _ZN7rocprim17ROCPRIM_400000_NS6detail17trampoline_kernelINS0_14default_configENS1_25partition_config_selectorILNS1_17partition_subalgoE9EllbEEZZNS1_14partition_implILS5_9ELb0ES3_jPlS8_PNS0_10empty_typeENS0_5tupleIJS8_S9_EEENSB_IJS8_SA_EEENS0_18inequality_wrapperIZN2at6native12_GLOBAL__N_124unique_dim_cuda_templateIhEESt5tupleIJNSF_6TensorESK_SK_EERKSK_lbbbEUlllE0_EEPmJS9_EEE10hipError_tPvRmT3_T4_T5_T6_T7_T9_mT8_P12ihipStream_tbDpT10_ENKUlT_T0_E_clISt17integral_constantIbLb0EES1A_EEDaS15_S16_EUlS15_E_NS1_11comp_targetILNS1_3genE0ELNS1_11target_archE4294967295ELNS1_3gpuE0ELNS1_3repE0EEENS1_30default_config_static_selectorELNS0_4arch9wavefront6targetE1EEEvT1_.num_agpr, 0
	.set _ZN7rocprim17ROCPRIM_400000_NS6detail17trampoline_kernelINS0_14default_configENS1_25partition_config_selectorILNS1_17partition_subalgoE9EllbEEZZNS1_14partition_implILS5_9ELb0ES3_jPlS8_PNS0_10empty_typeENS0_5tupleIJS8_S9_EEENSB_IJS8_SA_EEENS0_18inequality_wrapperIZN2at6native12_GLOBAL__N_124unique_dim_cuda_templateIhEESt5tupleIJNSF_6TensorESK_SK_EERKSK_lbbbEUlllE0_EEPmJS9_EEE10hipError_tPvRmT3_T4_T5_T6_T7_T9_mT8_P12ihipStream_tbDpT10_ENKUlT_T0_E_clISt17integral_constantIbLb0EES1A_EEDaS15_S16_EUlS15_E_NS1_11comp_targetILNS1_3genE0ELNS1_11target_archE4294967295ELNS1_3gpuE0ELNS1_3repE0EEENS1_30default_config_static_selectorELNS0_4arch9wavefront6targetE1EEEvT1_.numbered_sgpr, 46
	.set _ZN7rocprim17ROCPRIM_400000_NS6detail17trampoline_kernelINS0_14default_configENS1_25partition_config_selectorILNS1_17partition_subalgoE9EllbEEZZNS1_14partition_implILS5_9ELb0ES3_jPlS8_PNS0_10empty_typeENS0_5tupleIJS8_S9_EEENSB_IJS8_SA_EEENS0_18inequality_wrapperIZN2at6native12_GLOBAL__N_124unique_dim_cuda_templateIhEESt5tupleIJNSF_6TensorESK_SK_EERKSK_lbbbEUlllE0_EEPmJS9_EEE10hipError_tPvRmT3_T4_T5_T6_T7_T9_mT8_P12ihipStream_tbDpT10_ENKUlT_T0_E_clISt17integral_constantIbLb0EES1A_EEDaS15_S16_EUlS15_E_NS1_11comp_targetILNS1_3genE0ELNS1_11target_archE4294967295ELNS1_3gpuE0ELNS1_3repE0EEENS1_30default_config_static_selectorELNS0_4arch9wavefront6targetE1EEEvT1_.num_named_barrier, 0
	.set _ZN7rocprim17ROCPRIM_400000_NS6detail17trampoline_kernelINS0_14default_configENS1_25partition_config_selectorILNS1_17partition_subalgoE9EllbEEZZNS1_14partition_implILS5_9ELb0ES3_jPlS8_PNS0_10empty_typeENS0_5tupleIJS8_S9_EEENSB_IJS8_SA_EEENS0_18inequality_wrapperIZN2at6native12_GLOBAL__N_124unique_dim_cuda_templateIhEESt5tupleIJNSF_6TensorESK_SK_EERKSK_lbbbEUlllE0_EEPmJS9_EEE10hipError_tPvRmT3_T4_T5_T6_T7_T9_mT8_P12ihipStream_tbDpT10_ENKUlT_T0_E_clISt17integral_constantIbLb0EES1A_EEDaS15_S16_EUlS15_E_NS1_11comp_targetILNS1_3genE0ELNS1_11target_archE4294967295ELNS1_3gpuE0ELNS1_3repE0EEENS1_30default_config_static_selectorELNS0_4arch9wavefront6targetE1EEEvT1_.private_seg_size, 0
	.set _ZN7rocprim17ROCPRIM_400000_NS6detail17trampoline_kernelINS0_14default_configENS1_25partition_config_selectorILNS1_17partition_subalgoE9EllbEEZZNS1_14partition_implILS5_9ELb0ES3_jPlS8_PNS0_10empty_typeENS0_5tupleIJS8_S9_EEENSB_IJS8_SA_EEENS0_18inequality_wrapperIZN2at6native12_GLOBAL__N_124unique_dim_cuda_templateIhEESt5tupleIJNSF_6TensorESK_SK_EERKSK_lbbbEUlllE0_EEPmJS9_EEE10hipError_tPvRmT3_T4_T5_T6_T7_T9_mT8_P12ihipStream_tbDpT10_ENKUlT_T0_E_clISt17integral_constantIbLb0EES1A_EEDaS15_S16_EUlS15_E_NS1_11comp_targetILNS1_3genE0ELNS1_11target_archE4294967295ELNS1_3gpuE0ELNS1_3repE0EEENS1_30default_config_static_selectorELNS0_4arch9wavefront6targetE1EEEvT1_.uses_vcc, 1
	.set _ZN7rocprim17ROCPRIM_400000_NS6detail17trampoline_kernelINS0_14default_configENS1_25partition_config_selectorILNS1_17partition_subalgoE9EllbEEZZNS1_14partition_implILS5_9ELb0ES3_jPlS8_PNS0_10empty_typeENS0_5tupleIJS8_S9_EEENSB_IJS8_SA_EEENS0_18inequality_wrapperIZN2at6native12_GLOBAL__N_124unique_dim_cuda_templateIhEESt5tupleIJNSF_6TensorESK_SK_EERKSK_lbbbEUlllE0_EEPmJS9_EEE10hipError_tPvRmT3_T4_T5_T6_T7_T9_mT8_P12ihipStream_tbDpT10_ENKUlT_T0_E_clISt17integral_constantIbLb0EES1A_EEDaS15_S16_EUlS15_E_NS1_11comp_targetILNS1_3genE0ELNS1_11target_archE4294967295ELNS1_3gpuE0ELNS1_3repE0EEENS1_30default_config_static_selectorELNS0_4arch9wavefront6targetE1EEEvT1_.uses_flat_scratch, 0
	.set _ZN7rocprim17ROCPRIM_400000_NS6detail17trampoline_kernelINS0_14default_configENS1_25partition_config_selectorILNS1_17partition_subalgoE9EllbEEZZNS1_14partition_implILS5_9ELb0ES3_jPlS8_PNS0_10empty_typeENS0_5tupleIJS8_S9_EEENSB_IJS8_SA_EEENS0_18inequality_wrapperIZN2at6native12_GLOBAL__N_124unique_dim_cuda_templateIhEESt5tupleIJNSF_6TensorESK_SK_EERKSK_lbbbEUlllE0_EEPmJS9_EEE10hipError_tPvRmT3_T4_T5_T6_T7_T9_mT8_P12ihipStream_tbDpT10_ENKUlT_T0_E_clISt17integral_constantIbLb0EES1A_EEDaS15_S16_EUlS15_E_NS1_11comp_targetILNS1_3genE0ELNS1_11target_archE4294967295ELNS1_3gpuE0ELNS1_3repE0EEENS1_30default_config_static_selectorELNS0_4arch9wavefront6targetE1EEEvT1_.has_dyn_sized_stack, 0
	.set _ZN7rocprim17ROCPRIM_400000_NS6detail17trampoline_kernelINS0_14default_configENS1_25partition_config_selectorILNS1_17partition_subalgoE9EllbEEZZNS1_14partition_implILS5_9ELb0ES3_jPlS8_PNS0_10empty_typeENS0_5tupleIJS8_S9_EEENSB_IJS8_SA_EEENS0_18inequality_wrapperIZN2at6native12_GLOBAL__N_124unique_dim_cuda_templateIhEESt5tupleIJNSF_6TensorESK_SK_EERKSK_lbbbEUlllE0_EEPmJS9_EEE10hipError_tPvRmT3_T4_T5_T6_T7_T9_mT8_P12ihipStream_tbDpT10_ENKUlT_T0_E_clISt17integral_constantIbLb0EES1A_EEDaS15_S16_EUlS15_E_NS1_11comp_targetILNS1_3genE0ELNS1_11target_archE4294967295ELNS1_3gpuE0ELNS1_3repE0EEENS1_30default_config_static_selectorELNS0_4arch9wavefront6targetE1EEEvT1_.has_recursion, 0
	.set _ZN7rocprim17ROCPRIM_400000_NS6detail17trampoline_kernelINS0_14default_configENS1_25partition_config_selectorILNS1_17partition_subalgoE9EllbEEZZNS1_14partition_implILS5_9ELb0ES3_jPlS8_PNS0_10empty_typeENS0_5tupleIJS8_S9_EEENSB_IJS8_SA_EEENS0_18inequality_wrapperIZN2at6native12_GLOBAL__N_124unique_dim_cuda_templateIhEESt5tupleIJNSF_6TensorESK_SK_EERKSK_lbbbEUlllE0_EEPmJS9_EEE10hipError_tPvRmT3_T4_T5_T6_T7_T9_mT8_P12ihipStream_tbDpT10_ENKUlT_T0_E_clISt17integral_constantIbLb0EES1A_EEDaS15_S16_EUlS15_E_NS1_11comp_targetILNS1_3genE0ELNS1_11target_archE4294967295ELNS1_3gpuE0ELNS1_3repE0EEENS1_30default_config_static_selectorELNS0_4arch9wavefront6targetE1EEEvT1_.has_indirect_call, 0
	.section	.AMDGPU.csdata,"",@progbits
; Kernel info:
; codeLenInByte = 9312
; TotalNumSgprs: 52
; NumVgprs: 60
; NumAgprs: 0
; TotalNumVgprs: 60
; ScratchSize: 0
; MemoryBound: 0
; FloatMode: 240
; IeeeMode: 1
; LDSByteSize: 5128 bytes/workgroup (compile time only)
; SGPRBlocks: 6
; VGPRBlocks: 7
; NumSGPRsForWavesPerEU: 52
; NumVGPRsForWavesPerEU: 60
; AccumOffset: 60
; Occupancy: 8
; WaveLimiterHint : 1
; COMPUTE_PGM_RSRC2:SCRATCH_EN: 0
; COMPUTE_PGM_RSRC2:USER_SGPR: 2
; COMPUTE_PGM_RSRC2:TRAP_HANDLER: 0
; COMPUTE_PGM_RSRC2:TGID_X_EN: 1
; COMPUTE_PGM_RSRC2:TGID_Y_EN: 0
; COMPUTE_PGM_RSRC2:TGID_Z_EN: 0
; COMPUTE_PGM_RSRC2:TIDIG_COMP_CNT: 0
; COMPUTE_PGM_RSRC3_GFX90A:ACCUM_OFFSET: 14
; COMPUTE_PGM_RSRC3_GFX90A:TG_SPLIT: 0
	.section	.text._ZN7rocprim17ROCPRIM_400000_NS6detail17trampoline_kernelINS0_14default_configENS1_25partition_config_selectorILNS1_17partition_subalgoE9EllbEEZZNS1_14partition_implILS5_9ELb0ES3_jPlS8_PNS0_10empty_typeENS0_5tupleIJS8_S9_EEENSB_IJS8_SA_EEENS0_18inequality_wrapperIZN2at6native12_GLOBAL__N_124unique_dim_cuda_templateIhEESt5tupleIJNSF_6TensorESK_SK_EERKSK_lbbbEUlllE0_EEPmJS9_EEE10hipError_tPvRmT3_T4_T5_T6_T7_T9_mT8_P12ihipStream_tbDpT10_ENKUlT_T0_E_clISt17integral_constantIbLb0EES1A_EEDaS15_S16_EUlS15_E_NS1_11comp_targetILNS1_3genE5ELNS1_11target_archE942ELNS1_3gpuE9ELNS1_3repE0EEENS1_30default_config_static_selectorELNS0_4arch9wavefront6targetE1EEEvT1_,"axG",@progbits,_ZN7rocprim17ROCPRIM_400000_NS6detail17trampoline_kernelINS0_14default_configENS1_25partition_config_selectorILNS1_17partition_subalgoE9EllbEEZZNS1_14partition_implILS5_9ELb0ES3_jPlS8_PNS0_10empty_typeENS0_5tupleIJS8_S9_EEENSB_IJS8_SA_EEENS0_18inequality_wrapperIZN2at6native12_GLOBAL__N_124unique_dim_cuda_templateIhEESt5tupleIJNSF_6TensorESK_SK_EERKSK_lbbbEUlllE0_EEPmJS9_EEE10hipError_tPvRmT3_T4_T5_T6_T7_T9_mT8_P12ihipStream_tbDpT10_ENKUlT_T0_E_clISt17integral_constantIbLb0EES1A_EEDaS15_S16_EUlS15_E_NS1_11comp_targetILNS1_3genE5ELNS1_11target_archE942ELNS1_3gpuE9ELNS1_3repE0EEENS1_30default_config_static_selectorELNS0_4arch9wavefront6targetE1EEEvT1_,comdat
	.globl	_ZN7rocprim17ROCPRIM_400000_NS6detail17trampoline_kernelINS0_14default_configENS1_25partition_config_selectorILNS1_17partition_subalgoE9EllbEEZZNS1_14partition_implILS5_9ELb0ES3_jPlS8_PNS0_10empty_typeENS0_5tupleIJS8_S9_EEENSB_IJS8_SA_EEENS0_18inequality_wrapperIZN2at6native12_GLOBAL__N_124unique_dim_cuda_templateIhEESt5tupleIJNSF_6TensorESK_SK_EERKSK_lbbbEUlllE0_EEPmJS9_EEE10hipError_tPvRmT3_T4_T5_T6_T7_T9_mT8_P12ihipStream_tbDpT10_ENKUlT_T0_E_clISt17integral_constantIbLb0EES1A_EEDaS15_S16_EUlS15_E_NS1_11comp_targetILNS1_3genE5ELNS1_11target_archE942ELNS1_3gpuE9ELNS1_3repE0EEENS1_30default_config_static_selectorELNS0_4arch9wavefront6targetE1EEEvT1_ ; -- Begin function _ZN7rocprim17ROCPRIM_400000_NS6detail17trampoline_kernelINS0_14default_configENS1_25partition_config_selectorILNS1_17partition_subalgoE9EllbEEZZNS1_14partition_implILS5_9ELb0ES3_jPlS8_PNS0_10empty_typeENS0_5tupleIJS8_S9_EEENSB_IJS8_SA_EEENS0_18inequality_wrapperIZN2at6native12_GLOBAL__N_124unique_dim_cuda_templateIhEESt5tupleIJNSF_6TensorESK_SK_EERKSK_lbbbEUlllE0_EEPmJS9_EEE10hipError_tPvRmT3_T4_T5_T6_T7_T9_mT8_P12ihipStream_tbDpT10_ENKUlT_T0_E_clISt17integral_constantIbLb0EES1A_EEDaS15_S16_EUlS15_E_NS1_11comp_targetILNS1_3genE5ELNS1_11target_archE942ELNS1_3gpuE9ELNS1_3repE0EEENS1_30default_config_static_selectorELNS0_4arch9wavefront6targetE1EEEvT1_
	.p2align	8
	.type	_ZN7rocprim17ROCPRIM_400000_NS6detail17trampoline_kernelINS0_14default_configENS1_25partition_config_selectorILNS1_17partition_subalgoE9EllbEEZZNS1_14partition_implILS5_9ELb0ES3_jPlS8_PNS0_10empty_typeENS0_5tupleIJS8_S9_EEENSB_IJS8_SA_EEENS0_18inequality_wrapperIZN2at6native12_GLOBAL__N_124unique_dim_cuda_templateIhEESt5tupleIJNSF_6TensorESK_SK_EERKSK_lbbbEUlllE0_EEPmJS9_EEE10hipError_tPvRmT3_T4_T5_T6_T7_T9_mT8_P12ihipStream_tbDpT10_ENKUlT_T0_E_clISt17integral_constantIbLb0EES1A_EEDaS15_S16_EUlS15_E_NS1_11comp_targetILNS1_3genE5ELNS1_11target_archE942ELNS1_3gpuE9ELNS1_3repE0EEENS1_30default_config_static_selectorELNS0_4arch9wavefront6targetE1EEEvT1_,@function
_ZN7rocprim17ROCPRIM_400000_NS6detail17trampoline_kernelINS0_14default_configENS1_25partition_config_selectorILNS1_17partition_subalgoE9EllbEEZZNS1_14partition_implILS5_9ELb0ES3_jPlS8_PNS0_10empty_typeENS0_5tupleIJS8_S9_EEENSB_IJS8_SA_EEENS0_18inequality_wrapperIZN2at6native12_GLOBAL__N_124unique_dim_cuda_templateIhEESt5tupleIJNSF_6TensorESK_SK_EERKSK_lbbbEUlllE0_EEPmJS9_EEE10hipError_tPvRmT3_T4_T5_T6_T7_T9_mT8_P12ihipStream_tbDpT10_ENKUlT_T0_E_clISt17integral_constantIbLb0EES1A_EEDaS15_S16_EUlS15_E_NS1_11comp_targetILNS1_3genE5ELNS1_11target_archE942ELNS1_3gpuE9ELNS1_3repE0EEENS1_30default_config_static_selectorELNS0_4arch9wavefront6targetE1EEEvT1_: ; @_ZN7rocprim17ROCPRIM_400000_NS6detail17trampoline_kernelINS0_14default_configENS1_25partition_config_selectorILNS1_17partition_subalgoE9EllbEEZZNS1_14partition_implILS5_9ELb0ES3_jPlS8_PNS0_10empty_typeENS0_5tupleIJS8_S9_EEENSB_IJS8_SA_EEENS0_18inequality_wrapperIZN2at6native12_GLOBAL__N_124unique_dim_cuda_templateIhEESt5tupleIJNSF_6TensorESK_SK_EERKSK_lbbbEUlllE0_EEPmJS9_EEE10hipError_tPvRmT3_T4_T5_T6_T7_T9_mT8_P12ihipStream_tbDpT10_ENKUlT_T0_E_clISt17integral_constantIbLb0EES1A_EEDaS15_S16_EUlS15_E_NS1_11comp_targetILNS1_3genE5ELNS1_11target_archE942ELNS1_3gpuE9ELNS1_3repE0EEENS1_30default_config_static_selectorELNS0_4arch9wavefront6targetE1EEEvT1_
; %bb.0:
	.section	.rodata,"a",@progbits
	.p2align	6, 0x0
	.amdhsa_kernel _ZN7rocprim17ROCPRIM_400000_NS6detail17trampoline_kernelINS0_14default_configENS1_25partition_config_selectorILNS1_17partition_subalgoE9EllbEEZZNS1_14partition_implILS5_9ELb0ES3_jPlS8_PNS0_10empty_typeENS0_5tupleIJS8_S9_EEENSB_IJS8_SA_EEENS0_18inequality_wrapperIZN2at6native12_GLOBAL__N_124unique_dim_cuda_templateIhEESt5tupleIJNSF_6TensorESK_SK_EERKSK_lbbbEUlllE0_EEPmJS9_EEE10hipError_tPvRmT3_T4_T5_T6_T7_T9_mT8_P12ihipStream_tbDpT10_ENKUlT_T0_E_clISt17integral_constantIbLb0EES1A_EEDaS15_S16_EUlS15_E_NS1_11comp_targetILNS1_3genE5ELNS1_11target_archE942ELNS1_3gpuE9ELNS1_3repE0EEENS1_30default_config_static_selectorELNS0_4arch9wavefront6targetE1EEEvT1_
		.amdhsa_group_segment_fixed_size 0
		.amdhsa_private_segment_fixed_size 0
		.amdhsa_kernarg_size 120
		.amdhsa_user_sgpr_count 2
		.amdhsa_user_sgpr_dispatch_ptr 0
		.amdhsa_user_sgpr_queue_ptr 0
		.amdhsa_user_sgpr_kernarg_segment_ptr 1
		.amdhsa_user_sgpr_dispatch_id 0
		.amdhsa_user_sgpr_kernarg_preload_length 0
		.amdhsa_user_sgpr_kernarg_preload_offset 0
		.amdhsa_user_sgpr_private_segment_size 0
		.amdhsa_uses_dynamic_stack 0
		.amdhsa_enable_private_segment 0
		.amdhsa_system_sgpr_workgroup_id_x 1
		.amdhsa_system_sgpr_workgroup_id_y 0
		.amdhsa_system_sgpr_workgroup_id_z 0
		.amdhsa_system_sgpr_workgroup_info 0
		.amdhsa_system_vgpr_workitem_id 0
		.amdhsa_next_free_vgpr 1
		.amdhsa_next_free_sgpr 0
		.amdhsa_accum_offset 4
		.amdhsa_reserve_vcc 0
		.amdhsa_float_round_mode_32 0
		.amdhsa_float_round_mode_16_64 0
		.amdhsa_float_denorm_mode_32 3
		.amdhsa_float_denorm_mode_16_64 3
		.amdhsa_dx10_clamp 1
		.amdhsa_ieee_mode 1
		.amdhsa_fp16_overflow 0
		.amdhsa_tg_split 0
		.amdhsa_exception_fp_ieee_invalid_op 0
		.amdhsa_exception_fp_denorm_src 0
		.amdhsa_exception_fp_ieee_div_zero 0
		.amdhsa_exception_fp_ieee_overflow 0
		.amdhsa_exception_fp_ieee_underflow 0
		.amdhsa_exception_fp_ieee_inexact 0
		.amdhsa_exception_int_div_zero 0
	.end_amdhsa_kernel
	.section	.text._ZN7rocprim17ROCPRIM_400000_NS6detail17trampoline_kernelINS0_14default_configENS1_25partition_config_selectorILNS1_17partition_subalgoE9EllbEEZZNS1_14partition_implILS5_9ELb0ES3_jPlS8_PNS0_10empty_typeENS0_5tupleIJS8_S9_EEENSB_IJS8_SA_EEENS0_18inequality_wrapperIZN2at6native12_GLOBAL__N_124unique_dim_cuda_templateIhEESt5tupleIJNSF_6TensorESK_SK_EERKSK_lbbbEUlllE0_EEPmJS9_EEE10hipError_tPvRmT3_T4_T5_T6_T7_T9_mT8_P12ihipStream_tbDpT10_ENKUlT_T0_E_clISt17integral_constantIbLb0EES1A_EEDaS15_S16_EUlS15_E_NS1_11comp_targetILNS1_3genE5ELNS1_11target_archE942ELNS1_3gpuE9ELNS1_3repE0EEENS1_30default_config_static_selectorELNS0_4arch9wavefront6targetE1EEEvT1_,"axG",@progbits,_ZN7rocprim17ROCPRIM_400000_NS6detail17trampoline_kernelINS0_14default_configENS1_25partition_config_selectorILNS1_17partition_subalgoE9EllbEEZZNS1_14partition_implILS5_9ELb0ES3_jPlS8_PNS0_10empty_typeENS0_5tupleIJS8_S9_EEENSB_IJS8_SA_EEENS0_18inequality_wrapperIZN2at6native12_GLOBAL__N_124unique_dim_cuda_templateIhEESt5tupleIJNSF_6TensorESK_SK_EERKSK_lbbbEUlllE0_EEPmJS9_EEE10hipError_tPvRmT3_T4_T5_T6_T7_T9_mT8_P12ihipStream_tbDpT10_ENKUlT_T0_E_clISt17integral_constantIbLb0EES1A_EEDaS15_S16_EUlS15_E_NS1_11comp_targetILNS1_3genE5ELNS1_11target_archE942ELNS1_3gpuE9ELNS1_3repE0EEENS1_30default_config_static_selectorELNS0_4arch9wavefront6targetE1EEEvT1_,comdat
.Lfunc_end205:
	.size	_ZN7rocprim17ROCPRIM_400000_NS6detail17trampoline_kernelINS0_14default_configENS1_25partition_config_selectorILNS1_17partition_subalgoE9EllbEEZZNS1_14partition_implILS5_9ELb0ES3_jPlS8_PNS0_10empty_typeENS0_5tupleIJS8_S9_EEENSB_IJS8_SA_EEENS0_18inequality_wrapperIZN2at6native12_GLOBAL__N_124unique_dim_cuda_templateIhEESt5tupleIJNSF_6TensorESK_SK_EERKSK_lbbbEUlllE0_EEPmJS9_EEE10hipError_tPvRmT3_T4_T5_T6_T7_T9_mT8_P12ihipStream_tbDpT10_ENKUlT_T0_E_clISt17integral_constantIbLb0EES1A_EEDaS15_S16_EUlS15_E_NS1_11comp_targetILNS1_3genE5ELNS1_11target_archE942ELNS1_3gpuE9ELNS1_3repE0EEENS1_30default_config_static_selectorELNS0_4arch9wavefront6targetE1EEEvT1_, .Lfunc_end205-_ZN7rocprim17ROCPRIM_400000_NS6detail17trampoline_kernelINS0_14default_configENS1_25partition_config_selectorILNS1_17partition_subalgoE9EllbEEZZNS1_14partition_implILS5_9ELb0ES3_jPlS8_PNS0_10empty_typeENS0_5tupleIJS8_S9_EEENSB_IJS8_SA_EEENS0_18inequality_wrapperIZN2at6native12_GLOBAL__N_124unique_dim_cuda_templateIhEESt5tupleIJNSF_6TensorESK_SK_EERKSK_lbbbEUlllE0_EEPmJS9_EEE10hipError_tPvRmT3_T4_T5_T6_T7_T9_mT8_P12ihipStream_tbDpT10_ENKUlT_T0_E_clISt17integral_constantIbLb0EES1A_EEDaS15_S16_EUlS15_E_NS1_11comp_targetILNS1_3genE5ELNS1_11target_archE942ELNS1_3gpuE9ELNS1_3repE0EEENS1_30default_config_static_selectorELNS0_4arch9wavefront6targetE1EEEvT1_
                                        ; -- End function
	.set _ZN7rocprim17ROCPRIM_400000_NS6detail17trampoline_kernelINS0_14default_configENS1_25partition_config_selectorILNS1_17partition_subalgoE9EllbEEZZNS1_14partition_implILS5_9ELb0ES3_jPlS8_PNS0_10empty_typeENS0_5tupleIJS8_S9_EEENSB_IJS8_SA_EEENS0_18inequality_wrapperIZN2at6native12_GLOBAL__N_124unique_dim_cuda_templateIhEESt5tupleIJNSF_6TensorESK_SK_EERKSK_lbbbEUlllE0_EEPmJS9_EEE10hipError_tPvRmT3_T4_T5_T6_T7_T9_mT8_P12ihipStream_tbDpT10_ENKUlT_T0_E_clISt17integral_constantIbLb0EES1A_EEDaS15_S16_EUlS15_E_NS1_11comp_targetILNS1_3genE5ELNS1_11target_archE942ELNS1_3gpuE9ELNS1_3repE0EEENS1_30default_config_static_selectorELNS0_4arch9wavefront6targetE1EEEvT1_.num_vgpr, 0
	.set _ZN7rocprim17ROCPRIM_400000_NS6detail17trampoline_kernelINS0_14default_configENS1_25partition_config_selectorILNS1_17partition_subalgoE9EllbEEZZNS1_14partition_implILS5_9ELb0ES3_jPlS8_PNS0_10empty_typeENS0_5tupleIJS8_S9_EEENSB_IJS8_SA_EEENS0_18inequality_wrapperIZN2at6native12_GLOBAL__N_124unique_dim_cuda_templateIhEESt5tupleIJNSF_6TensorESK_SK_EERKSK_lbbbEUlllE0_EEPmJS9_EEE10hipError_tPvRmT3_T4_T5_T6_T7_T9_mT8_P12ihipStream_tbDpT10_ENKUlT_T0_E_clISt17integral_constantIbLb0EES1A_EEDaS15_S16_EUlS15_E_NS1_11comp_targetILNS1_3genE5ELNS1_11target_archE942ELNS1_3gpuE9ELNS1_3repE0EEENS1_30default_config_static_selectorELNS0_4arch9wavefront6targetE1EEEvT1_.num_agpr, 0
	.set _ZN7rocprim17ROCPRIM_400000_NS6detail17trampoline_kernelINS0_14default_configENS1_25partition_config_selectorILNS1_17partition_subalgoE9EllbEEZZNS1_14partition_implILS5_9ELb0ES3_jPlS8_PNS0_10empty_typeENS0_5tupleIJS8_S9_EEENSB_IJS8_SA_EEENS0_18inequality_wrapperIZN2at6native12_GLOBAL__N_124unique_dim_cuda_templateIhEESt5tupleIJNSF_6TensorESK_SK_EERKSK_lbbbEUlllE0_EEPmJS9_EEE10hipError_tPvRmT3_T4_T5_T6_T7_T9_mT8_P12ihipStream_tbDpT10_ENKUlT_T0_E_clISt17integral_constantIbLb0EES1A_EEDaS15_S16_EUlS15_E_NS1_11comp_targetILNS1_3genE5ELNS1_11target_archE942ELNS1_3gpuE9ELNS1_3repE0EEENS1_30default_config_static_selectorELNS0_4arch9wavefront6targetE1EEEvT1_.numbered_sgpr, 0
	.set _ZN7rocprim17ROCPRIM_400000_NS6detail17trampoline_kernelINS0_14default_configENS1_25partition_config_selectorILNS1_17partition_subalgoE9EllbEEZZNS1_14partition_implILS5_9ELb0ES3_jPlS8_PNS0_10empty_typeENS0_5tupleIJS8_S9_EEENSB_IJS8_SA_EEENS0_18inequality_wrapperIZN2at6native12_GLOBAL__N_124unique_dim_cuda_templateIhEESt5tupleIJNSF_6TensorESK_SK_EERKSK_lbbbEUlllE0_EEPmJS9_EEE10hipError_tPvRmT3_T4_T5_T6_T7_T9_mT8_P12ihipStream_tbDpT10_ENKUlT_T0_E_clISt17integral_constantIbLb0EES1A_EEDaS15_S16_EUlS15_E_NS1_11comp_targetILNS1_3genE5ELNS1_11target_archE942ELNS1_3gpuE9ELNS1_3repE0EEENS1_30default_config_static_selectorELNS0_4arch9wavefront6targetE1EEEvT1_.num_named_barrier, 0
	.set _ZN7rocprim17ROCPRIM_400000_NS6detail17trampoline_kernelINS0_14default_configENS1_25partition_config_selectorILNS1_17partition_subalgoE9EllbEEZZNS1_14partition_implILS5_9ELb0ES3_jPlS8_PNS0_10empty_typeENS0_5tupleIJS8_S9_EEENSB_IJS8_SA_EEENS0_18inequality_wrapperIZN2at6native12_GLOBAL__N_124unique_dim_cuda_templateIhEESt5tupleIJNSF_6TensorESK_SK_EERKSK_lbbbEUlllE0_EEPmJS9_EEE10hipError_tPvRmT3_T4_T5_T6_T7_T9_mT8_P12ihipStream_tbDpT10_ENKUlT_T0_E_clISt17integral_constantIbLb0EES1A_EEDaS15_S16_EUlS15_E_NS1_11comp_targetILNS1_3genE5ELNS1_11target_archE942ELNS1_3gpuE9ELNS1_3repE0EEENS1_30default_config_static_selectorELNS0_4arch9wavefront6targetE1EEEvT1_.private_seg_size, 0
	.set _ZN7rocprim17ROCPRIM_400000_NS6detail17trampoline_kernelINS0_14default_configENS1_25partition_config_selectorILNS1_17partition_subalgoE9EllbEEZZNS1_14partition_implILS5_9ELb0ES3_jPlS8_PNS0_10empty_typeENS0_5tupleIJS8_S9_EEENSB_IJS8_SA_EEENS0_18inequality_wrapperIZN2at6native12_GLOBAL__N_124unique_dim_cuda_templateIhEESt5tupleIJNSF_6TensorESK_SK_EERKSK_lbbbEUlllE0_EEPmJS9_EEE10hipError_tPvRmT3_T4_T5_T6_T7_T9_mT8_P12ihipStream_tbDpT10_ENKUlT_T0_E_clISt17integral_constantIbLb0EES1A_EEDaS15_S16_EUlS15_E_NS1_11comp_targetILNS1_3genE5ELNS1_11target_archE942ELNS1_3gpuE9ELNS1_3repE0EEENS1_30default_config_static_selectorELNS0_4arch9wavefront6targetE1EEEvT1_.uses_vcc, 0
	.set _ZN7rocprim17ROCPRIM_400000_NS6detail17trampoline_kernelINS0_14default_configENS1_25partition_config_selectorILNS1_17partition_subalgoE9EllbEEZZNS1_14partition_implILS5_9ELb0ES3_jPlS8_PNS0_10empty_typeENS0_5tupleIJS8_S9_EEENSB_IJS8_SA_EEENS0_18inequality_wrapperIZN2at6native12_GLOBAL__N_124unique_dim_cuda_templateIhEESt5tupleIJNSF_6TensorESK_SK_EERKSK_lbbbEUlllE0_EEPmJS9_EEE10hipError_tPvRmT3_T4_T5_T6_T7_T9_mT8_P12ihipStream_tbDpT10_ENKUlT_T0_E_clISt17integral_constantIbLb0EES1A_EEDaS15_S16_EUlS15_E_NS1_11comp_targetILNS1_3genE5ELNS1_11target_archE942ELNS1_3gpuE9ELNS1_3repE0EEENS1_30default_config_static_selectorELNS0_4arch9wavefront6targetE1EEEvT1_.uses_flat_scratch, 0
	.set _ZN7rocprim17ROCPRIM_400000_NS6detail17trampoline_kernelINS0_14default_configENS1_25partition_config_selectorILNS1_17partition_subalgoE9EllbEEZZNS1_14partition_implILS5_9ELb0ES3_jPlS8_PNS0_10empty_typeENS0_5tupleIJS8_S9_EEENSB_IJS8_SA_EEENS0_18inequality_wrapperIZN2at6native12_GLOBAL__N_124unique_dim_cuda_templateIhEESt5tupleIJNSF_6TensorESK_SK_EERKSK_lbbbEUlllE0_EEPmJS9_EEE10hipError_tPvRmT3_T4_T5_T6_T7_T9_mT8_P12ihipStream_tbDpT10_ENKUlT_T0_E_clISt17integral_constantIbLb0EES1A_EEDaS15_S16_EUlS15_E_NS1_11comp_targetILNS1_3genE5ELNS1_11target_archE942ELNS1_3gpuE9ELNS1_3repE0EEENS1_30default_config_static_selectorELNS0_4arch9wavefront6targetE1EEEvT1_.has_dyn_sized_stack, 0
	.set _ZN7rocprim17ROCPRIM_400000_NS6detail17trampoline_kernelINS0_14default_configENS1_25partition_config_selectorILNS1_17partition_subalgoE9EllbEEZZNS1_14partition_implILS5_9ELb0ES3_jPlS8_PNS0_10empty_typeENS0_5tupleIJS8_S9_EEENSB_IJS8_SA_EEENS0_18inequality_wrapperIZN2at6native12_GLOBAL__N_124unique_dim_cuda_templateIhEESt5tupleIJNSF_6TensorESK_SK_EERKSK_lbbbEUlllE0_EEPmJS9_EEE10hipError_tPvRmT3_T4_T5_T6_T7_T9_mT8_P12ihipStream_tbDpT10_ENKUlT_T0_E_clISt17integral_constantIbLb0EES1A_EEDaS15_S16_EUlS15_E_NS1_11comp_targetILNS1_3genE5ELNS1_11target_archE942ELNS1_3gpuE9ELNS1_3repE0EEENS1_30default_config_static_selectorELNS0_4arch9wavefront6targetE1EEEvT1_.has_recursion, 0
	.set _ZN7rocprim17ROCPRIM_400000_NS6detail17trampoline_kernelINS0_14default_configENS1_25partition_config_selectorILNS1_17partition_subalgoE9EllbEEZZNS1_14partition_implILS5_9ELb0ES3_jPlS8_PNS0_10empty_typeENS0_5tupleIJS8_S9_EEENSB_IJS8_SA_EEENS0_18inequality_wrapperIZN2at6native12_GLOBAL__N_124unique_dim_cuda_templateIhEESt5tupleIJNSF_6TensorESK_SK_EERKSK_lbbbEUlllE0_EEPmJS9_EEE10hipError_tPvRmT3_T4_T5_T6_T7_T9_mT8_P12ihipStream_tbDpT10_ENKUlT_T0_E_clISt17integral_constantIbLb0EES1A_EEDaS15_S16_EUlS15_E_NS1_11comp_targetILNS1_3genE5ELNS1_11target_archE942ELNS1_3gpuE9ELNS1_3repE0EEENS1_30default_config_static_selectorELNS0_4arch9wavefront6targetE1EEEvT1_.has_indirect_call, 0
	.section	.AMDGPU.csdata,"",@progbits
; Kernel info:
; codeLenInByte = 0
; TotalNumSgprs: 6
; NumVgprs: 0
; NumAgprs: 0
; TotalNumVgprs: 0
; ScratchSize: 0
; MemoryBound: 0
; FloatMode: 240
; IeeeMode: 1
; LDSByteSize: 0 bytes/workgroup (compile time only)
; SGPRBlocks: 0
; VGPRBlocks: 0
; NumSGPRsForWavesPerEU: 6
; NumVGPRsForWavesPerEU: 1
; AccumOffset: 4
; Occupancy: 8
; WaveLimiterHint : 0
; COMPUTE_PGM_RSRC2:SCRATCH_EN: 0
; COMPUTE_PGM_RSRC2:USER_SGPR: 2
; COMPUTE_PGM_RSRC2:TRAP_HANDLER: 0
; COMPUTE_PGM_RSRC2:TGID_X_EN: 1
; COMPUTE_PGM_RSRC2:TGID_Y_EN: 0
; COMPUTE_PGM_RSRC2:TGID_Z_EN: 0
; COMPUTE_PGM_RSRC2:TIDIG_COMP_CNT: 0
; COMPUTE_PGM_RSRC3_GFX90A:ACCUM_OFFSET: 0
; COMPUTE_PGM_RSRC3_GFX90A:TG_SPLIT: 0
	.section	.text._ZN7rocprim17ROCPRIM_400000_NS6detail17trampoline_kernelINS0_14default_configENS1_25partition_config_selectorILNS1_17partition_subalgoE9EllbEEZZNS1_14partition_implILS5_9ELb0ES3_jPlS8_PNS0_10empty_typeENS0_5tupleIJS8_S9_EEENSB_IJS8_SA_EEENS0_18inequality_wrapperIZN2at6native12_GLOBAL__N_124unique_dim_cuda_templateIhEESt5tupleIJNSF_6TensorESK_SK_EERKSK_lbbbEUlllE0_EEPmJS9_EEE10hipError_tPvRmT3_T4_T5_T6_T7_T9_mT8_P12ihipStream_tbDpT10_ENKUlT_T0_E_clISt17integral_constantIbLb0EES1A_EEDaS15_S16_EUlS15_E_NS1_11comp_targetILNS1_3genE4ELNS1_11target_archE910ELNS1_3gpuE8ELNS1_3repE0EEENS1_30default_config_static_selectorELNS0_4arch9wavefront6targetE1EEEvT1_,"axG",@progbits,_ZN7rocprim17ROCPRIM_400000_NS6detail17trampoline_kernelINS0_14default_configENS1_25partition_config_selectorILNS1_17partition_subalgoE9EllbEEZZNS1_14partition_implILS5_9ELb0ES3_jPlS8_PNS0_10empty_typeENS0_5tupleIJS8_S9_EEENSB_IJS8_SA_EEENS0_18inequality_wrapperIZN2at6native12_GLOBAL__N_124unique_dim_cuda_templateIhEESt5tupleIJNSF_6TensorESK_SK_EERKSK_lbbbEUlllE0_EEPmJS9_EEE10hipError_tPvRmT3_T4_T5_T6_T7_T9_mT8_P12ihipStream_tbDpT10_ENKUlT_T0_E_clISt17integral_constantIbLb0EES1A_EEDaS15_S16_EUlS15_E_NS1_11comp_targetILNS1_3genE4ELNS1_11target_archE910ELNS1_3gpuE8ELNS1_3repE0EEENS1_30default_config_static_selectorELNS0_4arch9wavefront6targetE1EEEvT1_,comdat
	.globl	_ZN7rocprim17ROCPRIM_400000_NS6detail17trampoline_kernelINS0_14default_configENS1_25partition_config_selectorILNS1_17partition_subalgoE9EllbEEZZNS1_14partition_implILS5_9ELb0ES3_jPlS8_PNS0_10empty_typeENS0_5tupleIJS8_S9_EEENSB_IJS8_SA_EEENS0_18inequality_wrapperIZN2at6native12_GLOBAL__N_124unique_dim_cuda_templateIhEESt5tupleIJNSF_6TensorESK_SK_EERKSK_lbbbEUlllE0_EEPmJS9_EEE10hipError_tPvRmT3_T4_T5_T6_T7_T9_mT8_P12ihipStream_tbDpT10_ENKUlT_T0_E_clISt17integral_constantIbLb0EES1A_EEDaS15_S16_EUlS15_E_NS1_11comp_targetILNS1_3genE4ELNS1_11target_archE910ELNS1_3gpuE8ELNS1_3repE0EEENS1_30default_config_static_selectorELNS0_4arch9wavefront6targetE1EEEvT1_ ; -- Begin function _ZN7rocprim17ROCPRIM_400000_NS6detail17trampoline_kernelINS0_14default_configENS1_25partition_config_selectorILNS1_17partition_subalgoE9EllbEEZZNS1_14partition_implILS5_9ELb0ES3_jPlS8_PNS0_10empty_typeENS0_5tupleIJS8_S9_EEENSB_IJS8_SA_EEENS0_18inequality_wrapperIZN2at6native12_GLOBAL__N_124unique_dim_cuda_templateIhEESt5tupleIJNSF_6TensorESK_SK_EERKSK_lbbbEUlllE0_EEPmJS9_EEE10hipError_tPvRmT3_T4_T5_T6_T7_T9_mT8_P12ihipStream_tbDpT10_ENKUlT_T0_E_clISt17integral_constantIbLb0EES1A_EEDaS15_S16_EUlS15_E_NS1_11comp_targetILNS1_3genE4ELNS1_11target_archE910ELNS1_3gpuE8ELNS1_3repE0EEENS1_30default_config_static_selectorELNS0_4arch9wavefront6targetE1EEEvT1_
	.p2align	8
	.type	_ZN7rocprim17ROCPRIM_400000_NS6detail17trampoline_kernelINS0_14default_configENS1_25partition_config_selectorILNS1_17partition_subalgoE9EllbEEZZNS1_14partition_implILS5_9ELb0ES3_jPlS8_PNS0_10empty_typeENS0_5tupleIJS8_S9_EEENSB_IJS8_SA_EEENS0_18inequality_wrapperIZN2at6native12_GLOBAL__N_124unique_dim_cuda_templateIhEESt5tupleIJNSF_6TensorESK_SK_EERKSK_lbbbEUlllE0_EEPmJS9_EEE10hipError_tPvRmT3_T4_T5_T6_T7_T9_mT8_P12ihipStream_tbDpT10_ENKUlT_T0_E_clISt17integral_constantIbLb0EES1A_EEDaS15_S16_EUlS15_E_NS1_11comp_targetILNS1_3genE4ELNS1_11target_archE910ELNS1_3gpuE8ELNS1_3repE0EEENS1_30default_config_static_selectorELNS0_4arch9wavefront6targetE1EEEvT1_,@function
_ZN7rocprim17ROCPRIM_400000_NS6detail17trampoline_kernelINS0_14default_configENS1_25partition_config_selectorILNS1_17partition_subalgoE9EllbEEZZNS1_14partition_implILS5_9ELb0ES3_jPlS8_PNS0_10empty_typeENS0_5tupleIJS8_S9_EEENSB_IJS8_SA_EEENS0_18inequality_wrapperIZN2at6native12_GLOBAL__N_124unique_dim_cuda_templateIhEESt5tupleIJNSF_6TensorESK_SK_EERKSK_lbbbEUlllE0_EEPmJS9_EEE10hipError_tPvRmT3_T4_T5_T6_T7_T9_mT8_P12ihipStream_tbDpT10_ENKUlT_T0_E_clISt17integral_constantIbLb0EES1A_EEDaS15_S16_EUlS15_E_NS1_11comp_targetILNS1_3genE4ELNS1_11target_archE910ELNS1_3gpuE8ELNS1_3repE0EEENS1_30default_config_static_selectorELNS0_4arch9wavefront6targetE1EEEvT1_: ; @_ZN7rocprim17ROCPRIM_400000_NS6detail17trampoline_kernelINS0_14default_configENS1_25partition_config_selectorILNS1_17partition_subalgoE9EllbEEZZNS1_14partition_implILS5_9ELb0ES3_jPlS8_PNS0_10empty_typeENS0_5tupleIJS8_S9_EEENSB_IJS8_SA_EEENS0_18inequality_wrapperIZN2at6native12_GLOBAL__N_124unique_dim_cuda_templateIhEESt5tupleIJNSF_6TensorESK_SK_EERKSK_lbbbEUlllE0_EEPmJS9_EEE10hipError_tPvRmT3_T4_T5_T6_T7_T9_mT8_P12ihipStream_tbDpT10_ENKUlT_T0_E_clISt17integral_constantIbLb0EES1A_EEDaS15_S16_EUlS15_E_NS1_11comp_targetILNS1_3genE4ELNS1_11target_archE910ELNS1_3gpuE8ELNS1_3repE0EEENS1_30default_config_static_selectorELNS0_4arch9wavefront6targetE1EEEvT1_
; %bb.0:
	.section	.rodata,"a",@progbits
	.p2align	6, 0x0
	.amdhsa_kernel _ZN7rocprim17ROCPRIM_400000_NS6detail17trampoline_kernelINS0_14default_configENS1_25partition_config_selectorILNS1_17partition_subalgoE9EllbEEZZNS1_14partition_implILS5_9ELb0ES3_jPlS8_PNS0_10empty_typeENS0_5tupleIJS8_S9_EEENSB_IJS8_SA_EEENS0_18inequality_wrapperIZN2at6native12_GLOBAL__N_124unique_dim_cuda_templateIhEESt5tupleIJNSF_6TensorESK_SK_EERKSK_lbbbEUlllE0_EEPmJS9_EEE10hipError_tPvRmT3_T4_T5_T6_T7_T9_mT8_P12ihipStream_tbDpT10_ENKUlT_T0_E_clISt17integral_constantIbLb0EES1A_EEDaS15_S16_EUlS15_E_NS1_11comp_targetILNS1_3genE4ELNS1_11target_archE910ELNS1_3gpuE8ELNS1_3repE0EEENS1_30default_config_static_selectorELNS0_4arch9wavefront6targetE1EEEvT1_
		.amdhsa_group_segment_fixed_size 0
		.amdhsa_private_segment_fixed_size 0
		.amdhsa_kernarg_size 120
		.amdhsa_user_sgpr_count 2
		.amdhsa_user_sgpr_dispatch_ptr 0
		.amdhsa_user_sgpr_queue_ptr 0
		.amdhsa_user_sgpr_kernarg_segment_ptr 1
		.amdhsa_user_sgpr_dispatch_id 0
		.amdhsa_user_sgpr_kernarg_preload_length 0
		.amdhsa_user_sgpr_kernarg_preload_offset 0
		.amdhsa_user_sgpr_private_segment_size 0
		.amdhsa_uses_dynamic_stack 0
		.amdhsa_enable_private_segment 0
		.amdhsa_system_sgpr_workgroup_id_x 1
		.amdhsa_system_sgpr_workgroup_id_y 0
		.amdhsa_system_sgpr_workgroup_id_z 0
		.amdhsa_system_sgpr_workgroup_info 0
		.amdhsa_system_vgpr_workitem_id 0
		.amdhsa_next_free_vgpr 1
		.amdhsa_next_free_sgpr 0
		.amdhsa_accum_offset 4
		.amdhsa_reserve_vcc 0
		.amdhsa_float_round_mode_32 0
		.amdhsa_float_round_mode_16_64 0
		.amdhsa_float_denorm_mode_32 3
		.amdhsa_float_denorm_mode_16_64 3
		.amdhsa_dx10_clamp 1
		.amdhsa_ieee_mode 1
		.amdhsa_fp16_overflow 0
		.amdhsa_tg_split 0
		.amdhsa_exception_fp_ieee_invalid_op 0
		.amdhsa_exception_fp_denorm_src 0
		.amdhsa_exception_fp_ieee_div_zero 0
		.amdhsa_exception_fp_ieee_overflow 0
		.amdhsa_exception_fp_ieee_underflow 0
		.amdhsa_exception_fp_ieee_inexact 0
		.amdhsa_exception_int_div_zero 0
	.end_amdhsa_kernel
	.section	.text._ZN7rocprim17ROCPRIM_400000_NS6detail17trampoline_kernelINS0_14default_configENS1_25partition_config_selectorILNS1_17partition_subalgoE9EllbEEZZNS1_14partition_implILS5_9ELb0ES3_jPlS8_PNS0_10empty_typeENS0_5tupleIJS8_S9_EEENSB_IJS8_SA_EEENS0_18inequality_wrapperIZN2at6native12_GLOBAL__N_124unique_dim_cuda_templateIhEESt5tupleIJNSF_6TensorESK_SK_EERKSK_lbbbEUlllE0_EEPmJS9_EEE10hipError_tPvRmT3_T4_T5_T6_T7_T9_mT8_P12ihipStream_tbDpT10_ENKUlT_T0_E_clISt17integral_constantIbLb0EES1A_EEDaS15_S16_EUlS15_E_NS1_11comp_targetILNS1_3genE4ELNS1_11target_archE910ELNS1_3gpuE8ELNS1_3repE0EEENS1_30default_config_static_selectorELNS0_4arch9wavefront6targetE1EEEvT1_,"axG",@progbits,_ZN7rocprim17ROCPRIM_400000_NS6detail17trampoline_kernelINS0_14default_configENS1_25partition_config_selectorILNS1_17partition_subalgoE9EllbEEZZNS1_14partition_implILS5_9ELb0ES3_jPlS8_PNS0_10empty_typeENS0_5tupleIJS8_S9_EEENSB_IJS8_SA_EEENS0_18inequality_wrapperIZN2at6native12_GLOBAL__N_124unique_dim_cuda_templateIhEESt5tupleIJNSF_6TensorESK_SK_EERKSK_lbbbEUlllE0_EEPmJS9_EEE10hipError_tPvRmT3_T4_T5_T6_T7_T9_mT8_P12ihipStream_tbDpT10_ENKUlT_T0_E_clISt17integral_constantIbLb0EES1A_EEDaS15_S16_EUlS15_E_NS1_11comp_targetILNS1_3genE4ELNS1_11target_archE910ELNS1_3gpuE8ELNS1_3repE0EEENS1_30default_config_static_selectorELNS0_4arch9wavefront6targetE1EEEvT1_,comdat
.Lfunc_end206:
	.size	_ZN7rocprim17ROCPRIM_400000_NS6detail17trampoline_kernelINS0_14default_configENS1_25partition_config_selectorILNS1_17partition_subalgoE9EllbEEZZNS1_14partition_implILS5_9ELb0ES3_jPlS8_PNS0_10empty_typeENS0_5tupleIJS8_S9_EEENSB_IJS8_SA_EEENS0_18inequality_wrapperIZN2at6native12_GLOBAL__N_124unique_dim_cuda_templateIhEESt5tupleIJNSF_6TensorESK_SK_EERKSK_lbbbEUlllE0_EEPmJS9_EEE10hipError_tPvRmT3_T4_T5_T6_T7_T9_mT8_P12ihipStream_tbDpT10_ENKUlT_T0_E_clISt17integral_constantIbLb0EES1A_EEDaS15_S16_EUlS15_E_NS1_11comp_targetILNS1_3genE4ELNS1_11target_archE910ELNS1_3gpuE8ELNS1_3repE0EEENS1_30default_config_static_selectorELNS0_4arch9wavefront6targetE1EEEvT1_, .Lfunc_end206-_ZN7rocprim17ROCPRIM_400000_NS6detail17trampoline_kernelINS0_14default_configENS1_25partition_config_selectorILNS1_17partition_subalgoE9EllbEEZZNS1_14partition_implILS5_9ELb0ES3_jPlS8_PNS0_10empty_typeENS0_5tupleIJS8_S9_EEENSB_IJS8_SA_EEENS0_18inequality_wrapperIZN2at6native12_GLOBAL__N_124unique_dim_cuda_templateIhEESt5tupleIJNSF_6TensorESK_SK_EERKSK_lbbbEUlllE0_EEPmJS9_EEE10hipError_tPvRmT3_T4_T5_T6_T7_T9_mT8_P12ihipStream_tbDpT10_ENKUlT_T0_E_clISt17integral_constantIbLb0EES1A_EEDaS15_S16_EUlS15_E_NS1_11comp_targetILNS1_3genE4ELNS1_11target_archE910ELNS1_3gpuE8ELNS1_3repE0EEENS1_30default_config_static_selectorELNS0_4arch9wavefront6targetE1EEEvT1_
                                        ; -- End function
	.set _ZN7rocprim17ROCPRIM_400000_NS6detail17trampoline_kernelINS0_14default_configENS1_25partition_config_selectorILNS1_17partition_subalgoE9EllbEEZZNS1_14partition_implILS5_9ELb0ES3_jPlS8_PNS0_10empty_typeENS0_5tupleIJS8_S9_EEENSB_IJS8_SA_EEENS0_18inequality_wrapperIZN2at6native12_GLOBAL__N_124unique_dim_cuda_templateIhEESt5tupleIJNSF_6TensorESK_SK_EERKSK_lbbbEUlllE0_EEPmJS9_EEE10hipError_tPvRmT3_T4_T5_T6_T7_T9_mT8_P12ihipStream_tbDpT10_ENKUlT_T0_E_clISt17integral_constantIbLb0EES1A_EEDaS15_S16_EUlS15_E_NS1_11comp_targetILNS1_3genE4ELNS1_11target_archE910ELNS1_3gpuE8ELNS1_3repE0EEENS1_30default_config_static_selectorELNS0_4arch9wavefront6targetE1EEEvT1_.num_vgpr, 0
	.set _ZN7rocprim17ROCPRIM_400000_NS6detail17trampoline_kernelINS0_14default_configENS1_25partition_config_selectorILNS1_17partition_subalgoE9EllbEEZZNS1_14partition_implILS5_9ELb0ES3_jPlS8_PNS0_10empty_typeENS0_5tupleIJS8_S9_EEENSB_IJS8_SA_EEENS0_18inequality_wrapperIZN2at6native12_GLOBAL__N_124unique_dim_cuda_templateIhEESt5tupleIJNSF_6TensorESK_SK_EERKSK_lbbbEUlllE0_EEPmJS9_EEE10hipError_tPvRmT3_T4_T5_T6_T7_T9_mT8_P12ihipStream_tbDpT10_ENKUlT_T0_E_clISt17integral_constantIbLb0EES1A_EEDaS15_S16_EUlS15_E_NS1_11comp_targetILNS1_3genE4ELNS1_11target_archE910ELNS1_3gpuE8ELNS1_3repE0EEENS1_30default_config_static_selectorELNS0_4arch9wavefront6targetE1EEEvT1_.num_agpr, 0
	.set _ZN7rocprim17ROCPRIM_400000_NS6detail17trampoline_kernelINS0_14default_configENS1_25partition_config_selectorILNS1_17partition_subalgoE9EllbEEZZNS1_14partition_implILS5_9ELb0ES3_jPlS8_PNS0_10empty_typeENS0_5tupleIJS8_S9_EEENSB_IJS8_SA_EEENS0_18inequality_wrapperIZN2at6native12_GLOBAL__N_124unique_dim_cuda_templateIhEESt5tupleIJNSF_6TensorESK_SK_EERKSK_lbbbEUlllE0_EEPmJS9_EEE10hipError_tPvRmT3_T4_T5_T6_T7_T9_mT8_P12ihipStream_tbDpT10_ENKUlT_T0_E_clISt17integral_constantIbLb0EES1A_EEDaS15_S16_EUlS15_E_NS1_11comp_targetILNS1_3genE4ELNS1_11target_archE910ELNS1_3gpuE8ELNS1_3repE0EEENS1_30default_config_static_selectorELNS0_4arch9wavefront6targetE1EEEvT1_.numbered_sgpr, 0
	.set _ZN7rocprim17ROCPRIM_400000_NS6detail17trampoline_kernelINS0_14default_configENS1_25partition_config_selectorILNS1_17partition_subalgoE9EllbEEZZNS1_14partition_implILS5_9ELb0ES3_jPlS8_PNS0_10empty_typeENS0_5tupleIJS8_S9_EEENSB_IJS8_SA_EEENS0_18inequality_wrapperIZN2at6native12_GLOBAL__N_124unique_dim_cuda_templateIhEESt5tupleIJNSF_6TensorESK_SK_EERKSK_lbbbEUlllE0_EEPmJS9_EEE10hipError_tPvRmT3_T4_T5_T6_T7_T9_mT8_P12ihipStream_tbDpT10_ENKUlT_T0_E_clISt17integral_constantIbLb0EES1A_EEDaS15_S16_EUlS15_E_NS1_11comp_targetILNS1_3genE4ELNS1_11target_archE910ELNS1_3gpuE8ELNS1_3repE0EEENS1_30default_config_static_selectorELNS0_4arch9wavefront6targetE1EEEvT1_.num_named_barrier, 0
	.set _ZN7rocprim17ROCPRIM_400000_NS6detail17trampoline_kernelINS0_14default_configENS1_25partition_config_selectorILNS1_17partition_subalgoE9EllbEEZZNS1_14partition_implILS5_9ELb0ES3_jPlS8_PNS0_10empty_typeENS0_5tupleIJS8_S9_EEENSB_IJS8_SA_EEENS0_18inequality_wrapperIZN2at6native12_GLOBAL__N_124unique_dim_cuda_templateIhEESt5tupleIJNSF_6TensorESK_SK_EERKSK_lbbbEUlllE0_EEPmJS9_EEE10hipError_tPvRmT3_T4_T5_T6_T7_T9_mT8_P12ihipStream_tbDpT10_ENKUlT_T0_E_clISt17integral_constantIbLb0EES1A_EEDaS15_S16_EUlS15_E_NS1_11comp_targetILNS1_3genE4ELNS1_11target_archE910ELNS1_3gpuE8ELNS1_3repE0EEENS1_30default_config_static_selectorELNS0_4arch9wavefront6targetE1EEEvT1_.private_seg_size, 0
	.set _ZN7rocprim17ROCPRIM_400000_NS6detail17trampoline_kernelINS0_14default_configENS1_25partition_config_selectorILNS1_17partition_subalgoE9EllbEEZZNS1_14partition_implILS5_9ELb0ES3_jPlS8_PNS0_10empty_typeENS0_5tupleIJS8_S9_EEENSB_IJS8_SA_EEENS0_18inequality_wrapperIZN2at6native12_GLOBAL__N_124unique_dim_cuda_templateIhEESt5tupleIJNSF_6TensorESK_SK_EERKSK_lbbbEUlllE0_EEPmJS9_EEE10hipError_tPvRmT3_T4_T5_T6_T7_T9_mT8_P12ihipStream_tbDpT10_ENKUlT_T0_E_clISt17integral_constantIbLb0EES1A_EEDaS15_S16_EUlS15_E_NS1_11comp_targetILNS1_3genE4ELNS1_11target_archE910ELNS1_3gpuE8ELNS1_3repE0EEENS1_30default_config_static_selectorELNS0_4arch9wavefront6targetE1EEEvT1_.uses_vcc, 0
	.set _ZN7rocprim17ROCPRIM_400000_NS6detail17trampoline_kernelINS0_14default_configENS1_25partition_config_selectorILNS1_17partition_subalgoE9EllbEEZZNS1_14partition_implILS5_9ELb0ES3_jPlS8_PNS0_10empty_typeENS0_5tupleIJS8_S9_EEENSB_IJS8_SA_EEENS0_18inequality_wrapperIZN2at6native12_GLOBAL__N_124unique_dim_cuda_templateIhEESt5tupleIJNSF_6TensorESK_SK_EERKSK_lbbbEUlllE0_EEPmJS9_EEE10hipError_tPvRmT3_T4_T5_T6_T7_T9_mT8_P12ihipStream_tbDpT10_ENKUlT_T0_E_clISt17integral_constantIbLb0EES1A_EEDaS15_S16_EUlS15_E_NS1_11comp_targetILNS1_3genE4ELNS1_11target_archE910ELNS1_3gpuE8ELNS1_3repE0EEENS1_30default_config_static_selectorELNS0_4arch9wavefront6targetE1EEEvT1_.uses_flat_scratch, 0
	.set _ZN7rocprim17ROCPRIM_400000_NS6detail17trampoline_kernelINS0_14default_configENS1_25partition_config_selectorILNS1_17partition_subalgoE9EllbEEZZNS1_14partition_implILS5_9ELb0ES3_jPlS8_PNS0_10empty_typeENS0_5tupleIJS8_S9_EEENSB_IJS8_SA_EEENS0_18inequality_wrapperIZN2at6native12_GLOBAL__N_124unique_dim_cuda_templateIhEESt5tupleIJNSF_6TensorESK_SK_EERKSK_lbbbEUlllE0_EEPmJS9_EEE10hipError_tPvRmT3_T4_T5_T6_T7_T9_mT8_P12ihipStream_tbDpT10_ENKUlT_T0_E_clISt17integral_constantIbLb0EES1A_EEDaS15_S16_EUlS15_E_NS1_11comp_targetILNS1_3genE4ELNS1_11target_archE910ELNS1_3gpuE8ELNS1_3repE0EEENS1_30default_config_static_selectorELNS0_4arch9wavefront6targetE1EEEvT1_.has_dyn_sized_stack, 0
	.set _ZN7rocprim17ROCPRIM_400000_NS6detail17trampoline_kernelINS0_14default_configENS1_25partition_config_selectorILNS1_17partition_subalgoE9EllbEEZZNS1_14partition_implILS5_9ELb0ES3_jPlS8_PNS0_10empty_typeENS0_5tupleIJS8_S9_EEENSB_IJS8_SA_EEENS0_18inequality_wrapperIZN2at6native12_GLOBAL__N_124unique_dim_cuda_templateIhEESt5tupleIJNSF_6TensorESK_SK_EERKSK_lbbbEUlllE0_EEPmJS9_EEE10hipError_tPvRmT3_T4_T5_T6_T7_T9_mT8_P12ihipStream_tbDpT10_ENKUlT_T0_E_clISt17integral_constantIbLb0EES1A_EEDaS15_S16_EUlS15_E_NS1_11comp_targetILNS1_3genE4ELNS1_11target_archE910ELNS1_3gpuE8ELNS1_3repE0EEENS1_30default_config_static_selectorELNS0_4arch9wavefront6targetE1EEEvT1_.has_recursion, 0
	.set _ZN7rocprim17ROCPRIM_400000_NS6detail17trampoline_kernelINS0_14default_configENS1_25partition_config_selectorILNS1_17partition_subalgoE9EllbEEZZNS1_14partition_implILS5_9ELb0ES3_jPlS8_PNS0_10empty_typeENS0_5tupleIJS8_S9_EEENSB_IJS8_SA_EEENS0_18inequality_wrapperIZN2at6native12_GLOBAL__N_124unique_dim_cuda_templateIhEESt5tupleIJNSF_6TensorESK_SK_EERKSK_lbbbEUlllE0_EEPmJS9_EEE10hipError_tPvRmT3_T4_T5_T6_T7_T9_mT8_P12ihipStream_tbDpT10_ENKUlT_T0_E_clISt17integral_constantIbLb0EES1A_EEDaS15_S16_EUlS15_E_NS1_11comp_targetILNS1_3genE4ELNS1_11target_archE910ELNS1_3gpuE8ELNS1_3repE0EEENS1_30default_config_static_selectorELNS0_4arch9wavefront6targetE1EEEvT1_.has_indirect_call, 0
	.section	.AMDGPU.csdata,"",@progbits
; Kernel info:
; codeLenInByte = 0
; TotalNumSgprs: 6
; NumVgprs: 0
; NumAgprs: 0
; TotalNumVgprs: 0
; ScratchSize: 0
; MemoryBound: 0
; FloatMode: 240
; IeeeMode: 1
; LDSByteSize: 0 bytes/workgroup (compile time only)
; SGPRBlocks: 0
; VGPRBlocks: 0
; NumSGPRsForWavesPerEU: 6
; NumVGPRsForWavesPerEU: 1
; AccumOffset: 4
; Occupancy: 8
; WaveLimiterHint : 0
; COMPUTE_PGM_RSRC2:SCRATCH_EN: 0
; COMPUTE_PGM_RSRC2:USER_SGPR: 2
; COMPUTE_PGM_RSRC2:TRAP_HANDLER: 0
; COMPUTE_PGM_RSRC2:TGID_X_EN: 1
; COMPUTE_PGM_RSRC2:TGID_Y_EN: 0
; COMPUTE_PGM_RSRC2:TGID_Z_EN: 0
; COMPUTE_PGM_RSRC2:TIDIG_COMP_CNT: 0
; COMPUTE_PGM_RSRC3_GFX90A:ACCUM_OFFSET: 0
; COMPUTE_PGM_RSRC3_GFX90A:TG_SPLIT: 0
	.section	.text._ZN7rocprim17ROCPRIM_400000_NS6detail17trampoline_kernelINS0_14default_configENS1_25partition_config_selectorILNS1_17partition_subalgoE9EllbEEZZNS1_14partition_implILS5_9ELb0ES3_jPlS8_PNS0_10empty_typeENS0_5tupleIJS8_S9_EEENSB_IJS8_SA_EEENS0_18inequality_wrapperIZN2at6native12_GLOBAL__N_124unique_dim_cuda_templateIhEESt5tupleIJNSF_6TensorESK_SK_EERKSK_lbbbEUlllE0_EEPmJS9_EEE10hipError_tPvRmT3_T4_T5_T6_T7_T9_mT8_P12ihipStream_tbDpT10_ENKUlT_T0_E_clISt17integral_constantIbLb0EES1A_EEDaS15_S16_EUlS15_E_NS1_11comp_targetILNS1_3genE3ELNS1_11target_archE908ELNS1_3gpuE7ELNS1_3repE0EEENS1_30default_config_static_selectorELNS0_4arch9wavefront6targetE1EEEvT1_,"axG",@progbits,_ZN7rocprim17ROCPRIM_400000_NS6detail17trampoline_kernelINS0_14default_configENS1_25partition_config_selectorILNS1_17partition_subalgoE9EllbEEZZNS1_14partition_implILS5_9ELb0ES3_jPlS8_PNS0_10empty_typeENS0_5tupleIJS8_S9_EEENSB_IJS8_SA_EEENS0_18inequality_wrapperIZN2at6native12_GLOBAL__N_124unique_dim_cuda_templateIhEESt5tupleIJNSF_6TensorESK_SK_EERKSK_lbbbEUlllE0_EEPmJS9_EEE10hipError_tPvRmT3_T4_T5_T6_T7_T9_mT8_P12ihipStream_tbDpT10_ENKUlT_T0_E_clISt17integral_constantIbLb0EES1A_EEDaS15_S16_EUlS15_E_NS1_11comp_targetILNS1_3genE3ELNS1_11target_archE908ELNS1_3gpuE7ELNS1_3repE0EEENS1_30default_config_static_selectorELNS0_4arch9wavefront6targetE1EEEvT1_,comdat
	.globl	_ZN7rocprim17ROCPRIM_400000_NS6detail17trampoline_kernelINS0_14default_configENS1_25partition_config_selectorILNS1_17partition_subalgoE9EllbEEZZNS1_14partition_implILS5_9ELb0ES3_jPlS8_PNS0_10empty_typeENS0_5tupleIJS8_S9_EEENSB_IJS8_SA_EEENS0_18inequality_wrapperIZN2at6native12_GLOBAL__N_124unique_dim_cuda_templateIhEESt5tupleIJNSF_6TensorESK_SK_EERKSK_lbbbEUlllE0_EEPmJS9_EEE10hipError_tPvRmT3_T4_T5_T6_T7_T9_mT8_P12ihipStream_tbDpT10_ENKUlT_T0_E_clISt17integral_constantIbLb0EES1A_EEDaS15_S16_EUlS15_E_NS1_11comp_targetILNS1_3genE3ELNS1_11target_archE908ELNS1_3gpuE7ELNS1_3repE0EEENS1_30default_config_static_selectorELNS0_4arch9wavefront6targetE1EEEvT1_ ; -- Begin function _ZN7rocprim17ROCPRIM_400000_NS6detail17trampoline_kernelINS0_14default_configENS1_25partition_config_selectorILNS1_17partition_subalgoE9EllbEEZZNS1_14partition_implILS5_9ELb0ES3_jPlS8_PNS0_10empty_typeENS0_5tupleIJS8_S9_EEENSB_IJS8_SA_EEENS0_18inequality_wrapperIZN2at6native12_GLOBAL__N_124unique_dim_cuda_templateIhEESt5tupleIJNSF_6TensorESK_SK_EERKSK_lbbbEUlllE0_EEPmJS9_EEE10hipError_tPvRmT3_T4_T5_T6_T7_T9_mT8_P12ihipStream_tbDpT10_ENKUlT_T0_E_clISt17integral_constantIbLb0EES1A_EEDaS15_S16_EUlS15_E_NS1_11comp_targetILNS1_3genE3ELNS1_11target_archE908ELNS1_3gpuE7ELNS1_3repE0EEENS1_30default_config_static_selectorELNS0_4arch9wavefront6targetE1EEEvT1_
	.p2align	8
	.type	_ZN7rocprim17ROCPRIM_400000_NS6detail17trampoline_kernelINS0_14default_configENS1_25partition_config_selectorILNS1_17partition_subalgoE9EllbEEZZNS1_14partition_implILS5_9ELb0ES3_jPlS8_PNS0_10empty_typeENS0_5tupleIJS8_S9_EEENSB_IJS8_SA_EEENS0_18inequality_wrapperIZN2at6native12_GLOBAL__N_124unique_dim_cuda_templateIhEESt5tupleIJNSF_6TensorESK_SK_EERKSK_lbbbEUlllE0_EEPmJS9_EEE10hipError_tPvRmT3_T4_T5_T6_T7_T9_mT8_P12ihipStream_tbDpT10_ENKUlT_T0_E_clISt17integral_constantIbLb0EES1A_EEDaS15_S16_EUlS15_E_NS1_11comp_targetILNS1_3genE3ELNS1_11target_archE908ELNS1_3gpuE7ELNS1_3repE0EEENS1_30default_config_static_selectorELNS0_4arch9wavefront6targetE1EEEvT1_,@function
_ZN7rocprim17ROCPRIM_400000_NS6detail17trampoline_kernelINS0_14default_configENS1_25partition_config_selectorILNS1_17partition_subalgoE9EllbEEZZNS1_14partition_implILS5_9ELb0ES3_jPlS8_PNS0_10empty_typeENS0_5tupleIJS8_S9_EEENSB_IJS8_SA_EEENS0_18inequality_wrapperIZN2at6native12_GLOBAL__N_124unique_dim_cuda_templateIhEESt5tupleIJNSF_6TensorESK_SK_EERKSK_lbbbEUlllE0_EEPmJS9_EEE10hipError_tPvRmT3_T4_T5_T6_T7_T9_mT8_P12ihipStream_tbDpT10_ENKUlT_T0_E_clISt17integral_constantIbLb0EES1A_EEDaS15_S16_EUlS15_E_NS1_11comp_targetILNS1_3genE3ELNS1_11target_archE908ELNS1_3gpuE7ELNS1_3repE0EEENS1_30default_config_static_selectorELNS0_4arch9wavefront6targetE1EEEvT1_: ; @_ZN7rocprim17ROCPRIM_400000_NS6detail17trampoline_kernelINS0_14default_configENS1_25partition_config_selectorILNS1_17partition_subalgoE9EllbEEZZNS1_14partition_implILS5_9ELb0ES3_jPlS8_PNS0_10empty_typeENS0_5tupleIJS8_S9_EEENSB_IJS8_SA_EEENS0_18inequality_wrapperIZN2at6native12_GLOBAL__N_124unique_dim_cuda_templateIhEESt5tupleIJNSF_6TensorESK_SK_EERKSK_lbbbEUlllE0_EEPmJS9_EEE10hipError_tPvRmT3_T4_T5_T6_T7_T9_mT8_P12ihipStream_tbDpT10_ENKUlT_T0_E_clISt17integral_constantIbLb0EES1A_EEDaS15_S16_EUlS15_E_NS1_11comp_targetILNS1_3genE3ELNS1_11target_archE908ELNS1_3gpuE7ELNS1_3repE0EEENS1_30default_config_static_selectorELNS0_4arch9wavefront6targetE1EEEvT1_
; %bb.0:
	.section	.rodata,"a",@progbits
	.p2align	6, 0x0
	.amdhsa_kernel _ZN7rocprim17ROCPRIM_400000_NS6detail17trampoline_kernelINS0_14default_configENS1_25partition_config_selectorILNS1_17partition_subalgoE9EllbEEZZNS1_14partition_implILS5_9ELb0ES3_jPlS8_PNS0_10empty_typeENS0_5tupleIJS8_S9_EEENSB_IJS8_SA_EEENS0_18inequality_wrapperIZN2at6native12_GLOBAL__N_124unique_dim_cuda_templateIhEESt5tupleIJNSF_6TensorESK_SK_EERKSK_lbbbEUlllE0_EEPmJS9_EEE10hipError_tPvRmT3_T4_T5_T6_T7_T9_mT8_P12ihipStream_tbDpT10_ENKUlT_T0_E_clISt17integral_constantIbLb0EES1A_EEDaS15_S16_EUlS15_E_NS1_11comp_targetILNS1_3genE3ELNS1_11target_archE908ELNS1_3gpuE7ELNS1_3repE0EEENS1_30default_config_static_selectorELNS0_4arch9wavefront6targetE1EEEvT1_
		.amdhsa_group_segment_fixed_size 0
		.amdhsa_private_segment_fixed_size 0
		.amdhsa_kernarg_size 120
		.amdhsa_user_sgpr_count 2
		.amdhsa_user_sgpr_dispatch_ptr 0
		.amdhsa_user_sgpr_queue_ptr 0
		.amdhsa_user_sgpr_kernarg_segment_ptr 1
		.amdhsa_user_sgpr_dispatch_id 0
		.amdhsa_user_sgpr_kernarg_preload_length 0
		.amdhsa_user_sgpr_kernarg_preload_offset 0
		.amdhsa_user_sgpr_private_segment_size 0
		.amdhsa_uses_dynamic_stack 0
		.amdhsa_enable_private_segment 0
		.amdhsa_system_sgpr_workgroup_id_x 1
		.amdhsa_system_sgpr_workgroup_id_y 0
		.amdhsa_system_sgpr_workgroup_id_z 0
		.amdhsa_system_sgpr_workgroup_info 0
		.amdhsa_system_vgpr_workitem_id 0
		.amdhsa_next_free_vgpr 1
		.amdhsa_next_free_sgpr 0
		.amdhsa_accum_offset 4
		.amdhsa_reserve_vcc 0
		.amdhsa_float_round_mode_32 0
		.amdhsa_float_round_mode_16_64 0
		.amdhsa_float_denorm_mode_32 3
		.amdhsa_float_denorm_mode_16_64 3
		.amdhsa_dx10_clamp 1
		.amdhsa_ieee_mode 1
		.amdhsa_fp16_overflow 0
		.amdhsa_tg_split 0
		.amdhsa_exception_fp_ieee_invalid_op 0
		.amdhsa_exception_fp_denorm_src 0
		.amdhsa_exception_fp_ieee_div_zero 0
		.amdhsa_exception_fp_ieee_overflow 0
		.amdhsa_exception_fp_ieee_underflow 0
		.amdhsa_exception_fp_ieee_inexact 0
		.amdhsa_exception_int_div_zero 0
	.end_amdhsa_kernel
	.section	.text._ZN7rocprim17ROCPRIM_400000_NS6detail17trampoline_kernelINS0_14default_configENS1_25partition_config_selectorILNS1_17partition_subalgoE9EllbEEZZNS1_14partition_implILS5_9ELb0ES3_jPlS8_PNS0_10empty_typeENS0_5tupleIJS8_S9_EEENSB_IJS8_SA_EEENS0_18inequality_wrapperIZN2at6native12_GLOBAL__N_124unique_dim_cuda_templateIhEESt5tupleIJNSF_6TensorESK_SK_EERKSK_lbbbEUlllE0_EEPmJS9_EEE10hipError_tPvRmT3_T4_T5_T6_T7_T9_mT8_P12ihipStream_tbDpT10_ENKUlT_T0_E_clISt17integral_constantIbLb0EES1A_EEDaS15_S16_EUlS15_E_NS1_11comp_targetILNS1_3genE3ELNS1_11target_archE908ELNS1_3gpuE7ELNS1_3repE0EEENS1_30default_config_static_selectorELNS0_4arch9wavefront6targetE1EEEvT1_,"axG",@progbits,_ZN7rocprim17ROCPRIM_400000_NS6detail17trampoline_kernelINS0_14default_configENS1_25partition_config_selectorILNS1_17partition_subalgoE9EllbEEZZNS1_14partition_implILS5_9ELb0ES3_jPlS8_PNS0_10empty_typeENS0_5tupleIJS8_S9_EEENSB_IJS8_SA_EEENS0_18inequality_wrapperIZN2at6native12_GLOBAL__N_124unique_dim_cuda_templateIhEESt5tupleIJNSF_6TensorESK_SK_EERKSK_lbbbEUlllE0_EEPmJS9_EEE10hipError_tPvRmT3_T4_T5_T6_T7_T9_mT8_P12ihipStream_tbDpT10_ENKUlT_T0_E_clISt17integral_constantIbLb0EES1A_EEDaS15_S16_EUlS15_E_NS1_11comp_targetILNS1_3genE3ELNS1_11target_archE908ELNS1_3gpuE7ELNS1_3repE0EEENS1_30default_config_static_selectorELNS0_4arch9wavefront6targetE1EEEvT1_,comdat
.Lfunc_end207:
	.size	_ZN7rocprim17ROCPRIM_400000_NS6detail17trampoline_kernelINS0_14default_configENS1_25partition_config_selectorILNS1_17partition_subalgoE9EllbEEZZNS1_14partition_implILS5_9ELb0ES3_jPlS8_PNS0_10empty_typeENS0_5tupleIJS8_S9_EEENSB_IJS8_SA_EEENS0_18inequality_wrapperIZN2at6native12_GLOBAL__N_124unique_dim_cuda_templateIhEESt5tupleIJNSF_6TensorESK_SK_EERKSK_lbbbEUlllE0_EEPmJS9_EEE10hipError_tPvRmT3_T4_T5_T6_T7_T9_mT8_P12ihipStream_tbDpT10_ENKUlT_T0_E_clISt17integral_constantIbLb0EES1A_EEDaS15_S16_EUlS15_E_NS1_11comp_targetILNS1_3genE3ELNS1_11target_archE908ELNS1_3gpuE7ELNS1_3repE0EEENS1_30default_config_static_selectorELNS0_4arch9wavefront6targetE1EEEvT1_, .Lfunc_end207-_ZN7rocprim17ROCPRIM_400000_NS6detail17trampoline_kernelINS0_14default_configENS1_25partition_config_selectorILNS1_17partition_subalgoE9EllbEEZZNS1_14partition_implILS5_9ELb0ES3_jPlS8_PNS0_10empty_typeENS0_5tupleIJS8_S9_EEENSB_IJS8_SA_EEENS0_18inequality_wrapperIZN2at6native12_GLOBAL__N_124unique_dim_cuda_templateIhEESt5tupleIJNSF_6TensorESK_SK_EERKSK_lbbbEUlllE0_EEPmJS9_EEE10hipError_tPvRmT3_T4_T5_T6_T7_T9_mT8_P12ihipStream_tbDpT10_ENKUlT_T0_E_clISt17integral_constantIbLb0EES1A_EEDaS15_S16_EUlS15_E_NS1_11comp_targetILNS1_3genE3ELNS1_11target_archE908ELNS1_3gpuE7ELNS1_3repE0EEENS1_30default_config_static_selectorELNS0_4arch9wavefront6targetE1EEEvT1_
                                        ; -- End function
	.set _ZN7rocprim17ROCPRIM_400000_NS6detail17trampoline_kernelINS0_14default_configENS1_25partition_config_selectorILNS1_17partition_subalgoE9EllbEEZZNS1_14partition_implILS5_9ELb0ES3_jPlS8_PNS0_10empty_typeENS0_5tupleIJS8_S9_EEENSB_IJS8_SA_EEENS0_18inequality_wrapperIZN2at6native12_GLOBAL__N_124unique_dim_cuda_templateIhEESt5tupleIJNSF_6TensorESK_SK_EERKSK_lbbbEUlllE0_EEPmJS9_EEE10hipError_tPvRmT3_T4_T5_T6_T7_T9_mT8_P12ihipStream_tbDpT10_ENKUlT_T0_E_clISt17integral_constantIbLb0EES1A_EEDaS15_S16_EUlS15_E_NS1_11comp_targetILNS1_3genE3ELNS1_11target_archE908ELNS1_3gpuE7ELNS1_3repE0EEENS1_30default_config_static_selectorELNS0_4arch9wavefront6targetE1EEEvT1_.num_vgpr, 0
	.set _ZN7rocprim17ROCPRIM_400000_NS6detail17trampoline_kernelINS0_14default_configENS1_25partition_config_selectorILNS1_17partition_subalgoE9EllbEEZZNS1_14partition_implILS5_9ELb0ES3_jPlS8_PNS0_10empty_typeENS0_5tupleIJS8_S9_EEENSB_IJS8_SA_EEENS0_18inequality_wrapperIZN2at6native12_GLOBAL__N_124unique_dim_cuda_templateIhEESt5tupleIJNSF_6TensorESK_SK_EERKSK_lbbbEUlllE0_EEPmJS9_EEE10hipError_tPvRmT3_T4_T5_T6_T7_T9_mT8_P12ihipStream_tbDpT10_ENKUlT_T0_E_clISt17integral_constantIbLb0EES1A_EEDaS15_S16_EUlS15_E_NS1_11comp_targetILNS1_3genE3ELNS1_11target_archE908ELNS1_3gpuE7ELNS1_3repE0EEENS1_30default_config_static_selectorELNS0_4arch9wavefront6targetE1EEEvT1_.num_agpr, 0
	.set _ZN7rocprim17ROCPRIM_400000_NS6detail17trampoline_kernelINS0_14default_configENS1_25partition_config_selectorILNS1_17partition_subalgoE9EllbEEZZNS1_14partition_implILS5_9ELb0ES3_jPlS8_PNS0_10empty_typeENS0_5tupleIJS8_S9_EEENSB_IJS8_SA_EEENS0_18inequality_wrapperIZN2at6native12_GLOBAL__N_124unique_dim_cuda_templateIhEESt5tupleIJNSF_6TensorESK_SK_EERKSK_lbbbEUlllE0_EEPmJS9_EEE10hipError_tPvRmT3_T4_T5_T6_T7_T9_mT8_P12ihipStream_tbDpT10_ENKUlT_T0_E_clISt17integral_constantIbLb0EES1A_EEDaS15_S16_EUlS15_E_NS1_11comp_targetILNS1_3genE3ELNS1_11target_archE908ELNS1_3gpuE7ELNS1_3repE0EEENS1_30default_config_static_selectorELNS0_4arch9wavefront6targetE1EEEvT1_.numbered_sgpr, 0
	.set _ZN7rocprim17ROCPRIM_400000_NS6detail17trampoline_kernelINS0_14default_configENS1_25partition_config_selectorILNS1_17partition_subalgoE9EllbEEZZNS1_14partition_implILS5_9ELb0ES3_jPlS8_PNS0_10empty_typeENS0_5tupleIJS8_S9_EEENSB_IJS8_SA_EEENS0_18inequality_wrapperIZN2at6native12_GLOBAL__N_124unique_dim_cuda_templateIhEESt5tupleIJNSF_6TensorESK_SK_EERKSK_lbbbEUlllE0_EEPmJS9_EEE10hipError_tPvRmT3_T4_T5_T6_T7_T9_mT8_P12ihipStream_tbDpT10_ENKUlT_T0_E_clISt17integral_constantIbLb0EES1A_EEDaS15_S16_EUlS15_E_NS1_11comp_targetILNS1_3genE3ELNS1_11target_archE908ELNS1_3gpuE7ELNS1_3repE0EEENS1_30default_config_static_selectorELNS0_4arch9wavefront6targetE1EEEvT1_.num_named_barrier, 0
	.set _ZN7rocprim17ROCPRIM_400000_NS6detail17trampoline_kernelINS0_14default_configENS1_25partition_config_selectorILNS1_17partition_subalgoE9EllbEEZZNS1_14partition_implILS5_9ELb0ES3_jPlS8_PNS0_10empty_typeENS0_5tupleIJS8_S9_EEENSB_IJS8_SA_EEENS0_18inequality_wrapperIZN2at6native12_GLOBAL__N_124unique_dim_cuda_templateIhEESt5tupleIJNSF_6TensorESK_SK_EERKSK_lbbbEUlllE0_EEPmJS9_EEE10hipError_tPvRmT3_T4_T5_T6_T7_T9_mT8_P12ihipStream_tbDpT10_ENKUlT_T0_E_clISt17integral_constantIbLb0EES1A_EEDaS15_S16_EUlS15_E_NS1_11comp_targetILNS1_3genE3ELNS1_11target_archE908ELNS1_3gpuE7ELNS1_3repE0EEENS1_30default_config_static_selectorELNS0_4arch9wavefront6targetE1EEEvT1_.private_seg_size, 0
	.set _ZN7rocprim17ROCPRIM_400000_NS6detail17trampoline_kernelINS0_14default_configENS1_25partition_config_selectorILNS1_17partition_subalgoE9EllbEEZZNS1_14partition_implILS5_9ELb0ES3_jPlS8_PNS0_10empty_typeENS0_5tupleIJS8_S9_EEENSB_IJS8_SA_EEENS0_18inequality_wrapperIZN2at6native12_GLOBAL__N_124unique_dim_cuda_templateIhEESt5tupleIJNSF_6TensorESK_SK_EERKSK_lbbbEUlllE0_EEPmJS9_EEE10hipError_tPvRmT3_T4_T5_T6_T7_T9_mT8_P12ihipStream_tbDpT10_ENKUlT_T0_E_clISt17integral_constantIbLb0EES1A_EEDaS15_S16_EUlS15_E_NS1_11comp_targetILNS1_3genE3ELNS1_11target_archE908ELNS1_3gpuE7ELNS1_3repE0EEENS1_30default_config_static_selectorELNS0_4arch9wavefront6targetE1EEEvT1_.uses_vcc, 0
	.set _ZN7rocprim17ROCPRIM_400000_NS6detail17trampoline_kernelINS0_14default_configENS1_25partition_config_selectorILNS1_17partition_subalgoE9EllbEEZZNS1_14partition_implILS5_9ELb0ES3_jPlS8_PNS0_10empty_typeENS0_5tupleIJS8_S9_EEENSB_IJS8_SA_EEENS0_18inequality_wrapperIZN2at6native12_GLOBAL__N_124unique_dim_cuda_templateIhEESt5tupleIJNSF_6TensorESK_SK_EERKSK_lbbbEUlllE0_EEPmJS9_EEE10hipError_tPvRmT3_T4_T5_T6_T7_T9_mT8_P12ihipStream_tbDpT10_ENKUlT_T0_E_clISt17integral_constantIbLb0EES1A_EEDaS15_S16_EUlS15_E_NS1_11comp_targetILNS1_3genE3ELNS1_11target_archE908ELNS1_3gpuE7ELNS1_3repE0EEENS1_30default_config_static_selectorELNS0_4arch9wavefront6targetE1EEEvT1_.uses_flat_scratch, 0
	.set _ZN7rocprim17ROCPRIM_400000_NS6detail17trampoline_kernelINS0_14default_configENS1_25partition_config_selectorILNS1_17partition_subalgoE9EllbEEZZNS1_14partition_implILS5_9ELb0ES3_jPlS8_PNS0_10empty_typeENS0_5tupleIJS8_S9_EEENSB_IJS8_SA_EEENS0_18inequality_wrapperIZN2at6native12_GLOBAL__N_124unique_dim_cuda_templateIhEESt5tupleIJNSF_6TensorESK_SK_EERKSK_lbbbEUlllE0_EEPmJS9_EEE10hipError_tPvRmT3_T4_T5_T6_T7_T9_mT8_P12ihipStream_tbDpT10_ENKUlT_T0_E_clISt17integral_constantIbLb0EES1A_EEDaS15_S16_EUlS15_E_NS1_11comp_targetILNS1_3genE3ELNS1_11target_archE908ELNS1_3gpuE7ELNS1_3repE0EEENS1_30default_config_static_selectorELNS0_4arch9wavefront6targetE1EEEvT1_.has_dyn_sized_stack, 0
	.set _ZN7rocprim17ROCPRIM_400000_NS6detail17trampoline_kernelINS0_14default_configENS1_25partition_config_selectorILNS1_17partition_subalgoE9EllbEEZZNS1_14partition_implILS5_9ELb0ES3_jPlS8_PNS0_10empty_typeENS0_5tupleIJS8_S9_EEENSB_IJS8_SA_EEENS0_18inequality_wrapperIZN2at6native12_GLOBAL__N_124unique_dim_cuda_templateIhEESt5tupleIJNSF_6TensorESK_SK_EERKSK_lbbbEUlllE0_EEPmJS9_EEE10hipError_tPvRmT3_T4_T5_T6_T7_T9_mT8_P12ihipStream_tbDpT10_ENKUlT_T0_E_clISt17integral_constantIbLb0EES1A_EEDaS15_S16_EUlS15_E_NS1_11comp_targetILNS1_3genE3ELNS1_11target_archE908ELNS1_3gpuE7ELNS1_3repE0EEENS1_30default_config_static_selectorELNS0_4arch9wavefront6targetE1EEEvT1_.has_recursion, 0
	.set _ZN7rocprim17ROCPRIM_400000_NS6detail17trampoline_kernelINS0_14default_configENS1_25partition_config_selectorILNS1_17partition_subalgoE9EllbEEZZNS1_14partition_implILS5_9ELb0ES3_jPlS8_PNS0_10empty_typeENS0_5tupleIJS8_S9_EEENSB_IJS8_SA_EEENS0_18inequality_wrapperIZN2at6native12_GLOBAL__N_124unique_dim_cuda_templateIhEESt5tupleIJNSF_6TensorESK_SK_EERKSK_lbbbEUlllE0_EEPmJS9_EEE10hipError_tPvRmT3_T4_T5_T6_T7_T9_mT8_P12ihipStream_tbDpT10_ENKUlT_T0_E_clISt17integral_constantIbLb0EES1A_EEDaS15_S16_EUlS15_E_NS1_11comp_targetILNS1_3genE3ELNS1_11target_archE908ELNS1_3gpuE7ELNS1_3repE0EEENS1_30default_config_static_selectorELNS0_4arch9wavefront6targetE1EEEvT1_.has_indirect_call, 0
	.section	.AMDGPU.csdata,"",@progbits
; Kernel info:
; codeLenInByte = 0
; TotalNumSgprs: 6
; NumVgprs: 0
; NumAgprs: 0
; TotalNumVgprs: 0
; ScratchSize: 0
; MemoryBound: 0
; FloatMode: 240
; IeeeMode: 1
; LDSByteSize: 0 bytes/workgroup (compile time only)
; SGPRBlocks: 0
; VGPRBlocks: 0
; NumSGPRsForWavesPerEU: 6
; NumVGPRsForWavesPerEU: 1
; AccumOffset: 4
; Occupancy: 8
; WaveLimiterHint : 0
; COMPUTE_PGM_RSRC2:SCRATCH_EN: 0
; COMPUTE_PGM_RSRC2:USER_SGPR: 2
; COMPUTE_PGM_RSRC2:TRAP_HANDLER: 0
; COMPUTE_PGM_RSRC2:TGID_X_EN: 1
; COMPUTE_PGM_RSRC2:TGID_Y_EN: 0
; COMPUTE_PGM_RSRC2:TGID_Z_EN: 0
; COMPUTE_PGM_RSRC2:TIDIG_COMP_CNT: 0
; COMPUTE_PGM_RSRC3_GFX90A:ACCUM_OFFSET: 0
; COMPUTE_PGM_RSRC3_GFX90A:TG_SPLIT: 0
	.section	.text._ZN7rocprim17ROCPRIM_400000_NS6detail17trampoline_kernelINS0_14default_configENS1_25partition_config_selectorILNS1_17partition_subalgoE9EllbEEZZNS1_14partition_implILS5_9ELb0ES3_jPlS8_PNS0_10empty_typeENS0_5tupleIJS8_S9_EEENSB_IJS8_SA_EEENS0_18inequality_wrapperIZN2at6native12_GLOBAL__N_124unique_dim_cuda_templateIhEESt5tupleIJNSF_6TensorESK_SK_EERKSK_lbbbEUlllE0_EEPmJS9_EEE10hipError_tPvRmT3_T4_T5_T6_T7_T9_mT8_P12ihipStream_tbDpT10_ENKUlT_T0_E_clISt17integral_constantIbLb0EES1A_EEDaS15_S16_EUlS15_E_NS1_11comp_targetILNS1_3genE2ELNS1_11target_archE906ELNS1_3gpuE6ELNS1_3repE0EEENS1_30default_config_static_selectorELNS0_4arch9wavefront6targetE1EEEvT1_,"axG",@progbits,_ZN7rocprim17ROCPRIM_400000_NS6detail17trampoline_kernelINS0_14default_configENS1_25partition_config_selectorILNS1_17partition_subalgoE9EllbEEZZNS1_14partition_implILS5_9ELb0ES3_jPlS8_PNS0_10empty_typeENS0_5tupleIJS8_S9_EEENSB_IJS8_SA_EEENS0_18inequality_wrapperIZN2at6native12_GLOBAL__N_124unique_dim_cuda_templateIhEESt5tupleIJNSF_6TensorESK_SK_EERKSK_lbbbEUlllE0_EEPmJS9_EEE10hipError_tPvRmT3_T4_T5_T6_T7_T9_mT8_P12ihipStream_tbDpT10_ENKUlT_T0_E_clISt17integral_constantIbLb0EES1A_EEDaS15_S16_EUlS15_E_NS1_11comp_targetILNS1_3genE2ELNS1_11target_archE906ELNS1_3gpuE6ELNS1_3repE0EEENS1_30default_config_static_selectorELNS0_4arch9wavefront6targetE1EEEvT1_,comdat
	.globl	_ZN7rocprim17ROCPRIM_400000_NS6detail17trampoline_kernelINS0_14default_configENS1_25partition_config_selectorILNS1_17partition_subalgoE9EllbEEZZNS1_14partition_implILS5_9ELb0ES3_jPlS8_PNS0_10empty_typeENS0_5tupleIJS8_S9_EEENSB_IJS8_SA_EEENS0_18inequality_wrapperIZN2at6native12_GLOBAL__N_124unique_dim_cuda_templateIhEESt5tupleIJNSF_6TensorESK_SK_EERKSK_lbbbEUlllE0_EEPmJS9_EEE10hipError_tPvRmT3_T4_T5_T6_T7_T9_mT8_P12ihipStream_tbDpT10_ENKUlT_T0_E_clISt17integral_constantIbLb0EES1A_EEDaS15_S16_EUlS15_E_NS1_11comp_targetILNS1_3genE2ELNS1_11target_archE906ELNS1_3gpuE6ELNS1_3repE0EEENS1_30default_config_static_selectorELNS0_4arch9wavefront6targetE1EEEvT1_ ; -- Begin function _ZN7rocprim17ROCPRIM_400000_NS6detail17trampoline_kernelINS0_14default_configENS1_25partition_config_selectorILNS1_17partition_subalgoE9EllbEEZZNS1_14partition_implILS5_9ELb0ES3_jPlS8_PNS0_10empty_typeENS0_5tupleIJS8_S9_EEENSB_IJS8_SA_EEENS0_18inequality_wrapperIZN2at6native12_GLOBAL__N_124unique_dim_cuda_templateIhEESt5tupleIJNSF_6TensorESK_SK_EERKSK_lbbbEUlllE0_EEPmJS9_EEE10hipError_tPvRmT3_T4_T5_T6_T7_T9_mT8_P12ihipStream_tbDpT10_ENKUlT_T0_E_clISt17integral_constantIbLb0EES1A_EEDaS15_S16_EUlS15_E_NS1_11comp_targetILNS1_3genE2ELNS1_11target_archE906ELNS1_3gpuE6ELNS1_3repE0EEENS1_30default_config_static_selectorELNS0_4arch9wavefront6targetE1EEEvT1_
	.p2align	8
	.type	_ZN7rocprim17ROCPRIM_400000_NS6detail17trampoline_kernelINS0_14default_configENS1_25partition_config_selectorILNS1_17partition_subalgoE9EllbEEZZNS1_14partition_implILS5_9ELb0ES3_jPlS8_PNS0_10empty_typeENS0_5tupleIJS8_S9_EEENSB_IJS8_SA_EEENS0_18inequality_wrapperIZN2at6native12_GLOBAL__N_124unique_dim_cuda_templateIhEESt5tupleIJNSF_6TensorESK_SK_EERKSK_lbbbEUlllE0_EEPmJS9_EEE10hipError_tPvRmT3_T4_T5_T6_T7_T9_mT8_P12ihipStream_tbDpT10_ENKUlT_T0_E_clISt17integral_constantIbLb0EES1A_EEDaS15_S16_EUlS15_E_NS1_11comp_targetILNS1_3genE2ELNS1_11target_archE906ELNS1_3gpuE6ELNS1_3repE0EEENS1_30default_config_static_selectorELNS0_4arch9wavefront6targetE1EEEvT1_,@function
_ZN7rocprim17ROCPRIM_400000_NS6detail17trampoline_kernelINS0_14default_configENS1_25partition_config_selectorILNS1_17partition_subalgoE9EllbEEZZNS1_14partition_implILS5_9ELb0ES3_jPlS8_PNS0_10empty_typeENS0_5tupleIJS8_S9_EEENSB_IJS8_SA_EEENS0_18inequality_wrapperIZN2at6native12_GLOBAL__N_124unique_dim_cuda_templateIhEESt5tupleIJNSF_6TensorESK_SK_EERKSK_lbbbEUlllE0_EEPmJS9_EEE10hipError_tPvRmT3_T4_T5_T6_T7_T9_mT8_P12ihipStream_tbDpT10_ENKUlT_T0_E_clISt17integral_constantIbLb0EES1A_EEDaS15_S16_EUlS15_E_NS1_11comp_targetILNS1_3genE2ELNS1_11target_archE906ELNS1_3gpuE6ELNS1_3repE0EEENS1_30default_config_static_selectorELNS0_4arch9wavefront6targetE1EEEvT1_: ; @_ZN7rocprim17ROCPRIM_400000_NS6detail17trampoline_kernelINS0_14default_configENS1_25partition_config_selectorILNS1_17partition_subalgoE9EllbEEZZNS1_14partition_implILS5_9ELb0ES3_jPlS8_PNS0_10empty_typeENS0_5tupleIJS8_S9_EEENSB_IJS8_SA_EEENS0_18inequality_wrapperIZN2at6native12_GLOBAL__N_124unique_dim_cuda_templateIhEESt5tupleIJNSF_6TensorESK_SK_EERKSK_lbbbEUlllE0_EEPmJS9_EEE10hipError_tPvRmT3_T4_T5_T6_T7_T9_mT8_P12ihipStream_tbDpT10_ENKUlT_T0_E_clISt17integral_constantIbLb0EES1A_EEDaS15_S16_EUlS15_E_NS1_11comp_targetILNS1_3genE2ELNS1_11target_archE906ELNS1_3gpuE6ELNS1_3repE0EEENS1_30default_config_static_selectorELNS0_4arch9wavefront6targetE1EEEvT1_
; %bb.0:
	.section	.rodata,"a",@progbits
	.p2align	6, 0x0
	.amdhsa_kernel _ZN7rocprim17ROCPRIM_400000_NS6detail17trampoline_kernelINS0_14default_configENS1_25partition_config_selectorILNS1_17partition_subalgoE9EllbEEZZNS1_14partition_implILS5_9ELb0ES3_jPlS8_PNS0_10empty_typeENS0_5tupleIJS8_S9_EEENSB_IJS8_SA_EEENS0_18inequality_wrapperIZN2at6native12_GLOBAL__N_124unique_dim_cuda_templateIhEESt5tupleIJNSF_6TensorESK_SK_EERKSK_lbbbEUlllE0_EEPmJS9_EEE10hipError_tPvRmT3_T4_T5_T6_T7_T9_mT8_P12ihipStream_tbDpT10_ENKUlT_T0_E_clISt17integral_constantIbLb0EES1A_EEDaS15_S16_EUlS15_E_NS1_11comp_targetILNS1_3genE2ELNS1_11target_archE906ELNS1_3gpuE6ELNS1_3repE0EEENS1_30default_config_static_selectorELNS0_4arch9wavefront6targetE1EEEvT1_
		.amdhsa_group_segment_fixed_size 0
		.amdhsa_private_segment_fixed_size 0
		.amdhsa_kernarg_size 120
		.amdhsa_user_sgpr_count 2
		.amdhsa_user_sgpr_dispatch_ptr 0
		.amdhsa_user_sgpr_queue_ptr 0
		.amdhsa_user_sgpr_kernarg_segment_ptr 1
		.amdhsa_user_sgpr_dispatch_id 0
		.amdhsa_user_sgpr_kernarg_preload_length 0
		.amdhsa_user_sgpr_kernarg_preload_offset 0
		.amdhsa_user_sgpr_private_segment_size 0
		.amdhsa_uses_dynamic_stack 0
		.amdhsa_enable_private_segment 0
		.amdhsa_system_sgpr_workgroup_id_x 1
		.amdhsa_system_sgpr_workgroup_id_y 0
		.amdhsa_system_sgpr_workgroup_id_z 0
		.amdhsa_system_sgpr_workgroup_info 0
		.amdhsa_system_vgpr_workitem_id 0
		.amdhsa_next_free_vgpr 1
		.amdhsa_next_free_sgpr 0
		.amdhsa_accum_offset 4
		.amdhsa_reserve_vcc 0
		.amdhsa_float_round_mode_32 0
		.amdhsa_float_round_mode_16_64 0
		.amdhsa_float_denorm_mode_32 3
		.amdhsa_float_denorm_mode_16_64 3
		.amdhsa_dx10_clamp 1
		.amdhsa_ieee_mode 1
		.amdhsa_fp16_overflow 0
		.amdhsa_tg_split 0
		.amdhsa_exception_fp_ieee_invalid_op 0
		.amdhsa_exception_fp_denorm_src 0
		.amdhsa_exception_fp_ieee_div_zero 0
		.amdhsa_exception_fp_ieee_overflow 0
		.amdhsa_exception_fp_ieee_underflow 0
		.amdhsa_exception_fp_ieee_inexact 0
		.amdhsa_exception_int_div_zero 0
	.end_amdhsa_kernel
	.section	.text._ZN7rocprim17ROCPRIM_400000_NS6detail17trampoline_kernelINS0_14default_configENS1_25partition_config_selectorILNS1_17partition_subalgoE9EllbEEZZNS1_14partition_implILS5_9ELb0ES3_jPlS8_PNS0_10empty_typeENS0_5tupleIJS8_S9_EEENSB_IJS8_SA_EEENS0_18inequality_wrapperIZN2at6native12_GLOBAL__N_124unique_dim_cuda_templateIhEESt5tupleIJNSF_6TensorESK_SK_EERKSK_lbbbEUlllE0_EEPmJS9_EEE10hipError_tPvRmT3_T4_T5_T6_T7_T9_mT8_P12ihipStream_tbDpT10_ENKUlT_T0_E_clISt17integral_constantIbLb0EES1A_EEDaS15_S16_EUlS15_E_NS1_11comp_targetILNS1_3genE2ELNS1_11target_archE906ELNS1_3gpuE6ELNS1_3repE0EEENS1_30default_config_static_selectorELNS0_4arch9wavefront6targetE1EEEvT1_,"axG",@progbits,_ZN7rocprim17ROCPRIM_400000_NS6detail17trampoline_kernelINS0_14default_configENS1_25partition_config_selectorILNS1_17partition_subalgoE9EllbEEZZNS1_14partition_implILS5_9ELb0ES3_jPlS8_PNS0_10empty_typeENS0_5tupleIJS8_S9_EEENSB_IJS8_SA_EEENS0_18inequality_wrapperIZN2at6native12_GLOBAL__N_124unique_dim_cuda_templateIhEESt5tupleIJNSF_6TensorESK_SK_EERKSK_lbbbEUlllE0_EEPmJS9_EEE10hipError_tPvRmT3_T4_T5_T6_T7_T9_mT8_P12ihipStream_tbDpT10_ENKUlT_T0_E_clISt17integral_constantIbLb0EES1A_EEDaS15_S16_EUlS15_E_NS1_11comp_targetILNS1_3genE2ELNS1_11target_archE906ELNS1_3gpuE6ELNS1_3repE0EEENS1_30default_config_static_selectorELNS0_4arch9wavefront6targetE1EEEvT1_,comdat
.Lfunc_end208:
	.size	_ZN7rocprim17ROCPRIM_400000_NS6detail17trampoline_kernelINS0_14default_configENS1_25partition_config_selectorILNS1_17partition_subalgoE9EllbEEZZNS1_14partition_implILS5_9ELb0ES3_jPlS8_PNS0_10empty_typeENS0_5tupleIJS8_S9_EEENSB_IJS8_SA_EEENS0_18inequality_wrapperIZN2at6native12_GLOBAL__N_124unique_dim_cuda_templateIhEESt5tupleIJNSF_6TensorESK_SK_EERKSK_lbbbEUlllE0_EEPmJS9_EEE10hipError_tPvRmT3_T4_T5_T6_T7_T9_mT8_P12ihipStream_tbDpT10_ENKUlT_T0_E_clISt17integral_constantIbLb0EES1A_EEDaS15_S16_EUlS15_E_NS1_11comp_targetILNS1_3genE2ELNS1_11target_archE906ELNS1_3gpuE6ELNS1_3repE0EEENS1_30default_config_static_selectorELNS0_4arch9wavefront6targetE1EEEvT1_, .Lfunc_end208-_ZN7rocprim17ROCPRIM_400000_NS6detail17trampoline_kernelINS0_14default_configENS1_25partition_config_selectorILNS1_17partition_subalgoE9EllbEEZZNS1_14partition_implILS5_9ELb0ES3_jPlS8_PNS0_10empty_typeENS0_5tupleIJS8_S9_EEENSB_IJS8_SA_EEENS0_18inequality_wrapperIZN2at6native12_GLOBAL__N_124unique_dim_cuda_templateIhEESt5tupleIJNSF_6TensorESK_SK_EERKSK_lbbbEUlllE0_EEPmJS9_EEE10hipError_tPvRmT3_T4_T5_T6_T7_T9_mT8_P12ihipStream_tbDpT10_ENKUlT_T0_E_clISt17integral_constantIbLb0EES1A_EEDaS15_S16_EUlS15_E_NS1_11comp_targetILNS1_3genE2ELNS1_11target_archE906ELNS1_3gpuE6ELNS1_3repE0EEENS1_30default_config_static_selectorELNS0_4arch9wavefront6targetE1EEEvT1_
                                        ; -- End function
	.set _ZN7rocprim17ROCPRIM_400000_NS6detail17trampoline_kernelINS0_14default_configENS1_25partition_config_selectorILNS1_17partition_subalgoE9EllbEEZZNS1_14partition_implILS5_9ELb0ES3_jPlS8_PNS0_10empty_typeENS0_5tupleIJS8_S9_EEENSB_IJS8_SA_EEENS0_18inequality_wrapperIZN2at6native12_GLOBAL__N_124unique_dim_cuda_templateIhEESt5tupleIJNSF_6TensorESK_SK_EERKSK_lbbbEUlllE0_EEPmJS9_EEE10hipError_tPvRmT3_T4_T5_T6_T7_T9_mT8_P12ihipStream_tbDpT10_ENKUlT_T0_E_clISt17integral_constantIbLb0EES1A_EEDaS15_S16_EUlS15_E_NS1_11comp_targetILNS1_3genE2ELNS1_11target_archE906ELNS1_3gpuE6ELNS1_3repE0EEENS1_30default_config_static_selectorELNS0_4arch9wavefront6targetE1EEEvT1_.num_vgpr, 0
	.set _ZN7rocprim17ROCPRIM_400000_NS6detail17trampoline_kernelINS0_14default_configENS1_25partition_config_selectorILNS1_17partition_subalgoE9EllbEEZZNS1_14partition_implILS5_9ELb0ES3_jPlS8_PNS0_10empty_typeENS0_5tupleIJS8_S9_EEENSB_IJS8_SA_EEENS0_18inequality_wrapperIZN2at6native12_GLOBAL__N_124unique_dim_cuda_templateIhEESt5tupleIJNSF_6TensorESK_SK_EERKSK_lbbbEUlllE0_EEPmJS9_EEE10hipError_tPvRmT3_T4_T5_T6_T7_T9_mT8_P12ihipStream_tbDpT10_ENKUlT_T0_E_clISt17integral_constantIbLb0EES1A_EEDaS15_S16_EUlS15_E_NS1_11comp_targetILNS1_3genE2ELNS1_11target_archE906ELNS1_3gpuE6ELNS1_3repE0EEENS1_30default_config_static_selectorELNS0_4arch9wavefront6targetE1EEEvT1_.num_agpr, 0
	.set _ZN7rocprim17ROCPRIM_400000_NS6detail17trampoline_kernelINS0_14default_configENS1_25partition_config_selectorILNS1_17partition_subalgoE9EllbEEZZNS1_14partition_implILS5_9ELb0ES3_jPlS8_PNS0_10empty_typeENS0_5tupleIJS8_S9_EEENSB_IJS8_SA_EEENS0_18inequality_wrapperIZN2at6native12_GLOBAL__N_124unique_dim_cuda_templateIhEESt5tupleIJNSF_6TensorESK_SK_EERKSK_lbbbEUlllE0_EEPmJS9_EEE10hipError_tPvRmT3_T4_T5_T6_T7_T9_mT8_P12ihipStream_tbDpT10_ENKUlT_T0_E_clISt17integral_constantIbLb0EES1A_EEDaS15_S16_EUlS15_E_NS1_11comp_targetILNS1_3genE2ELNS1_11target_archE906ELNS1_3gpuE6ELNS1_3repE0EEENS1_30default_config_static_selectorELNS0_4arch9wavefront6targetE1EEEvT1_.numbered_sgpr, 0
	.set _ZN7rocprim17ROCPRIM_400000_NS6detail17trampoline_kernelINS0_14default_configENS1_25partition_config_selectorILNS1_17partition_subalgoE9EllbEEZZNS1_14partition_implILS5_9ELb0ES3_jPlS8_PNS0_10empty_typeENS0_5tupleIJS8_S9_EEENSB_IJS8_SA_EEENS0_18inequality_wrapperIZN2at6native12_GLOBAL__N_124unique_dim_cuda_templateIhEESt5tupleIJNSF_6TensorESK_SK_EERKSK_lbbbEUlllE0_EEPmJS9_EEE10hipError_tPvRmT3_T4_T5_T6_T7_T9_mT8_P12ihipStream_tbDpT10_ENKUlT_T0_E_clISt17integral_constantIbLb0EES1A_EEDaS15_S16_EUlS15_E_NS1_11comp_targetILNS1_3genE2ELNS1_11target_archE906ELNS1_3gpuE6ELNS1_3repE0EEENS1_30default_config_static_selectorELNS0_4arch9wavefront6targetE1EEEvT1_.num_named_barrier, 0
	.set _ZN7rocprim17ROCPRIM_400000_NS6detail17trampoline_kernelINS0_14default_configENS1_25partition_config_selectorILNS1_17partition_subalgoE9EllbEEZZNS1_14partition_implILS5_9ELb0ES3_jPlS8_PNS0_10empty_typeENS0_5tupleIJS8_S9_EEENSB_IJS8_SA_EEENS0_18inequality_wrapperIZN2at6native12_GLOBAL__N_124unique_dim_cuda_templateIhEESt5tupleIJNSF_6TensorESK_SK_EERKSK_lbbbEUlllE0_EEPmJS9_EEE10hipError_tPvRmT3_T4_T5_T6_T7_T9_mT8_P12ihipStream_tbDpT10_ENKUlT_T0_E_clISt17integral_constantIbLb0EES1A_EEDaS15_S16_EUlS15_E_NS1_11comp_targetILNS1_3genE2ELNS1_11target_archE906ELNS1_3gpuE6ELNS1_3repE0EEENS1_30default_config_static_selectorELNS0_4arch9wavefront6targetE1EEEvT1_.private_seg_size, 0
	.set _ZN7rocprim17ROCPRIM_400000_NS6detail17trampoline_kernelINS0_14default_configENS1_25partition_config_selectorILNS1_17partition_subalgoE9EllbEEZZNS1_14partition_implILS5_9ELb0ES3_jPlS8_PNS0_10empty_typeENS0_5tupleIJS8_S9_EEENSB_IJS8_SA_EEENS0_18inequality_wrapperIZN2at6native12_GLOBAL__N_124unique_dim_cuda_templateIhEESt5tupleIJNSF_6TensorESK_SK_EERKSK_lbbbEUlllE0_EEPmJS9_EEE10hipError_tPvRmT3_T4_T5_T6_T7_T9_mT8_P12ihipStream_tbDpT10_ENKUlT_T0_E_clISt17integral_constantIbLb0EES1A_EEDaS15_S16_EUlS15_E_NS1_11comp_targetILNS1_3genE2ELNS1_11target_archE906ELNS1_3gpuE6ELNS1_3repE0EEENS1_30default_config_static_selectorELNS0_4arch9wavefront6targetE1EEEvT1_.uses_vcc, 0
	.set _ZN7rocprim17ROCPRIM_400000_NS6detail17trampoline_kernelINS0_14default_configENS1_25partition_config_selectorILNS1_17partition_subalgoE9EllbEEZZNS1_14partition_implILS5_9ELb0ES3_jPlS8_PNS0_10empty_typeENS0_5tupleIJS8_S9_EEENSB_IJS8_SA_EEENS0_18inequality_wrapperIZN2at6native12_GLOBAL__N_124unique_dim_cuda_templateIhEESt5tupleIJNSF_6TensorESK_SK_EERKSK_lbbbEUlllE0_EEPmJS9_EEE10hipError_tPvRmT3_T4_T5_T6_T7_T9_mT8_P12ihipStream_tbDpT10_ENKUlT_T0_E_clISt17integral_constantIbLb0EES1A_EEDaS15_S16_EUlS15_E_NS1_11comp_targetILNS1_3genE2ELNS1_11target_archE906ELNS1_3gpuE6ELNS1_3repE0EEENS1_30default_config_static_selectorELNS0_4arch9wavefront6targetE1EEEvT1_.uses_flat_scratch, 0
	.set _ZN7rocprim17ROCPRIM_400000_NS6detail17trampoline_kernelINS0_14default_configENS1_25partition_config_selectorILNS1_17partition_subalgoE9EllbEEZZNS1_14partition_implILS5_9ELb0ES3_jPlS8_PNS0_10empty_typeENS0_5tupleIJS8_S9_EEENSB_IJS8_SA_EEENS0_18inequality_wrapperIZN2at6native12_GLOBAL__N_124unique_dim_cuda_templateIhEESt5tupleIJNSF_6TensorESK_SK_EERKSK_lbbbEUlllE0_EEPmJS9_EEE10hipError_tPvRmT3_T4_T5_T6_T7_T9_mT8_P12ihipStream_tbDpT10_ENKUlT_T0_E_clISt17integral_constantIbLb0EES1A_EEDaS15_S16_EUlS15_E_NS1_11comp_targetILNS1_3genE2ELNS1_11target_archE906ELNS1_3gpuE6ELNS1_3repE0EEENS1_30default_config_static_selectorELNS0_4arch9wavefront6targetE1EEEvT1_.has_dyn_sized_stack, 0
	.set _ZN7rocprim17ROCPRIM_400000_NS6detail17trampoline_kernelINS0_14default_configENS1_25partition_config_selectorILNS1_17partition_subalgoE9EllbEEZZNS1_14partition_implILS5_9ELb0ES3_jPlS8_PNS0_10empty_typeENS0_5tupleIJS8_S9_EEENSB_IJS8_SA_EEENS0_18inequality_wrapperIZN2at6native12_GLOBAL__N_124unique_dim_cuda_templateIhEESt5tupleIJNSF_6TensorESK_SK_EERKSK_lbbbEUlllE0_EEPmJS9_EEE10hipError_tPvRmT3_T4_T5_T6_T7_T9_mT8_P12ihipStream_tbDpT10_ENKUlT_T0_E_clISt17integral_constantIbLb0EES1A_EEDaS15_S16_EUlS15_E_NS1_11comp_targetILNS1_3genE2ELNS1_11target_archE906ELNS1_3gpuE6ELNS1_3repE0EEENS1_30default_config_static_selectorELNS0_4arch9wavefront6targetE1EEEvT1_.has_recursion, 0
	.set _ZN7rocprim17ROCPRIM_400000_NS6detail17trampoline_kernelINS0_14default_configENS1_25partition_config_selectorILNS1_17partition_subalgoE9EllbEEZZNS1_14partition_implILS5_9ELb0ES3_jPlS8_PNS0_10empty_typeENS0_5tupleIJS8_S9_EEENSB_IJS8_SA_EEENS0_18inequality_wrapperIZN2at6native12_GLOBAL__N_124unique_dim_cuda_templateIhEESt5tupleIJNSF_6TensorESK_SK_EERKSK_lbbbEUlllE0_EEPmJS9_EEE10hipError_tPvRmT3_T4_T5_T6_T7_T9_mT8_P12ihipStream_tbDpT10_ENKUlT_T0_E_clISt17integral_constantIbLb0EES1A_EEDaS15_S16_EUlS15_E_NS1_11comp_targetILNS1_3genE2ELNS1_11target_archE906ELNS1_3gpuE6ELNS1_3repE0EEENS1_30default_config_static_selectorELNS0_4arch9wavefront6targetE1EEEvT1_.has_indirect_call, 0
	.section	.AMDGPU.csdata,"",@progbits
; Kernel info:
; codeLenInByte = 0
; TotalNumSgprs: 6
; NumVgprs: 0
; NumAgprs: 0
; TotalNumVgprs: 0
; ScratchSize: 0
; MemoryBound: 0
; FloatMode: 240
; IeeeMode: 1
; LDSByteSize: 0 bytes/workgroup (compile time only)
; SGPRBlocks: 0
; VGPRBlocks: 0
; NumSGPRsForWavesPerEU: 6
; NumVGPRsForWavesPerEU: 1
; AccumOffset: 4
; Occupancy: 8
; WaveLimiterHint : 0
; COMPUTE_PGM_RSRC2:SCRATCH_EN: 0
; COMPUTE_PGM_RSRC2:USER_SGPR: 2
; COMPUTE_PGM_RSRC2:TRAP_HANDLER: 0
; COMPUTE_PGM_RSRC2:TGID_X_EN: 1
; COMPUTE_PGM_RSRC2:TGID_Y_EN: 0
; COMPUTE_PGM_RSRC2:TGID_Z_EN: 0
; COMPUTE_PGM_RSRC2:TIDIG_COMP_CNT: 0
; COMPUTE_PGM_RSRC3_GFX90A:ACCUM_OFFSET: 0
; COMPUTE_PGM_RSRC3_GFX90A:TG_SPLIT: 0
	.section	.text._ZN7rocprim17ROCPRIM_400000_NS6detail17trampoline_kernelINS0_14default_configENS1_25partition_config_selectorILNS1_17partition_subalgoE9EllbEEZZNS1_14partition_implILS5_9ELb0ES3_jPlS8_PNS0_10empty_typeENS0_5tupleIJS8_S9_EEENSB_IJS8_SA_EEENS0_18inequality_wrapperIZN2at6native12_GLOBAL__N_124unique_dim_cuda_templateIhEESt5tupleIJNSF_6TensorESK_SK_EERKSK_lbbbEUlllE0_EEPmJS9_EEE10hipError_tPvRmT3_T4_T5_T6_T7_T9_mT8_P12ihipStream_tbDpT10_ENKUlT_T0_E_clISt17integral_constantIbLb0EES1A_EEDaS15_S16_EUlS15_E_NS1_11comp_targetILNS1_3genE10ELNS1_11target_archE1200ELNS1_3gpuE4ELNS1_3repE0EEENS1_30default_config_static_selectorELNS0_4arch9wavefront6targetE1EEEvT1_,"axG",@progbits,_ZN7rocprim17ROCPRIM_400000_NS6detail17trampoline_kernelINS0_14default_configENS1_25partition_config_selectorILNS1_17partition_subalgoE9EllbEEZZNS1_14partition_implILS5_9ELb0ES3_jPlS8_PNS0_10empty_typeENS0_5tupleIJS8_S9_EEENSB_IJS8_SA_EEENS0_18inequality_wrapperIZN2at6native12_GLOBAL__N_124unique_dim_cuda_templateIhEESt5tupleIJNSF_6TensorESK_SK_EERKSK_lbbbEUlllE0_EEPmJS9_EEE10hipError_tPvRmT3_T4_T5_T6_T7_T9_mT8_P12ihipStream_tbDpT10_ENKUlT_T0_E_clISt17integral_constantIbLb0EES1A_EEDaS15_S16_EUlS15_E_NS1_11comp_targetILNS1_3genE10ELNS1_11target_archE1200ELNS1_3gpuE4ELNS1_3repE0EEENS1_30default_config_static_selectorELNS0_4arch9wavefront6targetE1EEEvT1_,comdat
	.globl	_ZN7rocprim17ROCPRIM_400000_NS6detail17trampoline_kernelINS0_14default_configENS1_25partition_config_selectorILNS1_17partition_subalgoE9EllbEEZZNS1_14partition_implILS5_9ELb0ES3_jPlS8_PNS0_10empty_typeENS0_5tupleIJS8_S9_EEENSB_IJS8_SA_EEENS0_18inequality_wrapperIZN2at6native12_GLOBAL__N_124unique_dim_cuda_templateIhEESt5tupleIJNSF_6TensorESK_SK_EERKSK_lbbbEUlllE0_EEPmJS9_EEE10hipError_tPvRmT3_T4_T5_T6_T7_T9_mT8_P12ihipStream_tbDpT10_ENKUlT_T0_E_clISt17integral_constantIbLb0EES1A_EEDaS15_S16_EUlS15_E_NS1_11comp_targetILNS1_3genE10ELNS1_11target_archE1200ELNS1_3gpuE4ELNS1_3repE0EEENS1_30default_config_static_selectorELNS0_4arch9wavefront6targetE1EEEvT1_ ; -- Begin function _ZN7rocprim17ROCPRIM_400000_NS6detail17trampoline_kernelINS0_14default_configENS1_25partition_config_selectorILNS1_17partition_subalgoE9EllbEEZZNS1_14partition_implILS5_9ELb0ES3_jPlS8_PNS0_10empty_typeENS0_5tupleIJS8_S9_EEENSB_IJS8_SA_EEENS0_18inequality_wrapperIZN2at6native12_GLOBAL__N_124unique_dim_cuda_templateIhEESt5tupleIJNSF_6TensorESK_SK_EERKSK_lbbbEUlllE0_EEPmJS9_EEE10hipError_tPvRmT3_T4_T5_T6_T7_T9_mT8_P12ihipStream_tbDpT10_ENKUlT_T0_E_clISt17integral_constantIbLb0EES1A_EEDaS15_S16_EUlS15_E_NS1_11comp_targetILNS1_3genE10ELNS1_11target_archE1200ELNS1_3gpuE4ELNS1_3repE0EEENS1_30default_config_static_selectorELNS0_4arch9wavefront6targetE1EEEvT1_
	.p2align	8
	.type	_ZN7rocprim17ROCPRIM_400000_NS6detail17trampoline_kernelINS0_14default_configENS1_25partition_config_selectorILNS1_17partition_subalgoE9EllbEEZZNS1_14partition_implILS5_9ELb0ES3_jPlS8_PNS0_10empty_typeENS0_5tupleIJS8_S9_EEENSB_IJS8_SA_EEENS0_18inequality_wrapperIZN2at6native12_GLOBAL__N_124unique_dim_cuda_templateIhEESt5tupleIJNSF_6TensorESK_SK_EERKSK_lbbbEUlllE0_EEPmJS9_EEE10hipError_tPvRmT3_T4_T5_T6_T7_T9_mT8_P12ihipStream_tbDpT10_ENKUlT_T0_E_clISt17integral_constantIbLb0EES1A_EEDaS15_S16_EUlS15_E_NS1_11comp_targetILNS1_3genE10ELNS1_11target_archE1200ELNS1_3gpuE4ELNS1_3repE0EEENS1_30default_config_static_selectorELNS0_4arch9wavefront6targetE1EEEvT1_,@function
_ZN7rocprim17ROCPRIM_400000_NS6detail17trampoline_kernelINS0_14default_configENS1_25partition_config_selectorILNS1_17partition_subalgoE9EllbEEZZNS1_14partition_implILS5_9ELb0ES3_jPlS8_PNS0_10empty_typeENS0_5tupleIJS8_S9_EEENSB_IJS8_SA_EEENS0_18inequality_wrapperIZN2at6native12_GLOBAL__N_124unique_dim_cuda_templateIhEESt5tupleIJNSF_6TensorESK_SK_EERKSK_lbbbEUlllE0_EEPmJS9_EEE10hipError_tPvRmT3_T4_T5_T6_T7_T9_mT8_P12ihipStream_tbDpT10_ENKUlT_T0_E_clISt17integral_constantIbLb0EES1A_EEDaS15_S16_EUlS15_E_NS1_11comp_targetILNS1_3genE10ELNS1_11target_archE1200ELNS1_3gpuE4ELNS1_3repE0EEENS1_30default_config_static_selectorELNS0_4arch9wavefront6targetE1EEEvT1_: ; @_ZN7rocprim17ROCPRIM_400000_NS6detail17trampoline_kernelINS0_14default_configENS1_25partition_config_selectorILNS1_17partition_subalgoE9EllbEEZZNS1_14partition_implILS5_9ELb0ES3_jPlS8_PNS0_10empty_typeENS0_5tupleIJS8_S9_EEENSB_IJS8_SA_EEENS0_18inequality_wrapperIZN2at6native12_GLOBAL__N_124unique_dim_cuda_templateIhEESt5tupleIJNSF_6TensorESK_SK_EERKSK_lbbbEUlllE0_EEPmJS9_EEE10hipError_tPvRmT3_T4_T5_T6_T7_T9_mT8_P12ihipStream_tbDpT10_ENKUlT_T0_E_clISt17integral_constantIbLb0EES1A_EEDaS15_S16_EUlS15_E_NS1_11comp_targetILNS1_3genE10ELNS1_11target_archE1200ELNS1_3gpuE4ELNS1_3repE0EEENS1_30default_config_static_selectorELNS0_4arch9wavefront6targetE1EEEvT1_
; %bb.0:
	.section	.rodata,"a",@progbits
	.p2align	6, 0x0
	.amdhsa_kernel _ZN7rocprim17ROCPRIM_400000_NS6detail17trampoline_kernelINS0_14default_configENS1_25partition_config_selectorILNS1_17partition_subalgoE9EllbEEZZNS1_14partition_implILS5_9ELb0ES3_jPlS8_PNS0_10empty_typeENS0_5tupleIJS8_S9_EEENSB_IJS8_SA_EEENS0_18inequality_wrapperIZN2at6native12_GLOBAL__N_124unique_dim_cuda_templateIhEESt5tupleIJNSF_6TensorESK_SK_EERKSK_lbbbEUlllE0_EEPmJS9_EEE10hipError_tPvRmT3_T4_T5_T6_T7_T9_mT8_P12ihipStream_tbDpT10_ENKUlT_T0_E_clISt17integral_constantIbLb0EES1A_EEDaS15_S16_EUlS15_E_NS1_11comp_targetILNS1_3genE10ELNS1_11target_archE1200ELNS1_3gpuE4ELNS1_3repE0EEENS1_30default_config_static_selectorELNS0_4arch9wavefront6targetE1EEEvT1_
		.amdhsa_group_segment_fixed_size 0
		.amdhsa_private_segment_fixed_size 0
		.amdhsa_kernarg_size 120
		.amdhsa_user_sgpr_count 2
		.amdhsa_user_sgpr_dispatch_ptr 0
		.amdhsa_user_sgpr_queue_ptr 0
		.amdhsa_user_sgpr_kernarg_segment_ptr 1
		.amdhsa_user_sgpr_dispatch_id 0
		.amdhsa_user_sgpr_kernarg_preload_length 0
		.amdhsa_user_sgpr_kernarg_preload_offset 0
		.amdhsa_user_sgpr_private_segment_size 0
		.amdhsa_uses_dynamic_stack 0
		.amdhsa_enable_private_segment 0
		.amdhsa_system_sgpr_workgroup_id_x 1
		.amdhsa_system_sgpr_workgroup_id_y 0
		.amdhsa_system_sgpr_workgroup_id_z 0
		.amdhsa_system_sgpr_workgroup_info 0
		.amdhsa_system_vgpr_workitem_id 0
		.amdhsa_next_free_vgpr 1
		.amdhsa_next_free_sgpr 0
		.amdhsa_accum_offset 4
		.amdhsa_reserve_vcc 0
		.amdhsa_float_round_mode_32 0
		.amdhsa_float_round_mode_16_64 0
		.amdhsa_float_denorm_mode_32 3
		.amdhsa_float_denorm_mode_16_64 3
		.amdhsa_dx10_clamp 1
		.amdhsa_ieee_mode 1
		.amdhsa_fp16_overflow 0
		.amdhsa_tg_split 0
		.amdhsa_exception_fp_ieee_invalid_op 0
		.amdhsa_exception_fp_denorm_src 0
		.amdhsa_exception_fp_ieee_div_zero 0
		.amdhsa_exception_fp_ieee_overflow 0
		.amdhsa_exception_fp_ieee_underflow 0
		.amdhsa_exception_fp_ieee_inexact 0
		.amdhsa_exception_int_div_zero 0
	.end_amdhsa_kernel
	.section	.text._ZN7rocprim17ROCPRIM_400000_NS6detail17trampoline_kernelINS0_14default_configENS1_25partition_config_selectorILNS1_17partition_subalgoE9EllbEEZZNS1_14partition_implILS5_9ELb0ES3_jPlS8_PNS0_10empty_typeENS0_5tupleIJS8_S9_EEENSB_IJS8_SA_EEENS0_18inequality_wrapperIZN2at6native12_GLOBAL__N_124unique_dim_cuda_templateIhEESt5tupleIJNSF_6TensorESK_SK_EERKSK_lbbbEUlllE0_EEPmJS9_EEE10hipError_tPvRmT3_T4_T5_T6_T7_T9_mT8_P12ihipStream_tbDpT10_ENKUlT_T0_E_clISt17integral_constantIbLb0EES1A_EEDaS15_S16_EUlS15_E_NS1_11comp_targetILNS1_3genE10ELNS1_11target_archE1200ELNS1_3gpuE4ELNS1_3repE0EEENS1_30default_config_static_selectorELNS0_4arch9wavefront6targetE1EEEvT1_,"axG",@progbits,_ZN7rocprim17ROCPRIM_400000_NS6detail17trampoline_kernelINS0_14default_configENS1_25partition_config_selectorILNS1_17partition_subalgoE9EllbEEZZNS1_14partition_implILS5_9ELb0ES3_jPlS8_PNS0_10empty_typeENS0_5tupleIJS8_S9_EEENSB_IJS8_SA_EEENS0_18inequality_wrapperIZN2at6native12_GLOBAL__N_124unique_dim_cuda_templateIhEESt5tupleIJNSF_6TensorESK_SK_EERKSK_lbbbEUlllE0_EEPmJS9_EEE10hipError_tPvRmT3_T4_T5_T6_T7_T9_mT8_P12ihipStream_tbDpT10_ENKUlT_T0_E_clISt17integral_constantIbLb0EES1A_EEDaS15_S16_EUlS15_E_NS1_11comp_targetILNS1_3genE10ELNS1_11target_archE1200ELNS1_3gpuE4ELNS1_3repE0EEENS1_30default_config_static_selectorELNS0_4arch9wavefront6targetE1EEEvT1_,comdat
.Lfunc_end209:
	.size	_ZN7rocprim17ROCPRIM_400000_NS6detail17trampoline_kernelINS0_14default_configENS1_25partition_config_selectorILNS1_17partition_subalgoE9EllbEEZZNS1_14partition_implILS5_9ELb0ES3_jPlS8_PNS0_10empty_typeENS0_5tupleIJS8_S9_EEENSB_IJS8_SA_EEENS0_18inequality_wrapperIZN2at6native12_GLOBAL__N_124unique_dim_cuda_templateIhEESt5tupleIJNSF_6TensorESK_SK_EERKSK_lbbbEUlllE0_EEPmJS9_EEE10hipError_tPvRmT3_T4_T5_T6_T7_T9_mT8_P12ihipStream_tbDpT10_ENKUlT_T0_E_clISt17integral_constantIbLb0EES1A_EEDaS15_S16_EUlS15_E_NS1_11comp_targetILNS1_3genE10ELNS1_11target_archE1200ELNS1_3gpuE4ELNS1_3repE0EEENS1_30default_config_static_selectorELNS0_4arch9wavefront6targetE1EEEvT1_, .Lfunc_end209-_ZN7rocprim17ROCPRIM_400000_NS6detail17trampoline_kernelINS0_14default_configENS1_25partition_config_selectorILNS1_17partition_subalgoE9EllbEEZZNS1_14partition_implILS5_9ELb0ES3_jPlS8_PNS0_10empty_typeENS0_5tupleIJS8_S9_EEENSB_IJS8_SA_EEENS0_18inequality_wrapperIZN2at6native12_GLOBAL__N_124unique_dim_cuda_templateIhEESt5tupleIJNSF_6TensorESK_SK_EERKSK_lbbbEUlllE0_EEPmJS9_EEE10hipError_tPvRmT3_T4_T5_T6_T7_T9_mT8_P12ihipStream_tbDpT10_ENKUlT_T0_E_clISt17integral_constantIbLb0EES1A_EEDaS15_S16_EUlS15_E_NS1_11comp_targetILNS1_3genE10ELNS1_11target_archE1200ELNS1_3gpuE4ELNS1_3repE0EEENS1_30default_config_static_selectorELNS0_4arch9wavefront6targetE1EEEvT1_
                                        ; -- End function
	.set _ZN7rocprim17ROCPRIM_400000_NS6detail17trampoline_kernelINS0_14default_configENS1_25partition_config_selectorILNS1_17partition_subalgoE9EllbEEZZNS1_14partition_implILS5_9ELb0ES3_jPlS8_PNS0_10empty_typeENS0_5tupleIJS8_S9_EEENSB_IJS8_SA_EEENS0_18inequality_wrapperIZN2at6native12_GLOBAL__N_124unique_dim_cuda_templateIhEESt5tupleIJNSF_6TensorESK_SK_EERKSK_lbbbEUlllE0_EEPmJS9_EEE10hipError_tPvRmT3_T4_T5_T6_T7_T9_mT8_P12ihipStream_tbDpT10_ENKUlT_T0_E_clISt17integral_constantIbLb0EES1A_EEDaS15_S16_EUlS15_E_NS1_11comp_targetILNS1_3genE10ELNS1_11target_archE1200ELNS1_3gpuE4ELNS1_3repE0EEENS1_30default_config_static_selectorELNS0_4arch9wavefront6targetE1EEEvT1_.num_vgpr, 0
	.set _ZN7rocprim17ROCPRIM_400000_NS6detail17trampoline_kernelINS0_14default_configENS1_25partition_config_selectorILNS1_17partition_subalgoE9EllbEEZZNS1_14partition_implILS5_9ELb0ES3_jPlS8_PNS0_10empty_typeENS0_5tupleIJS8_S9_EEENSB_IJS8_SA_EEENS0_18inequality_wrapperIZN2at6native12_GLOBAL__N_124unique_dim_cuda_templateIhEESt5tupleIJNSF_6TensorESK_SK_EERKSK_lbbbEUlllE0_EEPmJS9_EEE10hipError_tPvRmT3_T4_T5_T6_T7_T9_mT8_P12ihipStream_tbDpT10_ENKUlT_T0_E_clISt17integral_constantIbLb0EES1A_EEDaS15_S16_EUlS15_E_NS1_11comp_targetILNS1_3genE10ELNS1_11target_archE1200ELNS1_3gpuE4ELNS1_3repE0EEENS1_30default_config_static_selectorELNS0_4arch9wavefront6targetE1EEEvT1_.num_agpr, 0
	.set _ZN7rocprim17ROCPRIM_400000_NS6detail17trampoline_kernelINS0_14default_configENS1_25partition_config_selectorILNS1_17partition_subalgoE9EllbEEZZNS1_14partition_implILS5_9ELb0ES3_jPlS8_PNS0_10empty_typeENS0_5tupleIJS8_S9_EEENSB_IJS8_SA_EEENS0_18inequality_wrapperIZN2at6native12_GLOBAL__N_124unique_dim_cuda_templateIhEESt5tupleIJNSF_6TensorESK_SK_EERKSK_lbbbEUlllE0_EEPmJS9_EEE10hipError_tPvRmT3_T4_T5_T6_T7_T9_mT8_P12ihipStream_tbDpT10_ENKUlT_T0_E_clISt17integral_constantIbLb0EES1A_EEDaS15_S16_EUlS15_E_NS1_11comp_targetILNS1_3genE10ELNS1_11target_archE1200ELNS1_3gpuE4ELNS1_3repE0EEENS1_30default_config_static_selectorELNS0_4arch9wavefront6targetE1EEEvT1_.numbered_sgpr, 0
	.set _ZN7rocprim17ROCPRIM_400000_NS6detail17trampoline_kernelINS0_14default_configENS1_25partition_config_selectorILNS1_17partition_subalgoE9EllbEEZZNS1_14partition_implILS5_9ELb0ES3_jPlS8_PNS0_10empty_typeENS0_5tupleIJS8_S9_EEENSB_IJS8_SA_EEENS0_18inequality_wrapperIZN2at6native12_GLOBAL__N_124unique_dim_cuda_templateIhEESt5tupleIJNSF_6TensorESK_SK_EERKSK_lbbbEUlllE0_EEPmJS9_EEE10hipError_tPvRmT3_T4_T5_T6_T7_T9_mT8_P12ihipStream_tbDpT10_ENKUlT_T0_E_clISt17integral_constantIbLb0EES1A_EEDaS15_S16_EUlS15_E_NS1_11comp_targetILNS1_3genE10ELNS1_11target_archE1200ELNS1_3gpuE4ELNS1_3repE0EEENS1_30default_config_static_selectorELNS0_4arch9wavefront6targetE1EEEvT1_.num_named_barrier, 0
	.set _ZN7rocprim17ROCPRIM_400000_NS6detail17trampoline_kernelINS0_14default_configENS1_25partition_config_selectorILNS1_17partition_subalgoE9EllbEEZZNS1_14partition_implILS5_9ELb0ES3_jPlS8_PNS0_10empty_typeENS0_5tupleIJS8_S9_EEENSB_IJS8_SA_EEENS0_18inequality_wrapperIZN2at6native12_GLOBAL__N_124unique_dim_cuda_templateIhEESt5tupleIJNSF_6TensorESK_SK_EERKSK_lbbbEUlllE0_EEPmJS9_EEE10hipError_tPvRmT3_T4_T5_T6_T7_T9_mT8_P12ihipStream_tbDpT10_ENKUlT_T0_E_clISt17integral_constantIbLb0EES1A_EEDaS15_S16_EUlS15_E_NS1_11comp_targetILNS1_3genE10ELNS1_11target_archE1200ELNS1_3gpuE4ELNS1_3repE0EEENS1_30default_config_static_selectorELNS0_4arch9wavefront6targetE1EEEvT1_.private_seg_size, 0
	.set _ZN7rocprim17ROCPRIM_400000_NS6detail17trampoline_kernelINS0_14default_configENS1_25partition_config_selectorILNS1_17partition_subalgoE9EllbEEZZNS1_14partition_implILS5_9ELb0ES3_jPlS8_PNS0_10empty_typeENS0_5tupleIJS8_S9_EEENSB_IJS8_SA_EEENS0_18inequality_wrapperIZN2at6native12_GLOBAL__N_124unique_dim_cuda_templateIhEESt5tupleIJNSF_6TensorESK_SK_EERKSK_lbbbEUlllE0_EEPmJS9_EEE10hipError_tPvRmT3_T4_T5_T6_T7_T9_mT8_P12ihipStream_tbDpT10_ENKUlT_T0_E_clISt17integral_constantIbLb0EES1A_EEDaS15_S16_EUlS15_E_NS1_11comp_targetILNS1_3genE10ELNS1_11target_archE1200ELNS1_3gpuE4ELNS1_3repE0EEENS1_30default_config_static_selectorELNS0_4arch9wavefront6targetE1EEEvT1_.uses_vcc, 0
	.set _ZN7rocprim17ROCPRIM_400000_NS6detail17trampoline_kernelINS0_14default_configENS1_25partition_config_selectorILNS1_17partition_subalgoE9EllbEEZZNS1_14partition_implILS5_9ELb0ES3_jPlS8_PNS0_10empty_typeENS0_5tupleIJS8_S9_EEENSB_IJS8_SA_EEENS0_18inequality_wrapperIZN2at6native12_GLOBAL__N_124unique_dim_cuda_templateIhEESt5tupleIJNSF_6TensorESK_SK_EERKSK_lbbbEUlllE0_EEPmJS9_EEE10hipError_tPvRmT3_T4_T5_T6_T7_T9_mT8_P12ihipStream_tbDpT10_ENKUlT_T0_E_clISt17integral_constantIbLb0EES1A_EEDaS15_S16_EUlS15_E_NS1_11comp_targetILNS1_3genE10ELNS1_11target_archE1200ELNS1_3gpuE4ELNS1_3repE0EEENS1_30default_config_static_selectorELNS0_4arch9wavefront6targetE1EEEvT1_.uses_flat_scratch, 0
	.set _ZN7rocprim17ROCPRIM_400000_NS6detail17trampoline_kernelINS0_14default_configENS1_25partition_config_selectorILNS1_17partition_subalgoE9EllbEEZZNS1_14partition_implILS5_9ELb0ES3_jPlS8_PNS0_10empty_typeENS0_5tupleIJS8_S9_EEENSB_IJS8_SA_EEENS0_18inequality_wrapperIZN2at6native12_GLOBAL__N_124unique_dim_cuda_templateIhEESt5tupleIJNSF_6TensorESK_SK_EERKSK_lbbbEUlllE0_EEPmJS9_EEE10hipError_tPvRmT3_T4_T5_T6_T7_T9_mT8_P12ihipStream_tbDpT10_ENKUlT_T0_E_clISt17integral_constantIbLb0EES1A_EEDaS15_S16_EUlS15_E_NS1_11comp_targetILNS1_3genE10ELNS1_11target_archE1200ELNS1_3gpuE4ELNS1_3repE0EEENS1_30default_config_static_selectorELNS0_4arch9wavefront6targetE1EEEvT1_.has_dyn_sized_stack, 0
	.set _ZN7rocprim17ROCPRIM_400000_NS6detail17trampoline_kernelINS0_14default_configENS1_25partition_config_selectorILNS1_17partition_subalgoE9EllbEEZZNS1_14partition_implILS5_9ELb0ES3_jPlS8_PNS0_10empty_typeENS0_5tupleIJS8_S9_EEENSB_IJS8_SA_EEENS0_18inequality_wrapperIZN2at6native12_GLOBAL__N_124unique_dim_cuda_templateIhEESt5tupleIJNSF_6TensorESK_SK_EERKSK_lbbbEUlllE0_EEPmJS9_EEE10hipError_tPvRmT3_T4_T5_T6_T7_T9_mT8_P12ihipStream_tbDpT10_ENKUlT_T0_E_clISt17integral_constantIbLb0EES1A_EEDaS15_S16_EUlS15_E_NS1_11comp_targetILNS1_3genE10ELNS1_11target_archE1200ELNS1_3gpuE4ELNS1_3repE0EEENS1_30default_config_static_selectorELNS0_4arch9wavefront6targetE1EEEvT1_.has_recursion, 0
	.set _ZN7rocprim17ROCPRIM_400000_NS6detail17trampoline_kernelINS0_14default_configENS1_25partition_config_selectorILNS1_17partition_subalgoE9EllbEEZZNS1_14partition_implILS5_9ELb0ES3_jPlS8_PNS0_10empty_typeENS0_5tupleIJS8_S9_EEENSB_IJS8_SA_EEENS0_18inequality_wrapperIZN2at6native12_GLOBAL__N_124unique_dim_cuda_templateIhEESt5tupleIJNSF_6TensorESK_SK_EERKSK_lbbbEUlllE0_EEPmJS9_EEE10hipError_tPvRmT3_T4_T5_T6_T7_T9_mT8_P12ihipStream_tbDpT10_ENKUlT_T0_E_clISt17integral_constantIbLb0EES1A_EEDaS15_S16_EUlS15_E_NS1_11comp_targetILNS1_3genE10ELNS1_11target_archE1200ELNS1_3gpuE4ELNS1_3repE0EEENS1_30default_config_static_selectorELNS0_4arch9wavefront6targetE1EEEvT1_.has_indirect_call, 0
	.section	.AMDGPU.csdata,"",@progbits
; Kernel info:
; codeLenInByte = 0
; TotalNumSgprs: 6
; NumVgprs: 0
; NumAgprs: 0
; TotalNumVgprs: 0
; ScratchSize: 0
; MemoryBound: 0
; FloatMode: 240
; IeeeMode: 1
; LDSByteSize: 0 bytes/workgroup (compile time only)
; SGPRBlocks: 0
; VGPRBlocks: 0
; NumSGPRsForWavesPerEU: 6
; NumVGPRsForWavesPerEU: 1
; AccumOffset: 4
; Occupancy: 8
; WaveLimiterHint : 0
; COMPUTE_PGM_RSRC2:SCRATCH_EN: 0
; COMPUTE_PGM_RSRC2:USER_SGPR: 2
; COMPUTE_PGM_RSRC2:TRAP_HANDLER: 0
; COMPUTE_PGM_RSRC2:TGID_X_EN: 1
; COMPUTE_PGM_RSRC2:TGID_Y_EN: 0
; COMPUTE_PGM_RSRC2:TGID_Z_EN: 0
; COMPUTE_PGM_RSRC2:TIDIG_COMP_CNT: 0
; COMPUTE_PGM_RSRC3_GFX90A:ACCUM_OFFSET: 0
; COMPUTE_PGM_RSRC3_GFX90A:TG_SPLIT: 0
	.section	.text._ZN7rocprim17ROCPRIM_400000_NS6detail17trampoline_kernelINS0_14default_configENS1_25partition_config_selectorILNS1_17partition_subalgoE9EllbEEZZNS1_14partition_implILS5_9ELb0ES3_jPlS8_PNS0_10empty_typeENS0_5tupleIJS8_S9_EEENSB_IJS8_SA_EEENS0_18inequality_wrapperIZN2at6native12_GLOBAL__N_124unique_dim_cuda_templateIhEESt5tupleIJNSF_6TensorESK_SK_EERKSK_lbbbEUlllE0_EEPmJS9_EEE10hipError_tPvRmT3_T4_T5_T6_T7_T9_mT8_P12ihipStream_tbDpT10_ENKUlT_T0_E_clISt17integral_constantIbLb0EES1A_EEDaS15_S16_EUlS15_E_NS1_11comp_targetILNS1_3genE9ELNS1_11target_archE1100ELNS1_3gpuE3ELNS1_3repE0EEENS1_30default_config_static_selectorELNS0_4arch9wavefront6targetE1EEEvT1_,"axG",@progbits,_ZN7rocprim17ROCPRIM_400000_NS6detail17trampoline_kernelINS0_14default_configENS1_25partition_config_selectorILNS1_17partition_subalgoE9EllbEEZZNS1_14partition_implILS5_9ELb0ES3_jPlS8_PNS0_10empty_typeENS0_5tupleIJS8_S9_EEENSB_IJS8_SA_EEENS0_18inequality_wrapperIZN2at6native12_GLOBAL__N_124unique_dim_cuda_templateIhEESt5tupleIJNSF_6TensorESK_SK_EERKSK_lbbbEUlllE0_EEPmJS9_EEE10hipError_tPvRmT3_T4_T5_T6_T7_T9_mT8_P12ihipStream_tbDpT10_ENKUlT_T0_E_clISt17integral_constantIbLb0EES1A_EEDaS15_S16_EUlS15_E_NS1_11comp_targetILNS1_3genE9ELNS1_11target_archE1100ELNS1_3gpuE3ELNS1_3repE0EEENS1_30default_config_static_selectorELNS0_4arch9wavefront6targetE1EEEvT1_,comdat
	.globl	_ZN7rocprim17ROCPRIM_400000_NS6detail17trampoline_kernelINS0_14default_configENS1_25partition_config_selectorILNS1_17partition_subalgoE9EllbEEZZNS1_14partition_implILS5_9ELb0ES3_jPlS8_PNS0_10empty_typeENS0_5tupleIJS8_S9_EEENSB_IJS8_SA_EEENS0_18inequality_wrapperIZN2at6native12_GLOBAL__N_124unique_dim_cuda_templateIhEESt5tupleIJNSF_6TensorESK_SK_EERKSK_lbbbEUlllE0_EEPmJS9_EEE10hipError_tPvRmT3_T4_T5_T6_T7_T9_mT8_P12ihipStream_tbDpT10_ENKUlT_T0_E_clISt17integral_constantIbLb0EES1A_EEDaS15_S16_EUlS15_E_NS1_11comp_targetILNS1_3genE9ELNS1_11target_archE1100ELNS1_3gpuE3ELNS1_3repE0EEENS1_30default_config_static_selectorELNS0_4arch9wavefront6targetE1EEEvT1_ ; -- Begin function _ZN7rocprim17ROCPRIM_400000_NS6detail17trampoline_kernelINS0_14default_configENS1_25partition_config_selectorILNS1_17partition_subalgoE9EllbEEZZNS1_14partition_implILS5_9ELb0ES3_jPlS8_PNS0_10empty_typeENS0_5tupleIJS8_S9_EEENSB_IJS8_SA_EEENS0_18inequality_wrapperIZN2at6native12_GLOBAL__N_124unique_dim_cuda_templateIhEESt5tupleIJNSF_6TensorESK_SK_EERKSK_lbbbEUlllE0_EEPmJS9_EEE10hipError_tPvRmT3_T4_T5_T6_T7_T9_mT8_P12ihipStream_tbDpT10_ENKUlT_T0_E_clISt17integral_constantIbLb0EES1A_EEDaS15_S16_EUlS15_E_NS1_11comp_targetILNS1_3genE9ELNS1_11target_archE1100ELNS1_3gpuE3ELNS1_3repE0EEENS1_30default_config_static_selectorELNS0_4arch9wavefront6targetE1EEEvT1_
	.p2align	8
	.type	_ZN7rocprim17ROCPRIM_400000_NS6detail17trampoline_kernelINS0_14default_configENS1_25partition_config_selectorILNS1_17partition_subalgoE9EllbEEZZNS1_14partition_implILS5_9ELb0ES3_jPlS8_PNS0_10empty_typeENS0_5tupleIJS8_S9_EEENSB_IJS8_SA_EEENS0_18inequality_wrapperIZN2at6native12_GLOBAL__N_124unique_dim_cuda_templateIhEESt5tupleIJNSF_6TensorESK_SK_EERKSK_lbbbEUlllE0_EEPmJS9_EEE10hipError_tPvRmT3_T4_T5_T6_T7_T9_mT8_P12ihipStream_tbDpT10_ENKUlT_T0_E_clISt17integral_constantIbLb0EES1A_EEDaS15_S16_EUlS15_E_NS1_11comp_targetILNS1_3genE9ELNS1_11target_archE1100ELNS1_3gpuE3ELNS1_3repE0EEENS1_30default_config_static_selectorELNS0_4arch9wavefront6targetE1EEEvT1_,@function
_ZN7rocprim17ROCPRIM_400000_NS6detail17trampoline_kernelINS0_14default_configENS1_25partition_config_selectorILNS1_17partition_subalgoE9EllbEEZZNS1_14partition_implILS5_9ELb0ES3_jPlS8_PNS0_10empty_typeENS0_5tupleIJS8_S9_EEENSB_IJS8_SA_EEENS0_18inequality_wrapperIZN2at6native12_GLOBAL__N_124unique_dim_cuda_templateIhEESt5tupleIJNSF_6TensorESK_SK_EERKSK_lbbbEUlllE0_EEPmJS9_EEE10hipError_tPvRmT3_T4_T5_T6_T7_T9_mT8_P12ihipStream_tbDpT10_ENKUlT_T0_E_clISt17integral_constantIbLb0EES1A_EEDaS15_S16_EUlS15_E_NS1_11comp_targetILNS1_3genE9ELNS1_11target_archE1100ELNS1_3gpuE3ELNS1_3repE0EEENS1_30default_config_static_selectorELNS0_4arch9wavefront6targetE1EEEvT1_: ; @_ZN7rocprim17ROCPRIM_400000_NS6detail17trampoline_kernelINS0_14default_configENS1_25partition_config_selectorILNS1_17partition_subalgoE9EllbEEZZNS1_14partition_implILS5_9ELb0ES3_jPlS8_PNS0_10empty_typeENS0_5tupleIJS8_S9_EEENSB_IJS8_SA_EEENS0_18inequality_wrapperIZN2at6native12_GLOBAL__N_124unique_dim_cuda_templateIhEESt5tupleIJNSF_6TensorESK_SK_EERKSK_lbbbEUlllE0_EEPmJS9_EEE10hipError_tPvRmT3_T4_T5_T6_T7_T9_mT8_P12ihipStream_tbDpT10_ENKUlT_T0_E_clISt17integral_constantIbLb0EES1A_EEDaS15_S16_EUlS15_E_NS1_11comp_targetILNS1_3genE9ELNS1_11target_archE1100ELNS1_3gpuE3ELNS1_3repE0EEENS1_30default_config_static_selectorELNS0_4arch9wavefront6targetE1EEEvT1_
; %bb.0:
	.section	.rodata,"a",@progbits
	.p2align	6, 0x0
	.amdhsa_kernel _ZN7rocprim17ROCPRIM_400000_NS6detail17trampoline_kernelINS0_14default_configENS1_25partition_config_selectorILNS1_17partition_subalgoE9EllbEEZZNS1_14partition_implILS5_9ELb0ES3_jPlS8_PNS0_10empty_typeENS0_5tupleIJS8_S9_EEENSB_IJS8_SA_EEENS0_18inequality_wrapperIZN2at6native12_GLOBAL__N_124unique_dim_cuda_templateIhEESt5tupleIJNSF_6TensorESK_SK_EERKSK_lbbbEUlllE0_EEPmJS9_EEE10hipError_tPvRmT3_T4_T5_T6_T7_T9_mT8_P12ihipStream_tbDpT10_ENKUlT_T0_E_clISt17integral_constantIbLb0EES1A_EEDaS15_S16_EUlS15_E_NS1_11comp_targetILNS1_3genE9ELNS1_11target_archE1100ELNS1_3gpuE3ELNS1_3repE0EEENS1_30default_config_static_selectorELNS0_4arch9wavefront6targetE1EEEvT1_
		.amdhsa_group_segment_fixed_size 0
		.amdhsa_private_segment_fixed_size 0
		.amdhsa_kernarg_size 120
		.amdhsa_user_sgpr_count 2
		.amdhsa_user_sgpr_dispatch_ptr 0
		.amdhsa_user_sgpr_queue_ptr 0
		.amdhsa_user_sgpr_kernarg_segment_ptr 1
		.amdhsa_user_sgpr_dispatch_id 0
		.amdhsa_user_sgpr_kernarg_preload_length 0
		.amdhsa_user_sgpr_kernarg_preload_offset 0
		.amdhsa_user_sgpr_private_segment_size 0
		.amdhsa_uses_dynamic_stack 0
		.amdhsa_enable_private_segment 0
		.amdhsa_system_sgpr_workgroup_id_x 1
		.amdhsa_system_sgpr_workgroup_id_y 0
		.amdhsa_system_sgpr_workgroup_id_z 0
		.amdhsa_system_sgpr_workgroup_info 0
		.amdhsa_system_vgpr_workitem_id 0
		.amdhsa_next_free_vgpr 1
		.amdhsa_next_free_sgpr 0
		.amdhsa_accum_offset 4
		.amdhsa_reserve_vcc 0
		.amdhsa_float_round_mode_32 0
		.amdhsa_float_round_mode_16_64 0
		.amdhsa_float_denorm_mode_32 3
		.amdhsa_float_denorm_mode_16_64 3
		.amdhsa_dx10_clamp 1
		.amdhsa_ieee_mode 1
		.amdhsa_fp16_overflow 0
		.amdhsa_tg_split 0
		.amdhsa_exception_fp_ieee_invalid_op 0
		.amdhsa_exception_fp_denorm_src 0
		.amdhsa_exception_fp_ieee_div_zero 0
		.amdhsa_exception_fp_ieee_overflow 0
		.amdhsa_exception_fp_ieee_underflow 0
		.amdhsa_exception_fp_ieee_inexact 0
		.amdhsa_exception_int_div_zero 0
	.end_amdhsa_kernel
	.section	.text._ZN7rocprim17ROCPRIM_400000_NS6detail17trampoline_kernelINS0_14default_configENS1_25partition_config_selectorILNS1_17partition_subalgoE9EllbEEZZNS1_14partition_implILS5_9ELb0ES3_jPlS8_PNS0_10empty_typeENS0_5tupleIJS8_S9_EEENSB_IJS8_SA_EEENS0_18inequality_wrapperIZN2at6native12_GLOBAL__N_124unique_dim_cuda_templateIhEESt5tupleIJNSF_6TensorESK_SK_EERKSK_lbbbEUlllE0_EEPmJS9_EEE10hipError_tPvRmT3_T4_T5_T6_T7_T9_mT8_P12ihipStream_tbDpT10_ENKUlT_T0_E_clISt17integral_constantIbLb0EES1A_EEDaS15_S16_EUlS15_E_NS1_11comp_targetILNS1_3genE9ELNS1_11target_archE1100ELNS1_3gpuE3ELNS1_3repE0EEENS1_30default_config_static_selectorELNS0_4arch9wavefront6targetE1EEEvT1_,"axG",@progbits,_ZN7rocprim17ROCPRIM_400000_NS6detail17trampoline_kernelINS0_14default_configENS1_25partition_config_selectorILNS1_17partition_subalgoE9EllbEEZZNS1_14partition_implILS5_9ELb0ES3_jPlS8_PNS0_10empty_typeENS0_5tupleIJS8_S9_EEENSB_IJS8_SA_EEENS0_18inequality_wrapperIZN2at6native12_GLOBAL__N_124unique_dim_cuda_templateIhEESt5tupleIJNSF_6TensorESK_SK_EERKSK_lbbbEUlllE0_EEPmJS9_EEE10hipError_tPvRmT3_T4_T5_T6_T7_T9_mT8_P12ihipStream_tbDpT10_ENKUlT_T0_E_clISt17integral_constantIbLb0EES1A_EEDaS15_S16_EUlS15_E_NS1_11comp_targetILNS1_3genE9ELNS1_11target_archE1100ELNS1_3gpuE3ELNS1_3repE0EEENS1_30default_config_static_selectorELNS0_4arch9wavefront6targetE1EEEvT1_,comdat
.Lfunc_end210:
	.size	_ZN7rocprim17ROCPRIM_400000_NS6detail17trampoline_kernelINS0_14default_configENS1_25partition_config_selectorILNS1_17partition_subalgoE9EllbEEZZNS1_14partition_implILS5_9ELb0ES3_jPlS8_PNS0_10empty_typeENS0_5tupleIJS8_S9_EEENSB_IJS8_SA_EEENS0_18inequality_wrapperIZN2at6native12_GLOBAL__N_124unique_dim_cuda_templateIhEESt5tupleIJNSF_6TensorESK_SK_EERKSK_lbbbEUlllE0_EEPmJS9_EEE10hipError_tPvRmT3_T4_T5_T6_T7_T9_mT8_P12ihipStream_tbDpT10_ENKUlT_T0_E_clISt17integral_constantIbLb0EES1A_EEDaS15_S16_EUlS15_E_NS1_11comp_targetILNS1_3genE9ELNS1_11target_archE1100ELNS1_3gpuE3ELNS1_3repE0EEENS1_30default_config_static_selectorELNS0_4arch9wavefront6targetE1EEEvT1_, .Lfunc_end210-_ZN7rocprim17ROCPRIM_400000_NS6detail17trampoline_kernelINS0_14default_configENS1_25partition_config_selectorILNS1_17partition_subalgoE9EllbEEZZNS1_14partition_implILS5_9ELb0ES3_jPlS8_PNS0_10empty_typeENS0_5tupleIJS8_S9_EEENSB_IJS8_SA_EEENS0_18inequality_wrapperIZN2at6native12_GLOBAL__N_124unique_dim_cuda_templateIhEESt5tupleIJNSF_6TensorESK_SK_EERKSK_lbbbEUlllE0_EEPmJS9_EEE10hipError_tPvRmT3_T4_T5_T6_T7_T9_mT8_P12ihipStream_tbDpT10_ENKUlT_T0_E_clISt17integral_constantIbLb0EES1A_EEDaS15_S16_EUlS15_E_NS1_11comp_targetILNS1_3genE9ELNS1_11target_archE1100ELNS1_3gpuE3ELNS1_3repE0EEENS1_30default_config_static_selectorELNS0_4arch9wavefront6targetE1EEEvT1_
                                        ; -- End function
	.set _ZN7rocprim17ROCPRIM_400000_NS6detail17trampoline_kernelINS0_14default_configENS1_25partition_config_selectorILNS1_17partition_subalgoE9EllbEEZZNS1_14partition_implILS5_9ELb0ES3_jPlS8_PNS0_10empty_typeENS0_5tupleIJS8_S9_EEENSB_IJS8_SA_EEENS0_18inequality_wrapperIZN2at6native12_GLOBAL__N_124unique_dim_cuda_templateIhEESt5tupleIJNSF_6TensorESK_SK_EERKSK_lbbbEUlllE0_EEPmJS9_EEE10hipError_tPvRmT3_T4_T5_T6_T7_T9_mT8_P12ihipStream_tbDpT10_ENKUlT_T0_E_clISt17integral_constantIbLb0EES1A_EEDaS15_S16_EUlS15_E_NS1_11comp_targetILNS1_3genE9ELNS1_11target_archE1100ELNS1_3gpuE3ELNS1_3repE0EEENS1_30default_config_static_selectorELNS0_4arch9wavefront6targetE1EEEvT1_.num_vgpr, 0
	.set _ZN7rocprim17ROCPRIM_400000_NS6detail17trampoline_kernelINS0_14default_configENS1_25partition_config_selectorILNS1_17partition_subalgoE9EllbEEZZNS1_14partition_implILS5_9ELb0ES3_jPlS8_PNS0_10empty_typeENS0_5tupleIJS8_S9_EEENSB_IJS8_SA_EEENS0_18inequality_wrapperIZN2at6native12_GLOBAL__N_124unique_dim_cuda_templateIhEESt5tupleIJNSF_6TensorESK_SK_EERKSK_lbbbEUlllE0_EEPmJS9_EEE10hipError_tPvRmT3_T4_T5_T6_T7_T9_mT8_P12ihipStream_tbDpT10_ENKUlT_T0_E_clISt17integral_constantIbLb0EES1A_EEDaS15_S16_EUlS15_E_NS1_11comp_targetILNS1_3genE9ELNS1_11target_archE1100ELNS1_3gpuE3ELNS1_3repE0EEENS1_30default_config_static_selectorELNS0_4arch9wavefront6targetE1EEEvT1_.num_agpr, 0
	.set _ZN7rocprim17ROCPRIM_400000_NS6detail17trampoline_kernelINS0_14default_configENS1_25partition_config_selectorILNS1_17partition_subalgoE9EllbEEZZNS1_14partition_implILS5_9ELb0ES3_jPlS8_PNS0_10empty_typeENS0_5tupleIJS8_S9_EEENSB_IJS8_SA_EEENS0_18inequality_wrapperIZN2at6native12_GLOBAL__N_124unique_dim_cuda_templateIhEESt5tupleIJNSF_6TensorESK_SK_EERKSK_lbbbEUlllE0_EEPmJS9_EEE10hipError_tPvRmT3_T4_T5_T6_T7_T9_mT8_P12ihipStream_tbDpT10_ENKUlT_T0_E_clISt17integral_constantIbLb0EES1A_EEDaS15_S16_EUlS15_E_NS1_11comp_targetILNS1_3genE9ELNS1_11target_archE1100ELNS1_3gpuE3ELNS1_3repE0EEENS1_30default_config_static_selectorELNS0_4arch9wavefront6targetE1EEEvT1_.numbered_sgpr, 0
	.set _ZN7rocprim17ROCPRIM_400000_NS6detail17trampoline_kernelINS0_14default_configENS1_25partition_config_selectorILNS1_17partition_subalgoE9EllbEEZZNS1_14partition_implILS5_9ELb0ES3_jPlS8_PNS0_10empty_typeENS0_5tupleIJS8_S9_EEENSB_IJS8_SA_EEENS0_18inequality_wrapperIZN2at6native12_GLOBAL__N_124unique_dim_cuda_templateIhEESt5tupleIJNSF_6TensorESK_SK_EERKSK_lbbbEUlllE0_EEPmJS9_EEE10hipError_tPvRmT3_T4_T5_T6_T7_T9_mT8_P12ihipStream_tbDpT10_ENKUlT_T0_E_clISt17integral_constantIbLb0EES1A_EEDaS15_S16_EUlS15_E_NS1_11comp_targetILNS1_3genE9ELNS1_11target_archE1100ELNS1_3gpuE3ELNS1_3repE0EEENS1_30default_config_static_selectorELNS0_4arch9wavefront6targetE1EEEvT1_.num_named_barrier, 0
	.set _ZN7rocprim17ROCPRIM_400000_NS6detail17trampoline_kernelINS0_14default_configENS1_25partition_config_selectorILNS1_17partition_subalgoE9EllbEEZZNS1_14partition_implILS5_9ELb0ES3_jPlS8_PNS0_10empty_typeENS0_5tupleIJS8_S9_EEENSB_IJS8_SA_EEENS0_18inequality_wrapperIZN2at6native12_GLOBAL__N_124unique_dim_cuda_templateIhEESt5tupleIJNSF_6TensorESK_SK_EERKSK_lbbbEUlllE0_EEPmJS9_EEE10hipError_tPvRmT3_T4_T5_T6_T7_T9_mT8_P12ihipStream_tbDpT10_ENKUlT_T0_E_clISt17integral_constantIbLb0EES1A_EEDaS15_S16_EUlS15_E_NS1_11comp_targetILNS1_3genE9ELNS1_11target_archE1100ELNS1_3gpuE3ELNS1_3repE0EEENS1_30default_config_static_selectorELNS0_4arch9wavefront6targetE1EEEvT1_.private_seg_size, 0
	.set _ZN7rocprim17ROCPRIM_400000_NS6detail17trampoline_kernelINS0_14default_configENS1_25partition_config_selectorILNS1_17partition_subalgoE9EllbEEZZNS1_14partition_implILS5_9ELb0ES3_jPlS8_PNS0_10empty_typeENS0_5tupleIJS8_S9_EEENSB_IJS8_SA_EEENS0_18inequality_wrapperIZN2at6native12_GLOBAL__N_124unique_dim_cuda_templateIhEESt5tupleIJNSF_6TensorESK_SK_EERKSK_lbbbEUlllE0_EEPmJS9_EEE10hipError_tPvRmT3_T4_T5_T6_T7_T9_mT8_P12ihipStream_tbDpT10_ENKUlT_T0_E_clISt17integral_constantIbLb0EES1A_EEDaS15_S16_EUlS15_E_NS1_11comp_targetILNS1_3genE9ELNS1_11target_archE1100ELNS1_3gpuE3ELNS1_3repE0EEENS1_30default_config_static_selectorELNS0_4arch9wavefront6targetE1EEEvT1_.uses_vcc, 0
	.set _ZN7rocprim17ROCPRIM_400000_NS6detail17trampoline_kernelINS0_14default_configENS1_25partition_config_selectorILNS1_17partition_subalgoE9EllbEEZZNS1_14partition_implILS5_9ELb0ES3_jPlS8_PNS0_10empty_typeENS0_5tupleIJS8_S9_EEENSB_IJS8_SA_EEENS0_18inequality_wrapperIZN2at6native12_GLOBAL__N_124unique_dim_cuda_templateIhEESt5tupleIJNSF_6TensorESK_SK_EERKSK_lbbbEUlllE0_EEPmJS9_EEE10hipError_tPvRmT3_T4_T5_T6_T7_T9_mT8_P12ihipStream_tbDpT10_ENKUlT_T0_E_clISt17integral_constantIbLb0EES1A_EEDaS15_S16_EUlS15_E_NS1_11comp_targetILNS1_3genE9ELNS1_11target_archE1100ELNS1_3gpuE3ELNS1_3repE0EEENS1_30default_config_static_selectorELNS0_4arch9wavefront6targetE1EEEvT1_.uses_flat_scratch, 0
	.set _ZN7rocprim17ROCPRIM_400000_NS6detail17trampoline_kernelINS0_14default_configENS1_25partition_config_selectorILNS1_17partition_subalgoE9EllbEEZZNS1_14partition_implILS5_9ELb0ES3_jPlS8_PNS0_10empty_typeENS0_5tupleIJS8_S9_EEENSB_IJS8_SA_EEENS0_18inequality_wrapperIZN2at6native12_GLOBAL__N_124unique_dim_cuda_templateIhEESt5tupleIJNSF_6TensorESK_SK_EERKSK_lbbbEUlllE0_EEPmJS9_EEE10hipError_tPvRmT3_T4_T5_T6_T7_T9_mT8_P12ihipStream_tbDpT10_ENKUlT_T0_E_clISt17integral_constantIbLb0EES1A_EEDaS15_S16_EUlS15_E_NS1_11comp_targetILNS1_3genE9ELNS1_11target_archE1100ELNS1_3gpuE3ELNS1_3repE0EEENS1_30default_config_static_selectorELNS0_4arch9wavefront6targetE1EEEvT1_.has_dyn_sized_stack, 0
	.set _ZN7rocprim17ROCPRIM_400000_NS6detail17trampoline_kernelINS0_14default_configENS1_25partition_config_selectorILNS1_17partition_subalgoE9EllbEEZZNS1_14partition_implILS5_9ELb0ES3_jPlS8_PNS0_10empty_typeENS0_5tupleIJS8_S9_EEENSB_IJS8_SA_EEENS0_18inequality_wrapperIZN2at6native12_GLOBAL__N_124unique_dim_cuda_templateIhEESt5tupleIJNSF_6TensorESK_SK_EERKSK_lbbbEUlllE0_EEPmJS9_EEE10hipError_tPvRmT3_T4_T5_T6_T7_T9_mT8_P12ihipStream_tbDpT10_ENKUlT_T0_E_clISt17integral_constantIbLb0EES1A_EEDaS15_S16_EUlS15_E_NS1_11comp_targetILNS1_3genE9ELNS1_11target_archE1100ELNS1_3gpuE3ELNS1_3repE0EEENS1_30default_config_static_selectorELNS0_4arch9wavefront6targetE1EEEvT1_.has_recursion, 0
	.set _ZN7rocprim17ROCPRIM_400000_NS6detail17trampoline_kernelINS0_14default_configENS1_25partition_config_selectorILNS1_17partition_subalgoE9EllbEEZZNS1_14partition_implILS5_9ELb0ES3_jPlS8_PNS0_10empty_typeENS0_5tupleIJS8_S9_EEENSB_IJS8_SA_EEENS0_18inequality_wrapperIZN2at6native12_GLOBAL__N_124unique_dim_cuda_templateIhEESt5tupleIJNSF_6TensorESK_SK_EERKSK_lbbbEUlllE0_EEPmJS9_EEE10hipError_tPvRmT3_T4_T5_T6_T7_T9_mT8_P12ihipStream_tbDpT10_ENKUlT_T0_E_clISt17integral_constantIbLb0EES1A_EEDaS15_S16_EUlS15_E_NS1_11comp_targetILNS1_3genE9ELNS1_11target_archE1100ELNS1_3gpuE3ELNS1_3repE0EEENS1_30default_config_static_selectorELNS0_4arch9wavefront6targetE1EEEvT1_.has_indirect_call, 0
	.section	.AMDGPU.csdata,"",@progbits
; Kernel info:
; codeLenInByte = 0
; TotalNumSgprs: 6
; NumVgprs: 0
; NumAgprs: 0
; TotalNumVgprs: 0
; ScratchSize: 0
; MemoryBound: 0
; FloatMode: 240
; IeeeMode: 1
; LDSByteSize: 0 bytes/workgroup (compile time only)
; SGPRBlocks: 0
; VGPRBlocks: 0
; NumSGPRsForWavesPerEU: 6
; NumVGPRsForWavesPerEU: 1
; AccumOffset: 4
; Occupancy: 8
; WaveLimiterHint : 0
; COMPUTE_PGM_RSRC2:SCRATCH_EN: 0
; COMPUTE_PGM_RSRC2:USER_SGPR: 2
; COMPUTE_PGM_RSRC2:TRAP_HANDLER: 0
; COMPUTE_PGM_RSRC2:TGID_X_EN: 1
; COMPUTE_PGM_RSRC2:TGID_Y_EN: 0
; COMPUTE_PGM_RSRC2:TGID_Z_EN: 0
; COMPUTE_PGM_RSRC2:TIDIG_COMP_CNT: 0
; COMPUTE_PGM_RSRC3_GFX90A:ACCUM_OFFSET: 0
; COMPUTE_PGM_RSRC3_GFX90A:TG_SPLIT: 0
	.section	.text._ZN7rocprim17ROCPRIM_400000_NS6detail17trampoline_kernelINS0_14default_configENS1_25partition_config_selectorILNS1_17partition_subalgoE9EllbEEZZNS1_14partition_implILS5_9ELb0ES3_jPlS8_PNS0_10empty_typeENS0_5tupleIJS8_S9_EEENSB_IJS8_SA_EEENS0_18inequality_wrapperIZN2at6native12_GLOBAL__N_124unique_dim_cuda_templateIhEESt5tupleIJNSF_6TensorESK_SK_EERKSK_lbbbEUlllE0_EEPmJS9_EEE10hipError_tPvRmT3_T4_T5_T6_T7_T9_mT8_P12ihipStream_tbDpT10_ENKUlT_T0_E_clISt17integral_constantIbLb0EES1A_EEDaS15_S16_EUlS15_E_NS1_11comp_targetILNS1_3genE8ELNS1_11target_archE1030ELNS1_3gpuE2ELNS1_3repE0EEENS1_30default_config_static_selectorELNS0_4arch9wavefront6targetE1EEEvT1_,"axG",@progbits,_ZN7rocprim17ROCPRIM_400000_NS6detail17trampoline_kernelINS0_14default_configENS1_25partition_config_selectorILNS1_17partition_subalgoE9EllbEEZZNS1_14partition_implILS5_9ELb0ES3_jPlS8_PNS0_10empty_typeENS0_5tupleIJS8_S9_EEENSB_IJS8_SA_EEENS0_18inequality_wrapperIZN2at6native12_GLOBAL__N_124unique_dim_cuda_templateIhEESt5tupleIJNSF_6TensorESK_SK_EERKSK_lbbbEUlllE0_EEPmJS9_EEE10hipError_tPvRmT3_T4_T5_T6_T7_T9_mT8_P12ihipStream_tbDpT10_ENKUlT_T0_E_clISt17integral_constantIbLb0EES1A_EEDaS15_S16_EUlS15_E_NS1_11comp_targetILNS1_3genE8ELNS1_11target_archE1030ELNS1_3gpuE2ELNS1_3repE0EEENS1_30default_config_static_selectorELNS0_4arch9wavefront6targetE1EEEvT1_,comdat
	.globl	_ZN7rocprim17ROCPRIM_400000_NS6detail17trampoline_kernelINS0_14default_configENS1_25partition_config_selectorILNS1_17partition_subalgoE9EllbEEZZNS1_14partition_implILS5_9ELb0ES3_jPlS8_PNS0_10empty_typeENS0_5tupleIJS8_S9_EEENSB_IJS8_SA_EEENS0_18inequality_wrapperIZN2at6native12_GLOBAL__N_124unique_dim_cuda_templateIhEESt5tupleIJNSF_6TensorESK_SK_EERKSK_lbbbEUlllE0_EEPmJS9_EEE10hipError_tPvRmT3_T4_T5_T6_T7_T9_mT8_P12ihipStream_tbDpT10_ENKUlT_T0_E_clISt17integral_constantIbLb0EES1A_EEDaS15_S16_EUlS15_E_NS1_11comp_targetILNS1_3genE8ELNS1_11target_archE1030ELNS1_3gpuE2ELNS1_3repE0EEENS1_30default_config_static_selectorELNS0_4arch9wavefront6targetE1EEEvT1_ ; -- Begin function _ZN7rocprim17ROCPRIM_400000_NS6detail17trampoline_kernelINS0_14default_configENS1_25partition_config_selectorILNS1_17partition_subalgoE9EllbEEZZNS1_14partition_implILS5_9ELb0ES3_jPlS8_PNS0_10empty_typeENS0_5tupleIJS8_S9_EEENSB_IJS8_SA_EEENS0_18inequality_wrapperIZN2at6native12_GLOBAL__N_124unique_dim_cuda_templateIhEESt5tupleIJNSF_6TensorESK_SK_EERKSK_lbbbEUlllE0_EEPmJS9_EEE10hipError_tPvRmT3_T4_T5_T6_T7_T9_mT8_P12ihipStream_tbDpT10_ENKUlT_T0_E_clISt17integral_constantIbLb0EES1A_EEDaS15_S16_EUlS15_E_NS1_11comp_targetILNS1_3genE8ELNS1_11target_archE1030ELNS1_3gpuE2ELNS1_3repE0EEENS1_30default_config_static_selectorELNS0_4arch9wavefront6targetE1EEEvT1_
	.p2align	8
	.type	_ZN7rocprim17ROCPRIM_400000_NS6detail17trampoline_kernelINS0_14default_configENS1_25partition_config_selectorILNS1_17partition_subalgoE9EllbEEZZNS1_14partition_implILS5_9ELb0ES3_jPlS8_PNS0_10empty_typeENS0_5tupleIJS8_S9_EEENSB_IJS8_SA_EEENS0_18inequality_wrapperIZN2at6native12_GLOBAL__N_124unique_dim_cuda_templateIhEESt5tupleIJNSF_6TensorESK_SK_EERKSK_lbbbEUlllE0_EEPmJS9_EEE10hipError_tPvRmT3_T4_T5_T6_T7_T9_mT8_P12ihipStream_tbDpT10_ENKUlT_T0_E_clISt17integral_constantIbLb0EES1A_EEDaS15_S16_EUlS15_E_NS1_11comp_targetILNS1_3genE8ELNS1_11target_archE1030ELNS1_3gpuE2ELNS1_3repE0EEENS1_30default_config_static_selectorELNS0_4arch9wavefront6targetE1EEEvT1_,@function
_ZN7rocprim17ROCPRIM_400000_NS6detail17trampoline_kernelINS0_14default_configENS1_25partition_config_selectorILNS1_17partition_subalgoE9EllbEEZZNS1_14partition_implILS5_9ELb0ES3_jPlS8_PNS0_10empty_typeENS0_5tupleIJS8_S9_EEENSB_IJS8_SA_EEENS0_18inequality_wrapperIZN2at6native12_GLOBAL__N_124unique_dim_cuda_templateIhEESt5tupleIJNSF_6TensorESK_SK_EERKSK_lbbbEUlllE0_EEPmJS9_EEE10hipError_tPvRmT3_T4_T5_T6_T7_T9_mT8_P12ihipStream_tbDpT10_ENKUlT_T0_E_clISt17integral_constantIbLb0EES1A_EEDaS15_S16_EUlS15_E_NS1_11comp_targetILNS1_3genE8ELNS1_11target_archE1030ELNS1_3gpuE2ELNS1_3repE0EEENS1_30default_config_static_selectorELNS0_4arch9wavefront6targetE1EEEvT1_: ; @_ZN7rocprim17ROCPRIM_400000_NS6detail17trampoline_kernelINS0_14default_configENS1_25partition_config_selectorILNS1_17partition_subalgoE9EllbEEZZNS1_14partition_implILS5_9ELb0ES3_jPlS8_PNS0_10empty_typeENS0_5tupleIJS8_S9_EEENSB_IJS8_SA_EEENS0_18inequality_wrapperIZN2at6native12_GLOBAL__N_124unique_dim_cuda_templateIhEESt5tupleIJNSF_6TensorESK_SK_EERKSK_lbbbEUlllE0_EEPmJS9_EEE10hipError_tPvRmT3_T4_T5_T6_T7_T9_mT8_P12ihipStream_tbDpT10_ENKUlT_T0_E_clISt17integral_constantIbLb0EES1A_EEDaS15_S16_EUlS15_E_NS1_11comp_targetILNS1_3genE8ELNS1_11target_archE1030ELNS1_3gpuE2ELNS1_3repE0EEENS1_30default_config_static_selectorELNS0_4arch9wavefront6targetE1EEEvT1_
; %bb.0:
	.section	.rodata,"a",@progbits
	.p2align	6, 0x0
	.amdhsa_kernel _ZN7rocprim17ROCPRIM_400000_NS6detail17trampoline_kernelINS0_14default_configENS1_25partition_config_selectorILNS1_17partition_subalgoE9EllbEEZZNS1_14partition_implILS5_9ELb0ES3_jPlS8_PNS0_10empty_typeENS0_5tupleIJS8_S9_EEENSB_IJS8_SA_EEENS0_18inequality_wrapperIZN2at6native12_GLOBAL__N_124unique_dim_cuda_templateIhEESt5tupleIJNSF_6TensorESK_SK_EERKSK_lbbbEUlllE0_EEPmJS9_EEE10hipError_tPvRmT3_T4_T5_T6_T7_T9_mT8_P12ihipStream_tbDpT10_ENKUlT_T0_E_clISt17integral_constantIbLb0EES1A_EEDaS15_S16_EUlS15_E_NS1_11comp_targetILNS1_3genE8ELNS1_11target_archE1030ELNS1_3gpuE2ELNS1_3repE0EEENS1_30default_config_static_selectorELNS0_4arch9wavefront6targetE1EEEvT1_
		.amdhsa_group_segment_fixed_size 0
		.amdhsa_private_segment_fixed_size 0
		.amdhsa_kernarg_size 120
		.amdhsa_user_sgpr_count 2
		.amdhsa_user_sgpr_dispatch_ptr 0
		.amdhsa_user_sgpr_queue_ptr 0
		.amdhsa_user_sgpr_kernarg_segment_ptr 1
		.amdhsa_user_sgpr_dispatch_id 0
		.amdhsa_user_sgpr_kernarg_preload_length 0
		.amdhsa_user_sgpr_kernarg_preload_offset 0
		.amdhsa_user_sgpr_private_segment_size 0
		.amdhsa_uses_dynamic_stack 0
		.amdhsa_enable_private_segment 0
		.amdhsa_system_sgpr_workgroup_id_x 1
		.amdhsa_system_sgpr_workgroup_id_y 0
		.amdhsa_system_sgpr_workgroup_id_z 0
		.amdhsa_system_sgpr_workgroup_info 0
		.amdhsa_system_vgpr_workitem_id 0
		.amdhsa_next_free_vgpr 1
		.amdhsa_next_free_sgpr 0
		.amdhsa_accum_offset 4
		.amdhsa_reserve_vcc 0
		.amdhsa_float_round_mode_32 0
		.amdhsa_float_round_mode_16_64 0
		.amdhsa_float_denorm_mode_32 3
		.amdhsa_float_denorm_mode_16_64 3
		.amdhsa_dx10_clamp 1
		.amdhsa_ieee_mode 1
		.amdhsa_fp16_overflow 0
		.amdhsa_tg_split 0
		.amdhsa_exception_fp_ieee_invalid_op 0
		.amdhsa_exception_fp_denorm_src 0
		.amdhsa_exception_fp_ieee_div_zero 0
		.amdhsa_exception_fp_ieee_overflow 0
		.amdhsa_exception_fp_ieee_underflow 0
		.amdhsa_exception_fp_ieee_inexact 0
		.amdhsa_exception_int_div_zero 0
	.end_amdhsa_kernel
	.section	.text._ZN7rocprim17ROCPRIM_400000_NS6detail17trampoline_kernelINS0_14default_configENS1_25partition_config_selectorILNS1_17partition_subalgoE9EllbEEZZNS1_14partition_implILS5_9ELb0ES3_jPlS8_PNS0_10empty_typeENS0_5tupleIJS8_S9_EEENSB_IJS8_SA_EEENS0_18inequality_wrapperIZN2at6native12_GLOBAL__N_124unique_dim_cuda_templateIhEESt5tupleIJNSF_6TensorESK_SK_EERKSK_lbbbEUlllE0_EEPmJS9_EEE10hipError_tPvRmT3_T4_T5_T6_T7_T9_mT8_P12ihipStream_tbDpT10_ENKUlT_T0_E_clISt17integral_constantIbLb0EES1A_EEDaS15_S16_EUlS15_E_NS1_11comp_targetILNS1_3genE8ELNS1_11target_archE1030ELNS1_3gpuE2ELNS1_3repE0EEENS1_30default_config_static_selectorELNS0_4arch9wavefront6targetE1EEEvT1_,"axG",@progbits,_ZN7rocprim17ROCPRIM_400000_NS6detail17trampoline_kernelINS0_14default_configENS1_25partition_config_selectorILNS1_17partition_subalgoE9EllbEEZZNS1_14partition_implILS5_9ELb0ES3_jPlS8_PNS0_10empty_typeENS0_5tupleIJS8_S9_EEENSB_IJS8_SA_EEENS0_18inequality_wrapperIZN2at6native12_GLOBAL__N_124unique_dim_cuda_templateIhEESt5tupleIJNSF_6TensorESK_SK_EERKSK_lbbbEUlllE0_EEPmJS9_EEE10hipError_tPvRmT3_T4_T5_T6_T7_T9_mT8_P12ihipStream_tbDpT10_ENKUlT_T0_E_clISt17integral_constantIbLb0EES1A_EEDaS15_S16_EUlS15_E_NS1_11comp_targetILNS1_3genE8ELNS1_11target_archE1030ELNS1_3gpuE2ELNS1_3repE0EEENS1_30default_config_static_selectorELNS0_4arch9wavefront6targetE1EEEvT1_,comdat
.Lfunc_end211:
	.size	_ZN7rocprim17ROCPRIM_400000_NS6detail17trampoline_kernelINS0_14default_configENS1_25partition_config_selectorILNS1_17partition_subalgoE9EllbEEZZNS1_14partition_implILS5_9ELb0ES3_jPlS8_PNS0_10empty_typeENS0_5tupleIJS8_S9_EEENSB_IJS8_SA_EEENS0_18inequality_wrapperIZN2at6native12_GLOBAL__N_124unique_dim_cuda_templateIhEESt5tupleIJNSF_6TensorESK_SK_EERKSK_lbbbEUlllE0_EEPmJS9_EEE10hipError_tPvRmT3_T4_T5_T6_T7_T9_mT8_P12ihipStream_tbDpT10_ENKUlT_T0_E_clISt17integral_constantIbLb0EES1A_EEDaS15_S16_EUlS15_E_NS1_11comp_targetILNS1_3genE8ELNS1_11target_archE1030ELNS1_3gpuE2ELNS1_3repE0EEENS1_30default_config_static_selectorELNS0_4arch9wavefront6targetE1EEEvT1_, .Lfunc_end211-_ZN7rocprim17ROCPRIM_400000_NS6detail17trampoline_kernelINS0_14default_configENS1_25partition_config_selectorILNS1_17partition_subalgoE9EllbEEZZNS1_14partition_implILS5_9ELb0ES3_jPlS8_PNS0_10empty_typeENS0_5tupleIJS8_S9_EEENSB_IJS8_SA_EEENS0_18inequality_wrapperIZN2at6native12_GLOBAL__N_124unique_dim_cuda_templateIhEESt5tupleIJNSF_6TensorESK_SK_EERKSK_lbbbEUlllE0_EEPmJS9_EEE10hipError_tPvRmT3_T4_T5_T6_T7_T9_mT8_P12ihipStream_tbDpT10_ENKUlT_T0_E_clISt17integral_constantIbLb0EES1A_EEDaS15_S16_EUlS15_E_NS1_11comp_targetILNS1_3genE8ELNS1_11target_archE1030ELNS1_3gpuE2ELNS1_3repE0EEENS1_30default_config_static_selectorELNS0_4arch9wavefront6targetE1EEEvT1_
                                        ; -- End function
	.set _ZN7rocprim17ROCPRIM_400000_NS6detail17trampoline_kernelINS0_14default_configENS1_25partition_config_selectorILNS1_17partition_subalgoE9EllbEEZZNS1_14partition_implILS5_9ELb0ES3_jPlS8_PNS0_10empty_typeENS0_5tupleIJS8_S9_EEENSB_IJS8_SA_EEENS0_18inequality_wrapperIZN2at6native12_GLOBAL__N_124unique_dim_cuda_templateIhEESt5tupleIJNSF_6TensorESK_SK_EERKSK_lbbbEUlllE0_EEPmJS9_EEE10hipError_tPvRmT3_T4_T5_T6_T7_T9_mT8_P12ihipStream_tbDpT10_ENKUlT_T0_E_clISt17integral_constantIbLb0EES1A_EEDaS15_S16_EUlS15_E_NS1_11comp_targetILNS1_3genE8ELNS1_11target_archE1030ELNS1_3gpuE2ELNS1_3repE0EEENS1_30default_config_static_selectorELNS0_4arch9wavefront6targetE1EEEvT1_.num_vgpr, 0
	.set _ZN7rocprim17ROCPRIM_400000_NS6detail17trampoline_kernelINS0_14default_configENS1_25partition_config_selectorILNS1_17partition_subalgoE9EllbEEZZNS1_14partition_implILS5_9ELb0ES3_jPlS8_PNS0_10empty_typeENS0_5tupleIJS8_S9_EEENSB_IJS8_SA_EEENS0_18inequality_wrapperIZN2at6native12_GLOBAL__N_124unique_dim_cuda_templateIhEESt5tupleIJNSF_6TensorESK_SK_EERKSK_lbbbEUlllE0_EEPmJS9_EEE10hipError_tPvRmT3_T4_T5_T6_T7_T9_mT8_P12ihipStream_tbDpT10_ENKUlT_T0_E_clISt17integral_constantIbLb0EES1A_EEDaS15_S16_EUlS15_E_NS1_11comp_targetILNS1_3genE8ELNS1_11target_archE1030ELNS1_3gpuE2ELNS1_3repE0EEENS1_30default_config_static_selectorELNS0_4arch9wavefront6targetE1EEEvT1_.num_agpr, 0
	.set _ZN7rocprim17ROCPRIM_400000_NS6detail17trampoline_kernelINS0_14default_configENS1_25partition_config_selectorILNS1_17partition_subalgoE9EllbEEZZNS1_14partition_implILS5_9ELb0ES3_jPlS8_PNS0_10empty_typeENS0_5tupleIJS8_S9_EEENSB_IJS8_SA_EEENS0_18inequality_wrapperIZN2at6native12_GLOBAL__N_124unique_dim_cuda_templateIhEESt5tupleIJNSF_6TensorESK_SK_EERKSK_lbbbEUlllE0_EEPmJS9_EEE10hipError_tPvRmT3_T4_T5_T6_T7_T9_mT8_P12ihipStream_tbDpT10_ENKUlT_T0_E_clISt17integral_constantIbLb0EES1A_EEDaS15_S16_EUlS15_E_NS1_11comp_targetILNS1_3genE8ELNS1_11target_archE1030ELNS1_3gpuE2ELNS1_3repE0EEENS1_30default_config_static_selectorELNS0_4arch9wavefront6targetE1EEEvT1_.numbered_sgpr, 0
	.set _ZN7rocprim17ROCPRIM_400000_NS6detail17trampoline_kernelINS0_14default_configENS1_25partition_config_selectorILNS1_17partition_subalgoE9EllbEEZZNS1_14partition_implILS5_9ELb0ES3_jPlS8_PNS0_10empty_typeENS0_5tupleIJS8_S9_EEENSB_IJS8_SA_EEENS0_18inequality_wrapperIZN2at6native12_GLOBAL__N_124unique_dim_cuda_templateIhEESt5tupleIJNSF_6TensorESK_SK_EERKSK_lbbbEUlllE0_EEPmJS9_EEE10hipError_tPvRmT3_T4_T5_T6_T7_T9_mT8_P12ihipStream_tbDpT10_ENKUlT_T0_E_clISt17integral_constantIbLb0EES1A_EEDaS15_S16_EUlS15_E_NS1_11comp_targetILNS1_3genE8ELNS1_11target_archE1030ELNS1_3gpuE2ELNS1_3repE0EEENS1_30default_config_static_selectorELNS0_4arch9wavefront6targetE1EEEvT1_.num_named_barrier, 0
	.set _ZN7rocprim17ROCPRIM_400000_NS6detail17trampoline_kernelINS0_14default_configENS1_25partition_config_selectorILNS1_17partition_subalgoE9EllbEEZZNS1_14partition_implILS5_9ELb0ES3_jPlS8_PNS0_10empty_typeENS0_5tupleIJS8_S9_EEENSB_IJS8_SA_EEENS0_18inequality_wrapperIZN2at6native12_GLOBAL__N_124unique_dim_cuda_templateIhEESt5tupleIJNSF_6TensorESK_SK_EERKSK_lbbbEUlllE0_EEPmJS9_EEE10hipError_tPvRmT3_T4_T5_T6_T7_T9_mT8_P12ihipStream_tbDpT10_ENKUlT_T0_E_clISt17integral_constantIbLb0EES1A_EEDaS15_S16_EUlS15_E_NS1_11comp_targetILNS1_3genE8ELNS1_11target_archE1030ELNS1_3gpuE2ELNS1_3repE0EEENS1_30default_config_static_selectorELNS0_4arch9wavefront6targetE1EEEvT1_.private_seg_size, 0
	.set _ZN7rocprim17ROCPRIM_400000_NS6detail17trampoline_kernelINS0_14default_configENS1_25partition_config_selectorILNS1_17partition_subalgoE9EllbEEZZNS1_14partition_implILS5_9ELb0ES3_jPlS8_PNS0_10empty_typeENS0_5tupleIJS8_S9_EEENSB_IJS8_SA_EEENS0_18inequality_wrapperIZN2at6native12_GLOBAL__N_124unique_dim_cuda_templateIhEESt5tupleIJNSF_6TensorESK_SK_EERKSK_lbbbEUlllE0_EEPmJS9_EEE10hipError_tPvRmT3_T4_T5_T6_T7_T9_mT8_P12ihipStream_tbDpT10_ENKUlT_T0_E_clISt17integral_constantIbLb0EES1A_EEDaS15_S16_EUlS15_E_NS1_11comp_targetILNS1_3genE8ELNS1_11target_archE1030ELNS1_3gpuE2ELNS1_3repE0EEENS1_30default_config_static_selectorELNS0_4arch9wavefront6targetE1EEEvT1_.uses_vcc, 0
	.set _ZN7rocprim17ROCPRIM_400000_NS6detail17trampoline_kernelINS0_14default_configENS1_25partition_config_selectorILNS1_17partition_subalgoE9EllbEEZZNS1_14partition_implILS5_9ELb0ES3_jPlS8_PNS0_10empty_typeENS0_5tupleIJS8_S9_EEENSB_IJS8_SA_EEENS0_18inequality_wrapperIZN2at6native12_GLOBAL__N_124unique_dim_cuda_templateIhEESt5tupleIJNSF_6TensorESK_SK_EERKSK_lbbbEUlllE0_EEPmJS9_EEE10hipError_tPvRmT3_T4_T5_T6_T7_T9_mT8_P12ihipStream_tbDpT10_ENKUlT_T0_E_clISt17integral_constantIbLb0EES1A_EEDaS15_S16_EUlS15_E_NS1_11comp_targetILNS1_3genE8ELNS1_11target_archE1030ELNS1_3gpuE2ELNS1_3repE0EEENS1_30default_config_static_selectorELNS0_4arch9wavefront6targetE1EEEvT1_.uses_flat_scratch, 0
	.set _ZN7rocprim17ROCPRIM_400000_NS6detail17trampoline_kernelINS0_14default_configENS1_25partition_config_selectorILNS1_17partition_subalgoE9EllbEEZZNS1_14partition_implILS5_9ELb0ES3_jPlS8_PNS0_10empty_typeENS0_5tupleIJS8_S9_EEENSB_IJS8_SA_EEENS0_18inequality_wrapperIZN2at6native12_GLOBAL__N_124unique_dim_cuda_templateIhEESt5tupleIJNSF_6TensorESK_SK_EERKSK_lbbbEUlllE0_EEPmJS9_EEE10hipError_tPvRmT3_T4_T5_T6_T7_T9_mT8_P12ihipStream_tbDpT10_ENKUlT_T0_E_clISt17integral_constantIbLb0EES1A_EEDaS15_S16_EUlS15_E_NS1_11comp_targetILNS1_3genE8ELNS1_11target_archE1030ELNS1_3gpuE2ELNS1_3repE0EEENS1_30default_config_static_selectorELNS0_4arch9wavefront6targetE1EEEvT1_.has_dyn_sized_stack, 0
	.set _ZN7rocprim17ROCPRIM_400000_NS6detail17trampoline_kernelINS0_14default_configENS1_25partition_config_selectorILNS1_17partition_subalgoE9EllbEEZZNS1_14partition_implILS5_9ELb0ES3_jPlS8_PNS0_10empty_typeENS0_5tupleIJS8_S9_EEENSB_IJS8_SA_EEENS0_18inequality_wrapperIZN2at6native12_GLOBAL__N_124unique_dim_cuda_templateIhEESt5tupleIJNSF_6TensorESK_SK_EERKSK_lbbbEUlllE0_EEPmJS9_EEE10hipError_tPvRmT3_T4_T5_T6_T7_T9_mT8_P12ihipStream_tbDpT10_ENKUlT_T0_E_clISt17integral_constantIbLb0EES1A_EEDaS15_S16_EUlS15_E_NS1_11comp_targetILNS1_3genE8ELNS1_11target_archE1030ELNS1_3gpuE2ELNS1_3repE0EEENS1_30default_config_static_selectorELNS0_4arch9wavefront6targetE1EEEvT1_.has_recursion, 0
	.set _ZN7rocprim17ROCPRIM_400000_NS6detail17trampoline_kernelINS0_14default_configENS1_25partition_config_selectorILNS1_17partition_subalgoE9EllbEEZZNS1_14partition_implILS5_9ELb0ES3_jPlS8_PNS0_10empty_typeENS0_5tupleIJS8_S9_EEENSB_IJS8_SA_EEENS0_18inequality_wrapperIZN2at6native12_GLOBAL__N_124unique_dim_cuda_templateIhEESt5tupleIJNSF_6TensorESK_SK_EERKSK_lbbbEUlllE0_EEPmJS9_EEE10hipError_tPvRmT3_T4_T5_T6_T7_T9_mT8_P12ihipStream_tbDpT10_ENKUlT_T0_E_clISt17integral_constantIbLb0EES1A_EEDaS15_S16_EUlS15_E_NS1_11comp_targetILNS1_3genE8ELNS1_11target_archE1030ELNS1_3gpuE2ELNS1_3repE0EEENS1_30default_config_static_selectorELNS0_4arch9wavefront6targetE1EEEvT1_.has_indirect_call, 0
	.section	.AMDGPU.csdata,"",@progbits
; Kernel info:
; codeLenInByte = 0
; TotalNumSgprs: 6
; NumVgprs: 0
; NumAgprs: 0
; TotalNumVgprs: 0
; ScratchSize: 0
; MemoryBound: 0
; FloatMode: 240
; IeeeMode: 1
; LDSByteSize: 0 bytes/workgroup (compile time only)
; SGPRBlocks: 0
; VGPRBlocks: 0
; NumSGPRsForWavesPerEU: 6
; NumVGPRsForWavesPerEU: 1
; AccumOffset: 4
; Occupancy: 8
; WaveLimiterHint : 0
; COMPUTE_PGM_RSRC2:SCRATCH_EN: 0
; COMPUTE_PGM_RSRC2:USER_SGPR: 2
; COMPUTE_PGM_RSRC2:TRAP_HANDLER: 0
; COMPUTE_PGM_RSRC2:TGID_X_EN: 1
; COMPUTE_PGM_RSRC2:TGID_Y_EN: 0
; COMPUTE_PGM_RSRC2:TGID_Z_EN: 0
; COMPUTE_PGM_RSRC2:TIDIG_COMP_CNT: 0
; COMPUTE_PGM_RSRC3_GFX90A:ACCUM_OFFSET: 0
; COMPUTE_PGM_RSRC3_GFX90A:TG_SPLIT: 0
	.section	.text._ZN7rocprim17ROCPRIM_400000_NS6detail17trampoline_kernelINS0_14default_configENS1_25partition_config_selectorILNS1_17partition_subalgoE9EllbEEZZNS1_14partition_implILS5_9ELb0ES3_jPlS8_PNS0_10empty_typeENS0_5tupleIJS8_S9_EEENSB_IJS8_SA_EEENS0_18inequality_wrapperIZN2at6native12_GLOBAL__N_124unique_dim_cuda_templateIhEESt5tupleIJNSF_6TensorESK_SK_EERKSK_lbbbEUlllE0_EEPmJS9_EEE10hipError_tPvRmT3_T4_T5_T6_T7_T9_mT8_P12ihipStream_tbDpT10_ENKUlT_T0_E_clISt17integral_constantIbLb1EES1A_EEDaS15_S16_EUlS15_E_NS1_11comp_targetILNS1_3genE0ELNS1_11target_archE4294967295ELNS1_3gpuE0ELNS1_3repE0EEENS1_30default_config_static_selectorELNS0_4arch9wavefront6targetE1EEEvT1_,"axG",@progbits,_ZN7rocprim17ROCPRIM_400000_NS6detail17trampoline_kernelINS0_14default_configENS1_25partition_config_selectorILNS1_17partition_subalgoE9EllbEEZZNS1_14partition_implILS5_9ELb0ES3_jPlS8_PNS0_10empty_typeENS0_5tupleIJS8_S9_EEENSB_IJS8_SA_EEENS0_18inequality_wrapperIZN2at6native12_GLOBAL__N_124unique_dim_cuda_templateIhEESt5tupleIJNSF_6TensorESK_SK_EERKSK_lbbbEUlllE0_EEPmJS9_EEE10hipError_tPvRmT3_T4_T5_T6_T7_T9_mT8_P12ihipStream_tbDpT10_ENKUlT_T0_E_clISt17integral_constantIbLb1EES1A_EEDaS15_S16_EUlS15_E_NS1_11comp_targetILNS1_3genE0ELNS1_11target_archE4294967295ELNS1_3gpuE0ELNS1_3repE0EEENS1_30default_config_static_selectorELNS0_4arch9wavefront6targetE1EEEvT1_,comdat
	.globl	_ZN7rocprim17ROCPRIM_400000_NS6detail17trampoline_kernelINS0_14default_configENS1_25partition_config_selectorILNS1_17partition_subalgoE9EllbEEZZNS1_14partition_implILS5_9ELb0ES3_jPlS8_PNS0_10empty_typeENS0_5tupleIJS8_S9_EEENSB_IJS8_SA_EEENS0_18inequality_wrapperIZN2at6native12_GLOBAL__N_124unique_dim_cuda_templateIhEESt5tupleIJNSF_6TensorESK_SK_EERKSK_lbbbEUlllE0_EEPmJS9_EEE10hipError_tPvRmT3_T4_T5_T6_T7_T9_mT8_P12ihipStream_tbDpT10_ENKUlT_T0_E_clISt17integral_constantIbLb1EES1A_EEDaS15_S16_EUlS15_E_NS1_11comp_targetILNS1_3genE0ELNS1_11target_archE4294967295ELNS1_3gpuE0ELNS1_3repE0EEENS1_30default_config_static_selectorELNS0_4arch9wavefront6targetE1EEEvT1_ ; -- Begin function _ZN7rocprim17ROCPRIM_400000_NS6detail17trampoline_kernelINS0_14default_configENS1_25partition_config_selectorILNS1_17partition_subalgoE9EllbEEZZNS1_14partition_implILS5_9ELb0ES3_jPlS8_PNS0_10empty_typeENS0_5tupleIJS8_S9_EEENSB_IJS8_SA_EEENS0_18inequality_wrapperIZN2at6native12_GLOBAL__N_124unique_dim_cuda_templateIhEESt5tupleIJNSF_6TensorESK_SK_EERKSK_lbbbEUlllE0_EEPmJS9_EEE10hipError_tPvRmT3_T4_T5_T6_T7_T9_mT8_P12ihipStream_tbDpT10_ENKUlT_T0_E_clISt17integral_constantIbLb1EES1A_EEDaS15_S16_EUlS15_E_NS1_11comp_targetILNS1_3genE0ELNS1_11target_archE4294967295ELNS1_3gpuE0ELNS1_3repE0EEENS1_30default_config_static_selectorELNS0_4arch9wavefront6targetE1EEEvT1_
	.p2align	8
	.type	_ZN7rocprim17ROCPRIM_400000_NS6detail17trampoline_kernelINS0_14default_configENS1_25partition_config_selectorILNS1_17partition_subalgoE9EllbEEZZNS1_14partition_implILS5_9ELb0ES3_jPlS8_PNS0_10empty_typeENS0_5tupleIJS8_S9_EEENSB_IJS8_SA_EEENS0_18inequality_wrapperIZN2at6native12_GLOBAL__N_124unique_dim_cuda_templateIhEESt5tupleIJNSF_6TensorESK_SK_EERKSK_lbbbEUlllE0_EEPmJS9_EEE10hipError_tPvRmT3_T4_T5_T6_T7_T9_mT8_P12ihipStream_tbDpT10_ENKUlT_T0_E_clISt17integral_constantIbLb1EES1A_EEDaS15_S16_EUlS15_E_NS1_11comp_targetILNS1_3genE0ELNS1_11target_archE4294967295ELNS1_3gpuE0ELNS1_3repE0EEENS1_30default_config_static_selectorELNS0_4arch9wavefront6targetE1EEEvT1_,@function
_ZN7rocprim17ROCPRIM_400000_NS6detail17trampoline_kernelINS0_14default_configENS1_25partition_config_selectorILNS1_17partition_subalgoE9EllbEEZZNS1_14partition_implILS5_9ELb0ES3_jPlS8_PNS0_10empty_typeENS0_5tupleIJS8_S9_EEENSB_IJS8_SA_EEENS0_18inequality_wrapperIZN2at6native12_GLOBAL__N_124unique_dim_cuda_templateIhEESt5tupleIJNSF_6TensorESK_SK_EERKSK_lbbbEUlllE0_EEPmJS9_EEE10hipError_tPvRmT3_T4_T5_T6_T7_T9_mT8_P12ihipStream_tbDpT10_ENKUlT_T0_E_clISt17integral_constantIbLb1EES1A_EEDaS15_S16_EUlS15_E_NS1_11comp_targetILNS1_3genE0ELNS1_11target_archE4294967295ELNS1_3gpuE0ELNS1_3repE0EEENS1_30default_config_static_selectorELNS0_4arch9wavefront6targetE1EEEvT1_: ; @_ZN7rocprim17ROCPRIM_400000_NS6detail17trampoline_kernelINS0_14default_configENS1_25partition_config_selectorILNS1_17partition_subalgoE9EllbEEZZNS1_14partition_implILS5_9ELb0ES3_jPlS8_PNS0_10empty_typeENS0_5tupleIJS8_S9_EEENSB_IJS8_SA_EEENS0_18inequality_wrapperIZN2at6native12_GLOBAL__N_124unique_dim_cuda_templateIhEESt5tupleIJNSF_6TensorESK_SK_EERKSK_lbbbEUlllE0_EEPmJS9_EEE10hipError_tPvRmT3_T4_T5_T6_T7_T9_mT8_P12ihipStream_tbDpT10_ENKUlT_T0_E_clISt17integral_constantIbLb1EES1A_EEDaS15_S16_EUlS15_E_NS1_11comp_targetILNS1_3genE0ELNS1_11target_archE4294967295ELNS1_3gpuE0ELNS1_3repE0EEENS1_30default_config_static_selectorELNS0_4arch9wavefront6targetE1EEEvT1_
; %bb.0:
	s_endpgm
	.section	.rodata,"a",@progbits
	.p2align	6, 0x0
	.amdhsa_kernel _ZN7rocprim17ROCPRIM_400000_NS6detail17trampoline_kernelINS0_14default_configENS1_25partition_config_selectorILNS1_17partition_subalgoE9EllbEEZZNS1_14partition_implILS5_9ELb0ES3_jPlS8_PNS0_10empty_typeENS0_5tupleIJS8_S9_EEENSB_IJS8_SA_EEENS0_18inequality_wrapperIZN2at6native12_GLOBAL__N_124unique_dim_cuda_templateIhEESt5tupleIJNSF_6TensorESK_SK_EERKSK_lbbbEUlllE0_EEPmJS9_EEE10hipError_tPvRmT3_T4_T5_T6_T7_T9_mT8_P12ihipStream_tbDpT10_ENKUlT_T0_E_clISt17integral_constantIbLb1EES1A_EEDaS15_S16_EUlS15_E_NS1_11comp_targetILNS1_3genE0ELNS1_11target_archE4294967295ELNS1_3gpuE0ELNS1_3repE0EEENS1_30default_config_static_selectorELNS0_4arch9wavefront6targetE1EEEvT1_
		.amdhsa_group_segment_fixed_size 0
		.amdhsa_private_segment_fixed_size 0
		.amdhsa_kernarg_size 136
		.amdhsa_user_sgpr_count 2
		.amdhsa_user_sgpr_dispatch_ptr 0
		.amdhsa_user_sgpr_queue_ptr 0
		.amdhsa_user_sgpr_kernarg_segment_ptr 1
		.amdhsa_user_sgpr_dispatch_id 0
		.amdhsa_user_sgpr_kernarg_preload_length 0
		.amdhsa_user_sgpr_kernarg_preload_offset 0
		.amdhsa_user_sgpr_private_segment_size 0
		.amdhsa_uses_dynamic_stack 0
		.amdhsa_enable_private_segment 0
		.amdhsa_system_sgpr_workgroup_id_x 1
		.amdhsa_system_sgpr_workgroup_id_y 0
		.amdhsa_system_sgpr_workgroup_id_z 0
		.amdhsa_system_sgpr_workgroup_info 0
		.amdhsa_system_vgpr_workitem_id 0
		.amdhsa_next_free_vgpr 1
		.amdhsa_next_free_sgpr 0
		.amdhsa_accum_offset 4
		.amdhsa_reserve_vcc 0
		.amdhsa_float_round_mode_32 0
		.amdhsa_float_round_mode_16_64 0
		.amdhsa_float_denorm_mode_32 3
		.amdhsa_float_denorm_mode_16_64 3
		.amdhsa_dx10_clamp 1
		.amdhsa_ieee_mode 1
		.amdhsa_fp16_overflow 0
		.amdhsa_tg_split 0
		.amdhsa_exception_fp_ieee_invalid_op 0
		.amdhsa_exception_fp_denorm_src 0
		.amdhsa_exception_fp_ieee_div_zero 0
		.amdhsa_exception_fp_ieee_overflow 0
		.amdhsa_exception_fp_ieee_underflow 0
		.amdhsa_exception_fp_ieee_inexact 0
		.amdhsa_exception_int_div_zero 0
	.end_amdhsa_kernel
	.section	.text._ZN7rocprim17ROCPRIM_400000_NS6detail17trampoline_kernelINS0_14default_configENS1_25partition_config_selectorILNS1_17partition_subalgoE9EllbEEZZNS1_14partition_implILS5_9ELb0ES3_jPlS8_PNS0_10empty_typeENS0_5tupleIJS8_S9_EEENSB_IJS8_SA_EEENS0_18inequality_wrapperIZN2at6native12_GLOBAL__N_124unique_dim_cuda_templateIhEESt5tupleIJNSF_6TensorESK_SK_EERKSK_lbbbEUlllE0_EEPmJS9_EEE10hipError_tPvRmT3_T4_T5_T6_T7_T9_mT8_P12ihipStream_tbDpT10_ENKUlT_T0_E_clISt17integral_constantIbLb1EES1A_EEDaS15_S16_EUlS15_E_NS1_11comp_targetILNS1_3genE0ELNS1_11target_archE4294967295ELNS1_3gpuE0ELNS1_3repE0EEENS1_30default_config_static_selectorELNS0_4arch9wavefront6targetE1EEEvT1_,"axG",@progbits,_ZN7rocprim17ROCPRIM_400000_NS6detail17trampoline_kernelINS0_14default_configENS1_25partition_config_selectorILNS1_17partition_subalgoE9EllbEEZZNS1_14partition_implILS5_9ELb0ES3_jPlS8_PNS0_10empty_typeENS0_5tupleIJS8_S9_EEENSB_IJS8_SA_EEENS0_18inequality_wrapperIZN2at6native12_GLOBAL__N_124unique_dim_cuda_templateIhEESt5tupleIJNSF_6TensorESK_SK_EERKSK_lbbbEUlllE0_EEPmJS9_EEE10hipError_tPvRmT3_T4_T5_T6_T7_T9_mT8_P12ihipStream_tbDpT10_ENKUlT_T0_E_clISt17integral_constantIbLb1EES1A_EEDaS15_S16_EUlS15_E_NS1_11comp_targetILNS1_3genE0ELNS1_11target_archE4294967295ELNS1_3gpuE0ELNS1_3repE0EEENS1_30default_config_static_selectorELNS0_4arch9wavefront6targetE1EEEvT1_,comdat
.Lfunc_end212:
	.size	_ZN7rocprim17ROCPRIM_400000_NS6detail17trampoline_kernelINS0_14default_configENS1_25partition_config_selectorILNS1_17partition_subalgoE9EllbEEZZNS1_14partition_implILS5_9ELb0ES3_jPlS8_PNS0_10empty_typeENS0_5tupleIJS8_S9_EEENSB_IJS8_SA_EEENS0_18inequality_wrapperIZN2at6native12_GLOBAL__N_124unique_dim_cuda_templateIhEESt5tupleIJNSF_6TensorESK_SK_EERKSK_lbbbEUlllE0_EEPmJS9_EEE10hipError_tPvRmT3_T4_T5_T6_T7_T9_mT8_P12ihipStream_tbDpT10_ENKUlT_T0_E_clISt17integral_constantIbLb1EES1A_EEDaS15_S16_EUlS15_E_NS1_11comp_targetILNS1_3genE0ELNS1_11target_archE4294967295ELNS1_3gpuE0ELNS1_3repE0EEENS1_30default_config_static_selectorELNS0_4arch9wavefront6targetE1EEEvT1_, .Lfunc_end212-_ZN7rocprim17ROCPRIM_400000_NS6detail17trampoline_kernelINS0_14default_configENS1_25partition_config_selectorILNS1_17partition_subalgoE9EllbEEZZNS1_14partition_implILS5_9ELb0ES3_jPlS8_PNS0_10empty_typeENS0_5tupleIJS8_S9_EEENSB_IJS8_SA_EEENS0_18inequality_wrapperIZN2at6native12_GLOBAL__N_124unique_dim_cuda_templateIhEESt5tupleIJNSF_6TensorESK_SK_EERKSK_lbbbEUlllE0_EEPmJS9_EEE10hipError_tPvRmT3_T4_T5_T6_T7_T9_mT8_P12ihipStream_tbDpT10_ENKUlT_T0_E_clISt17integral_constantIbLb1EES1A_EEDaS15_S16_EUlS15_E_NS1_11comp_targetILNS1_3genE0ELNS1_11target_archE4294967295ELNS1_3gpuE0ELNS1_3repE0EEENS1_30default_config_static_selectorELNS0_4arch9wavefront6targetE1EEEvT1_
                                        ; -- End function
	.set _ZN7rocprim17ROCPRIM_400000_NS6detail17trampoline_kernelINS0_14default_configENS1_25partition_config_selectorILNS1_17partition_subalgoE9EllbEEZZNS1_14partition_implILS5_9ELb0ES3_jPlS8_PNS0_10empty_typeENS0_5tupleIJS8_S9_EEENSB_IJS8_SA_EEENS0_18inequality_wrapperIZN2at6native12_GLOBAL__N_124unique_dim_cuda_templateIhEESt5tupleIJNSF_6TensorESK_SK_EERKSK_lbbbEUlllE0_EEPmJS9_EEE10hipError_tPvRmT3_T4_T5_T6_T7_T9_mT8_P12ihipStream_tbDpT10_ENKUlT_T0_E_clISt17integral_constantIbLb1EES1A_EEDaS15_S16_EUlS15_E_NS1_11comp_targetILNS1_3genE0ELNS1_11target_archE4294967295ELNS1_3gpuE0ELNS1_3repE0EEENS1_30default_config_static_selectorELNS0_4arch9wavefront6targetE1EEEvT1_.num_vgpr, 0
	.set _ZN7rocprim17ROCPRIM_400000_NS6detail17trampoline_kernelINS0_14default_configENS1_25partition_config_selectorILNS1_17partition_subalgoE9EllbEEZZNS1_14partition_implILS5_9ELb0ES3_jPlS8_PNS0_10empty_typeENS0_5tupleIJS8_S9_EEENSB_IJS8_SA_EEENS0_18inequality_wrapperIZN2at6native12_GLOBAL__N_124unique_dim_cuda_templateIhEESt5tupleIJNSF_6TensorESK_SK_EERKSK_lbbbEUlllE0_EEPmJS9_EEE10hipError_tPvRmT3_T4_T5_T6_T7_T9_mT8_P12ihipStream_tbDpT10_ENKUlT_T0_E_clISt17integral_constantIbLb1EES1A_EEDaS15_S16_EUlS15_E_NS1_11comp_targetILNS1_3genE0ELNS1_11target_archE4294967295ELNS1_3gpuE0ELNS1_3repE0EEENS1_30default_config_static_selectorELNS0_4arch9wavefront6targetE1EEEvT1_.num_agpr, 0
	.set _ZN7rocprim17ROCPRIM_400000_NS6detail17trampoline_kernelINS0_14default_configENS1_25partition_config_selectorILNS1_17partition_subalgoE9EllbEEZZNS1_14partition_implILS5_9ELb0ES3_jPlS8_PNS0_10empty_typeENS0_5tupleIJS8_S9_EEENSB_IJS8_SA_EEENS0_18inequality_wrapperIZN2at6native12_GLOBAL__N_124unique_dim_cuda_templateIhEESt5tupleIJNSF_6TensorESK_SK_EERKSK_lbbbEUlllE0_EEPmJS9_EEE10hipError_tPvRmT3_T4_T5_T6_T7_T9_mT8_P12ihipStream_tbDpT10_ENKUlT_T0_E_clISt17integral_constantIbLb1EES1A_EEDaS15_S16_EUlS15_E_NS1_11comp_targetILNS1_3genE0ELNS1_11target_archE4294967295ELNS1_3gpuE0ELNS1_3repE0EEENS1_30default_config_static_selectorELNS0_4arch9wavefront6targetE1EEEvT1_.numbered_sgpr, 0
	.set _ZN7rocprim17ROCPRIM_400000_NS6detail17trampoline_kernelINS0_14default_configENS1_25partition_config_selectorILNS1_17partition_subalgoE9EllbEEZZNS1_14partition_implILS5_9ELb0ES3_jPlS8_PNS0_10empty_typeENS0_5tupleIJS8_S9_EEENSB_IJS8_SA_EEENS0_18inequality_wrapperIZN2at6native12_GLOBAL__N_124unique_dim_cuda_templateIhEESt5tupleIJNSF_6TensorESK_SK_EERKSK_lbbbEUlllE0_EEPmJS9_EEE10hipError_tPvRmT3_T4_T5_T6_T7_T9_mT8_P12ihipStream_tbDpT10_ENKUlT_T0_E_clISt17integral_constantIbLb1EES1A_EEDaS15_S16_EUlS15_E_NS1_11comp_targetILNS1_3genE0ELNS1_11target_archE4294967295ELNS1_3gpuE0ELNS1_3repE0EEENS1_30default_config_static_selectorELNS0_4arch9wavefront6targetE1EEEvT1_.num_named_barrier, 0
	.set _ZN7rocprim17ROCPRIM_400000_NS6detail17trampoline_kernelINS0_14default_configENS1_25partition_config_selectorILNS1_17partition_subalgoE9EllbEEZZNS1_14partition_implILS5_9ELb0ES3_jPlS8_PNS0_10empty_typeENS0_5tupleIJS8_S9_EEENSB_IJS8_SA_EEENS0_18inequality_wrapperIZN2at6native12_GLOBAL__N_124unique_dim_cuda_templateIhEESt5tupleIJNSF_6TensorESK_SK_EERKSK_lbbbEUlllE0_EEPmJS9_EEE10hipError_tPvRmT3_T4_T5_T6_T7_T9_mT8_P12ihipStream_tbDpT10_ENKUlT_T0_E_clISt17integral_constantIbLb1EES1A_EEDaS15_S16_EUlS15_E_NS1_11comp_targetILNS1_3genE0ELNS1_11target_archE4294967295ELNS1_3gpuE0ELNS1_3repE0EEENS1_30default_config_static_selectorELNS0_4arch9wavefront6targetE1EEEvT1_.private_seg_size, 0
	.set _ZN7rocprim17ROCPRIM_400000_NS6detail17trampoline_kernelINS0_14default_configENS1_25partition_config_selectorILNS1_17partition_subalgoE9EllbEEZZNS1_14partition_implILS5_9ELb0ES3_jPlS8_PNS0_10empty_typeENS0_5tupleIJS8_S9_EEENSB_IJS8_SA_EEENS0_18inequality_wrapperIZN2at6native12_GLOBAL__N_124unique_dim_cuda_templateIhEESt5tupleIJNSF_6TensorESK_SK_EERKSK_lbbbEUlllE0_EEPmJS9_EEE10hipError_tPvRmT3_T4_T5_T6_T7_T9_mT8_P12ihipStream_tbDpT10_ENKUlT_T0_E_clISt17integral_constantIbLb1EES1A_EEDaS15_S16_EUlS15_E_NS1_11comp_targetILNS1_3genE0ELNS1_11target_archE4294967295ELNS1_3gpuE0ELNS1_3repE0EEENS1_30default_config_static_selectorELNS0_4arch9wavefront6targetE1EEEvT1_.uses_vcc, 0
	.set _ZN7rocprim17ROCPRIM_400000_NS6detail17trampoline_kernelINS0_14default_configENS1_25partition_config_selectorILNS1_17partition_subalgoE9EllbEEZZNS1_14partition_implILS5_9ELb0ES3_jPlS8_PNS0_10empty_typeENS0_5tupleIJS8_S9_EEENSB_IJS8_SA_EEENS0_18inequality_wrapperIZN2at6native12_GLOBAL__N_124unique_dim_cuda_templateIhEESt5tupleIJNSF_6TensorESK_SK_EERKSK_lbbbEUlllE0_EEPmJS9_EEE10hipError_tPvRmT3_T4_T5_T6_T7_T9_mT8_P12ihipStream_tbDpT10_ENKUlT_T0_E_clISt17integral_constantIbLb1EES1A_EEDaS15_S16_EUlS15_E_NS1_11comp_targetILNS1_3genE0ELNS1_11target_archE4294967295ELNS1_3gpuE0ELNS1_3repE0EEENS1_30default_config_static_selectorELNS0_4arch9wavefront6targetE1EEEvT1_.uses_flat_scratch, 0
	.set _ZN7rocprim17ROCPRIM_400000_NS6detail17trampoline_kernelINS0_14default_configENS1_25partition_config_selectorILNS1_17partition_subalgoE9EllbEEZZNS1_14partition_implILS5_9ELb0ES3_jPlS8_PNS0_10empty_typeENS0_5tupleIJS8_S9_EEENSB_IJS8_SA_EEENS0_18inequality_wrapperIZN2at6native12_GLOBAL__N_124unique_dim_cuda_templateIhEESt5tupleIJNSF_6TensorESK_SK_EERKSK_lbbbEUlllE0_EEPmJS9_EEE10hipError_tPvRmT3_T4_T5_T6_T7_T9_mT8_P12ihipStream_tbDpT10_ENKUlT_T0_E_clISt17integral_constantIbLb1EES1A_EEDaS15_S16_EUlS15_E_NS1_11comp_targetILNS1_3genE0ELNS1_11target_archE4294967295ELNS1_3gpuE0ELNS1_3repE0EEENS1_30default_config_static_selectorELNS0_4arch9wavefront6targetE1EEEvT1_.has_dyn_sized_stack, 0
	.set _ZN7rocprim17ROCPRIM_400000_NS6detail17trampoline_kernelINS0_14default_configENS1_25partition_config_selectorILNS1_17partition_subalgoE9EllbEEZZNS1_14partition_implILS5_9ELb0ES3_jPlS8_PNS0_10empty_typeENS0_5tupleIJS8_S9_EEENSB_IJS8_SA_EEENS0_18inequality_wrapperIZN2at6native12_GLOBAL__N_124unique_dim_cuda_templateIhEESt5tupleIJNSF_6TensorESK_SK_EERKSK_lbbbEUlllE0_EEPmJS9_EEE10hipError_tPvRmT3_T4_T5_T6_T7_T9_mT8_P12ihipStream_tbDpT10_ENKUlT_T0_E_clISt17integral_constantIbLb1EES1A_EEDaS15_S16_EUlS15_E_NS1_11comp_targetILNS1_3genE0ELNS1_11target_archE4294967295ELNS1_3gpuE0ELNS1_3repE0EEENS1_30default_config_static_selectorELNS0_4arch9wavefront6targetE1EEEvT1_.has_recursion, 0
	.set _ZN7rocprim17ROCPRIM_400000_NS6detail17trampoline_kernelINS0_14default_configENS1_25partition_config_selectorILNS1_17partition_subalgoE9EllbEEZZNS1_14partition_implILS5_9ELb0ES3_jPlS8_PNS0_10empty_typeENS0_5tupleIJS8_S9_EEENSB_IJS8_SA_EEENS0_18inequality_wrapperIZN2at6native12_GLOBAL__N_124unique_dim_cuda_templateIhEESt5tupleIJNSF_6TensorESK_SK_EERKSK_lbbbEUlllE0_EEPmJS9_EEE10hipError_tPvRmT3_T4_T5_T6_T7_T9_mT8_P12ihipStream_tbDpT10_ENKUlT_T0_E_clISt17integral_constantIbLb1EES1A_EEDaS15_S16_EUlS15_E_NS1_11comp_targetILNS1_3genE0ELNS1_11target_archE4294967295ELNS1_3gpuE0ELNS1_3repE0EEENS1_30default_config_static_selectorELNS0_4arch9wavefront6targetE1EEEvT1_.has_indirect_call, 0
	.section	.AMDGPU.csdata,"",@progbits
; Kernel info:
; codeLenInByte = 4
; TotalNumSgprs: 6
; NumVgprs: 0
; NumAgprs: 0
; TotalNumVgprs: 0
; ScratchSize: 0
; MemoryBound: 0
; FloatMode: 240
; IeeeMode: 1
; LDSByteSize: 0 bytes/workgroup (compile time only)
; SGPRBlocks: 0
; VGPRBlocks: 0
; NumSGPRsForWavesPerEU: 6
; NumVGPRsForWavesPerEU: 1
; AccumOffset: 4
; Occupancy: 8
; WaveLimiterHint : 0
; COMPUTE_PGM_RSRC2:SCRATCH_EN: 0
; COMPUTE_PGM_RSRC2:USER_SGPR: 2
; COMPUTE_PGM_RSRC2:TRAP_HANDLER: 0
; COMPUTE_PGM_RSRC2:TGID_X_EN: 1
; COMPUTE_PGM_RSRC2:TGID_Y_EN: 0
; COMPUTE_PGM_RSRC2:TGID_Z_EN: 0
; COMPUTE_PGM_RSRC2:TIDIG_COMP_CNT: 0
; COMPUTE_PGM_RSRC3_GFX90A:ACCUM_OFFSET: 0
; COMPUTE_PGM_RSRC3_GFX90A:TG_SPLIT: 0
	.section	.text._ZN7rocprim17ROCPRIM_400000_NS6detail17trampoline_kernelINS0_14default_configENS1_25partition_config_selectorILNS1_17partition_subalgoE9EllbEEZZNS1_14partition_implILS5_9ELb0ES3_jPlS8_PNS0_10empty_typeENS0_5tupleIJS8_S9_EEENSB_IJS8_SA_EEENS0_18inequality_wrapperIZN2at6native12_GLOBAL__N_124unique_dim_cuda_templateIhEESt5tupleIJNSF_6TensorESK_SK_EERKSK_lbbbEUlllE0_EEPmJS9_EEE10hipError_tPvRmT3_T4_T5_T6_T7_T9_mT8_P12ihipStream_tbDpT10_ENKUlT_T0_E_clISt17integral_constantIbLb1EES1A_EEDaS15_S16_EUlS15_E_NS1_11comp_targetILNS1_3genE5ELNS1_11target_archE942ELNS1_3gpuE9ELNS1_3repE0EEENS1_30default_config_static_selectorELNS0_4arch9wavefront6targetE1EEEvT1_,"axG",@progbits,_ZN7rocprim17ROCPRIM_400000_NS6detail17trampoline_kernelINS0_14default_configENS1_25partition_config_selectorILNS1_17partition_subalgoE9EllbEEZZNS1_14partition_implILS5_9ELb0ES3_jPlS8_PNS0_10empty_typeENS0_5tupleIJS8_S9_EEENSB_IJS8_SA_EEENS0_18inequality_wrapperIZN2at6native12_GLOBAL__N_124unique_dim_cuda_templateIhEESt5tupleIJNSF_6TensorESK_SK_EERKSK_lbbbEUlllE0_EEPmJS9_EEE10hipError_tPvRmT3_T4_T5_T6_T7_T9_mT8_P12ihipStream_tbDpT10_ENKUlT_T0_E_clISt17integral_constantIbLb1EES1A_EEDaS15_S16_EUlS15_E_NS1_11comp_targetILNS1_3genE5ELNS1_11target_archE942ELNS1_3gpuE9ELNS1_3repE0EEENS1_30default_config_static_selectorELNS0_4arch9wavefront6targetE1EEEvT1_,comdat
	.globl	_ZN7rocprim17ROCPRIM_400000_NS6detail17trampoline_kernelINS0_14default_configENS1_25partition_config_selectorILNS1_17partition_subalgoE9EllbEEZZNS1_14partition_implILS5_9ELb0ES3_jPlS8_PNS0_10empty_typeENS0_5tupleIJS8_S9_EEENSB_IJS8_SA_EEENS0_18inequality_wrapperIZN2at6native12_GLOBAL__N_124unique_dim_cuda_templateIhEESt5tupleIJNSF_6TensorESK_SK_EERKSK_lbbbEUlllE0_EEPmJS9_EEE10hipError_tPvRmT3_T4_T5_T6_T7_T9_mT8_P12ihipStream_tbDpT10_ENKUlT_T0_E_clISt17integral_constantIbLb1EES1A_EEDaS15_S16_EUlS15_E_NS1_11comp_targetILNS1_3genE5ELNS1_11target_archE942ELNS1_3gpuE9ELNS1_3repE0EEENS1_30default_config_static_selectorELNS0_4arch9wavefront6targetE1EEEvT1_ ; -- Begin function _ZN7rocprim17ROCPRIM_400000_NS6detail17trampoline_kernelINS0_14default_configENS1_25partition_config_selectorILNS1_17partition_subalgoE9EllbEEZZNS1_14partition_implILS5_9ELb0ES3_jPlS8_PNS0_10empty_typeENS0_5tupleIJS8_S9_EEENSB_IJS8_SA_EEENS0_18inequality_wrapperIZN2at6native12_GLOBAL__N_124unique_dim_cuda_templateIhEESt5tupleIJNSF_6TensorESK_SK_EERKSK_lbbbEUlllE0_EEPmJS9_EEE10hipError_tPvRmT3_T4_T5_T6_T7_T9_mT8_P12ihipStream_tbDpT10_ENKUlT_T0_E_clISt17integral_constantIbLb1EES1A_EEDaS15_S16_EUlS15_E_NS1_11comp_targetILNS1_3genE5ELNS1_11target_archE942ELNS1_3gpuE9ELNS1_3repE0EEENS1_30default_config_static_selectorELNS0_4arch9wavefront6targetE1EEEvT1_
	.p2align	8
	.type	_ZN7rocprim17ROCPRIM_400000_NS6detail17trampoline_kernelINS0_14default_configENS1_25partition_config_selectorILNS1_17partition_subalgoE9EllbEEZZNS1_14partition_implILS5_9ELb0ES3_jPlS8_PNS0_10empty_typeENS0_5tupleIJS8_S9_EEENSB_IJS8_SA_EEENS0_18inequality_wrapperIZN2at6native12_GLOBAL__N_124unique_dim_cuda_templateIhEESt5tupleIJNSF_6TensorESK_SK_EERKSK_lbbbEUlllE0_EEPmJS9_EEE10hipError_tPvRmT3_T4_T5_T6_T7_T9_mT8_P12ihipStream_tbDpT10_ENKUlT_T0_E_clISt17integral_constantIbLb1EES1A_EEDaS15_S16_EUlS15_E_NS1_11comp_targetILNS1_3genE5ELNS1_11target_archE942ELNS1_3gpuE9ELNS1_3repE0EEENS1_30default_config_static_selectorELNS0_4arch9wavefront6targetE1EEEvT1_,@function
_ZN7rocprim17ROCPRIM_400000_NS6detail17trampoline_kernelINS0_14default_configENS1_25partition_config_selectorILNS1_17partition_subalgoE9EllbEEZZNS1_14partition_implILS5_9ELb0ES3_jPlS8_PNS0_10empty_typeENS0_5tupleIJS8_S9_EEENSB_IJS8_SA_EEENS0_18inequality_wrapperIZN2at6native12_GLOBAL__N_124unique_dim_cuda_templateIhEESt5tupleIJNSF_6TensorESK_SK_EERKSK_lbbbEUlllE0_EEPmJS9_EEE10hipError_tPvRmT3_T4_T5_T6_T7_T9_mT8_P12ihipStream_tbDpT10_ENKUlT_T0_E_clISt17integral_constantIbLb1EES1A_EEDaS15_S16_EUlS15_E_NS1_11comp_targetILNS1_3genE5ELNS1_11target_archE942ELNS1_3gpuE9ELNS1_3repE0EEENS1_30default_config_static_selectorELNS0_4arch9wavefront6targetE1EEEvT1_: ; @_ZN7rocprim17ROCPRIM_400000_NS6detail17trampoline_kernelINS0_14default_configENS1_25partition_config_selectorILNS1_17partition_subalgoE9EllbEEZZNS1_14partition_implILS5_9ELb0ES3_jPlS8_PNS0_10empty_typeENS0_5tupleIJS8_S9_EEENSB_IJS8_SA_EEENS0_18inequality_wrapperIZN2at6native12_GLOBAL__N_124unique_dim_cuda_templateIhEESt5tupleIJNSF_6TensorESK_SK_EERKSK_lbbbEUlllE0_EEPmJS9_EEE10hipError_tPvRmT3_T4_T5_T6_T7_T9_mT8_P12ihipStream_tbDpT10_ENKUlT_T0_E_clISt17integral_constantIbLb1EES1A_EEDaS15_S16_EUlS15_E_NS1_11comp_targetILNS1_3genE5ELNS1_11target_archE942ELNS1_3gpuE9ELNS1_3repE0EEENS1_30default_config_static_selectorELNS0_4arch9wavefront6targetE1EEEvT1_
; %bb.0:
	.section	.rodata,"a",@progbits
	.p2align	6, 0x0
	.amdhsa_kernel _ZN7rocprim17ROCPRIM_400000_NS6detail17trampoline_kernelINS0_14default_configENS1_25partition_config_selectorILNS1_17partition_subalgoE9EllbEEZZNS1_14partition_implILS5_9ELb0ES3_jPlS8_PNS0_10empty_typeENS0_5tupleIJS8_S9_EEENSB_IJS8_SA_EEENS0_18inequality_wrapperIZN2at6native12_GLOBAL__N_124unique_dim_cuda_templateIhEESt5tupleIJNSF_6TensorESK_SK_EERKSK_lbbbEUlllE0_EEPmJS9_EEE10hipError_tPvRmT3_T4_T5_T6_T7_T9_mT8_P12ihipStream_tbDpT10_ENKUlT_T0_E_clISt17integral_constantIbLb1EES1A_EEDaS15_S16_EUlS15_E_NS1_11comp_targetILNS1_3genE5ELNS1_11target_archE942ELNS1_3gpuE9ELNS1_3repE0EEENS1_30default_config_static_selectorELNS0_4arch9wavefront6targetE1EEEvT1_
		.amdhsa_group_segment_fixed_size 0
		.amdhsa_private_segment_fixed_size 0
		.amdhsa_kernarg_size 136
		.amdhsa_user_sgpr_count 2
		.amdhsa_user_sgpr_dispatch_ptr 0
		.amdhsa_user_sgpr_queue_ptr 0
		.amdhsa_user_sgpr_kernarg_segment_ptr 1
		.amdhsa_user_sgpr_dispatch_id 0
		.amdhsa_user_sgpr_kernarg_preload_length 0
		.amdhsa_user_sgpr_kernarg_preload_offset 0
		.amdhsa_user_sgpr_private_segment_size 0
		.amdhsa_uses_dynamic_stack 0
		.amdhsa_enable_private_segment 0
		.amdhsa_system_sgpr_workgroup_id_x 1
		.amdhsa_system_sgpr_workgroup_id_y 0
		.amdhsa_system_sgpr_workgroup_id_z 0
		.amdhsa_system_sgpr_workgroup_info 0
		.amdhsa_system_vgpr_workitem_id 0
		.amdhsa_next_free_vgpr 1
		.amdhsa_next_free_sgpr 0
		.amdhsa_accum_offset 4
		.amdhsa_reserve_vcc 0
		.amdhsa_float_round_mode_32 0
		.amdhsa_float_round_mode_16_64 0
		.amdhsa_float_denorm_mode_32 3
		.amdhsa_float_denorm_mode_16_64 3
		.amdhsa_dx10_clamp 1
		.amdhsa_ieee_mode 1
		.amdhsa_fp16_overflow 0
		.amdhsa_tg_split 0
		.amdhsa_exception_fp_ieee_invalid_op 0
		.amdhsa_exception_fp_denorm_src 0
		.amdhsa_exception_fp_ieee_div_zero 0
		.amdhsa_exception_fp_ieee_overflow 0
		.amdhsa_exception_fp_ieee_underflow 0
		.amdhsa_exception_fp_ieee_inexact 0
		.amdhsa_exception_int_div_zero 0
	.end_amdhsa_kernel
	.section	.text._ZN7rocprim17ROCPRIM_400000_NS6detail17trampoline_kernelINS0_14default_configENS1_25partition_config_selectorILNS1_17partition_subalgoE9EllbEEZZNS1_14partition_implILS5_9ELb0ES3_jPlS8_PNS0_10empty_typeENS0_5tupleIJS8_S9_EEENSB_IJS8_SA_EEENS0_18inequality_wrapperIZN2at6native12_GLOBAL__N_124unique_dim_cuda_templateIhEESt5tupleIJNSF_6TensorESK_SK_EERKSK_lbbbEUlllE0_EEPmJS9_EEE10hipError_tPvRmT3_T4_T5_T6_T7_T9_mT8_P12ihipStream_tbDpT10_ENKUlT_T0_E_clISt17integral_constantIbLb1EES1A_EEDaS15_S16_EUlS15_E_NS1_11comp_targetILNS1_3genE5ELNS1_11target_archE942ELNS1_3gpuE9ELNS1_3repE0EEENS1_30default_config_static_selectorELNS0_4arch9wavefront6targetE1EEEvT1_,"axG",@progbits,_ZN7rocprim17ROCPRIM_400000_NS6detail17trampoline_kernelINS0_14default_configENS1_25partition_config_selectorILNS1_17partition_subalgoE9EllbEEZZNS1_14partition_implILS5_9ELb0ES3_jPlS8_PNS0_10empty_typeENS0_5tupleIJS8_S9_EEENSB_IJS8_SA_EEENS0_18inequality_wrapperIZN2at6native12_GLOBAL__N_124unique_dim_cuda_templateIhEESt5tupleIJNSF_6TensorESK_SK_EERKSK_lbbbEUlllE0_EEPmJS9_EEE10hipError_tPvRmT3_T4_T5_T6_T7_T9_mT8_P12ihipStream_tbDpT10_ENKUlT_T0_E_clISt17integral_constantIbLb1EES1A_EEDaS15_S16_EUlS15_E_NS1_11comp_targetILNS1_3genE5ELNS1_11target_archE942ELNS1_3gpuE9ELNS1_3repE0EEENS1_30default_config_static_selectorELNS0_4arch9wavefront6targetE1EEEvT1_,comdat
.Lfunc_end213:
	.size	_ZN7rocprim17ROCPRIM_400000_NS6detail17trampoline_kernelINS0_14default_configENS1_25partition_config_selectorILNS1_17partition_subalgoE9EllbEEZZNS1_14partition_implILS5_9ELb0ES3_jPlS8_PNS0_10empty_typeENS0_5tupleIJS8_S9_EEENSB_IJS8_SA_EEENS0_18inequality_wrapperIZN2at6native12_GLOBAL__N_124unique_dim_cuda_templateIhEESt5tupleIJNSF_6TensorESK_SK_EERKSK_lbbbEUlllE0_EEPmJS9_EEE10hipError_tPvRmT3_T4_T5_T6_T7_T9_mT8_P12ihipStream_tbDpT10_ENKUlT_T0_E_clISt17integral_constantIbLb1EES1A_EEDaS15_S16_EUlS15_E_NS1_11comp_targetILNS1_3genE5ELNS1_11target_archE942ELNS1_3gpuE9ELNS1_3repE0EEENS1_30default_config_static_selectorELNS0_4arch9wavefront6targetE1EEEvT1_, .Lfunc_end213-_ZN7rocprim17ROCPRIM_400000_NS6detail17trampoline_kernelINS0_14default_configENS1_25partition_config_selectorILNS1_17partition_subalgoE9EllbEEZZNS1_14partition_implILS5_9ELb0ES3_jPlS8_PNS0_10empty_typeENS0_5tupleIJS8_S9_EEENSB_IJS8_SA_EEENS0_18inequality_wrapperIZN2at6native12_GLOBAL__N_124unique_dim_cuda_templateIhEESt5tupleIJNSF_6TensorESK_SK_EERKSK_lbbbEUlllE0_EEPmJS9_EEE10hipError_tPvRmT3_T4_T5_T6_T7_T9_mT8_P12ihipStream_tbDpT10_ENKUlT_T0_E_clISt17integral_constantIbLb1EES1A_EEDaS15_S16_EUlS15_E_NS1_11comp_targetILNS1_3genE5ELNS1_11target_archE942ELNS1_3gpuE9ELNS1_3repE0EEENS1_30default_config_static_selectorELNS0_4arch9wavefront6targetE1EEEvT1_
                                        ; -- End function
	.set _ZN7rocprim17ROCPRIM_400000_NS6detail17trampoline_kernelINS0_14default_configENS1_25partition_config_selectorILNS1_17partition_subalgoE9EllbEEZZNS1_14partition_implILS5_9ELb0ES3_jPlS8_PNS0_10empty_typeENS0_5tupleIJS8_S9_EEENSB_IJS8_SA_EEENS0_18inequality_wrapperIZN2at6native12_GLOBAL__N_124unique_dim_cuda_templateIhEESt5tupleIJNSF_6TensorESK_SK_EERKSK_lbbbEUlllE0_EEPmJS9_EEE10hipError_tPvRmT3_T4_T5_T6_T7_T9_mT8_P12ihipStream_tbDpT10_ENKUlT_T0_E_clISt17integral_constantIbLb1EES1A_EEDaS15_S16_EUlS15_E_NS1_11comp_targetILNS1_3genE5ELNS1_11target_archE942ELNS1_3gpuE9ELNS1_3repE0EEENS1_30default_config_static_selectorELNS0_4arch9wavefront6targetE1EEEvT1_.num_vgpr, 0
	.set _ZN7rocprim17ROCPRIM_400000_NS6detail17trampoline_kernelINS0_14default_configENS1_25partition_config_selectorILNS1_17partition_subalgoE9EllbEEZZNS1_14partition_implILS5_9ELb0ES3_jPlS8_PNS0_10empty_typeENS0_5tupleIJS8_S9_EEENSB_IJS8_SA_EEENS0_18inequality_wrapperIZN2at6native12_GLOBAL__N_124unique_dim_cuda_templateIhEESt5tupleIJNSF_6TensorESK_SK_EERKSK_lbbbEUlllE0_EEPmJS9_EEE10hipError_tPvRmT3_T4_T5_T6_T7_T9_mT8_P12ihipStream_tbDpT10_ENKUlT_T0_E_clISt17integral_constantIbLb1EES1A_EEDaS15_S16_EUlS15_E_NS1_11comp_targetILNS1_3genE5ELNS1_11target_archE942ELNS1_3gpuE9ELNS1_3repE0EEENS1_30default_config_static_selectorELNS0_4arch9wavefront6targetE1EEEvT1_.num_agpr, 0
	.set _ZN7rocprim17ROCPRIM_400000_NS6detail17trampoline_kernelINS0_14default_configENS1_25partition_config_selectorILNS1_17partition_subalgoE9EllbEEZZNS1_14partition_implILS5_9ELb0ES3_jPlS8_PNS0_10empty_typeENS0_5tupleIJS8_S9_EEENSB_IJS8_SA_EEENS0_18inequality_wrapperIZN2at6native12_GLOBAL__N_124unique_dim_cuda_templateIhEESt5tupleIJNSF_6TensorESK_SK_EERKSK_lbbbEUlllE0_EEPmJS9_EEE10hipError_tPvRmT3_T4_T5_T6_T7_T9_mT8_P12ihipStream_tbDpT10_ENKUlT_T0_E_clISt17integral_constantIbLb1EES1A_EEDaS15_S16_EUlS15_E_NS1_11comp_targetILNS1_3genE5ELNS1_11target_archE942ELNS1_3gpuE9ELNS1_3repE0EEENS1_30default_config_static_selectorELNS0_4arch9wavefront6targetE1EEEvT1_.numbered_sgpr, 0
	.set _ZN7rocprim17ROCPRIM_400000_NS6detail17trampoline_kernelINS0_14default_configENS1_25partition_config_selectorILNS1_17partition_subalgoE9EllbEEZZNS1_14partition_implILS5_9ELb0ES3_jPlS8_PNS0_10empty_typeENS0_5tupleIJS8_S9_EEENSB_IJS8_SA_EEENS0_18inequality_wrapperIZN2at6native12_GLOBAL__N_124unique_dim_cuda_templateIhEESt5tupleIJNSF_6TensorESK_SK_EERKSK_lbbbEUlllE0_EEPmJS9_EEE10hipError_tPvRmT3_T4_T5_T6_T7_T9_mT8_P12ihipStream_tbDpT10_ENKUlT_T0_E_clISt17integral_constantIbLb1EES1A_EEDaS15_S16_EUlS15_E_NS1_11comp_targetILNS1_3genE5ELNS1_11target_archE942ELNS1_3gpuE9ELNS1_3repE0EEENS1_30default_config_static_selectorELNS0_4arch9wavefront6targetE1EEEvT1_.num_named_barrier, 0
	.set _ZN7rocprim17ROCPRIM_400000_NS6detail17trampoline_kernelINS0_14default_configENS1_25partition_config_selectorILNS1_17partition_subalgoE9EllbEEZZNS1_14partition_implILS5_9ELb0ES3_jPlS8_PNS0_10empty_typeENS0_5tupleIJS8_S9_EEENSB_IJS8_SA_EEENS0_18inequality_wrapperIZN2at6native12_GLOBAL__N_124unique_dim_cuda_templateIhEESt5tupleIJNSF_6TensorESK_SK_EERKSK_lbbbEUlllE0_EEPmJS9_EEE10hipError_tPvRmT3_T4_T5_T6_T7_T9_mT8_P12ihipStream_tbDpT10_ENKUlT_T0_E_clISt17integral_constantIbLb1EES1A_EEDaS15_S16_EUlS15_E_NS1_11comp_targetILNS1_3genE5ELNS1_11target_archE942ELNS1_3gpuE9ELNS1_3repE0EEENS1_30default_config_static_selectorELNS0_4arch9wavefront6targetE1EEEvT1_.private_seg_size, 0
	.set _ZN7rocprim17ROCPRIM_400000_NS6detail17trampoline_kernelINS0_14default_configENS1_25partition_config_selectorILNS1_17partition_subalgoE9EllbEEZZNS1_14partition_implILS5_9ELb0ES3_jPlS8_PNS0_10empty_typeENS0_5tupleIJS8_S9_EEENSB_IJS8_SA_EEENS0_18inequality_wrapperIZN2at6native12_GLOBAL__N_124unique_dim_cuda_templateIhEESt5tupleIJNSF_6TensorESK_SK_EERKSK_lbbbEUlllE0_EEPmJS9_EEE10hipError_tPvRmT3_T4_T5_T6_T7_T9_mT8_P12ihipStream_tbDpT10_ENKUlT_T0_E_clISt17integral_constantIbLb1EES1A_EEDaS15_S16_EUlS15_E_NS1_11comp_targetILNS1_3genE5ELNS1_11target_archE942ELNS1_3gpuE9ELNS1_3repE0EEENS1_30default_config_static_selectorELNS0_4arch9wavefront6targetE1EEEvT1_.uses_vcc, 0
	.set _ZN7rocprim17ROCPRIM_400000_NS6detail17trampoline_kernelINS0_14default_configENS1_25partition_config_selectorILNS1_17partition_subalgoE9EllbEEZZNS1_14partition_implILS5_9ELb0ES3_jPlS8_PNS0_10empty_typeENS0_5tupleIJS8_S9_EEENSB_IJS8_SA_EEENS0_18inequality_wrapperIZN2at6native12_GLOBAL__N_124unique_dim_cuda_templateIhEESt5tupleIJNSF_6TensorESK_SK_EERKSK_lbbbEUlllE0_EEPmJS9_EEE10hipError_tPvRmT3_T4_T5_T6_T7_T9_mT8_P12ihipStream_tbDpT10_ENKUlT_T0_E_clISt17integral_constantIbLb1EES1A_EEDaS15_S16_EUlS15_E_NS1_11comp_targetILNS1_3genE5ELNS1_11target_archE942ELNS1_3gpuE9ELNS1_3repE0EEENS1_30default_config_static_selectorELNS0_4arch9wavefront6targetE1EEEvT1_.uses_flat_scratch, 0
	.set _ZN7rocprim17ROCPRIM_400000_NS6detail17trampoline_kernelINS0_14default_configENS1_25partition_config_selectorILNS1_17partition_subalgoE9EllbEEZZNS1_14partition_implILS5_9ELb0ES3_jPlS8_PNS0_10empty_typeENS0_5tupleIJS8_S9_EEENSB_IJS8_SA_EEENS0_18inequality_wrapperIZN2at6native12_GLOBAL__N_124unique_dim_cuda_templateIhEESt5tupleIJNSF_6TensorESK_SK_EERKSK_lbbbEUlllE0_EEPmJS9_EEE10hipError_tPvRmT3_T4_T5_T6_T7_T9_mT8_P12ihipStream_tbDpT10_ENKUlT_T0_E_clISt17integral_constantIbLb1EES1A_EEDaS15_S16_EUlS15_E_NS1_11comp_targetILNS1_3genE5ELNS1_11target_archE942ELNS1_3gpuE9ELNS1_3repE0EEENS1_30default_config_static_selectorELNS0_4arch9wavefront6targetE1EEEvT1_.has_dyn_sized_stack, 0
	.set _ZN7rocprim17ROCPRIM_400000_NS6detail17trampoline_kernelINS0_14default_configENS1_25partition_config_selectorILNS1_17partition_subalgoE9EllbEEZZNS1_14partition_implILS5_9ELb0ES3_jPlS8_PNS0_10empty_typeENS0_5tupleIJS8_S9_EEENSB_IJS8_SA_EEENS0_18inequality_wrapperIZN2at6native12_GLOBAL__N_124unique_dim_cuda_templateIhEESt5tupleIJNSF_6TensorESK_SK_EERKSK_lbbbEUlllE0_EEPmJS9_EEE10hipError_tPvRmT3_T4_T5_T6_T7_T9_mT8_P12ihipStream_tbDpT10_ENKUlT_T0_E_clISt17integral_constantIbLb1EES1A_EEDaS15_S16_EUlS15_E_NS1_11comp_targetILNS1_3genE5ELNS1_11target_archE942ELNS1_3gpuE9ELNS1_3repE0EEENS1_30default_config_static_selectorELNS0_4arch9wavefront6targetE1EEEvT1_.has_recursion, 0
	.set _ZN7rocprim17ROCPRIM_400000_NS6detail17trampoline_kernelINS0_14default_configENS1_25partition_config_selectorILNS1_17partition_subalgoE9EllbEEZZNS1_14partition_implILS5_9ELb0ES3_jPlS8_PNS0_10empty_typeENS0_5tupleIJS8_S9_EEENSB_IJS8_SA_EEENS0_18inequality_wrapperIZN2at6native12_GLOBAL__N_124unique_dim_cuda_templateIhEESt5tupleIJNSF_6TensorESK_SK_EERKSK_lbbbEUlllE0_EEPmJS9_EEE10hipError_tPvRmT3_T4_T5_T6_T7_T9_mT8_P12ihipStream_tbDpT10_ENKUlT_T0_E_clISt17integral_constantIbLb1EES1A_EEDaS15_S16_EUlS15_E_NS1_11comp_targetILNS1_3genE5ELNS1_11target_archE942ELNS1_3gpuE9ELNS1_3repE0EEENS1_30default_config_static_selectorELNS0_4arch9wavefront6targetE1EEEvT1_.has_indirect_call, 0
	.section	.AMDGPU.csdata,"",@progbits
; Kernel info:
; codeLenInByte = 0
; TotalNumSgprs: 6
; NumVgprs: 0
; NumAgprs: 0
; TotalNumVgprs: 0
; ScratchSize: 0
; MemoryBound: 0
; FloatMode: 240
; IeeeMode: 1
; LDSByteSize: 0 bytes/workgroup (compile time only)
; SGPRBlocks: 0
; VGPRBlocks: 0
; NumSGPRsForWavesPerEU: 6
; NumVGPRsForWavesPerEU: 1
; AccumOffset: 4
; Occupancy: 8
; WaveLimiterHint : 0
; COMPUTE_PGM_RSRC2:SCRATCH_EN: 0
; COMPUTE_PGM_RSRC2:USER_SGPR: 2
; COMPUTE_PGM_RSRC2:TRAP_HANDLER: 0
; COMPUTE_PGM_RSRC2:TGID_X_EN: 1
; COMPUTE_PGM_RSRC2:TGID_Y_EN: 0
; COMPUTE_PGM_RSRC2:TGID_Z_EN: 0
; COMPUTE_PGM_RSRC2:TIDIG_COMP_CNT: 0
; COMPUTE_PGM_RSRC3_GFX90A:ACCUM_OFFSET: 0
; COMPUTE_PGM_RSRC3_GFX90A:TG_SPLIT: 0
	.section	.text._ZN7rocprim17ROCPRIM_400000_NS6detail17trampoline_kernelINS0_14default_configENS1_25partition_config_selectorILNS1_17partition_subalgoE9EllbEEZZNS1_14partition_implILS5_9ELb0ES3_jPlS8_PNS0_10empty_typeENS0_5tupleIJS8_S9_EEENSB_IJS8_SA_EEENS0_18inequality_wrapperIZN2at6native12_GLOBAL__N_124unique_dim_cuda_templateIhEESt5tupleIJNSF_6TensorESK_SK_EERKSK_lbbbEUlllE0_EEPmJS9_EEE10hipError_tPvRmT3_T4_T5_T6_T7_T9_mT8_P12ihipStream_tbDpT10_ENKUlT_T0_E_clISt17integral_constantIbLb1EES1A_EEDaS15_S16_EUlS15_E_NS1_11comp_targetILNS1_3genE4ELNS1_11target_archE910ELNS1_3gpuE8ELNS1_3repE0EEENS1_30default_config_static_selectorELNS0_4arch9wavefront6targetE1EEEvT1_,"axG",@progbits,_ZN7rocprim17ROCPRIM_400000_NS6detail17trampoline_kernelINS0_14default_configENS1_25partition_config_selectorILNS1_17partition_subalgoE9EllbEEZZNS1_14partition_implILS5_9ELb0ES3_jPlS8_PNS0_10empty_typeENS0_5tupleIJS8_S9_EEENSB_IJS8_SA_EEENS0_18inequality_wrapperIZN2at6native12_GLOBAL__N_124unique_dim_cuda_templateIhEESt5tupleIJNSF_6TensorESK_SK_EERKSK_lbbbEUlllE0_EEPmJS9_EEE10hipError_tPvRmT3_T4_T5_T6_T7_T9_mT8_P12ihipStream_tbDpT10_ENKUlT_T0_E_clISt17integral_constantIbLb1EES1A_EEDaS15_S16_EUlS15_E_NS1_11comp_targetILNS1_3genE4ELNS1_11target_archE910ELNS1_3gpuE8ELNS1_3repE0EEENS1_30default_config_static_selectorELNS0_4arch9wavefront6targetE1EEEvT1_,comdat
	.globl	_ZN7rocprim17ROCPRIM_400000_NS6detail17trampoline_kernelINS0_14default_configENS1_25partition_config_selectorILNS1_17partition_subalgoE9EllbEEZZNS1_14partition_implILS5_9ELb0ES3_jPlS8_PNS0_10empty_typeENS0_5tupleIJS8_S9_EEENSB_IJS8_SA_EEENS0_18inequality_wrapperIZN2at6native12_GLOBAL__N_124unique_dim_cuda_templateIhEESt5tupleIJNSF_6TensorESK_SK_EERKSK_lbbbEUlllE0_EEPmJS9_EEE10hipError_tPvRmT3_T4_T5_T6_T7_T9_mT8_P12ihipStream_tbDpT10_ENKUlT_T0_E_clISt17integral_constantIbLb1EES1A_EEDaS15_S16_EUlS15_E_NS1_11comp_targetILNS1_3genE4ELNS1_11target_archE910ELNS1_3gpuE8ELNS1_3repE0EEENS1_30default_config_static_selectorELNS0_4arch9wavefront6targetE1EEEvT1_ ; -- Begin function _ZN7rocprim17ROCPRIM_400000_NS6detail17trampoline_kernelINS0_14default_configENS1_25partition_config_selectorILNS1_17partition_subalgoE9EllbEEZZNS1_14partition_implILS5_9ELb0ES3_jPlS8_PNS0_10empty_typeENS0_5tupleIJS8_S9_EEENSB_IJS8_SA_EEENS0_18inequality_wrapperIZN2at6native12_GLOBAL__N_124unique_dim_cuda_templateIhEESt5tupleIJNSF_6TensorESK_SK_EERKSK_lbbbEUlllE0_EEPmJS9_EEE10hipError_tPvRmT3_T4_T5_T6_T7_T9_mT8_P12ihipStream_tbDpT10_ENKUlT_T0_E_clISt17integral_constantIbLb1EES1A_EEDaS15_S16_EUlS15_E_NS1_11comp_targetILNS1_3genE4ELNS1_11target_archE910ELNS1_3gpuE8ELNS1_3repE0EEENS1_30default_config_static_selectorELNS0_4arch9wavefront6targetE1EEEvT1_
	.p2align	8
	.type	_ZN7rocprim17ROCPRIM_400000_NS6detail17trampoline_kernelINS0_14default_configENS1_25partition_config_selectorILNS1_17partition_subalgoE9EllbEEZZNS1_14partition_implILS5_9ELb0ES3_jPlS8_PNS0_10empty_typeENS0_5tupleIJS8_S9_EEENSB_IJS8_SA_EEENS0_18inequality_wrapperIZN2at6native12_GLOBAL__N_124unique_dim_cuda_templateIhEESt5tupleIJNSF_6TensorESK_SK_EERKSK_lbbbEUlllE0_EEPmJS9_EEE10hipError_tPvRmT3_T4_T5_T6_T7_T9_mT8_P12ihipStream_tbDpT10_ENKUlT_T0_E_clISt17integral_constantIbLb1EES1A_EEDaS15_S16_EUlS15_E_NS1_11comp_targetILNS1_3genE4ELNS1_11target_archE910ELNS1_3gpuE8ELNS1_3repE0EEENS1_30default_config_static_selectorELNS0_4arch9wavefront6targetE1EEEvT1_,@function
_ZN7rocprim17ROCPRIM_400000_NS6detail17trampoline_kernelINS0_14default_configENS1_25partition_config_selectorILNS1_17partition_subalgoE9EllbEEZZNS1_14partition_implILS5_9ELb0ES3_jPlS8_PNS0_10empty_typeENS0_5tupleIJS8_S9_EEENSB_IJS8_SA_EEENS0_18inequality_wrapperIZN2at6native12_GLOBAL__N_124unique_dim_cuda_templateIhEESt5tupleIJNSF_6TensorESK_SK_EERKSK_lbbbEUlllE0_EEPmJS9_EEE10hipError_tPvRmT3_T4_T5_T6_T7_T9_mT8_P12ihipStream_tbDpT10_ENKUlT_T0_E_clISt17integral_constantIbLb1EES1A_EEDaS15_S16_EUlS15_E_NS1_11comp_targetILNS1_3genE4ELNS1_11target_archE910ELNS1_3gpuE8ELNS1_3repE0EEENS1_30default_config_static_selectorELNS0_4arch9wavefront6targetE1EEEvT1_: ; @_ZN7rocprim17ROCPRIM_400000_NS6detail17trampoline_kernelINS0_14default_configENS1_25partition_config_selectorILNS1_17partition_subalgoE9EllbEEZZNS1_14partition_implILS5_9ELb0ES3_jPlS8_PNS0_10empty_typeENS0_5tupleIJS8_S9_EEENSB_IJS8_SA_EEENS0_18inequality_wrapperIZN2at6native12_GLOBAL__N_124unique_dim_cuda_templateIhEESt5tupleIJNSF_6TensorESK_SK_EERKSK_lbbbEUlllE0_EEPmJS9_EEE10hipError_tPvRmT3_T4_T5_T6_T7_T9_mT8_P12ihipStream_tbDpT10_ENKUlT_T0_E_clISt17integral_constantIbLb1EES1A_EEDaS15_S16_EUlS15_E_NS1_11comp_targetILNS1_3genE4ELNS1_11target_archE910ELNS1_3gpuE8ELNS1_3repE0EEENS1_30default_config_static_selectorELNS0_4arch9wavefront6targetE1EEEvT1_
; %bb.0:
	.section	.rodata,"a",@progbits
	.p2align	6, 0x0
	.amdhsa_kernel _ZN7rocprim17ROCPRIM_400000_NS6detail17trampoline_kernelINS0_14default_configENS1_25partition_config_selectorILNS1_17partition_subalgoE9EllbEEZZNS1_14partition_implILS5_9ELb0ES3_jPlS8_PNS0_10empty_typeENS0_5tupleIJS8_S9_EEENSB_IJS8_SA_EEENS0_18inequality_wrapperIZN2at6native12_GLOBAL__N_124unique_dim_cuda_templateIhEESt5tupleIJNSF_6TensorESK_SK_EERKSK_lbbbEUlllE0_EEPmJS9_EEE10hipError_tPvRmT3_T4_T5_T6_T7_T9_mT8_P12ihipStream_tbDpT10_ENKUlT_T0_E_clISt17integral_constantIbLb1EES1A_EEDaS15_S16_EUlS15_E_NS1_11comp_targetILNS1_3genE4ELNS1_11target_archE910ELNS1_3gpuE8ELNS1_3repE0EEENS1_30default_config_static_selectorELNS0_4arch9wavefront6targetE1EEEvT1_
		.amdhsa_group_segment_fixed_size 0
		.amdhsa_private_segment_fixed_size 0
		.amdhsa_kernarg_size 136
		.amdhsa_user_sgpr_count 2
		.amdhsa_user_sgpr_dispatch_ptr 0
		.amdhsa_user_sgpr_queue_ptr 0
		.amdhsa_user_sgpr_kernarg_segment_ptr 1
		.amdhsa_user_sgpr_dispatch_id 0
		.amdhsa_user_sgpr_kernarg_preload_length 0
		.amdhsa_user_sgpr_kernarg_preload_offset 0
		.amdhsa_user_sgpr_private_segment_size 0
		.amdhsa_uses_dynamic_stack 0
		.amdhsa_enable_private_segment 0
		.amdhsa_system_sgpr_workgroup_id_x 1
		.amdhsa_system_sgpr_workgroup_id_y 0
		.amdhsa_system_sgpr_workgroup_id_z 0
		.amdhsa_system_sgpr_workgroup_info 0
		.amdhsa_system_vgpr_workitem_id 0
		.amdhsa_next_free_vgpr 1
		.amdhsa_next_free_sgpr 0
		.amdhsa_accum_offset 4
		.amdhsa_reserve_vcc 0
		.amdhsa_float_round_mode_32 0
		.amdhsa_float_round_mode_16_64 0
		.amdhsa_float_denorm_mode_32 3
		.amdhsa_float_denorm_mode_16_64 3
		.amdhsa_dx10_clamp 1
		.amdhsa_ieee_mode 1
		.amdhsa_fp16_overflow 0
		.amdhsa_tg_split 0
		.amdhsa_exception_fp_ieee_invalid_op 0
		.amdhsa_exception_fp_denorm_src 0
		.amdhsa_exception_fp_ieee_div_zero 0
		.amdhsa_exception_fp_ieee_overflow 0
		.amdhsa_exception_fp_ieee_underflow 0
		.amdhsa_exception_fp_ieee_inexact 0
		.amdhsa_exception_int_div_zero 0
	.end_amdhsa_kernel
	.section	.text._ZN7rocprim17ROCPRIM_400000_NS6detail17trampoline_kernelINS0_14default_configENS1_25partition_config_selectorILNS1_17partition_subalgoE9EllbEEZZNS1_14partition_implILS5_9ELb0ES3_jPlS8_PNS0_10empty_typeENS0_5tupleIJS8_S9_EEENSB_IJS8_SA_EEENS0_18inequality_wrapperIZN2at6native12_GLOBAL__N_124unique_dim_cuda_templateIhEESt5tupleIJNSF_6TensorESK_SK_EERKSK_lbbbEUlllE0_EEPmJS9_EEE10hipError_tPvRmT3_T4_T5_T6_T7_T9_mT8_P12ihipStream_tbDpT10_ENKUlT_T0_E_clISt17integral_constantIbLb1EES1A_EEDaS15_S16_EUlS15_E_NS1_11comp_targetILNS1_3genE4ELNS1_11target_archE910ELNS1_3gpuE8ELNS1_3repE0EEENS1_30default_config_static_selectorELNS0_4arch9wavefront6targetE1EEEvT1_,"axG",@progbits,_ZN7rocprim17ROCPRIM_400000_NS6detail17trampoline_kernelINS0_14default_configENS1_25partition_config_selectorILNS1_17partition_subalgoE9EllbEEZZNS1_14partition_implILS5_9ELb0ES3_jPlS8_PNS0_10empty_typeENS0_5tupleIJS8_S9_EEENSB_IJS8_SA_EEENS0_18inequality_wrapperIZN2at6native12_GLOBAL__N_124unique_dim_cuda_templateIhEESt5tupleIJNSF_6TensorESK_SK_EERKSK_lbbbEUlllE0_EEPmJS9_EEE10hipError_tPvRmT3_T4_T5_T6_T7_T9_mT8_P12ihipStream_tbDpT10_ENKUlT_T0_E_clISt17integral_constantIbLb1EES1A_EEDaS15_S16_EUlS15_E_NS1_11comp_targetILNS1_3genE4ELNS1_11target_archE910ELNS1_3gpuE8ELNS1_3repE0EEENS1_30default_config_static_selectorELNS0_4arch9wavefront6targetE1EEEvT1_,comdat
.Lfunc_end214:
	.size	_ZN7rocprim17ROCPRIM_400000_NS6detail17trampoline_kernelINS0_14default_configENS1_25partition_config_selectorILNS1_17partition_subalgoE9EllbEEZZNS1_14partition_implILS5_9ELb0ES3_jPlS8_PNS0_10empty_typeENS0_5tupleIJS8_S9_EEENSB_IJS8_SA_EEENS0_18inequality_wrapperIZN2at6native12_GLOBAL__N_124unique_dim_cuda_templateIhEESt5tupleIJNSF_6TensorESK_SK_EERKSK_lbbbEUlllE0_EEPmJS9_EEE10hipError_tPvRmT3_T4_T5_T6_T7_T9_mT8_P12ihipStream_tbDpT10_ENKUlT_T0_E_clISt17integral_constantIbLb1EES1A_EEDaS15_S16_EUlS15_E_NS1_11comp_targetILNS1_3genE4ELNS1_11target_archE910ELNS1_3gpuE8ELNS1_3repE0EEENS1_30default_config_static_selectorELNS0_4arch9wavefront6targetE1EEEvT1_, .Lfunc_end214-_ZN7rocprim17ROCPRIM_400000_NS6detail17trampoline_kernelINS0_14default_configENS1_25partition_config_selectorILNS1_17partition_subalgoE9EllbEEZZNS1_14partition_implILS5_9ELb0ES3_jPlS8_PNS0_10empty_typeENS0_5tupleIJS8_S9_EEENSB_IJS8_SA_EEENS0_18inequality_wrapperIZN2at6native12_GLOBAL__N_124unique_dim_cuda_templateIhEESt5tupleIJNSF_6TensorESK_SK_EERKSK_lbbbEUlllE0_EEPmJS9_EEE10hipError_tPvRmT3_T4_T5_T6_T7_T9_mT8_P12ihipStream_tbDpT10_ENKUlT_T0_E_clISt17integral_constantIbLb1EES1A_EEDaS15_S16_EUlS15_E_NS1_11comp_targetILNS1_3genE4ELNS1_11target_archE910ELNS1_3gpuE8ELNS1_3repE0EEENS1_30default_config_static_selectorELNS0_4arch9wavefront6targetE1EEEvT1_
                                        ; -- End function
	.set _ZN7rocprim17ROCPRIM_400000_NS6detail17trampoline_kernelINS0_14default_configENS1_25partition_config_selectorILNS1_17partition_subalgoE9EllbEEZZNS1_14partition_implILS5_9ELb0ES3_jPlS8_PNS0_10empty_typeENS0_5tupleIJS8_S9_EEENSB_IJS8_SA_EEENS0_18inequality_wrapperIZN2at6native12_GLOBAL__N_124unique_dim_cuda_templateIhEESt5tupleIJNSF_6TensorESK_SK_EERKSK_lbbbEUlllE0_EEPmJS9_EEE10hipError_tPvRmT3_T4_T5_T6_T7_T9_mT8_P12ihipStream_tbDpT10_ENKUlT_T0_E_clISt17integral_constantIbLb1EES1A_EEDaS15_S16_EUlS15_E_NS1_11comp_targetILNS1_3genE4ELNS1_11target_archE910ELNS1_3gpuE8ELNS1_3repE0EEENS1_30default_config_static_selectorELNS0_4arch9wavefront6targetE1EEEvT1_.num_vgpr, 0
	.set _ZN7rocprim17ROCPRIM_400000_NS6detail17trampoline_kernelINS0_14default_configENS1_25partition_config_selectorILNS1_17partition_subalgoE9EllbEEZZNS1_14partition_implILS5_9ELb0ES3_jPlS8_PNS0_10empty_typeENS0_5tupleIJS8_S9_EEENSB_IJS8_SA_EEENS0_18inequality_wrapperIZN2at6native12_GLOBAL__N_124unique_dim_cuda_templateIhEESt5tupleIJNSF_6TensorESK_SK_EERKSK_lbbbEUlllE0_EEPmJS9_EEE10hipError_tPvRmT3_T4_T5_T6_T7_T9_mT8_P12ihipStream_tbDpT10_ENKUlT_T0_E_clISt17integral_constantIbLb1EES1A_EEDaS15_S16_EUlS15_E_NS1_11comp_targetILNS1_3genE4ELNS1_11target_archE910ELNS1_3gpuE8ELNS1_3repE0EEENS1_30default_config_static_selectorELNS0_4arch9wavefront6targetE1EEEvT1_.num_agpr, 0
	.set _ZN7rocprim17ROCPRIM_400000_NS6detail17trampoline_kernelINS0_14default_configENS1_25partition_config_selectorILNS1_17partition_subalgoE9EllbEEZZNS1_14partition_implILS5_9ELb0ES3_jPlS8_PNS0_10empty_typeENS0_5tupleIJS8_S9_EEENSB_IJS8_SA_EEENS0_18inequality_wrapperIZN2at6native12_GLOBAL__N_124unique_dim_cuda_templateIhEESt5tupleIJNSF_6TensorESK_SK_EERKSK_lbbbEUlllE0_EEPmJS9_EEE10hipError_tPvRmT3_T4_T5_T6_T7_T9_mT8_P12ihipStream_tbDpT10_ENKUlT_T0_E_clISt17integral_constantIbLb1EES1A_EEDaS15_S16_EUlS15_E_NS1_11comp_targetILNS1_3genE4ELNS1_11target_archE910ELNS1_3gpuE8ELNS1_3repE0EEENS1_30default_config_static_selectorELNS0_4arch9wavefront6targetE1EEEvT1_.numbered_sgpr, 0
	.set _ZN7rocprim17ROCPRIM_400000_NS6detail17trampoline_kernelINS0_14default_configENS1_25partition_config_selectorILNS1_17partition_subalgoE9EllbEEZZNS1_14partition_implILS5_9ELb0ES3_jPlS8_PNS0_10empty_typeENS0_5tupleIJS8_S9_EEENSB_IJS8_SA_EEENS0_18inequality_wrapperIZN2at6native12_GLOBAL__N_124unique_dim_cuda_templateIhEESt5tupleIJNSF_6TensorESK_SK_EERKSK_lbbbEUlllE0_EEPmJS9_EEE10hipError_tPvRmT3_T4_T5_T6_T7_T9_mT8_P12ihipStream_tbDpT10_ENKUlT_T0_E_clISt17integral_constantIbLb1EES1A_EEDaS15_S16_EUlS15_E_NS1_11comp_targetILNS1_3genE4ELNS1_11target_archE910ELNS1_3gpuE8ELNS1_3repE0EEENS1_30default_config_static_selectorELNS0_4arch9wavefront6targetE1EEEvT1_.num_named_barrier, 0
	.set _ZN7rocprim17ROCPRIM_400000_NS6detail17trampoline_kernelINS0_14default_configENS1_25partition_config_selectorILNS1_17partition_subalgoE9EllbEEZZNS1_14partition_implILS5_9ELb0ES3_jPlS8_PNS0_10empty_typeENS0_5tupleIJS8_S9_EEENSB_IJS8_SA_EEENS0_18inequality_wrapperIZN2at6native12_GLOBAL__N_124unique_dim_cuda_templateIhEESt5tupleIJNSF_6TensorESK_SK_EERKSK_lbbbEUlllE0_EEPmJS9_EEE10hipError_tPvRmT3_T4_T5_T6_T7_T9_mT8_P12ihipStream_tbDpT10_ENKUlT_T0_E_clISt17integral_constantIbLb1EES1A_EEDaS15_S16_EUlS15_E_NS1_11comp_targetILNS1_3genE4ELNS1_11target_archE910ELNS1_3gpuE8ELNS1_3repE0EEENS1_30default_config_static_selectorELNS0_4arch9wavefront6targetE1EEEvT1_.private_seg_size, 0
	.set _ZN7rocprim17ROCPRIM_400000_NS6detail17trampoline_kernelINS0_14default_configENS1_25partition_config_selectorILNS1_17partition_subalgoE9EllbEEZZNS1_14partition_implILS5_9ELb0ES3_jPlS8_PNS0_10empty_typeENS0_5tupleIJS8_S9_EEENSB_IJS8_SA_EEENS0_18inequality_wrapperIZN2at6native12_GLOBAL__N_124unique_dim_cuda_templateIhEESt5tupleIJNSF_6TensorESK_SK_EERKSK_lbbbEUlllE0_EEPmJS9_EEE10hipError_tPvRmT3_T4_T5_T6_T7_T9_mT8_P12ihipStream_tbDpT10_ENKUlT_T0_E_clISt17integral_constantIbLb1EES1A_EEDaS15_S16_EUlS15_E_NS1_11comp_targetILNS1_3genE4ELNS1_11target_archE910ELNS1_3gpuE8ELNS1_3repE0EEENS1_30default_config_static_selectorELNS0_4arch9wavefront6targetE1EEEvT1_.uses_vcc, 0
	.set _ZN7rocprim17ROCPRIM_400000_NS6detail17trampoline_kernelINS0_14default_configENS1_25partition_config_selectorILNS1_17partition_subalgoE9EllbEEZZNS1_14partition_implILS5_9ELb0ES3_jPlS8_PNS0_10empty_typeENS0_5tupleIJS8_S9_EEENSB_IJS8_SA_EEENS0_18inequality_wrapperIZN2at6native12_GLOBAL__N_124unique_dim_cuda_templateIhEESt5tupleIJNSF_6TensorESK_SK_EERKSK_lbbbEUlllE0_EEPmJS9_EEE10hipError_tPvRmT3_T4_T5_T6_T7_T9_mT8_P12ihipStream_tbDpT10_ENKUlT_T0_E_clISt17integral_constantIbLb1EES1A_EEDaS15_S16_EUlS15_E_NS1_11comp_targetILNS1_3genE4ELNS1_11target_archE910ELNS1_3gpuE8ELNS1_3repE0EEENS1_30default_config_static_selectorELNS0_4arch9wavefront6targetE1EEEvT1_.uses_flat_scratch, 0
	.set _ZN7rocprim17ROCPRIM_400000_NS6detail17trampoline_kernelINS0_14default_configENS1_25partition_config_selectorILNS1_17partition_subalgoE9EllbEEZZNS1_14partition_implILS5_9ELb0ES3_jPlS8_PNS0_10empty_typeENS0_5tupleIJS8_S9_EEENSB_IJS8_SA_EEENS0_18inequality_wrapperIZN2at6native12_GLOBAL__N_124unique_dim_cuda_templateIhEESt5tupleIJNSF_6TensorESK_SK_EERKSK_lbbbEUlllE0_EEPmJS9_EEE10hipError_tPvRmT3_T4_T5_T6_T7_T9_mT8_P12ihipStream_tbDpT10_ENKUlT_T0_E_clISt17integral_constantIbLb1EES1A_EEDaS15_S16_EUlS15_E_NS1_11comp_targetILNS1_3genE4ELNS1_11target_archE910ELNS1_3gpuE8ELNS1_3repE0EEENS1_30default_config_static_selectorELNS0_4arch9wavefront6targetE1EEEvT1_.has_dyn_sized_stack, 0
	.set _ZN7rocprim17ROCPRIM_400000_NS6detail17trampoline_kernelINS0_14default_configENS1_25partition_config_selectorILNS1_17partition_subalgoE9EllbEEZZNS1_14partition_implILS5_9ELb0ES3_jPlS8_PNS0_10empty_typeENS0_5tupleIJS8_S9_EEENSB_IJS8_SA_EEENS0_18inequality_wrapperIZN2at6native12_GLOBAL__N_124unique_dim_cuda_templateIhEESt5tupleIJNSF_6TensorESK_SK_EERKSK_lbbbEUlllE0_EEPmJS9_EEE10hipError_tPvRmT3_T4_T5_T6_T7_T9_mT8_P12ihipStream_tbDpT10_ENKUlT_T0_E_clISt17integral_constantIbLb1EES1A_EEDaS15_S16_EUlS15_E_NS1_11comp_targetILNS1_3genE4ELNS1_11target_archE910ELNS1_3gpuE8ELNS1_3repE0EEENS1_30default_config_static_selectorELNS0_4arch9wavefront6targetE1EEEvT1_.has_recursion, 0
	.set _ZN7rocprim17ROCPRIM_400000_NS6detail17trampoline_kernelINS0_14default_configENS1_25partition_config_selectorILNS1_17partition_subalgoE9EllbEEZZNS1_14partition_implILS5_9ELb0ES3_jPlS8_PNS0_10empty_typeENS0_5tupleIJS8_S9_EEENSB_IJS8_SA_EEENS0_18inequality_wrapperIZN2at6native12_GLOBAL__N_124unique_dim_cuda_templateIhEESt5tupleIJNSF_6TensorESK_SK_EERKSK_lbbbEUlllE0_EEPmJS9_EEE10hipError_tPvRmT3_T4_T5_T6_T7_T9_mT8_P12ihipStream_tbDpT10_ENKUlT_T0_E_clISt17integral_constantIbLb1EES1A_EEDaS15_S16_EUlS15_E_NS1_11comp_targetILNS1_3genE4ELNS1_11target_archE910ELNS1_3gpuE8ELNS1_3repE0EEENS1_30default_config_static_selectorELNS0_4arch9wavefront6targetE1EEEvT1_.has_indirect_call, 0
	.section	.AMDGPU.csdata,"",@progbits
; Kernel info:
; codeLenInByte = 0
; TotalNumSgprs: 6
; NumVgprs: 0
; NumAgprs: 0
; TotalNumVgprs: 0
; ScratchSize: 0
; MemoryBound: 0
; FloatMode: 240
; IeeeMode: 1
; LDSByteSize: 0 bytes/workgroup (compile time only)
; SGPRBlocks: 0
; VGPRBlocks: 0
; NumSGPRsForWavesPerEU: 6
; NumVGPRsForWavesPerEU: 1
; AccumOffset: 4
; Occupancy: 8
; WaveLimiterHint : 0
; COMPUTE_PGM_RSRC2:SCRATCH_EN: 0
; COMPUTE_PGM_RSRC2:USER_SGPR: 2
; COMPUTE_PGM_RSRC2:TRAP_HANDLER: 0
; COMPUTE_PGM_RSRC2:TGID_X_EN: 1
; COMPUTE_PGM_RSRC2:TGID_Y_EN: 0
; COMPUTE_PGM_RSRC2:TGID_Z_EN: 0
; COMPUTE_PGM_RSRC2:TIDIG_COMP_CNT: 0
; COMPUTE_PGM_RSRC3_GFX90A:ACCUM_OFFSET: 0
; COMPUTE_PGM_RSRC3_GFX90A:TG_SPLIT: 0
	.section	.text._ZN7rocprim17ROCPRIM_400000_NS6detail17trampoline_kernelINS0_14default_configENS1_25partition_config_selectorILNS1_17partition_subalgoE9EllbEEZZNS1_14partition_implILS5_9ELb0ES3_jPlS8_PNS0_10empty_typeENS0_5tupleIJS8_S9_EEENSB_IJS8_SA_EEENS0_18inequality_wrapperIZN2at6native12_GLOBAL__N_124unique_dim_cuda_templateIhEESt5tupleIJNSF_6TensorESK_SK_EERKSK_lbbbEUlllE0_EEPmJS9_EEE10hipError_tPvRmT3_T4_T5_T6_T7_T9_mT8_P12ihipStream_tbDpT10_ENKUlT_T0_E_clISt17integral_constantIbLb1EES1A_EEDaS15_S16_EUlS15_E_NS1_11comp_targetILNS1_3genE3ELNS1_11target_archE908ELNS1_3gpuE7ELNS1_3repE0EEENS1_30default_config_static_selectorELNS0_4arch9wavefront6targetE1EEEvT1_,"axG",@progbits,_ZN7rocprim17ROCPRIM_400000_NS6detail17trampoline_kernelINS0_14default_configENS1_25partition_config_selectorILNS1_17partition_subalgoE9EllbEEZZNS1_14partition_implILS5_9ELb0ES3_jPlS8_PNS0_10empty_typeENS0_5tupleIJS8_S9_EEENSB_IJS8_SA_EEENS0_18inequality_wrapperIZN2at6native12_GLOBAL__N_124unique_dim_cuda_templateIhEESt5tupleIJNSF_6TensorESK_SK_EERKSK_lbbbEUlllE0_EEPmJS9_EEE10hipError_tPvRmT3_T4_T5_T6_T7_T9_mT8_P12ihipStream_tbDpT10_ENKUlT_T0_E_clISt17integral_constantIbLb1EES1A_EEDaS15_S16_EUlS15_E_NS1_11comp_targetILNS1_3genE3ELNS1_11target_archE908ELNS1_3gpuE7ELNS1_3repE0EEENS1_30default_config_static_selectorELNS0_4arch9wavefront6targetE1EEEvT1_,comdat
	.globl	_ZN7rocprim17ROCPRIM_400000_NS6detail17trampoline_kernelINS0_14default_configENS1_25partition_config_selectorILNS1_17partition_subalgoE9EllbEEZZNS1_14partition_implILS5_9ELb0ES3_jPlS8_PNS0_10empty_typeENS0_5tupleIJS8_S9_EEENSB_IJS8_SA_EEENS0_18inequality_wrapperIZN2at6native12_GLOBAL__N_124unique_dim_cuda_templateIhEESt5tupleIJNSF_6TensorESK_SK_EERKSK_lbbbEUlllE0_EEPmJS9_EEE10hipError_tPvRmT3_T4_T5_T6_T7_T9_mT8_P12ihipStream_tbDpT10_ENKUlT_T0_E_clISt17integral_constantIbLb1EES1A_EEDaS15_S16_EUlS15_E_NS1_11comp_targetILNS1_3genE3ELNS1_11target_archE908ELNS1_3gpuE7ELNS1_3repE0EEENS1_30default_config_static_selectorELNS0_4arch9wavefront6targetE1EEEvT1_ ; -- Begin function _ZN7rocprim17ROCPRIM_400000_NS6detail17trampoline_kernelINS0_14default_configENS1_25partition_config_selectorILNS1_17partition_subalgoE9EllbEEZZNS1_14partition_implILS5_9ELb0ES3_jPlS8_PNS0_10empty_typeENS0_5tupleIJS8_S9_EEENSB_IJS8_SA_EEENS0_18inequality_wrapperIZN2at6native12_GLOBAL__N_124unique_dim_cuda_templateIhEESt5tupleIJNSF_6TensorESK_SK_EERKSK_lbbbEUlllE0_EEPmJS9_EEE10hipError_tPvRmT3_T4_T5_T6_T7_T9_mT8_P12ihipStream_tbDpT10_ENKUlT_T0_E_clISt17integral_constantIbLb1EES1A_EEDaS15_S16_EUlS15_E_NS1_11comp_targetILNS1_3genE3ELNS1_11target_archE908ELNS1_3gpuE7ELNS1_3repE0EEENS1_30default_config_static_selectorELNS0_4arch9wavefront6targetE1EEEvT1_
	.p2align	8
	.type	_ZN7rocprim17ROCPRIM_400000_NS6detail17trampoline_kernelINS0_14default_configENS1_25partition_config_selectorILNS1_17partition_subalgoE9EllbEEZZNS1_14partition_implILS5_9ELb0ES3_jPlS8_PNS0_10empty_typeENS0_5tupleIJS8_S9_EEENSB_IJS8_SA_EEENS0_18inequality_wrapperIZN2at6native12_GLOBAL__N_124unique_dim_cuda_templateIhEESt5tupleIJNSF_6TensorESK_SK_EERKSK_lbbbEUlllE0_EEPmJS9_EEE10hipError_tPvRmT3_T4_T5_T6_T7_T9_mT8_P12ihipStream_tbDpT10_ENKUlT_T0_E_clISt17integral_constantIbLb1EES1A_EEDaS15_S16_EUlS15_E_NS1_11comp_targetILNS1_3genE3ELNS1_11target_archE908ELNS1_3gpuE7ELNS1_3repE0EEENS1_30default_config_static_selectorELNS0_4arch9wavefront6targetE1EEEvT1_,@function
_ZN7rocprim17ROCPRIM_400000_NS6detail17trampoline_kernelINS0_14default_configENS1_25partition_config_selectorILNS1_17partition_subalgoE9EllbEEZZNS1_14partition_implILS5_9ELb0ES3_jPlS8_PNS0_10empty_typeENS0_5tupleIJS8_S9_EEENSB_IJS8_SA_EEENS0_18inequality_wrapperIZN2at6native12_GLOBAL__N_124unique_dim_cuda_templateIhEESt5tupleIJNSF_6TensorESK_SK_EERKSK_lbbbEUlllE0_EEPmJS9_EEE10hipError_tPvRmT3_T4_T5_T6_T7_T9_mT8_P12ihipStream_tbDpT10_ENKUlT_T0_E_clISt17integral_constantIbLb1EES1A_EEDaS15_S16_EUlS15_E_NS1_11comp_targetILNS1_3genE3ELNS1_11target_archE908ELNS1_3gpuE7ELNS1_3repE0EEENS1_30default_config_static_selectorELNS0_4arch9wavefront6targetE1EEEvT1_: ; @_ZN7rocprim17ROCPRIM_400000_NS6detail17trampoline_kernelINS0_14default_configENS1_25partition_config_selectorILNS1_17partition_subalgoE9EllbEEZZNS1_14partition_implILS5_9ELb0ES3_jPlS8_PNS0_10empty_typeENS0_5tupleIJS8_S9_EEENSB_IJS8_SA_EEENS0_18inequality_wrapperIZN2at6native12_GLOBAL__N_124unique_dim_cuda_templateIhEESt5tupleIJNSF_6TensorESK_SK_EERKSK_lbbbEUlllE0_EEPmJS9_EEE10hipError_tPvRmT3_T4_T5_T6_T7_T9_mT8_P12ihipStream_tbDpT10_ENKUlT_T0_E_clISt17integral_constantIbLb1EES1A_EEDaS15_S16_EUlS15_E_NS1_11comp_targetILNS1_3genE3ELNS1_11target_archE908ELNS1_3gpuE7ELNS1_3repE0EEENS1_30default_config_static_selectorELNS0_4arch9wavefront6targetE1EEEvT1_
; %bb.0:
	.section	.rodata,"a",@progbits
	.p2align	6, 0x0
	.amdhsa_kernel _ZN7rocprim17ROCPRIM_400000_NS6detail17trampoline_kernelINS0_14default_configENS1_25partition_config_selectorILNS1_17partition_subalgoE9EllbEEZZNS1_14partition_implILS5_9ELb0ES3_jPlS8_PNS0_10empty_typeENS0_5tupleIJS8_S9_EEENSB_IJS8_SA_EEENS0_18inequality_wrapperIZN2at6native12_GLOBAL__N_124unique_dim_cuda_templateIhEESt5tupleIJNSF_6TensorESK_SK_EERKSK_lbbbEUlllE0_EEPmJS9_EEE10hipError_tPvRmT3_T4_T5_T6_T7_T9_mT8_P12ihipStream_tbDpT10_ENKUlT_T0_E_clISt17integral_constantIbLb1EES1A_EEDaS15_S16_EUlS15_E_NS1_11comp_targetILNS1_3genE3ELNS1_11target_archE908ELNS1_3gpuE7ELNS1_3repE0EEENS1_30default_config_static_selectorELNS0_4arch9wavefront6targetE1EEEvT1_
		.amdhsa_group_segment_fixed_size 0
		.amdhsa_private_segment_fixed_size 0
		.amdhsa_kernarg_size 136
		.amdhsa_user_sgpr_count 2
		.amdhsa_user_sgpr_dispatch_ptr 0
		.amdhsa_user_sgpr_queue_ptr 0
		.amdhsa_user_sgpr_kernarg_segment_ptr 1
		.amdhsa_user_sgpr_dispatch_id 0
		.amdhsa_user_sgpr_kernarg_preload_length 0
		.amdhsa_user_sgpr_kernarg_preload_offset 0
		.amdhsa_user_sgpr_private_segment_size 0
		.amdhsa_uses_dynamic_stack 0
		.amdhsa_enable_private_segment 0
		.amdhsa_system_sgpr_workgroup_id_x 1
		.amdhsa_system_sgpr_workgroup_id_y 0
		.amdhsa_system_sgpr_workgroup_id_z 0
		.amdhsa_system_sgpr_workgroup_info 0
		.amdhsa_system_vgpr_workitem_id 0
		.amdhsa_next_free_vgpr 1
		.amdhsa_next_free_sgpr 0
		.amdhsa_accum_offset 4
		.amdhsa_reserve_vcc 0
		.amdhsa_float_round_mode_32 0
		.amdhsa_float_round_mode_16_64 0
		.amdhsa_float_denorm_mode_32 3
		.amdhsa_float_denorm_mode_16_64 3
		.amdhsa_dx10_clamp 1
		.amdhsa_ieee_mode 1
		.amdhsa_fp16_overflow 0
		.amdhsa_tg_split 0
		.amdhsa_exception_fp_ieee_invalid_op 0
		.amdhsa_exception_fp_denorm_src 0
		.amdhsa_exception_fp_ieee_div_zero 0
		.amdhsa_exception_fp_ieee_overflow 0
		.amdhsa_exception_fp_ieee_underflow 0
		.amdhsa_exception_fp_ieee_inexact 0
		.amdhsa_exception_int_div_zero 0
	.end_amdhsa_kernel
	.section	.text._ZN7rocprim17ROCPRIM_400000_NS6detail17trampoline_kernelINS0_14default_configENS1_25partition_config_selectorILNS1_17partition_subalgoE9EllbEEZZNS1_14partition_implILS5_9ELb0ES3_jPlS8_PNS0_10empty_typeENS0_5tupleIJS8_S9_EEENSB_IJS8_SA_EEENS0_18inequality_wrapperIZN2at6native12_GLOBAL__N_124unique_dim_cuda_templateIhEESt5tupleIJNSF_6TensorESK_SK_EERKSK_lbbbEUlllE0_EEPmJS9_EEE10hipError_tPvRmT3_T4_T5_T6_T7_T9_mT8_P12ihipStream_tbDpT10_ENKUlT_T0_E_clISt17integral_constantIbLb1EES1A_EEDaS15_S16_EUlS15_E_NS1_11comp_targetILNS1_3genE3ELNS1_11target_archE908ELNS1_3gpuE7ELNS1_3repE0EEENS1_30default_config_static_selectorELNS0_4arch9wavefront6targetE1EEEvT1_,"axG",@progbits,_ZN7rocprim17ROCPRIM_400000_NS6detail17trampoline_kernelINS0_14default_configENS1_25partition_config_selectorILNS1_17partition_subalgoE9EllbEEZZNS1_14partition_implILS5_9ELb0ES3_jPlS8_PNS0_10empty_typeENS0_5tupleIJS8_S9_EEENSB_IJS8_SA_EEENS0_18inequality_wrapperIZN2at6native12_GLOBAL__N_124unique_dim_cuda_templateIhEESt5tupleIJNSF_6TensorESK_SK_EERKSK_lbbbEUlllE0_EEPmJS9_EEE10hipError_tPvRmT3_T4_T5_T6_T7_T9_mT8_P12ihipStream_tbDpT10_ENKUlT_T0_E_clISt17integral_constantIbLb1EES1A_EEDaS15_S16_EUlS15_E_NS1_11comp_targetILNS1_3genE3ELNS1_11target_archE908ELNS1_3gpuE7ELNS1_3repE0EEENS1_30default_config_static_selectorELNS0_4arch9wavefront6targetE1EEEvT1_,comdat
.Lfunc_end215:
	.size	_ZN7rocprim17ROCPRIM_400000_NS6detail17trampoline_kernelINS0_14default_configENS1_25partition_config_selectorILNS1_17partition_subalgoE9EllbEEZZNS1_14partition_implILS5_9ELb0ES3_jPlS8_PNS0_10empty_typeENS0_5tupleIJS8_S9_EEENSB_IJS8_SA_EEENS0_18inequality_wrapperIZN2at6native12_GLOBAL__N_124unique_dim_cuda_templateIhEESt5tupleIJNSF_6TensorESK_SK_EERKSK_lbbbEUlllE0_EEPmJS9_EEE10hipError_tPvRmT3_T4_T5_T6_T7_T9_mT8_P12ihipStream_tbDpT10_ENKUlT_T0_E_clISt17integral_constantIbLb1EES1A_EEDaS15_S16_EUlS15_E_NS1_11comp_targetILNS1_3genE3ELNS1_11target_archE908ELNS1_3gpuE7ELNS1_3repE0EEENS1_30default_config_static_selectorELNS0_4arch9wavefront6targetE1EEEvT1_, .Lfunc_end215-_ZN7rocprim17ROCPRIM_400000_NS6detail17trampoline_kernelINS0_14default_configENS1_25partition_config_selectorILNS1_17partition_subalgoE9EllbEEZZNS1_14partition_implILS5_9ELb0ES3_jPlS8_PNS0_10empty_typeENS0_5tupleIJS8_S9_EEENSB_IJS8_SA_EEENS0_18inequality_wrapperIZN2at6native12_GLOBAL__N_124unique_dim_cuda_templateIhEESt5tupleIJNSF_6TensorESK_SK_EERKSK_lbbbEUlllE0_EEPmJS9_EEE10hipError_tPvRmT3_T4_T5_T6_T7_T9_mT8_P12ihipStream_tbDpT10_ENKUlT_T0_E_clISt17integral_constantIbLb1EES1A_EEDaS15_S16_EUlS15_E_NS1_11comp_targetILNS1_3genE3ELNS1_11target_archE908ELNS1_3gpuE7ELNS1_3repE0EEENS1_30default_config_static_selectorELNS0_4arch9wavefront6targetE1EEEvT1_
                                        ; -- End function
	.set _ZN7rocprim17ROCPRIM_400000_NS6detail17trampoline_kernelINS0_14default_configENS1_25partition_config_selectorILNS1_17partition_subalgoE9EllbEEZZNS1_14partition_implILS5_9ELb0ES3_jPlS8_PNS0_10empty_typeENS0_5tupleIJS8_S9_EEENSB_IJS8_SA_EEENS0_18inequality_wrapperIZN2at6native12_GLOBAL__N_124unique_dim_cuda_templateIhEESt5tupleIJNSF_6TensorESK_SK_EERKSK_lbbbEUlllE0_EEPmJS9_EEE10hipError_tPvRmT3_T4_T5_T6_T7_T9_mT8_P12ihipStream_tbDpT10_ENKUlT_T0_E_clISt17integral_constantIbLb1EES1A_EEDaS15_S16_EUlS15_E_NS1_11comp_targetILNS1_3genE3ELNS1_11target_archE908ELNS1_3gpuE7ELNS1_3repE0EEENS1_30default_config_static_selectorELNS0_4arch9wavefront6targetE1EEEvT1_.num_vgpr, 0
	.set _ZN7rocprim17ROCPRIM_400000_NS6detail17trampoline_kernelINS0_14default_configENS1_25partition_config_selectorILNS1_17partition_subalgoE9EllbEEZZNS1_14partition_implILS5_9ELb0ES3_jPlS8_PNS0_10empty_typeENS0_5tupleIJS8_S9_EEENSB_IJS8_SA_EEENS0_18inequality_wrapperIZN2at6native12_GLOBAL__N_124unique_dim_cuda_templateIhEESt5tupleIJNSF_6TensorESK_SK_EERKSK_lbbbEUlllE0_EEPmJS9_EEE10hipError_tPvRmT3_T4_T5_T6_T7_T9_mT8_P12ihipStream_tbDpT10_ENKUlT_T0_E_clISt17integral_constantIbLb1EES1A_EEDaS15_S16_EUlS15_E_NS1_11comp_targetILNS1_3genE3ELNS1_11target_archE908ELNS1_3gpuE7ELNS1_3repE0EEENS1_30default_config_static_selectorELNS0_4arch9wavefront6targetE1EEEvT1_.num_agpr, 0
	.set _ZN7rocprim17ROCPRIM_400000_NS6detail17trampoline_kernelINS0_14default_configENS1_25partition_config_selectorILNS1_17partition_subalgoE9EllbEEZZNS1_14partition_implILS5_9ELb0ES3_jPlS8_PNS0_10empty_typeENS0_5tupleIJS8_S9_EEENSB_IJS8_SA_EEENS0_18inequality_wrapperIZN2at6native12_GLOBAL__N_124unique_dim_cuda_templateIhEESt5tupleIJNSF_6TensorESK_SK_EERKSK_lbbbEUlllE0_EEPmJS9_EEE10hipError_tPvRmT3_T4_T5_T6_T7_T9_mT8_P12ihipStream_tbDpT10_ENKUlT_T0_E_clISt17integral_constantIbLb1EES1A_EEDaS15_S16_EUlS15_E_NS1_11comp_targetILNS1_3genE3ELNS1_11target_archE908ELNS1_3gpuE7ELNS1_3repE0EEENS1_30default_config_static_selectorELNS0_4arch9wavefront6targetE1EEEvT1_.numbered_sgpr, 0
	.set _ZN7rocprim17ROCPRIM_400000_NS6detail17trampoline_kernelINS0_14default_configENS1_25partition_config_selectorILNS1_17partition_subalgoE9EllbEEZZNS1_14partition_implILS5_9ELb0ES3_jPlS8_PNS0_10empty_typeENS0_5tupleIJS8_S9_EEENSB_IJS8_SA_EEENS0_18inequality_wrapperIZN2at6native12_GLOBAL__N_124unique_dim_cuda_templateIhEESt5tupleIJNSF_6TensorESK_SK_EERKSK_lbbbEUlllE0_EEPmJS9_EEE10hipError_tPvRmT3_T4_T5_T6_T7_T9_mT8_P12ihipStream_tbDpT10_ENKUlT_T0_E_clISt17integral_constantIbLb1EES1A_EEDaS15_S16_EUlS15_E_NS1_11comp_targetILNS1_3genE3ELNS1_11target_archE908ELNS1_3gpuE7ELNS1_3repE0EEENS1_30default_config_static_selectorELNS0_4arch9wavefront6targetE1EEEvT1_.num_named_barrier, 0
	.set _ZN7rocprim17ROCPRIM_400000_NS6detail17trampoline_kernelINS0_14default_configENS1_25partition_config_selectorILNS1_17partition_subalgoE9EllbEEZZNS1_14partition_implILS5_9ELb0ES3_jPlS8_PNS0_10empty_typeENS0_5tupleIJS8_S9_EEENSB_IJS8_SA_EEENS0_18inequality_wrapperIZN2at6native12_GLOBAL__N_124unique_dim_cuda_templateIhEESt5tupleIJNSF_6TensorESK_SK_EERKSK_lbbbEUlllE0_EEPmJS9_EEE10hipError_tPvRmT3_T4_T5_T6_T7_T9_mT8_P12ihipStream_tbDpT10_ENKUlT_T0_E_clISt17integral_constantIbLb1EES1A_EEDaS15_S16_EUlS15_E_NS1_11comp_targetILNS1_3genE3ELNS1_11target_archE908ELNS1_3gpuE7ELNS1_3repE0EEENS1_30default_config_static_selectorELNS0_4arch9wavefront6targetE1EEEvT1_.private_seg_size, 0
	.set _ZN7rocprim17ROCPRIM_400000_NS6detail17trampoline_kernelINS0_14default_configENS1_25partition_config_selectorILNS1_17partition_subalgoE9EllbEEZZNS1_14partition_implILS5_9ELb0ES3_jPlS8_PNS0_10empty_typeENS0_5tupleIJS8_S9_EEENSB_IJS8_SA_EEENS0_18inequality_wrapperIZN2at6native12_GLOBAL__N_124unique_dim_cuda_templateIhEESt5tupleIJNSF_6TensorESK_SK_EERKSK_lbbbEUlllE0_EEPmJS9_EEE10hipError_tPvRmT3_T4_T5_T6_T7_T9_mT8_P12ihipStream_tbDpT10_ENKUlT_T0_E_clISt17integral_constantIbLb1EES1A_EEDaS15_S16_EUlS15_E_NS1_11comp_targetILNS1_3genE3ELNS1_11target_archE908ELNS1_3gpuE7ELNS1_3repE0EEENS1_30default_config_static_selectorELNS0_4arch9wavefront6targetE1EEEvT1_.uses_vcc, 0
	.set _ZN7rocprim17ROCPRIM_400000_NS6detail17trampoline_kernelINS0_14default_configENS1_25partition_config_selectorILNS1_17partition_subalgoE9EllbEEZZNS1_14partition_implILS5_9ELb0ES3_jPlS8_PNS0_10empty_typeENS0_5tupleIJS8_S9_EEENSB_IJS8_SA_EEENS0_18inequality_wrapperIZN2at6native12_GLOBAL__N_124unique_dim_cuda_templateIhEESt5tupleIJNSF_6TensorESK_SK_EERKSK_lbbbEUlllE0_EEPmJS9_EEE10hipError_tPvRmT3_T4_T5_T6_T7_T9_mT8_P12ihipStream_tbDpT10_ENKUlT_T0_E_clISt17integral_constantIbLb1EES1A_EEDaS15_S16_EUlS15_E_NS1_11comp_targetILNS1_3genE3ELNS1_11target_archE908ELNS1_3gpuE7ELNS1_3repE0EEENS1_30default_config_static_selectorELNS0_4arch9wavefront6targetE1EEEvT1_.uses_flat_scratch, 0
	.set _ZN7rocprim17ROCPRIM_400000_NS6detail17trampoline_kernelINS0_14default_configENS1_25partition_config_selectorILNS1_17partition_subalgoE9EllbEEZZNS1_14partition_implILS5_9ELb0ES3_jPlS8_PNS0_10empty_typeENS0_5tupleIJS8_S9_EEENSB_IJS8_SA_EEENS0_18inequality_wrapperIZN2at6native12_GLOBAL__N_124unique_dim_cuda_templateIhEESt5tupleIJNSF_6TensorESK_SK_EERKSK_lbbbEUlllE0_EEPmJS9_EEE10hipError_tPvRmT3_T4_T5_T6_T7_T9_mT8_P12ihipStream_tbDpT10_ENKUlT_T0_E_clISt17integral_constantIbLb1EES1A_EEDaS15_S16_EUlS15_E_NS1_11comp_targetILNS1_3genE3ELNS1_11target_archE908ELNS1_3gpuE7ELNS1_3repE0EEENS1_30default_config_static_selectorELNS0_4arch9wavefront6targetE1EEEvT1_.has_dyn_sized_stack, 0
	.set _ZN7rocprim17ROCPRIM_400000_NS6detail17trampoline_kernelINS0_14default_configENS1_25partition_config_selectorILNS1_17partition_subalgoE9EllbEEZZNS1_14partition_implILS5_9ELb0ES3_jPlS8_PNS0_10empty_typeENS0_5tupleIJS8_S9_EEENSB_IJS8_SA_EEENS0_18inequality_wrapperIZN2at6native12_GLOBAL__N_124unique_dim_cuda_templateIhEESt5tupleIJNSF_6TensorESK_SK_EERKSK_lbbbEUlllE0_EEPmJS9_EEE10hipError_tPvRmT3_T4_T5_T6_T7_T9_mT8_P12ihipStream_tbDpT10_ENKUlT_T0_E_clISt17integral_constantIbLb1EES1A_EEDaS15_S16_EUlS15_E_NS1_11comp_targetILNS1_3genE3ELNS1_11target_archE908ELNS1_3gpuE7ELNS1_3repE0EEENS1_30default_config_static_selectorELNS0_4arch9wavefront6targetE1EEEvT1_.has_recursion, 0
	.set _ZN7rocprim17ROCPRIM_400000_NS6detail17trampoline_kernelINS0_14default_configENS1_25partition_config_selectorILNS1_17partition_subalgoE9EllbEEZZNS1_14partition_implILS5_9ELb0ES3_jPlS8_PNS0_10empty_typeENS0_5tupleIJS8_S9_EEENSB_IJS8_SA_EEENS0_18inequality_wrapperIZN2at6native12_GLOBAL__N_124unique_dim_cuda_templateIhEESt5tupleIJNSF_6TensorESK_SK_EERKSK_lbbbEUlllE0_EEPmJS9_EEE10hipError_tPvRmT3_T4_T5_T6_T7_T9_mT8_P12ihipStream_tbDpT10_ENKUlT_T0_E_clISt17integral_constantIbLb1EES1A_EEDaS15_S16_EUlS15_E_NS1_11comp_targetILNS1_3genE3ELNS1_11target_archE908ELNS1_3gpuE7ELNS1_3repE0EEENS1_30default_config_static_selectorELNS0_4arch9wavefront6targetE1EEEvT1_.has_indirect_call, 0
	.section	.AMDGPU.csdata,"",@progbits
; Kernel info:
; codeLenInByte = 0
; TotalNumSgprs: 6
; NumVgprs: 0
; NumAgprs: 0
; TotalNumVgprs: 0
; ScratchSize: 0
; MemoryBound: 0
; FloatMode: 240
; IeeeMode: 1
; LDSByteSize: 0 bytes/workgroup (compile time only)
; SGPRBlocks: 0
; VGPRBlocks: 0
; NumSGPRsForWavesPerEU: 6
; NumVGPRsForWavesPerEU: 1
; AccumOffset: 4
; Occupancy: 8
; WaveLimiterHint : 0
; COMPUTE_PGM_RSRC2:SCRATCH_EN: 0
; COMPUTE_PGM_RSRC2:USER_SGPR: 2
; COMPUTE_PGM_RSRC2:TRAP_HANDLER: 0
; COMPUTE_PGM_RSRC2:TGID_X_EN: 1
; COMPUTE_PGM_RSRC2:TGID_Y_EN: 0
; COMPUTE_PGM_RSRC2:TGID_Z_EN: 0
; COMPUTE_PGM_RSRC2:TIDIG_COMP_CNT: 0
; COMPUTE_PGM_RSRC3_GFX90A:ACCUM_OFFSET: 0
; COMPUTE_PGM_RSRC3_GFX90A:TG_SPLIT: 0
	.section	.text._ZN7rocprim17ROCPRIM_400000_NS6detail17trampoline_kernelINS0_14default_configENS1_25partition_config_selectorILNS1_17partition_subalgoE9EllbEEZZNS1_14partition_implILS5_9ELb0ES3_jPlS8_PNS0_10empty_typeENS0_5tupleIJS8_S9_EEENSB_IJS8_SA_EEENS0_18inequality_wrapperIZN2at6native12_GLOBAL__N_124unique_dim_cuda_templateIhEESt5tupleIJNSF_6TensorESK_SK_EERKSK_lbbbEUlllE0_EEPmJS9_EEE10hipError_tPvRmT3_T4_T5_T6_T7_T9_mT8_P12ihipStream_tbDpT10_ENKUlT_T0_E_clISt17integral_constantIbLb1EES1A_EEDaS15_S16_EUlS15_E_NS1_11comp_targetILNS1_3genE2ELNS1_11target_archE906ELNS1_3gpuE6ELNS1_3repE0EEENS1_30default_config_static_selectorELNS0_4arch9wavefront6targetE1EEEvT1_,"axG",@progbits,_ZN7rocprim17ROCPRIM_400000_NS6detail17trampoline_kernelINS0_14default_configENS1_25partition_config_selectorILNS1_17partition_subalgoE9EllbEEZZNS1_14partition_implILS5_9ELb0ES3_jPlS8_PNS0_10empty_typeENS0_5tupleIJS8_S9_EEENSB_IJS8_SA_EEENS0_18inequality_wrapperIZN2at6native12_GLOBAL__N_124unique_dim_cuda_templateIhEESt5tupleIJNSF_6TensorESK_SK_EERKSK_lbbbEUlllE0_EEPmJS9_EEE10hipError_tPvRmT3_T4_T5_T6_T7_T9_mT8_P12ihipStream_tbDpT10_ENKUlT_T0_E_clISt17integral_constantIbLb1EES1A_EEDaS15_S16_EUlS15_E_NS1_11comp_targetILNS1_3genE2ELNS1_11target_archE906ELNS1_3gpuE6ELNS1_3repE0EEENS1_30default_config_static_selectorELNS0_4arch9wavefront6targetE1EEEvT1_,comdat
	.globl	_ZN7rocprim17ROCPRIM_400000_NS6detail17trampoline_kernelINS0_14default_configENS1_25partition_config_selectorILNS1_17partition_subalgoE9EllbEEZZNS1_14partition_implILS5_9ELb0ES3_jPlS8_PNS0_10empty_typeENS0_5tupleIJS8_S9_EEENSB_IJS8_SA_EEENS0_18inequality_wrapperIZN2at6native12_GLOBAL__N_124unique_dim_cuda_templateIhEESt5tupleIJNSF_6TensorESK_SK_EERKSK_lbbbEUlllE0_EEPmJS9_EEE10hipError_tPvRmT3_T4_T5_T6_T7_T9_mT8_P12ihipStream_tbDpT10_ENKUlT_T0_E_clISt17integral_constantIbLb1EES1A_EEDaS15_S16_EUlS15_E_NS1_11comp_targetILNS1_3genE2ELNS1_11target_archE906ELNS1_3gpuE6ELNS1_3repE0EEENS1_30default_config_static_selectorELNS0_4arch9wavefront6targetE1EEEvT1_ ; -- Begin function _ZN7rocprim17ROCPRIM_400000_NS6detail17trampoline_kernelINS0_14default_configENS1_25partition_config_selectorILNS1_17partition_subalgoE9EllbEEZZNS1_14partition_implILS5_9ELb0ES3_jPlS8_PNS0_10empty_typeENS0_5tupleIJS8_S9_EEENSB_IJS8_SA_EEENS0_18inequality_wrapperIZN2at6native12_GLOBAL__N_124unique_dim_cuda_templateIhEESt5tupleIJNSF_6TensorESK_SK_EERKSK_lbbbEUlllE0_EEPmJS9_EEE10hipError_tPvRmT3_T4_T5_T6_T7_T9_mT8_P12ihipStream_tbDpT10_ENKUlT_T0_E_clISt17integral_constantIbLb1EES1A_EEDaS15_S16_EUlS15_E_NS1_11comp_targetILNS1_3genE2ELNS1_11target_archE906ELNS1_3gpuE6ELNS1_3repE0EEENS1_30default_config_static_selectorELNS0_4arch9wavefront6targetE1EEEvT1_
	.p2align	8
	.type	_ZN7rocprim17ROCPRIM_400000_NS6detail17trampoline_kernelINS0_14default_configENS1_25partition_config_selectorILNS1_17partition_subalgoE9EllbEEZZNS1_14partition_implILS5_9ELb0ES3_jPlS8_PNS0_10empty_typeENS0_5tupleIJS8_S9_EEENSB_IJS8_SA_EEENS0_18inequality_wrapperIZN2at6native12_GLOBAL__N_124unique_dim_cuda_templateIhEESt5tupleIJNSF_6TensorESK_SK_EERKSK_lbbbEUlllE0_EEPmJS9_EEE10hipError_tPvRmT3_T4_T5_T6_T7_T9_mT8_P12ihipStream_tbDpT10_ENKUlT_T0_E_clISt17integral_constantIbLb1EES1A_EEDaS15_S16_EUlS15_E_NS1_11comp_targetILNS1_3genE2ELNS1_11target_archE906ELNS1_3gpuE6ELNS1_3repE0EEENS1_30default_config_static_selectorELNS0_4arch9wavefront6targetE1EEEvT1_,@function
_ZN7rocprim17ROCPRIM_400000_NS6detail17trampoline_kernelINS0_14default_configENS1_25partition_config_selectorILNS1_17partition_subalgoE9EllbEEZZNS1_14partition_implILS5_9ELb0ES3_jPlS8_PNS0_10empty_typeENS0_5tupleIJS8_S9_EEENSB_IJS8_SA_EEENS0_18inequality_wrapperIZN2at6native12_GLOBAL__N_124unique_dim_cuda_templateIhEESt5tupleIJNSF_6TensorESK_SK_EERKSK_lbbbEUlllE0_EEPmJS9_EEE10hipError_tPvRmT3_T4_T5_T6_T7_T9_mT8_P12ihipStream_tbDpT10_ENKUlT_T0_E_clISt17integral_constantIbLb1EES1A_EEDaS15_S16_EUlS15_E_NS1_11comp_targetILNS1_3genE2ELNS1_11target_archE906ELNS1_3gpuE6ELNS1_3repE0EEENS1_30default_config_static_selectorELNS0_4arch9wavefront6targetE1EEEvT1_: ; @_ZN7rocprim17ROCPRIM_400000_NS6detail17trampoline_kernelINS0_14default_configENS1_25partition_config_selectorILNS1_17partition_subalgoE9EllbEEZZNS1_14partition_implILS5_9ELb0ES3_jPlS8_PNS0_10empty_typeENS0_5tupleIJS8_S9_EEENSB_IJS8_SA_EEENS0_18inequality_wrapperIZN2at6native12_GLOBAL__N_124unique_dim_cuda_templateIhEESt5tupleIJNSF_6TensorESK_SK_EERKSK_lbbbEUlllE0_EEPmJS9_EEE10hipError_tPvRmT3_T4_T5_T6_T7_T9_mT8_P12ihipStream_tbDpT10_ENKUlT_T0_E_clISt17integral_constantIbLb1EES1A_EEDaS15_S16_EUlS15_E_NS1_11comp_targetILNS1_3genE2ELNS1_11target_archE906ELNS1_3gpuE6ELNS1_3repE0EEENS1_30default_config_static_selectorELNS0_4arch9wavefront6targetE1EEEvT1_
; %bb.0:
	.section	.rodata,"a",@progbits
	.p2align	6, 0x0
	.amdhsa_kernel _ZN7rocprim17ROCPRIM_400000_NS6detail17trampoline_kernelINS0_14default_configENS1_25partition_config_selectorILNS1_17partition_subalgoE9EllbEEZZNS1_14partition_implILS5_9ELb0ES3_jPlS8_PNS0_10empty_typeENS0_5tupleIJS8_S9_EEENSB_IJS8_SA_EEENS0_18inequality_wrapperIZN2at6native12_GLOBAL__N_124unique_dim_cuda_templateIhEESt5tupleIJNSF_6TensorESK_SK_EERKSK_lbbbEUlllE0_EEPmJS9_EEE10hipError_tPvRmT3_T4_T5_T6_T7_T9_mT8_P12ihipStream_tbDpT10_ENKUlT_T0_E_clISt17integral_constantIbLb1EES1A_EEDaS15_S16_EUlS15_E_NS1_11comp_targetILNS1_3genE2ELNS1_11target_archE906ELNS1_3gpuE6ELNS1_3repE0EEENS1_30default_config_static_selectorELNS0_4arch9wavefront6targetE1EEEvT1_
		.amdhsa_group_segment_fixed_size 0
		.amdhsa_private_segment_fixed_size 0
		.amdhsa_kernarg_size 136
		.amdhsa_user_sgpr_count 2
		.amdhsa_user_sgpr_dispatch_ptr 0
		.amdhsa_user_sgpr_queue_ptr 0
		.amdhsa_user_sgpr_kernarg_segment_ptr 1
		.amdhsa_user_sgpr_dispatch_id 0
		.amdhsa_user_sgpr_kernarg_preload_length 0
		.amdhsa_user_sgpr_kernarg_preload_offset 0
		.amdhsa_user_sgpr_private_segment_size 0
		.amdhsa_uses_dynamic_stack 0
		.amdhsa_enable_private_segment 0
		.amdhsa_system_sgpr_workgroup_id_x 1
		.amdhsa_system_sgpr_workgroup_id_y 0
		.amdhsa_system_sgpr_workgroup_id_z 0
		.amdhsa_system_sgpr_workgroup_info 0
		.amdhsa_system_vgpr_workitem_id 0
		.amdhsa_next_free_vgpr 1
		.amdhsa_next_free_sgpr 0
		.amdhsa_accum_offset 4
		.amdhsa_reserve_vcc 0
		.amdhsa_float_round_mode_32 0
		.amdhsa_float_round_mode_16_64 0
		.amdhsa_float_denorm_mode_32 3
		.amdhsa_float_denorm_mode_16_64 3
		.amdhsa_dx10_clamp 1
		.amdhsa_ieee_mode 1
		.amdhsa_fp16_overflow 0
		.amdhsa_tg_split 0
		.amdhsa_exception_fp_ieee_invalid_op 0
		.amdhsa_exception_fp_denorm_src 0
		.amdhsa_exception_fp_ieee_div_zero 0
		.amdhsa_exception_fp_ieee_overflow 0
		.amdhsa_exception_fp_ieee_underflow 0
		.amdhsa_exception_fp_ieee_inexact 0
		.amdhsa_exception_int_div_zero 0
	.end_amdhsa_kernel
	.section	.text._ZN7rocprim17ROCPRIM_400000_NS6detail17trampoline_kernelINS0_14default_configENS1_25partition_config_selectorILNS1_17partition_subalgoE9EllbEEZZNS1_14partition_implILS5_9ELb0ES3_jPlS8_PNS0_10empty_typeENS0_5tupleIJS8_S9_EEENSB_IJS8_SA_EEENS0_18inequality_wrapperIZN2at6native12_GLOBAL__N_124unique_dim_cuda_templateIhEESt5tupleIJNSF_6TensorESK_SK_EERKSK_lbbbEUlllE0_EEPmJS9_EEE10hipError_tPvRmT3_T4_T5_T6_T7_T9_mT8_P12ihipStream_tbDpT10_ENKUlT_T0_E_clISt17integral_constantIbLb1EES1A_EEDaS15_S16_EUlS15_E_NS1_11comp_targetILNS1_3genE2ELNS1_11target_archE906ELNS1_3gpuE6ELNS1_3repE0EEENS1_30default_config_static_selectorELNS0_4arch9wavefront6targetE1EEEvT1_,"axG",@progbits,_ZN7rocprim17ROCPRIM_400000_NS6detail17trampoline_kernelINS0_14default_configENS1_25partition_config_selectorILNS1_17partition_subalgoE9EllbEEZZNS1_14partition_implILS5_9ELb0ES3_jPlS8_PNS0_10empty_typeENS0_5tupleIJS8_S9_EEENSB_IJS8_SA_EEENS0_18inequality_wrapperIZN2at6native12_GLOBAL__N_124unique_dim_cuda_templateIhEESt5tupleIJNSF_6TensorESK_SK_EERKSK_lbbbEUlllE0_EEPmJS9_EEE10hipError_tPvRmT3_T4_T5_T6_T7_T9_mT8_P12ihipStream_tbDpT10_ENKUlT_T0_E_clISt17integral_constantIbLb1EES1A_EEDaS15_S16_EUlS15_E_NS1_11comp_targetILNS1_3genE2ELNS1_11target_archE906ELNS1_3gpuE6ELNS1_3repE0EEENS1_30default_config_static_selectorELNS0_4arch9wavefront6targetE1EEEvT1_,comdat
.Lfunc_end216:
	.size	_ZN7rocprim17ROCPRIM_400000_NS6detail17trampoline_kernelINS0_14default_configENS1_25partition_config_selectorILNS1_17partition_subalgoE9EllbEEZZNS1_14partition_implILS5_9ELb0ES3_jPlS8_PNS0_10empty_typeENS0_5tupleIJS8_S9_EEENSB_IJS8_SA_EEENS0_18inequality_wrapperIZN2at6native12_GLOBAL__N_124unique_dim_cuda_templateIhEESt5tupleIJNSF_6TensorESK_SK_EERKSK_lbbbEUlllE0_EEPmJS9_EEE10hipError_tPvRmT3_T4_T5_T6_T7_T9_mT8_P12ihipStream_tbDpT10_ENKUlT_T0_E_clISt17integral_constantIbLb1EES1A_EEDaS15_S16_EUlS15_E_NS1_11comp_targetILNS1_3genE2ELNS1_11target_archE906ELNS1_3gpuE6ELNS1_3repE0EEENS1_30default_config_static_selectorELNS0_4arch9wavefront6targetE1EEEvT1_, .Lfunc_end216-_ZN7rocprim17ROCPRIM_400000_NS6detail17trampoline_kernelINS0_14default_configENS1_25partition_config_selectorILNS1_17partition_subalgoE9EllbEEZZNS1_14partition_implILS5_9ELb0ES3_jPlS8_PNS0_10empty_typeENS0_5tupleIJS8_S9_EEENSB_IJS8_SA_EEENS0_18inequality_wrapperIZN2at6native12_GLOBAL__N_124unique_dim_cuda_templateIhEESt5tupleIJNSF_6TensorESK_SK_EERKSK_lbbbEUlllE0_EEPmJS9_EEE10hipError_tPvRmT3_T4_T5_T6_T7_T9_mT8_P12ihipStream_tbDpT10_ENKUlT_T0_E_clISt17integral_constantIbLb1EES1A_EEDaS15_S16_EUlS15_E_NS1_11comp_targetILNS1_3genE2ELNS1_11target_archE906ELNS1_3gpuE6ELNS1_3repE0EEENS1_30default_config_static_selectorELNS0_4arch9wavefront6targetE1EEEvT1_
                                        ; -- End function
	.set _ZN7rocprim17ROCPRIM_400000_NS6detail17trampoline_kernelINS0_14default_configENS1_25partition_config_selectorILNS1_17partition_subalgoE9EllbEEZZNS1_14partition_implILS5_9ELb0ES3_jPlS8_PNS0_10empty_typeENS0_5tupleIJS8_S9_EEENSB_IJS8_SA_EEENS0_18inequality_wrapperIZN2at6native12_GLOBAL__N_124unique_dim_cuda_templateIhEESt5tupleIJNSF_6TensorESK_SK_EERKSK_lbbbEUlllE0_EEPmJS9_EEE10hipError_tPvRmT3_T4_T5_T6_T7_T9_mT8_P12ihipStream_tbDpT10_ENKUlT_T0_E_clISt17integral_constantIbLb1EES1A_EEDaS15_S16_EUlS15_E_NS1_11comp_targetILNS1_3genE2ELNS1_11target_archE906ELNS1_3gpuE6ELNS1_3repE0EEENS1_30default_config_static_selectorELNS0_4arch9wavefront6targetE1EEEvT1_.num_vgpr, 0
	.set _ZN7rocprim17ROCPRIM_400000_NS6detail17trampoline_kernelINS0_14default_configENS1_25partition_config_selectorILNS1_17partition_subalgoE9EllbEEZZNS1_14partition_implILS5_9ELb0ES3_jPlS8_PNS0_10empty_typeENS0_5tupleIJS8_S9_EEENSB_IJS8_SA_EEENS0_18inequality_wrapperIZN2at6native12_GLOBAL__N_124unique_dim_cuda_templateIhEESt5tupleIJNSF_6TensorESK_SK_EERKSK_lbbbEUlllE0_EEPmJS9_EEE10hipError_tPvRmT3_T4_T5_T6_T7_T9_mT8_P12ihipStream_tbDpT10_ENKUlT_T0_E_clISt17integral_constantIbLb1EES1A_EEDaS15_S16_EUlS15_E_NS1_11comp_targetILNS1_3genE2ELNS1_11target_archE906ELNS1_3gpuE6ELNS1_3repE0EEENS1_30default_config_static_selectorELNS0_4arch9wavefront6targetE1EEEvT1_.num_agpr, 0
	.set _ZN7rocprim17ROCPRIM_400000_NS6detail17trampoline_kernelINS0_14default_configENS1_25partition_config_selectorILNS1_17partition_subalgoE9EllbEEZZNS1_14partition_implILS5_9ELb0ES3_jPlS8_PNS0_10empty_typeENS0_5tupleIJS8_S9_EEENSB_IJS8_SA_EEENS0_18inequality_wrapperIZN2at6native12_GLOBAL__N_124unique_dim_cuda_templateIhEESt5tupleIJNSF_6TensorESK_SK_EERKSK_lbbbEUlllE0_EEPmJS9_EEE10hipError_tPvRmT3_T4_T5_T6_T7_T9_mT8_P12ihipStream_tbDpT10_ENKUlT_T0_E_clISt17integral_constantIbLb1EES1A_EEDaS15_S16_EUlS15_E_NS1_11comp_targetILNS1_3genE2ELNS1_11target_archE906ELNS1_3gpuE6ELNS1_3repE0EEENS1_30default_config_static_selectorELNS0_4arch9wavefront6targetE1EEEvT1_.numbered_sgpr, 0
	.set _ZN7rocprim17ROCPRIM_400000_NS6detail17trampoline_kernelINS0_14default_configENS1_25partition_config_selectorILNS1_17partition_subalgoE9EllbEEZZNS1_14partition_implILS5_9ELb0ES3_jPlS8_PNS0_10empty_typeENS0_5tupleIJS8_S9_EEENSB_IJS8_SA_EEENS0_18inequality_wrapperIZN2at6native12_GLOBAL__N_124unique_dim_cuda_templateIhEESt5tupleIJNSF_6TensorESK_SK_EERKSK_lbbbEUlllE0_EEPmJS9_EEE10hipError_tPvRmT3_T4_T5_T6_T7_T9_mT8_P12ihipStream_tbDpT10_ENKUlT_T0_E_clISt17integral_constantIbLb1EES1A_EEDaS15_S16_EUlS15_E_NS1_11comp_targetILNS1_3genE2ELNS1_11target_archE906ELNS1_3gpuE6ELNS1_3repE0EEENS1_30default_config_static_selectorELNS0_4arch9wavefront6targetE1EEEvT1_.num_named_barrier, 0
	.set _ZN7rocprim17ROCPRIM_400000_NS6detail17trampoline_kernelINS0_14default_configENS1_25partition_config_selectorILNS1_17partition_subalgoE9EllbEEZZNS1_14partition_implILS5_9ELb0ES3_jPlS8_PNS0_10empty_typeENS0_5tupleIJS8_S9_EEENSB_IJS8_SA_EEENS0_18inequality_wrapperIZN2at6native12_GLOBAL__N_124unique_dim_cuda_templateIhEESt5tupleIJNSF_6TensorESK_SK_EERKSK_lbbbEUlllE0_EEPmJS9_EEE10hipError_tPvRmT3_T4_T5_T6_T7_T9_mT8_P12ihipStream_tbDpT10_ENKUlT_T0_E_clISt17integral_constantIbLb1EES1A_EEDaS15_S16_EUlS15_E_NS1_11comp_targetILNS1_3genE2ELNS1_11target_archE906ELNS1_3gpuE6ELNS1_3repE0EEENS1_30default_config_static_selectorELNS0_4arch9wavefront6targetE1EEEvT1_.private_seg_size, 0
	.set _ZN7rocprim17ROCPRIM_400000_NS6detail17trampoline_kernelINS0_14default_configENS1_25partition_config_selectorILNS1_17partition_subalgoE9EllbEEZZNS1_14partition_implILS5_9ELb0ES3_jPlS8_PNS0_10empty_typeENS0_5tupleIJS8_S9_EEENSB_IJS8_SA_EEENS0_18inequality_wrapperIZN2at6native12_GLOBAL__N_124unique_dim_cuda_templateIhEESt5tupleIJNSF_6TensorESK_SK_EERKSK_lbbbEUlllE0_EEPmJS9_EEE10hipError_tPvRmT3_T4_T5_T6_T7_T9_mT8_P12ihipStream_tbDpT10_ENKUlT_T0_E_clISt17integral_constantIbLb1EES1A_EEDaS15_S16_EUlS15_E_NS1_11comp_targetILNS1_3genE2ELNS1_11target_archE906ELNS1_3gpuE6ELNS1_3repE0EEENS1_30default_config_static_selectorELNS0_4arch9wavefront6targetE1EEEvT1_.uses_vcc, 0
	.set _ZN7rocprim17ROCPRIM_400000_NS6detail17trampoline_kernelINS0_14default_configENS1_25partition_config_selectorILNS1_17partition_subalgoE9EllbEEZZNS1_14partition_implILS5_9ELb0ES3_jPlS8_PNS0_10empty_typeENS0_5tupleIJS8_S9_EEENSB_IJS8_SA_EEENS0_18inequality_wrapperIZN2at6native12_GLOBAL__N_124unique_dim_cuda_templateIhEESt5tupleIJNSF_6TensorESK_SK_EERKSK_lbbbEUlllE0_EEPmJS9_EEE10hipError_tPvRmT3_T4_T5_T6_T7_T9_mT8_P12ihipStream_tbDpT10_ENKUlT_T0_E_clISt17integral_constantIbLb1EES1A_EEDaS15_S16_EUlS15_E_NS1_11comp_targetILNS1_3genE2ELNS1_11target_archE906ELNS1_3gpuE6ELNS1_3repE0EEENS1_30default_config_static_selectorELNS0_4arch9wavefront6targetE1EEEvT1_.uses_flat_scratch, 0
	.set _ZN7rocprim17ROCPRIM_400000_NS6detail17trampoline_kernelINS0_14default_configENS1_25partition_config_selectorILNS1_17partition_subalgoE9EllbEEZZNS1_14partition_implILS5_9ELb0ES3_jPlS8_PNS0_10empty_typeENS0_5tupleIJS8_S9_EEENSB_IJS8_SA_EEENS0_18inequality_wrapperIZN2at6native12_GLOBAL__N_124unique_dim_cuda_templateIhEESt5tupleIJNSF_6TensorESK_SK_EERKSK_lbbbEUlllE0_EEPmJS9_EEE10hipError_tPvRmT3_T4_T5_T6_T7_T9_mT8_P12ihipStream_tbDpT10_ENKUlT_T0_E_clISt17integral_constantIbLb1EES1A_EEDaS15_S16_EUlS15_E_NS1_11comp_targetILNS1_3genE2ELNS1_11target_archE906ELNS1_3gpuE6ELNS1_3repE0EEENS1_30default_config_static_selectorELNS0_4arch9wavefront6targetE1EEEvT1_.has_dyn_sized_stack, 0
	.set _ZN7rocprim17ROCPRIM_400000_NS6detail17trampoline_kernelINS0_14default_configENS1_25partition_config_selectorILNS1_17partition_subalgoE9EllbEEZZNS1_14partition_implILS5_9ELb0ES3_jPlS8_PNS0_10empty_typeENS0_5tupleIJS8_S9_EEENSB_IJS8_SA_EEENS0_18inequality_wrapperIZN2at6native12_GLOBAL__N_124unique_dim_cuda_templateIhEESt5tupleIJNSF_6TensorESK_SK_EERKSK_lbbbEUlllE0_EEPmJS9_EEE10hipError_tPvRmT3_T4_T5_T6_T7_T9_mT8_P12ihipStream_tbDpT10_ENKUlT_T0_E_clISt17integral_constantIbLb1EES1A_EEDaS15_S16_EUlS15_E_NS1_11comp_targetILNS1_3genE2ELNS1_11target_archE906ELNS1_3gpuE6ELNS1_3repE0EEENS1_30default_config_static_selectorELNS0_4arch9wavefront6targetE1EEEvT1_.has_recursion, 0
	.set _ZN7rocprim17ROCPRIM_400000_NS6detail17trampoline_kernelINS0_14default_configENS1_25partition_config_selectorILNS1_17partition_subalgoE9EllbEEZZNS1_14partition_implILS5_9ELb0ES3_jPlS8_PNS0_10empty_typeENS0_5tupleIJS8_S9_EEENSB_IJS8_SA_EEENS0_18inequality_wrapperIZN2at6native12_GLOBAL__N_124unique_dim_cuda_templateIhEESt5tupleIJNSF_6TensorESK_SK_EERKSK_lbbbEUlllE0_EEPmJS9_EEE10hipError_tPvRmT3_T4_T5_T6_T7_T9_mT8_P12ihipStream_tbDpT10_ENKUlT_T0_E_clISt17integral_constantIbLb1EES1A_EEDaS15_S16_EUlS15_E_NS1_11comp_targetILNS1_3genE2ELNS1_11target_archE906ELNS1_3gpuE6ELNS1_3repE0EEENS1_30default_config_static_selectorELNS0_4arch9wavefront6targetE1EEEvT1_.has_indirect_call, 0
	.section	.AMDGPU.csdata,"",@progbits
; Kernel info:
; codeLenInByte = 0
; TotalNumSgprs: 6
; NumVgprs: 0
; NumAgprs: 0
; TotalNumVgprs: 0
; ScratchSize: 0
; MemoryBound: 0
; FloatMode: 240
; IeeeMode: 1
; LDSByteSize: 0 bytes/workgroup (compile time only)
; SGPRBlocks: 0
; VGPRBlocks: 0
; NumSGPRsForWavesPerEU: 6
; NumVGPRsForWavesPerEU: 1
; AccumOffset: 4
; Occupancy: 8
; WaveLimiterHint : 0
; COMPUTE_PGM_RSRC2:SCRATCH_EN: 0
; COMPUTE_PGM_RSRC2:USER_SGPR: 2
; COMPUTE_PGM_RSRC2:TRAP_HANDLER: 0
; COMPUTE_PGM_RSRC2:TGID_X_EN: 1
; COMPUTE_PGM_RSRC2:TGID_Y_EN: 0
; COMPUTE_PGM_RSRC2:TGID_Z_EN: 0
; COMPUTE_PGM_RSRC2:TIDIG_COMP_CNT: 0
; COMPUTE_PGM_RSRC3_GFX90A:ACCUM_OFFSET: 0
; COMPUTE_PGM_RSRC3_GFX90A:TG_SPLIT: 0
	.section	.text._ZN7rocprim17ROCPRIM_400000_NS6detail17trampoline_kernelINS0_14default_configENS1_25partition_config_selectorILNS1_17partition_subalgoE9EllbEEZZNS1_14partition_implILS5_9ELb0ES3_jPlS8_PNS0_10empty_typeENS0_5tupleIJS8_S9_EEENSB_IJS8_SA_EEENS0_18inequality_wrapperIZN2at6native12_GLOBAL__N_124unique_dim_cuda_templateIhEESt5tupleIJNSF_6TensorESK_SK_EERKSK_lbbbEUlllE0_EEPmJS9_EEE10hipError_tPvRmT3_T4_T5_T6_T7_T9_mT8_P12ihipStream_tbDpT10_ENKUlT_T0_E_clISt17integral_constantIbLb1EES1A_EEDaS15_S16_EUlS15_E_NS1_11comp_targetILNS1_3genE10ELNS1_11target_archE1200ELNS1_3gpuE4ELNS1_3repE0EEENS1_30default_config_static_selectorELNS0_4arch9wavefront6targetE1EEEvT1_,"axG",@progbits,_ZN7rocprim17ROCPRIM_400000_NS6detail17trampoline_kernelINS0_14default_configENS1_25partition_config_selectorILNS1_17partition_subalgoE9EllbEEZZNS1_14partition_implILS5_9ELb0ES3_jPlS8_PNS0_10empty_typeENS0_5tupleIJS8_S9_EEENSB_IJS8_SA_EEENS0_18inequality_wrapperIZN2at6native12_GLOBAL__N_124unique_dim_cuda_templateIhEESt5tupleIJNSF_6TensorESK_SK_EERKSK_lbbbEUlllE0_EEPmJS9_EEE10hipError_tPvRmT3_T4_T5_T6_T7_T9_mT8_P12ihipStream_tbDpT10_ENKUlT_T0_E_clISt17integral_constantIbLb1EES1A_EEDaS15_S16_EUlS15_E_NS1_11comp_targetILNS1_3genE10ELNS1_11target_archE1200ELNS1_3gpuE4ELNS1_3repE0EEENS1_30default_config_static_selectorELNS0_4arch9wavefront6targetE1EEEvT1_,comdat
	.globl	_ZN7rocprim17ROCPRIM_400000_NS6detail17trampoline_kernelINS0_14default_configENS1_25partition_config_selectorILNS1_17partition_subalgoE9EllbEEZZNS1_14partition_implILS5_9ELb0ES3_jPlS8_PNS0_10empty_typeENS0_5tupleIJS8_S9_EEENSB_IJS8_SA_EEENS0_18inequality_wrapperIZN2at6native12_GLOBAL__N_124unique_dim_cuda_templateIhEESt5tupleIJNSF_6TensorESK_SK_EERKSK_lbbbEUlllE0_EEPmJS9_EEE10hipError_tPvRmT3_T4_T5_T6_T7_T9_mT8_P12ihipStream_tbDpT10_ENKUlT_T0_E_clISt17integral_constantIbLb1EES1A_EEDaS15_S16_EUlS15_E_NS1_11comp_targetILNS1_3genE10ELNS1_11target_archE1200ELNS1_3gpuE4ELNS1_3repE0EEENS1_30default_config_static_selectorELNS0_4arch9wavefront6targetE1EEEvT1_ ; -- Begin function _ZN7rocprim17ROCPRIM_400000_NS6detail17trampoline_kernelINS0_14default_configENS1_25partition_config_selectorILNS1_17partition_subalgoE9EllbEEZZNS1_14partition_implILS5_9ELb0ES3_jPlS8_PNS0_10empty_typeENS0_5tupleIJS8_S9_EEENSB_IJS8_SA_EEENS0_18inequality_wrapperIZN2at6native12_GLOBAL__N_124unique_dim_cuda_templateIhEESt5tupleIJNSF_6TensorESK_SK_EERKSK_lbbbEUlllE0_EEPmJS9_EEE10hipError_tPvRmT3_T4_T5_T6_T7_T9_mT8_P12ihipStream_tbDpT10_ENKUlT_T0_E_clISt17integral_constantIbLb1EES1A_EEDaS15_S16_EUlS15_E_NS1_11comp_targetILNS1_3genE10ELNS1_11target_archE1200ELNS1_3gpuE4ELNS1_3repE0EEENS1_30default_config_static_selectorELNS0_4arch9wavefront6targetE1EEEvT1_
	.p2align	8
	.type	_ZN7rocprim17ROCPRIM_400000_NS6detail17trampoline_kernelINS0_14default_configENS1_25partition_config_selectorILNS1_17partition_subalgoE9EllbEEZZNS1_14partition_implILS5_9ELb0ES3_jPlS8_PNS0_10empty_typeENS0_5tupleIJS8_S9_EEENSB_IJS8_SA_EEENS0_18inequality_wrapperIZN2at6native12_GLOBAL__N_124unique_dim_cuda_templateIhEESt5tupleIJNSF_6TensorESK_SK_EERKSK_lbbbEUlllE0_EEPmJS9_EEE10hipError_tPvRmT3_T4_T5_T6_T7_T9_mT8_P12ihipStream_tbDpT10_ENKUlT_T0_E_clISt17integral_constantIbLb1EES1A_EEDaS15_S16_EUlS15_E_NS1_11comp_targetILNS1_3genE10ELNS1_11target_archE1200ELNS1_3gpuE4ELNS1_3repE0EEENS1_30default_config_static_selectorELNS0_4arch9wavefront6targetE1EEEvT1_,@function
_ZN7rocprim17ROCPRIM_400000_NS6detail17trampoline_kernelINS0_14default_configENS1_25partition_config_selectorILNS1_17partition_subalgoE9EllbEEZZNS1_14partition_implILS5_9ELb0ES3_jPlS8_PNS0_10empty_typeENS0_5tupleIJS8_S9_EEENSB_IJS8_SA_EEENS0_18inequality_wrapperIZN2at6native12_GLOBAL__N_124unique_dim_cuda_templateIhEESt5tupleIJNSF_6TensorESK_SK_EERKSK_lbbbEUlllE0_EEPmJS9_EEE10hipError_tPvRmT3_T4_T5_T6_T7_T9_mT8_P12ihipStream_tbDpT10_ENKUlT_T0_E_clISt17integral_constantIbLb1EES1A_EEDaS15_S16_EUlS15_E_NS1_11comp_targetILNS1_3genE10ELNS1_11target_archE1200ELNS1_3gpuE4ELNS1_3repE0EEENS1_30default_config_static_selectorELNS0_4arch9wavefront6targetE1EEEvT1_: ; @_ZN7rocprim17ROCPRIM_400000_NS6detail17trampoline_kernelINS0_14default_configENS1_25partition_config_selectorILNS1_17partition_subalgoE9EllbEEZZNS1_14partition_implILS5_9ELb0ES3_jPlS8_PNS0_10empty_typeENS0_5tupleIJS8_S9_EEENSB_IJS8_SA_EEENS0_18inequality_wrapperIZN2at6native12_GLOBAL__N_124unique_dim_cuda_templateIhEESt5tupleIJNSF_6TensorESK_SK_EERKSK_lbbbEUlllE0_EEPmJS9_EEE10hipError_tPvRmT3_T4_T5_T6_T7_T9_mT8_P12ihipStream_tbDpT10_ENKUlT_T0_E_clISt17integral_constantIbLb1EES1A_EEDaS15_S16_EUlS15_E_NS1_11comp_targetILNS1_3genE10ELNS1_11target_archE1200ELNS1_3gpuE4ELNS1_3repE0EEENS1_30default_config_static_selectorELNS0_4arch9wavefront6targetE1EEEvT1_
; %bb.0:
	.section	.rodata,"a",@progbits
	.p2align	6, 0x0
	.amdhsa_kernel _ZN7rocprim17ROCPRIM_400000_NS6detail17trampoline_kernelINS0_14default_configENS1_25partition_config_selectorILNS1_17partition_subalgoE9EllbEEZZNS1_14partition_implILS5_9ELb0ES3_jPlS8_PNS0_10empty_typeENS0_5tupleIJS8_S9_EEENSB_IJS8_SA_EEENS0_18inequality_wrapperIZN2at6native12_GLOBAL__N_124unique_dim_cuda_templateIhEESt5tupleIJNSF_6TensorESK_SK_EERKSK_lbbbEUlllE0_EEPmJS9_EEE10hipError_tPvRmT3_T4_T5_T6_T7_T9_mT8_P12ihipStream_tbDpT10_ENKUlT_T0_E_clISt17integral_constantIbLb1EES1A_EEDaS15_S16_EUlS15_E_NS1_11comp_targetILNS1_3genE10ELNS1_11target_archE1200ELNS1_3gpuE4ELNS1_3repE0EEENS1_30default_config_static_selectorELNS0_4arch9wavefront6targetE1EEEvT1_
		.amdhsa_group_segment_fixed_size 0
		.amdhsa_private_segment_fixed_size 0
		.amdhsa_kernarg_size 136
		.amdhsa_user_sgpr_count 2
		.amdhsa_user_sgpr_dispatch_ptr 0
		.amdhsa_user_sgpr_queue_ptr 0
		.amdhsa_user_sgpr_kernarg_segment_ptr 1
		.amdhsa_user_sgpr_dispatch_id 0
		.amdhsa_user_sgpr_kernarg_preload_length 0
		.amdhsa_user_sgpr_kernarg_preload_offset 0
		.amdhsa_user_sgpr_private_segment_size 0
		.amdhsa_uses_dynamic_stack 0
		.amdhsa_enable_private_segment 0
		.amdhsa_system_sgpr_workgroup_id_x 1
		.amdhsa_system_sgpr_workgroup_id_y 0
		.amdhsa_system_sgpr_workgroup_id_z 0
		.amdhsa_system_sgpr_workgroup_info 0
		.amdhsa_system_vgpr_workitem_id 0
		.amdhsa_next_free_vgpr 1
		.amdhsa_next_free_sgpr 0
		.amdhsa_accum_offset 4
		.amdhsa_reserve_vcc 0
		.amdhsa_float_round_mode_32 0
		.amdhsa_float_round_mode_16_64 0
		.amdhsa_float_denorm_mode_32 3
		.amdhsa_float_denorm_mode_16_64 3
		.amdhsa_dx10_clamp 1
		.amdhsa_ieee_mode 1
		.amdhsa_fp16_overflow 0
		.amdhsa_tg_split 0
		.amdhsa_exception_fp_ieee_invalid_op 0
		.amdhsa_exception_fp_denorm_src 0
		.amdhsa_exception_fp_ieee_div_zero 0
		.amdhsa_exception_fp_ieee_overflow 0
		.amdhsa_exception_fp_ieee_underflow 0
		.amdhsa_exception_fp_ieee_inexact 0
		.amdhsa_exception_int_div_zero 0
	.end_amdhsa_kernel
	.section	.text._ZN7rocprim17ROCPRIM_400000_NS6detail17trampoline_kernelINS0_14default_configENS1_25partition_config_selectorILNS1_17partition_subalgoE9EllbEEZZNS1_14partition_implILS5_9ELb0ES3_jPlS8_PNS0_10empty_typeENS0_5tupleIJS8_S9_EEENSB_IJS8_SA_EEENS0_18inequality_wrapperIZN2at6native12_GLOBAL__N_124unique_dim_cuda_templateIhEESt5tupleIJNSF_6TensorESK_SK_EERKSK_lbbbEUlllE0_EEPmJS9_EEE10hipError_tPvRmT3_T4_T5_T6_T7_T9_mT8_P12ihipStream_tbDpT10_ENKUlT_T0_E_clISt17integral_constantIbLb1EES1A_EEDaS15_S16_EUlS15_E_NS1_11comp_targetILNS1_3genE10ELNS1_11target_archE1200ELNS1_3gpuE4ELNS1_3repE0EEENS1_30default_config_static_selectorELNS0_4arch9wavefront6targetE1EEEvT1_,"axG",@progbits,_ZN7rocprim17ROCPRIM_400000_NS6detail17trampoline_kernelINS0_14default_configENS1_25partition_config_selectorILNS1_17partition_subalgoE9EllbEEZZNS1_14partition_implILS5_9ELb0ES3_jPlS8_PNS0_10empty_typeENS0_5tupleIJS8_S9_EEENSB_IJS8_SA_EEENS0_18inequality_wrapperIZN2at6native12_GLOBAL__N_124unique_dim_cuda_templateIhEESt5tupleIJNSF_6TensorESK_SK_EERKSK_lbbbEUlllE0_EEPmJS9_EEE10hipError_tPvRmT3_T4_T5_T6_T7_T9_mT8_P12ihipStream_tbDpT10_ENKUlT_T0_E_clISt17integral_constantIbLb1EES1A_EEDaS15_S16_EUlS15_E_NS1_11comp_targetILNS1_3genE10ELNS1_11target_archE1200ELNS1_3gpuE4ELNS1_3repE0EEENS1_30default_config_static_selectorELNS0_4arch9wavefront6targetE1EEEvT1_,comdat
.Lfunc_end217:
	.size	_ZN7rocprim17ROCPRIM_400000_NS6detail17trampoline_kernelINS0_14default_configENS1_25partition_config_selectorILNS1_17partition_subalgoE9EllbEEZZNS1_14partition_implILS5_9ELb0ES3_jPlS8_PNS0_10empty_typeENS0_5tupleIJS8_S9_EEENSB_IJS8_SA_EEENS0_18inequality_wrapperIZN2at6native12_GLOBAL__N_124unique_dim_cuda_templateIhEESt5tupleIJNSF_6TensorESK_SK_EERKSK_lbbbEUlllE0_EEPmJS9_EEE10hipError_tPvRmT3_T4_T5_T6_T7_T9_mT8_P12ihipStream_tbDpT10_ENKUlT_T0_E_clISt17integral_constantIbLb1EES1A_EEDaS15_S16_EUlS15_E_NS1_11comp_targetILNS1_3genE10ELNS1_11target_archE1200ELNS1_3gpuE4ELNS1_3repE0EEENS1_30default_config_static_selectorELNS0_4arch9wavefront6targetE1EEEvT1_, .Lfunc_end217-_ZN7rocprim17ROCPRIM_400000_NS6detail17trampoline_kernelINS0_14default_configENS1_25partition_config_selectorILNS1_17partition_subalgoE9EllbEEZZNS1_14partition_implILS5_9ELb0ES3_jPlS8_PNS0_10empty_typeENS0_5tupleIJS8_S9_EEENSB_IJS8_SA_EEENS0_18inequality_wrapperIZN2at6native12_GLOBAL__N_124unique_dim_cuda_templateIhEESt5tupleIJNSF_6TensorESK_SK_EERKSK_lbbbEUlllE0_EEPmJS9_EEE10hipError_tPvRmT3_T4_T5_T6_T7_T9_mT8_P12ihipStream_tbDpT10_ENKUlT_T0_E_clISt17integral_constantIbLb1EES1A_EEDaS15_S16_EUlS15_E_NS1_11comp_targetILNS1_3genE10ELNS1_11target_archE1200ELNS1_3gpuE4ELNS1_3repE0EEENS1_30default_config_static_selectorELNS0_4arch9wavefront6targetE1EEEvT1_
                                        ; -- End function
	.set _ZN7rocprim17ROCPRIM_400000_NS6detail17trampoline_kernelINS0_14default_configENS1_25partition_config_selectorILNS1_17partition_subalgoE9EllbEEZZNS1_14partition_implILS5_9ELb0ES3_jPlS8_PNS0_10empty_typeENS0_5tupleIJS8_S9_EEENSB_IJS8_SA_EEENS0_18inequality_wrapperIZN2at6native12_GLOBAL__N_124unique_dim_cuda_templateIhEESt5tupleIJNSF_6TensorESK_SK_EERKSK_lbbbEUlllE0_EEPmJS9_EEE10hipError_tPvRmT3_T4_T5_T6_T7_T9_mT8_P12ihipStream_tbDpT10_ENKUlT_T0_E_clISt17integral_constantIbLb1EES1A_EEDaS15_S16_EUlS15_E_NS1_11comp_targetILNS1_3genE10ELNS1_11target_archE1200ELNS1_3gpuE4ELNS1_3repE0EEENS1_30default_config_static_selectorELNS0_4arch9wavefront6targetE1EEEvT1_.num_vgpr, 0
	.set _ZN7rocprim17ROCPRIM_400000_NS6detail17trampoline_kernelINS0_14default_configENS1_25partition_config_selectorILNS1_17partition_subalgoE9EllbEEZZNS1_14partition_implILS5_9ELb0ES3_jPlS8_PNS0_10empty_typeENS0_5tupleIJS8_S9_EEENSB_IJS8_SA_EEENS0_18inequality_wrapperIZN2at6native12_GLOBAL__N_124unique_dim_cuda_templateIhEESt5tupleIJNSF_6TensorESK_SK_EERKSK_lbbbEUlllE0_EEPmJS9_EEE10hipError_tPvRmT3_T4_T5_T6_T7_T9_mT8_P12ihipStream_tbDpT10_ENKUlT_T0_E_clISt17integral_constantIbLb1EES1A_EEDaS15_S16_EUlS15_E_NS1_11comp_targetILNS1_3genE10ELNS1_11target_archE1200ELNS1_3gpuE4ELNS1_3repE0EEENS1_30default_config_static_selectorELNS0_4arch9wavefront6targetE1EEEvT1_.num_agpr, 0
	.set _ZN7rocprim17ROCPRIM_400000_NS6detail17trampoline_kernelINS0_14default_configENS1_25partition_config_selectorILNS1_17partition_subalgoE9EllbEEZZNS1_14partition_implILS5_9ELb0ES3_jPlS8_PNS0_10empty_typeENS0_5tupleIJS8_S9_EEENSB_IJS8_SA_EEENS0_18inequality_wrapperIZN2at6native12_GLOBAL__N_124unique_dim_cuda_templateIhEESt5tupleIJNSF_6TensorESK_SK_EERKSK_lbbbEUlllE0_EEPmJS9_EEE10hipError_tPvRmT3_T4_T5_T6_T7_T9_mT8_P12ihipStream_tbDpT10_ENKUlT_T0_E_clISt17integral_constantIbLb1EES1A_EEDaS15_S16_EUlS15_E_NS1_11comp_targetILNS1_3genE10ELNS1_11target_archE1200ELNS1_3gpuE4ELNS1_3repE0EEENS1_30default_config_static_selectorELNS0_4arch9wavefront6targetE1EEEvT1_.numbered_sgpr, 0
	.set _ZN7rocprim17ROCPRIM_400000_NS6detail17trampoline_kernelINS0_14default_configENS1_25partition_config_selectorILNS1_17partition_subalgoE9EllbEEZZNS1_14partition_implILS5_9ELb0ES3_jPlS8_PNS0_10empty_typeENS0_5tupleIJS8_S9_EEENSB_IJS8_SA_EEENS0_18inequality_wrapperIZN2at6native12_GLOBAL__N_124unique_dim_cuda_templateIhEESt5tupleIJNSF_6TensorESK_SK_EERKSK_lbbbEUlllE0_EEPmJS9_EEE10hipError_tPvRmT3_T4_T5_T6_T7_T9_mT8_P12ihipStream_tbDpT10_ENKUlT_T0_E_clISt17integral_constantIbLb1EES1A_EEDaS15_S16_EUlS15_E_NS1_11comp_targetILNS1_3genE10ELNS1_11target_archE1200ELNS1_3gpuE4ELNS1_3repE0EEENS1_30default_config_static_selectorELNS0_4arch9wavefront6targetE1EEEvT1_.num_named_barrier, 0
	.set _ZN7rocprim17ROCPRIM_400000_NS6detail17trampoline_kernelINS0_14default_configENS1_25partition_config_selectorILNS1_17partition_subalgoE9EllbEEZZNS1_14partition_implILS5_9ELb0ES3_jPlS8_PNS0_10empty_typeENS0_5tupleIJS8_S9_EEENSB_IJS8_SA_EEENS0_18inequality_wrapperIZN2at6native12_GLOBAL__N_124unique_dim_cuda_templateIhEESt5tupleIJNSF_6TensorESK_SK_EERKSK_lbbbEUlllE0_EEPmJS9_EEE10hipError_tPvRmT3_T4_T5_T6_T7_T9_mT8_P12ihipStream_tbDpT10_ENKUlT_T0_E_clISt17integral_constantIbLb1EES1A_EEDaS15_S16_EUlS15_E_NS1_11comp_targetILNS1_3genE10ELNS1_11target_archE1200ELNS1_3gpuE4ELNS1_3repE0EEENS1_30default_config_static_selectorELNS0_4arch9wavefront6targetE1EEEvT1_.private_seg_size, 0
	.set _ZN7rocprim17ROCPRIM_400000_NS6detail17trampoline_kernelINS0_14default_configENS1_25partition_config_selectorILNS1_17partition_subalgoE9EllbEEZZNS1_14partition_implILS5_9ELb0ES3_jPlS8_PNS0_10empty_typeENS0_5tupleIJS8_S9_EEENSB_IJS8_SA_EEENS0_18inequality_wrapperIZN2at6native12_GLOBAL__N_124unique_dim_cuda_templateIhEESt5tupleIJNSF_6TensorESK_SK_EERKSK_lbbbEUlllE0_EEPmJS9_EEE10hipError_tPvRmT3_T4_T5_T6_T7_T9_mT8_P12ihipStream_tbDpT10_ENKUlT_T0_E_clISt17integral_constantIbLb1EES1A_EEDaS15_S16_EUlS15_E_NS1_11comp_targetILNS1_3genE10ELNS1_11target_archE1200ELNS1_3gpuE4ELNS1_3repE0EEENS1_30default_config_static_selectorELNS0_4arch9wavefront6targetE1EEEvT1_.uses_vcc, 0
	.set _ZN7rocprim17ROCPRIM_400000_NS6detail17trampoline_kernelINS0_14default_configENS1_25partition_config_selectorILNS1_17partition_subalgoE9EllbEEZZNS1_14partition_implILS5_9ELb0ES3_jPlS8_PNS0_10empty_typeENS0_5tupleIJS8_S9_EEENSB_IJS8_SA_EEENS0_18inequality_wrapperIZN2at6native12_GLOBAL__N_124unique_dim_cuda_templateIhEESt5tupleIJNSF_6TensorESK_SK_EERKSK_lbbbEUlllE0_EEPmJS9_EEE10hipError_tPvRmT3_T4_T5_T6_T7_T9_mT8_P12ihipStream_tbDpT10_ENKUlT_T0_E_clISt17integral_constantIbLb1EES1A_EEDaS15_S16_EUlS15_E_NS1_11comp_targetILNS1_3genE10ELNS1_11target_archE1200ELNS1_3gpuE4ELNS1_3repE0EEENS1_30default_config_static_selectorELNS0_4arch9wavefront6targetE1EEEvT1_.uses_flat_scratch, 0
	.set _ZN7rocprim17ROCPRIM_400000_NS6detail17trampoline_kernelINS0_14default_configENS1_25partition_config_selectorILNS1_17partition_subalgoE9EllbEEZZNS1_14partition_implILS5_9ELb0ES3_jPlS8_PNS0_10empty_typeENS0_5tupleIJS8_S9_EEENSB_IJS8_SA_EEENS0_18inequality_wrapperIZN2at6native12_GLOBAL__N_124unique_dim_cuda_templateIhEESt5tupleIJNSF_6TensorESK_SK_EERKSK_lbbbEUlllE0_EEPmJS9_EEE10hipError_tPvRmT3_T4_T5_T6_T7_T9_mT8_P12ihipStream_tbDpT10_ENKUlT_T0_E_clISt17integral_constantIbLb1EES1A_EEDaS15_S16_EUlS15_E_NS1_11comp_targetILNS1_3genE10ELNS1_11target_archE1200ELNS1_3gpuE4ELNS1_3repE0EEENS1_30default_config_static_selectorELNS0_4arch9wavefront6targetE1EEEvT1_.has_dyn_sized_stack, 0
	.set _ZN7rocprim17ROCPRIM_400000_NS6detail17trampoline_kernelINS0_14default_configENS1_25partition_config_selectorILNS1_17partition_subalgoE9EllbEEZZNS1_14partition_implILS5_9ELb0ES3_jPlS8_PNS0_10empty_typeENS0_5tupleIJS8_S9_EEENSB_IJS8_SA_EEENS0_18inequality_wrapperIZN2at6native12_GLOBAL__N_124unique_dim_cuda_templateIhEESt5tupleIJNSF_6TensorESK_SK_EERKSK_lbbbEUlllE0_EEPmJS9_EEE10hipError_tPvRmT3_T4_T5_T6_T7_T9_mT8_P12ihipStream_tbDpT10_ENKUlT_T0_E_clISt17integral_constantIbLb1EES1A_EEDaS15_S16_EUlS15_E_NS1_11comp_targetILNS1_3genE10ELNS1_11target_archE1200ELNS1_3gpuE4ELNS1_3repE0EEENS1_30default_config_static_selectorELNS0_4arch9wavefront6targetE1EEEvT1_.has_recursion, 0
	.set _ZN7rocprim17ROCPRIM_400000_NS6detail17trampoline_kernelINS0_14default_configENS1_25partition_config_selectorILNS1_17partition_subalgoE9EllbEEZZNS1_14partition_implILS5_9ELb0ES3_jPlS8_PNS0_10empty_typeENS0_5tupleIJS8_S9_EEENSB_IJS8_SA_EEENS0_18inequality_wrapperIZN2at6native12_GLOBAL__N_124unique_dim_cuda_templateIhEESt5tupleIJNSF_6TensorESK_SK_EERKSK_lbbbEUlllE0_EEPmJS9_EEE10hipError_tPvRmT3_T4_T5_T6_T7_T9_mT8_P12ihipStream_tbDpT10_ENKUlT_T0_E_clISt17integral_constantIbLb1EES1A_EEDaS15_S16_EUlS15_E_NS1_11comp_targetILNS1_3genE10ELNS1_11target_archE1200ELNS1_3gpuE4ELNS1_3repE0EEENS1_30default_config_static_selectorELNS0_4arch9wavefront6targetE1EEEvT1_.has_indirect_call, 0
	.section	.AMDGPU.csdata,"",@progbits
; Kernel info:
; codeLenInByte = 0
; TotalNumSgprs: 6
; NumVgprs: 0
; NumAgprs: 0
; TotalNumVgprs: 0
; ScratchSize: 0
; MemoryBound: 0
; FloatMode: 240
; IeeeMode: 1
; LDSByteSize: 0 bytes/workgroup (compile time only)
; SGPRBlocks: 0
; VGPRBlocks: 0
; NumSGPRsForWavesPerEU: 6
; NumVGPRsForWavesPerEU: 1
; AccumOffset: 4
; Occupancy: 8
; WaveLimiterHint : 0
; COMPUTE_PGM_RSRC2:SCRATCH_EN: 0
; COMPUTE_PGM_RSRC2:USER_SGPR: 2
; COMPUTE_PGM_RSRC2:TRAP_HANDLER: 0
; COMPUTE_PGM_RSRC2:TGID_X_EN: 1
; COMPUTE_PGM_RSRC2:TGID_Y_EN: 0
; COMPUTE_PGM_RSRC2:TGID_Z_EN: 0
; COMPUTE_PGM_RSRC2:TIDIG_COMP_CNT: 0
; COMPUTE_PGM_RSRC3_GFX90A:ACCUM_OFFSET: 0
; COMPUTE_PGM_RSRC3_GFX90A:TG_SPLIT: 0
	.section	.text._ZN7rocprim17ROCPRIM_400000_NS6detail17trampoline_kernelINS0_14default_configENS1_25partition_config_selectorILNS1_17partition_subalgoE9EllbEEZZNS1_14partition_implILS5_9ELb0ES3_jPlS8_PNS0_10empty_typeENS0_5tupleIJS8_S9_EEENSB_IJS8_SA_EEENS0_18inequality_wrapperIZN2at6native12_GLOBAL__N_124unique_dim_cuda_templateIhEESt5tupleIJNSF_6TensorESK_SK_EERKSK_lbbbEUlllE0_EEPmJS9_EEE10hipError_tPvRmT3_T4_T5_T6_T7_T9_mT8_P12ihipStream_tbDpT10_ENKUlT_T0_E_clISt17integral_constantIbLb1EES1A_EEDaS15_S16_EUlS15_E_NS1_11comp_targetILNS1_3genE9ELNS1_11target_archE1100ELNS1_3gpuE3ELNS1_3repE0EEENS1_30default_config_static_selectorELNS0_4arch9wavefront6targetE1EEEvT1_,"axG",@progbits,_ZN7rocprim17ROCPRIM_400000_NS6detail17trampoline_kernelINS0_14default_configENS1_25partition_config_selectorILNS1_17partition_subalgoE9EllbEEZZNS1_14partition_implILS5_9ELb0ES3_jPlS8_PNS0_10empty_typeENS0_5tupleIJS8_S9_EEENSB_IJS8_SA_EEENS0_18inequality_wrapperIZN2at6native12_GLOBAL__N_124unique_dim_cuda_templateIhEESt5tupleIJNSF_6TensorESK_SK_EERKSK_lbbbEUlllE0_EEPmJS9_EEE10hipError_tPvRmT3_T4_T5_T6_T7_T9_mT8_P12ihipStream_tbDpT10_ENKUlT_T0_E_clISt17integral_constantIbLb1EES1A_EEDaS15_S16_EUlS15_E_NS1_11comp_targetILNS1_3genE9ELNS1_11target_archE1100ELNS1_3gpuE3ELNS1_3repE0EEENS1_30default_config_static_selectorELNS0_4arch9wavefront6targetE1EEEvT1_,comdat
	.globl	_ZN7rocprim17ROCPRIM_400000_NS6detail17trampoline_kernelINS0_14default_configENS1_25partition_config_selectorILNS1_17partition_subalgoE9EllbEEZZNS1_14partition_implILS5_9ELb0ES3_jPlS8_PNS0_10empty_typeENS0_5tupleIJS8_S9_EEENSB_IJS8_SA_EEENS0_18inequality_wrapperIZN2at6native12_GLOBAL__N_124unique_dim_cuda_templateIhEESt5tupleIJNSF_6TensorESK_SK_EERKSK_lbbbEUlllE0_EEPmJS9_EEE10hipError_tPvRmT3_T4_T5_T6_T7_T9_mT8_P12ihipStream_tbDpT10_ENKUlT_T0_E_clISt17integral_constantIbLb1EES1A_EEDaS15_S16_EUlS15_E_NS1_11comp_targetILNS1_3genE9ELNS1_11target_archE1100ELNS1_3gpuE3ELNS1_3repE0EEENS1_30default_config_static_selectorELNS0_4arch9wavefront6targetE1EEEvT1_ ; -- Begin function _ZN7rocprim17ROCPRIM_400000_NS6detail17trampoline_kernelINS0_14default_configENS1_25partition_config_selectorILNS1_17partition_subalgoE9EllbEEZZNS1_14partition_implILS5_9ELb0ES3_jPlS8_PNS0_10empty_typeENS0_5tupleIJS8_S9_EEENSB_IJS8_SA_EEENS0_18inequality_wrapperIZN2at6native12_GLOBAL__N_124unique_dim_cuda_templateIhEESt5tupleIJNSF_6TensorESK_SK_EERKSK_lbbbEUlllE0_EEPmJS9_EEE10hipError_tPvRmT3_T4_T5_T6_T7_T9_mT8_P12ihipStream_tbDpT10_ENKUlT_T0_E_clISt17integral_constantIbLb1EES1A_EEDaS15_S16_EUlS15_E_NS1_11comp_targetILNS1_3genE9ELNS1_11target_archE1100ELNS1_3gpuE3ELNS1_3repE0EEENS1_30default_config_static_selectorELNS0_4arch9wavefront6targetE1EEEvT1_
	.p2align	8
	.type	_ZN7rocprim17ROCPRIM_400000_NS6detail17trampoline_kernelINS0_14default_configENS1_25partition_config_selectorILNS1_17partition_subalgoE9EllbEEZZNS1_14partition_implILS5_9ELb0ES3_jPlS8_PNS0_10empty_typeENS0_5tupleIJS8_S9_EEENSB_IJS8_SA_EEENS0_18inequality_wrapperIZN2at6native12_GLOBAL__N_124unique_dim_cuda_templateIhEESt5tupleIJNSF_6TensorESK_SK_EERKSK_lbbbEUlllE0_EEPmJS9_EEE10hipError_tPvRmT3_T4_T5_T6_T7_T9_mT8_P12ihipStream_tbDpT10_ENKUlT_T0_E_clISt17integral_constantIbLb1EES1A_EEDaS15_S16_EUlS15_E_NS1_11comp_targetILNS1_3genE9ELNS1_11target_archE1100ELNS1_3gpuE3ELNS1_3repE0EEENS1_30default_config_static_selectorELNS0_4arch9wavefront6targetE1EEEvT1_,@function
_ZN7rocprim17ROCPRIM_400000_NS6detail17trampoline_kernelINS0_14default_configENS1_25partition_config_selectorILNS1_17partition_subalgoE9EllbEEZZNS1_14partition_implILS5_9ELb0ES3_jPlS8_PNS0_10empty_typeENS0_5tupleIJS8_S9_EEENSB_IJS8_SA_EEENS0_18inequality_wrapperIZN2at6native12_GLOBAL__N_124unique_dim_cuda_templateIhEESt5tupleIJNSF_6TensorESK_SK_EERKSK_lbbbEUlllE0_EEPmJS9_EEE10hipError_tPvRmT3_T4_T5_T6_T7_T9_mT8_P12ihipStream_tbDpT10_ENKUlT_T0_E_clISt17integral_constantIbLb1EES1A_EEDaS15_S16_EUlS15_E_NS1_11comp_targetILNS1_3genE9ELNS1_11target_archE1100ELNS1_3gpuE3ELNS1_3repE0EEENS1_30default_config_static_selectorELNS0_4arch9wavefront6targetE1EEEvT1_: ; @_ZN7rocprim17ROCPRIM_400000_NS6detail17trampoline_kernelINS0_14default_configENS1_25partition_config_selectorILNS1_17partition_subalgoE9EllbEEZZNS1_14partition_implILS5_9ELb0ES3_jPlS8_PNS0_10empty_typeENS0_5tupleIJS8_S9_EEENSB_IJS8_SA_EEENS0_18inequality_wrapperIZN2at6native12_GLOBAL__N_124unique_dim_cuda_templateIhEESt5tupleIJNSF_6TensorESK_SK_EERKSK_lbbbEUlllE0_EEPmJS9_EEE10hipError_tPvRmT3_T4_T5_T6_T7_T9_mT8_P12ihipStream_tbDpT10_ENKUlT_T0_E_clISt17integral_constantIbLb1EES1A_EEDaS15_S16_EUlS15_E_NS1_11comp_targetILNS1_3genE9ELNS1_11target_archE1100ELNS1_3gpuE3ELNS1_3repE0EEENS1_30default_config_static_selectorELNS0_4arch9wavefront6targetE1EEEvT1_
; %bb.0:
	.section	.rodata,"a",@progbits
	.p2align	6, 0x0
	.amdhsa_kernel _ZN7rocprim17ROCPRIM_400000_NS6detail17trampoline_kernelINS0_14default_configENS1_25partition_config_selectorILNS1_17partition_subalgoE9EllbEEZZNS1_14partition_implILS5_9ELb0ES3_jPlS8_PNS0_10empty_typeENS0_5tupleIJS8_S9_EEENSB_IJS8_SA_EEENS0_18inequality_wrapperIZN2at6native12_GLOBAL__N_124unique_dim_cuda_templateIhEESt5tupleIJNSF_6TensorESK_SK_EERKSK_lbbbEUlllE0_EEPmJS9_EEE10hipError_tPvRmT3_T4_T5_T6_T7_T9_mT8_P12ihipStream_tbDpT10_ENKUlT_T0_E_clISt17integral_constantIbLb1EES1A_EEDaS15_S16_EUlS15_E_NS1_11comp_targetILNS1_3genE9ELNS1_11target_archE1100ELNS1_3gpuE3ELNS1_3repE0EEENS1_30default_config_static_selectorELNS0_4arch9wavefront6targetE1EEEvT1_
		.amdhsa_group_segment_fixed_size 0
		.amdhsa_private_segment_fixed_size 0
		.amdhsa_kernarg_size 136
		.amdhsa_user_sgpr_count 2
		.amdhsa_user_sgpr_dispatch_ptr 0
		.amdhsa_user_sgpr_queue_ptr 0
		.amdhsa_user_sgpr_kernarg_segment_ptr 1
		.amdhsa_user_sgpr_dispatch_id 0
		.amdhsa_user_sgpr_kernarg_preload_length 0
		.amdhsa_user_sgpr_kernarg_preload_offset 0
		.amdhsa_user_sgpr_private_segment_size 0
		.amdhsa_uses_dynamic_stack 0
		.amdhsa_enable_private_segment 0
		.amdhsa_system_sgpr_workgroup_id_x 1
		.amdhsa_system_sgpr_workgroup_id_y 0
		.amdhsa_system_sgpr_workgroup_id_z 0
		.amdhsa_system_sgpr_workgroup_info 0
		.amdhsa_system_vgpr_workitem_id 0
		.amdhsa_next_free_vgpr 1
		.amdhsa_next_free_sgpr 0
		.amdhsa_accum_offset 4
		.amdhsa_reserve_vcc 0
		.amdhsa_float_round_mode_32 0
		.amdhsa_float_round_mode_16_64 0
		.amdhsa_float_denorm_mode_32 3
		.amdhsa_float_denorm_mode_16_64 3
		.amdhsa_dx10_clamp 1
		.amdhsa_ieee_mode 1
		.amdhsa_fp16_overflow 0
		.amdhsa_tg_split 0
		.amdhsa_exception_fp_ieee_invalid_op 0
		.amdhsa_exception_fp_denorm_src 0
		.amdhsa_exception_fp_ieee_div_zero 0
		.amdhsa_exception_fp_ieee_overflow 0
		.amdhsa_exception_fp_ieee_underflow 0
		.amdhsa_exception_fp_ieee_inexact 0
		.amdhsa_exception_int_div_zero 0
	.end_amdhsa_kernel
	.section	.text._ZN7rocprim17ROCPRIM_400000_NS6detail17trampoline_kernelINS0_14default_configENS1_25partition_config_selectorILNS1_17partition_subalgoE9EllbEEZZNS1_14partition_implILS5_9ELb0ES3_jPlS8_PNS0_10empty_typeENS0_5tupleIJS8_S9_EEENSB_IJS8_SA_EEENS0_18inequality_wrapperIZN2at6native12_GLOBAL__N_124unique_dim_cuda_templateIhEESt5tupleIJNSF_6TensorESK_SK_EERKSK_lbbbEUlllE0_EEPmJS9_EEE10hipError_tPvRmT3_T4_T5_T6_T7_T9_mT8_P12ihipStream_tbDpT10_ENKUlT_T0_E_clISt17integral_constantIbLb1EES1A_EEDaS15_S16_EUlS15_E_NS1_11comp_targetILNS1_3genE9ELNS1_11target_archE1100ELNS1_3gpuE3ELNS1_3repE0EEENS1_30default_config_static_selectorELNS0_4arch9wavefront6targetE1EEEvT1_,"axG",@progbits,_ZN7rocprim17ROCPRIM_400000_NS6detail17trampoline_kernelINS0_14default_configENS1_25partition_config_selectorILNS1_17partition_subalgoE9EllbEEZZNS1_14partition_implILS5_9ELb0ES3_jPlS8_PNS0_10empty_typeENS0_5tupleIJS8_S9_EEENSB_IJS8_SA_EEENS0_18inequality_wrapperIZN2at6native12_GLOBAL__N_124unique_dim_cuda_templateIhEESt5tupleIJNSF_6TensorESK_SK_EERKSK_lbbbEUlllE0_EEPmJS9_EEE10hipError_tPvRmT3_T4_T5_T6_T7_T9_mT8_P12ihipStream_tbDpT10_ENKUlT_T0_E_clISt17integral_constantIbLb1EES1A_EEDaS15_S16_EUlS15_E_NS1_11comp_targetILNS1_3genE9ELNS1_11target_archE1100ELNS1_3gpuE3ELNS1_3repE0EEENS1_30default_config_static_selectorELNS0_4arch9wavefront6targetE1EEEvT1_,comdat
.Lfunc_end218:
	.size	_ZN7rocprim17ROCPRIM_400000_NS6detail17trampoline_kernelINS0_14default_configENS1_25partition_config_selectorILNS1_17partition_subalgoE9EllbEEZZNS1_14partition_implILS5_9ELb0ES3_jPlS8_PNS0_10empty_typeENS0_5tupleIJS8_S9_EEENSB_IJS8_SA_EEENS0_18inequality_wrapperIZN2at6native12_GLOBAL__N_124unique_dim_cuda_templateIhEESt5tupleIJNSF_6TensorESK_SK_EERKSK_lbbbEUlllE0_EEPmJS9_EEE10hipError_tPvRmT3_T4_T5_T6_T7_T9_mT8_P12ihipStream_tbDpT10_ENKUlT_T0_E_clISt17integral_constantIbLb1EES1A_EEDaS15_S16_EUlS15_E_NS1_11comp_targetILNS1_3genE9ELNS1_11target_archE1100ELNS1_3gpuE3ELNS1_3repE0EEENS1_30default_config_static_selectorELNS0_4arch9wavefront6targetE1EEEvT1_, .Lfunc_end218-_ZN7rocprim17ROCPRIM_400000_NS6detail17trampoline_kernelINS0_14default_configENS1_25partition_config_selectorILNS1_17partition_subalgoE9EllbEEZZNS1_14partition_implILS5_9ELb0ES3_jPlS8_PNS0_10empty_typeENS0_5tupleIJS8_S9_EEENSB_IJS8_SA_EEENS0_18inequality_wrapperIZN2at6native12_GLOBAL__N_124unique_dim_cuda_templateIhEESt5tupleIJNSF_6TensorESK_SK_EERKSK_lbbbEUlllE0_EEPmJS9_EEE10hipError_tPvRmT3_T4_T5_T6_T7_T9_mT8_P12ihipStream_tbDpT10_ENKUlT_T0_E_clISt17integral_constantIbLb1EES1A_EEDaS15_S16_EUlS15_E_NS1_11comp_targetILNS1_3genE9ELNS1_11target_archE1100ELNS1_3gpuE3ELNS1_3repE0EEENS1_30default_config_static_selectorELNS0_4arch9wavefront6targetE1EEEvT1_
                                        ; -- End function
	.set _ZN7rocprim17ROCPRIM_400000_NS6detail17trampoline_kernelINS0_14default_configENS1_25partition_config_selectorILNS1_17partition_subalgoE9EllbEEZZNS1_14partition_implILS5_9ELb0ES3_jPlS8_PNS0_10empty_typeENS0_5tupleIJS8_S9_EEENSB_IJS8_SA_EEENS0_18inequality_wrapperIZN2at6native12_GLOBAL__N_124unique_dim_cuda_templateIhEESt5tupleIJNSF_6TensorESK_SK_EERKSK_lbbbEUlllE0_EEPmJS9_EEE10hipError_tPvRmT3_T4_T5_T6_T7_T9_mT8_P12ihipStream_tbDpT10_ENKUlT_T0_E_clISt17integral_constantIbLb1EES1A_EEDaS15_S16_EUlS15_E_NS1_11comp_targetILNS1_3genE9ELNS1_11target_archE1100ELNS1_3gpuE3ELNS1_3repE0EEENS1_30default_config_static_selectorELNS0_4arch9wavefront6targetE1EEEvT1_.num_vgpr, 0
	.set _ZN7rocprim17ROCPRIM_400000_NS6detail17trampoline_kernelINS0_14default_configENS1_25partition_config_selectorILNS1_17partition_subalgoE9EllbEEZZNS1_14partition_implILS5_9ELb0ES3_jPlS8_PNS0_10empty_typeENS0_5tupleIJS8_S9_EEENSB_IJS8_SA_EEENS0_18inequality_wrapperIZN2at6native12_GLOBAL__N_124unique_dim_cuda_templateIhEESt5tupleIJNSF_6TensorESK_SK_EERKSK_lbbbEUlllE0_EEPmJS9_EEE10hipError_tPvRmT3_T4_T5_T6_T7_T9_mT8_P12ihipStream_tbDpT10_ENKUlT_T0_E_clISt17integral_constantIbLb1EES1A_EEDaS15_S16_EUlS15_E_NS1_11comp_targetILNS1_3genE9ELNS1_11target_archE1100ELNS1_3gpuE3ELNS1_3repE0EEENS1_30default_config_static_selectorELNS0_4arch9wavefront6targetE1EEEvT1_.num_agpr, 0
	.set _ZN7rocprim17ROCPRIM_400000_NS6detail17trampoline_kernelINS0_14default_configENS1_25partition_config_selectorILNS1_17partition_subalgoE9EllbEEZZNS1_14partition_implILS5_9ELb0ES3_jPlS8_PNS0_10empty_typeENS0_5tupleIJS8_S9_EEENSB_IJS8_SA_EEENS0_18inequality_wrapperIZN2at6native12_GLOBAL__N_124unique_dim_cuda_templateIhEESt5tupleIJNSF_6TensorESK_SK_EERKSK_lbbbEUlllE0_EEPmJS9_EEE10hipError_tPvRmT3_T4_T5_T6_T7_T9_mT8_P12ihipStream_tbDpT10_ENKUlT_T0_E_clISt17integral_constantIbLb1EES1A_EEDaS15_S16_EUlS15_E_NS1_11comp_targetILNS1_3genE9ELNS1_11target_archE1100ELNS1_3gpuE3ELNS1_3repE0EEENS1_30default_config_static_selectorELNS0_4arch9wavefront6targetE1EEEvT1_.numbered_sgpr, 0
	.set _ZN7rocprim17ROCPRIM_400000_NS6detail17trampoline_kernelINS0_14default_configENS1_25partition_config_selectorILNS1_17partition_subalgoE9EllbEEZZNS1_14partition_implILS5_9ELb0ES3_jPlS8_PNS0_10empty_typeENS0_5tupleIJS8_S9_EEENSB_IJS8_SA_EEENS0_18inequality_wrapperIZN2at6native12_GLOBAL__N_124unique_dim_cuda_templateIhEESt5tupleIJNSF_6TensorESK_SK_EERKSK_lbbbEUlllE0_EEPmJS9_EEE10hipError_tPvRmT3_T4_T5_T6_T7_T9_mT8_P12ihipStream_tbDpT10_ENKUlT_T0_E_clISt17integral_constantIbLb1EES1A_EEDaS15_S16_EUlS15_E_NS1_11comp_targetILNS1_3genE9ELNS1_11target_archE1100ELNS1_3gpuE3ELNS1_3repE0EEENS1_30default_config_static_selectorELNS0_4arch9wavefront6targetE1EEEvT1_.num_named_barrier, 0
	.set _ZN7rocprim17ROCPRIM_400000_NS6detail17trampoline_kernelINS0_14default_configENS1_25partition_config_selectorILNS1_17partition_subalgoE9EllbEEZZNS1_14partition_implILS5_9ELb0ES3_jPlS8_PNS0_10empty_typeENS0_5tupleIJS8_S9_EEENSB_IJS8_SA_EEENS0_18inequality_wrapperIZN2at6native12_GLOBAL__N_124unique_dim_cuda_templateIhEESt5tupleIJNSF_6TensorESK_SK_EERKSK_lbbbEUlllE0_EEPmJS9_EEE10hipError_tPvRmT3_T4_T5_T6_T7_T9_mT8_P12ihipStream_tbDpT10_ENKUlT_T0_E_clISt17integral_constantIbLb1EES1A_EEDaS15_S16_EUlS15_E_NS1_11comp_targetILNS1_3genE9ELNS1_11target_archE1100ELNS1_3gpuE3ELNS1_3repE0EEENS1_30default_config_static_selectorELNS0_4arch9wavefront6targetE1EEEvT1_.private_seg_size, 0
	.set _ZN7rocprim17ROCPRIM_400000_NS6detail17trampoline_kernelINS0_14default_configENS1_25partition_config_selectorILNS1_17partition_subalgoE9EllbEEZZNS1_14partition_implILS5_9ELb0ES3_jPlS8_PNS0_10empty_typeENS0_5tupleIJS8_S9_EEENSB_IJS8_SA_EEENS0_18inequality_wrapperIZN2at6native12_GLOBAL__N_124unique_dim_cuda_templateIhEESt5tupleIJNSF_6TensorESK_SK_EERKSK_lbbbEUlllE0_EEPmJS9_EEE10hipError_tPvRmT3_T4_T5_T6_T7_T9_mT8_P12ihipStream_tbDpT10_ENKUlT_T0_E_clISt17integral_constantIbLb1EES1A_EEDaS15_S16_EUlS15_E_NS1_11comp_targetILNS1_3genE9ELNS1_11target_archE1100ELNS1_3gpuE3ELNS1_3repE0EEENS1_30default_config_static_selectorELNS0_4arch9wavefront6targetE1EEEvT1_.uses_vcc, 0
	.set _ZN7rocprim17ROCPRIM_400000_NS6detail17trampoline_kernelINS0_14default_configENS1_25partition_config_selectorILNS1_17partition_subalgoE9EllbEEZZNS1_14partition_implILS5_9ELb0ES3_jPlS8_PNS0_10empty_typeENS0_5tupleIJS8_S9_EEENSB_IJS8_SA_EEENS0_18inequality_wrapperIZN2at6native12_GLOBAL__N_124unique_dim_cuda_templateIhEESt5tupleIJNSF_6TensorESK_SK_EERKSK_lbbbEUlllE0_EEPmJS9_EEE10hipError_tPvRmT3_T4_T5_T6_T7_T9_mT8_P12ihipStream_tbDpT10_ENKUlT_T0_E_clISt17integral_constantIbLb1EES1A_EEDaS15_S16_EUlS15_E_NS1_11comp_targetILNS1_3genE9ELNS1_11target_archE1100ELNS1_3gpuE3ELNS1_3repE0EEENS1_30default_config_static_selectorELNS0_4arch9wavefront6targetE1EEEvT1_.uses_flat_scratch, 0
	.set _ZN7rocprim17ROCPRIM_400000_NS6detail17trampoline_kernelINS0_14default_configENS1_25partition_config_selectorILNS1_17partition_subalgoE9EllbEEZZNS1_14partition_implILS5_9ELb0ES3_jPlS8_PNS0_10empty_typeENS0_5tupleIJS8_S9_EEENSB_IJS8_SA_EEENS0_18inequality_wrapperIZN2at6native12_GLOBAL__N_124unique_dim_cuda_templateIhEESt5tupleIJNSF_6TensorESK_SK_EERKSK_lbbbEUlllE0_EEPmJS9_EEE10hipError_tPvRmT3_T4_T5_T6_T7_T9_mT8_P12ihipStream_tbDpT10_ENKUlT_T0_E_clISt17integral_constantIbLb1EES1A_EEDaS15_S16_EUlS15_E_NS1_11comp_targetILNS1_3genE9ELNS1_11target_archE1100ELNS1_3gpuE3ELNS1_3repE0EEENS1_30default_config_static_selectorELNS0_4arch9wavefront6targetE1EEEvT1_.has_dyn_sized_stack, 0
	.set _ZN7rocprim17ROCPRIM_400000_NS6detail17trampoline_kernelINS0_14default_configENS1_25partition_config_selectorILNS1_17partition_subalgoE9EllbEEZZNS1_14partition_implILS5_9ELb0ES3_jPlS8_PNS0_10empty_typeENS0_5tupleIJS8_S9_EEENSB_IJS8_SA_EEENS0_18inequality_wrapperIZN2at6native12_GLOBAL__N_124unique_dim_cuda_templateIhEESt5tupleIJNSF_6TensorESK_SK_EERKSK_lbbbEUlllE0_EEPmJS9_EEE10hipError_tPvRmT3_T4_T5_T6_T7_T9_mT8_P12ihipStream_tbDpT10_ENKUlT_T0_E_clISt17integral_constantIbLb1EES1A_EEDaS15_S16_EUlS15_E_NS1_11comp_targetILNS1_3genE9ELNS1_11target_archE1100ELNS1_3gpuE3ELNS1_3repE0EEENS1_30default_config_static_selectorELNS0_4arch9wavefront6targetE1EEEvT1_.has_recursion, 0
	.set _ZN7rocprim17ROCPRIM_400000_NS6detail17trampoline_kernelINS0_14default_configENS1_25partition_config_selectorILNS1_17partition_subalgoE9EllbEEZZNS1_14partition_implILS5_9ELb0ES3_jPlS8_PNS0_10empty_typeENS0_5tupleIJS8_S9_EEENSB_IJS8_SA_EEENS0_18inequality_wrapperIZN2at6native12_GLOBAL__N_124unique_dim_cuda_templateIhEESt5tupleIJNSF_6TensorESK_SK_EERKSK_lbbbEUlllE0_EEPmJS9_EEE10hipError_tPvRmT3_T4_T5_T6_T7_T9_mT8_P12ihipStream_tbDpT10_ENKUlT_T0_E_clISt17integral_constantIbLb1EES1A_EEDaS15_S16_EUlS15_E_NS1_11comp_targetILNS1_3genE9ELNS1_11target_archE1100ELNS1_3gpuE3ELNS1_3repE0EEENS1_30default_config_static_selectorELNS0_4arch9wavefront6targetE1EEEvT1_.has_indirect_call, 0
	.section	.AMDGPU.csdata,"",@progbits
; Kernel info:
; codeLenInByte = 0
; TotalNumSgprs: 6
; NumVgprs: 0
; NumAgprs: 0
; TotalNumVgprs: 0
; ScratchSize: 0
; MemoryBound: 0
; FloatMode: 240
; IeeeMode: 1
; LDSByteSize: 0 bytes/workgroup (compile time only)
; SGPRBlocks: 0
; VGPRBlocks: 0
; NumSGPRsForWavesPerEU: 6
; NumVGPRsForWavesPerEU: 1
; AccumOffset: 4
; Occupancy: 8
; WaveLimiterHint : 0
; COMPUTE_PGM_RSRC2:SCRATCH_EN: 0
; COMPUTE_PGM_RSRC2:USER_SGPR: 2
; COMPUTE_PGM_RSRC2:TRAP_HANDLER: 0
; COMPUTE_PGM_RSRC2:TGID_X_EN: 1
; COMPUTE_PGM_RSRC2:TGID_Y_EN: 0
; COMPUTE_PGM_RSRC2:TGID_Z_EN: 0
; COMPUTE_PGM_RSRC2:TIDIG_COMP_CNT: 0
; COMPUTE_PGM_RSRC3_GFX90A:ACCUM_OFFSET: 0
; COMPUTE_PGM_RSRC3_GFX90A:TG_SPLIT: 0
	.section	.text._ZN7rocprim17ROCPRIM_400000_NS6detail17trampoline_kernelINS0_14default_configENS1_25partition_config_selectorILNS1_17partition_subalgoE9EllbEEZZNS1_14partition_implILS5_9ELb0ES3_jPlS8_PNS0_10empty_typeENS0_5tupleIJS8_S9_EEENSB_IJS8_SA_EEENS0_18inequality_wrapperIZN2at6native12_GLOBAL__N_124unique_dim_cuda_templateIhEESt5tupleIJNSF_6TensorESK_SK_EERKSK_lbbbEUlllE0_EEPmJS9_EEE10hipError_tPvRmT3_T4_T5_T6_T7_T9_mT8_P12ihipStream_tbDpT10_ENKUlT_T0_E_clISt17integral_constantIbLb1EES1A_EEDaS15_S16_EUlS15_E_NS1_11comp_targetILNS1_3genE8ELNS1_11target_archE1030ELNS1_3gpuE2ELNS1_3repE0EEENS1_30default_config_static_selectorELNS0_4arch9wavefront6targetE1EEEvT1_,"axG",@progbits,_ZN7rocprim17ROCPRIM_400000_NS6detail17trampoline_kernelINS0_14default_configENS1_25partition_config_selectorILNS1_17partition_subalgoE9EllbEEZZNS1_14partition_implILS5_9ELb0ES3_jPlS8_PNS0_10empty_typeENS0_5tupleIJS8_S9_EEENSB_IJS8_SA_EEENS0_18inequality_wrapperIZN2at6native12_GLOBAL__N_124unique_dim_cuda_templateIhEESt5tupleIJNSF_6TensorESK_SK_EERKSK_lbbbEUlllE0_EEPmJS9_EEE10hipError_tPvRmT3_T4_T5_T6_T7_T9_mT8_P12ihipStream_tbDpT10_ENKUlT_T0_E_clISt17integral_constantIbLb1EES1A_EEDaS15_S16_EUlS15_E_NS1_11comp_targetILNS1_3genE8ELNS1_11target_archE1030ELNS1_3gpuE2ELNS1_3repE0EEENS1_30default_config_static_selectorELNS0_4arch9wavefront6targetE1EEEvT1_,comdat
	.globl	_ZN7rocprim17ROCPRIM_400000_NS6detail17trampoline_kernelINS0_14default_configENS1_25partition_config_selectorILNS1_17partition_subalgoE9EllbEEZZNS1_14partition_implILS5_9ELb0ES3_jPlS8_PNS0_10empty_typeENS0_5tupleIJS8_S9_EEENSB_IJS8_SA_EEENS0_18inequality_wrapperIZN2at6native12_GLOBAL__N_124unique_dim_cuda_templateIhEESt5tupleIJNSF_6TensorESK_SK_EERKSK_lbbbEUlllE0_EEPmJS9_EEE10hipError_tPvRmT3_T4_T5_T6_T7_T9_mT8_P12ihipStream_tbDpT10_ENKUlT_T0_E_clISt17integral_constantIbLb1EES1A_EEDaS15_S16_EUlS15_E_NS1_11comp_targetILNS1_3genE8ELNS1_11target_archE1030ELNS1_3gpuE2ELNS1_3repE0EEENS1_30default_config_static_selectorELNS0_4arch9wavefront6targetE1EEEvT1_ ; -- Begin function _ZN7rocprim17ROCPRIM_400000_NS6detail17trampoline_kernelINS0_14default_configENS1_25partition_config_selectorILNS1_17partition_subalgoE9EllbEEZZNS1_14partition_implILS5_9ELb0ES3_jPlS8_PNS0_10empty_typeENS0_5tupleIJS8_S9_EEENSB_IJS8_SA_EEENS0_18inequality_wrapperIZN2at6native12_GLOBAL__N_124unique_dim_cuda_templateIhEESt5tupleIJNSF_6TensorESK_SK_EERKSK_lbbbEUlllE0_EEPmJS9_EEE10hipError_tPvRmT3_T4_T5_T6_T7_T9_mT8_P12ihipStream_tbDpT10_ENKUlT_T0_E_clISt17integral_constantIbLb1EES1A_EEDaS15_S16_EUlS15_E_NS1_11comp_targetILNS1_3genE8ELNS1_11target_archE1030ELNS1_3gpuE2ELNS1_3repE0EEENS1_30default_config_static_selectorELNS0_4arch9wavefront6targetE1EEEvT1_
	.p2align	8
	.type	_ZN7rocprim17ROCPRIM_400000_NS6detail17trampoline_kernelINS0_14default_configENS1_25partition_config_selectorILNS1_17partition_subalgoE9EllbEEZZNS1_14partition_implILS5_9ELb0ES3_jPlS8_PNS0_10empty_typeENS0_5tupleIJS8_S9_EEENSB_IJS8_SA_EEENS0_18inequality_wrapperIZN2at6native12_GLOBAL__N_124unique_dim_cuda_templateIhEESt5tupleIJNSF_6TensorESK_SK_EERKSK_lbbbEUlllE0_EEPmJS9_EEE10hipError_tPvRmT3_T4_T5_T6_T7_T9_mT8_P12ihipStream_tbDpT10_ENKUlT_T0_E_clISt17integral_constantIbLb1EES1A_EEDaS15_S16_EUlS15_E_NS1_11comp_targetILNS1_3genE8ELNS1_11target_archE1030ELNS1_3gpuE2ELNS1_3repE0EEENS1_30default_config_static_selectorELNS0_4arch9wavefront6targetE1EEEvT1_,@function
_ZN7rocprim17ROCPRIM_400000_NS6detail17trampoline_kernelINS0_14default_configENS1_25partition_config_selectorILNS1_17partition_subalgoE9EllbEEZZNS1_14partition_implILS5_9ELb0ES3_jPlS8_PNS0_10empty_typeENS0_5tupleIJS8_S9_EEENSB_IJS8_SA_EEENS0_18inequality_wrapperIZN2at6native12_GLOBAL__N_124unique_dim_cuda_templateIhEESt5tupleIJNSF_6TensorESK_SK_EERKSK_lbbbEUlllE0_EEPmJS9_EEE10hipError_tPvRmT3_T4_T5_T6_T7_T9_mT8_P12ihipStream_tbDpT10_ENKUlT_T0_E_clISt17integral_constantIbLb1EES1A_EEDaS15_S16_EUlS15_E_NS1_11comp_targetILNS1_3genE8ELNS1_11target_archE1030ELNS1_3gpuE2ELNS1_3repE0EEENS1_30default_config_static_selectorELNS0_4arch9wavefront6targetE1EEEvT1_: ; @_ZN7rocprim17ROCPRIM_400000_NS6detail17trampoline_kernelINS0_14default_configENS1_25partition_config_selectorILNS1_17partition_subalgoE9EllbEEZZNS1_14partition_implILS5_9ELb0ES3_jPlS8_PNS0_10empty_typeENS0_5tupleIJS8_S9_EEENSB_IJS8_SA_EEENS0_18inequality_wrapperIZN2at6native12_GLOBAL__N_124unique_dim_cuda_templateIhEESt5tupleIJNSF_6TensorESK_SK_EERKSK_lbbbEUlllE0_EEPmJS9_EEE10hipError_tPvRmT3_T4_T5_T6_T7_T9_mT8_P12ihipStream_tbDpT10_ENKUlT_T0_E_clISt17integral_constantIbLb1EES1A_EEDaS15_S16_EUlS15_E_NS1_11comp_targetILNS1_3genE8ELNS1_11target_archE1030ELNS1_3gpuE2ELNS1_3repE0EEENS1_30default_config_static_selectorELNS0_4arch9wavefront6targetE1EEEvT1_
; %bb.0:
	.section	.rodata,"a",@progbits
	.p2align	6, 0x0
	.amdhsa_kernel _ZN7rocprim17ROCPRIM_400000_NS6detail17trampoline_kernelINS0_14default_configENS1_25partition_config_selectorILNS1_17partition_subalgoE9EllbEEZZNS1_14partition_implILS5_9ELb0ES3_jPlS8_PNS0_10empty_typeENS0_5tupleIJS8_S9_EEENSB_IJS8_SA_EEENS0_18inequality_wrapperIZN2at6native12_GLOBAL__N_124unique_dim_cuda_templateIhEESt5tupleIJNSF_6TensorESK_SK_EERKSK_lbbbEUlllE0_EEPmJS9_EEE10hipError_tPvRmT3_T4_T5_T6_T7_T9_mT8_P12ihipStream_tbDpT10_ENKUlT_T0_E_clISt17integral_constantIbLb1EES1A_EEDaS15_S16_EUlS15_E_NS1_11comp_targetILNS1_3genE8ELNS1_11target_archE1030ELNS1_3gpuE2ELNS1_3repE0EEENS1_30default_config_static_selectorELNS0_4arch9wavefront6targetE1EEEvT1_
		.amdhsa_group_segment_fixed_size 0
		.amdhsa_private_segment_fixed_size 0
		.amdhsa_kernarg_size 136
		.amdhsa_user_sgpr_count 2
		.amdhsa_user_sgpr_dispatch_ptr 0
		.amdhsa_user_sgpr_queue_ptr 0
		.amdhsa_user_sgpr_kernarg_segment_ptr 1
		.amdhsa_user_sgpr_dispatch_id 0
		.amdhsa_user_sgpr_kernarg_preload_length 0
		.amdhsa_user_sgpr_kernarg_preload_offset 0
		.amdhsa_user_sgpr_private_segment_size 0
		.amdhsa_uses_dynamic_stack 0
		.amdhsa_enable_private_segment 0
		.amdhsa_system_sgpr_workgroup_id_x 1
		.amdhsa_system_sgpr_workgroup_id_y 0
		.amdhsa_system_sgpr_workgroup_id_z 0
		.amdhsa_system_sgpr_workgroup_info 0
		.amdhsa_system_vgpr_workitem_id 0
		.amdhsa_next_free_vgpr 1
		.amdhsa_next_free_sgpr 0
		.amdhsa_accum_offset 4
		.amdhsa_reserve_vcc 0
		.amdhsa_float_round_mode_32 0
		.amdhsa_float_round_mode_16_64 0
		.amdhsa_float_denorm_mode_32 3
		.amdhsa_float_denorm_mode_16_64 3
		.amdhsa_dx10_clamp 1
		.amdhsa_ieee_mode 1
		.amdhsa_fp16_overflow 0
		.amdhsa_tg_split 0
		.amdhsa_exception_fp_ieee_invalid_op 0
		.amdhsa_exception_fp_denorm_src 0
		.amdhsa_exception_fp_ieee_div_zero 0
		.amdhsa_exception_fp_ieee_overflow 0
		.amdhsa_exception_fp_ieee_underflow 0
		.amdhsa_exception_fp_ieee_inexact 0
		.amdhsa_exception_int_div_zero 0
	.end_amdhsa_kernel
	.section	.text._ZN7rocprim17ROCPRIM_400000_NS6detail17trampoline_kernelINS0_14default_configENS1_25partition_config_selectorILNS1_17partition_subalgoE9EllbEEZZNS1_14partition_implILS5_9ELb0ES3_jPlS8_PNS0_10empty_typeENS0_5tupleIJS8_S9_EEENSB_IJS8_SA_EEENS0_18inequality_wrapperIZN2at6native12_GLOBAL__N_124unique_dim_cuda_templateIhEESt5tupleIJNSF_6TensorESK_SK_EERKSK_lbbbEUlllE0_EEPmJS9_EEE10hipError_tPvRmT3_T4_T5_T6_T7_T9_mT8_P12ihipStream_tbDpT10_ENKUlT_T0_E_clISt17integral_constantIbLb1EES1A_EEDaS15_S16_EUlS15_E_NS1_11comp_targetILNS1_3genE8ELNS1_11target_archE1030ELNS1_3gpuE2ELNS1_3repE0EEENS1_30default_config_static_selectorELNS0_4arch9wavefront6targetE1EEEvT1_,"axG",@progbits,_ZN7rocprim17ROCPRIM_400000_NS6detail17trampoline_kernelINS0_14default_configENS1_25partition_config_selectorILNS1_17partition_subalgoE9EllbEEZZNS1_14partition_implILS5_9ELb0ES3_jPlS8_PNS0_10empty_typeENS0_5tupleIJS8_S9_EEENSB_IJS8_SA_EEENS0_18inequality_wrapperIZN2at6native12_GLOBAL__N_124unique_dim_cuda_templateIhEESt5tupleIJNSF_6TensorESK_SK_EERKSK_lbbbEUlllE0_EEPmJS9_EEE10hipError_tPvRmT3_T4_T5_T6_T7_T9_mT8_P12ihipStream_tbDpT10_ENKUlT_T0_E_clISt17integral_constantIbLb1EES1A_EEDaS15_S16_EUlS15_E_NS1_11comp_targetILNS1_3genE8ELNS1_11target_archE1030ELNS1_3gpuE2ELNS1_3repE0EEENS1_30default_config_static_selectorELNS0_4arch9wavefront6targetE1EEEvT1_,comdat
.Lfunc_end219:
	.size	_ZN7rocprim17ROCPRIM_400000_NS6detail17trampoline_kernelINS0_14default_configENS1_25partition_config_selectorILNS1_17partition_subalgoE9EllbEEZZNS1_14partition_implILS5_9ELb0ES3_jPlS8_PNS0_10empty_typeENS0_5tupleIJS8_S9_EEENSB_IJS8_SA_EEENS0_18inequality_wrapperIZN2at6native12_GLOBAL__N_124unique_dim_cuda_templateIhEESt5tupleIJNSF_6TensorESK_SK_EERKSK_lbbbEUlllE0_EEPmJS9_EEE10hipError_tPvRmT3_T4_T5_T6_T7_T9_mT8_P12ihipStream_tbDpT10_ENKUlT_T0_E_clISt17integral_constantIbLb1EES1A_EEDaS15_S16_EUlS15_E_NS1_11comp_targetILNS1_3genE8ELNS1_11target_archE1030ELNS1_3gpuE2ELNS1_3repE0EEENS1_30default_config_static_selectorELNS0_4arch9wavefront6targetE1EEEvT1_, .Lfunc_end219-_ZN7rocprim17ROCPRIM_400000_NS6detail17trampoline_kernelINS0_14default_configENS1_25partition_config_selectorILNS1_17partition_subalgoE9EllbEEZZNS1_14partition_implILS5_9ELb0ES3_jPlS8_PNS0_10empty_typeENS0_5tupleIJS8_S9_EEENSB_IJS8_SA_EEENS0_18inequality_wrapperIZN2at6native12_GLOBAL__N_124unique_dim_cuda_templateIhEESt5tupleIJNSF_6TensorESK_SK_EERKSK_lbbbEUlllE0_EEPmJS9_EEE10hipError_tPvRmT3_T4_T5_T6_T7_T9_mT8_P12ihipStream_tbDpT10_ENKUlT_T0_E_clISt17integral_constantIbLb1EES1A_EEDaS15_S16_EUlS15_E_NS1_11comp_targetILNS1_3genE8ELNS1_11target_archE1030ELNS1_3gpuE2ELNS1_3repE0EEENS1_30default_config_static_selectorELNS0_4arch9wavefront6targetE1EEEvT1_
                                        ; -- End function
	.set _ZN7rocprim17ROCPRIM_400000_NS6detail17trampoline_kernelINS0_14default_configENS1_25partition_config_selectorILNS1_17partition_subalgoE9EllbEEZZNS1_14partition_implILS5_9ELb0ES3_jPlS8_PNS0_10empty_typeENS0_5tupleIJS8_S9_EEENSB_IJS8_SA_EEENS0_18inequality_wrapperIZN2at6native12_GLOBAL__N_124unique_dim_cuda_templateIhEESt5tupleIJNSF_6TensorESK_SK_EERKSK_lbbbEUlllE0_EEPmJS9_EEE10hipError_tPvRmT3_T4_T5_T6_T7_T9_mT8_P12ihipStream_tbDpT10_ENKUlT_T0_E_clISt17integral_constantIbLb1EES1A_EEDaS15_S16_EUlS15_E_NS1_11comp_targetILNS1_3genE8ELNS1_11target_archE1030ELNS1_3gpuE2ELNS1_3repE0EEENS1_30default_config_static_selectorELNS0_4arch9wavefront6targetE1EEEvT1_.num_vgpr, 0
	.set _ZN7rocprim17ROCPRIM_400000_NS6detail17trampoline_kernelINS0_14default_configENS1_25partition_config_selectorILNS1_17partition_subalgoE9EllbEEZZNS1_14partition_implILS5_9ELb0ES3_jPlS8_PNS0_10empty_typeENS0_5tupleIJS8_S9_EEENSB_IJS8_SA_EEENS0_18inequality_wrapperIZN2at6native12_GLOBAL__N_124unique_dim_cuda_templateIhEESt5tupleIJNSF_6TensorESK_SK_EERKSK_lbbbEUlllE0_EEPmJS9_EEE10hipError_tPvRmT3_T4_T5_T6_T7_T9_mT8_P12ihipStream_tbDpT10_ENKUlT_T0_E_clISt17integral_constantIbLb1EES1A_EEDaS15_S16_EUlS15_E_NS1_11comp_targetILNS1_3genE8ELNS1_11target_archE1030ELNS1_3gpuE2ELNS1_3repE0EEENS1_30default_config_static_selectorELNS0_4arch9wavefront6targetE1EEEvT1_.num_agpr, 0
	.set _ZN7rocprim17ROCPRIM_400000_NS6detail17trampoline_kernelINS0_14default_configENS1_25partition_config_selectorILNS1_17partition_subalgoE9EllbEEZZNS1_14partition_implILS5_9ELb0ES3_jPlS8_PNS0_10empty_typeENS0_5tupleIJS8_S9_EEENSB_IJS8_SA_EEENS0_18inequality_wrapperIZN2at6native12_GLOBAL__N_124unique_dim_cuda_templateIhEESt5tupleIJNSF_6TensorESK_SK_EERKSK_lbbbEUlllE0_EEPmJS9_EEE10hipError_tPvRmT3_T4_T5_T6_T7_T9_mT8_P12ihipStream_tbDpT10_ENKUlT_T0_E_clISt17integral_constantIbLb1EES1A_EEDaS15_S16_EUlS15_E_NS1_11comp_targetILNS1_3genE8ELNS1_11target_archE1030ELNS1_3gpuE2ELNS1_3repE0EEENS1_30default_config_static_selectorELNS0_4arch9wavefront6targetE1EEEvT1_.numbered_sgpr, 0
	.set _ZN7rocprim17ROCPRIM_400000_NS6detail17trampoline_kernelINS0_14default_configENS1_25partition_config_selectorILNS1_17partition_subalgoE9EllbEEZZNS1_14partition_implILS5_9ELb0ES3_jPlS8_PNS0_10empty_typeENS0_5tupleIJS8_S9_EEENSB_IJS8_SA_EEENS0_18inequality_wrapperIZN2at6native12_GLOBAL__N_124unique_dim_cuda_templateIhEESt5tupleIJNSF_6TensorESK_SK_EERKSK_lbbbEUlllE0_EEPmJS9_EEE10hipError_tPvRmT3_T4_T5_T6_T7_T9_mT8_P12ihipStream_tbDpT10_ENKUlT_T0_E_clISt17integral_constantIbLb1EES1A_EEDaS15_S16_EUlS15_E_NS1_11comp_targetILNS1_3genE8ELNS1_11target_archE1030ELNS1_3gpuE2ELNS1_3repE0EEENS1_30default_config_static_selectorELNS0_4arch9wavefront6targetE1EEEvT1_.num_named_barrier, 0
	.set _ZN7rocprim17ROCPRIM_400000_NS6detail17trampoline_kernelINS0_14default_configENS1_25partition_config_selectorILNS1_17partition_subalgoE9EllbEEZZNS1_14partition_implILS5_9ELb0ES3_jPlS8_PNS0_10empty_typeENS0_5tupleIJS8_S9_EEENSB_IJS8_SA_EEENS0_18inequality_wrapperIZN2at6native12_GLOBAL__N_124unique_dim_cuda_templateIhEESt5tupleIJNSF_6TensorESK_SK_EERKSK_lbbbEUlllE0_EEPmJS9_EEE10hipError_tPvRmT3_T4_T5_T6_T7_T9_mT8_P12ihipStream_tbDpT10_ENKUlT_T0_E_clISt17integral_constantIbLb1EES1A_EEDaS15_S16_EUlS15_E_NS1_11comp_targetILNS1_3genE8ELNS1_11target_archE1030ELNS1_3gpuE2ELNS1_3repE0EEENS1_30default_config_static_selectorELNS0_4arch9wavefront6targetE1EEEvT1_.private_seg_size, 0
	.set _ZN7rocprim17ROCPRIM_400000_NS6detail17trampoline_kernelINS0_14default_configENS1_25partition_config_selectorILNS1_17partition_subalgoE9EllbEEZZNS1_14partition_implILS5_9ELb0ES3_jPlS8_PNS0_10empty_typeENS0_5tupleIJS8_S9_EEENSB_IJS8_SA_EEENS0_18inequality_wrapperIZN2at6native12_GLOBAL__N_124unique_dim_cuda_templateIhEESt5tupleIJNSF_6TensorESK_SK_EERKSK_lbbbEUlllE0_EEPmJS9_EEE10hipError_tPvRmT3_T4_T5_T6_T7_T9_mT8_P12ihipStream_tbDpT10_ENKUlT_T0_E_clISt17integral_constantIbLb1EES1A_EEDaS15_S16_EUlS15_E_NS1_11comp_targetILNS1_3genE8ELNS1_11target_archE1030ELNS1_3gpuE2ELNS1_3repE0EEENS1_30default_config_static_selectorELNS0_4arch9wavefront6targetE1EEEvT1_.uses_vcc, 0
	.set _ZN7rocprim17ROCPRIM_400000_NS6detail17trampoline_kernelINS0_14default_configENS1_25partition_config_selectorILNS1_17partition_subalgoE9EllbEEZZNS1_14partition_implILS5_9ELb0ES3_jPlS8_PNS0_10empty_typeENS0_5tupleIJS8_S9_EEENSB_IJS8_SA_EEENS0_18inequality_wrapperIZN2at6native12_GLOBAL__N_124unique_dim_cuda_templateIhEESt5tupleIJNSF_6TensorESK_SK_EERKSK_lbbbEUlllE0_EEPmJS9_EEE10hipError_tPvRmT3_T4_T5_T6_T7_T9_mT8_P12ihipStream_tbDpT10_ENKUlT_T0_E_clISt17integral_constantIbLb1EES1A_EEDaS15_S16_EUlS15_E_NS1_11comp_targetILNS1_3genE8ELNS1_11target_archE1030ELNS1_3gpuE2ELNS1_3repE0EEENS1_30default_config_static_selectorELNS0_4arch9wavefront6targetE1EEEvT1_.uses_flat_scratch, 0
	.set _ZN7rocprim17ROCPRIM_400000_NS6detail17trampoline_kernelINS0_14default_configENS1_25partition_config_selectorILNS1_17partition_subalgoE9EllbEEZZNS1_14partition_implILS5_9ELb0ES3_jPlS8_PNS0_10empty_typeENS0_5tupleIJS8_S9_EEENSB_IJS8_SA_EEENS0_18inequality_wrapperIZN2at6native12_GLOBAL__N_124unique_dim_cuda_templateIhEESt5tupleIJNSF_6TensorESK_SK_EERKSK_lbbbEUlllE0_EEPmJS9_EEE10hipError_tPvRmT3_T4_T5_T6_T7_T9_mT8_P12ihipStream_tbDpT10_ENKUlT_T0_E_clISt17integral_constantIbLb1EES1A_EEDaS15_S16_EUlS15_E_NS1_11comp_targetILNS1_3genE8ELNS1_11target_archE1030ELNS1_3gpuE2ELNS1_3repE0EEENS1_30default_config_static_selectorELNS0_4arch9wavefront6targetE1EEEvT1_.has_dyn_sized_stack, 0
	.set _ZN7rocprim17ROCPRIM_400000_NS6detail17trampoline_kernelINS0_14default_configENS1_25partition_config_selectorILNS1_17partition_subalgoE9EllbEEZZNS1_14partition_implILS5_9ELb0ES3_jPlS8_PNS0_10empty_typeENS0_5tupleIJS8_S9_EEENSB_IJS8_SA_EEENS0_18inequality_wrapperIZN2at6native12_GLOBAL__N_124unique_dim_cuda_templateIhEESt5tupleIJNSF_6TensorESK_SK_EERKSK_lbbbEUlllE0_EEPmJS9_EEE10hipError_tPvRmT3_T4_T5_T6_T7_T9_mT8_P12ihipStream_tbDpT10_ENKUlT_T0_E_clISt17integral_constantIbLb1EES1A_EEDaS15_S16_EUlS15_E_NS1_11comp_targetILNS1_3genE8ELNS1_11target_archE1030ELNS1_3gpuE2ELNS1_3repE0EEENS1_30default_config_static_selectorELNS0_4arch9wavefront6targetE1EEEvT1_.has_recursion, 0
	.set _ZN7rocprim17ROCPRIM_400000_NS6detail17trampoline_kernelINS0_14default_configENS1_25partition_config_selectorILNS1_17partition_subalgoE9EllbEEZZNS1_14partition_implILS5_9ELb0ES3_jPlS8_PNS0_10empty_typeENS0_5tupleIJS8_S9_EEENSB_IJS8_SA_EEENS0_18inequality_wrapperIZN2at6native12_GLOBAL__N_124unique_dim_cuda_templateIhEESt5tupleIJNSF_6TensorESK_SK_EERKSK_lbbbEUlllE0_EEPmJS9_EEE10hipError_tPvRmT3_T4_T5_T6_T7_T9_mT8_P12ihipStream_tbDpT10_ENKUlT_T0_E_clISt17integral_constantIbLb1EES1A_EEDaS15_S16_EUlS15_E_NS1_11comp_targetILNS1_3genE8ELNS1_11target_archE1030ELNS1_3gpuE2ELNS1_3repE0EEENS1_30default_config_static_selectorELNS0_4arch9wavefront6targetE1EEEvT1_.has_indirect_call, 0
	.section	.AMDGPU.csdata,"",@progbits
; Kernel info:
; codeLenInByte = 0
; TotalNumSgprs: 6
; NumVgprs: 0
; NumAgprs: 0
; TotalNumVgprs: 0
; ScratchSize: 0
; MemoryBound: 0
; FloatMode: 240
; IeeeMode: 1
; LDSByteSize: 0 bytes/workgroup (compile time only)
; SGPRBlocks: 0
; VGPRBlocks: 0
; NumSGPRsForWavesPerEU: 6
; NumVGPRsForWavesPerEU: 1
; AccumOffset: 4
; Occupancy: 8
; WaveLimiterHint : 0
; COMPUTE_PGM_RSRC2:SCRATCH_EN: 0
; COMPUTE_PGM_RSRC2:USER_SGPR: 2
; COMPUTE_PGM_RSRC2:TRAP_HANDLER: 0
; COMPUTE_PGM_RSRC2:TGID_X_EN: 1
; COMPUTE_PGM_RSRC2:TGID_Y_EN: 0
; COMPUTE_PGM_RSRC2:TGID_Z_EN: 0
; COMPUTE_PGM_RSRC2:TIDIG_COMP_CNT: 0
; COMPUTE_PGM_RSRC3_GFX90A:ACCUM_OFFSET: 0
; COMPUTE_PGM_RSRC3_GFX90A:TG_SPLIT: 0
	.section	.text._ZN7rocprim17ROCPRIM_400000_NS6detail17trampoline_kernelINS0_14default_configENS1_25partition_config_selectorILNS1_17partition_subalgoE9EllbEEZZNS1_14partition_implILS5_9ELb0ES3_jPlS8_PNS0_10empty_typeENS0_5tupleIJS8_S9_EEENSB_IJS8_SA_EEENS0_18inequality_wrapperIZN2at6native12_GLOBAL__N_124unique_dim_cuda_templateIhEESt5tupleIJNSF_6TensorESK_SK_EERKSK_lbbbEUlllE0_EEPmJS9_EEE10hipError_tPvRmT3_T4_T5_T6_T7_T9_mT8_P12ihipStream_tbDpT10_ENKUlT_T0_E_clISt17integral_constantIbLb1EES19_IbLb0EEEEDaS15_S16_EUlS15_E_NS1_11comp_targetILNS1_3genE0ELNS1_11target_archE4294967295ELNS1_3gpuE0ELNS1_3repE0EEENS1_30default_config_static_selectorELNS0_4arch9wavefront6targetE1EEEvT1_,"axG",@progbits,_ZN7rocprim17ROCPRIM_400000_NS6detail17trampoline_kernelINS0_14default_configENS1_25partition_config_selectorILNS1_17partition_subalgoE9EllbEEZZNS1_14partition_implILS5_9ELb0ES3_jPlS8_PNS0_10empty_typeENS0_5tupleIJS8_S9_EEENSB_IJS8_SA_EEENS0_18inequality_wrapperIZN2at6native12_GLOBAL__N_124unique_dim_cuda_templateIhEESt5tupleIJNSF_6TensorESK_SK_EERKSK_lbbbEUlllE0_EEPmJS9_EEE10hipError_tPvRmT3_T4_T5_T6_T7_T9_mT8_P12ihipStream_tbDpT10_ENKUlT_T0_E_clISt17integral_constantIbLb1EES19_IbLb0EEEEDaS15_S16_EUlS15_E_NS1_11comp_targetILNS1_3genE0ELNS1_11target_archE4294967295ELNS1_3gpuE0ELNS1_3repE0EEENS1_30default_config_static_selectorELNS0_4arch9wavefront6targetE1EEEvT1_,comdat
	.globl	_ZN7rocprim17ROCPRIM_400000_NS6detail17trampoline_kernelINS0_14default_configENS1_25partition_config_selectorILNS1_17partition_subalgoE9EllbEEZZNS1_14partition_implILS5_9ELb0ES3_jPlS8_PNS0_10empty_typeENS0_5tupleIJS8_S9_EEENSB_IJS8_SA_EEENS0_18inequality_wrapperIZN2at6native12_GLOBAL__N_124unique_dim_cuda_templateIhEESt5tupleIJNSF_6TensorESK_SK_EERKSK_lbbbEUlllE0_EEPmJS9_EEE10hipError_tPvRmT3_T4_T5_T6_T7_T9_mT8_P12ihipStream_tbDpT10_ENKUlT_T0_E_clISt17integral_constantIbLb1EES19_IbLb0EEEEDaS15_S16_EUlS15_E_NS1_11comp_targetILNS1_3genE0ELNS1_11target_archE4294967295ELNS1_3gpuE0ELNS1_3repE0EEENS1_30default_config_static_selectorELNS0_4arch9wavefront6targetE1EEEvT1_ ; -- Begin function _ZN7rocprim17ROCPRIM_400000_NS6detail17trampoline_kernelINS0_14default_configENS1_25partition_config_selectorILNS1_17partition_subalgoE9EllbEEZZNS1_14partition_implILS5_9ELb0ES3_jPlS8_PNS0_10empty_typeENS0_5tupleIJS8_S9_EEENSB_IJS8_SA_EEENS0_18inequality_wrapperIZN2at6native12_GLOBAL__N_124unique_dim_cuda_templateIhEESt5tupleIJNSF_6TensorESK_SK_EERKSK_lbbbEUlllE0_EEPmJS9_EEE10hipError_tPvRmT3_T4_T5_T6_T7_T9_mT8_P12ihipStream_tbDpT10_ENKUlT_T0_E_clISt17integral_constantIbLb1EES19_IbLb0EEEEDaS15_S16_EUlS15_E_NS1_11comp_targetILNS1_3genE0ELNS1_11target_archE4294967295ELNS1_3gpuE0ELNS1_3repE0EEENS1_30default_config_static_selectorELNS0_4arch9wavefront6targetE1EEEvT1_
	.p2align	8
	.type	_ZN7rocprim17ROCPRIM_400000_NS6detail17trampoline_kernelINS0_14default_configENS1_25partition_config_selectorILNS1_17partition_subalgoE9EllbEEZZNS1_14partition_implILS5_9ELb0ES3_jPlS8_PNS0_10empty_typeENS0_5tupleIJS8_S9_EEENSB_IJS8_SA_EEENS0_18inequality_wrapperIZN2at6native12_GLOBAL__N_124unique_dim_cuda_templateIhEESt5tupleIJNSF_6TensorESK_SK_EERKSK_lbbbEUlllE0_EEPmJS9_EEE10hipError_tPvRmT3_T4_T5_T6_T7_T9_mT8_P12ihipStream_tbDpT10_ENKUlT_T0_E_clISt17integral_constantIbLb1EES19_IbLb0EEEEDaS15_S16_EUlS15_E_NS1_11comp_targetILNS1_3genE0ELNS1_11target_archE4294967295ELNS1_3gpuE0ELNS1_3repE0EEENS1_30default_config_static_selectorELNS0_4arch9wavefront6targetE1EEEvT1_,@function
_ZN7rocprim17ROCPRIM_400000_NS6detail17trampoline_kernelINS0_14default_configENS1_25partition_config_selectorILNS1_17partition_subalgoE9EllbEEZZNS1_14partition_implILS5_9ELb0ES3_jPlS8_PNS0_10empty_typeENS0_5tupleIJS8_S9_EEENSB_IJS8_SA_EEENS0_18inequality_wrapperIZN2at6native12_GLOBAL__N_124unique_dim_cuda_templateIhEESt5tupleIJNSF_6TensorESK_SK_EERKSK_lbbbEUlllE0_EEPmJS9_EEE10hipError_tPvRmT3_T4_T5_T6_T7_T9_mT8_P12ihipStream_tbDpT10_ENKUlT_T0_E_clISt17integral_constantIbLb1EES19_IbLb0EEEEDaS15_S16_EUlS15_E_NS1_11comp_targetILNS1_3genE0ELNS1_11target_archE4294967295ELNS1_3gpuE0ELNS1_3repE0EEENS1_30default_config_static_selectorELNS0_4arch9wavefront6targetE1EEEvT1_: ; @_ZN7rocprim17ROCPRIM_400000_NS6detail17trampoline_kernelINS0_14default_configENS1_25partition_config_selectorILNS1_17partition_subalgoE9EllbEEZZNS1_14partition_implILS5_9ELb0ES3_jPlS8_PNS0_10empty_typeENS0_5tupleIJS8_S9_EEENSB_IJS8_SA_EEENS0_18inequality_wrapperIZN2at6native12_GLOBAL__N_124unique_dim_cuda_templateIhEESt5tupleIJNSF_6TensorESK_SK_EERKSK_lbbbEUlllE0_EEPmJS9_EEE10hipError_tPvRmT3_T4_T5_T6_T7_T9_mT8_P12ihipStream_tbDpT10_ENKUlT_T0_E_clISt17integral_constantIbLb1EES19_IbLb0EEEEDaS15_S16_EUlS15_E_NS1_11comp_targetILNS1_3genE0ELNS1_11target_archE4294967295ELNS1_3gpuE0ELNS1_3repE0EEENS1_30default_config_static_selectorELNS0_4arch9wavefront6targetE1EEEvT1_
; %bb.0:
	s_endpgm
	.section	.rodata,"a",@progbits
	.p2align	6, 0x0
	.amdhsa_kernel _ZN7rocprim17ROCPRIM_400000_NS6detail17trampoline_kernelINS0_14default_configENS1_25partition_config_selectorILNS1_17partition_subalgoE9EllbEEZZNS1_14partition_implILS5_9ELb0ES3_jPlS8_PNS0_10empty_typeENS0_5tupleIJS8_S9_EEENSB_IJS8_SA_EEENS0_18inequality_wrapperIZN2at6native12_GLOBAL__N_124unique_dim_cuda_templateIhEESt5tupleIJNSF_6TensorESK_SK_EERKSK_lbbbEUlllE0_EEPmJS9_EEE10hipError_tPvRmT3_T4_T5_T6_T7_T9_mT8_P12ihipStream_tbDpT10_ENKUlT_T0_E_clISt17integral_constantIbLb1EES19_IbLb0EEEEDaS15_S16_EUlS15_E_NS1_11comp_targetILNS1_3genE0ELNS1_11target_archE4294967295ELNS1_3gpuE0ELNS1_3repE0EEENS1_30default_config_static_selectorELNS0_4arch9wavefront6targetE1EEEvT1_
		.amdhsa_group_segment_fixed_size 0
		.amdhsa_private_segment_fixed_size 0
		.amdhsa_kernarg_size 120
		.amdhsa_user_sgpr_count 2
		.amdhsa_user_sgpr_dispatch_ptr 0
		.amdhsa_user_sgpr_queue_ptr 0
		.amdhsa_user_sgpr_kernarg_segment_ptr 1
		.amdhsa_user_sgpr_dispatch_id 0
		.amdhsa_user_sgpr_kernarg_preload_length 0
		.amdhsa_user_sgpr_kernarg_preload_offset 0
		.amdhsa_user_sgpr_private_segment_size 0
		.amdhsa_uses_dynamic_stack 0
		.amdhsa_enable_private_segment 0
		.amdhsa_system_sgpr_workgroup_id_x 1
		.amdhsa_system_sgpr_workgroup_id_y 0
		.amdhsa_system_sgpr_workgroup_id_z 0
		.amdhsa_system_sgpr_workgroup_info 0
		.amdhsa_system_vgpr_workitem_id 0
		.amdhsa_next_free_vgpr 1
		.amdhsa_next_free_sgpr 0
		.amdhsa_accum_offset 4
		.amdhsa_reserve_vcc 0
		.amdhsa_float_round_mode_32 0
		.amdhsa_float_round_mode_16_64 0
		.amdhsa_float_denorm_mode_32 3
		.amdhsa_float_denorm_mode_16_64 3
		.amdhsa_dx10_clamp 1
		.amdhsa_ieee_mode 1
		.amdhsa_fp16_overflow 0
		.amdhsa_tg_split 0
		.amdhsa_exception_fp_ieee_invalid_op 0
		.amdhsa_exception_fp_denorm_src 0
		.amdhsa_exception_fp_ieee_div_zero 0
		.amdhsa_exception_fp_ieee_overflow 0
		.amdhsa_exception_fp_ieee_underflow 0
		.amdhsa_exception_fp_ieee_inexact 0
		.amdhsa_exception_int_div_zero 0
	.end_amdhsa_kernel
	.section	.text._ZN7rocprim17ROCPRIM_400000_NS6detail17trampoline_kernelINS0_14default_configENS1_25partition_config_selectorILNS1_17partition_subalgoE9EllbEEZZNS1_14partition_implILS5_9ELb0ES3_jPlS8_PNS0_10empty_typeENS0_5tupleIJS8_S9_EEENSB_IJS8_SA_EEENS0_18inequality_wrapperIZN2at6native12_GLOBAL__N_124unique_dim_cuda_templateIhEESt5tupleIJNSF_6TensorESK_SK_EERKSK_lbbbEUlllE0_EEPmJS9_EEE10hipError_tPvRmT3_T4_T5_T6_T7_T9_mT8_P12ihipStream_tbDpT10_ENKUlT_T0_E_clISt17integral_constantIbLb1EES19_IbLb0EEEEDaS15_S16_EUlS15_E_NS1_11comp_targetILNS1_3genE0ELNS1_11target_archE4294967295ELNS1_3gpuE0ELNS1_3repE0EEENS1_30default_config_static_selectorELNS0_4arch9wavefront6targetE1EEEvT1_,"axG",@progbits,_ZN7rocprim17ROCPRIM_400000_NS6detail17trampoline_kernelINS0_14default_configENS1_25partition_config_selectorILNS1_17partition_subalgoE9EllbEEZZNS1_14partition_implILS5_9ELb0ES3_jPlS8_PNS0_10empty_typeENS0_5tupleIJS8_S9_EEENSB_IJS8_SA_EEENS0_18inequality_wrapperIZN2at6native12_GLOBAL__N_124unique_dim_cuda_templateIhEESt5tupleIJNSF_6TensorESK_SK_EERKSK_lbbbEUlllE0_EEPmJS9_EEE10hipError_tPvRmT3_T4_T5_T6_T7_T9_mT8_P12ihipStream_tbDpT10_ENKUlT_T0_E_clISt17integral_constantIbLb1EES19_IbLb0EEEEDaS15_S16_EUlS15_E_NS1_11comp_targetILNS1_3genE0ELNS1_11target_archE4294967295ELNS1_3gpuE0ELNS1_3repE0EEENS1_30default_config_static_selectorELNS0_4arch9wavefront6targetE1EEEvT1_,comdat
.Lfunc_end220:
	.size	_ZN7rocprim17ROCPRIM_400000_NS6detail17trampoline_kernelINS0_14default_configENS1_25partition_config_selectorILNS1_17partition_subalgoE9EllbEEZZNS1_14partition_implILS5_9ELb0ES3_jPlS8_PNS0_10empty_typeENS0_5tupleIJS8_S9_EEENSB_IJS8_SA_EEENS0_18inequality_wrapperIZN2at6native12_GLOBAL__N_124unique_dim_cuda_templateIhEESt5tupleIJNSF_6TensorESK_SK_EERKSK_lbbbEUlllE0_EEPmJS9_EEE10hipError_tPvRmT3_T4_T5_T6_T7_T9_mT8_P12ihipStream_tbDpT10_ENKUlT_T0_E_clISt17integral_constantIbLb1EES19_IbLb0EEEEDaS15_S16_EUlS15_E_NS1_11comp_targetILNS1_3genE0ELNS1_11target_archE4294967295ELNS1_3gpuE0ELNS1_3repE0EEENS1_30default_config_static_selectorELNS0_4arch9wavefront6targetE1EEEvT1_, .Lfunc_end220-_ZN7rocprim17ROCPRIM_400000_NS6detail17trampoline_kernelINS0_14default_configENS1_25partition_config_selectorILNS1_17partition_subalgoE9EllbEEZZNS1_14partition_implILS5_9ELb0ES3_jPlS8_PNS0_10empty_typeENS0_5tupleIJS8_S9_EEENSB_IJS8_SA_EEENS0_18inequality_wrapperIZN2at6native12_GLOBAL__N_124unique_dim_cuda_templateIhEESt5tupleIJNSF_6TensorESK_SK_EERKSK_lbbbEUlllE0_EEPmJS9_EEE10hipError_tPvRmT3_T4_T5_T6_T7_T9_mT8_P12ihipStream_tbDpT10_ENKUlT_T0_E_clISt17integral_constantIbLb1EES19_IbLb0EEEEDaS15_S16_EUlS15_E_NS1_11comp_targetILNS1_3genE0ELNS1_11target_archE4294967295ELNS1_3gpuE0ELNS1_3repE0EEENS1_30default_config_static_selectorELNS0_4arch9wavefront6targetE1EEEvT1_
                                        ; -- End function
	.set _ZN7rocprim17ROCPRIM_400000_NS6detail17trampoline_kernelINS0_14default_configENS1_25partition_config_selectorILNS1_17partition_subalgoE9EllbEEZZNS1_14partition_implILS5_9ELb0ES3_jPlS8_PNS0_10empty_typeENS0_5tupleIJS8_S9_EEENSB_IJS8_SA_EEENS0_18inequality_wrapperIZN2at6native12_GLOBAL__N_124unique_dim_cuda_templateIhEESt5tupleIJNSF_6TensorESK_SK_EERKSK_lbbbEUlllE0_EEPmJS9_EEE10hipError_tPvRmT3_T4_T5_T6_T7_T9_mT8_P12ihipStream_tbDpT10_ENKUlT_T0_E_clISt17integral_constantIbLb1EES19_IbLb0EEEEDaS15_S16_EUlS15_E_NS1_11comp_targetILNS1_3genE0ELNS1_11target_archE4294967295ELNS1_3gpuE0ELNS1_3repE0EEENS1_30default_config_static_selectorELNS0_4arch9wavefront6targetE1EEEvT1_.num_vgpr, 0
	.set _ZN7rocprim17ROCPRIM_400000_NS6detail17trampoline_kernelINS0_14default_configENS1_25partition_config_selectorILNS1_17partition_subalgoE9EllbEEZZNS1_14partition_implILS5_9ELb0ES3_jPlS8_PNS0_10empty_typeENS0_5tupleIJS8_S9_EEENSB_IJS8_SA_EEENS0_18inequality_wrapperIZN2at6native12_GLOBAL__N_124unique_dim_cuda_templateIhEESt5tupleIJNSF_6TensorESK_SK_EERKSK_lbbbEUlllE0_EEPmJS9_EEE10hipError_tPvRmT3_T4_T5_T6_T7_T9_mT8_P12ihipStream_tbDpT10_ENKUlT_T0_E_clISt17integral_constantIbLb1EES19_IbLb0EEEEDaS15_S16_EUlS15_E_NS1_11comp_targetILNS1_3genE0ELNS1_11target_archE4294967295ELNS1_3gpuE0ELNS1_3repE0EEENS1_30default_config_static_selectorELNS0_4arch9wavefront6targetE1EEEvT1_.num_agpr, 0
	.set _ZN7rocprim17ROCPRIM_400000_NS6detail17trampoline_kernelINS0_14default_configENS1_25partition_config_selectorILNS1_17partition_subalgoE9EllbEEZZNS1_14partition_implILS5_9ELb0ES3_jPlS8_PNS0_10empty_typeENS0_5tupleIJS8_S9_EEENSB_IJS8_SA_EEENS0_18inequality_wrapperIZN2at6native12_GLOBAL__N_124unique_dim_cuda_templateIhEESt5tupleIJNSF_6TensorESK_SK_EERKSK_lbbbEUlllE0_EEPmJS9_EEE10hipError_tPvRmT3_T4_T5_T6_T7_T9_mT8_P12ihipStream_tbDpT10_ENKUlT_T0_E_clISt17integral_constantIbLb1EES19_IbLb0EEEEDaS15_S16_EUlS15_E_NS1_11comp_targetILNS1_3genE0ELNS1_11target_archE4294967295ELNS1_3gpuE0ELNS1_3repE0EEENS1_30default_config_static_selectorELNS0_4arch9wavefront6targetE1EEEvT1_.numbered_sgpr, 0
	.set _ZN7rocprim17ROCPRIM_400000_NS6detail17trampoline_kernelINS0_14default_configENS1_25partition_config_selectorILNS1_17partition_subalgoE9EllbEEZZNS1_14partition_implILS5_9ELb0ES3_jPlS8_PNS0_10empty_typeENS0_5tupleIJS8_S9_EEENSB_IJS8_SA_EEENS0_18inequality_wrapperIZN2at6native12_GLOBAL__N_124unique_dim_cuda_templateIhEESt5tupleIJNSF_6TensorESK_SK_EERKSK_lbbbEUlllE0_EEPmJS9_EEE10hipError_tPvRmT3_T4_T5_T6_T7_T9_mT8_P12ihipStream_tbDpT10_ENKUlT_T0_E_clISt17integral_constantIbLb1EES19_IbLb0EEEEDaS15_S16_EUlS15_E_NS1_11comp_targetILNS1_3genE0ELNS1_11target_archE4294967295ELNS1_3gpuE0ELNS1_3repE0EEENS1_30default_config_static_selectorELNS0_4arch9wavefront6targetE1EEEvT1_.num_named_barrier, 0
	.set _ZN7rocprim17ROCPRIM_400000_NS6detail17trampoline_kernelINS0_14default_configENS1_25partition_config_selectorILNS1_17partition_subalgoE9EllbEEZZNS1_14partition_implILS5_9ELb0ES3_jPlS8_PNS0_10empty_typeENS0_5tupleIJS8_S9_EEENSB_IJS8_SA_EEENS0_18inequality_wrapperIZN2at6native12_GLOBAL__N_124unique_dim_cuda_templateIhEESt5tupleIJNSF_6TensorESK_SK_EERKSK_lbbbEUlllE0_EEPmJS9_EEE10hipError_tPvRmT3_T4_T5_T6_T7_T9_mT8_P12ihipStream_tbDpT10_ENKUlT_T0_E_clISt17integral_constantIbLb1EES19_IbLb0EEEEDaS15_S16_EUlS15_E_NS1_11comp_targetILNS1_3genE0ELNS1_11target_archE4294967295ELNS1_3gpuE0ELNS1_3repE0EEENS1_30default_config_static_selectorELNS0_4arch9wavefront6targetE1EEEvT1_.private_seg_size, 0
	.set _ZN7rocprim17ROCPRIM_400000_NS6detail17trampoline_kernelINS0_14default_configENS1_25partition_config_selectorILNS1_17partition_subalgoE9EllbEEZZNS1_14partition_implILS5_9ELb0ES3_jPlS8_PNS0_10empty_typeENS0_5tupleIJS8_S9_EEENSB_IJS8_SA_EEENS0_18inequality_wrapperIZN2at6native12_GLOBAL__N_124unique_dim_cuda_templateIhEESt5tupleIJNSF_6TensorESK_SK_EERKSK_lbbbEUlllE0_EEPmJS9_EEE10hipError_tPvRmT3_T4_T5_T6_T7_T9_mT8_P12ihipStream_tbDpT10_ENKUlT_T0_E_clISt17integral_constantIbLb1EES19_IbLb0EEEEDaS15_S16_EUlS15_E_NS1_11comp_targetILNS1_3genE0ELNS1_11target_archE4294967295ELNS1_3gpuE0ELNS1_3repE0EEENS1_30default_config_static_selectorELNS0_4arch9wavefront6targetE1EEEvT1_.uses_vcc, 0
	.set _ZN7rocprim17ROCPRIM_400000_NS6detail17trampoline_kernelINS0_14default_configENS1_25partition_config_selectorILNS1_17partition_subalgoE9EllbEEZZNS1_14partition_implILS5_9ELb0ES3_jPlS8_PNS0_10empty_typeENS0_5tupleIJS8_S9_EEENSB_IJS8_SA_EEENS0_18inequality_wrapperIZN2at6native12_GLOBAL__N_124unique_dim_cuda_templateIhEESt5tupleIJNSF_6TensorESK_SK_EERKSK_lbbbEUlllE0_EEPmJS9_EEE10hipError_tPvRmT3_T4_T5_T6_T7_T9_mT8_P12ihipStream_tbDpT10_ENKUlT_T0_E_clISt17integral_constantIbLb1EES19_IbLb0EEEEDaS15_S16_EUlS15_E_NS1_11comp_targetILNS1_3genE0ELNS1_11target_archE4294967295ELNS1_3gpuE0ELNS1_3repE0EEENS1_30default_config_static_selectorELNS0_4arch9wavefront6targetE1EEEvT1_.uses_flat_scratch, 0
	.set _ZN7rocprim17ROCPRIM_400000_NS6detail17trampoline_kernelINS0_14default_configENS1_25partition_config_selectorILNS1_17partition_subalgoE9EllbEEZZNS1_14partition_implILS5_9ELb0ES3_jPlS8_PNS0_10empty_typeENS0_5tupleIJS8_S9_EEENSB_IJS8_SA_EEENS0_18inequality_wrapperIZN2at6native12_GLOBAL__N_124unique_dim_cuda_templateIhEESt5tupleIJNSF_6TensorESK_SK_EERKSK_lbbbEUlllE0_EEPmJS9_EEE10hipError_tPvRmT3_T4_T5_T6_T7_T9_mT8_P12ihipStream_tbDpT10_ENKUlT_T0_E_clISt17integral_constantIbLb1EES19_IbLb0EEEEDaS15_S16_EUlS15_E_NS1_11comp_targetILNS1_3genE0ELNS1_11target_archE4294967295ELNS1_3gpuE0ELNS1_3repE0EEENS1_30default_config_static_selectorELNS0_4arch9wavefront6targetE1EEEvT1_.has_dyn_sized_stack, 0
	.set _ZN7rocprim17ROCPRIM_400000_NS6detail17trampoline_kernelINS0_14default_configENS1_25partition_config_selectorILNS1_17partition_subalgoE9EllbEEZZNS1_14partition_implILS5_9ELb0ES3_jPlS8_PNS0_10empty_typeENS0_5tupleIJS8_S9_EEENSB_IJS8_SA_EEENS0_18inequality_wrapperIZN2at6native12_GLOBAL__N_124unique_dim_cuda_templateIhEESt5tupleIJNSF_6TensorESK_SK_EERKSK_lbbbEUlllE0_EEPmJS9_EEE10hipError_tPvRmT3_T4_T5_T6_T7_T9_mT8_P12ihipStream_tbDpT10_ENKUlT_T0_E_clISt17integral_constantIbLb1EES19_IbLb0EEEEDaS15_S16_EUlS15_E_NS1_11comp_targetILNS1_3genE0ELNS1_11target_archE4294967295ELNS1_3gpuE0ELNS1_3repE0EEENS1_30default_config_static_selectorELNS0_4arch9wavefront6targetE1EEEvT1_.has_recursion, 0
	.set _ZN7rocprim17ROCPRIM_400000_NS6detail17trampoline_kernelINS0_14default_configENS1_25partition_config_selectorILNS1_17partition_subalgoE9EllbEEZZNS1_14partition_implILS5_9ELb0ES3_jPlS8_PNS0_10empty_typeENS0_5tupleIJS8_S9_EEENSB_IJS8_SA_EEENS0_18inequality_wrapperIZN2at6native12_GLOBAL__N_124unique_dim_cuda_templateIhEESt5tupleIJNSF_6TensorESK_SK_EERKSK_lbbbEUlllE0_EEPmJS9_EEE10hipError_tPvRmT3_T4_T5_T6_T7_T9_mT8_P12ihipStream_tbDpT10_ENKUlT_T0_E_clISt17integral_constantIbLb1EES19_IbLb0EEEEDaS15_S16_EUlS15_E_NS1_11comp_targetILNS1_3genE0ELNS1_11target_archE4294967295ELNS1_3gpuE0ELNS1_3repE0EEENS1_30default_config_static_selectorELNS0_4arch9wavefront6targetE1EEEvT1_.has_indirect_call, 0
	.section	.AMDGPU.csdata,"",@progbits
; Kernel info:
; codeLenInByte = 4
; TotalNumSgprs: 6
; NumVgprs: 0
; NumAgprs: 0
; TotalNumVgprs: 0
; ScratchSize: 0
; MemoryBound: 0
; FloatMode: 240
; IeeeMode: 1
; LDSByteSize: 0 bytes/workgroup (compile time only)
; SGPRBlocks: 0
; VGPRBlocks: 0
; NumSGPRsForWavesPerEU: 6
; NumVGPRsForWavesPerEU: 1
; AccumOffset: 4
; Occupancy: 8
; WaveLimiterHint : 0
; COMPUTE_PGM_RSRC2:SCRATCH_EN: 0
; COMPUTE_PGM_RSRC2:USER_SGPR: 2
; COMPUTE_PGM_RSRC2:TRAP_HANDLER: 0
; COMPUTE_PGM_RSRC2:TGID_X_EN: 1
; COMPUTE_PGM_RSRC2:TGID_Y_EN: 0
; COMPUTE_PGM_RSRC2:TGID_Z_EN: 0
; COMPUTE_PGM_RSRC2:TIDIG_COMP_CNT: 0
; COMPUTE_PGM_RSRC3_GFX90A:ACCUM_OFFSET: 0
; COMPUTE_PGM_RSRC3_GFX90A:TG_SPLIT: 0
	.section	.text._ZN7rocprim17ROCPRIM_400000_NS6detail17trampoline_kernelINS0_14default_configENS1_25partition_config_selectorILNS1_17partition_subalgoE9EllbEEZZNS1_14partition_implILS5_9ELb0ES3_jPlS8_PNS0_10empty_typeENS0_5tupleIJS8_S9_EEENSB_IJS8_SA_EEENS0_18inequality_wrapperIZN2at6native12_GLOBAL__N_124unique_dim_cuda_templateIhEESt5tupleIJNSF_6TensorESK_SK_EERKSK_lbbbEUlllE0_EEPmJS9_EEE10hipError_tPvRmT3_T4_T5_T6_T7_T9_mT8_P12ihipStream_tbDpT10_ENKUlT_T0_E_clISt17integral_constantIbLb1EES19_IbLb0EEEEDaS15_S16_EUlS15_E_NS1_11comp_targetILNS1_3genE5ELNS1_11target_archE942ELNS1_3gpuE9ELNS1_3repE0EEENS1_30default_config_static_selectorELNS0_4arch9wavefront6targetE1EEEvT1_,"axG",@progbits,_ZN7rocprim17ROCPRIM_400000_NS6detail17trampoline_kernelINS0_14default_configENS1_25partition_config_selectorILNS1_17partition_subalgoE9EllbEEZZNS1_14partition_implILS5_9ELb0ES3_jPlS8_PNS0_10empty_typeENS0_5tupleIJS8_S9_EEENSB_IJS8_SA_EEENS0_18inequality_wrapperIZN2at6native12_GLOBAL__N_124unique_dim_cuda_templateIhEESt5tupleIJNSF_6TensorESK_SK_EERKSK_lbbbEUlllE0_EEPmJS9_EEE10hipError_tPvRmT3_T4_T5_T6_T7_T9_mT8_P12ihipStream_tbDpT10_ENKUlT_T0_E_clISt17integral_constantIbLb1EES19_IbLb0EEEEDaS15_S16_EUlS15_E_NS1_11comp_targetILNS1_3genE5ELNS1_11target_archE942ELNS1_3gpuE9ELNS1_3repE0EEENS1_30default_config_static_selectorELNS0_4arch9wavefront6targetE1EEEvT1_,comdat
	.globl	_ZN7rocprim17ROCPRIM_400000_NS6detail17trampoline_kernelINS0_14default_configENS1_25partition_config_selectorILNS1_17partition_subalgoE9EllbEEZZNS1_14partition_implILS5_9ELb0ES3_jPlS8_PNS0_10empty_typeENS0_5tupleIJS8_S9_EEENSB_IJS8_SA_EEENS0_18inequality_wrapperIZN2at6native12_GLOBAL__N_124unique_dim_cuda_templateIhEESt5tupleIJNSF_6TensorESK_SK_EERKSK_lbbbEUlllE0_EEPmJS9_EEE10hipError_tPvRmT3_T4_T5_T6_T7_T9_mT8_P12ihipStream_tbDpT10_ENKUlT_T0_E_clISt17integral_constantIbLb1EES19_IbLb0EEEEDaS15_S16_EUlS15_E_NS1_11comp_targetILNS1_3genE5ELNS1_11target_archE942ELNS1_3gpuE9ELNS1_3repE0EEENS1_30default_config_static_selectorELNS0_4arch9wavefront6targetE1EEEvT1_ ; -- Begin function _ZN7rocprim17ROCPRIM_400000_NS6detail17trampoline_kernelINS0_14default_configENS1_25partition_config_selectorILNS1_17partition_subalgoE9EllbEEZZNS1_14partition_implILS5_9ELb0ES3_jPlS8_PNS0_10empty_typeENS0_5tupleIJS8_S9_EEENSB_IJS8_SA_EEENS0_18inequality_wrapperIZN2at6native12_GLOBAL__N_124unique_dim_cuda_templateIhEESt5tupleIJNSF_6TensorESK_SK_EERKSK_lbbbEUlllE0_EEPmJS9_EEE10hipError_tPvRmT3_T4_T5_T6_T7_T9_mT8_P12ihipStream_tbDpT10_ENKUlT_T0_E_clISt17integral_constantIbLb1EES19_IbLb0EEEEDaS15_S16_EUlS15_E_NS1_11comp_targetILNS1_3genE5ELNS1_11target_archE942ELNS1_3gpuE9ELNS1_3repE0EEENS1_30default_config_static_selectorELNS0_4arch9wavefront6targetE1EEEvT1_
	.p2align	8
	.type	_ZN7rocprim17ROCPRIM_400000_NS6detail17trampoline_kernelINS0_14default_configENS1_25partition_config_selectorILNS1_17partition_subalgoE9EllbEEZZNS1_14partition_implILS5_9ELb0ES3_jPlS8_PNS0_10empty_typeENS0_5tupleIJS8_S9_EEENSB_IJS8_SA_EEENS0_18inequality_wrapperIZN2at6native12_GLOBAL__N_124unique_dim_cuda_templateIhEESt5tupleIJNSF_6TensorESK_SK_EERKSK_lbbbEUlllE0_EEPmJS9_EEE10hipError_tPvRmT3_T4_T5_T6_T7_T9_mT8_P12ihipStream_tbDpT10_ENKUlT_T0_E_clISt17integral_constantIbLb1EES19_IbLb0EEEEDaS15_S16_EUlS15_E_NS1_11comp_targetILNS1_3genE5ELNS1_11target_archE942ELNS1_3gpuE9ELNS1_3repE0EEENS1_30default_config_static_selectorELNS0_4arch9wavefront6targetE1EEEvT1_,@function
_ZN7rocprim17ROCPRIM_400000_NS6detail17trampoline_kernelINS0_14default_configENS1_25partition_config_selectorILNS1_17partition_subalgoE9EllbEEZZNS1_14partition_implILS5_9ELb0ES3_jPlS8_PNS0_10empty_typeENS0_5tupleIJS8_S9_EEENSB_IJS8_SA_EEENS0_18inequality_wrapperIZN2at6native12_GLOBAL__N_124unique_dim_cuda_templateIhEESt5tupleIJNSF_6TensorESK_SK_EERKSK_lbbbEUlllE0_EEPmJS9_EEE10hipError_tPvRmT3_T4_T5_T6_T7_T9_mT8_P12ihipStream_tbDpT10_ENKUlT_T0_E_clISt17integral_constantIbLb1EES19_IbLb0EEEEDaS15_S16_EUlS15_E_NS1_11comp_targetILNS1_3genE5ELNS1_11target_archE942ELNS1_3gpuE9ELNS1_3repE0EEENS1_30default_config_static_selectorELNS0_4arch9wavefront6targetE1EEEvT1_: ; @_ZN7rocprim17ROCPRIM_400000_NS6detail17trampoline_kernelINS0_14default_configENS1_25partition_config_selectorILNS1_17partition_subalgoE9EllbEEZZNS1_14partition_implILS5_9ELb0ES3_jPlS8_PNS0_10empty_typeENS0_5tupleIJS8_S9_EEENSB_IJS8_SA_EEENS0_18inequality_wrapperIZN2at6native12_GLOBAL__N_124unique_dim_cuda_templateIhEESt5tupleIJNSF_6TensorESK_SK_EERKSK_lbbbEUlllE0_EEPmJS9_EEE10hipError_tPvRmT3_T4_T5_T6_T7_T9_mT8_P12ihipStream_tbDpT10_ENKUlT_T0_E_clISt17integral_constantIbLb1EES19_IbLb0EEEEDaS15_S16_EUlS15_E_NS1_11comp_targetILNS1_3genE5ELNS1_11target_archE942ELNS1_3gpuE9ELNS1_3repE0EEENS1_30default_config_static_selectorELNS0_4arch9wavefront6targetE1EEEvT1_
; %bb.0:
	.section	.rodata,"a",@progbits
	.p2align	6, 0x0
	.amdhsa_kernel _ZN7rocprim17ROCPRIM_400000_NS6detail17trampoline_kernelINS0_14default_configENS1_25partition_config_selectorILNS1_17partition_subalgoE9EllbEEZZNS1_14partition_implILS5_9ELb0ES3_jPlS8_PNS0_10empty_typeENS0_5tupleIJS8_S9_EEENSB_IJS8_SA_EEENS0_18inequality_wrapperIZN2at6native12_GLOBAL__N_124unique_dim_cuda_templateIhEESt5tupleIJNSF_6TensorESK_SK_EERKSK_lbbbEUlllE0_EEPmJS9_EEE10hipError_tPvRmT3_T4_T5_T6_T7_T9_mT8_P12ihipStream_tbDpT10_ENKUlT_T0_E_clISt17integral_constantIbLb1EES19_IbLb0EEEEDaS15_S16_EUlS15_E_NS1_11comp_targetILNS1_3genE5ELNS1_11target_archE942ELNS1_3gpuE9ELNS1_3repE0EEENS1_30default_config_static_selectorELNS0_4arch9wavefront6targetE1EEEvT1_
		.amdhsa_group_segment_fixed_size 0
		.amdhsa_private_segment_fixed_size 0
		.amdhsa_kernarg_size 120
		.amdhsa_user_sgpr_count 2
		.amdhsa_user_sgpr_dispatch_ptr 0
		.amdhsa_user_sgpr_queue_ptr 0
		.amdhsa_user_sgpr_kernarg_segment_ptr 1
		.amdhsa_user_sgpr_dispatch_id 0
		.amdhsa_user_sgpr_kernarg_preload_length 0
		.amdhsa_user_sgpr_kernarg_preload_offset 0
		.amdhsa_user_sgpr_private_segment_size 0
		.amdhsa_uses_dynamic_stack 0
		.amdhsa_enable_private_segment 0
		.amdhsa_system_sgpr_workgroup_id_x 1
		.amdhsa_system_sgpr_workgroup_id_y 0
		.amdhsa_system_sgpr_workgroup_id_z 0
		.amdhsa_system_sgpr_workgroup_info 0
		.amdhsa_system_vgpr_workitem_id 0
		.amdhsa_next_free_vgpr 1
		.amdhsa_next_free_sgpr 0
		.amdhsa_accum_offset 4
		.amdhsa_reserve_vcc 0
		.amdhsa_float_round_mode_32 0
		.amdhsa_float_round_mode_16_64 0
		.amdhsa_float_denorm_mode_32 3
		.amdhsa_float_denorm_mode_16_64 3
		.amdhsa_dx10_clamp 1
		.amdhsa_ieee_mode 1
		.amdhsa_fp16_overflow 0
		.amdhsa_tg_split 0
		.amdhsa_exception_fp_ieee_invalid_op 0
		.amdhsa_exception_fp_denorm_src 0
		.amdhsa_exception_fp_ieee_div_zero 0
		.amdhsa_exception_fp_ieee_overflow 0
		.amdhsa_exception_fp_ieee_underflow 0
		.amdhsa_exception_fp_ieee_inexact 0
		.amdhsa_exception_int_div_zero 0
	.end_amdhsa_kernel
	.section	.text._ZN7rocprim17ROCPRIM_400000_NS6detail17trampoline_kernelINS0_14default_configENS1_25partition_config_selectorILNS1_17partition_subalgoE9EllbEEZZNS1_14partition_implILS5_9ELb0ES3_jPlS8_PNS0_10empty_typeENS0_5tupleIJS8_S9_EEENSB_IJS8_SA_EEENS0_18inequality_wrapperIZN2at6native12_GLOBAL__N_124unique_dim_cuda_templateIhEESt5tupleIJNSF_6TensorESK_SK_EERKSK_lbbbEUlllE0_EEPmJS9_EEE10hipError_tPvRmT3_T4_T5_T6_T7_T9_mT8_P12ihipStream_tbDpT10_ENKUlT_T0_E_clISt17integral_constantIbLb1EES19_IbLb0EEEEDaS15_S16_EUlS15_E_NS1_11comp_targetILNS1_3genE5ELNS1_11target_archE942ELNS1_3gpuE9ELNS1_3repE0EEENS1_30default_config_static_selectorELNS0_4arch9wavefront6targetE1EEEvT1_,"axG",@progbits,_ZN7rocprim17ROCPRIM_400000_NS6detail17trampoline_kernelINS0_14default_configENS1_25partition_config_selectorILNS1_17partition_subalgoE9EllbEEZZNS1_14partition_implILS5_9ELb0ES3_jPlS8_PNS0_10empty_typeENS0_5tupleIJS8_S9_EEENSB_IJS8_SA_EEENS0_18inequality_wrapperIZN2at6native12_GLOBAL__N_124unique_dim_cuda_templateIhEESt5tupleIJNSF_6TensorESK_SK_EERKSK_lbbbEUlllE0_EEPmJS9_EEE10hipError_tPvRmT3_T4_T5_T6_T7_T9_mT8_P12ihipStream_tbDpT10_ENKUlT_T0_E_clISt17integral_constantIbLb1EES19_IbLb0EEEEDaS15_S16_EUlS15_E_NS1_11comp_targetILNS1_3genE5ELNS1_11target_archE942ELNS1_3gpuE9ELNS1_3repE0EEENS1_30default_config_static_selectorELNS0_4arch9wavefront6targetE1EEEvT1_,comdat
.Lfunc_end221:
	.size	_ZN7rocprim17ROCPRIM_400000_NS6detail17trampoline_kernelINS0_14default_configENS1_25partition_config_selectorILNS1_17partition_subalgoE9EllbEEZZNS1_14partition_implILS5_9ELb0ES3_jPlS8_PNS0_10empty_typeENS0_5tupleIJS8_S9_EEENSB_IJS8_SA_EEENS0_18inequality_wrapperIZN2at6native12_GLOBAL__N_124unique_dim_cuda_templateIhEESt5tupleIJNSF_6TensorESK_SK_EERKSK_lbbbEUlllE0_EEPmJS9_EEE10hipError_tPvRmT3_T4_T5_T6_T7_T9_mT8_P12ihipStream_tbDpT10_ENKUlT_T0_E_clISt17integral_constantIbLb1EES19_IbLb0EEEEDaS15_S16_EUlS15_E_NS1_11comp_targetILNS1_3genE5ELNS1_11target_archE942ELNS1_3gpuE9ELNS1_3repE0EEENS1_30default_config_static_selectorELNS0_4arch9wavefront6targetE1EEEvT1_, .Lfunc_end221-_ZN7rocprim17ROCPRIM_400000_NS6detail17trampoline_kernelINS0_14default_configENS1_25partition_config_selectorILNS1_17partition_subalgoE9EllbEEZZNS1_14partition_implILS5_9ELb0ES3_jPlS8_PNS0_10empty_typeENS0_5tupleIJS8_S9_EEENSB_IJS8_SA_EEENS0_18inequality_wrapperIZN2at6native12_GLOBAL__N_124unique_dim_cuda_templateIhEESt5tupleIJNSF_6TensorESK_SK_EERKSK_lbbbEUlllE0_EEPmJS9_EEE10hipError_tPvRmT3_T4_T5_T6_T7_T9_mT8_P12ihipStream_tbDpT10_ENKUlT_T0_E_clISt17integral_constantIbLb1EES19_IbLb0EEEEDaS15_S16_EUlS15_E_NS1_11comp_targetILNS1_3genE5ELNS1_11target_archE942ELNS1_3gpuE9ELNS1_3repE0EEENS1_30default_config_static_selectorELNS0_4arch9wavefront6targetE1EEEvT1_
                                        ; -- End function
	.set _ZN7rocprim17ROCPRIM_400000_NS6detail17trampoline_kernelINS0_14default_configENS1_25partition_config_selectorILNS1_17partition_subalgoE9EllbEEZZNS1_14partition_implILS5_9ELb0ES3_jPlS8_PNS0_10empty_typeENS0_5tupleIJS8_S9_EEENSB_IJS8_SA_EEENS0_18inequality_wrapperIZN2at6native12_GLOBAL__N_124unique_dim_cuda_templateIhEESt5tupleIJNSF_6TensorESK_SK_EERKSK_lbbbEUlllE0_EEPmJS9_EEE10hipError_tPvRmT3_T4_T5_T6_T7_T9_mT8_P12ihipStream_tbDpT10_ENKUlT_T0_E_clISt17integral_constantIbLb1EES19_IbLb0EEEEDaS15_S16_EUlS15_E_NS1_11comp_targetILNS1_3genE5ELNS1_11target_archE942ELNS1_3gpuE9ELNS1_3repE0EEENS1_30default_config_static_selectorELNS0_4arch9wavefront6targetE1EEEvT1_.num_vgpr, 0
	.set _ZN7rocprim17ROCPRIM_400000_NS6detail17trampoline_kernelINS0_14default_configENS1_25partition_config_selectorILNS1_17partition_subalgoE9EllbEEZZNS1_14partition_implILS5_9ELb0ES3_jPlS8_PNS0_10empty_typeENS0_5tupleIJS8_S9_EEENSB_IJS8_SA_EEENS0_18inequality_wrapperIZN2at6native12_GLOBAL__N_124unique_dim_cuda_templateIhEESt5tupleIJNSF_6TensorESK_SK_EERKSK_lbbbEUlllE0_EEPmJS9_EEE10hipError_tPvRmT3_T4_T5_T6_T7_T9_mT8_P12ihipStream_tbDpT10_ENKUlT_T0_E_clISt17integral_constantIbLb1EES19_IbLb0EEEEDaS15_S16_EUlS15_E_NS1_11comp_targetILNS1_3genE5ELNS1_11target_archE942ELNS1_3gpuE9ELNS1_3repE0EEENS1_30default_config_static_selectorELNS0_4arch9wavefront6targetE1EEEvT1_.num_agpr, 0
	.set _ZN7rocprim17ROCPRIM_400000_NS6detail17trampoline_kernelINS0_14default_configENS1_25partition_config_selectorILNS1_17partition_subalgoE9EllbEEZZNS1_14partition_implILS5_9ELb0ES3_jPlS8_PNS0_10empty_typeENS0_5tupleIJS8_S9_EEENSB_IJS8_SA_EEENS0_18inequality_wrapperIZN2at6native12_GLOBAL__N_124unique_dim_cuda_templateIhEESt5tupleIJNSF_6TensorESK_SK_EERKSK_lbbbEUlllE0_EEPmJS9_EEE10hipError_tPvRmT3_T4_T5_T6_T7_T9_mT8_P12ihipStream_tbDpT10_ENKUlT_T0_E_clISt17integral_constantIbLb1EES19_IbLb0EEEEDaS15_S16_EUlS15_E_NS1_11comp_targetILNS1_3genE5ELNS1_11target_archE942ELNS1_3gpuE9ELNS1_3repE0EEENS1_30default_config_static_selectorELNS0_4arch9wavefront6targetE1EEEvT1_.numbered_sgpr, 0
	.set _ZN7rocprim17ROCPRIM_400000_NS6detail17trampoline_kernelINS0_14default_configENS1_25partition_config_selectorILNS1_17partition_subalgoE9EllbEEZZNS1_14partition_implILS5_9ELb0ES3_jPlS8_PNS0_10empty_typeENS0_5tupleIJS8_S9_EEENSB_IJS8_SA_EEENS0_18inequality_wrapperIZN2at6native12_GLOBAL__N_124unique_dim_cuda_templateIhEESt5tupleIJNSF_6TensorESK_SK_EERKSK_lbbbEUlllE0_EEPmJS9_EEE10hipError_tPvRmT3_T4_T5_T6_T7_T9_mT8_P12ihipStream_tbDpT10_ENKUlT_T0_E_clISt17integral_constantIbLb1EES19_IbLb0EEEEDaS15_S16_EUlS15_E_NS1_11comp_targetILNS1_3genE5ELNS1_11target_archE942ELNS1_3gpuE9ELNS1_3repE0EEENS1_30default_config_static_selectorELNS0_4arch9wavefront6targetE1EEEvT1_.num_named_barrier, 0
	.set _ZN7rocprim17ROCPRIM_400000_NS6detail17trampoline_kernelINS0_14default_configENS1_25partition_config_selectorILNS1_17partition_subalgoE9EllbEEZZNS1_14partition_implILS5_9ELb0ES3_jPlS8_PNS0_10empty_typeENS0_5tupleIJS8_S9_EEENSB_IJS8_SA_EEENS0_18inequality_wrapperIZN2at6native12_GLOBAL__N_124unique_dim_cuda_templateIhEESt5tupleIJNSF_6TensorESK_SK_EERKSK_lbbbEUlllE0_EEPmJS9_EEE10hipError_tPvRmT3_T4_T5_T6_T7_T9_mT8_P12ihipStream_tbDpT10_ENKUlT_T0_E_clISt17integral_constantIbLb1EES19_IbLb0EEEEDaS15_S16_EUlS15_E_NS1_11comp_targetILNS1_3genE5ELNS1_11target_archE942ELNS1_3gpuE9ELNS1_3repE0EEENS1_30default_config_static_selectorELNS0_4arch9wavefront6targetE1EEEvT1_.private_seg_size, 0
	.set _ZN7rocprim17ROCPRIM_400000_NS6detail17trampoline_kernelINS0_14default_configENS1_25partition_config_selectorILNS1_17partition_subalgoE9EllbEEZZNS1_14partition_implILS5_9ELb0ES3_jPlS8_PNS0_10empty_typeENS0_5tupleIJS8_S9_EEENSB_IJS8_SA_EEENS0_18inequality_wrapperIZN2at6native12_GLOBAL__N_124unique_dim_cuda_templateIhEESt5tupleIJNSF_6TensorESK_SK_EERKSK_lbbbEUlllE0_EEPmJS9_EEE10hipError_tPvRmT3_T4_T5_T6_T7_T9_mT8_P12ihipStream_tbDpT10_ENKUlT_T0_E_clISt17integral_constantIbLb1EES19_IbLb0EEEEDaS15_S16_EUlS15_E_NS1_11comp_targetILNS1_3genE5ELNS1_11target_archE942ELNS1_3gpuE9ELNS1_3repE0EEENS1_30default_config_static_selectorELNS0_4arch9wavefront6targetE1EEEvT1_.uses_vcc, 0
	.set _ZN7rocprim17ROCPRIM_400000_NS6detail17trampoline_kernelINS0_14default_configENS1_25partition_config_selectorILNS1_17partition_subalgoE9EllbEEZZNS1_14partition_implILS5_9ELb0ES3_jPlS8_PNS0_10empty_typeENS0_5tupleIJS8_S9_EEENSB_IJS8_SA_EEENS0_18inequality_wrapperIZN2at6native12_GLOBAL__N_124unique_dim_cuda_templateIhEESt5tupleIJNSF_6TensorESK_SK_EERKSK_lbbbEUlllE0_EEPmJS9_EEE10hipError_tPvRmT3_T4_T5_T6_T7_T9_mT8_P12ihipStream_tbDpT10_ENKUlT_T0_E_clISt17integral_constantIbLb1EES19_IbLb0EEEEDaS15_S16_EUlS15_E_NS1_11comp_targetILNS1_3genE5ELNS1_11target_archE942ELNS1_3gpuE9ELNS1_3repE0EEENS1_30default_config_static_selectorELNS0_4arch9wavefront6targetE1EEEvT1_.uses_flat_scratch, 0
	.set _ZN7rocprim17ROCPRIM_400000_NS6detail17trampoline_kernelINS0_14default_configENS1_25partition_config_selectorILNS1_17partition_subalgoE9EllbEEZZNS1_14partition_implILS5_9ELb0ES3_jPlS8_PNS0_10empty_typeENS0_5tupleIJS8_S9_EEENSB_IJS8_SA_EEENS0_18inequality_wrapperIZN2at6native12_GLOBAL__N_124unique_dim_cuda_templateIhEESt5tupleIJNSF_6TensorESK_SK_EERKSK_lbbbEUlllE0_EEPmJS9_EEE10hipError_tPvRmT3_T4_T5_T6_T7_T9_mT8_P12ihipStream_tbDpT10_ENKUlT_T0_E_clISt17integral_constantIbLb1EES19_IbLb0EEEEDaS15_S16_EUlS15_E_NS1_11comp_targetILNS1_3genE5ELNS1_11target_archE942ELNS1_3gpuE9ELNS1_3repE0EEENS1_30default_config_static_selectorELNS0_4arch9wavefront6targetE1EEEvT1_.has_dyn_sized_stack, 0
	.set _ZN7rocprim17ROCPRIM_400000_NS6detail17trampoline_kernelINS0_14default_configENS1_25partition_config_selectorILNS1_17partition_subalgoE9EllbEEZZNS1_14partition_implILS5_9ELb0ES3_jPlS8_PNS0_10empty_typeENS0_5tupleIJS8_S9_EEENSB_IJS8_SA_EEENS0_18inequality_wrapperIZN2at6native12_GLOBAL__N_124unique_dim_cuda_templateIhEESt5tupleIJNSF_6TensorESK_SK_EERKSK_lbbbEUlllE0_EEPmJS9_EEE10hipError_tPvRmT3_T4_T5_T6_T7_T9_mT8_P12ihipStream_tbDpT10_ENKUlT_T0_E_clISt17integral_constantIbLb1EES19_IbLb0EEEEDaS15_S16_EUlS15_E_NS1_11comp_targetILNS1_3genE5ELNS1_11target_archE942ELNS1_3gpuE9ELNS1_3repE0EEENS1_30default_config_static_selectorELNS0_4arch9wavefront6targetE1EEEvT1_.has_recursion, 0
	.set _ZN7rocprim17ROCPRIM_400000_NS6detail17trampoline_kernelINS0_14default_configENS1_25partition_config_selectorILNS1_17partition_subalgoE9EllbEEZZNS1_14partition_implILS5_9ELb0ES3_jPlS8_PNS0_10empty_typeENS0_5tupleIJS8_S9_EEENSB_IJS8_SA_EEENS0_18inequality_wrapperIZN2at6native12_GLOBAL__N_124unique_dim_cuda_templateIhEESt5tupleIJNSF_6TensorESK_SK_EERKSK_lbbbEUlllE0_EEPmJS9_EEE10hipError_tPvRmT3_T4_T5_T6_T7_T9_mT8_P12ihipStream_tbDpT10_ENKUlT_T0_E_clISt17integral_constantIbLb1EES19_IbLb0EEEEDaS15_S16_EUlS15_E_NS1_11comp_targetILNS1_3genE5ELNS1_11target_archE942ELNS1_3gpuE9ELNS1_3repE0EEENS1_30default_config_static_selectorELNS0_4arch9wavefront6targetE1EEEvT1_.has_indirect_call, 0
	.section	.AMDGPU.csdata,"",@progbits
; Kernel info:
; codeLenInByte = 0
; TotalNumSgprs: 6
; NumVgprs: 0
; NumAgprs: 0
; TotalNumVgprs: 0
; ScratchSize: 0
; MemoryBound: 0
; FloatMode: 240
; IeeeMode: 1
; LDSByteSize: 0 bytes/workgroup (compile time only)
; SGPRBlocks: 0
; VGPRBlocks: 0
; NumSGPRsForWavesPerEU: 6
; NumVGPRsForWavesPerEU: 1
; AccumOffset: 4
; Occupancy: 8
; WaveLimiterHint : 0
; COMPUTE_PGM_RSRC2:SCRATCH_EN: 0
; COMPUTE_PGM_RSRC2:USER_SGPR: 2
; COMPUTE_PGM_RSRC2:TRAP_HANDLER: 0
; COMPUTE_PGM_RSRC2:TGID_X_EN: 1
; COMPUTE_PGM_RSRC2:TGID_Y_EN: 0
; COMPUTE_PGM_RSRC2:TGID_Z_EN: 0
; COMPUTE_PGM_RSRC2:TIDIG_COMP_CNT: 0
; COMPUTE_PGM_RSRC3_GFX90A:ACCUM_OFFSET: 0
; COMPUTE_PGM_RSRC3_GFX90A:TG_SPLIT: 0
	.section	.text._ZN7rocprim17ROCPRIM_400000_NS6detail17trampoline_kernelINS0_14default_configENS1_25partition_config_selectorILNS1_17partition_subalgoE9EllbEEZZNS1_14partition_implILS5_9ELb0ES3_jPlS8_PNS0_10empty_typeENS0_5tupleIJS8_S9_EEENSB_IJS8_SA_EEENS0_18inequality_wrapperIZN2at6native12_GLOBAL__N_124unique_dim_cuda_templateIhEESt5tupleIJNSF_6TensorESK_SK_EERKSK_lbbbEUlllE0_EEPmJS9_EEE10hipError_tPvRmT3_T4_T5_T6_T7_T9_mT8_P12ihipStream_tbDpT10_ENKUlT_T0_E_clISt17integral_constantIbLb1EES19_IbLb0EEEEDaS15_S16_EUlS15_E_NS1_11comp_targetILNS1_3genE4ELNS1_11target_archE910ELNS1_3gpuE8ELNS1_3repE0EEENS1_30default_config_static_selectorELNS0_4arch9wavefront6targetE1EEEvT1_,"axG",@progbits,_ZN7rocprim17ROCPRIM_400000_NS6detail17trampoline_kernelINS0_14default_configENS1_25partition_config_selectorILNS1_17partition_subalgoE9EllbEEZZNS1_14partition_implILS5_9ELb0ES3_jPlS8_PNS0_10empty_typeENS0_5tupleIJS8_S9_EEENSB_IJS8_SA_EEENS0_18inequality_wrapperIZN2at6native12_GLOBAL__N_124unique_dim_cuda_templateIhEESt5tupleIJNSF_6TensorESK_SK_EERKSK_lbbbEUlllE0_EEPmJS9_EEE10hipError_tPvRmT3_T4_T5_T6_T7_T9_mT8_P12ihipStream_tbDpT10_ENKUlT_T0_E_clISt17integral_constantIbLb1EES19_IbLb0EEEEDaS15_S16_EUlS15_E_NS1_11comp_targetILNS1_3genE4ELNS1_11target_archE910ELNS1_3gpuE8ELNS1_3repE0EEENS1_30default_config_static_selectorELNS0_4arch9wavefront6targetE1EEEvT1_,comdat
	.globl	_ZN7rocprim17ROCPRIM_400000_NS6detail17trampoline_kernelINS0_14default_configENS1_25partition_config_selectorILNS1_17partition_subalgoE9EllbEEZZNS1_14partition_implILS5_9ELb0ES3_jPlS8_PNS0_10empty_typeENS0_5tupleIJS8_S9_EEENSB_IJS8_SA_EEENS0_18inequality_wrapperIZN2at6native12_GLOBAL__N_124unique_dim_cuda_templateIhEESt5tupleIJNSF_6TensorESK_SK_EERKSK_lbbbEUlllE0_EEPmJS9_EEE10hipError_tPvRmT3_T4_T5_T6_T7_T9_mT8_P12ihipStream_tbDpT10_ENKUlT_T0_E_clISt17integral_constantIbLb1EES19_IbLb0EEEEDaS15_S16_EUlS15_E_NS1_11comp_targetILNS1_3genE4ELNS1_11target_archE910ELNS1_3gpuE8ELNS1_3repE0EEENS1_30default_config_static_selectorELNS0_4arch9wavefront6targetE1EEEvT1_ ; -- Begin function _ZN7rocprim17ROCPRIM_400000_NS6detail17trampoline_kernelINS0_14default_configENS1_25partition_config_selectorILNS1_17partition_subalgoE9EllbEEZZNS1_14partition_implILS5_9ELb0ES3_jPlS8_PNS0_10empty_typeENS0_5tupleIJS8_S9_EEENSB_IJS8_SA_EEENS0_18inequality_wrapperIZN2at6native12_GLOBAL__N_124unique_dim_cuda_templateIhEESt5tupleIJNSF_6TensorESK_SK_EERKSK_lbbbEUlllE0_EEPmJS9_EEE10hipError_tPvRmT3_T4_T5_T6_T7_T9_mT8_P12ihipStream_tbDpT10_ENKUlT_T0_E_clISt17integral_constantIbLb1EES19_IbLb0EEEEDaS15_S16_EUlS15_E_NS1_11comp_targetILNS1_3genE4ELNS1_11target_archE910ELNS1_3gpuE8ELNS1_3repE0EEENS1_30default_config_static_selectorELNS0_4arch9wavefront6targetE1EEEvT1_
	.p2align	8
	.type	_ZN7rocprim17ROCPRIM_400000_NS6detail17trampoline_kernelINS0_14default_configENS1_25partition_config_selectorILNS1_17partition_subalgoE9EllbEEZZNS1_14partition_implILS5_9ELb0ES3_jPlS8_PNS0_10empty_typeENS0_5tupleIJS8_S9_EEENSB_IJS8_SA_EEENS0_18inequality_wrapperIZN2at6native12_GLOBAL__N_124unique_dim_cuda_templateIhEESt5tupleIJNSF_6TensorESK_SK_EERKSK_lbbbEUlllE0_EEPmJS9_EEE10hipError_tPvRmT3_T4_T5_T6_T7_T9_mT8_P12ihipStream_tbDpT10_ENKUlT_T0_E_clISt17integral_constantIbLb1EES19_IbLb0EEEEDaS15_S16_EUlS15_E_NS1_11comp_targetILNS1_3genE4ELNS1_11target_archE910ELNS1_3gpuE8ELNS1_3repE0EEENS1_30default_config_static_selectorELNS0_4arch9wavefront6targetE1EEEvT1_,@function
_ZN7rocprim17ROCPRIM_400000_NS6detail17trampoline_kernelINS0_14default_configENS1_25partition_config_selectorILNS1_17partition_subalgoE9EllbEEZZNS1_14partition_implILS5_9ELb0ES3_jPlS8_PNS0_10empty_typeENS0_5tupleIJS8_S9_EEENSB_IJS8_SA_EEENS0_18inequality_wrapperIZN2at6native12_GLOBAL__N_124unique_dim_cuda_templateIhEESt5tupleIJNSF_6TensorESK_SK_EERKSK_lbbbEUlllE0_EEPmJS9_EEE10hipError_tPvRmT3_T4_T5_T6_T7_T9_mT8_P12ihipStream_tbDpT10_ENKUlT_T0_E_clISt17integral_constantIbLb1EES19_IbLb0EEEEDaS15_S16_EUlS15_E_NS1_11comp_targetILNS1_3genE4ELNS1_11target_archE910ELNS1_3gpuE8ELNS1_3repE0EEENS1_30default_config_static_selectorELNS0_4arch9wavefront6targetE1EEEvT1_: ; @_ZN7rocprim17ROCPRIM_400000_NS6detail17trampoline_kernelINS0_14default_configENS1_25partition_config_selectorILNS1_17partition_subalgoE9EllbEEZZNS1_14partition_implILS5_9ELb0ES3_jPlS8_PNS0_10empty_typeENS0_5tupleIJS8_S9_EEENSB_IJS8_SA_EEENS0_18inequality_wrapperIZN2at6native12_GLOBAL__N_124unique_dim_cuda_templateIhEESt5tupleIJNSF_6TensorESK_SK_EERKSK_lbbbEUlllE0_EEPmJS9_EEE10hipError_tPvRmT3_T4_T5_T6_T7_T9_mT8_P12ihipStream_tbDpT10_ENKUlT_T0_E_clISt17integral_constantIbLb1EES19_IbLb0EEEEDaS15_S16_EUlS15_E_NS1_11comp_targetILNS1_3genE4ELNS1_11target_archE910ELNS1_3gpuE8ELNS1_3repE0EEENS1_30default_config_static_selectorELNS0_4arch9wavefront6targetE1EEEvT1_
; %bb.0:
	.section	.rodata,"a",@progbits
	.p2align	6, 0x0
	.amdhsa_kernel _ZN7rocprim17ROCPRIM_400000_NS6detail17trampoline_kernelINS0_14default_configENS1_25partition_config_selectorILNS1_17partition_subalgoE9EllbEEZZNS1_14partition_implILS5_9ELb0ES3_jPlS8_PNS0_10empty_typeENS0_5tupleIJS8_S9_EEENSB_IJS8_SA_EEENS0_18inequality_wrapperIZN2at6native12_GLOBAL__N_124unique_dim_cuda_templateIhEESt5tupleIJNSF_6TensorESK_SK_EERKSK_lbbbEUlllE0_EEPmJS9_EEE10hipError_tPvRmT3_T4_T5_T6_T7_T9_mT8_P12ihipStream_tbDpT10_ENKUlT_T0_E_clISt17integral_constantIbLb1EES19_IbLb0EEEEDaS15_S16_EUlS15_E_NS1_11comp_targetILNS1_3genE4ELNS1_11target_archE910ELNS1_3gpuE8ELNS1_3repE0EEENS1_30default_config_static_selectorELNS0_4arch9wavefront6targetE1EEEvT1_
		.amdhsa_group_segment_fixed_size 0
		.amdhsa_private_segment_fixed_size 0
		.amdhsa_kernarg_size 120
		.amdhsa_user_sgpr_count 2
		.amdhsa_user_sgpr_dispatch_ptr 0
		.amdhsa_user_sgpr_queue_ptr 0
		.amdhsa_user_sgpr_kernarg_segment_ptr 1
		.amdhsa_user_sgpr_dispatch_id 0
		.amdhsa_user_sgpr_kernarg_preload_length 0
		.amdhsa_user_sgpr_kernarg_preload_offset 0
		.amdhsa_user_sgpr_private_segment_size 0
		.amdhsa_uses_dynamic_stack 0
		.amdhsa_enable_private_segment 0
		.amdhsa_system_sgpr_workgroup_id_x 1
		.amdhsa_system_sgpr_workgroup_id_y 0
		.amdhsa_system_sgpr_workgroup_id_z 0
		.amdhsa_system_sgpr_workgroup_info 0
		.amdhsa_system_vgpr_workitem_id 0
		.amdhsa_next_free_vgpr 1
		.amdhsa_next_free_sgpr 0
		.amdhsa_accum_offset 4
		.amdhsa_reserve_vcc 0
		.amdhsa_float_round_mode_32 0
		.amdhsa_float_round_mode_16_64 0
		.amdhsa_float_denorm_mode_32 3
		.amdhsa_float_denorm_mode_16_64 3
		.amdhsa_dx10_clamp 1
		.amdhsa_ieee_mode 1
		.amdhsa_fp16_overflow 0
		.amdhsa_tg_split 0
		.amdhsa_exception_fp_ieee_invalid_op 0
		.amdhsa_exception_fp_denorm_src 0
		.amdhsa_exception_fp_ieee_div_zero 0
		.amdhsa_exception_fp_ieee_overflow 0
		.amdhsa_exception_fp_ieee_underflow 0
		.amdhsa_exception_fp_ieee_inexact 0
		.amdhsa_exception_int_div_zero 0
	.end_amdhsa_kernel
	.section	.text._ZN7rocprim17ROCPRIM_400000_NS6detail17trampoline_kernelINS0_14default_configENS1_25partition_config_selectorILNS1_17partition_subalgoE9EllbEEZZNS1_14partition_implILS5_9ELb0ES3_jPlS8_PNS0_10empty_typeENS0_5tupleIJS8_S9_EEENSB_IJS8_SA_EEENS0_18inequality_wrapperIZN2at6native12_GLOBAL__N_124unique_dim_cuda_templateIhEESt5tupleIJNSF_6TensorESK_SK_EERKSK_lbbbEUlllE0_EEPmJS9_EEE10hipError_tPvRmT3_T4_T5_T6_T7_T9_mT8_P12ihipStream_tbDpT10_ENKUlT_T0_E_clISt17integral_constantIbLb1EES19_IbLb0EEEEDaS15_S16_EUlS15_E_NS1_11comp_targetILNS1_3genE4ELNS1_11target_archE910ELNS1_3gpuE8ELNS1_3repE0EEENS1_30default_config_static_selectorELNS0_4arch9wavefront6targetE1EEEvT1_,"axG",@progbits,_ZN7rocprim17ROCPRIM_400000_NS6detail17trampoline_kernelINS0_14default_configENS1_25partition_config_selectorILNS1_17partition_subalgoE9EllbEEZZNS1_14partition_implILS5_9ELb0ES3_jPlS8_PNS0_10empty_typeENS0_5tupleIJS8_S9_EEENSB_IJS8_SA_EEENS0_18inequality_wrapperIZN2at6native12_GLOBAL__N_124unique_dim_cuda_templateIhEESt5tupleIJNSF_6TensorESK_SK_EERKSK_lbbbEUlllE0_EEPmJS9_EEE10hipError_tPvRmT3_T4_T5_T6_T7_T9_mT8_P12ihipStream_tbDpT10_ENKUlT_T0_E_clISt17integral_constantIbLb1EES19_IbLb0EEEEDaS15_S16_EUlS15_E_NS1_11comp_targetILNS1_3genE4ELNS1_11target_archE910ELNS1_3gpuE8ELNS1_3repE0EEENS1_30default_config_static_selectorELNS0_4arch9wavefront6targetE1EEEvT1_,comdat
.Lfunc_end222:
	.size	_ZN7rocprim17ROCPRIM_400000_NS6detail17trampoline_kernelINS0_14default_configENS1_25partition_config_selectorILNS1_17partition_subalgoE9EllbEEZZNS1_14partition_implILS5_9ELb0ES3_jPlS8_PNS0_10empty_typeENS0_5tupleIJS8_S9_EEENSB_IJS8_SA_EEENS0_18inequality_wrapperIZN2at6native12_GLOBAL__N_124unique_dim_cuda_templateIhEESt5tupleIJNSF_6TensorESK_SK_EERKSK_lbbbEUlllE0_EEPmJS9_EEE10hipError_tPvRmT3_T4_T5_T6_T7_T9_mT8_P12ihipStream_tbDpT10_ENKUlT_T0_E_clISt17integral_constantIbLb1EES19_IbLb0EEEEDaS15_S16_EUlS15_E_NS1_11comp_targetILNS1_3genE4ELNS1_11target_archE910ELNS1_3gpuE8ELNS1_3repE0EEENS1_30default_config_static_selectorELNS0_4arch9wavefront6targetE1EEEvT1_, .Lfunc_end222-_ZN7rocprim17ROCPRIM_400000_NS6detail17trampoline_kernelINS0_14default_configENS1_25partition_config_selectorILNS1_17partition_subalgoE9EllbEEZZNS1_14partition_implILS5_9ELb0ES3_jPlS8_PNS0_10empty_typeENS0_5tupleIJS8_S9_EEENSB_IJS8_SA_EEENS0_18inequality_wrapperIZN2at6native12_GLOBAL__N_124unique_dim_cuda_templateIhEESt5tupleIJNSF_6TensorESK_SK_EERKSK_lbbbEUlllE0_EEPmJS9_EEE10hipError_tPvRmT3_T4_T5_T6_T7_T9_mT8_P12ihipStream_tbDpT10_ENKUlT_T0_E_clISt17integral_constantIbLb1EES19_IbLb0EEEEDaS15_S16_EUlS15_E_NS1_11comp_targetILNS1_3genE4ELNS1_11target_archE910ELNS1_3gpuE8ELNS1_3repE0EEENS1_30default_config_static_selectorELNS0_4arch9wavefront6targetE1EEEvT1_
                                        ; -- End function
	.set _ZN7rocprim17ROCPRIM_400000_NS6detail17trampoline_kernelINS0_14default_configENS1_25partition_config_selectorILNS1_17partition_subalgoE9EllbEEZZNS1_14partition_implILS5_9ELb0ES3_jPlS8_PNS0_10empty_typeENS0_5tupleIJS8_S9_EEENSB_IJS8_SA_EEENS0_18inequality_wrapperIZN2at6native12_GLOBAL__N_124unique_dim_cuda_templateIhEESt5tupleIJNSF_6TensorESK_SK_EERKSK_lbbbEUlllE0_EEPmJS9_EEE10hipError_tPvRmT3_T4_T5_T6_T7_T9_mT8_P12ihipStream_tbDpT10_ENKUlT_T0_E_clISt17integral_constantIbLb1EES19_IbLb0EEEEDaS15_S16_EUlS15_E_NS1_11comp_targetILNS1_3genE4ELNS1_11target_archE910ELNS1_3gpuE8ELNS1_3repE0EEENS1_30default_config_static_selectorELNS0_4arch9wavefront6targetE1EEEvT1_.num_vgpr, 0
	.set _ZN7rocprim17ROCPRIM_400000_NS6detail17trampoline_kernelINS0_14default_configENS1_25partition_config_selectorILNS1_17partition_subalgoE9EllbEEZZNS1_14partition_implILS5_9ELb0ES3_jPlS8_PNS0_10empty_typeENS0_5tupleIJS8_S9_EEENSB_IJS8_SA_EEENS0_18inequality_wrapperIZN2at6native12_GLOBAL__N_124unique_dim_cuda_templateIhEESt5tupleIJNSF_6TensorESK_SK_EERKSK_lbbbEUlllE0_EEPmJS9_EEE10hipError_tPvRmT3_T4_T5_T6_T7_T9_mT8_P12ihipStream_tbDpT10_ENKUlT_T0_E_clISt17integral_constantIbLb1EES19_IbLb0EEEEDaS15_S16_EUlS15_E_NS1_11comp_targetILNS1_3genE4ELNS1_11target_archE910ELNS1_3gpuE8ELNS1_3repE0EEENS1_30default_config_static_selectorELNS0_4arch9wavefront6targetE1EEEvT1_.num_agpr, 0
	.set _ZN7rocprim17ROCPRIM_400000_NS6detail17trampoline_kernelINS0_14default_configENS1_25partition_config_selectorILNS1_17partition_subalgoE9EllbEEZZNS1_14partition_implILS5_9ELb0ES3_jPlS8_PNS0_10empty_typeENS0_5tupleIJS8_S9_EEENSB_IJS8_SA_EEENS0_18inequality_wrapperIZN2at6native12_GLOBAL__N_124unique_dim_cuda_templateIhEESt5tupleIJNSF_6TensorESK_SK_EERKSK_lbbbEUlllE0_EEPmJS9_EEE10hipError_tPvRmT3_T4_T5_T6_T7_T9_mT8_P12ihipStream_tbDpT10_ENKUlT_T0_E_clISt17integral_constantIbLb1EES19_IbLb0EEEEDaS15_S16_EUlS15_E_NS1_11comp_targetILNS1_3genE4ELNS1_11target_archE910ELNS1_3gpuE8ELNS1_3repE0EEENS1_30default_config_static_selectorELNS0_4arch9wavefront6targetE1EEEvT1_.numbered_sgpr, 0
	.set _ZN7rocprim17ROCPRIM_400000_NS6detail17trampoline_kernelINS0_14default_configENS1_25partition_config_selectorILNS1_17partition_subalgoE9EllbEEZZNS1_14partition_implILS5_9ELb0ES3_jPlS8_PNS0_10empty_typeENS0_5tupleIJS8_S9_EEENSB_IJS8_SA_EEENS0_18inequality_wrapperIZN2at6native12_GLOBAL__N_124unique_dim_cuda_templateIhEESt5tupleIJNSF_6TensorESK_SK_EERKSK_lbbbEUlllE0_EEPmJS9_EEE10hipError_tPvRmT3_T4_T5_T6_T7_T9_mT8_P12ihipStream_tbDpT10_ENKUlT_T0_E_clISt17integral_constantIbLb1EES19_IbLb0EEEEDaS15_S16_EUlS15_E_NS1_11comp_targetILNS1_3genE4ELNS1_11target_archE910ELNS1_3gpuE8ELNS1_3repE0EEENS1_30default_config_static_selectorELNS0_4arch9wavefront6targetE1EEEvT1_.num_named_barrier, 0
	.set _ZN7rocprim17ROCPRIM_400000_NS6detail17trampoline_kernelINS0_14default_configENS1_25partition_config_selectorILNS1_17partition_subalgoE9EllbEEZZNS1_14partition_implILS5_9ELb0ES3_jPlS8_PNS0_10empty_typeENS0_5tupleIJS8_S9_EEENSB_IJS8_SA_EEENS0_18inequality_wrapperIZN2at6native12_GLOBAL__N_124unique_dim_cuda_templateIhEESt5tupleIJNSF_6TensorESK_SK_EERKSK_lbbbEUlllE0_EEPmJS9_EEE10hipError_tPvRmT3_T4_T5_T6_T7_T9_mT8_P12ihipStream_tbDpT10_ENKUlT_T0_E_clISt17integral_constantIbLb1EES19_IbLb0EEEEDaS15_S16_EUlS15_E_NS1_11comp_targetILNS1_3genE4ELNS1_11target_archE910ELNS1_3gpuE8ELNS1_3repE0EEENS1_30default_config_static_selectorELNS0_4arch9wavefront6targetE1EEEvT1_.private_seg_size, 0
	.set _ZN7rocprim17ROCPRIM_400000_NS6detail17trampoline_kernelINS0_14default_configENS1_25partition_config_selectorILNS1_17partition_subalgoE9EllbEEZZNS1_14partition_implILS5_9ELb0ES3_jPlS8_PNS0_10empty_typeENS0_5tupleIJS8_S9_EEENSB_IJS8_SA_EEENS0_18inequality_wrapperIZN2at6native12_GLOBAL__N_124unique_dim_cuda_templateIhEESt5tupleIJNSF_6TensorESK_SK_EERKSK_lbbbEUlllE0_EEPmJS9_EEE10hipError_tPvRmT3_T4_T5_T6_T7_T9_mT8_P12ihipStream_tbDpT10_ENKUlT_T0_E_clISt17integral_constantIbLb1EES19_IbLb0EEEEDaS15_S16_EUlS15_E_NS1_11comp_targetILNS1_3genE4ELNS1_11target_archE910ELNS1_3gpuE8ELNS1_3repE0EEENS1_30default_config_static_selectorELNS0_4arch9wavefront6targetE1EEEvT1_.uses_vcc, 0
	.set _ZN7rocprim17ROCPRIM_400000_NS6detail17trampoline_kernelINS0_14default_configENS1_25partition_config_selectorILNS1_17partition_subalgoE9EllbEEZZNS1_14partition_implILS5_9ELb0ES3_jPlS8_PNS0_10empty_typeENS0_5tupleIJS8_S9_EEENSB_IJS8_SA_EEENS0_18inequality_wrapperIZN2at6native12_GLOBAL__N_124unique_dim_cuda_templateIhEESt5tupleIJNSF_6TensorESK_SK_EERKSK_lbbbEUlllE0_EEPmJS9_EEE10hipError_tPvRmT3_T4_T5_T6_T7_T9_mT8_P12ihipStream_tbDpT10_ENKUlT_T0_E_clISt17integral_constantIbLb1EES19_IbLb0EEEEDaS15_S16_EUlS15_E_NS1_11comp_targetILNS1_3genE4ELNS1_11target_archE910ELNS1_3gpuE8ELNS1_3repE0EEENS1_30default_config_static_selectorELNS0_4arch9wavefront6targetE1EEEvT1_.uses_flat_scratch, 0
	.set _ZN7rocprim17ROCPRIM_400000_NS6detail17trampoline_kernelINS0_14default_configENS1_25partition_config_selectorILNS1_17partition_subalgoE9EllbEEZZNS1_14partition_implILS5_9ELb0ES3_jPlS8_PNS0_10empty_typeENS0_5tupleIJS8_S9_EEENSB_IJS8_SA_EEENS0_18inequality_wrapperIZN2at6native12_GLOBAL__N_124unique_dim_cuda_templateIhEESt5tupleIJNSF_6TensorESK_SK_EERKSK_lbbbEUlllE0_EEPmJS9_EEE10hipError_tPvRmT3_T4_T5_T6_T7_T9_mT8_P12ihipStream_tbDpT10_ENKUlT_T0_E_clISt17integral_constantIbLb1EES19_IbLb0EEEEDaS15_S16_EUlS15_E_NS1_11comp_targetILNS1_3genE4ELNS1_11target_archE910ELNS1_3gpuE8ELNS1_3repE0EEENS1_30default_config_static_selectorELNS0_4arch9wavefront6targetE1EEEvT1_.has_dyn_sized_stack, 0
	.set _ZN7rocprim17ROCPRIM_400000_NS6detail17trampoline_kernelINS0_14default_configENS1_25partition_config_selectorILNS1_17partition_subalgoE9EllbEEZZNS1_14partition_implILS5_9ELb0ES3_jPlS8_PNS0_10empty_typeENS0_5tupleIJS8_S9_EEENSB_IJS8_SA_EEENS0_18inequality_wrapperIZN2at6native12_GLOBAL__N_124unique_dim_cuda_templateIhEESt5tupleIJNSF_6TensorESK_SK_EERKSK_lbbbEUlllE0_EEPmJS9_EEE10hipError_tPvRmT3_T4_T5_T6_T7_T9_mT8_P12ihipStream_tbDpT10_ENKUlT_T0_E_clISt17integral_constantIbLb1EES19_IbLb0EEEEDaS15_S16_EUlS15_E_NS1_11comp_targetILNS1_3genE4ELNS1_11target_archE910ELNS1_3gpuE8ELNS1_3repE0EEENS1_30default_config_static_selectorELNS0_4arch9wavefront6targetE1EEEvT1_.has_recursion, 0
	.set _ZN7rocprim17ROCPRIM_400000_NS6detail17trampoline_kernelINS0_14default_configENS1_25partition_config_selectorILNS1_17partition_subalgoE9EllbEEZZNS1_14partition_implILS5_9ELb0ES3_jPlS8_PNS0_10empty_typeENS0_5tupleIJS8_S9_EEENSB_IJS8_SA_EEENS0_18inequality_wrapperIZN2at6native12_GLOBAL__N_124unique_dim_cuda_templateIhEESt5tupleIJNSF_6TensorESK_SK_EERKSK_lbbbEUlllE0_EEPmJS9_EEE10hipError_tPvRmT3_T4_T5_T6_T7_T9_mT8_P12ihipStream_tbDpT10_ENKUlT_T0_E_clISt17integral_constantIbLb1EES19_IbLb0EEEEDaS15_S16_EUlS15_E_NS1_11comp_targetILNS1_3genE4ELNS1_11target_archE910ELNS1_3gpuE8ELNS1_3repE0EEENS1_30default_config_static_selectorELNS0_4arch9wavefront6targetE1EEEvT1_.has_indirect_call, 0
	.section	.AMDGPU.csdata,"",@progbits
; Kernel info:
; codeLenInByte = 0
; TotalNumSgprs: 6
; NumVgprs: 0
; NumAgprs: 0
; TotalNumVgprs: 0
; ScratchSize: 0
; MemoryBound: 0
; FloatMode: 240
; IeeeMode: 1
; LDSByteSize: 0 bytes/workgroup (compile time only)
; SGPRBlocks: 0
; VGPRBlocks: 0
; NumSGPRsForWavesPerEU: 6
; NumVGPRsForWavesPerEU: 1
; AccumOffset: 4
; Occupancy: 8
; WaveLimiterHint : 0
; COMPUTE_PGM_RSRC2:SCRATCH_EN: 0
; COMPUTE_PGM_RSRC2:USER_SGPR: 2
; COMPUTE_PGM_RSRC2:TRAP_HANDLER: 0
; COMPUTE_PGM_RSRC2:TGID_X_EN: 1
; COMPUTE_PGM_RSRC2:TGID_Y_EN: 0
; COMPUTE_PGM_RSRC2:TGID_Z_EN: 0
; COMPUTE_PGM_RSRC2:TIDIG_COMP_CNT: 0
; COMPUTE_PGM_RSRC3_GFX90A:ACCUM_OFFSET: 0
; COMPUTE_PGM_RSRC3_GFX90A:TG_SPLIT: 0
	.section	.text._ZN7rocprim17ROCPRIM_400000_NS6detail17trampoline_kernelINS0_14default_configENS1_25partition_config_selectorILNS1_17partition_subalgoE9EllbEEZZNS1_14partition_implILS5_9ELb0ES3_jPlS8_PNS0_10empty_typeENS0_5tupleIJS8_S9_EEENSB_IJS8_SA_EEENS0_18inequality_wrapperIZN2at6native12_GLOBAL__N_124unique_dim_cuda_templateIhEESt5tupleIJNSF_6TensorESK_SK_EERKSK_lbbbEUlllE0_EEPmJS9_EEE10hipError_tPvRmT3_T4_T5_T6_T7_T9_mT8_P12ihipStream_tbDpT10_ENKUlT_T0_E_clISt17integral_constantIbLb1EES19_IbLb0EEEEDaS15_S16_EUlS15_E_NS1_11comp_targetILNS1_3genE3ELNS1_11target_archE908ELNS1_3gpuE7ELNS1_3repE0EEENS1_30default_config_static_selectorELNS0_4arch9wavefront6targetE1EEEvT1_,"axG",@progbits,_ZN7rocprim17ROCPRIM_400000_NS6detail17trampoline_kernelINS0_14default_configENS1_25partition_config_selectorILNS1_17partition_subalgoE9EllbEEZZNS1_14partition_implILS5_9ELb0ES3_jPlS8_PNS0_10empty_typeENS0_5tupleIJS8_S9_EEENSB_IJS8_SA_EEENS0_18inequality_wrapperIZN2at6native12_GLOBAL__N_124unique_dim_cuda_templateIhEESt5tupleIJNSF_6TensorESK_SK_EERKSK_lbbbEUlllE0_EEPmJS9_EEE10hipError_tPvRmT3_T4_T5_T6_T7_T9_mT8_P12ihipStream_tbDpT10_ENKUlT_T0_E_clISt17integral_constantIbLb1EES19_IbLb0EEEEDaS15_S16_EUlS15_E_NS1_11comp_targetILNS1_3genE3ELNS1_11target_archE908ELNS1_3gpuE7ELNS1_3repE0EEENS1_30default_config_static_selectorELNS0_4arch9wavefront6targetE1EEEvT1_,comdat
	.globl	_ZN7rocprim17ROCPRIM_400000_NS6detail17trampoline_kernelINS0_14default_configENS1_25partition_config_selectorILNS1_17partition_subalgoE9EllbEEZZNS1_14partition_implILS5_9ELb0ES3_jPlS8_PNS0_10empty_typeENS0_5tupleIJS8_S9_EEENSB_IJS8_SA_EEENS0_18inequality_wrapperIZN2at6native12_GLOBAL__N_124unique_dim_cuda_templateIhEESt5tupleIJNSF_6TensorESK_SK_EERKSK_lbbbEUlllE0_EEPmJS9_EEE10hipError_tPvRmT3_T4_T5_T6_T7_T9_mT8_P12ihipStream_tbDpT10_ENKUlT_T0_E_clISt17integral_constantIbLb1EES19_IbLb0EEEEDaS15_S16_EUlS15_E_NS1_11comp_targetILNS1_3genE3ELNS1_11target_archE908ELNS1_3gpuE7ELNS1_3repE0EEENS1_30default_config_static_selectorELNS0_4arch9wavefront6targetE1EEEvT1_ ; -- Begin function _ZN7rocprim17ROCPRIM_400000_NS6detail17trampoline_kernelINS0_14default_configENS1_25partition_config_selectorILNS1_17partition_subalgoE9EllbEEZZNS1_14partition_implILS5_9ELb0ES3_jPlS8_PNS0_10empty_typeENS0_5tupleIJS8_S9_EEENSB_IJS8_SA_EEENS0_18inequality_wrapperIZN2at6native12_GLOBAL__N_124unique_dim_cuda_templateIhEESt5tupleIJNSF_6TensorESK_SK_EERKSK_lbbbEUlllE0_EEPmJS9_EEE10hipError_tPvRmT3_T4_T5_T6_T7_T9_mT8_P12ihipStream_tbDpT10_ENKUlT_T0_E_clISt17integral_constantIbLb1EES19_IbLb0EEEEDaS15_S16_EUlS15_E_NS1_11comp_targetILNS1_3genE3ELNS1_11target_archE908ELNS1_3gpuE7ELNS1_3repE0EEENS1_30default_config_static_selectorELNS0_4arch9wavefront6targetE1EEEvT1_
	.p2align	8
	.type	_ZN7rocprim17ROCPRIM_400000_NS6detail17trampoline_kernelINS0_14default_configENS1_25partition_config_selectorILNS1_17partition_subalgoE9EllbEEZZNS1_14partition_implILS5_9ELb0ES3_jPlS8_PNS0_10empty_typeENS0_5tupleIJS8_S9_EEENSB_IJS8_SA_EEENS0_18inequality_wrapperIZN2at6native12_GLOBAL__N_124unique_dim_cuda_templateIhEESt5tupleIJNSF_6TensorESK_SK_EERKSK_lbbbEUlllE0_EEPmJS9_EEE10hipError_tPvRmT3_T4_T5_T6_T7_T9_mT8_P12ihipStream_tbDpT10_ENKUlT_T0_E_clISt17integral_constantIbLb1EES19_IbLb0EEEEDaS15_S16_EUlS15_E_NS1_11comp_targetILNS1_3genE3ELNS1_11target_archE908ELNS1_3gpuE7ELNS1_3repE0EEENS1_30default_config_static_selectorELNS0_4arch9wavefront6targetE1EEEvT1_,@function
_ZN7rocprim17ROCPRIM_400000_NS6detail17trampoline_kernelINS0_14default_configENS1_25partition_config_selectorILNS1_17partition_subalgoE9EllbEEZZNS1_14partition_implILS5_9ELb0ES3_jPlS8_PNS0_10empty_typeENS0_5tupleIJS8_S9_EEENSB_IJS8_SA_EEENS0_18inequality_wrapperIZN2at6native12_GLOBAL__N_124unique_dim_cuda_templateIhEESt5tupleIJNSF_6TensorESK_SK_EERKSK_lbbbEUlllE0_EEPmJS9_EEE10hipError_tPvRmT3_T4_T5_T6_T7_T9_mT8_P12ihipStream_tbDpT10_ENKUlT_T0_E_clISt17integral_constantIbLb1EES19_IbLb0EEEEDaS15_S16_EUlS15_E_NS1_11comp_targetILNS1_3genE3ELNS1_11target_archE908ELNS1_3gpuE7ELNS1_3repE0EEENS1_30default_config_static_selectorELNS0_4arch9wavefront6targetE1EEEvT1_: ; @_ZN7rocprim17ROCPRIM_400000_NS6detail17trampoline_kernelINS0_14default_configENS1_25partition_config_selectorILNS1_17partition_subalgoE9EllbEEZZNS1_14partition_implILS5_9ELb0ES3_jPlS8_PNS0_10empty_typeENS0_5tupleIJS8_S9_EEENSB_IJS8_SA_EEENS0_18inequality_wrapperIZN2at6native12_GLOBAL__N_124unique_dim_cuda_templateIhEESt5tupleIJNSF_6TensorESK_SK_EERKSK_lbbbEUlllE0_EEPmJS9_EEE10hipError_tPvRmT3_T4_T5_T6_T7_T9_mT8_P12ihipStream_tbDpT10_ENKUlT_T0_E_clISt17integral_constantIbLb1EES19_IbLb0EEEEDaS15_S16_EUlS15_E_NS1_11comp_targetILNS1_3genE3ELNS1_11target_archE908ELNS1_3gpuE7ELNS1_3repE0EEENS1_30default_config_static_selectorELNS0_4arch9wavefront6targetE1EEEvT1_
; %bb.0:
	.section	.rodata,"a",@progbits
	.p2align	6, 0x0
	.amdhsa_kernel _ZN7rocprim17ROCPRIM_400000_NS6detail17trampoline_kernelINS0_14default_configENS1_25partition_config_selectorILNS1_17partition_subalgoE9EllbEEZZNS1_14partition_implILS5_9ELb0ES3_jPlS8_PNS0_10empty_typeENS0_5tupleIJS8_S9_EEENSB_IJS8_SA_EEENS0_18inequality_wrapperIZN2at6native12_GLOBAL__N_124unique_dim_cuda_templateIhEESt5tupleIJNSF_6TensorESK_SK_EERKSK_lbbbEUlllE0_EEPmJS9_EEE10hipError_tPvRmT3_T4_T5_T6_T7_T9_mT8_P12ihipStream_tbDpT10_ENKUlT_T0_E_clISt17integral_constantIbLb1EES19_IbLb0EEEEDaS15_S16_EUlS15_E_NS1_11comp_targetILNS1_3genE3ELNS1_11target_archE908ELNS1_3gpuE7ELNS1_3repE0EEENS1_30default_config_static_selectorELNS0_4arch9wavefront6targetE1EEEvT1_
		.amdhsa_group_segment_fixed_size 0
		.amdhsa_private_segment_fixed_size 0
		.amdhsa_kernarg_size 120
		.amdhsa_user_sgpr_count 2
		.amdhsa_user_sgpr_dispatch_ptr 0
		.amdhsa_user_sgpr_queue_ptr 0
		.amdhsa_user_sgpr_kernarg_segment_ptr 1
		.amdhsa_user_sgpr_dispatch_id 0
		.amdhsa_user_sgpr_kernarg_preload_length 0
		.amdhsa_user_sgpr_kernarg_preload_offset 0
		.amdhsa_user_sgpr_private_segment_size 0
		.amdhsa_uses_dynamic_stack 0
		.amdhsa_enable_private_segment 0
		.amdhsa_system_sgpr_workgroup_id_x 1
		.amdhsa_system_sgpr_workgroup_id_y 0
		.amdhsa_system_sgpr_workgroup_id_z 0
		.amdhsa_system_sgpr_workgroup_info 0
		.amdhsa_system_vgpr_workitem_id 0
		.amdhsa_next_free_vgpr 1
		.amdhsa_next_free_sgpr 0
		.amdhsa_accum_offset 4
		.amdhsa_reserve_vcc 0
		.amdhsa_float_round_mode_32 0
		.amdhsa_float_round_mode_16_64 0
		.amdhsa_float_denorm_mode_32 3
		.amdhsa_float_denorm_mode_16_64 3
		.amdhsa_dx10_clamp 1
		.amdhsa_ieee_mode 1
		.amdhsa_fp16_overflow 0
		.amdhsa_tg_split 0
		.amdhsa_exception_fp_ieee_invalid_op 0
		.amdhsa_exception_fp_denorm_src 0
		.amdhsa_exception_fp_ieee_div_zero 0
		.amdhsa_exception_fp_ieee_overflow 0
		.amdhsa_exception_fp_ieee_underflow 0
		.amdhsa_exception_fp_ieee_inexact 0
		.amdhsa_exception_int_div_zero 0
	.end_amdhsa_kernel
	.section	.text._ZN7rocprim17ROCPRIM_400000_NS6detail17trampoline_kernelINS0_14default_configENS1_25partition_config_selectorILNS1_17partition_subalgoE9EllbEEZZNS1_14partition_implILS5_9ELb0ES3_jPlS8_PNS0_10empty_typeENS0_5tupleIJS8_S9_EEENSB_IJS8_SA_EEENS0_18inequality_wrapperIZN2at6native12_GLOBAL__N_124unique_dim_cuda_templateIhEESt5tupleIJNSF_6TensorESK_SK_EERKSK_lbbbEUlllE0_EEPmJS9_EEE10hipError_tPvRmT3_T4_T5_T6_T7_T9_mT8_P12ihipStream_tbDpT10_ENKUlT_T0_E_clISt17integral_constantIbLb1EES19_IbLb0EEEEDaS15_S16_EUlS15_E_NS1_11comp_targetILNS1_3genE3ELNS1_11target_archE908ELNS1_3gpuE7ELNS1_3repE0EEENS1_30default_config_static_selectorELNS0_4arch9wavefront6targetE1EEEvT1_,"axG",@progbits,_ZN7rocprim17ROCPRIM_400000_NS6detail17trampoline_kernelINS0_14default_configENS1_25partition_config_selectorILNS1_17partition_subalgoE9EllbEEZZNS1_14partition_implILS5_9ELb0ES3_jPlS8_PNS0_10empty_typeENS0_5tupleIJS8_S9_EEENSB_IJS8_SA_EEENS0_18inequality_wrapperIZN2at6native12_GLOBAL__N_124unique_dim_cuda_templateIhEESt5tupleIJNSF_6TensorESK_SK_EERKSK_lbbbEUlllE0_EEPmJS9_EEE10hipError_tPvRmT3_T4_T5_T6_T7_T9_mT8_P12ihipStream_tbDpT10_ENKUlT_T0_E_clISt17integral_constantIbLb1EES19_IbLb0EEEEDaS15_S16_EUlS15_E_NS1_11comp_targetILNS1_3genE3ELNS1_11target_archE908ELNS1_3gpuE7ELNS1_3repE0EEENS1_30default_config_static_selectorELNS0_4arch9wavefront6targetE1EEEvT1_,comdat
.Lfunc_end223:
	.size	_ZN7rocprim17ROCPRIM_400000_NS6detail17trampoline_kernelINS0_14default_configENS1_25partition_config_selectorILNS1_17partition_subalgoE9EllbEEZZNS1_14partition_implILS5_9ELb0ES3_jPlS8_PNS0_10empty_typeENS0_5tupleIJS8_S9_EEENSB_IJS8_SA_EEENS0_18inequality_wrapperIZN2at6native12_GLOBAL__N_124unique_dim_cuda_templateIhEESt5tupleIJNSF_6TensorESK_SK_EERKSK_lbbbEUlllE0_EEPmJS9_EEE10hipError_tPvRmT3_T4_T5_T6_T7_T9_mT8_P12ihipStream_tbDpT10_ENKUlT_T0_E_clISt17integral_constantIbLb1EES19_IbLb0EEEEDaS15_S16_EUlS15_E_NS1_11comp_targetILNS1_3genE3ELNS1_11target_archE908ELNS1_3gpuE7ELNS1_3repE0EEENS1_30default_config_static_selectorELNS0_4arch9wavefront6targetE1EEEvT1_, .Lfunc_end223-_ZN7rocprim17ROCPRIM_400000_NS6detail17trampoline_kernelINS0_14default_configENS1_25partition_config_selectorILNS1_17partition_subalgoE9EllbEEZZNS1_14partition_implILS5_9ELb0ES3_jPlS8_PNS0_10empty_typeENS0_5tupleIJS8_S9_EEENSB_IJS8_SA_EEENS0_18inequality_wrapperIZN2at6native12_GLOBAL__N_124unique_dim_cuda_templateIhEESt5tupleIJNSF_6TensorESK_SK_EERKSK_lbbbEUlllE0_EEPmJS9_EEE10hipError_tPvRmT3_T4_T5_T6_T7_T9_mT8_P12ihipStream_tbDpT10_ENKUlT_T0_E_clISt17integral_constantIbLb1EES19_IbLb0EEEEDaS15_S16_EUlS15_E_NS1_11comp_targetILNS1_3genE3ELNS1_11target_archE908ELNS1_3gpuE7ELNS1_3repE0EEENS1_30default_config_static_selectorELNS0_4arch9wavefront6targetE1EEEvT1_
                                        ; -- End function
	.set _ZN7rocprim17ROCPRIM_400000_NS6detail17trampoline_kernelINS0_14default_configENS1_25partition_config_selectorILNS1_17partition_subalgoE9EllbEEZZNS1_14partition_implILS5_9ELb0ES3_jPlS8_PNS0_10empty_typeENS0_5tupleIJS8_S9_EEENSB_IJS8_SA_EEENS0_18inequality_wrapperIZN2at6native12_GLOBAL__N_124unique_dim_cuda_templateIhEESt5tupleIJNSF_6TensorESK_SK_EERKSK_lbbbEUlllE0_EEPmJS9_EEE10hipError_tPvRmT3_T4_T5_T6_T7_T9_mT8_P12ihipStream_tbDpT10_ENKUlT_T0_E_clISt17integral_constantIbLb1EES19_IbLb0EEEEDaS15_S16_EUlS15_E_NS1_11comp_targetILNS1_3genE3ELNS1_11target_archE908ELNS1_3gpuE7ELNS1_3repE0EEENS1_30default_config_static_selectorELNS0_4arch9wavefront6targetE1EEEvT1_.num_vgpr, 0
	.set _ZN7rocprim17ROCPRIM_400000_NS6detail17trampoline_kernelINS0_14default_configENS1_25partition_config_selectorILNS1_17partition_subalgoE9EllbEEZZNS1_14partition_implILS5_9ELb0ES3_jPlS8_PNS0_10empty_typeENS0_5tupleIJS8_S9_EEENSB_IJS8_SA_EEENS0_18inequality_wrapperIZN2at6native12_GLOBAL__N_124unique_dim_cuda_templateIhEESt5tupleIJNSF_6TensorESK_SK_EERKSK_lbbbEUlllE0_EEPmJS9_EEE10hipError_tPvRmT3_T4_T5_T6_T7_T9_mT8_P12ihipStream_tbDpT10_ENKUlT_T0_E_clISt17integral_constantIbLb1EES19_IbLb0EEEEDaS15_S16_EUlS15_E_NS1_11comp_targetILNS1_3genE3ELNS1_11target_archE908ELNS1_3gpuE7ELNS1_3repE0EEENS1_30default_config_static_selectorELNS0_4arch9wavefront6targetE1EEEvT1_.num_agpr, 0
	.set _ZN7rocprim17ROCPRIM_400000_NS6detail17trampoline_kernelINS0_14default_configENS1_25partition_config_selectorILNS1_17partition_subalgoE9EllbEEZZNS1_14partition_implILS5_9ELb0ES3_jPlS8_PNS0_10empty_typeENS0_5tupleIJS8_S9_EEENSB_IJS8_SA_EEENS0_18inequality_wrapperIZN2at6native12_GLOBAL__N_124unique_dim_cuda_templateIhEESt5tupleIJNSF_6TensorESK_SK_EERKSK_lbbbEUlllE0_EEPmJS9_EEE10hipError_tPvRmT3_T4_T5_T6_T7_T9_mT8_P12ihipStream_tbDpT10_ENKUlT_T0_E_clISt17integral_constantIbLb1EES19_IbLb0EEEEDaS15_S16_EUlS15_E_NS1_11comp_targetILNS1_3genE3ELNS1_11target_archE908ELNS1_3gpuE7ELNS1_3repE0EEENS1_30default_config_static_selectorELNS0_4arch9wavefront6targetE1EEEvT1_.numbered_sgpr, 0
	.set _ZN7rocprim17ROCPRIM_400000_NS6detail17trampoline_kernelINS0_14default_configENS1_25partition_config_selectorILNS1_17partition_subalgoE9EllbEEZZNS1_14partition_implILS5_9ELb0ES3_jPlS8_PNS0_10empty_typeENS0_5tupleIJS8_S9_EEENSB_IJS8_SA_EEENS0_18inequality_wrapperIZN2at6native12_GLOBAL__N_124unique_dim_cuda_templateIhEESt5tupleIJNSF_6TensorESK_SK_EERKSK_lbbbEUlllE0_EEPmJS9_EEE10hipError_tPvRmT3_T4_T5_T6_T7_T9_mT8_P12ihipStream_tbDpT10_ENKUlT_T0_E_clISt17integral_constantIbLb1EES19_IbLb0EEEEDaS15_S16_EUlS15_E_NS1_11comp_targetILNS1_3genE3ELNS1_11target_archE908ELNS1_3gpuE7ELNS1_3repE0EEENS1_30default_config_static_selectorELNS0_4arch9wavefront6targetE1EEEvT1_.num_named_barrier, 0
	.set _ZN7rocprim17ROCPRIM_400000_NS6detail17trampoline_kernelINS0_14default_configENS1_25partition_config_selectorILNS1_17partition_subalgoE9EllbEEZZNS1_14partition_implILS5_9ELb0ES3_jPlS8_PNS0_10empty_typeENS0_5tupleIJS8_S9_EEENSB_IJS8_SA_EEENS0_18inequality_wrapperIZN2at6native12_GLOBAL__N_124unique_dim_cuda_templateIhEESt5tupleIJNSF_6TensorESK_SK_EERKSK_lbbbEUlllE0_EEPmJS9_EEE10hipError_tPvRmT3_T4_T5_T6_T7_T9_mT8_P12ihipStream_tbDpT10_ENKUlT_T0_E_clISt17integral_constantIbLb1EES19_IbLb0EEEEDaS15_S16_EUlS15_E_NS1_11comp_targetILNS1_3genE3ELNS1_11target_archE908ELNS1_3gpuE7ELNS1_3repE0EEENS1_30default_config_static_selectorELNS0_4arch9wavefront6targetE1EEEvT1_.private_seg_size, 0
	.set _ZN7rocprim17ROCPRIM_400000_NS6detail17trampoline_kernelINS0_14default_configENS1_25partition_config_selectorILNS1_17partition_subalgoE9EllbEEZZNS1_14partition_implILS5_9ELb0ES3_jPlS8_PNS0_10empty_typeENS0_5tupleIJS8_S9_EEENSB_IJS8_SA_EEENS0_18inequality_wrapperIZN2at6native12_GLOBAL__N_124unique_dim_cuda_templateIhEESt5tupleIJNSF_6TensorESK_SK_EERKSK_lbbbEUlllE0_EEPmJS9_EEE10hipError_tPvRmT3_T4_T5_T6_T7_T9_mT8_P12ihipStream_tbDpT10_ENKUlT_T0_E_clISt17integral_constantIbLb1EES19_IbLb0EEEEDaS15_S16_EUlS15_E_NS1_11comp_targetILNS1_3genE3ELNS1_11target_archE908ELNS1_3gpuE7ELNS1_3repE0EEENS1_30default_config_static_selectorELNS0_4arch9wavefront6targetE1EEEvT1_.uses_vcc, 0
	.set _ZN7rocprim17ROCPRIM_400000_NS6detail17trampoline_kernelINS0_14default_configENS1_25partition_config_selectorILNS1_17partition_subalgoE9EllbEEZZNS1_14partition_implILS5_9ELb0ES3_jPlS8_PNS0_10empty_typeENS0_5tupleIJS8_S9_EEENSB_IJS8_SA_EEENS0_18inequality_wrapperIZN2at6native12_GLOBAL__N_124unique_dim_cuda_templateIhEESt5tupleIJNSF_6TensorESK_SK_EERKSK_lbbbEUlllE0_EEPmJS9_EEE10hipError_tPvRmT3_T4_T5_T6_T7_T9_mT8_P12ihipStream_tbDpT10_ENKUlT_T0_E_clISt17integral_constantIbLb1EES19_IbLb0EEEEDaS15_S16_EUlS15_E_NS1_11comp_targetILNS1_3genE3ELNS1_11target_archE908ELNS1_3gpuE7ELNS1_3repE0EEENS1_30default_config_static_selectorELNS0_4arch9wavefront6targetE1EEEvT1_.uses_flat_scratch, 0
	.set _ZN7rocprim17ROCPRIM_400000_NS6detail17trampoline_kernelINS0_14default_configENS1_25partition_config_selectorILNS1_17partition_subalgoE9EllbEEZZNS1_14partition_implILS5_9ELb0ES3_jPlS8_PNS0_10empty_typeENS0_5tupleIJS8_S9_EEENSB_IJS8_SA_EEENS0_18inequality_wrapperIZN2at6native12_GLOBAL__N_124unique_dim_cuda_templateIhEESt5tupleIJNSF_6TensorESK_SK_EERKSK_lbbbEUlllE0_EEPmJS9_EEE10hipError_tPvRmT3_T4_T5_T6_T7_T9_mT8_P12ihipStream_tbDpT10_ENKUlT_T0_E_clISt17integral_constantIbLb1EES19_IbLb0EEEEDaS15_S16_EUlS15_E_NS1_11comp_targetILNS1_3genE3ELNS1_11target_archE908ELNS1_3gpuE7ELNS1_3repE0EEENS1_30default_config_static_selectorELNS0_4arch9wavefront6targetE1EEEvT1_.has_dyn_sized_stack, 0
	.set _ZN7rocprim17ROCPRIM_400000_NS6detail17trampoline_kernelINS0_14default_configENS1_25partition_config_selectorILNS1_17partition_subalgoE9EllbEEZZNS1_14partition_implILS5_9ELb0ES3_jPlS8_PNS0_10empty_typeENS0_5tupleIJS8_S9_EEENSB_IJS8_SA_EEENS0_18inequality_wrapperIZN2at6native12_GLOBAL__N_124unique_dim_cuda_templateIhEESt5tupleIJNSF_6TensorESK_SK_EERKSK_lbbbEUlllE0_EEPmJS9_EEE10hipError_tPvRmT3_T4_T5_T6_T7_T9_mT8_P12ihipStream_tbDpT10_ENKUlT_T0_E_clISt17integral_constantIbLb1EES19_IbLb0EEEEDaS15_S16_EUlS15_E_NS1_11comp_targetILNS1_3genE3ELNS1_11target_archE908ELNS1_3gpuE7ELNS1_3repE0EEENS1_30default_config_static_selectorELNS0_4arch9wavefront6targetE1EEEvT1_.has_recursion, 0
	.set _ZN7rocprim17ROCPRIM_400000_NS6detail17trampoline_kernelINS0_14default_configENS1_25partition_config_selectorILNS1_17partition_subalgoE9EllbEEZZNS1_14partition_implILS5_9ELb0ES3_jPlS8_PNS0_10empty_typeENS0_5tupleIJS8_S9_EEENSB_IJS8_SA_EEENS0_18inequality_wrapperIZN2at6native12_GLOBAL__N_124unique_dim_cuda_templateIhEESt5tupleIJNSF_6TensorESK_SK_EERKSK_lbbbEUlllE0_EEPmJS9_EEE10hipError_tPvRmT3_T4_T5_T6_T7_T9_mT8_P12ihipStream_tbDpT10_ENKUlT_T0_E_clISt17integral_constantIbLb1EES19_IbLb0EEEEDaS15_S16_EUlS15_E_NS1_11comp_targetILNS1_3genE3ELNS1_11target_archE908ELNS1_3gpuE7ELNS1_3repE0EEENS1_30default_config_static_selectorELNS0_4arch9wavefront6targetE1EEEvT1_.has_indirect_call, 0
	.section	.AMDGPU.csdata,"",@progbits
; Kernel info:
; codeLenInByte = 0
; TotalNumSgprs: 6
; NumVgprs: 0
; NumAgprs: 0
; TotalNumVgprs: 0
; ScratchSize: 0
; MemoryBound: 0
; FloatMode: 240
; IeeeMode: 1
; LDSByteSize: 0 bytes/workgroup (compile time only)
; SGPRBlocks: 0
; VGPRBlocks: 0
; NumSGPRsForWavesPerEU: 6
; NumVGPRsForWavesPerEU: 1
; AccumOffset: 4
; Occupancy: 8
; WaveLimiterHint : 0
; COMPUTE_PGM_RSRC2:SCRATCH_EN: 0
; COMPUTE_PGM_RSRC2:USER_SGPR: 2
; COMPUTE_PGM_RSRC2:TRAP_HANDLER: 0
; COMPUTE_PGM_RSRC2:TGID_X_EN: 1
; COMPUTE_PGM_RSRC2:TGID_Y_EN: 0
; COMPUTE_PGM_RSRC2:TGID_Z_EN: 0
; COMPUTE_PGM_RSRC2:TIDIG_COMP_CNT: 0
; COMPUTE_PGM_RSRC3_GFX90A:ACCUM_OFFSET: 0
; COMPUTE_PGM_RSRC3_GFX90A:TG_SPLIT: 0
	.section	.text._ZN7rocprim17ROCPRIM_400000_NS6detail17trampoline_kernelINS0_14default_configENS1_25partition_config_selectorILNS1_17partition_subalgoE9EllbEEZZNS1_14partition_implILS5_9ELb0ES3_jPlS8_PNS0_10empty_typeENS0_5tupleIJS8_S9_EEENSB_IJS8_SA_EEENS0_18inequality_wrapperIZN2at6native12_GLOBAL__N_124unique_dim_cuda_templateIhEESt5tupleIJNSF_6TensorESK_SK_EERKSK_lbbbEUlllE0_EEPmJS9_EEE10hipError_tPvRmT3_T4_T5_T6_T7_T9_mT8_P12ihipStream_tbDpT10_ENKUlT_T0_E_clISt17integral_constantIbLb1EES19_IbLb0EEEEDaS15_S16_EUlS15_E_NS1_11comp_targetILNS1_3genE2ELNS1_11target_archE906ELNS1_3gpuE6ELNS1_3repE0EEENS1_30default_config_static_selectorELNS0_4arch9wavefront6targetE1EEEvT1_,"axG",@progbits,_ZN7rocprim17ROCPRIM_400000_NS6detail17trampoline_kernelINS0_14default_configENS1_25partition_config_selectorILNS1_17partition_subalgoE9EllbEEZZNS1_14partition_implILS5_9ELb0ES3_jPlS8_PNS0_10empty_typeENS0_5tupleIJS8_S9_EEENSB_IJS8_SA_EEENS0_18inequality_wrapperIZN2at6native12_GLOBAL__N_124unique_dim_cuda_templateIhEESt5tupleIJNSF_6TensorESK_SK_EERKSK_lbbbEUlllE0_EEPmJS9_EEE10hipError_tPvRmT3_T4_T5_T6_T7_T9_mT8_P12ihipStream_tbDpT10_ENKUlT_T0_E_clISt17integral_constantIbLb1EES19_IbLb0EEEEDaS15_S16_EUlS15_E_NS1_11comp_targetILNS1_3genE2ELNS1_11target_archE906ELNS1_3gpuE6ELNS1_3repE0EEENS1_30default_config_static_selectorELNS0_4arch9wavefront6targetE1EEEvT1_,comdat
	.globl	_ZN7rocprim17ROCPRIM_400000_NS6detail17trampoline_kernelINS0_14default_configENS1_25partition_config_selectorILNS1_17partition_subalgoE9EllbEEZZNS1_14partition_implILS5_9ELb0ES3_jPlS8_PNS0_10empty_typeENS0_5tupleIJS8_S9_EEENSB_IJS8_SA_EEENS0_18inequality_wrapperIZN2at6native12_GLOBAL__N_124unique_dim_cuda_templateIhEESt5tupleIJNSF_6TensorESK_SK_EERKSK_lbbbEUlllE0_EEPmJS9_EEE10hipError_tPvRmT3_T4_T5_T6_T7_T9_mT8_P12ihipStream_tbDpT10_ENKUlT_T0_E_clISt17integral_constantIbLb1EES19_IbLb0EEEEDaS15_S16_EUlS15_E_NS1_11comp_targetILNS1_3genE2ELNS1_11target_archE906ELNS1_3gpuE6ELNS1_3repE0EEENS1_30default_config_static_selectorELNS0_4arch9wavefront6targetE1EEEvT1_ ; -- Begin function _ZN7rocprim17ROCPRIM_400000_NS6detail17trampoline_kernelINS0_14default_configENS1_25partition_config_selectorILNS1_17partition_subalgoE9EllbEEZZNS1_14partition_implILS5_9ELb0ES3_jPlS8_PNS0_10empty_typeENS0_5tupleIJS8_S9_EEENSB_IJS8_SA_EEENS0_18inequality_wrapperIZN2at6native12_GLOBAL__N_124unique_dim_cuda_templateIhEESt5tupleIJNSF_6TensorESK_SK_EERKSK_lbbbEUlllE0_EEPmJS9_EEE10hipError_tPvRmT3_T4_T5_T6_T7_T9_mT8_P12ihipStream_tbDpT10_ENKUlT_T0_E_clISt17integral_constantIbLb1EES19_IbLb0EEEEDaS15_S16_EUlS15_E_NS1_11comp_targetILNS1_3genE2ELNS1_11target_archE906ELNS1_3gpuE6ELNS1_3repE0EEENS1_30default_config_static_selectorELNS0_4arch9wavefront6targetE1EEEvT1_
	.p2align	8
	.type	_ZN7rocprim17ROCPRIM_400000_NS6detail17trampoline_kernelINS0_14default_configENS1_25partition_config_selectorILNS1_17partition_subalgoE9EllbEEZZNS1_14partition_implILS5_9ELb0ES3_jPlS8_PNS0_10empty_typeENS0_5tupleIJS8_S9_EEENSB_IJS8_SA_EEENS0_18inequality_wrapperIZN2at6native12_GLOBAL__N_124unique_dim_cuda_templateIhEESt5tupleIJNSF_6TensorESK_SK_EERKSK_lbbbEUlllE0_EEPmJS9_EEE10hipError_tPvRmT3_T4_T5_T6_T7_T9_mT8_P12ihipStream_tbDpT10_ENKUlT_T0_E_clISt17integral_constantIbLb1EES19_IbLb0EEEEDaS15_S16_EUlS15_E_NS1_11comp_targetILNS1_3genE2ELNS1_11target_archE906ELNS1_3gpuE6ELNS1_3repE0EEENS1_30default_config_static_selectorELNS0_4arch9wavefront6targetE1EEEvT1_,@function
_ZN7rocprim17ROCPRIM_400000_NS6detail17trampoline_kernelINS0_14default_configENS1_25partition_config_selectorILNS1_17partition_subalgoE9EllbEEZZNS1_14partition_implILS5_9ELb0ES3_jPlS8_PNS0_10empty_typeENS0_5tupleIJS8_S9_EEENSB_IJS8_SA_EEENS0_18inequality_wrapperIZN2at6native12_GLOBAL__N_124unique_dim_cuda_templateIhEESt5tupleIJNSF_6TensorESK_SK_EERKSK_lbbbEUlllE0_EEPmJS9_EEE10hipError_tPvRmT3_T4_T5_T6_T7_T9_mT8_P12ihipStream_tbDpT10_ENKUlT_T0_E_clISt17integral_constantIbLb1EES19_IbLb0EEEEDaS15_S16_EUlS15_E_NS1_11comp_targetILNS1_3genE2ELNS1_11target_archE906ELNS1_3gpuE6ELNS1_3repE0EEENS1_30default_config_static_selectorELNS0_4arch9wavefront6targetE1EEEvT1_: ; @_ZN7rocprim17ROCPRIM_400000_NS6detail17trampoline_kernelINS0_14default_configENS1_25partition_config_selectorILNS1_17partition_subalgoE9EllbEEZZNS1_14partition_implILS5_9ELb0ES3_jPlS8_PNS0_10empty_typeENS0_5tupleIJS8_S9_EEENSB_IJS8_SA_EEENS0_18inequality_wrapperIZN2at6native12_GLOBAL__N_124unique_dim_cuda_templateIhEESt5tupleIJNSF_6TensorESK_SK_EERKSK_lbbbEUlllE0_EEPmJS9_EEE10hipError_tPvRmT3_T4_T5_T6_T7_T9_mT8_P12ihipStream_tbDpT10_ENKUlT_T0_E_clISt17integral_constantIbLb1EES19_IbLb0EEEEDaS15_S16_EUlS15_E_NS1_11comp_targetILNS1_3genE2ELNS1_11target_archE906ELNS1_3gpuE6ELNS1_3repE0EEENS1_30default_config_static_selectorELNS0_4arch9wavefront6targetE1EEEvT1_
; %bb.0:
	.section	.rodata,"a",@progbits
	.p2align	6, 0x0
	.amdhsa_kernel _ZN7rocprim17ROCPRIM_400000_NS6detail17trampoline_kernelINS0_14default_configENS1_25partition_config_selectorILNS1_17partition_subalgoE9EllbEEZZNS1_14partition_implILS5_9ELb0ES3_jPlS8_PNS0_10empty_typeENS0_5tupleIJS8_S9_EEENSB_IJS8_SA_EEENS0_18inequality_wrapperIZN2at6native12_GLOBAL__N_124unique_dim_cuda_templateIhEESt5tupleIJNSF_6TensorESK_SK_EERKSK_lbbbEUlllE0_EEPmJS9_EEE10hipError_tPvRmT3_T4_T5_T6_T7_T9_mT8_P12ihipStream_tbDpT10_ENKUlT_T0_E_clISt17integral_constantIbLb1EES19_IbLb0EEEEDaS15_S16_EUlS15_E_NS1_11comp_targetILNS1_3genE2ELNS1_11target_archE906ELNS1_3gpuE6ELNS1_3repE0EEENS1_30default_config_static_selectorELNS0_4arch9wavefront6targetE1EEEvT1_
		.amdhsa_group_segment_fixed_size 0
		.amdhsa_private_segment_fixed_size 0
		.amdhsa_kernarg_size 120
		.amdhsa_user_sgpr_count 2
		.amdhsa_user_sgpr_dispatch_ptr 0
		.amdhsa_user_sgpr_queue_ptr 0
		.amdhsa_user_sgpr_kernarg_segment_ptr 1
		.amdhsa_user_sgpr_dispatch_id 0
		.amdhsa_user_sgpr_kernarg_preload_length 0
		.amdhsa_user_sgpr_kernarg_preload_offset 0
		.amdhsa_user_sgpr_private_segment_size 0
		.amdhsa_uses_dynamic_stack 0
		.amdhsa_enable_private_segment 0
		.amdhsa_system_sgpr_workgroup_id_x 1
		.amdhsa_system_sgpr_workgroup_id_y 0
		.amdhsa_system_sgpr_workgroup_id_z 0
		.amdhsa_system_sgpr_workgroup_info 0
		.amdhsa_system_vgpr_workitem_id 0
		.amdhsa_next_free_vgpr 1
		.amdhsa_next_free_sgpr 0
		.amdhsa_accum_offset 4
		.amdhsa_reserve_vcc 0
		.amdhsa_float_round_mode_32 0
		.amdhsa_float_round_mode_16_64 0
		.amdhsa_float_denorm_mode_32 3
		.amdhsa_float_denorm_mode_16_64 3
		.amdhsa_dx10_clamp 1
		.amdhsa_ieee_mode 1
		.amdhsa_fp16_overflow 0
		.amdhsa_tg_split 0
		.amdhsa_exception_fp_ieee_invalid_op 0
		.amdhsa_exception_fp_denorm_src 0
		.amdhsa_exception_fp_ieee_div_zero 0
		.amdhsa_exception_fp_ieee_overflow 0
		.amdhsa_exception_fp_ieee_underflow 0
		.amdhsa_exception_fp_ieee_inexact 0
		.amdhsa_exception_int_div_zero 0
	.end_amdhsa_kernel
	.section	.text._ZN7rocprim17ROCPRIM_400000_NS6detail17trampoline_kernelINS0_14default_configENS1_25partition_config_selectorILNS1_17partition_subalgoE9EllbEEZZNS1_14partition_implILS5_9ELb0ES3_jPlS8_PNS0_10empty_typeENS0_5tupleIJS8_S9_EEENSB_IJS8_SA_EEENS0_18inequality_wrapperIZN2at6native12_GLOBAL__N_124unique_dim_cuda_templateIhEESt5tupleIJNSF_6TensorESK_SK_EERKSK_lbbbEUlllE0_EEPmJS9_EEE10hipError_tPvRmT3_T4_T5_T6_T7_T9_mT8_P12ihipStream_tbDpT10_ENKUlT_T0_E_clISt17integral_constantIbLb1EES19_IbLb0EEEEDaS15_S16_EUlS15_E_NS1_11comp_targetILNS1_3genE2ELNS1_11target_archE906ELNS1_3gpuE6ELNS1_3repE0EEENS1_30default_config_static_selectorELNS0_4arch9wavefront6targetE1EEEvT1_,"axG",@progbits,_ZN7rocprim17ROCPRIM_400000_NS6detail17trampoline_kernelINS0_14default_configENS1_25partition_config_selectorILNS1_17partition_subalgoE9EllbEEZZNS1_14partition_implILS5_9ELb0ES3_jPlS8_PNS0_10empty_typeENS0_5tupleIJS8_S9_EEENSB_IJS8_SA_EEENS0_18inequality_wrapperIZN2at6native12_GLOBAL__N_124unique_dim_cuda_templateIhEESt5tupleIJNSF_6TensorESK_SK_EERKSK_lbbbEUlllE0_EEPmJS9_EEE10hipError_tPvRmT3_T4_T5_T6_T7_T9_mT8_P12ihipStream_tbDpT10_ENKUlT_T0_E_clISt17integral_constantIbLb1EES19_IbLb0EEEEDaS15_S16_EUlS15_E_NS1_11comp_targetILNS1_3genE2ELNS1_11target_archE906ELNS1_3gpuE6ELNS1_3repE0EEENS1_30default_config_static_selectorELNS0_4arch9wavefront6targetE1EEEvT1_,comdat
.Lfunc_end224:
	.size	_ZN7rocprim17ROCPRIM_400000_NS6detail17trampoline_kernelINS0_14default_configENS1_25partition_config_selectorILNS1_17partition_subalgoE9EllbEEZZNS1_14partition_implILS5_9ELb0ES3_jPlS8_PNS0_10empty_typeENS0_5tupleIJS8_S9_EEENSB_IJS8_SA_EEENS0_18inequality_wrapperIZN2at6native12_GLOBAL__N_124unique_dim_cuda_templateIhEESt5tupleIJNSF_6TensorESK_SK_EERKSK_lbbbEUlllE0_EEPmJS9_EEE10hipError_tPvRmT3_T4_T5_T6_T7_T9_mT8_P12ihipStream_tbDpT10_ENKUlT_T0_E_clISt17integral_constantIbLb1EES19_IbLb0EEEEDaS15_S16_EUlS15_E_NS1_11comp_targetILNS1_3genE2ELNS1_11target_archE906ELNS1_3gpuE6ELNS1_3repE0EEENS1_30default_config_static_selectorELNS0_4arch9wavefront6targetE1EEEvT1_, .Lfunc_end224-_ZN7rocprim17ROCPRIM_400000_NS6detail17trampoline_kernelINS0_14default_configENS1_25partition_config_selectorILNS1_17partition_subalgoE9EllbEEZZNS1_14partition_implILS5_9ELb0ES3_jPlS8_PNS0_10empty_typeENS0_5tupleIJS8_S9_EEENSB_IJS8_SA_EEENS0_18inequality_wrapperIZN2at6native12_GLOBAL__N_124unique_dim_cuda_templateIhEESt5tupleIJNSF_6TensorESK_SK_EERKSK_lbbbEUlllE0_EEPmJS9_EEE10hipError_tPvRmT3_T4_T5_T6_T7_T9_mT8_P12ihipStream_tbDpT10_ENKUlT_T0_E_clISt17integral_constantIbLb1EES19_IbLb0EEEEDaS15_S16_EUlS15_E_NS1_11comp_targetILNS1_3genE2ELNS1_11target_archE906ELNS1_3gpuE6ELNS1_3repE0EEENS1_30default_config_static_selectorELNS0_4arch9wavefront6targetE1EEEvT1_
                                        ; -- End function
	.set _ZN7rocprim17ROCPRIM_400000_NS6detail17trampoline_kernelINS0_14default_configENS1_25partition_config_selectorILNS1_17partition_subalgoE9EllbEEZZNS1_14partition_implILS5_9ELb0ES3_jPlS8_PNS0_10empty_typeENS0_5tupleIJS8_S9_EEENSB_IJS8_SA_EEENS0_18inequality_wrapperIZN2at6native12_GLOBAL__N_124unique_dim_cuda_templateIhEESt5tupleIJNSF_6TensorESK_SK_EERKSK_lbbbEUlllE0_EEPmJS9_EEE10hipError_tPvRmT3_T4_T5_T6_T7_T9_mT8_P12ihipStream_tbDpT10_ENKUlT_T0_E_clISt17integral_constantIbLb1EES19_IbLb0EEEEDaS15_S16_EUlS15_E_NS1_11comp_targetILNS1_3genE2ELNS1_11target_archE906ELNS1_3gpuE6ELNS1_3repE0EEENS1_30default_config_static_selectorELNS0_4arch9wavefront6targetE1EEEvT1_.num_vgpr, 0
	.set _ZN7rocprim17ROCPRIM_400000_NS6detail17trampoline_kernelINS0_14default_configENS1_25partition_config_selectorILNS1_17partition_subalgoE9EllbEEZZNS1_14partition_implILS5_9ELb0ES3_jPlS8_PNS0_10empty_typeENS0_5tupleIJS8_S9_EEENSB_IJS8_SA_EEENS0_18inequality_wrapperIZN2at6native12_GLOBAL__N_124unique_dim_cuda_templateIhEESt5tupleIJNSF_6TensorESK_SK_EERKSK_lbbbEUlllE0_EEPmJS9_EEE10hipError_tPvRmT3_T4_T5_T6_T7_T9_mT8_P12ihipStream_tbDpT10_ENKUlT_T0_E_clISt17integral_constantIbLb1EES19_IbLb0EEEEDaS15_S16_EUlS15_E_NS1_11comp_targetILNS1_3genE2ELNS1_11target_archE906ELNS1_3gpuE6ELNS1_3repE0EEENS1_30default_config_static_selectorELNS0_4arch9wavefront6targetE1EEEvT1_.num_agpr, 0
	.set _ZN7rocprim17ROCPRIM_400000_NS6detail17trampoline_kernelINS0_14default_configENS1_25partition_config_selectorILNS1_17partition_subalgoE9EllbEEZZNS1_14partition_implILS5_9ELb0ES3_jPlS8_PNS0_10empty_typeENS0_5tupleIJS8_S9_EEENSB_IJS8_SA_EEENS0_18inequality_wrapperIZN2at6native12_GLOBAL__N_124unique_dim_cuda_templateIhEESt5tupleIJNSF_6TensorESK_SK_EERKSK_lbbbEUlllE0_EEPmJS9_EEE10hipError_tPvRmT3_T4_T5_T6_T7_T9_mT8_P12ihipStream_tbDpT10_ENKUlT_T0_E_clISt17integral_constantIbLb1EES19_IbLb0EEEEDaS15_S16_EUlS15_E_NS1_11comp_targetILNS1_3genE2ELNS1_11target_archE906ELNS1_3gpuE6ELNS1_3repE0EEENS1_30default_config_static_selectorELNS0_4arch9wavefront6targetE1EEEvT1_.numbered_sgpr, 0
	.set _ZN7rocprim17ROCPRIM_400000_NS6detail17trampoline_kernelINS0_14default_configENS1_25partition_config_selectorILNS1_17partition_subalgoE9EllbEEZZNS1_14partition_implILS5_9ELb0ES3_jPlS8_PNS0_10empty_typeENS0_5tupleIJS8_S9_EEENSB_IJS8_SA_EEENS0_18inequality_wrapperIZN2at6native12_GLOBAL__N_124unique_dim_cuda_templateIhEESt5tupleIJNSF_6TensorESK_SK_EERKSK_lbbbEUlllE0_EEPmJS9_EEE10hipError_tPvRmT3_T4_T5_T6_T7_T9_mT8_P12ihipStream_tbDpT10_ENKUlT_T0_E_clISt17integral_constantIbLb1EES19_IbLb0EEEEDaS15_S16_EUlS15_E_NS1_11comp_targetILNS1_3genE2ELNS1_11target_archE906ELNS1_3gpuE6ELNS1_3repE0EEENS1_30default_config_static_selectorELNS0_4arch9wavefront6targetE1EEEvT1_.num_named_barrier, 0
	.set _ZN7rocprim17ROCPRIM_400000_NS6detail17trampoline_kernelINS0_14default_configENS1_25partition_config_selectorILNS1_17partition_subalgoE9EllbEEZZNS1_14partition_implILS5_9ELb0ES3_jPlS8_PNS0_10empty_typeENS0_5tupleIJS8_S9_EEENSB_IJS8_SA_EEENS0_18inequality_wrapperIZN2at6native12_GLOBAL__N_124unique_dim_cuda_templateIhEESt5tupleIJNSF_6TensorESK_SK_EERKSK_lbbbEUlllE0_EEPmJS9_EEE10hipError_tPvRmT3_T4_T5_T6_T7_T9_mT8_P12ihipStream_tbDpT10_ENKUlT_T0_E_clISt17integral_constantIbLb1EES19_IbLb0EEEEDaS15_S16_EUlS15_E_NS1_11comp_targetILNS1_3genE2ELNS1_11target_archE906ELNS1_3gpuE6ELNS1_3repE0EEENS1_30default_config_static_selectorELNS0_4arch9wavefront6targetE1EEEvT1_.private_seg_size, 0
	.set _ZN7rocprim17ROCPRIM_400000_NS6detail17trampoline_kernelINS0_14default_configENS1_25partition_config_selectorILNS1_17partition_subalgoE9EllbEEZZNS1_14partition_implILS5_9ELb0ES3_jPlS8_PNS0_10empty_typeENS0_5tupleIJS8_S9_EEENSB_IJS8_SA_EEENS0_18inequality_wrapperIZN2at6native12_GLOBAL__N_124unique_dim_cuda_templateIhEESt5tupleIJNSF_6TensorESK_SK_EERKSK_lbbbEUlllE0_EEPmJS9_EEE10hipError_tPvRmT3_T4_T5_T6_T7_T9_mT8_P12ihipStream_tbDpT10_ENKUlT_T0_E_clISt17integral_constantIbLb1EES19_IbLb0EEEEDaS15_S16_EUlS15_E_NS1_11comp_targetILNS1_3genE2ELNS1_11target_archE906ELNS1_3gpuE6ELNS1_3repE0EEENS1_30default_config_static_selectorELNS0_4arch9wavefront6targetE1EEEvT1_.uses_vcc, 0
	.set _ZN7rocprim17ROCPRIM_400000_NS6detail17trampoline_kernelINS0_14default_configENS1_25partition_config_selectorILNS1_17partition_subalgoE9EllbEEZZNS1_14partition_implILS5_9ELb0ES3_jPlS8_PNS0_10empty_typeENS0_5tupleIJS8_S9_EEENSB_IJS8_SA_EEENS0_18inequality_wrapperIZN2at6native12_GLOBAL__N_124unique_dim_cuda_templateIhEESt5tupleIJNSF_6TensorESK_SK_EERKSK_lbbbEUlllE0_EEPmJS9_EEE10hipError_tPvRmT3_T4_T5_T6_T7_T9_mT8_P12ihipStream_tbDpT10_ENKUlT_T0_E_clISt17integral_constantIbLb1EES19_IbLb0EEEEDaS15_S16_EUlS15_E_NS1_11comp_targetILNS1_3genE2ELNS1_11target_archE906ELNS1_3gpuE6ELNS1_3repE0EEENS1_30default_config_static_selectorELNS0_4arch9wavefront6targetE1EEEvT1_.uses_flat_scratch, 0
	.set _ZN7rocprim17ROCPRIM_400000_NS6detail17trampoline_kernelINS0_14default_configENS1_25partition_config_selectorILNS1_17partition_subalgoE9EllbEEZZNS1_14partition_implILS5_9ELb0ES3_jPlS8_PNS0_10empty_typeENS0_5tupleIJS8_S9_EEENSB_IJS8_SA_EEENS0_18inequality_wrapperIZN2at6native12_GLOBAL__N_124unique_dim_cuda_templateIhEESt5tupleIJNSF_6TensorESK_SK_EERKSK_lbbbEUlllE0_EEPmJS9_EEE10hipError_tPvRmT3_T4_T5_T6_T7_T9_mT8_P12ihipStream_tbDpT10_ENKUlT_T0_E_clISt17integral_constantIbLb1EES19_IbLb0EEEEDaS15_S16_EUlS15_E_NS1_11comp_targetILNS1_3genE2ELNS1_11target_archE906ELNS1_3gpuE6ELNS1_3repE0EEENS1_30default_config_static_selectorELNS0_4arch9wavefront6targetE1EEEvT1_.has_dyn_sized_stack, 0
	.set _ZN7rocprim17ROCPRIM_400000_NS6detail17trampoline_kernelINS0_14default_configENS1_25partition_config_selectorILNS1_17partition_subalgoE9EllbEEZZNS1_14partition_implILS5_9ELb0ES3_jPlS8_PNS0_10empty_typeENS0_5tupleIJS8_S9_EEENSB_IJS8_SA_EEENS0_18inequality_wrapperIZN2at6native12_GLOBAL__N_124unique_dim_cuda_templateIhEESt5tupleIJNSF_6TensorESK_SK_EERKSK_lbbbEUlllE0_EEPmJS9_EEE10hipError_tPvRmT3_T4_T5_T6_T7_T9_mT8_P12ihipStream_tbDpT10_ENKUlT_T0_E_clISt17integral_constantIbLb1EES19_IbLb0EEEEDaS15_S16_EUlS15_E_NS1_11comp_targetILNS1_3genE2ELNS1_11target_archE906ELNS1_3gpuE6ELNS1_3repE0EEENS1_30default_config_static_selectorELNS0_4arch9wavefront6targetE1EEEvT1_.has_recursion, 0
	.set _ZN7rocprim17ROCPRIM_400000_NS6detail17trampoline_kernelINS0_14default_configENS1_25partition_config_selectorILNS1_17partition_subalgoE9EllbEEZZNS1_14partition_implILS5_9ELb0ES3_jPlS8_PNS0_10empty_typeENS0_5tupleIJS8_S9_EEENSB_IJS8_SA_EEENS0_18inequality_wrapperIZN2at6native12_GLOBAL__N_124unique_dim_cuda_templateIhEESt5tupleIJNSF_6TensorESK_SK_EERKSK_lbbbEUlllE0_EEPmJS9_EEE10hipError_tPvRmT3_T4_T5_T6_T7_T9_mT8_P12ihipStream_tbDpT10_ENKUlT_T0_E_clISt17integral_constantIbLb1EES19_IbLb0EEEEDaS15_S16_EUlS15_E_NS1_11comp_targetILNS1_3genE2ELNS1_11target_archE906ELNS1_3gpuE6ELNS1_3repE0EEENS1_30default_config_static_selectorELNS0_4arch9wavefront6targetE1EEEvT1_.has_indirect_call, 0
	.section	.AMDGPU.csdata,"",@progbits
; Kernel info:
; codeLenInByte = 0
; TotalNumSgprs: 6
; NumVgprs: 0
; NumAgprs: 0
; TotalNumVgprs: 0
; ScratchSize: 0
; MemoryBound: 0
; FloatMode: 240
; IeeeMode: 1
; LDSByteSize: 0 bytes/workgroup (compile time only)
; SGPRBlocks: 0
; VGPRBlocks: 0
; NumSGPRsForWavesPerEU: 6
; NumVGPRsForWavesPerEU: 1
; AccumOffset: 4
; Occupancy: 8
; WaveLimiterHint : 0
; COMPUTE_PGM_RSRC2:SCRATCH_EN: 0
; COMPUTE_PGM_RSRC2:USER_SGPR: 2
; COMPUTE_PGM_RSRC2:TRAP_HANDLER: 0
; COMPUTE_PGM_RSRC2:TGID_X_EN: 1
; COMPUTE_PGM_RSRC2:TGID_Y_EN: 0
; COMPUTE_PGM_RSRC2:TGID_Z_EN: 0
; COMPUTE_PGM_RSRC2:TIDIG_COMP_CNT: 0
; COMPUTE_PGM_RSRC3_GFX90A:ACCUM_OFFSET: 0
; COMPUTE_PGM_RSRC3_GFX90A:TG_SPLIT: 0
	.section	.text._ZN7rocprim17ROCPRIM_400000_NS6detail17trampoline_kernelINS0_14default_configENS1_25partition_config_selectorILNS1_17partition_subalgoE9EllbEEZZNS1_14partition_implILS5_9ELb0ES3_jPlS8_PNS0_10empty_typeENS0_5tupleIJS8_S9_EEENSB_IJS8_SA_EEENS0_18inequality_wrapperIZN2at6native12_GLOBAL__N_124unique_dim_cuda_templateIhEESt5tupleIJNSF_6TensorESK_SK_EERKSK_lbbbEUlllE0_EEPmJS9_EEE10hipError_tPvRmT3_T4_T5_T6_T7_T9_mT8_P12ihipStream_tbDpT10_ENKUlT_T0_E_clISt17integral_constantIbLb1EES19_IbLb0EEEEDaS15_S16_EUlS15_E_NS1_11comp_targetILNS1_3genE10ELNS1_11target_archE1200ELNS1_3gpuE4ELNS1_3repE0EEENS1_30default_config_static_selectorELNS0_4arch9wavefront6targetE1EEEvT1_,"axG",@progbits,_ZN7rocprim17ROCPRIM_400000_NS6detail17trampoline_kernelINS0_14default_configENS1_25partition_config_selectorILNS1_17partition_subalgoE9EllbEEZZNS1_14partition_implILS5_9ELb0ES3_jPlS8_PNS0_10empty_typeENS0_5tupleIJS8_S9_EEENSB_IJS8_SA_EEENS0_18inequality_wrapperIZN2at6native12_GLOBAL__N_124unique_dim_cuda_templateIhEESt5tupleIJNSF_6TensorESK_SK_EERKSK_lbbbEUlllE0_EEPmJS9_EEE10hipError_tPvRmT3_T4_T5_T6_T7_T9_mT8_P12ihipStream_tbDpT10_ENKUlT_T0_E_clISt17integral_constantIbLb1EES19_IbLb0EEEEDaS15_S16_EUlS15_E_NS1_11comp_targetILNS1_3genE10ELNS1_11target_archE1200ELNS1_3gpuE4ELNS1_3repE0EEENS1_30default_config_static_selectorELNS0_4arch9wavefront6targetE1EEEvT1_,comdat
	.globl	_ZN7rocprim17ROCPRIM_400000_NS6detail17trampoline_kernelINS0_14default_configENS1_25partition_config_selectorILNS1_17partition_subalgoE9EllbEEZZNS1_14partition_implILS5_9ELb0ES3_jPlS8_PNS0_10empty_typeENS0_5tupleIJS8_S9_EEENSB_IJS8_SA_EEENS0_18inequality_wrapperIZN2at6native12_GLOBAL__N_124unique_dim_cuda_templateIhEESt5tupleIJNSF_6TensorESK_SK_EERKSK_lbbbEUlllE0_EEPmJS9_EEE10hipError_tPvRmT3_T4_T5_T6_T7_T9_mT8_P12ihipStream_tbDpT10_ENKUlT_T0_E_clISt17integral_constantIbLb1EES19_IbLb0EEEEDaS15_S16_EUlS15_E_NS1_11comp_targetILNS1_3genE10ELNS1_11target_archE1200ELNS1_3gpuE4ELNS1_3repE0EEENS1_30default_config_static_selectorELNS0_4arch9wavefront6targetE1EEEvT1_ ; -- Begin function _ZN7rocprim17ROCPRIM_400000_NS6detail17trampoline_kernelINS0_14default_configENS1_25partition_config_selectorILNS1_17partition_subalgoE9EllbEEZZNS1_14partition_implILS5_9ELb0ES3_jPlS8_PNS0_10empty_typeENS0_5tupleIJS8_S9_EEENSB_IJS8_SA_EEENS0_18inequality_wrapperIZN2at6native12_GLOBAL__N_124unique_dim_cuda_templateIhEESt5tupleIJNSF_6TensorESK_SK_EERKSK_lbbbEUlllE0_EEPmJS9_EEE10hipError_tPvRmT3_T4_T5_T6_T7_T9_mT8_P12ihipStream_tbDpT10_ENKUlT_T0_E_clISt17integral_constantIbLb1EES19_IbLb0EEEEDaS15_S16_EUlS15_E_NS1_11comp_targetILNS1_3genE10ELNS1_11target_archE1200ELNS1_3gpuE4ELNS1_3repE0EEENS1_30default_config_static_selectorELNS0_4arch9wavefront6targetE1EEEvT1_
	.p2align	8
	.type	_ZN7rocprim17ROCPRIM_400000_NS6detail17trampoline_kernelINS0_14default_configENS1_25partition_config_selectorILNS1_17partition_subalgoE9EllbEEZZNS1_14partition_implILS5_9ELb0ES3_jPlS8_PNS0_10empty_typeENS0_5tupleIJS8_S9_EEENSB_IJS8_SA_EEENS0_18inequality_wrapperIZN2at6native12_GLOBAL__N_124unique_dim_cuda_templateIhEESt5tupleIJNSF_6TensorESK_SK_EERKSK_lbbbEUlllE0_EEPmJS9_EEE10hipError_tPvRmT3_T4_T5_T6_T7_T9_mT8_P12ihipStream_tbDpT10_ENKUlT_T0_E_clISt17integral_constantIbLb1EES19_IbLb0EEEEDaS15_S16_EUlS15_E_NS1_11comp_targetILNS1_3genE10ELNS1_11target_archE1200ELNS1_3gpuE4ELNS1_3repE0EEENS1_30default_config_static_selectorELNS0_4arch9wavefront6targetE1EEEvT1_,@function
_ZN7rocprim17ROCPRIM_400000_NS6detail17trampoline_kernelINS0_14default_configENS1_25partition_config_selectorILNS1_17partition_subalgoE9EllbEEZZNS1_14partition_implILS5_9ELb0ES3_jPlS8_PNS0_10empty_typeENS0_5tupleIJS8_S9_EEENSB_IJS8_SA_EEENS0_18inequality_wrapperIZN2at6native12_GLOBAL__N_124unique_dim_cuda_templateIhEESt5tupleIJNSF_6TensorESK_SK_EERKSK_lbbbEUlllE0_EEPmJS9_EEE10hipError_tPvRmT3_T4_T5_T6_T7_T9_mT8_P12ihipStream_tbDpT10_ENKUlT_T0_E_clISt17integral_constantIbLb1EES19_IbLb0EEEEDaS15_S16_EUlS15_E_NS1_11comp_targetILNS1_3genE10ELNS1_11target_archE1200ELNS1_3gpuE4ELNS1_3repE0EEENS1_30default_config_static_selectorELNS0_4arch9wavefront6targetE1EEEvT1_: ; @_ZN7rocprim17ROCPRIM_400000_NS6detail17trampoline_kernelINS0_14default_configENS1_25partition_config_selectorILNS1_17partition_subalgoE9EllbEEZZNS1_14partition_implILS5_9ELb0ES3_jPlS8_PNS0_10empty_typeENS0_5tupleIJS8_S9_EEENSB_IJS8_SA_EEENS0_18inequality_wrapperIZN2at6native12_GLOBAL__N_124unique_dim_cuda_templateIhEESt5tupleIJNSF_6TensorESK_SK_EERKSK_lbbbEUlllE0_EEPmJS9_EEE10hipError_tPvRmT3_T4_T5_T6_T7_T9_mT8_P12ihipStream_tbDpT10_ENKUlT_T0_E_clISt17integral_constantIbLb1EES19_IbLb0EEEEDaS15_S16_EUlS15_E_NS1_11comp_targetILNS1_3genE10ELNS1_11target_archE1200ELNS1_3gpuE4ELNS1_3repE0EEENS1_30default_config_static_selectorELNS0_4arch9wavefront6targetE1EEEvT1_
; %bb.0:
	.section	.rodata,"a",@progbits
	.p2align	6, 0x0
	.amdhsa_kernel _ZN7rocprim17ROCPRIM_400000_NS6detail17trampoline_kernelINS0_14default_configENS1_25partition_config_selectorILNS1_17partition_subalgoE9EllbEEZZNS1_14partition_implILS5_9ELb0ES3_jPlS8_PNS0_10empty_typeENS0_5tupleIJS8_S9_EEENSB_IJS8_SA_EEENS0_18inequality_wrapperIZN2at6native12_GLOBAL__N_124unique_dim_cuda_templateIhEESt5tupleIJNSF_6TensorESK_SK_EERKSK_lbbbEUlllE0_EEPmJS9_EEE10hipError_tPvRmT3_T4_T5_T6_T7_T9_mT8_P12ihipStream_tbDpT10_ENKUlT_T0_E_clISt17integral_constantIbLb1EES19_IbLb0EEEEDaS15_S16_EUlS15_E_NS1_11comp_targetILNS1_3genE10ELNS1_11target_archE1200ELNS1_3gpuE4ELNS1_3repE0EEENS1_30default_config_static_selectorELNS0_4arch9wavefront6targetE1EEEvT1_
		.amdhsa_group_segment_fixed_size 0
		.amdhsa_private_segment_fixed_size 0
		.amdhsa_kernarg_size 120
		.amdhsa_user_sgpr_count 2
		.amdhsa_user_sgpr_dispatch_ptr 0
		.amdhsa_user_sgpr_queue_ptr 0
		.amdhsa_user_sgpr_kernarg_segment_ptr 1
		.amdhsa_user_sgpr_dispatch_id 0
		.amdhsa_user_sgpr_kernarg_preload_length 0
		.amdhsa_user_sgpr_kernarg_preload_offset 0
		.amdhsa_user_sgpr_private_segment_size 0
		.amdhsa_uses_dynamic_stack 0
		.amdhsa_enable_private_segment 0
		.amdhsa_system_sgpr_workgroup_id_x 1
		.amdhsa_system_sgpr_workgroup_id_y 0
		.amdhsa_system_sgpr_workgroup_id_z 0
		.amdhsa_system_sgpr_workgroup_info 0
		.amdhsa_system_vgpr_workitem_id 0
		.amdhsa_next_free_vgpr 1
		.amdhsa_next_free_sgpr 0
		.amdhsa_accum_offset 4
		.amdhsa_reserve_vcc 0
		.amdhsa_float_round_mode_32 0
		.amdhsa_float_round_mode_16_64 0
		.amdhsa_float_denorm_mode_32 3
		.amdhsa_float_denorm_mode_16_64 3
		.amdhsa_dx10_clamp 1
		.amdhsa_ieee_mode 1
		.amdhsa_fp16_overflow 0
		.amdhsa_tg_split 0
		.amdhsa_exception_fp_ieee_invalid_op 0
		.amdhsa_exception_fp_denorm_src 0
		.amdhsa_exception_fp_ieee_div_zero 0
		.amdhsa_exception_fp_ieee_overflow 0
		.amdhsa_exception_fp_ieee_underflow 0
		.amdhsa_exception_fp_ieee_inexact 0
		.amdhsa_exception_int_div_zero 0
	.end_amdhsa_kernel
	.section	.text._ZN7rocprim17ROCPRIM_400000_NS6detail17trampoline_kernelINS0_14default_configENS1_25partition_config_selectorILNS1_17partition_subalgoE9EllbEEZZNS1_14partition_implILS5_9ELb0ES3_jPlS8_PNS0_10empty_typeENS0_5tupleIJS8_S9_EEENSB_IJS8_SA_EEENS0_18inequality_wrapperIZN2at6native12_GLOBAL__N_124unique_dim_cuda_templateIhEESt5tupleIJNSF_6TensorESK_SK_EERKSK_lbbbEUlllE0_EEPmJS9_EEE10hipError_tPvRmT3_T4_T5_T6_T7_T9_mT8_P12ihipStream_tbDpT10_ENKUlT_T0_E_clISt17integral_constantIbLb1EES19_IbLb0EEEEDaS15_S16_EUlS15_E_NS1_11comp_targetILNS1_3genE10ELNS1_11target_archE1200ELNS1_3gpuE4ELNS1_3repE0EEENS1_30default_config_static_selectorELNS0_4arch9wavefront6targetE1EEEvT1_,"axG",@progbits,_ZN7rocprim17ROCPRIM_400000_NS6detail17trampoline_kernelINS0_14default_configENS1_25partition_config_selectorILNS1_17partition_subalgoE9EllbEEZZNS1_14partition_implILS5_9ELb0ES3_jPlS8_PNS0_10empty_typeENS0_5tupleIJS8_S9_EEENSB_IJS8_SA_EEENS0_18inequality_wrapperIZN2at6native12_GLOBAL__N_124unique_dim_cuda_templateIhEESt5tupleIJNSF_6TensorESK_SK_EERKSK_lbbbEUlllE0_EEPmJS9_EEE10hipError_tPvRmT3_T4_T5_T6_T7_T9_mT8_P12ihipStream_tbDpT10_ENKUlT_T0_E_clISt17integral_constantIbLb1EES19_IbLb0EEEEDaS15_S16_EUlS15_E_NS1_11comp_targetILNS1_3genE10ELNS1_11target_archE1200ELNS1_3gpuE4ELNS1_3repE0EEENS1_30default_config_static_selectorELNS0_4arch9wavefront6targetE1EEEvT1_,comdat
.Lfunc_end225:
	.size	_ZN7rocprim17ROCPRIM_400000_NS6detail17trampoline_kernelINS0_14default_configENS1_25partition_config_selectorILNS1_17partition_subalgoE9EllbEEZZNS1_14partition_implILS5_9ELb0ES3_jPlS8_PNS0_10empty_typeENS0_5tupleIJS8_S9_EEENSB_IJS8_SA_EEENS0_18inequality_wrapperIZN2at6native12_GLOBAL__N_124unique_dim_cuda_templateIhEESt5tupleIJNSF_6TensorESK_SK_EERKSK_lbbbEUlllE0_EEPmJS9_EEE10hipError_tPvRmT3_T4_T5_T6_T7_T9_mT8_P12ihipStream_tbDpT10_ENKUlT_T0_E_clISt17integral_constantIbLb1EES19_IbLb0EEEEDaS15_S16_EUlS15_E_NS1_11comp_targetILNS1_3genE10ELNS1_11target_archE1200ELNS1_3gpuE4ELNS1_3repE0EEENS1_30default_config_static_selectorELNS0_4arch9wavefront6targetE1EEEvT1_, .Lfunc_end225-_ZN7rocprim17ROCPRIM_400000_NS6detail17trampoline_kernelINS0_14default_configENS1_25partition_config_selectorILNS1_17partition_subalgoE9EllbEEZZNS1_14partition_implILS5_9ELb0ES3_jPlS8_PNS0_10empty_typeENS0_5tupleIJS8_S9_EEENSB_IJS8_SA_EEENS0_18inequality_wrapperIZN2at6native12_GLOBAL__N_124unique_dim_cuda_templateIhEESt5tupleIJNSF_6TensorESK_SK_EERKSK_lbbbEUlllE0_EEPmJS9_EEE10hipError_tPvRmT3_T4_T5_T6_T7_T9_mT8_P12ihipStream_tbDpT10_ENKUlT_T0_E_clISt17integral_constantIbLb1EES19_IbLb0EEEEDaS15_S16_EUlS15_E_NS1_11comp_targetILNS1_3genE10ELNS1_11target_archE1200ELNS1_3gpuE4ELNS1_3repE0EEENS1_30default_config_static_selectorELNS0_4arch9wavefront6targetE1EEEvT1_
                                        ; -- End function
	.set _ZN7rocprim17ROCPRIM_400000_NS6detail17trampoline_kernelINS0_14default_configENS1_25partition_config_selectorILNS1_17partition_subalgoE9EllbEEZZNS1_14partition_implILS5_9ELb0ES3_jPlS8_PNS0_10empty_typeENS0_5tupleIJS8_S9_EEENSB_IJS8_SA_EEENS0_18inequality_wrapperIZN2at6native12_GLOBAL__N_124unique_dim_cuda_templateIhEESt5tupleIJNSF_6TensorESK_SK_EERKSK_lbbbEUlllE0_EEPmJS9_EEE10hipError_tPvRmT3_T4_T5_T6_T7_T9_mT8_P12ihipStream_tbDpT10_ENKUlT_T0_E_clISt17integral_constantIbLb1EES19_IbLb0EEEEDaS15_S16_EUlS15_E_NS1_11comp_targetILNS1_3genE10ELNS1_11target_archE1200ELNS1_3gpuE4ELNS1_3repE0EEENS1_30default_config_static_selectorELNS0_4arch9wavefront6targetE1EEEvT1_.num_vgpr, 0
	.set _ZN7rocprim17ROCPRIM_400000_NS6detail17trampoline_kernelINS0_14default_configENS1_25partition_config_selectorILNS1_17partition_subalgoE9EllbEEZZNS1_14partition_implILS5_9ELb0ES3_jPlS8_PNS0_10empty_typeENS0_5tupleIJS8_S9_EEENSB_IJS8_SA_EEENS0_18inequality_wrapperIZN2at6native12_GLOBAL__N_124unique_dim_cuda_templateIhEESt5tupleIJNSF_6TensorESK_SK_EERKSK_lbbbEUlllE0_EEPmJS9_EEE10hipError_tPvRmT3_T4_T5_T6_T7_T9_mT8_P12ihipStream_tbDpT10_ENKUlT_T0_E_clISt17integral_constantIbLb1EES19_IbLb0EEEEDaS15_S16_EUlS15_E_NS1_11comp_targetILNS1_3genE10ELNS1_11target_archE1200ELNS1_3gpuE4ELNS1_3repE0EEENS1_30default_config_static_selectorELNS0_4arch9wavefront6targetE1EEEvT1_.num_agpr, 0
	.set _ZN7rocprim17ROCPRIM_400000_NS6detail17trampoline_kernelINS0_14default_configENS1_25partition_config_selectorILNS1_17partition_subalgoE9EllbEEZZNS1_14partition_implILS5_9ELb0ES3_jPlS8_PNS0_10empty_typeENS0_5tupleIJS8_S9_EEENSB_IJS8_SA_EEENS0_18inequality_wrapperIZN2at6native12_GLOBAL__N_124unique_dim_cuda_templateIhEESt5tupleIJNSF_6TensorESK_SK_EERKSK_lbbbEUlllE0_EEPmJS9_EEE10hipError_tPvRmT3_T4_T5_T6_T7_T9_mT8_P12ihipStream_tbDpT10_ENKUlT_T0_E_clISt17integral_constantIbLb1EES19_IbLb0EEEEDaS15_S16_EUlS15_E_NS1_11comp_targetILNS1_3genE10ELNS1_11target_archE1200ELNS1_3gpuE4ELNS1_3repE0EEENS1_30default_config_static_selectorELNS0_4arch9wavefront6targetE1EEEvT1_.numbered_sgpr, 0
	.set _ZN7rocprim17ROCPRIM_400000_NS6detail17trampoline_kernelINS0_14default_configENS1_25partition_config_selectorILNS1_17partition_subalgoE9EllbEEZZNS1_14partition_implILS5_9ELb0ES3_jPlS8_PNS0_10empty_typeENS0_5tupleIJS8_S9_EEENSB_IJS8_SA_EEENS0_18inequality_wrapperIZN2at6native12_GLOBAL__N_124unique_dim_cuda_templateIhEESt5tupleIJNSF_6TensorESK_SK_EERKSK_lbbbEUlllE0_EEPmJS9_EEE10hipError_tPvRmT3_T4_T5_T6_T7_T9_mT8_P12ihipStream_tbDpT10_ENKUlT_T0_E_clISt17integral_constantIbLb1EES19_IbLb0EEEEDaS15_S16_EUlS15_E_NS1_11comp_targetILNS1_3genE10ELNS1_11target_archE1200ELNS1_3gpuE4ELNS1_3repE0EEENS1_30default_config_static_selectorELNS0_4arch9wavefront6targetE1EEEvT1_.num_named_barrier, 0
	.set _ZN7rocprim17ROCPRIM_400000_NS6detail17trampoline_kernelINS0_14default_configENS1_25partition_config_selectorILNS1_17partition_subalgoE9EllbEEZZNS1_14partition_implILS5_9ELb0ES3_jPlS8_PNS0_10empty_typeENS0_5tupleIJS8_S9_EEENSB_IJS8_SA_EEENS0_18inequality_wrapperIZN2at6native12_GLOBAL__N_124unique_dim_cuda_templateIhEESt5tupleIJNSF_6TensorESK_SK_EERKSK_lbbbEUlllE0_EEPmJS9_EEE10hipError_tPvRmT3_T4_T5_T6_T7_T9_mT8_P12ihipStream_tbDpT10_ENKUlT_T0_E_clISt17integral_constantIbLb1EES19_IbLb0EEEEDaS15_S16_EUlS15_E_NS1_11comp_targetILNS1_3genE10ELNS1_11target_archE1200ELNS1_3gpuE4ELNS1_3repE0EEENS1_30default_config_static_selectorELNS0_4arch9wavefront6targetE1EEEvT1_.private_seg_size, 0
	.set _ZN7rocprim17ROCPRIM_400000_NS6detail17trampoline_kernelINS0_14default_configENS1_25partition_config_selectorILNS1_17partition_subalgoE9EllbEEZZNS1_14partition_implILS5_9ELb0ES3_jPlS8_PNS0_10empty_typeENS0_5tupleIJS8_S9_EEENSB_IJS8_SA_EEENS0_18inequality_wrapperIZN2at6native12_GLOBAL__N_124unique_dim_cuda_templateIhEESt5tupleIJNSF_6TensorESK_SK_EERKSK_lbbbEUlllE0_EEPmJS9_EEE10hipError_tPvRmT3_T4_T5_T6_T7_T9_mT8_P12ihipStream_tbDpT10_ENKUlT_T0_E_clISt17integral_constantIbLb1EES19_IbLb0EEEEDaS15_S16_EUlS15_E_NS1_11comp_targetILNS1_3genE10ELNS1_11target_archE1200ELNS1_3gpuE4ELNS1_3repE0EEENS1_30default_config_static_selectorELNS0_4arch9wavefront6targetE1EEEvT1_.uses_vcc, 0
	.set _ZN7rocprim17ROCPRIM_400000_NS6detail17trampoline_kernelINS0_14default_configENS1_25partition_config_selectorILNS1_17partition_subalgoE9EllbEEZZNS1_14partition_implILS5_9ELb0ES3_jPlS8_PNS0_10empty_typeENS0_5tupleIJS8_S9_EEENSB_IJS8_SA_EEENS0_18inequality_wrapperIZN2at6native12_GLOBAL__N_124unique_dim_cuda_templateIhEESt5tupleIJNSF_6TensorESK_SK_EERKSK_lbbbEUlllE0_EEPmJS9_EEE10hipError_tPvRmT3_T4_T5_T6_T7_T9_mT8_P12ihipStream_tbDpT10_ENKUlT_T0_E_clISt17integral_constantIbLb1EES19_IbLb0EEEEDaS15_S16_EUlS15_E_NS1_11comp_targetILNS1_3genE10ELNS1_11target_archE1200ELNS1_3gpuE4ELNS1_3repE0EEENS1_30default_config_static_selectorELNS0_4arch9wavefront6targetE1EEEvT1_.uses_flat_scratch, 0
	.set _ZN7rocprim17ROCPRIM_400000_NS6detail17trampoline_kernelINS0_14default_configENS1_25partition_config_selectorILNS1_17partition_subalgoE9EllbEEZZNS1_14partition_implILS5_9ELb0ES3_jPlS8_PNS0_10empty_typeENS0_5tupleIJS8_S9_EEENSB_IJS8_SA_EEENS0_18inequality_wrapperIZN2at6native12_GLOBAL__N_124unique_dim_cuda_templateIhEESt5tupleIJNSF_6TensorESK_SK_EERKSK_lbbbEUlllE0_EEPmJS9_EEE10hipError_tPvRmT3_T4_T5_T6_T7_T9_mT8_P12ihipStream_tbDpT10_ENKUlT_T0_E_clISt17integral_constantIbLb1EES19_IbLb0EEEEDaS15_S16_EUlS15_E_NS1_11comp_targetILNS1_3genE10ELNS1_11target_archE1200ELNS1_3gpuE4ELNS1_3repE0EEENS1_30default_config_static_selectorELNS0_4arch9wavefront6targetE1EEEvT1_.has_dyn_sized_stack, 0
	.set _ZN7rocprim17ROCPRIM_400000_NS6detail17trampoline_kernelINS0_14default_configENS1_25partition_config_selectorILNS1_17partition_subalgoE9EllbEEZZNS1_14partition_implILS5_9ELb0ES3_jPlS8_PNS0_10empty_typeENS0_5tupleIJS8_S9_EEENSB_IJS8_SA_EEENS0_18inequality_wrapperIZN2at6native12_GLOBAL__N_124unique_dim_cuda_templateIhEESt5tupleIJNSF_6TensorESK_SK_EERKSK_lbbbEUlllE0_EEPmJS9_EEE10hipError_tPvRmT3_T4_T5_T6_T7_T9_mT8_P12ihipStream_tbDpT10_ENKUlT_T0_E_clISt17integral_constantIbLb1EES19_IbLb0EEEEDaS15_S16_EUlS15_E_NS1_11comp_targetILNS1_3genE10ELNS1_11target_archE1200ELNS1_3gpuE4ELNS1_3repE0EEENS1_30default_config_static_selectorELNS0_4arch9wavefront6targetE1EEEvT1_.has_recursion, 0
	.set _ZN7rocprim17ROCPRIM_400000_NS6detail17trampoline_kernelINS0_14default_configENS1_25partition_config_selectorILNS1_17partition_subalgoE9EllbEEZZNS1_14partition_implILS5_9ELb0ES3_jPlS8_PNS0_10empty_typeENS0_5tupleIJS8_S9_EEENSB_IJS8_SA_EEENS0_18inequality_wrapperIZN2at6native12_GLOBAL__N_124unique_dim_cuda_templateIhEESt5tupleIJNSF_6TensorESK_SK_EERKSK_lbbbEUlllE0_EEPmJS9_EEE10hipError_tPvRmT3_T4_T5_T6_T7_T9_mT8_P12ihipStream_tbDpT10_ENKUlT_T0_E_clISt17integral_constantIbLb1EES19_IbLb0EEEEDaS15_S16_EUlS15_E_NS1_11comp_targetILNS1_3genE10ELNS1_11target_archE1200ELNS1_3gpuE4ELNS1_3repE0EEENS1_30default_config_static_selectorELNS0_4arch9wavefront6targetE1EEEvT1_.has_indirect_call, 0
	.section	.AMDGPU.csdata,"",@progbits
; Kernel info:
; codeLenInByte = 0
; TotalNumSgprs: 6
; NumVgprs: 0
; NumAgprs: 0
; TotalNumVgprs: 0
; ScratchSize: 0
; MemoryBound: 0
; FloatMode: 240
; IeeeMode: 1
; LDSByteSize: 0 bytes/workgroup (compile time only)
; SGPRBlocks: 0
; VGPRBlocks: 0
; NumSGPRsForWavesPerEU: 6
; NumVGPRsForWavesPerEU: 1
; AccumOffset: 4
; Occupancy: 8
; WaveLimiterHint : 0
; COMPUTE_PGM_RSRC2:SCRATCH_EN: 0
; COMPUTE_PGM_RSRC2:USER_SGPR: 2
; COMPUTE_PGM_RSRC2:TRAP_HANDLER: 0
; COMPUTE_PGM_RSRC2:TGID_X_EN: 1
; COMPUTE_PGM_RSRC2:TGID_Y_EN: 0
; COMPUTE_PGM_RSRC2:TGID_Z_EN: 0
; COMPUTE_PGM_RSRC2:TIDIG_COMP_CNT: 0
; COMPUTE_PGM_RSRC3_GFX90A:ACCUM_OFFSET: 0
; COMPUTE_PGM_RSRC3_GFX90A:TG_SPLIT: 0
	.section	.text._ZN7rocprim17ROCPRIM_400000_NS6detail17trampoline_kernelINS0_14default_configENS1_25partition_config_selectorILNS1_17partition_subalgoE9EllbEEZZNS1_14partition_implILS5_9ELb0ES3_jPlS8_PNS0_10empty_typeENS0_5tupleIJS8_S9_EEENSB_IJS8_SA_EEENS0_18inequality_wrapperIZN2at6native12_GLOBAL__N_124unique_dim_cuda_templateIhEESt5tupleIJNSF_6TensorESK_SK_EERKSK_lbbbEUlllE0_EEPmJS9_EEE10hipError_tPvRmT3_T4_T5_T6_T7_T9_mT8_P12ihipStream_tbDpT10_ENKUlT_T0_E_clISt17integral_constantIbLb1EES19_IbLb0EEEEDaS15_S16_EUlS15_E_NS1_11comp_targetILNS1_3genE9ELNS1_11target_archE1100ELNS1_3gpuE3ELNS1_3repE0EEENS1_30default_config_static_selectorELNS0_4arch9wavefront6targetE1EEEvT1_,"axG",@progbits,_ZN7rocprim17ROCPRIM_400000_NS6detail17trampoline_kernelINS0_14default_configENS1_25partition_config_selectorILNS1_17partition_subalgoE9EllbEEZZNS1_14partition_implILS5_9ELb0ES3_jPlS8_PNS0_10empty_typeENS0_5tupleIJS8_S9_EEENSB_IJS8_SA_EEENS0_18inequality_wrapperIZN2at6native12_GLOBAL__N_124unique_dim_cuda_templateIhEESt5tupleIJNSF_6TensorESK_SK_EERKSK_lbbbEUlllE0_EEPmJS9_EEE10hipError_tPvRmT3_T4_T5_T6_T7_T9_mT8_P12ihipStream_tbDpT10_ENKUlT_T0_E_clISt17integral_constantIbLb1EES19_IbLb0EEEEDaS15_S16_EUlS15_E_NS1_11comp_targetILNS1_3genE9ELNS1_11target_archE1100ELNS1_3gpuE3ELNS1_3repE0EEENS1_30default_config_static_selectorELNS0_4arch9wavefront6targetE1EEEvT1_,comdat
	.globl	_ZN7rocprim17ROCPRIM_400000_NS6detail17trampoline_kernelINS0_14default_configENS1_25partition_config_selectorILNS1_17partition_subalgoE9EllbEEZZNS1_14partition_implILS5_9ELb0ES3_jPlS8_PNS0_10empty_typeENS0_5tupleIJS8_S9_EEENSB_IJS8_SA_EEENS0_18inequality_wrapperIZN2at6native12_GLOBAL__N_124unique_dim_cuda_templateIhEESt5tupleIJNSF_6TensorESK_SK_EERKSK_lbbbEUlllE0_EEPmJS9_EEE10hipError_tPvRmT3_T4_T5_T6_T7_T9_mT8_P12ihipStream_tbDpT10_ENKUlT_T0_E_clISt17integral_constantIbLb1EES19_IbLb0EEEEDaS15_S16_EUlS15_E_NS1_11comp_targetILNS1_3genE9ELNS1_11target_archE1100ELNS1_3gpuE3ELNS1_3repE0EEENS1_30default_config_static_selectorELNS0_4arch9wavefront6targetE1EEEvT1_ ; -- Begin function _ZN7rocprim17ROCPRIM_400000_NS6detail17trampoline_kernelINS0_14default_configENS1_25partition_config_selectorILNS1_17partition_subalgoE9EllbEEZZNS1_14partition_implILS5_9ELb0ES3_jPlS8_PNS0_10empty_typeENS0_5tupleIJS8_S9_EEENSB_IJS8_SA_EEENS0_18inequality_wrapperIZN2at6native12_GLOBAL__N_124unique_dim_cuda_templateIhEESt5tupleIJNSF_6TensorESK_SK_EERKSK_lbbbEUlllE0_EEPmJS9_EEE10hipError_tPvRmT3_T4_T5_T6_T7_T9_mT8_P12ihipStream_tbDpT10_ENKUlT_T0_E_clISt17integral_constantIbLb1EES19_IbLb0EEEEDaS15_S16_EUlS15_E_NS1_11comp_targetILNS1_3genE9ELNS1_11target_archE1100ELNS1_3gpuE3ELNS1_3repE0EEENS1_30default_config_static_selectorELNS0_4arch9wavefront6targetE1EEEvT1_
	.p2align	8
	.type	_ZN7rocprim17ROCPRIM_400000_NS6detail17trampoline_kernelINS0_14default_configENS1_25partition_config_selectorILNS1_17partition_subalgoE9EllbEEZZNS1_14partition_implILS5_9ELb0ES3_jPlS8_PNS0_10empty_typeENS0_5tupleIJS8_S9_EEENSB_IJS8_SA_EEENS0_18inequality_wrapperIZN2at6native12_GLOBAL__N_124unique_dim_cuda_templateIhEESt5tupleIJNSF_6TensorESK_SK_EERKSK_lbbbEUlllE0_EEPmJS9_EEE10hipError_tPvRmT3_T4_T5_T6_T7_T9_mT8_P12ihipStream_tbDpT10_ENKUlT_T0_E_clISt17integral_constantIbLb1EES19_IbLb0EEEEDaS15_S16_EUlS15_E_NS1_11comp_targetILNS1_3genE9ELNS1_11target_archE1100ELNS1_3gpuE3ELNS1_3repE0EEENS1_30default_config_static_selectorELNS0_4arch9wavefront6targetE1EEEvT1_,@function
_ZN7rocprim17ROCPRIM_400000_NS6detail17trampoline_kernelINS0_14default_configENS1_25partition_config_selectorILNS1_17partition_subalgoE9EllbEEZZNS1_14partition_implILS5_9ELb0ES3_jPlS8_PNS0_10empty_typeENS0_5tupleIJS8_S9_EEENSB_IJS8_SA_EEENS0_18inequality_wrapperIZN2at6native12_GLOBAL__N_124unique_dim_cuda_templateIhEESt5tupleIJNSF_6TensorESK_SK_EERKSK_lbbbEUlllE0_EEPmJS9_EEE10hipError_tPvRmT3_T4_T5_T6_T7_T9_mT8_P12ihipStream_tbDpT10_ENKUlT_T0_E_clISt17integral_constantIbLb1EES19_IbLb0EEEEDaS15_S16_EUlS15_E_NS1_11comp_targetILNS1_3genE9ELNS1_11target_archE1100ELNS1_3gpuE3ELNS1_3repE0EEENS1_30default_config_static_selectorELNS0_4arch9wavefront6targetE1EEEvT1_: ; @_ZN7rocprim17ROCPRIM_400000_NS6detail17trampoline_kernelINS0_14default_configENS1_25partition_config_selectorILNS1_17partition_subalgoE9EllbEEZZNS1_14partition_implILS5_9ELb0ES3_jPlS8_PNS0_10empty_typeENS0_5tupleIJS8_S9_EEENSB_IJS8_SA_EEENS0_18inequality_wrapperIZN2at6native12_GLOBAL__N_124unique_dim_cuda_templateIhEESt5tupleIJNSF_6TensorESK_SK_EERKSK_lbbbEUlllE0_EEPmJS9_EEE10hipError_tPvRmT3_T4_T5_T6_T7_T9_mT8_P12ihipStream_tbDpT10_ENKUlT_T0_E_clISt17integral_constantIbLb1EES19_IbLb0EEEEDaS15_S16_EUlS15_E_NS1_11comp_targetILNS1_3genE9ELNS1_11target_archE1100ELNS1_3gpuE3ELNS1_3repE0EEENS1_30default_config_static_selectorELNS0_4arch9wavefront6targetE1EEEvT1_
; %bb.0:
	.section	.rodata,"a",@progbits
	.p2align	6, 0x0
	.amdhsa_kernel _ZN7rocprim17ROCPRIM_400000_NS6detail17trampoline_kernelINS0_14default_configENS1_25partition_config_selectorILNS1_17partition_subalgoE9EllbEEZZNS1_14partition_implILS5_9ELb0ES3_jPlS8_PNS0_10empty_typeENS0_5tupleIJS8_S9_EEENSB_IJS8_SA_EEENS0_18inequality_wrapperIZN2at6native12_GLOBAL__N_124unique_dim_cuda_templateIhEESt5tupleIJNSF_6TensorESK_SK_EERKSK_lbbbEUlllE0_EEPmJS9_EEE10hipError_tPvRmT3_T4_T5_T6_T7_T9_mT8_P12ihipStream_tbDpT10_ENKUlT_T0_E_clISt17integral_constantIbLb1EES19_IbLb0EEEEDaS15_S16_EUlS15_E_NS1_11comp_targetILNS1_3genE9ELNS1_11target_archE1100ELNS1_3gpuE3ELNS1_3repE0EEENS1_30default_config_static_selectorELNS0_4arch9wavefront6targetE1EEEvT1_
		.amdhsa_group_segment_fixed_size 0
		.amdhsa_private_segment_fixed_size 0
		.amdhsa_kernarg_size 120
		.amdhsa_user_sgpr_count 2
		.amdhsa_user_sgpr_dispatch_ptr 0
		.amdhsa_user_sgpr_queue_ptr 0
		.amdhsa_user_sgpr_kernarg_segment_ptr 1
		.amdhsa_user_sgpr_dispatch_id 0
		.amdhsa_user_sgpr_kernarg_preload_length 0
		.amdhsa_user_sgpr_kernarg_preload_offset 0
		.amdhsa_user_sgpr_private_segment_size 0
		.amdhsa_uses_dynamic_stack 0
		.amdhsa_enable_private_segment 0
		.amdhsa_system_sgpr_workgroup_id_x 1
		.amdhsa_system_sgpr_workgroup_id_y 0
		.amdhsa_system_sgpr_workgroup_id_z 0
		.amdhsa_system_sgpr_workgroup_info 0
		.amdhsa_system_vgpr_workitem_id 0
		.amdhsa_next_free_vgpr 1
		.amdhsa_next_free_sgpr 0
		.amdhsa_accum_offset 4
		.amdhsa_reserve_vcc 0
		.amdhsa_float_round_mode_32 0
		.amdhsa_float_round_mode_16_64 0
		.amdhsa_float_denorm_mode_32 3
		.amdhsa_float_denorm_mode_16_64 3
		.amdhsa_dx10_clamp 1
		.amdhsa_ieee_mode 1
		.amdhsa_fp16_overflow 0
		.amdhsa_tg_split 0
		.amdhsa_exception_fp_ieee_invalid_op 0
		.amdhsa_exception_fp_denorm_src 0
		.amdhsa_exception_fp_ieee_div_zero 0
		.amdhsa_exception_fp_ieee_overflow 0
		.amdhsa_exception_fp_ieee_underflow 0
		.amdhsa_exception_fp_ieee_inexact 0
		.amdhsa_exception_int_div_zero 0
	.end_amdhsa_kernel
	.section	.text._ZN7rocprim17ROCPRIM_400000_NS6detail17trampoline_kernelINS0_14default_configENS1_25partition_config_selectorILNS1_17partition_subalgoE9EllbEEZZNS1_14partition_implILS5_9ELb0ES3_jPlS8_PNS0_10empty_typeENS0_5tupleIJS8_S9_EEENSB_IJS8_SA_EEENS0_18inequality_wrapperIZN2at6native12_GLOBAL__N_124unique_dim_cuda_templateIhEESt5tupleIJNSF_6TensorESK_SK_EERKSK_lbbbEUlllE0_EEPmJS9_EEE10hipError_tPvRmT3_T4_T5_T6_T7_T9_mT8_P12ihipStream_tbDpT10_ENKUlT_T0_E_clISt17integral_constantIbLb1EES19_IbLb0EEEEDaS15_S16_EUlS15_E_NS1_11comp_targetILNS1_3genE9ELNS1_11target_archE1100ELNS1_3gpuE3ELNS1_3repE0EEENS1_30default_config_static_selectorELNS0_4arch9wavefront6targetE1EEEvT1_,"axG",@progbits,_ZN7rocprim17ROCPRIM_400000_NS6detail17trampoline_kernelINS0_14default_configENS1_25partition_config_selectorILNS1_17partition_subalgoE9EllbEEZZNS1_14partition_implILS5_9ELb0ES3_jPlS8_PNS0_10empty_typeENS0_5tupleIJS8_S9_EEENSB_IJS8_SA_EEENS0_18inequality_wrapperIZN2at6native12_GLOBAL__N_124unique_dim_cuda_templateIhEESt5tupleIJNSF_6TensorESK_SK_EERKSK_lbbbEUlllE0_EEPmJS9_EEE10hipError_tPvRmT3_T4_T5_T6_T7_T9_mT8_P12ihipStream_tbDpT10_ENKUlT_T0_E_clISt17integral_constantIbLb1EES19_IbLb0EEEEDaS15_S16_EUlS15_E_NS1_11comp_targetILNS1_3genE9ELNS1_11target_archE1100ELNS1_3gpuE3ELNS1_3repE0EEENS1_30default_config_static_selectorELNS0_4arch9wavefront6targetE1EEEvT1_,comdat
.Lfunc_end226:
	.size	_ZN7rocprim17ROCPRIM_400000_NS6detail17trampoline_kernelINS0_14default_configENS1_25partition_config_selectorILNS1_17partition_subalgoE9EllbEEZZNS1_14partition_implILS5_9ELb0ES3_jPlS8_PNS0_10empty_typeENS0_5tupleIJS8_S9_EEENSB_IJS8_SA_EEENS0_18inequality_wrapperIZN2at6native12_GLOBAL__N_124unique_dim_cuda_templateIhEESt5tupleIJNSF_6TensorESK_SK_EERKSK_lbbbEUlllE0_EEPmJS9_EEE10hipError_tPvRmT3_T4_T5_T6_T7_T9_mT8_P12ihipStream_tbDpT10_ENKUlT_T0_E_clISt17integral_constantIbLb1EES19_IbLb0EEEEDaS15_S16_EUlS15_E_NS1_11comp_targetILNS1_3genE9ELNS1_11target_archE1100ELNS1_3gpuE3ELNS1_3repE0EEENS1_30default_config_static_selectorELNS0_4arch9wavefront6targetE1EEEvT1_, .Lfunc_end226-_ZN7rocprim17ROCPRIM_400000_NS6detail17trampoline_kernelINS0_14default_configENS1_25partition_config_selectorILNS1_17partition_subalgoE9EllbEEZZNS1_14partition_implILS5_9ELb0ES3_jPlS8_PNS0_10empty_typeENS0_5tupleIJS8_S9_EEENSB_IJS8_SA_EEENS0_18inequality_wrapperIZN2at6native12_GLOBAL__N_124unique_dim_cuda_templateIhEESt5tupleIJNSF_6TensorESK_SK_EERKSK_lbbbEUlllE0_EEPmJS9_EEE10hipError_tPvRmT3_T4_T5_T6_T7_T9_mT8_P12ihipStream_tbDpT10_ENKUlT_T0_E_clISt17integral_constantIbLb1EES19_IbLb0EEEEDaS15_S16_EUlS15_E_NS1_11comp_targetILNS1_3genE9ELNS1_11target_archE1100ELNS1_3gpuE3ELNS1_3repE0EEENS1_30default_config_static_selectorELNS0_4arch9wavefront6targetE1EEEvT1_
                                        ; -- End function
	.set _ZN7rocprim17ROCPRIM_400000_NS6detail17trampoline_kernelINS0_14default_configENS1_25partition_config_selectorILNS1_17partition_subalgoE9EllbEEZZNS1_14partition_implILS5_9ELb0ES3_jPlS8_PNS0_10empty_typeENS0_5tupleIJS8_S9_EEENSB_IJS8_SA_EEENS0_18inequality_wrapperIZN2at6native12_GLOBAL__N_124unique_dim_cuda_templateIhEESt5tupleIJNSF_6TensorESK_SK_EERKSK_lbbbEUlllE0_EEPmJS9_EEE10hipError_tPvRmT3_T4_T5_T6_T7_T9_mT8_P12ihipStream_tbDpT10_ENKUlT_T0_E_clISt17integral_constantIbLb1EES19_IbLb0EEEEDaS15_S16_EUlS15_E_NS1_11comp_targetILNS1_3genE9ELNS1_11target_archE1100ELNS1_3gpuE3ELNS1_3repE0EEENS1_30default_config_static_selectorELNS0_4arch9wavefront6targetE1EEEvT1_.num_vgpr, 0
	.set _ZN7rocprim17ROCPRIM_400000_NS6detail17trampoline_kernelINS0_14default_configENS1_25partition_config_selectorILNS1_17partition_subalgoE9EllbEEZZNS1_14partition_implILS5_9ELb0ES3_jPlS8_PNS0_10empty_typeENS0_5tupleIJS8_S9_EEENSB_IJS8_SA_EEENS0_18inequality_wrapperIZN2at6native12_GLOBAL__N_124unique_dim_cuda_templateIhEESt5tupleIJNSF_6TensorESK_SK_EERKSK_lbbbEUlllE0_EEPmJS9_EEE10hipError_tPvRmT3_T4_T5_T6_T7_T9_mT8_P12ihipStream_tbDpT10_ENKUlT_T0_E_clISt17integral_constantIbLb1EES19_IbLb0EEEEDaS15_S16_EUlS15_E_NS1_11comp_targetILNS1_3genE9ELNS1_11target_archE1100ELNS1_3gpuE3ELNS1_3repE0EEENS1_30default_config_static_selectorELNS0_4arch9wavefront6targetE1EEEvT1_.num_agpr, 0
	.set _ZN7rocprim17ROCPRIM_400000_NS6detail17trampoline_kernelINS0_14default_configENS1_25partition_config_selectorILNS1_17partition_subalgoE9EllbEEZZNS1_14partition_implILS5_9ELb0ES3_jPlS8_PNS0_10empty_typeENS0_5tupleIJS8_S9_EEENSB_IJS8_SA_EEENS0_18inequality_wrapperIZN2at6native12_GLOBAL__N_124unique_dim_cuda_templateIhEESt5tupleIJNSF_6TensorESK_SK_EERKSK_lbbbEUlllE0_EEPmJS9_EEE10hipError_tPvRmT3_T4_T5_T6_T7_T9_mT8_P12ihipStream_tbDpT10_ENKUlT_T0_E_clISt17integral_constantIbLb1EES19_IbLb0EEEEDaS15_S16_EUlS15_E_NS1_11comp_targetILNS1_3genE9ELNS1_11target_archE1100ELNS1_3gpuE3ELNS1_3repE0EEENS1_30default_config_static_selectorELNS0_4arch9wavefront6targetE1EEEvT1_.numbered_sgpr, 0
	.set _ZN7rocprim17ROCPRIM_400000_NS6detail17trampoline_kernelINS0_14default_configENS1_25partition_config_selectorILNS1_17partition_subalgoE9EllbEEZZNS1_14partition_implILS5_9ELb0ES3_jPlS8_PNS0_10empty_typeENS0_5tupleIJS8_S9_EEENSB_IJS8_SA_EEENS0_18inequality_wrapperIZN2at6native12_GLOBAL__N_124unique_dim_cuda_templateIhEESt5tupleIJNSF_6TensorESK_SK_EERKSK_lbbbEUlllE0_EEPmJS9_EEE10hipError_tPvRmT3_T4_T5_T6_T7_T9_mT8_P12ihipStream_tbDpT10_ENKUlT_T0_E_clISt17integral_constantIbLb1EES19_IbLb0EEEEDaS15_S16_EUlS15_E_NS1_11comp_targetILNS1_3genE9ELNS1_11target_archE1100ELNS1_3gpuE3ELNS1_3repE0EEENS1_30default_config_static_selectorELNS0_4arch9wavefront6targetE1EEEvT1_.num_named_barrier, 0
	.set _ZN7rocprim17ROCPRIM_400000_NS6detail17trampoline_kernelINS0_14default_configENS1_25partition_config_selectorILNS1_17partition_subalgoE9EllbEEZZNS1_14partition_implILS5_9ELb0ES3_jPlS8_PNS0_10empty_typeENS0_5tupleIJS8_S9_EEENSB_IJS8_SA_EEENS0_18inequality_wrapperIZN2at6native12_GLOBAL__N_124unique_dim_cuda_templateIhEESt5tupleIJNSF_6TensorESK_SK_EERKSK_lbbbEUlllE0_EEPmJS9_EEE10hipError_tPvRmT3_T4_T5_T6_T7_T9_mT8_P12ihipStream_tbDpT10_ENKUlT_T0_E_clISt17integral_constantIbLb1EES19_IbLb0EEEEDaS15_S16_EUlS15_E_NS1_11comp_targetILNS1_3genE9ELNS1_11target_archE1100ELNS1_3gpuE3ELNS1_3repE0EEENS1_30default_config_static_selectorELNS0_4arch9wavefront6targetE1EEEvT1_.private_seg_size, 0
	.set _ZN7rocprim17ROCPRIM_400000_NS6detail17trampoline_kernelINS0_14default_configENS1_25partition_config_selectorILNS1_17partition_subalgoE9EllbEEZZNS1_14partition_implILS5_9ELb0ES3_jPlS8_PNS0_10empty_typeENS0_5tupleIJS8_S9_EEENSB_IJS8_SA_EEENS0_18inequality_wrapperIZN2at6native12_GLOBAL__N_124unique_dim_cuda_templateIhEESt5tupleIJNSF_6TensorESK_SK_EERKSK_lbbbEUlllE0_EEPmJS9_EEE10hipError_tPvRmT3_T4_T5_T6_T7_T9_mT8_P12ihipStream_tbDpT10_ENKUlT_T0_E_clISt17integral_constantIbLb1EES19_IbLb0EEEEDaS15_S16_EUlS15_E_NS1_11comp_targetILNS1_3genE9ELNS1_11target_archE1100ELNS1_3gpuE3ELNS1_3repE0EEENS1_30default_config_static_selectorELNS0_4arch9wavefront6targetE1EEEvT1_.uses_vcc, 0
	.set _ZN7rocprim17ROCPRIM_400000_NS6detail17trampoline_kernelINS0_14default_configENS1_25partition_config_selectorILNS1_17partition_subalgoE9EllbEEZZNS1_14partition_implILS5_9ELb0ES3_jPlS8_PNS0_10empty_typeENS0_5tupleIJS8_S9_EEENSB_IJS8_SA_EEENS0_18inequality_wrapperIZN2at6native12_GLOBAL__N_124unique_dim_cuda_templateIhEESt5tupleIJNSF_6TensorESK_SK_EERKSK_lbbbEUlllE0_EEPmJS9_EEE10hipError_tPvRmT3_T4_T5_T6_T7_T9_mT8_P12ihipStream_tbDpT10_ENKUlT_T0_E_clISt17integral_constantIbLb1EES19_IbLb0EEEEDaS15_S16_EUlS15_E_NS1_11comp_targetILNS1_3genE9ELNS1_11target_archE1100ELNS1_3gpuE3ELNS1_3repE0EEENS1_30default_config_static_selectorELNS0_4arch9wavefront6targetE1EEEvT1_.uses_flat_scratch, 0
	.set _ZN7rocprim17ROCPRIM_400000_NS6detail17trampoline_kernelINS0_14default_configENS1_25partition_config_selectorILNS1_17partition_subalgoE9EllbEEZZNS1_14partition_implILS5_9ELb0ES3_jPlS8_PNS0_10empty_typeENS0_5tupleIJS8_S9_EEENSB_IJS8_SA_EEENS0_18inequality_wrapperIZN2at6native12_GLOBAL__N_124unique_dim_cuda_templateIhEESt5tupleIJNSF_6TensorESK_SK_EERKSK_lbbbEUlllE0_EEPmJS9_EEE10hipError_tPvRmT3_T4_T5_T6_T7_T9_mT8_P12ihipStream_tbDpT10_ENKUlT_T0_E_clISt17integral_constantIbLb1EES19_IbLb0EEEEDaS15_S16_EUlS15_E_NS1_11comp_targetILNS1_3genE9ELNS1_11target_archE1100ELNS1_3gpuE3ELNS1_3repE0EEENS1_30default_config_static_selectorELNS0_4arch9wavefront6targetE1EEEvT1_.has_dyn_sized_stack, 0
	.set _ZN7rocprim17ROCPRIM_400000_NS6detail17trampoline_kernelINS0_14default_configENS1_25partition_config_selectorILNS1_17partition_subalgoE9EllbEEZZNS1_14partition_implILS5_9ELb0ES3_jPlS8_PNS0_10empty_typeENS0_5tupleIJS8_S9_EEENSB_IJS8_SA_EEENS0_18inequality_wrapperIZN2at6native12_GLOBAL__N_124unique_dim_cuda_templateIhEESt5tupleIJNSF_6TensorESK_SK_EERKSK_lbbbEUlllE0_EEPmJS9_EEE10hipError_tPvRmT3_T4_T5_T6_T7_T9_mT8_P12ihipStream_tbDpT10_ENKUlT_T0_E_clISt17integral_constantIbLb1EES19_IbLb0EEEEDaS15_S16_EUlS15_E_NS1_11comp_targetILNS1_3genE9ELNS1_11target_archE1100ELNS1_3gpuE3ELNS1_3repE0EEENS1_30default_config_static_selectorELNS0_4arch9wavefront6targetE1EEEvT1_.has_recursion, 0
	.set _ZN7rocprim17ROCPRIM_400000_NS6detail17trampoline_kernelINS0_14default_configENS1_25partition_config_selectorILNS1_17partition_subalgoE9EllbEEZZNS1_14partition_implILS5_9ELb0ES3_jPlS8_PNS0_10empty_typeENS0_5tupleIJS8_S9_EEENSB_IJS8_SA_EEENS0_18inequality_wrapperIZN2at6native12_GLOBAL__N_124unique_dim_cuda_templateIhEESt5tupleIJNSF_6TensorESK_SK_EERKSK_lbbbEUlllE0_EEPmJS9_EEE10hipError_tPvRmT3_T4_T5_T6_T7_T9_mT8_P12ihipStream_tbDpT10_ENKUlT_T0_E_clISt17integral_constantIbLb1EES19_IbLb0EEEEDaS15_S16_EUlS15_E_NS1_11comp_targetILNS1_3genE9ELNS1_11target_archE1100ELNS1_3gpuE3ELNS1_3repE0EEENS1_30default_config_static_selectorELNS0_4arch9wavefront6targetE1EEEvT1_.has_indirect_call, 0
	.section	.AMDGPU.csdata,"",@progbits
; Kernel info:
; codeLenInByte = 0
; TotalNumSgprs: 6
; NumVgprs: 0
; NumAgprs: 0
; TotalNumVgprs: 0
; ScratchSize: 0
; MemoryBound: 0
; FloatMode: 240
; IeeeMode: 1
; LDSByteSize: 0 bytes/workgroup (compile time only)
; SGPRBlocks: 0
; VGPRBlocks: 0
; NumSGPRsForWavesPerEU: 6
; NumVGPRsForWavesPerEU: 1
; AccumOffset: 4
; Occupancy: 8
; WaveLimiterHint : 0
; COMPUTE_PGM_RSRC2:SCRATCH_EN: 0
; COMPUTE_PGM_RSRC2:USER_SGPR: 2
; COMPUTE_PGM_RSRC2:TRAP_HANDLER: 0
; COMPUTE_PGM_RSRC2:TGID_X_EN: 1
; COMPUTE_PGM_RSRC2:TGID_Y_EN: 0
; COMPUTE_PGM_RSRC2:TGID_Z_EN: 0
; COMPUTE_PGM_RSRC2:TIDIG_COMP_CNT: 0
; COMPUTE_PGM_RSRC3_GFX90A:ACCUM_OFFSET: 0
; COMPUTE_PGM_RSRC3_GFX90A:TG_SPLIT: 0
	.section	.text._ZN7rocprim17ROCPRIM_400000_NS6detail17trampoline_kernelINS0_14default_configENS1_25partition_config_selectorILNS1_17partition_subalgoE9EllbEEZZNS1_14partition_implILS5_9ELb0ES3_jPlS8_PNS0_10empty_typeENS0_5tupleIJS8_S9_EEENSB_IJS8_SA_EEENS0_18inequality_wrapperIZN2at6native12_GLOBAL__N_124unique_dim_cuda_templateIhEESt5tupleIJNSF_6TensorESK_SK_EERKSK_lbbbEUlllE0_EEPmJS9_EEE10hipError_tPvRmT3_T4_T5_T6_T7_T9_mT8_P12ihipStream_tbDpT10_ENKUlT_T0_E_clISt17integral_constantIbLb1EES19_IbLb0EEEEDaS15_S16_EUlS15_E_NS1_11comp_targetILNS1_3genE8ELNS1_11target_archE1030ELNS1_3gpuE2ELNS1_3repE0EEENS1_30default_config_static_selectorELNS0_4arch9wavefront6targetE1EEEvT1_,"axG",@progbits,_ZN7rocprim17ROCPRIM_400000_NS6detail17trampoline_kernelINS0_14default_configENS1_25partition_config_selectorILNS1_17partition_subalgoE9EllbEEZZNS1_14partition_implILS5_9ELb0ES3_jPlS8_PNS0_10empty_typeENS0_5tupleIJS8_S9_EEENSB_IJS8_SA_EEENS0_18inequality_wrapperIZN2at6native12_GLOBAL__N_124unique_dim_cuda_templateIhEESt5tupleIJNSF_6TensorESK_SK_EERKSK_lbbbEUlllE0_EEPmJS9_EEE10hipError_tPvRmT3_T4_T5_T6_T7_T9_mT8_P12ihipStream_tbDpT10_ENKUlT_T0_E_clISt17integral_constantIbLb1EES19_IbLb0EEEEDaS15_S16_EUlS15_E_NS1_11comp_targetILNS1_3genE8ELNS1_11target_archE1030ELNS1_3gpuE2ELNS1_3repE0EEENS1_30default_config_static_selectorELNS0_4arch9wavefront6targetE1EEEvT1_,comdat
	.globl	_ZN7rocprim17ROCPRIM_400000_NS6detail17trampoline_kernelINS0_14default_configENS1_25partition_config_selectorILNS1_17partition_subalgoE9EllbEEZZNS1_14partition_implILS5_9ELb0ES3_jPlS8_PNS0_10empty_typeENS0_5tupleIJS8_S9_EEENSB_IJS8_SA_EEENS0_18inequality_wrapperIZN2at6native12_GLOBAL__N_124unique_dim_cuda_templateIhEESt5tupleIJNSF_6TensorESK_SK_EERKSK_lbbbEUlllE0_EEPmJS9_EEE10hipError_tPvRmT3_T4_T5_T6_T7_T9_mT8_P12ihipStream_tbDpT10_ENKUlT_T0_E_clISt17integral_constantIbLb1EES19_IbLb0EEEEDaS15_S16_EUlS15_E_NS1_11comp_targetILNS1_3genE8ELNS1_11target_archE1030ELNS1_3gpuE2ELNS1_3repE0EEENS1_30default_config_static_selectorELNS0_4arch9wavefront6targetE1EEEvT1_ ; -- Begin function _ZN7rocprim17ROCPRIM_400000_NS6detail17trampoline_kernelINS0_14default_configENS1_25partition_config_selectorILNS1_17partition_subalgoE9EllbEEZZNS1_14partition_implILS5_9ELb0ES3_jPlS8_PNS0_10empty_typeENS0_5tupleIJS8_S9_EEENSB_IJS8_SA_EEENS0_18inequality_wrapperIZN2at6native12_GLOBAL__N_124unique_dim_cuda_templateIhEESt5tupleIJNSF_6TensorESK_SK_EERKSK_lbbbEUlllE0_EEPmJS9_EEE10hipError_tPvRmT3_T4_T5_T6_T7_T9_mT8_P12ihipStream_tbDpT10_ENKUlT_T0_E_clISt17integral_constantIbLb1EES19_IbLb0EEEEDaS15_S16_EUlS15_E_NS1_11comp_targetILNS1_3genE8ELNS1_11target_archE1030ELNS1_3gpuE2ELNS1_3repE0EEENS1_30default_config_static_selectorELNS0_4arch9wavefront6targetE1EEEvT1_
	.p2align	8
	.type	_ZN7rocprim17ROCPRIM_400000_NS6detail17trampoline_kernelINS0_14default_configENS1_25partition_config_selectorILNS1_17partition_subalgoE9EllbEEZZNS1_14partition_implILS5_9ELb0ES3_jPlS8_PNS0_10empty_typeENS0_5tupleIJS8_S9_EEENSB_IJS8_SA_EEENS0_18inequality_wrapperIZN2at6native12_GLOBAL__N_124unique_dim_cuda_templateIhEESt5tupleIJNSF_6TensorESK_SK_EERKSK_lbbbEUlllE0_EEPmJS9_EEE10hipError_tPvRmT3_T4_T5_T6_T7_T9_mT8_P12ihipStream_tbDpT10_ENKUlT_T0_E_clISt17integral_constantIbLb1EES19_IbLb0EEEEDaS15_S16_EUlS15_E_NS1_11comp_targetILNS1_3genE8ELNS1_11target_archE1030ELNS1_3gpuE2ELNS1_3repE0EEENS1_30default_config_static_selectorELNS0_4arch9wavefront6targetE1EEEvT1_,@function
_ZN7rocprim17ROCPRIM_400000_NS6detail17trampoline_kernelINS0_14default_configENS1_25partition_config_selectorILNS1_17partition_subalgoE9EllbEEZZNS1_14partition_implILS5_9ELb0ES3_jPlS8_PNS0_10empty_typeENS0_5tupleIJS8_S9_EEENSB_IJS8_SA_EEENS0_18inequality_wrapperIZN2at6native12_GLOBAL__N_124unique_dim_cuda_templateIhEESt5tupleIJNSF_6TensorESK_SK_EERKSK_lbbbEUlllE0_EEPmJS9_EEE10hipError_tPvRmT3_T4_T5_T6_T7_T9_mT8_P12ihipStream_tbDpT10_ENKUlT_T0_E_clISt17integral_constantIbLb1EES19_IbLb0EEEEDaS15_S16_EUlS15_E_NS1_11comp_targetILNS1_3genE8ELNS1_11target_archE1030ELNS1_3gpuE2ELNS1_3repE0EEENS1_30default_config_static_selectorELNS0_4arch9wavefront6targetE1EEEvT1_: ; @_ZN7rocprim17ROCPRIM_400000_NS6detail17trampoline_kernelINS0_14default_configENS1_25partition_config_selectorILNS1_17partition_subalgoE9EllbEEZZNS1_14partition_implILS5_9ELb0ES3_jPlS8_PNS0_10empty_typeENS0_5tupleIJS8_S9_EEENSB_IJS8_SA_EEENS0_18inequality_wrapperIZN2at6native12_GLOBAL__N_124unique_dim_cuda_templateIhEESt5tupleIJNSF_6TensorESK_SK_EERKSK_lbbbEUlllE0_EEPmJS9_EEE10hipError_tPvRmT3_T4_T5_T6_T7_T9_mT8_P12ihipStream_tbDpT10_ENKUlT_T0_E_clISt17integral_constantIbLb1EES19_IbLb0EEEEDaS15_S16_EUlS15_E_NS1_11comp_targetILNS1_3genE8ELNS1_11target_archE1030ELNS1_3gpuE2ELNS1_3repE0EEENS1_30default_config_static_selectorELNS0_4arch9wavefront6targetE1EEEvT1_
; %bb.0:
	.section	.rodata,"a",@progbits
	.p2align	6, 0x0
	.amdhsa_kernel _ZN7rocprim17ROCPRIM_400000_NS6detail17trampoline_kernelINS0_14default_configENS1_25partition_config_selectorILNS1_17partition_subalgoE9EllbEEZZNS1_14partition_implILS5_9ELb0ES3_jPlS8_PNS0_10empty_typeENS0_5tupleIJS8_S9_EEENSB_IJS8_SA_EEENS0_18inequality_wrapperIZN2at6native12_GLOBAL__N_124unique_dim_cuda_templateIhEESt5tupleIJNSF_6TensorESK_SK_EERKSK_lbbbEUlllE0_EEPmJS9_EEE10hipError_tPvRmT3_T4_T5_T6_T7_T9_mT8_P12ihipStream_tbDpT10_ENKUlT_T0_E_clISt17integral_constantIbLb1EES19_IbLb0EEEEDaS15_S16_EUlS15_E_NS1_11comp_targetILNS1_3genE8ELNS1_11target_archE1030ELNS1_3gpuE2ELNS1_3repE0EEENS1_30default_config_static_selectorELNS0_4arch9wavefront6targetE1EEEvT1_
		.amdhsa_group_segment_fixed_size 0
		.amdhsa_private_segment_fixed_size 0
		.amdhsa_kernarg_size 120
		.amdhsa_user_sgpr_count 2
		.amdhsa_user_sgpr_dispatch_ptr 0
		.amdhsa_user_sgpr_queue_ptr 0
		.amdhsa_user_sgpr_kernarg_segment_ptr 1
		.amdhsa_user_sgpr_dispatch_id 0
		.amdhsa_user_sgpr_kernarg_preload_length 0
		.amdhsa_user_sgpr_kernarg_preload_offset 0
		.amdhsa_user_sgpr_private_segment_size 0
		.amdhsa_uses_dynamic_stack 0
		.amdhsa_enable_private_segment 0
		.amdhsa_system_sgpr_workgroup_id_x 1
		.amdhsa_system_sgpr_workgroup_id_y 0
		.amdhsa_system_sgpr_workgroup_id_z 0
		.amdhsa_system_sgpr_workgroup_info 0
		.amdhsa_system_vgpr_workitem_id 0
		.amdhsa_next_free_vgpr 1
		.amdhsa_next_free_sgpr 0
		.amdhsa_accum_offset 4
		.amdhsa_reserve_vcc 0
		.amdhsa_float_round_mode_32 0
		.amdhsa_float_round_mode_16_64 0
		.amdhsa_float_denorm_mode_32 3
		.amdhsa_float_denorm_mode_16_64 3
		.amdhsa_dx10_clamp 1
		.amdhsa_ieee_mode 1
		.amdhsa_fp16_overflow 0
		.amdhsa_tg_split 0
		.amdhsa_exception_fp_ieee_invalid_op 0
		.amdhsa_exception_fp_denorm_src 0
		.amdhsa_exception_fp_ieee_div_zero 0
		.amdhsa_exception_fp_ieee_overflow 0
		.amdhsa_exception_fp_ieee_underflow 0
		.amdhsa_exception_fp_ieee_inexact 0
		.amdhsa_exception_int_div_zero 0
	.end_amdhsa_kernel
	.section	.text._ZN7rocprim17ROCPRIM_400000_NS6detail17trampoline_kernelINS0_14default_configENS1_25partition_config_selectorILNS1_17partition_subalgoE9EllbEEZZNS1_14partition_implILS5_9ELb0ES3_jPlS8_PNS0_10empty_typeENS0_5tupleIJS8_S9_EEENSB_IJS8_SA_EEENS0_18inequality_wrapperIZN2at6native12_GLOBAL__N_124unique_dim_cuda_templateIhEESt5tupleIJNSF_6TensorESK_SK_EERKSK_lbbbEUlllE0_EEPmJS9_EEE10hipError_tPvRmT3_T4_T5_T6_T7_T9_mT8_P12ihipStream_tbDpT10_ENKUlT_T0_E_clISt17integral_constantIbLb1EES19_IbLb0EEEEDaS15_S16_EUlS15_E_NS1_11comp_targetILNS1_3genE8ELNS1_11target_archE1030ELNS1_3gpuE2ELNS1_3repE0EEENS1_30default_config_static_selectorELNS0_4arch9wavefront6targetE1EEEvT1_,"axG",@progbits,_ZN7rocprim17ROCPRIM_400000_NS6detail17trampoline_kernelINS0_14default_configENS1_25partition_config_selectorILNS1_17partition_subalgoE9EllbEEZZNS1_14partition_implILS5_9ELb0ES3_jPlS8_PNS0_10empty_typeENS0_5tupleIJS8_S9_EEENSB_IJS8_SA_EEENS0_18inequality_wrapperIZN2at6native12_GLOBAL__N_124unique_dim_cuda_templateIhEESt5tupleIJNSF_6TensorESK_SK_EERKSK_lbbbEUlllE0_EEPmJS9_EEE10hipError_tPvRmT3_T4_T5_T6_T7_T9_mT8_P12ihipStream_tbDpT10_ENKUlT_T0_E_clISt17integral_constantIbLb1EES19_IbLb0EEEEDaS15_S16_EUlS15_E_NS1_11comp_targetILNS1_3genE8ELNS1_11target_archE1030ELNS1_3gpuE2ELNS1_3repE0EEENS1_30default_config_static_selectorELNS0_4arch9wavefront6targetE1EEEvT1_,comdat
.Lfunc_end227:
	.size	_ZN7rocprim17ROCPRIM_400000_NS6detail17trampoline_kernelINS0_14default_configENS1_25partition_config_selectorILNS1_17partition_subalgoE9EllbEEZZNS1_14partition_implILS5_9ELb0ES3_jPlS8_PNS0_10empty_typeENS0_5tupleIJS8_S9_EEENSB_IJS8_SA_EEENS0_18inequality_wrapperIZN2at6native12_GLOBAL__N_124unique_dim_cuda_templateIhEESt5tupleIJNSF_6TensorESK_SK_EERKSK_lbbbEUlllE0_EEPmJS9_EEE10hipError_tPvRmT3_T4_T5_T6_T7_T9_mT8_P12ihipStream_tbDpT10_ENKUlT_T0_E_clISt17integral_constantIbLb1EES19_IbLb0EEEEDaS15_S16_EUlS15_E_NS1_11comp_targetILNS1_3genE8ELNS1_11target_archE1030ELNS1_3gpuE2ELNS1_3repE0EEENS1_30default_config_static_selectorELNS0_4arch9wavefront6targetE1EEEvT1_, .Lfunc_end227-_ZN7rocprim17ROCPRIM_400000_NS6detail17trampoline_kernelINS0_14default_configENS1_25partition_config_selectorILNS1_17partition_subalgoE9EllbEEZZNS1_14partition_implILS5_9ELb0ES3_jPlS8_PNS0_10empty_typeENS0_5tupleIJS8_S9_EEENSB_IJS8_SA_EEENS0_18inequality_wrapperIZN2at6native12_GLOBAL__N_124unique_dim_cuda_templateIhEESt5tupleIJNSF_6TensorESK_SK_EERKSK_lbbbEUlllE0_EEPmJS9_EEE10hipError_tPvRmT3_T4_T5_T6_T7_T9_mT8_P12ihipStream_tbDpT10_ENKUlT_T0_E_clISt17integral_constantIbLb1EES19_IbLb0EEEEDaS15_S16_EUlS15_E_NS1_11comp_targetILNS1_3genE8ELNS1_11target_archE1030ELNS1_3gpuE2ELNS1_3repE0EEENS1_30default_config_static_selectorELNS0_4arch9wavefront6targetE1EEEvT1_
                                        ; -- End function
	.set _ZN7rocprim17ROCPRIM_400000_NS6detail17trampoline_kernelINS0_14default_configENS1_25partition_config_selectorILNS1_17partition_subalgoE9EllbEEZZNS1_14partition_implILS5_9ELb0ES3_jPlS8_PNS0_10empty_typeENS0_5tupleIJS8_S9_EEENSB_IJS8_SA_EEENS0_18inequality_wrapperIZN2at6native12_GLOBAL__N_124unique_dim_cuda_templateIhEESt5tupleIJNSF_6TensorESK_SK_EERKSK_lbbbEUlllE0_EEPmJS9_EEE10hipError_tPvRmT3_T4_T5_T6_T7_T9_mT8_P12ihipStream_tbDpT10_ENKUlT_T0_E_clISt17integral_constantIbLb1EES19_IbLb0EEEEDaS15_S16_EUlS15_E_NS1_11comp_targetILNS1_3genE8ELNS1_11target_archE1030ELNS1_3gpuE2ELNS1_3repE0EEENS1_30default_config_static_selectorELNS0_4arch9wavefront6targetE1EEEvT1_.num_vgpr, 0
	.set _ZN7rocprim17ROCPRIM_400000_NS6detail17trampoline_kernelINS0_14default_configENS1_25partition_config_selectorILNS1_17partition_subalgoE9EllbEEZZNS1_14partition_implILS5_9ELb0ES3_jPlS8_PNS0_10empty_typeENS0_5tupleIJS8_S9_EEENSB_IJS8_SA_EEENS0_18inequality_wrapperIZN2at6native12_GLOBAL__N_124unique_dim_cuda_templateIhEESt5tupleIJNSF_6TensorESK_SK_EERKSK_lbbbEUlllE0_EEPmJS9_EEE10hipError_tPvRmT3_T4_T5_T6_T7_T9_mT8_P12ihipStream_tbDpT10_ENKUlT_T0_E_clISt17integral_constantIbLb1EES19_IbLb0EEEEDaS15_S16_EUlS15_E_NS1_11comp_targetILNS1_3genE8ELNS1_11target_archE1030ELNS1_3gpuE2ELNS1_3repE0EEENS1_30default_config_static_selectorELNS0_4arch9wavefront6targetE1EEEvT1_.num_agpr, 0
	.set _ZN7rocprim17ROCPRIM_400000_NS6detail17trampoline_kernelINS0_14default_configENS1_25partition_config_selectorILNS1_17partition_subalgoE9EllbEEZZNS1_14partition_implILS5_9ELb0ES3_jPlS8_PNS0_10empty_typeENS0_5tupleIJS8_S9_EEENSB_IJS8_SA_EEENS0_18inequality_wrapperIZN2at6native12_GLOBAL__N_124unique_dim_cuda_templateIhEESt5tupleIJNSF_6TensorESK_SK_EERKSK_lbbbEUlllE0_EEPmJS9_EEE10hipError_tPvRmT3_T4_T5_T6_T7_T9_mT8_P12ihipStream_tbDpT10_ENKUlT_T0_E_clISt17integral_constantIbLb1EES19_IbLb0EEEEDaS15_S16_EUlS15_E_NS1_11comp_targetILNS1_3genE8ELNS1_11target_archE1030ELNS1_3gpuE2ELNS1_3repE0EEENS1_30default_config_static_selectorELNS0_4arch9wavefront6targetE1EEEvT1_.numbered_sgpr, 0
	.set _ZN7rocprim17ROCPRIM_400000_NS6detail17trampoline_kernelINS0_14default_configENS1_25partition_config_selectorILNS1_17partition_subalgoE9EllbEEZZNS1_14partition_implILS5_9ELb0ES3_jPlS8_PNS0_10empty_typeENS0_5tupleIJS8_S9_EEENSB_IJS8_SA_EEENS0_18inequality_wrapperIZN2at6native12_GLOBAL__N_124unique_dim_cuda_templateIhEESt5tupleIJNSF_6TensorESK_SK_EERKSK_lbbbEUlllE0_EEPmJS9_EEE10hipError_tPvRmT3_T4_T5_T6_T7_T9_mT8_P12ihipStream_tbDpT10_ENKUlT_T0_E_clISt17integral_constantIbLb1EES19_IbLb0EEEEDaS15_S16_EUlS15_E_NS1_11comp_targetILNS1_3genE8ELNS1_11target_archE1030ELNS1_3gpuE2ELNS1_3repE0EEENS1_30default_config_static_selectorELNS0_4arch9wavefront6targetE1EEEvT1_.num_named_barrier, 0
	.set _ZN7rocprim17ROCPRIM_400000_NS6detail17trampoline_kernelINS0_14default_configENS1_25partition_config_selectorILNS1_17partition_subalgoE9EllbEEZZNS1_14partition_implILS5_9ELb0ES3_jPlS8_PNS0_10empty_typeENS0_5tupleIJS8_S9_EEENSB_IJS8_SA_EEENS0_18inequality_wrapperIZN2at6native12_GLOBAL__N_124unique_dim_cuda_templateIhEESt5tupleIJNSF_6TensorESK_SK_EERKSK_lbbbEUlllE0_EEPmJS9_EEE10hipError_tPvRmT3_T4_T5_T6_T7_T9_mT8_P12ihipStream_tbDpT10_ENKUlT_T0_E_clISt17integral_constantIbLb1EES19_IbLb0EEEEDaS15_S16_EUlS15_E_NS1_11comp_targetILNS1_3genE8ELNS1_11target_archE1030ELNS1_3gpuE2ELNS1_3repE0EEENS1_30default_config_static_selectorELNS0_4arch9wavefront6targetE1EEEvT1_.private_seg_size, 0
	.set _ZN7rocprim17ROCPRIM_400000_NS6detail17trampoline_kernelINS0_14default_configENS1_25partition_config_selectorILNS1_17partition_subalgoE9EllbEEZZNS1_14partition_implILS5_9ELb0ES3_jPlS8_PNS0_10empty_typeENS0_5tupleIJS8_S9_EEENSB_IJS8_SA_EEENS0_18inequality_wrapperIZN2at6native12_GLOBAL__N_124unique_dim_cuda_templateIhEESt5tupleIJNSF_6TensorESK_SK_EERKSK_lbbbEUlllE0_EEPmJS9_EEE10hipError_tPvRmT3_T4_T5_T6_T7_T9_mT8_P12ihipStream_tbDpT10_ENKUlT_T0_E_clISt17integral_constantIbLb1EES19_IbLb0EEEEDaS15_S16_EUlS15_E_NS1_11comp_targetILNS1_3genE8ELNS1_11target_archE1030ELNS1_3gpuE2ELNS1_3repE0EEENS1_30default_config_static_selectorELNS0_4arch9wavefront6targetE1EEEvT1_.uses_vcc, 0
	.set _ZN7rocprim17ROCPRIM_400000_NS6detail17trampoline_kernelINS0_14default_configENS1_25partition_config_selectorILNS1_17partition_subalgoE9EllbEEZZNS1_14partition_implILS5_9ELb0ES3_jPlS8_PNS0_10empty_typeENS0_5tupleIJS8_S9_EEENSB_IJS8_SA_EEENS0_18inequality_wrapperIZN2at6native12_GLOBAL__N_124unique_dim_cuda_templateIhEESt5tupleIJNSF_6TensorESK_SK_EERKSK_lbbbEUlllE0_EEPmJS9_EEE10hipError_tPvRmT3_T4_T5_T6_T7_T9_mT8_P12ihipStream_tbDpT10_ENKUlT_T0_E_clISt17integral_constantIbLb1EES19_IbLb0EEEEDaS15_S16_EUlS15_E_NS1_11comp_targetILNS1_3genE8ELNS1_11target_archE1030ELNS1_3gpuE2ELNS1_3repE0EEENS1_30default_config_static_selectorELNS0_4arch9wavefront6targetE1EEEvT1_.uses_flat_scratch, 0
	.set _ZN7rocprim17ROCPRIM_400000_NS6detail17trampoline_kernelINS0_14default_configENS1_25partition_config_selectorILNS1_17partition_subalgoE9EllbEEZZNS1_14partition_implILS5_9ELb0ES3_jPlS8_PNS0_10empty_typeENS0_5tupleIJS8_S9_EEENSB_IJS8_SA_EEENS0_18inequality_wrapperIZN2at6native12_GLOBAL__N_124unique_dim_cuda_templateIhEESt5tupleIJNSF_6TensorESK_SK_EERKSK_lbbbEUlllE0_EEPmJS9_EEE10hipError_tPvRmT3_T4_T5_T6_T7_T9_mT8_P12ihipStream_tbDpT10_ENKUlT_T0_E_clISt17integral_constantIbLb1EES19_IbLb0EEEEDaS15_S16_EUlS15_E_NS1_11comp_targetILNS1_3genE8ELNS1_11target_archE1030ELNS1_3gpuE2ELNS1_3repE0EEENS1_30default_config_static_selectorELNS0_4arch9wavefront6targetE1EEEvT1_.has_dyn_sized_stack, 0
	.set _ZN7rocprim17ROCPRIM_400000_NS6detail17trampoline_kernelINS0_14default_configENS1_25partition_config_selectorILNS1_17partition_subalgoE9EllbEEZZNS1_14partition_implILS5_9ELb0ES3_jPlS8_PNS0_10empty_typeENS0_5tupleIJS8_S9_EEENSB_IJS8_SA_EEENS0_18inequality_wrapperIZN2at6native12_GLOBAL__N_124unique_dim_cuda_templateIhEESt5tupleIJNSF_6TensorESK_SK_EERKSK_lbbbEUlllE0_EEPmJS9_EEE10hipError_tPvRmT3_T4_T5_T6_T7_T9_mT8_P12ihipStream_tbDpT10_ENKUlT_T0_E_clISt17integral_constantIbLb1EES19_IbLb0EEEEDaS15_S16_EUlS15_E_NS1_11comp_targetILNS1_3genE8ELNS1_11target_archE1030ELNS1_3gpuE2ELNS1_3repE0EEENS1_30default_config_static_selectorELNS0_4arch9wavefront6targetE1EEEvT1_.has_recursion, 0
	.set _ZN7rocprim17ROCPRIM_400000_NS6detail17trampoline_kernelINS0_14default_configENS1_25partition_config_selectorILNS1_17partition_subalgoE9EllbEEZZNS1_14partition_implILS5_9ELb0ES3_jPlS8_PNS0_10empty_typeENS0_5tupleIJS8_S9_EEENSB_IJS8_SA_EEENS0_18inequality_wrapperIZN2at6native12_GLOBAL__N_124unique_dim_cuda_templateIhEESt5tupleIJNSF_6TensorESK_SK_EERKSK_lbbbEUlllE0_EEPmJS9_EEE10hipError_tPvRmT3_T4_T5_T6_T7_T9_mT8_P12ihipStream_tbDpT10_ENKUlT_T0_E_clISt17integral_constantIbLb1EES19_IbLb0EEEEDaS15_S16_EUlS15_E_NS1_11comp_targetILNS1_3genE8ELNS1_11target_archE1030ELNS1_3gpuE2ELNS1_3repE0EEENS1_30default_config_static_selectorELNS0_4arch9wavefront6targetE1EEEvT1_.has_indirect_call, 0
	.section	.AMDGPU.csdata,"",@progbits
; Kernel info:
; codeLenInByte = 0
; TotalNumSgprs: 6
; NumVgprs: 0
; NumAgprs: 0
; TotalNumVgprs: 0
; ScratchSize: 0
; MemoryBound: 0
; FloatMode: 240
; IeeeMode: 1
; LDSByteSize: 0 bytes/workgroup (compile time only)
; SGPRBlocks: 0
; VGPRBlocks: 0
; NumSGPRsForWavesPerEU: 6
; NumVGPRsForWavesPerEU: 1
; AccumOffset: 4
; Occupancy: 8
; WaveLimiterHint : 0
; COMPUTE_PGM_RSRC2:SCRATCH_EN: 0
; COMPUTE_PGM_RSRC2:USER_SGPR: 2
; COMPUTE_PGM_RSRC2:TRAP_HANDLER: 0
; COMPUTE_PGM_RSRC2:TGID_X_EN: 1
; COMPUTE_PGM_RSRC2:TGID_Y_EN: 0
; COMPUTE_PGM_RSRC2:TGID_Z_EN: 0
; COMPUTE_PGM_RSRC2:TIDIG_COMP_CNT: 0
; COMPUTE_PGM_RSRC3_GFX90A:ACCUM_OFFSET: 0
; COMPUTE_PGM_RSRC3_GFX90A:TG_SPLIT: 0
	.section	.text._ZN7rocprim17ROCPRIM_400000_NS6detail17trampoline_kernelINS0_14default_configENS1_25partition_config_selectorILNS1_17partition_subalgoE9EllbEEZZNS1_14partition_implILS5_9ELb0ES3_jPlS8_PNS0_10empty_typeENS0_5tupleIJS8_S9_EEENSB_IJS8_SA_EEENS0_18inequality_wrapperIZN2at6native12_GLOBAL__N_124unique_dim_cuda_templateIhEESt5tupleIJNSF_6TensorESK_SK_EERKSK_lbbbEUlllE0_EEPmJS9_EEE10hipError_tPvRmT3_T4_T5_T6_T7_T9_mT8_P12ihipStream_tbDpT10_ENKUlT_T0_E_clISt17integral_constantIbLb0EES19_IbLb1EEEEDaS15_S16_EUlS15_E_NS1_11comp_targetILNS1_3genE0ELNS1_11target_archE4294967295ELNS1_3gpuE0ELNS1_3repE0EEENS1_30default_config_static_selectorELNS0_4arch9wavefront6targetE1EEEvT1_,"axG",@progbits,_ZN7rocprim17ROCPRIM_400000_NS6detail17trampoline_kernelINS0_14default_configENS1_25partition_config_selectorILNS1_17partition_subalgoE9EllbEEZZNS1_14partition_implILS5_9ELb0ES3_jPlS8_PNS0_10empty_typeENS0_5tupleIJS8_S9_EEENSB_IJS8_SA_EEENS0_18inequality_wrapperIZN2at6native12_GLOBAL__N_124unique_dim_cuda_templateIhEESt5tupleIJNSF_6TensorESK_SK_EERKSK_lbbbEUlllE0_EEPmJS9_EEE10hipError_tPvRmT3_T4_T5_T6_T7_T9_mT8_P12ihipStream_tbDpT10_ENKUlT_T0_E_clISt17integral_constantIbLb0EES19_IbLb1EEEEDaS15_S16_EUlS15_E_NS1_11comp_targetILNS1_3genE0ELNS1_11target_archE4294967295ELNS1_3gpuE0ELNS1_3repE0EEENS1_30default_config_static_selectorELNS0_4arch9wavefront6targetE1EEEvT1_,comdat
	.globl	_ZN7rocprim17ROCPRIM_400000_NS6detail17trampoline_kernelINS0_14default_configENS1_25partition_config_selectorILNS1_17partition_subalgoE9EllbEEZZNS1_14partition_implILS5_9ELb0ES3_jPlS8_PNS0_10empty_typeENS0_5tupleIJS8_S9_EEENSB_IJS8_SA_EEENS0_18inequality_wrapperIZN2at6native12_GLOBAL__N_124unique_dim_cuda_templateIhEESt5tupleIJNSF_6TensorESK_SK_EERKSK_lbbbEUlllE0_EEPmJS9_EEE10hipError_tPvRmT3_T4_T5_T6_T7_T9_mT8_P12ihipStream_tbDpT10_ENKUlT_T0_E_clISt17integral_constantIbLb0EES19_IbLb1EEEEDaS15_S16_EUlS15_E_NS1_11comp_targetILNS1_3genE0ELNS1_11target_archE4294967295ELNS1_3gpuE0ELNS1_3repE0EEENS1_30default_config_static_selectorELNS0_4arch9wavefront6targetE1EEEvT1_ ; -- Begin function _ZN7rocprim17ROCPRIM_400000_NS6detail17trampoline_kernelINS0_14default_configENS1_25partition_config_selectorILNS1_17partition_subalgoE9EllbEEZZNS1_14partition_implILS5_9ELb0ES3_jPlS8_PNS0_10empty_typeENS0_5tupleIJS8_S9_EEENSB_IJS8_SA_EEENS0_18inequality_wrapperIZN2at6native12_GLOBAL__N_124unique_dim_cuda_templateIhEESt5tupleIJNSF_6TensorESK_SK_EERKSK_lbbbEUlllE0_EEPmJS9_EEE10hipError_tPvRmT3_T4_T5_T6_T7_T9_mT8_P12ihipStream_tbDpT10_ENKUlT_T0_E_clISt17integral_constantIbLb0EES19_IbLb1EEEEDaS15_S16_EUlS15_E_NS1_11comp_targetILNS1_3genE0ELNS1_11target_archE4294967295ELNS1_3gpuE0ELNS1_3repE0EEENS1_30default_config_static_selectorELNS0_4arch9wavefront6targetE1EEEvT1_
	.p2align	8
	.type	_ZN7rocprim17ROCPRIM_400000_NS6detail17trampoline_kernelINS0_14default_configENS1_25partition_config_selectorILNS1_17partition_subalgoE9EllbEEZZNS1_14partition_implILS5_9ELb0ES3_jPlS8_PNS0_10empty_typeENS0_5tupleIJS8_S9_EEENSB_IJS8_SA_EEENS0_18inequality_wrapperIZN2at6native12_GLOBAL__N_124unique_dim_cuda_templateIhEESt5tupleIJNSF_6TensorESK_SK_EERKSK_lbbbEUlllE0_EEPmJS9_EEE10hipError_tPvRmT3_T4_T5_T6_T7_T9_mT8_P12ihipStream_tbDpT10_ENKUlT_T0_E_clISt17integral_constantIbLb0EES19_IbLb1EEEEDaS15_S16_EUlS15_E_NS1_11comp_targetILNS1_3genE0ELNS1_11target_archE4294967295ELNS1_3gpuE0ELNS1_3repE0EEENS1_30default_config_static_selectorELNS0_4arch9wavefront6targetE1EEEvT1_,@function
_ZN7rocprim17ROCPRIM_400000_NS6detail17trampoline_kernelINS0_14default_configENS1_25partition_config_selectorILNS1_17partition_subalgoE9EllbEEZZNS1_14partition_implILS5_9ELb0ES3_jPlS8_PNS0_10empty_typeENS0_5tupleIJS8_S9_EEENSB_IJS8_SA_EEENS0_18inequality_wrapperIZN2at6native12_GLOBAL__N_124unique_dim_cuda_templateIhEESt5tupleIJNSF_6TensorESK_SK_EERKSK_lbbbEUlllE0_EEPmJS9_EEE10hipError_tPvRmT3_T4_T5_T6_T7_T9_mT8_P12ihipStream_tbDpT10_ENKUlT_T0_E_clISt17integral_constantIbLb0EES19_IbLb1EEEEDaS15_S16_EUlS15_E_NS1_11comp_targetILNS1_3genE0ELNS1_11target_archE4294967295ELNS1_3gpuE0ELNS1_3repE0EEENS1_30default_config_static_selectorELNS0_4arch9wavefront6targetE1EEEvT1_: ; @_ZN7rocprim17ROCPRIM_400000_NS6detail17trampoline_kernelINS0_14default_configENS1_25partition_config_selectorILNS1_17partition_subalgoE9EllbEEZZNS1_14partition_implILS5_9ELb0ES3_jPlS8_PNS0_10empty_typeENS0_5tupleIJS8_S9_EEENSB_IJS8_SA_EEENS0_18inequality_wrapperIZN2at6native12_GLOBAL__N_124unique_dim_cuda_templateIhEESt5tupleIJNSF_6TensorESK_SK_EERKSK_lbbbEUlllE0_EEPmJS9_EEE10hipError_tPvRmT3_T4_T5_T6_T7_T9_mT8_P12ihipStream_tbDpT10_ENKUlT_T0_E_clISt17integral_constantIbLb0EES19_IbLb1EEEEDaS15_S16_EUlS15_E_NS1_11comp_targetILNS1_3genE0ELNS1_11target_archE4294967295ELNS1_3gpuE0ELNS1_3repE0EEENS1_30default_config_static_selectorELNS0_4arch9wavefront6targetE1EEEvT1_
; %bb.0:
	s_load_dwordx4 s[4:7], s[0:1], 0x8
	s_load_dwordx2 s[10:11], s[0:1], 0x18
	s_load_dwordx8 s[20:27], s[0:1], 0x40
	s_load_dwordx4 s[36:39], s[0:1], 0x60
	v_cmp_ne_u32_e64 s[2:3], 0, v0
	v_cmp_eq_u32_e64 s[18:19], 0, v0
	s_and_saveexec_b64 s[8:9], s[18:19]
	s_cbranch_execz .LBB228_4
; %bb.1:
	s_mov_b64 s[14:15], exec
	v_mbcnt_lo_u32_b32 v1, s14, 0
	v_mbcnt_hi_u32_b32 v1, s15, v1
	v_cmp_eq_u32_e32 vcc, 0, v1
                                        ; implicit-def: $vgpr2
	s_and_saveexec_b64 s[12:13], vcc
	s_cbranch_execz .LBB228_3
; %bb.2:
	s_load_dwordx2 s[16:17], s[0:1], 0x78
	s_bcnt1_i32_b64 s14, s[14:15]
	v_mov_b32_e32 v2, 0
	v_mov_b32_e32 v3, s14
	s_waitcnt lgkmcnt(0)
	global_atomic_add v2, v2, v3, s[16:17] sc0
.LBB228_3:
	s_or_b64 exec, exec, s[12:13]
	s_waitcnt vmcnt(0)
	v_readfirstlane_b32 s12, v2
	v_mov_b32_e32 v2, 0
	s_nop 0
	v_add_u32_e32 v1, s12, v1
	ds_write_b32 v2, v1
.LBB228_4:
	s_or_b64 exec, exec, s[8:9]
	v_mov_b32_e32 v3, 0
	s_load_dwordx4 s[28:31], s[0:1], 0x28
	s_load_dword s8, s[0:1], 0x70
	s_waitcnt lgkmcnt(0)
	s_barrier
	ds_read_b32 v1, v3
	s_waitcnt lgkmcnt(0)
	s_barrier
	global_load_dwordx2 v[4:5], v3, s[22:23]
	s_lshl_b64 s[12:13], s[6:7], 3
	s_mul_i32 s14, s8, 0x280
	s_add_u32 s16, s4, s12
	s_addc_u32 s17, s5, s13
	s_add_i32 s4, s14, s6
	s_sub_i32 s48, s24, s4
	s_add_i32 s15, s8, -1
	s_addk_i32 s48, 0x280
	s_add_u32 s4, s6, s14
	v_readfirstlane_b32 s33, v1
	s_addc_u32 s5, s7, 0
	v_mov_b64_e32 v[6:7], s[4:5]
	s_cmp_eq_u32 s33, s15
	s_mov_b32 s9, 0
	s_mul_i32 s8, s33, 0x280
	v_cmp_le_u64_e32 vcc, s[24:25], v[6:7]
	s_cselect_b64 s[24:25], -1, 0
	s_lshl_b64 s[14:15], s[8:9], 3
	s_and_b64 s[8:9], vcc, s[24:25]
	s_xor_b64 s[34:35], s[8:9], -1
	s_add_u32 s4, s16, s14
	s_mov_b64 s[0:1], -1
	v_lshlrev_b32_e32 v32, 3, v0
	s_addc_u32 s5, s17, s15
	s_and_b64 vcc, exec, s[34:35]
	s_waitcnt vmcnt(0)
	v_readfirstlane_b32 s22, v4
	v_readfirstlane_b32 s23, v5
	s_cbranch_vccz .LBB228_6
; %bb.5:
	v_lshlrev_b32_e32 v2, 3, v0
	v_lshl_add_u64 v[4:5], s[4:5], 0, v[2:3]
	v_add_co_u32_e32 v4, vcc, 0x1000, v4
	global_load_dwordx2 v[6:7], v2, s[4:5] offset:3072
	s_nop 0
	v_addc_co_u32_e32 v5, vcc, 0, v5, vcc
	global_load_dwordx2 v[8:9], v2, s[4:5]
	global_load_dwordx2 v[10:11], v2, s[4:5] offset:1024
	global_load_dwordx2 v[12:13], v2, s[4:5] offset:2048
	global_load_dwordx2 v[14:15], v[4:5], off
	s_mov_b64 s[0:1], 0
	s_waitcnt vmcnt(2)
	ds_write2st64_b64 v2, v[8:9], v[10:11] offset1:2
	s_waitcnt vmcnt(1)
	ds_write2st64_b64 v2, v[12:13], v[6:7] offset0:4 offset1:6
	s_waitcnt vmcnt(0)
	ds_write_b64 v2, v[14:15] offset:4096
	s_waitcnt lgkmcnt(0)
	s_barrier
.LBB228_6:
	s_andn2_b64 vcc, exec, s[0:1]
	v_cmp_gt_u32_e64 s[0:1], s48, v0
	s_cbranch_vccnz .LBB228_18
; %bb.7:
	v_mov_b32_e32 v2, 0
	v_mov_b32_e32 v3, v2
	;; [unrolled: 1-line block ×10, first 2 shown]
	s_and_saveexec_b64 s[16:17], s[0:1]
	s_cbranch_execz .LBB228_9
; %bb.8:
	v_lshlrev_b32_e32 v1, 3, v0
	global_load_dwordx2 v[4:5], v1, s[4:5]
	v_mov_b32_e32 v6, v2
	v_mov_b32_e32 v7, v2
	;; [unrolled: 1-line block ×8, first 2 shown]
	s_waitcnt vmcnt(0)
	v_mov_b64_e32 v[2:3], v[4:5]
	v_mov_b64_e32 v[4:5], v[6:7]
	;; [unrolled: 1-line block ×8, first 2 shown]
.LBB228_9:
	s_or_b64 exec, exec, s[16:17]
	v_or_b32_e32 v1, 0x80, v0
	v_cmp_gt_u32_e32 vcc, s48, v1
	s_and_saveexec_b64 s[0:1], vcc
	s_cbranch_execz .LBB228_11
; %bb.10:
	v_lshlrev_b32_e32 v1, 3, v0
	global_load_dwordx2 v[4:5], v1, s[4:5] offset:1024
.LBB228_11:
	s_or_b64 exec, exec, s[0:1]
	v_or_b32_e32 v1, 0x100, v0
	v_cmp_gt_u32_e32 vcc, s48, v1
	s_and_saveexec_b64 s[0:1], vcc
	s_cbranch_execz .LBB228_13
; %bb.12:
	v_lshlrev_b32_e32 v1, 3, v0
	global_load_dwordx2 v[6:7], v1, s[4:5] offset:2048
.LBB228_13:
	;; [unrolled: 9-line block ×3, first 2 shown]
	s_or_b64 exec, exec, s[0:1]
	v_or_b32_e32 v1, 0x200, v0
	v_cmp_gt_u32_e32 vcc, s48, v1
	s_and_saveexec_b64 s[0:1], vcc
	s_cbranch_execz .LBB228_17
; %bb.16:
	v_lshlrev_b32_e32 v1, 3, v1
	global_load_dwordx2 v[10:11], v1, s[4:5]
.LBB228_17:
	s_or_b64 exec, exec, s[0:1]
	v_lshlrev_b32_e32 v1, 3, v0
	s_waitcnt vmcnt(0)
	ds_write2st64_b64 v1, v[2:3], v[4:5] offset1:2
	ds_write2st64_b64 v1, v[6:7], v[8:9] offset0:4 offset1:6
	ds_write_b64 v1, v[10:11] offset:4096
	s_waitcnt lgkmcnt(0)
	s_barrier
.LBB228_18:
	v_mul_u32_u24_e32 v1, 5, v0
	v_lshlrev_b32_e32 v22, 3, v1
	ds_read2_b64 v[6:9], v22 offset1:1
	ds_read2_b64 v[2:5], v22 offset0:2 offset1:3
	ds_read_b64 v[12:13], v22 offset:32
	s_add_u32 s0, s10, s12
	s_addc_u32 s1, s11, s13
	s_add_u32 s0, s0, s14
	s_addc_u32 s1, s1, s15
	s_mov_b64 s[10:11], -1
	s_and_b64 vcc, exec, s[34:35]
	s_waitcnt lgkmcnt(0)
	s_barrier
	s_cbranch_vccz .LBB228_20
; %bb.19:
	v_lshlrev_b32_e32 v10, 3, v0
	v_mov_b32_e32 v11, 0
	v_lshl_add_u64 v[14:15], s[0:1], 0, v[10:11]
	v_add_co_u32_e32 v14, vcc, 0x1000, v14
	global_load_dwordx2 v[16:17], v10, s[0:1] offset:3072
	s_nop 0
	v_addc_co_u32_e32 v15, vcc, 0, v15, vcc
	global_load_dwordx2 v[18:19], v10, s[0:1]
	global_load_dwordx2 v[20:21], v10, s[0:1] offset:1024
	global_load_dwordx2 v[24:25], v10, s[0:1] offset:2048
	global_load_dwordx2 v[26:27], v[14:15], off
	s_mov_b64 s[10:11], 0
	s_waitcnt vmcnt(2)
	ds_write2st64_b64 v10, v[18:19], v[20:21] offset1:2
	s_waitcnt vmcnt(1)
	ds_write2st64_b64 v10, v[24:25], v[16:17] offset0:4 offset1:6
	s_waitcnt vmcnt(0)
	ds_write_b64 v10, v[26:27] offset:4096
	s_waitcnt lgkmcnt(0)
	s_barrier
.LBB228_20:
	s_andn2_b64 vcc, exec, s[10:11]
	s_cbranch_vccnz .LBB228_32
; %bb.21:
	v_cmp_gt_u32_e32 vcc, s48, v0
                                        ; implicit-def: $vgpr10_vgpr11
	s_and_saveexec_b64 s[10:11], vcc
	s_cbranch_execz .LBB228_23
; %bb.22:
	v_lshlrev_b32_e32 v10, 3, v0
	global_load_dwordx2 v[10:11], v10, s[0:1]
.LBB228_23:
	s_or_b64 exec, exec, s[10:11]
	v_or_b32_e32 v14, 0x80, v0
	v_cmp_gt_u32_e32 vcc, s48, v14
                                        ; implicit-def: $vgpr14_vgpr15
	s_and_saveexec_b64 s[10:11], vcc
	s_cbranch_execz .LBB228_25
; %bb.24:
	v_lshlrev_b32_e32 v14, 3, v0
	global_load_dwordx2 v[14:15], v14, s[0:1] offset:1024
.LBB228_25:
	s_or_b64 exec, exec, s[10:11]
	v_or_b32_e32 v16, 0x100, v0
	v_cmp_gt_u32_e32 vcc, s48, v16
                                        ; implicit-def: $vgpr16_vgpr17
	s_and_saveexec_b64 s[10:11], vcc
	s_cbranch_execz .LBB228_27
; %bb.26:
	v_lshlrev_b32_e32 v16, 3, v0
	global_load_dwordx2 v[16:17], v16, s[0:1] offset:2048
.LBB228_27:
	s_or_b64 exec, exec, s[10:11]
	v_or_b32_e32 v18, 0x180, v0
	v_cmp_gt_u32_e32 vcc, s48, v18
                                        ; implicit-def: $vgpr18_vgpr19
	s_and_saveexec_b64 s[10:11], vcc
	s_cbranch_execz .LBB228_29
; %bb.28:
	v_lshlrev_b32_e32 v18, 3, v0
	global_load_dwordx2 v[18:19], v18, s[0:1] offset:3072
.LBB228_29:
	s_or_b64 exec, exec, s[10:11]
	v_or_b32_e32 v20, 0x200, v0
	v_cmp_gt_u32_e32 vcc, s48, v20
                                        ; implicit-def: $vgpr24_vgpr25
	s_and_saveexec_b64 s[10:11], vcc
	s_cbranch_execz .LBB228_31
; %bb.30:
	v_lshlrev_b32_e32 v20, 3, v20
	global_load_dwordx2 v[24:25], v20, s[0:1]
.LBB228_31:
	s_or_b64 exec, exec, s[10:11]
	v_lshlrev_b32_e32 v20, 5, v0
	v_sub_u32_e32 v20, v22, v20
	s_waitcnt vmcnt(0)
	ds_write2st64_b64 v20, v[10:11], v[14:15] offset1:2
	ds_write2st64_b64 v20, v[16:17], v[18:19] offset0:4 offset1:6
	ds_write_b64 v20, v[24:25] offset:4096
	s_waitcnt lgkmcnt(0)
	s_barrier
.LBB228_32:
	ds_read_b64 v[10:11], v22 offset:32
	ds_read2_b64 v[52:55], v22 offset0:2 offset1:3
	ds_read2_b64 v[56:59], v22 offset1:1
	s_cmp_lg_u32 s33, 0
	s_cselect_b64 s[16:17], -1, 0
	s_cmp_lg_u64 s[6:7], 0
	s_cselect_b64 s[0:1], -1, 0
	s_or_b64 s[0:1], s[0:1], s[16:17]
	s_mov_b64 s[10:11], 0
	s_and_b64 vcc, exec, s[0:1]
	v_cmp_gt_i64_e64 s[6:7], s[26:27], 0
	s_waitcnt lgkmcnt(0)
	s_barrier
	s_cbranch_vccz .LBB228_51
; %bb.33:
	v_mov_b32_e32 v16, 0
	global_load_dwordx2 v[14:15], v16, s[4:5] offset:-8
	v_cndmask_b32_e64 v17, 0, 1, s[6:7]
	v_lshlrev_b32_e32 v23, 3, v0
	s_mov_b64 s[0:1], 0
	s_and_b64 vcc, exec, s[34:35]
	v_cmp_ne_u32_e64 s[4:5], 1, v17
	ds_write_b64 v23, v[12:13]
	s_cbranch_vccz .LBB228_53
; %bb.34:
	s_and_b64 vcc, exec, s[4:5]
	v_mov_b32_e32 v33, 0
	s_cbranch_vccnz .LBB228_44
; %bb.35:
	v_mov_b64_e32 v[18:19], s[36:37]
	v_mad_u64_u32 v[16:17], s[0:1], v4, s26, v[18:19]
	v_mul_lo_u32 v20, v4, s27
	v_mul_lo_u32 v21, v5, s26
	s_add_u32 s10, s26, -1
	v_add3_u32 v17, v21, v17, v20
	v_mad_u64_u32 v[18:19], s[0:1], v12, s26, v[18:19]
	v_mul_lo_u32 v20, v12, s27
	v_mul_lo_u32 v21, v13, s26
	s_addc_u32 s11, s27, -1
	v_add3_u32 v19, v21, v19, v20
	s_mov_b64 s[12:13], 0
	s_mov_b64 s[14:15], s[10:11]
	v_mov_b64_e32 v[20:21], v[16:17]
                                        ; implicit-def: $sgpr6_sgpr7
.LBB228_36:                             ; =>This Inner Loop Header: Depth=1
	global_load_ubyte v24, v[20:21], off
	global_load_ubyte v25, v[18:19], off
	s_add_u32 s0, s14, -1
	s_addc_u32 s1, s15, -1
	s_cmp_eq_u64 s[14:15], 0
	s_mov_b64 s[14:15], s[0:1]
	s_cselect_b64 s[40:41], -1, 0
	v_lshl_add_u64 v[20:21], v[20:21], 0, 1
	v_lshl_add_u64 v[18:19], v[18:19], 0, 1
	s_waitcnt vmcnt(0)
	v_cmp_ne_u16_e64 s[0:1], v24, v25
	s_or_b64 s[0:1], s[0:1], s[40:41]
	s_and_b64 s[0:1], exec, s[0:1]
	v_cmp_eq_u16_e32 vcc, v24, v25
	s_or_b64 s[12:13], s[0:1], s[12:13]
	s_andn2_b64 s[0:1], s[6:7], exec
	s_and_b64 s[6:7], vcc, exec
	s_or_b64 s[6:7], s[0:1], s[6:7]
	s_andn2_b64 exec, exec, s[12:13]
	s_cbranch_execnz .LBB228_36
; %bb.37:
	s_or_b64 exec, exec, s[12:13]
	v_mov_b64_e32 v[18:19], s[36:37]
	v_mad_u64_u32 v[18:19], s[0:1], v2, s26, v[18:19]
	v_mul_lo_u32 v20, v2, s27
	v_mul_lo_u32 v21, v3, s26
	v_add3_u32 v19, v21, v19, v20
	s_mov_b64 s[14:15], 0
	s_mov_b64 s[40:41], s[10:11]
	v_mov_b64_e32 v[20:21], v[18:19]
                                        ; implicit-def: $sgpr12_sgpr13
.LBB228_38:                             ; =>This Inner Loop Header: Depth=1
	global_load_ubyte v24, v[20:21], off
	global_load_ubyte v25, v[16:17], off
	s_add_u32 s0, s40, -1
	s_addc_u32 s1, s41, -1
	s_cmp_eq_u64 s[40:41], 0
	s_mov_b64 s[40:41], s[0:1]
	s_cselect_b64 s[42:43], -1, 0
	v_lshl_add_u64 v[20:21], v[20:21], 0, 1
	v_lshl_add_u64 v[16:17], v[16:17], 0, 1
	s_waitcnt vmcnt(0)
	v_cmp_ne_u16_e64 s[0:1], v24, v25
	s_or_b64 s[0:1], s[0:1], s[42:43]
	s_and_b64 s[0:1], exec, s[0:1]
	v_cmp_eq_u16_e32 vcc, v24, v25
	s_or_b64 s[14:15], s[0:1], s[14:15]
	s_andn2_b64 s[0:1], s[12:13], exec
	s_and_b64 s[12:13], vcc, exec
	s_or_b64 s[12:13], s[0:1], s[12:13]
	s_andn2_b64 exec, exec, s[14:15]
	s_cbranch_execnz .LBB228_38
; %bb.39:
	s_or_b64 exec, exec, s[14:15]
	v_mov_b64_e32 v[16:17], s[36:37]
	v_mad_u64_u32 v[16:17], s[0:1], v8, s26, v[16:17]
	v_mul_lo_u32 v20, v8, s27
	v_mul_lo_u32 v21, v9, s26
	v_add3_u32 v17, v21, v17, v20
	s_mov_b64 s[40:41], 0
	s_mov_b64 s[42:43], s[10:11]
	v_mov_b64_e32 v[20:21], v[16:17]
                                        ; implicit-def: $sgpr14_sgpr15
.LBB228_40:                             ; =>This Inner Loop Header: Depth=1
	global_load_ubyte v24, v[20:21], off
	global_load_ubyte v25, v[18:19], off
	s_add_u32 s0, s42, -1
	s_addc_u32 s1, s43, -1
	s_cmp_eq_u64 s[42:43], 0
	s_mov_b64 s[42:43], s[0:1]
	s_cselect_b64 s[44:45], -1, 0
	v_lshl_add_u64 v[20:21], v[20:21], 0, 1
	v_lshl_add_u64 v[18:19], v[18:19], 0, 1
	s_waitcnt vmcnt(0)
	v_cmp_ne_u16_e64 s[0:1], v24, v25
	s_or_b64 s[0:1], s[0:1], s[44:45]
	s_and_b64 s[0:1], exec, s[0:1]
	v_cmp_eq_u16_e32 vcc, v24, v25
	s_or_b64 s[40:41], s[0:1], s[40:41]
	s_andn2_b64 s[0:1], s[14:15], exec
	s_and_b64 s[14:15], vcc, exec
	s_or_b64 s[14:15], s[0:1], s[14:15]
	s_andn2_b64 exec, exec, s[40:41]
	s_cbranch_execnz .LBB228_40
; %bb.41:
	s_or_b64 exec, exec, s[40:41]
	v_mov_b64_e32 v[18:19], s[36:37]
	v_mad_u64_u32 v[18:19], s[0:1], v6, s26, v[18:19]
	v_mul_lo_u32 v20, v6, s27
	v_mul_lo_u32 v21, v7, s26
	v_add3_u32 v19, v21, v19, v20
	s_mov_b64 s[42:43], 0
                                        ; implicit-def: $sgpr40_sgpr41
.LBB228_42:                             ; =>This Inner Loop Header: Depth=1
	global_load_ubyte v20, v[18:19], off
	global_load_ubyte v21, v[16:17], off
	s_add_u32 s0, s10, -1
	s_addc_u32 s1, s11, -1
	s_cmp_eq_u64 s[10:11], 0
	s_mov_b64 s[10:11], s[0:1]
	s_cselect_b64 s[44:45], -1, 0
	v_lshl_add_u64 v[18:19], v[18:19], 0, 1
	v_lshl_add_u64 v[16:17], v[16:17], 0, 1
	s_waitcnt vmcnt(0)
	v_cmp_ne_u16_e64 s[0:1], v20, v21
	s_or_b64 s[0:1], s[0:1], s[44:45]
	s_and_b64 s[0:1], exec, s[0:1]
	v_cmp_eq_u16_e32 vcc, v20, v21
	s_or_b64 s[42:43], s[0:1], s[42:43]
	s_andn2_b64 s[0:1], s[40:41], exec
	s_and_b64 s[40:41], vcc, exec
	s_or_b64 s[40:41], s[0:1], s[40:41]
	s_andn2_b64 exec, exec, s[42:43]
	s_cbranch_execnz .LBB228_42
; %bb.43:
	s_or_b64 exec, exec, s[42:43]
	s_xor_b64 s[0:1], s[6:7], -1
	v_cndmask_b32_e64 v33, 0, 1, s[0:1]
	s_xor_b64 s[0:1], s[12:13], -1
	v_cndmask_b32_e64 v16, 0, 1, s[0:1]
	v_lshlrev_b16_e32 v16, 8, v16
	v_mov_b32_e32 v17, 8
	s_xor_b64 s[6:7], s[14:15], -1
	v_lshrrev_b32_sdwa v16, v17, v16 dst_sel:BYTE_1 dst_unused:UNUSED_PAD src0_sel:DWORD src1_sel:DWORD
	v_cndmask_b32_e64 v17, 0, 1, s[6:7]
	s_xor_b64 s[0:1], s[40:41], -1
	v_or_b32_sdwa v16, v17, v16 dst_sel:WORD_1 dst_unused:UNUSED_PAD src0_sel:DWORD src1_sel:DWORD
.LBB228_44:
	s_waitcnt vmcnt(0)
	v_mov_b64_e32 v[18:19], v[14:15]
	s_waitcnt lgkmcnt(0)
	s_barrier
	s_and_saveexec_b64 s[6:7], s[2:3]
; %bb.45:
	v_add_u32_e32 v17, -8, v23
	ds_read_b64 v[18:19], v17
; %bb.46:
	s_or_b64 exec, exec, s[6:7]
	v_cndmask_b32_e64 v17, 0, 1, s[0:1]
	v_lshrrev_b32_e32 v20, 16, v16
	s_mov_b32 s0, 0xc0c0304
	v_perm_b32 v20, v20, v16, s0
	v_lshlrev_b16_e32 v17, 8, v17
	s_movk_i32 s0, 0xff
	v_bitop3_b16 v16, v16, v17, s0 bitop3:0xec
	v_and_b32_e32 v21, 0xffff, v16
	s_mov_b64 s[6:7], 0
	s_and_b64 vcc, exec, s[4:5]
	s_mov_b64 s[0:1], 0
	s_cbranch_vccnz .LBB228_50
; %bb.47:
	v_mov_b64_e32 v[24:25], s[36:37]
	s_waitcnt lgkmcnt(0)
	v_mad_u64_u32 v[16:17], s[0:1], v18, s26, v[24:25]
	v_mul_lo_u32 v18, v18, s27
	v_mul_lo_u32 v19, v19, s26
	v_add3_u32 v17, v19, v17, v18
	v_mad_u64_u32 v[18:19], s[0:1], v6, s26, v[24:25]
	v_mul_lo_u32 v24, v6, s27
	v_mul_lo_u32 v25, v7, s26
	s_add_u32 s14, s26, -1
	v_add3_u32 v19, v25, v19, v24
	s_addc_u32 s15, s27, -1
	s_mov_b64 s[10:11], 0
                                        ; implicit-def: $sgpr12_sgpr13
.LBB228_48:                             ; =>This Inner Loop Header: Depth=1
	global_load_ubyte v24, v[16:17], off
	global_load_ubyte v25, v[18:19], off
	s_add_u32 s0, s14, -1
	s_addc_u32 s1, s15, -1
	s_cmp_eq_u64 s[14:15], 0
	s_mov_b64 s[14:15], s[0:1]
	s_cselect_b64 s[40:41], -1, 0
	v_lshl_add_u64 v[16:17], v[16:17], 0, 1
	v_lshl_add_u64 v[18:19], v[18:19], 0, 1
	s_waitcnt vmcnt(0)
	v_cmp_ne_u16_e64 s[0:1], v24, v25
	s_or_b64 s[0:1], s[0:1], s[40:41]
	s_and_b64 s[0:1], exec, s[0:1]
	v_cmp_eq_u16_e32 vcc, v24, v25
	s_or_b64 s[10:11], s[0:1], s[10:11]
	s_andn2_b64 s[0:1], s[12:13], exec
	s_and_b64 s[12:13], vcc, exec
	s_or_b64 s[12:13], s[0:1], s[12:13]
	s_andn2_b64 exec, exec, s[10:11]
	s_cbranch_execnz .LBB228_48
; %bb.49:
	s_or_b64 exec, exec, s[10:11]
	s_xor_b64 s[0:1], s[12:13], -1
.LBB228_50:
	v_lshl_or_b32 v17, v20, 16, v21
	s_and_b64 vcc, exec, s[6:7]
	s_cbranch_vccnz .LBB228_54
	s_branch .LBB228_87
.LBB228_51:
                                        ; implicit-def: $sgpr0_sgpr1
                                        ; implicit-def: $vgpr33
                                        ; implicit-def: $vgpr17
	s_branch .LBB228_88
.LBB228_52:
                                        ; implicit-def: $vgpr16
                                        ; implicit-def: $vgpr35
                                        ; implicit-def: $vgpr34
                                        ; implicit-def: $vgpr14
	s_branch .LBB228_141
.LBB228_53:
                                        ; implicit-def: $sgpr0_sgpr1
                                        ; implicit-def: $vgpr33
                                        ; implicit-def: $vgpr17
	s_cbranch_execz .LBB228_87
.LBB228_54:
	v_add_u32_e32 v16, 4, v1
	v_cmp_gt_u32_e32 vcc, s48, v16
	s_mov_b64 s[10:11], 0
	s_mov_b64 s[6:7], 0
	s_and_saveexec_b64 s[12:13], vcc
	s_cbranch_execz .LBB228_60
; %bb.55:
	s_and_b64 vcc, exec, s[4:5]
	s_mov_b64 s[0:1], 0
	s_cbranch_vccnz .LBB228_59
; %bb.56:
	s_waitcnt lgkmcnt(0)
	v_mov_b64_e32 v[18:19], s[36:37]
	v_mad_u64_u32 v[16:17], s[0:1], v4, s26, v[18:19]
	v_mul_lo_u32 v20, v4, s27
	v_mul_lo_u32 v21, v5, s26
	v_add3_u32 v17, v21, v17, v20
	v_mad_u64_u32 v[18:19], s[0:1], v12, s26, v[18:19]
	v_mul_lo_u32 v20, v12, s27
	v_mul_lo_u32 v21, v13, s26
	s_add_u32 s40, s26, -1
	v_add3_u32 v19, v21, v19, v20
	s_addc_u32 s41, s27, -1
                                        ; implicit-def: $sgpr14_sgpr15
.LBB228_57:                             ; =>This Inner Loop Header: Depth=1
	global_load_ubyte v20, v[16:17], off
	global_load_ubyte v21, v[18:19], off
	s_add_u32 s0, s40, -1
	s_addc_u32 s1, s41, -1
	s_cmp_eq_u64 s[40:41], 0
	s_mov_b64 s[40:41], s[0:1]
	s_cselect_b64 s[42:43], -1, 0
	v_lshl_add_u64 v[16:17], v[16:17], 0, 1
	v_lshl_add_u64 v[18:19], v[18:19], 0, 1
	s_waitcnt vmcnt(0)
	v_cmp_ne_u16_e64 s[0:1], v20, v21
	s_or_b64 s[0:1], s[0:1], s[42:43]
	s_and_b64 s[0:1], exec, s[0:1]
	v_cmp_eq_u16_e32 vcc, v20, v21
	s_or_b64 s[6:7], s[0:1], s[6:7]
	s_andn2_b64 s[0:1], s[14:15], exec
	s_and_b64 s[14:15], vcc, exec
	s_or_b64 s[14:15], s[0:1], s[14:15]
	s_andn2_b64 exec, exec, s[6:7]
	s_cbranch_execnz .LBB228_57
; %bb.58:
	s_or_b64 exec, exec, s[6:7]
	s_xor_b64 s[0:1], s[14:15], -1
.LBB228_59:
	s_and_b64 s[6:7], s[0:1], exec
.LBB228_60:
	s_or_b64 exec, exec, s[12:13]
	v_add_u32_e32 v16, 3, v1
	v_cmp_gt_u32_e32 vcc, s48, v16
	s_and_saveexec_b64 s[12:13], vcc
	s_cbranch_execz .LBB228_66
; %bb.61:
	s_and_b64 vcc, exec, s[4:5]
	s_mov_b64 s[0:1], 0
	s_cbranch_vccnz .LBB228_65
; %bb.62:
	s_waitcnt lgkmcnt(0)
	v_mov_b64_e32 v[18:19], s[36:37]
	v_mad_u64_u32 v[16:17], s[0:1], v2, s26, v[18:19]
	v_mul_lo_u32 v20, v2, s27
	v_mul_lo_u32 v21, v3, s26
	v_add3_u32 v17, v21, v17, v20
	v_mad_u64_u32 v[18:19], s[0:1], v4, s26, v[18:19]
	v_mul_lo_u32 v20, v4, s27
	v_mul_lo_u32 v21, v5, s26
	s_add_u32 s40, s26, -1
	v_add3_u32 v19, v21, v19, v20
	s_addc_u32 s41, s27, -1
	s_mov_b64 s[10:11], 0
                                        ; implicit-def: $sgpr14_sgpr15
.LBB228_63:                             ; =>This Inner Loop Header: Depth=1
	global_load_ubyte v20, v[16:17], off
	global_load_ubyte v21, v[18:19], off
	s_add_u32 s0, s40, -1
	s_addc_u32 s1, s41, -1
	s_cmp_eq_u64 s[40:41], 0
	s_mov_b64 s[40:41], s[0:1]
	s_cselect_b64 s[42:43], -1, 0
	v_lshl_add_u64 v[16:17], v[16:17], 0, 1
	v_lshl_add_u64 v[18:19], v[18:19], 0, 1
	s_waitcnt vmcnt(0)
	v_cmp_ne_u16_e64 s[0:1], v20, v21
	s_or_b64 s[0:1], s[0:1], s[42:43]
	s_and_b64 s[0:1], exec, s[0:1]
	v_cmp_eq_u16_e32 vcc, v20, v21
	s_or_b64 s[10:11], s[0:1], s[10:11]
	s_andn2_b64 s[0:1], s[14:15], exec
	s_and_b64 s[14:15], vcc, exec
	s_or_b64 s[14:15], s[0:1], s[14:15]
	s_andn2_b64 exec, exec, s[10:11]
	s_cbranch_execnz .LBB228_63
; %bb.64:
	s_or_b64 exec, exec, s[10:11]
	s_xor_b64 s[0:1], s[14:15], -1
.LBB228_65:
	s_and_b64 s[10:11], s[0:1], exec
.LBB228_66:
	s_or_b64 exec, exec, s[12:13]
	v_add_u32_e32 v16, 2, v1
	v_cmp_gt_u32_e32 vcc, s48, v16
	s_mov_b64 s[12:13], 0
	s_mov_b64 s[14:15], 0
	s_and_saveexec_b64 s[40:41], vcc
	s_cbranch_execz .LBB228_72
; %bb.67:
	s_and_b64 vcc, exec, s[4:5]
	s_mov_b64 s[0:1], 0
	s_cbranch_vccnz .LBB228_71
; %bb.68:
	s_waitcnt lgkmcnt(0)
	v_mov_b64_e32 v[18:19], s[36:37]
	v_mad_u64_u32 v[16:17], s[0:1], v8, s26, v[18:19]
	v_mul_lo_u32 v20, v8, s27
	v_mul_lo_u32 v21, v9, s26
	v_add3_u32 v17, v21, v17, v20
	v_mad_u64_u32 v[18:19], s[0:1], v2, s26, v[18:19]
	v_mul_lo_u32 v20, v2, s27
	v_mul_lo_u32 v21, v3, s26
	s_add_u32 s44, s26, -1
	v_add3_u32 v19, v21, v19, v20
	s_addc_u32 s45, s27, -1
                                        ; implicit-def: $sgpr42_sgpr43
.LBB228_69:                             ; =>This Inner Loop Header: Depth=1
	global_load_ubyte v20, v[16:17], off
	global_load_ubyte v21, v[18:19], off
	s_add_u32 s0, s44, -1
	s_addc_u32 s1, s45, -1
	s_cmp_eq_u64 s[44:45], 0
	s_mov_b64 s[44:45], s[0:1]
	s_cselect_b64 s[46:47], -1, 0
	v_lshl_add_u64 v[16:17], v[16:17], 0, 1
	v_lshl_add_u64 v[18:19], v[18:19], 0, 1
	s_waitcnt vmcnt(0)
	v_cmp_ne_u16_e64 s[0:1], v20, v21
	s_or_b64 s[0:1], s[0:1], s[46:47]
	s_and_b64 s[0:1], exec, s[0:1]
	v_cmp_eq_u16_e32 vcc, v20, v21
	s_or_b64 s[14:15], s[0:1], s[14:15]
	s_andn2_b64 s[0:1], s[42:43], exec
	s_and_b64 s[42:43], vcc, exec
	s_or_b64 s[42:43], s[0:1], s[42:43]
	s_andn2_b64 exec, exec, s[14:15]
	s_cbranch_execnz .LBB228_69
; %bb.70:
	s_or_b64 exec, exec, s[14:15]
	s_xor_b64 s[0:1], s[42:43], -1
.LBB228_71:
	s_and_b64 s[14:15], s[0:1], exec
.LBB228_72:
	s_or_b64 exec, exec, s[40:41]
	v_add_u32_e32 v16, 1, v1
	v_cmp_gt_u32_e32 vcc, s48, v16
	s_and_saveexec_b64 s[40:41], vcc
	s_cbranch_execz .LBB228_78
; %bb.73:
	s_and_b64 vcc, exec, s[4:5]
	s_mov_b64 s[0:1], 0
	s_cbranch_vccnz .LBB228_77
; %bb.74:
	s_waitcnt lgkmcnt(0)
	v_mov_b64_e32 v[18:19], s[36:37]
	v_mad_u64_u32 v[16:17], s[0:1], v6, s26, v[18:19]
	v_mul_lo_u32 v20, v6, s27
	v_mul_lo_u32 v21, v7, s26
	v_add3_u32 v17, v21, v17, v20
	v_mad_u64_u32 v[18:19], s[0:1], v8, s26, v[18:19]
	v_mul_lo_u32 v20, v8, s27
	v_mul_lo_u32 v21, v9, s26
	s_add_u32 s44, s26, -1
	v_add3_u32 v19, v21, v19, v20
	s_addc_u32 s45, s27, -1
	s_mov_b64 s[12:13], 0
                                        ; implicit-def: $sgpr42_sgpr43
.LBB228_75:                             ; =>This Inner Loop Header: Depth=1
	global_load_ubyte v20, v[16:17], off
	global_load_ubyte v21, v[18:19], off
	s_add_u32 s0, s44, -1
	s_addc_u32 s1, s45, -1
	s_cmp_eq_u64 s[44:45], 0
	s_mov_b64 s[44:45], s[0:1]
	s_cselect_b64 s[46:47], -1, 0
	v_lshl_add_u64 v[16:17], v[16:17], 0, 1
	v_lshl_add_u64 v[18:19], v[18:19], 0, 1
	s_waitcnt vmcnt(0)
	v_cmp_ne_u16_e64 s[0:1], v20, v21
	s_or_b64 s[0:1], s[0:1], s[46:47]
	s_and_b64 s[0:1], exec, s[0:1]
	v_cmp_eq_u16_e32 vcc, v20, v21
	s_or_b64 s[12:13], s[0:1], s[12:13]
	s_andn2_b64 s[0:1], s[42:43], exec
	s_and_b64 s[42:43], vcc, exec
	s_or_b64 s[42:43], s[0:1], s[42:43]
	s_andn2_b64 exec, exec, s[12:13]
	s_cbranch_execnz .LBB228_75
; %bb.76:
	s_or_b64 exec, exec, s[12:13]
	s_xor_b64 s[0:1], s[42:43], -1
.LBB228_77:
	s_and_b64 s[12:13], s[0:1], exec
.LBB228_78:
	s_or_b64 exec, exec, s[40:41]
	s_waitcnt lgkmcnt(0)
	s_barrier
	s_and_saveexec_b64 s[0:1], s[2:3]
	s_cbranch_execz .LBB228_80
; %bb.79:
	s_waitcnt vmcnt(0)
	v_add_u32_e32 v14, -8, v23
	ds_read_b64 v[14:15], v14
.LBB228_80:
	s_or_b64 exec, exec, s[0:1]
	v_cndmask_b32_e64 v17, 0, 1, s[10:11]
	v_cndmask_b32_e64 v16, 0, 1, s[14:15]
	;; [unrolled: 1-line block ×3, first 2 shown]
	v_lshlrev_b16_e32 v17, 8, v17
	v_cmp_gt_u32_e32 vcc, s48, v1
	v_lshlrev_b16_e32 v18, 8, v18
	v_or_b32_sdwa v19, v16, v17 dst_sel:WORD_1 dst_unused:UNUSED_PAD src0_sel:DWORD src1_sel:DWORD
	s_mov_b64 s[0:1], 0
	s_and_saveexec_b64 s[10:11], vcc
	s_cbranch_execz .LBB228_86
; %bb.81:
	s_and_b64 vcc, exec, s[4:5]
	s_cbranch_vccnz .LBB228_85
; %bb.82:
	v_mov_b64_e32 v[20:21], s[36:37]
	s_waitcnt vmcnt(0) lgkmcnt(0)
	v_mad_u64_u32 v[16:17], s[0:1], v14, s26, v[20:21]
	v_mul_lo_u32 v14, v14, s27
	v_mul_lo_u32 v15, v15, s26
	v_add3_u32 v17, v15, v17, v14
	v_mad_u64_u32 v[14:15], s[0:1], v6, s26, v[20:21]
	v_mul_lo_u32 v20, v6, s27
	v_mul_lo_u32 v21, v7, s26
	s_add_u32 s14, s26, -1
	v_add3_u32 v15, v21, v15, v20
	s_addc_u32 s15, s27, -1
	s_mov_b64 s[4:5], 0
                                        ; implicit-def: $sgpr12_sgpr13
.LBB228_83:                             ; =>This Inner Loop Header: Depth=1
	global_load_ubyte v20, v[16:17], off
	global_load_ubyte v21, v[14:15], off
	s_add_u32 s0, s14, -1
	s_addc_u32 s1, s15, -1
	s_cmp_eq_u64 s[14:15], 0
	s_mov_b64 s[14:15], s[0:1]
	s_cselect_b64 s[40:41], -1, 0
	v_lshl_add_u64 v[16:17], v[16:17], 0, 1
	v_lshl_add_u64 v[14:15], v[14:15], 0, 1
	s_waitcnt vmcnt(0)
	v_cmp_ne_u16_e64 s[0:1], v20, v21
	s_or_b64 s[0:1], s[0:1], s[40:41]
	s_and_b64 s[0:1], exec, s[0:1]
	v_cmp_eq_u16_e32 vcc, v20, v21
	s_or_b64 s[4:5], s[0:1], s[4:5]
	s_andn2_b64 s[0:1], s[12:13], exec
	s_and_b64 s[12:13], vcc, exec
	s_or_b64 s[12:13], s[0:1], s[12:13]
	s_andn2_b64 exec, exec, s[4:5]
	s_cbranch_execnz .LBB228_83
; %bb.84:
	s_or_b64 exec, exec, s[4:5]
	s_xor_b64 s[0:1], s[12:13], -1
.LBB228_85:
	s_and_b64 s[0:1], s[0:1], exec
.LBB228_86:
	s_or_b64 exec, exec, s[10:11]
	v_cndmask_b32_e64 v33, 0, 1, s[6:7]
	v_or_b32_e32 v17, v18, v19
.LBB228_87:
	s_mov_b64 s[10:11], -1
	s_cbranch_execnz .LBB228_52
.LBB228_88:
	s_waitcnt vmcnt(0) lgkmcnt(0)
	v_lshlrev_b32_e32 v14, 5, v0
	v_sub_u32_e32 v22, v22, v14
	s_mov_b64 s[0:1], 0
	v_cmp_gt_i64_e64 s[6:7], s[26:27], 0
	s_and_b64 vcc, exec, s[34:35]
	ds_write_b64 v22, v[12:13]
	s_cbranch_vccz .LBB228_99
; %bb.89:
	v_cndmask_b32_e64 v14, 0, 1, s[6:7]
	v_cmp_ne_u32_e64 s[4:5], 1, v14
	s_andn2_b64 vcc, exec, s[6:7]
	s_cbranch_vccnz .LBB228_100
; %bb.90:
	v_mov_b64_e32 v[16:17], s[36:37]
	v_mad_u64_u32 v[14:15], s[0:1], v4, s26, v[16:17]
	v_mul_lo_u32 v18, v4, s27
	v_mul_lo_u32 v19, v5, s26
	s_add_u32 s14, s26, -1
	v_add3_u32 v15, v19, v15, v18
	v_mad_u64_u32 v[16:17], s[0:1], v12, s26, v[16:17]
	v_mul_lo_u32 v18, v12, s27
	v_mul_lo_u32 v19, v13, s26
	s_addc_u32 s15, s27, -1
	v_add3_u32 v17, v19, v17, v18
	s_mov_b64 s[40:41], 0
	s_mov_b64 s[42:43], s[14:15]
	v_mov_b64_e32 v[18:19], v[14:15]
                                        ; implicit-def: $sgpr12_sgpr13
.LBB228_91:                             ; =>This Inner Loop Header: Depth=1
	global_load_ubyte v20, v[18:19], off
	global_load_ubyte v21, v[16:17], off
	s_add_u32 s0, s42, -1
	s_addc_u32 s1, s43, -1
	s_cmp_eq_u64 s[42:43], 0
	s_mov_b64 s[42:43], s[0:1]
	s_cselect_b64 s[44:45], -1, 0
	v_lshl_add_u64 v[18:19], v[18:19], 0, 1
	v_lshl_add_u64 v[16:17], v[16:17], 0, 1
	s_waitcnt vmcnt(0)
	v_cmp_ne_u16_e64 s[0:1], v20, v21
	s_or_b64 s[0:1], s[0:1], s[44:45]
	s_and_b64 s[0:1], exec, s[0:1]
	v_cmp_eq_u16_e32 vcc, v20, v21
	s_or_b64 s[40:41], s[0:1], s[40:41]
	s_andn2_b64 s[0:1], s[12:13], exec
	s_and_b64 s[12:13], vcc, exec
	s_or_b64 s[12:13], s[0:1], s[12:13]
	s_andn2_b64 exec, exec, s[40:41]
	s_cbranch_execnz .LBB228_91
; %bb.92:
	s_or_b64 exec, exec, s[40:41]
	v_mov_b64_e32 v[16:17], s[36:37]
	v_mad_u64_u32 v[16:17], s[0:1], v2, s26, v[16:17]
	v_mul_lo_u32 v18, v2, s27
	v_mul_lo_u32 v19, v3, s26
	v_add3_u32 v17, v19, v17, v18
	s_mov_b64 s[42:43], 0
	s_mov_b64 s[44:45], s[14:15]
	v_mov_b64_e32 v[18:19], v[16:17]
                                        ; implicit-def: $sgpr40_sgpr41
.LBB228_93:                             ; =>This Inner Loop Header: Depth=1
	global_load_ubyte v20, v[18:19], off
	global_load_ubyte v21, v[14:15], off
	s_add_u32 s0, s44, -1
	s_addc_u32 s1, s45, -1
	s_cmp_eq_u64 s[44:45], 0
	s_mov_b64 s[44:45], s[0:1]
	s_cselect_b64 s[46:47], -1, 0
	v_lshl_add_u64 v[18:19], v[18:19], 0, 1
	v_lshl_add_u64 v[14:15], v[14:15], 0, 1
	s_waitcnt vmcnt(0)
	v_cmp_ne_u16_e64 s[0:1], v20, v21
	s_or_b64 s[0:1], s[0:1], s[46:47]
	s_and_b64 s[0:1], exec, s[0:1]
	v_cmp_eq_u16_e32 vcc, v20, v21
	s_or_b64 s[42:43], s[0:1], s[42:43]
	s_andn2_b64 s[0:1], s[40:41], exec
	s_and_b64 s[40:41], vcc, exec
	s_or_b64 s[40:41], s[0:1], s[40:41]
	s_andn2_b64 exec, exec, s[42:43]
	s_cbranch_execnz .LBB228_93
; %bb.94:
	s_or_b64 exec, exec, s[42:43]
	v_mov_b64_e32 v[14:15], s[36:37]
	v_mad_u64_u32 v[14:15], s[0:1], v8, s26, v[14:15]
	v_mul_lo_u32 v18, v8, s27
	v_mul_lo_u32 v19, v9, s26
	v_add3_u32 v15, v19, v15, v18
	s_mov_b64 s[44:45], 0
	s_mov_b64 s[46:47], s[14:15]
	v_mov_b64_e32 v[18:19], v[14:15]
                                        ; implicit-def: $sgpr42_sgpr43
.LBB228_95:                             ; =>This Inner Loop Header: Depth=1
	global_load_ubyte v20, v[18:19], off
	global_load_ubyte v21, v[16:17], off
	s_add_u32 s0, s46, -1
	s_addc_u32 s1, s47, -1
	s_cmp_eq_u64 s[46:47], 0
	s_mov_b64 s[46:47], s[0:1]
	s_cselect_b64 s[50:51], -1, 0
	v_lshl_add_u64 v[18:19], v[18:19], 0, 1
	v_lshl_add_u64 v[16:17], v[16:17], 0, 1
	s_waitcnt vmcnt(0)
	v_cmp_ne_u16_e64 s[0:1], v20, v21
	s_or_b64 s[0:1], s[0:1], s[50:51]
	s_and_b64 s[0:1], exec, s[0:1]
	v_cmp_eq_u16_e32 vcc, v20, v21
	s_or_b64 s[44:45], s[0:1], s[44:45]
	s_andn2_b64 s[0:1], s[42:43], exec
	s_and_b64 s[42:43], vcc, exec
	s_or_b64 s[42:43], s[0:1], s[42:43]
	s_andn2_b64 exec, exec, s[44:45]
	s_cbranch_execnz .LBB228_95
; %bb.96:
	s_or_b64 exec, exec, s[44:45]
	v_mov_b64_e32 v[16:17], s[36:37]
	v_mad_u64_u32 v[16:17], s[0:1], v6, s26, v[16:17]
	v_mul_lo_u32 v18, v6, s27
	v_mul_lo_u32 v19, v7, s26
	v_add3_u32 v17, v19, v17, v18
	s_mov_b64 s[46:47], 0
                                        ; implicit-def: $sgpr44_sgpr45
.LBB228_97:                             ; =>This Inner Loop Header: Depth=1
	global_load_ubyte v18, v[16:17], off
	global_load_ubyte v19, v[14:15], off
	s_add_u32 s0, s14, -1
	s_addc_u32 s1, s15, -1
	s_cmp_eq_u64 s[14:15], 0
	s_mov_b64 s[14:15], s[0:1]
	s_cselect_b64 s[50:51], -1, 0
	v_lshl_add_u64 v[16:17], v[16:17], 0, 1
	v_lshl_add_u64 v[14:15], v[14:15], 0, 1
	s_waitcnt vmcnt(0)
	v_cmp_ne_u16_e64 s[0:1], v18, v19
	s_or_b64 s[0:1], s[0:1], s[50:51]
	s_and_b64 s[0:1], exec, s[0:1]
	v_cmp_eq_u16_e32 vcc, v18, v19
	s_or_b64 s[46:47], s[0:1], s[46:47]
	s_andn2_b64 s[0:1], s[44:45], exec
	s_and_b64 s[44:45], vcc, exec
	s_or_b64 s[44:45], s[0:1], s[44:45]
	s_andn2_b64 exec, exec, s[46:47]
	s_cbranch_execnz .LBB228_97
; %bb.98:
	s_or_b64 exec, exec, s[46:47]
	s_xor_b64 s[0:1], s[12:13], -1
	v_cndmask_b32_e64 v33, 0, 1, s[0:1]
	s_xor_b64 s[0:1], s[40:41], -1
	v_cndmask_b32_e64 v14, 0, 1, s[0:1]
	v_lshlrev_b16_e32 v14, 8, v14
	v_mov_b32_e32 v15, 8
	s_xor_b64 s[12:13], s[42:43], -1
	v_lshrrev_b32_sdwa v14, v15, v14 dst_sel:BYTE_1 dst_unused:UNUSED_PAD src0_sel:DWORD src1_sel:DWORD
	v_cndmask_b32_e64 v15, 0, 1, s[12:13]
	s_xor_b64 s[0:1], s[44:45], -1
	v_or_b32_sdwa v14, v15, v14 dst_sel:WORD_1 dst_unused:UNUSED_PAD src0_sel:DWORD src1_sel:DWORD
	s_branch .LBB228_101
.LBB228_99:
                                        ; implicit-def: $sgpr0_sgpr1
                                        ; implicit-def: $vgpr33
                                        ; implicit-def: $vgpr17
                                        ; implicit-def: $vgpr16
                                        ; implicit-def: $vgpr35
                                        ; implicit-def: $vgpr34
                                        ; implicit-def: $vgpr14
	s_cbranch_execnz .LBB228_108
	s_branch .LBB228_141
.LBB228_100:
	v_mov_b32_e32 v14, 0
	v_mov_b32_e32 v33, 0
.LBB228_101:
	v_lshrrev_b32_e32 v34, 16, v14
	v_lshrrev_b32_e32 v14, 24, v14
	v_cndmask_b32_e64 v35, 0, 1, s[0:1]
	v_mov_b32_e32 v16, 1
	s_waitcnt lgkmcnt(0)
	s_barrier
                                        ; implicit-def: $sgpr0_sgpr1
                                        ; implicit-def: $vgpr17
	s_and_saveexec_b64 s[12:13], s[2:3]
	s_xor_b64 s[12:13], exec, s[12:13]
	s_cbranch_execz .LBB228_107
; %bb.102:
	v_lshlrev_b16_e32 v15, 8, v14
	s_movk_i32 s0, 0xff
	v_bitop3_b16 v15, v34, v15, s0 bitop3:0xec
	v_lshlrev_b16_e32 v17, 8, v35
	v_lshlrev_b32_e32 v15, 16, v15
	v_or_b32_e32 v17, 1, v17
	v_or_b32_sdwa v15, v17, v15 dst_sel:DWORD dst_unused:UNUSED_PAD src0_sel:WORD_0 src1_sel:DWORD
	s_mov_b32 s42, 0x3020104
	s_and_b64 vcc, exec, s[4:5]
	s_mov_b64 s[0:1], 0
	s_cbranch_vccnz .LBB228_106
; %bb.103:
	v_add_u32_e32 v17, -8, v22
	ds_read_b64 v[18:19], v17
	v_mov_b64_e32 v[20:21], s[36:37]
	s_add_u32 s40, s26, -1
	s_addc_u32 s41, s27, -1
	s_mov_b64 s[4:5], 0
	s_waitcnt lgkmcnt(0)
	v_mul_lo_u32 v17, v18, s27
	v_mul_lo_u32 v23, v19, s26
	v_mad_u64_u32 v[18:19], s[0:1], v18, s26, v[20:21]
	v_add3_u32 v19, v23, v19, v17
	v_mad_u64_u32 v[20:21], s[0:1], v6, s26, v[20:21]
	v_mul_lo_u32 v17, v6, s27
	v_mul_lo_u32 v23, v7, s26
	v_add3_u32 v21, v23, v21, v17
                                        ; implicit-def: $sgpr14_sgpr15
.LBB228_104:                            ; =>This Inner Loop Header: Depth=1
	global_load_ubyte v17, v[18:19], off
	global_load_ubyte v23, v[20:21], off
	s_add_u32 s0, s40, -1
	s_addc_u32 s1, s41, -1
	s_cmp_eq_u64 s[40:41], 0
	s_mov_b64 s[40:41], s[0:1]
	s_cselect_b64 s[44:45], -1, 0
	v_lshl_add_u64 v[18:19], v[18:19], 0, 1
	v_lshl_add_u64 v[20:21], v[20:21], 0, 1
	s_waitcnt vmcnt(0)
	v_cmp_ne_u16_e64 s[0:1], v17, v23
	s_or_b64 s[0:1], s[0:1], s[44:45]
	s_and_b64 s[0:1], exec, s[0:1]
	v_cmp_eq_u16_e32 vcc, v17, v23
	s_or_b64 s[4:5], s[0:1], s[4:5]
	s_andn2_b64 s[0:1], s[14:15], exec
	s_and_b64 s[14:15], vcc, exec
	s_or_b64 s[14:15], s[0:1], s[14:15]
	s_andn2_b64 exec, exec, s[4:5]
	s_cbranch_execnz .LBB228_104
; %bb.105:
	s_or_b64 exec, exec, s[4:5]
	s_xor_b64 s[0:1], s[14:15], -1
.LBB228_106:
	v_perm_b32 v17, v15, v15, s42
	s_or_b64 s[10:11], s[10:11], exec
.LBB228_107:
	s_or_b64 exec, exec, s[12:13]
	s_branch .LBB228_141
.LBB228_108:
	v_add_u32_e32 v14, 4, v1
	v_cmp_gt_u32_e32 vcc, s48, v14
	s_mov_b64 s[4:5], 0
	s_mov_b64 s[12:13], 0
	s_and_saveexec_b64 s[14:15], vcc
	s_cbranch_execz .LBB228_114
; %bb.109:
	s_andn2_b64 vcc, exec, s[6:7]
	s_mov_b64 s[0:1], 0
	s_cbranch_vccnz .LBB228_113
; %bb.110:
	v_mov_b64_e32 v[16:17], s[36:37]
	v_mad_u64_u32 v[14:15], s[0:1], v4, s26, v[16:17]
	v_mul_lo_u32 v18, v4, s27
	v_mul_lo_u32 v19, v5, s26
	v_add3_u32 v15, v19, v15, v18
	v_mad_u64_u32 v[16:17], s[0:1], v12, s26, v[16:17]
	v_mul_lo_u32 v18, v12, s27
	v_mul_lo_u32 v19, v13, s26
	s_add_u32 s42, s26, -1
	v_add3_u32 v17, v19, v17, v18
	s_addc_u32 s43, s27, -1
                                        ; implicit-def: $sgpr40_sgpr41
.LBB228_111:                            ; =>This Inner Loop Header: Depth=1
	global_load_ubyte v18, v[14:15], off
	global_load_ubyte v19, v[16:17], off
	s_add_u32 s0, s42, -1
	s_addc_u32 s1, s43, -1
	s_cmp_eq_u64 s[42:43], 0
	s_mov_b64 s[42:43], s[0:1]
	s_cselect_b64 s[44:45], -1, 0
	v_lshl_add_u64 v[14:15], v[14:15], 0, 1
	v_lshl_add_u64 v[16:17], v[16:17], 0, 1
	s_waitcnt vmcnt(0)
	v_cmp_ne_u16_e64 s[0:1], v18, v19
	s_or_b64 s[0:1], s[0:1], s[44:45]
	s_and_b64 s[0:1], exec, s[0:1]
	v_cmp_eq_u16_e32 vcc, v18, v19
	s_or_b64 s[12:13], s[0:1], s[12:13]
	s_andn2_b64 s[0:1], s[40:41], exec
	s_and_b64 s[40:41], vcc, exec
	s_or_b64 s[40:41], s[0:1], s[40:41]
	s_andn2_b64 exec, exec, s[12:13]
	s_cbranch_execnz .LBB228_111
; %bb.112:
	s_or_b64 exec, exec, s[12:13]
	s_xor_b64 s[0:1], s[40:41], -1
.LBB228_113:
	s_and_b64 s[12:13], s[0:1], exec
.LBB228_114:
	s_or_b64 exec, exec, s[14:15]
	v_add_u32_e32 v14, 3, v1
	v_cmp_gt_u32_e32 vcc, s48, v14
	s_and_saveexec_b64 s[14:15], vcc
	s_cbranch_execz .LBB228_120
; %bb.115:
	s_andn2_b64 vcc, exec, s[6:7]
	s_mov_b64 s[0:1], 0
	s_cbranch_vccnz .LBB228_119
; %bb.116:
	v_mov_b64_e32 v[16:17], s[36:37]
	v_mad_u64_u32 v[14:15], s[0:1], v2, s26, v[16:17]
	v_mul_lo_u32 v18, v2, s27
	v_mul_lo_u32 v19, v3, s26
	v_add3_u32 v15, v19, v15, v18
	v_mad_u64_u32 v[16:17], s[0:1], v4, s26, v[16:17]
	v_mul_lo_u32 v18, v4, s27
	v_mul_lo_u32 v19, v5, s26
	s_add_u32 s42, s26, -1
	v_add3_u32 v17, v19, v17, v18
	s_addc_u32 s43, s27, -1
	s_mov_b64 s[4:5], 0
                                        ; implicit-def: $sgpr40_sgpr41
.LBB228_117:                            ; =>This Inner Loop Header: Depth=1
	global_load_ubyte v18, v[14:15], off
	global_load_ubyte v19, v[16:17], off
	s_add_u32 s0, s42, -1
	s_addc_u32 s1, s43, -1
	s_cmp_eq_u64 s[42:43], 0
	s_mov_b64 s[42:43], s[0:1]
	s_cselect_b64 s[44:45], -1, 0
	v_lshl_add_u64 v[14:15], v[14:15], 0, 1
	v_lshl_add_u64 v[16:17], v[16:17], 0, 1
	s_waitcnt vmcnt(0)
	v_cmp_ne_u16_e64 s[0:1], v18, v19
	s_or_b64 s[0:1], s[0:1], s[44:45]
	s_and_b64 s[0:1], exec, s[0:1]
	v_cmp_eq_u16_e32 vcc, v18, v19
	s_or_b64 s[4:5], s[0:1], s[4:5]
	s_andn2_b64 s[0:1], s[40:41], exec
	s_and_b64 s[40:41], vcc, exec
	s_or_b64 s[40:41], s[0:1], s[40:41]
	s_andn2_b64 exec, exec, s[4:5]
	s_cbranch_execnz .LBB228_117
; %bb.118:
	s_or_b64 exec, exec, s[4:5]
	s_xor_b64 s[0:1], s[40:41], -1
.LBB228_119:
	s_and_b64 s[4:5], s[0:1], exec
.LBB228_120:
	s_or_b64 exec, exec, s[14:15]
	v_add_u32_e32 v14, 2, v1
	v_cmp_gt_u32_e32 vcc, s48, v14
	s_mov_b64 s[14:15], 0
	s_mov_b64 s[40:41], 0
	s_and_saveexec_b64 s[42:43], vcc
	s_cbranch_execz .LBB228_126
; %bb.121:
	s_andn2_b64 vcc, exec, s[6:7]
	s_mov_b64 s[0:1], 0
	s_cbranch_vccnz .LBB228_125
; %bb.122:
	v_mov_b64_e32 v[16:17], s[36:37]
	v_mad_u64_u32 v[14:15], s[0:1], v8, s26, v[16:17]
	v_mul_lo_u32 v18, v8, s27
	v_mul_lo_u32 v19, v9, s26
	v_add3_u32 v15, v19, v15, v18
	v_mad_u64_u32 v[16:17], s[0:1], v2, s26, v[16:17]
	v_mul_lo_u32 v18, v2, s27
	v_mul_lo_u32 v19, v3, s26
	s_add_u32 s46, s26, -1
	v_add3_u32 v17, v19, v17, v18
	s_addc_u32 s47, s27, -1
                                        ; implicit-def: $sgpr44_sgpr45
.LBB228_123:                            ; =>This Inner Loop Header: Depth=1
	global_load_ubyte v18, v[14:15], off
	global_load_ubyte v19, v[16:17], off
	s_add_u32 s0, s46, -1
	s_addc_u32 s1, s47, -1
	s_cmp_eq_u64 s[46:47], 0
	s_mov_b64 s[46:47], s[0:1]
	s_cselect_b64 s[50:51], -1, 0
	v_lshl_add_u64 v[14:15], v[14:15], 0, 1
	v_lshl_add_u64 v[16:17], v[16:17], 0, 1
	s_waitcnt vmcnt(0)
	v_cmp_ne_u16_e64 s[0:1], v18, v19
	s_or_b64 s[0:1], s[0:1], s[50:51]
	s_and_b64 s[0:1], exec, s[0:1]
	v_cmp_eq_u16_e32 vcc, v18, v19
	s_or_b64 s[40:41], s[0:1], s[40:41]
	s_andn2_b64 s[0:1], s[44:45], exec
	s_and_b64 s[44:45], vcc, exec
	s_or_b64 s[44:45], s[0:1], s[44:45]
	s_andn2_b64 exec, exec, s[40:41]
	s_cbranch_execnz .LBB228_123
; %bb.124:
	s_or_b64 exec, exec, s[40:41]
	s_xor_b64 s[0:1], s[44:45], -1
.LBB228_125:
	s_and_b64 s[40:41], s[0:1], exec
.LBB228_126:
	s_or_b64 exec, exec, s[42:43]
	v_add_u32_e32 v14, 1, v1
	v_cmp_gt_u32_e32 vcc, s48, v14
	s_and_saveexec_b64 s[42:43], vcc
	s_cbranch_execz .LBB228_132
; %bb.127:
	s_andn2_b64 vcc, exec, s[6:7]
	s_mov_b64 s[0:1], 0
	s_cbranch_vccnz .LBB228_131
; %bb.128:
	v_mov_b64_e32 v[16:17], s[36:37]
	v_mad_u64_u32 v[14:15], s[0:1], v6, s26, v[16:17]
	v_mul_lo_u32 v18, v6, s27
	v_mul_lo_u32 v19, v7, s26
	v_add3_u32 v15, v19, v15, v18
	v_mad_u64_u32 v[16:17], s[0:1], v8, s26, v[16:17]
	v_mul_lo_u32 v18, v8, s27
	v_mul_lo_u32 v19, v9, s26
	s_add_u32 s46, s26, -1
	v_add3_u32 v17, v19, v17, v18
	s_addc_u32 s47, s27, -1
	s_mov_b64 s[14:15], 0
                                        ; implicit-def: $sgpr44_sgpr45
.LBB228_129:                            ; =>This Inner Loop Header: Depth=1
	global_load_ubyte v18, v[14:15], off
	global_load_ubyte v19, v[16:17], off
	s_add_u32 s0, s46, -1
	s_addc_u32 s1, s47, -1
	s_cmp_eq_u64 s[46:47], 0
	s_mov_b64 s[46:47], s[0:1]
	s_cselect_b64 s[50:51], -1, 0
	v_lshl_add_u64 v[14:15], v[14:15], 0, 1
	v_lshl_add_u64 v[16:17], v[16:17], 0, 1
	s_waitcnt vmcnt(0)
	v_cmp_ne_u16_e64 s[0:1], v18, v19
	s_or_b64 s[0:1], s[0:1], s[50:51]
	s_and_b64 s[0:1], exec, s[0:1]
	v_cmp_eq_u16_e32 vcc, v18, v19
	s_or_b64 s[14:15], s[0:1], s[14:15]
	s_andn2_b64 s[0:1], s[44:45], exec
	s_and_b64 s[44:45], vcc, exec
	s_or_b64 s[44:45], s[0:1], s[44:45]
	s_andn2_b64 exec, exec, s[14:15]
	s_cbranch_execnz .LBB228_129
; %bb.130:
	s_or_b64 exec, exec, s[14:15]
	s_xor_b64 s[0:1], s[44:45], -1
.LBB228_131:
	s_and_b64 s[14:15], s[0:1], exec
.LBB228_132:
	s_or_b64 exec, exec, s[42:43]
	v_cndmask_b32_e64 v33, 0, 1, s[12:13]
	v_cndmask_b32_e64 v34, 0, 1, s[40:41]
	;; [unrolled: 1-line block ×4, first 2 shown]
	v_mov_b32_e32 v16, 1
	s_waitcnt lgkmcnt(0)
	s_barrier
                                        ; implicit-def: $sgpr0_sgpr1
                                        ; implicit-def: $vgpr17
	s_and_saveexec_b64 s[4:5], s[2:3]
	s_cbranch_execz .LBB228_140
; %bb.133:
	v_lshlrev_b16_e32 v15, 8, v35
	v_lshlrev_b16_e32 v17, 8, v14
	v_or_b32_e32 v15, 1, v15
	v_or_b32_sdwa v17, v34, v17 dst_sel:WORD_1 dst_unused:UNUSED_PAD src0_sel:DWORD src1_sel:DWORD
	v_cmp_gt_u32_e32 vcc, s48, v1
	v_or_b32_sdwa v15, v15, v17 dst_sel:DWORD dst_unused:UNUSED_PAD src0_sel:WORD_0 src1_sel:DWORD
	s_mov_b32 s40, 0x3020104
	s_mov_b64 s[0:1], 0
	s_and_saveexec_b64 s[2:3], vcc
	s_cbranch_execz .LBB228_139
; %bb.134:
	s_andn2_b64 vcc, exec, s[6:7]
	s_cbranch_vccnz .LBB228_138
; %bb.135:
	v_add_u32_e32 v17, -8, v22
	ds_read_b64 v[18:19], v17
	v_mov_b64_e32 v[20:21], s[36:37]
	s_add_u32 s14, s26, -1
	s_addc_u32 s15, s27, -1
	s_mov_b64 s[6:7], 0
	s_waitcnt lgkmcnt(0)
	v_mul_lo_u32 v17, v18, s27
	v_mul_lo_u32 v22, v19, s26
	v_mad_u64_u32 v[18:19], s[0:1], v18, s26, v[20:21]
	v_add3_u32 v19, v22, v19, v17
	v_mad_u64_u32 v[20:21], s[0:1], v6, s26, v[20:21]
	v_mul_lo_u32 v17, v6, s27
	v_mul_lo_u32 v22, v7, s26
	v_add3_u32 v21, v22, v21, v17
                                        ; implicit-def: $sgpr12_sgpr13
.LBB228_136:                            ; =>This Inner Loop Header: Depth=1
	global_load_ubyte v17, v[18:19], off
	global_load_ubyte v22, v[20:21], off
	s_add_u32 s0, s14, -1
	s_addc_u32 s1, s15, -1
	s_cmp_eq_u64 s[14:15], 0
	s_mov_b64 s[14:15], s[0:1]
	s_cselect_b64 s[26:27], -1, 0
	v_lshl_add_u64 v[18:19], v[18:19], 0, 1
	v_lshl_add_u64 v[20:21], v[20:21], 0, 1
	s_waitcnt vmcnt(0)
	v_cmp_ne_u16_e64 s[0:1], v17, v22
	s_or_b64 s[0:1], s[0:1], s[26:27]
	s_and_b64 s[0:1], exec, s[0:1]
	v_cmp_eq_u16_e32 vcc, v17, v22
	s_or_b64 s[6:7], s[0:1], s[6:7]
	s_andn2_b64 s[0:1], s[12:13], exec
	s_and_b64 s[12:13], vcc, exec
	s_or_b64 s[12:13], s[0:1], s[12:13]
	s_andn2_b64 exec, exec, s[6:7]
	s_cbranch_execnz .LBB228_136
; %bb.137:
	s_or_b64 exec, exec, s[6:7]
	s_xor_b64 s[0:1], s[12:13], -1
.LBB228_138:
	s_and_b64 s[0:1], s[0:1], exec
.LBB228_139:
	s_or_b64 exec, exec, s[2:3]
	v_perm_b32 v17, v15, v15, s40
	s_or_b64 s[10:11], s[10:11], exec
.LBB228_140:
	s_or_b64 exec, exec, s[4:5]
.LBB228_141:
	s_and_saveexec_b64 s[2:3], s[10:11]
	s_cbranch_execz .LBB228_143
; %bb.142:
	s_waitcnt vmcnt(0) lgkmcnt(0)
	v_lshrrev_b32_e32 v14, 24, v17
	v_lshrrev_b32_e32 v34, 16, v17
	;; [unrolled: 1-line block ×3, first 2 shown]
	v_cndmask_b32_e64 v16, 0, 1, s[0:1]
.LBB228_143:
	s_or_b64 exec, exec, s[2:3]
	s_andn2_b64 vcc, exec, s[8:9]
	s_cbranch_vccnz .LBB228_147
; %bb.144:
	s_mov_b32 s0, 0xc0c0004
	s_waitcnt vmcnt(0) lgkmcnt(0)
	v_perm_b32 v14, v34, v14, s0
	v_perm_b32 v15, v16, v35, s0
	v_lshlrev_b32_e32 v14, 16, v14
	v_or_b32_e32 v15, v15, v14
	v_cmp_gt_u32_e32 vcc, s48, v1
	v_add_u32_e32 v16, 1, v1
	s_mov_b32 s0, 0x40c0100
	v_cndmask_b32_e32 v14, v14, v15, vcc
	v_and_b32_e32 v14, 0xffff00ff, v14
	v_cmp_gt_u32_e32 vcc, s48, v16
	v_add_u32_e32 v16, 2, v1
	v_and_b32_e32 v33, 0xff, v33
	v_cndmask_b32_e32 v14, v14, v15, vcc
	v_lshrrev_b32_e32 v18, 24, v14
	v_perm_b32 v14, v18, v14, s0
	v_cmp_gt_u32_e32 vcc, s48, v16
	v_add_u32_e32 v16, 3, v1
	v_and_b32_e32 v17, 0xffff, v33
	v_cndmask_b32_e32 v14, v14, v15, vcc
	v_and_b32_e32 v14, 0xffffff, v14
	v_cmp_gt_u32_e32 vcc, s48, v16
	v_add_u32_e32 v1, 4, v1
	s_nop 0
	v_cndmask_b32_e32 v16, v14, v15, vcc
	v_lshrrev_b32_e32 v34, 16, v16
	v_lshrrev_b32_e32 v35, 8, v16
	v_lshrrev_b64 v[14:15], 24, v[16:17]
	v_cmp_le_u32_e32 vcc, s48, v1
	s_and_saveexec_b64 s[0:1], vcc
; %bb.145:
	v_mov_b32_e32 v33, 0
; %bb.146:
	s_or_b64 exec, exec, s[0:1]
.LBB228_147:
	v_and_b32_e32 v1, 0xff, v16
	s_waitcnt vmcnt(0) lgkmcnt(0)
	v_and_b32_e32 v15, 0xff, v35
	v_and_b32_e32 v17, 0xff, v34
	;; [unrolled: 1-line block ×4, first 2 shown]
	v_add3_u32 v19, v15, v1, v17
	v_add3_u32 v37, v19, v29, v18
	v_mbcnt_lo_u32_b32 v18, -1, 0
	v_mbcnt_hi_u32_b32 v31, -1, v18
	v_and_b32_e32 v18, 15, v31
	v_cmp_eq_u32_e64 s[14:15], 0, v18
	v_cmp_lt_u32_e64 s[12:13], 1, v18
	v_cmp_lt_u32_e64 s[10:11], 3, v18
	;; [unrolled: 1-line block ×3, first 2 shown]
	v_and_b32_e32 v18, 16, v31
	v_cmp_eq_u32_e64 s[6:7], 0, v18
	v_or_b32_e32 v18, 63, v0
	v_cmp_lt_u32_e64 s[2:3], 31, v31
	v_lshrrev_b32_e32 v36, 6, v0
	v_cmp_eq_u32_e64 s[4:5], v0, v18
	s_and_b64 vcc, exec, s[16:17]
	s_barrier
	s_cbranch_vccz .LBB228_169
; %bb.148:
	v_mov_b32_dpp v18, v37 row_shr:1 row_mask:0xf bank_mask:0xf
	v_cndmask_b32_e64 v18, v18, 0, s[14:15]
	v_add_u32_e32 v18, v18, v37
	s_nop 1
	v_mov_b32_dpp v19, v18 row_shr:2 row_mask:0xf bank_mask:0xf
	v_cndmask_b32_e64 v19, 0, v19, s[12:13]
	v_add_u32_e32 v18, v18, v19
	s_nop 1
	;; [unrolled: 4-line block ×4, first 2 shown]
	v_mov_b32_dpp v19, v18 row_bcast:15 row_mask:0xf bank_mask:0xf
	v_cndmask_b32_e64 v19, v19, 0, s[6:7]
	v_add_u32_e32 v18, v18, v19
	s_nop 1
	v_mov_b32_dpp v19, v18 row_bcast:31 row_mask:0xf bank_mask:0xf
	v_cndmask_b32_e64 v19, 0, v19, s[2:3]
	v_add_u32_e32 v18, v18, v19
	s_and_saveexec_b64 s[0:1], s[4:5]
; %bb.149:
	v_lshlrev_b32_e32 v19, 2, v36
	ds_write_b32 v19, v18
; %bb.150:
	s_or_b64 exec, exec, s[0:1]
	v_cmp_gt_u32_e32 vcc, 2, v0
	s_waitcnt lgkmcnt(0)
	s_barrier
	s_and_saveexec_b64 s[0:1], vcc
	s_cbranch_execz .LBB228_152
; %bb.151:
	v_lshlrev_b32_e32 v19, 2, v0
	ds_read_b32 v20, v19
	v_bfe_i32 v21, v31, 0, 1
	s_waitcnt lgkmcnt(0)
	v_mov_b32_dpp v22, v20 row_shr:1 row_mask:0xf bank_mask:0xf
	v_and_b32_e32 v21, v21, v22
	v_add_u32_e32 v20, v21, v20
	ds_write_b32 v19, v20
.LBB228_152:
	s_or_b64 exec, exec, s[0:1]
	v_cmp_gt_u32_e32 vcc, 64, v0
	v_cmp_lt_u32_e64 s[0:1], 63, v0
	s_waitcnt lgkmcnt(0)
	s_barrier
                                        ; implicit-def: $vgpr28
	s_and_saveexec_b64 s[16:17], s[0:1]
	s_cbranch_execz .LBB228_154
; %bb.153:
	v_lshl_add_u32 v19, v36, 2, -4
	ds_read_b32 v28, v19
	s_waitcnt lgkmcnt(0)
	v_add_u32_e32 v18, v28, v18
.LBB228_154:
	s_or_b64 exec, exec, s[16:17]
	v_subrev_co_u32_e64 v19, s[16:17], 1, v31
	v_and_b32_e32 v20, 64, v31
	v_cmp_lt_i32_e64 s[0:1], v19, v20
	s_nop 1
	v_cndmask_b32_e64 v19, v19, v31, s[0:1]
	v_lshlrev_b32_e32 v19, 2, v19
	ds_bpermute_b32 v30, v19, v18
	s_and_saveexec_b64 s[0:1], vcc
	s_cbranch_execz .LBB228_174
; %bb.155:
	v_mov_b32_e32 v25, 0
	ds_read_b32 v18, v25 offset:4
	s_and_saveexec_b64 s[26:27], s[16:17]
	s_cbranch_execz .LBB228_157
; %bb.156:
	s_add_i32 s36, s33, 64
	s_mov_b32 s37, 0
	s_lshl_b64 s[36:37], s[36:37], 3
	s_add_u32 s36, s38, s36
	v_mov_b32_e32 v19, 1
	s_addc_u32 s37, s39, s37
	s_waitcnt lgkmcnt(0)
	global_store_dwordx2 v25, v[18:19], s[36:37] sc1
.LBB228_157:
	s_or_b64 exec, exec, s[26:27]
	v_xad_u32 v20, v31, -1, s33
	v_add_u32_e32 v24, 64, v20
	v_lshl_add_u64 v[26:27], v[24:25], 3, s[38:39]
	global_load_dwordx2 v[22:23], v[26:27], off sc1
	s_waitcnt vmcnt(0)
	v_cmp_eq_u16_sdwa s[36:37], v23, v25 src0_sel:BYTE_0 src1_sel:DWORD
	s_and_saveexec_b64 s[26:27], s[36:37]
	s_cbranch_execz .LBB228_161
; %bb.158:
	s_mov_b64 s[36:37], 0
	v_mov_b32_e32 v19, 0
.LBB228_159:                            ; =>This Inner Loop Header: Depth=1
	global_load_dwordx2 v[22:23], v[26:27], off sc1
	s_waitcnt vmcnt(0)
	v_cmp_ne_u16_sdwa s[40:41], v23, v19 src0_sel:BYTE_0 src1_sel:DWORD
	s_or_b64 s[36:37], s[40:41], s[36:37]
	s_andn2_b64 exec, exec, s[36:37]
	s_cbranch_execnz .LBB228_159
; %bb.160:
	s_or_b64 exec, exec, s[36:37]
.LBB228_161:
	s_or_b64 exec, exec, s[26:27]
	v_and_b32_e32 v39, 63, v31
	v_mov_b32_e32 v38, 2
	v_cmp_ne_u32_e32 vcc, 63, v39
	v_cmp_eq_u16_sdwa s[26:27], v23, v38 src0_sel:BYTE_0 src1_sel:DWORD
	v_lshlrev_b64 v[24:25], v31, -1
	v_addc_co_u32_e32 v26, vcc, 0, v31, vcc
	v_and_b32_e32 v19, s27, v25
	v_lshlrev_b32_e32 v40, 2, v26
	v_or_b32_e32 v19, 0x80000000, v19
	ds_bpermute_b32 v26, v40, v22
	v_and_b32_e32 v21, s26, v24
	v_ffbl_b32_e32 v19, v19
	v_add_u32_e32 v19, 32, v19
	v_ffbl_b32_e32 v21, v21
	v_min_u32_e32 v19, v21, v19
	v_cmp_lt_u32_e32 vcc, v39, v19
	v_add_u32_e32 v42, 2, v39
	v_add_u32_e32 v44, 4, v39
	s_waitcnt lgkmcnt(0)
	v_cndmask_b32_e32 v21, 0, v26, vcc
	v_cmp_gt_u32_e32 vcc, 62, v39
	v_add_u32_e32 v21, v21, v22
	v_add_u32_e32 v46, 8, v39
	v_cndmask_b32_e64 v22, 0, 2, vcc
	v_add_lshl_u32 v41, v22, v31, 2
	ds_bpermute_b32 v22, v41, v21
	v_cmp_le_u32_e32 vcc, v42, v19
	v_add_u32_e32 v48, 16, v39
	v_add_u32_e32 v50, 32, v39
	s_waitcnt lgkmcnt(0)
	v_cndmask_b32_e32 v22, 0, v22, vcc
	v_cmp_gt_u32_e32 vcc, 60, v39
	v_add_u32_e32 v21, v21, v22
	s_nop 0
	v_cndmask_b32_e64 v22, 0, 4, vcc
	v_add_lshl_u32 v43, v22, v31, 2
	ds_bpermute_b32 v22, v43, v21
	v_cmp_le_u32_e32 vcc, v44, v19
	s_waitcnt lgkmcnt(0)
	s_nop 0
	v_cndmask_b32_e32 v22, 0, v22, vcc
	v_cmp_gt_u32_e32 vcc, 56, v39
	v_add_u32_e32 v21, v21, v22
	s_nop 0
	v_cndmask_b32_e64 v22, 0, 8, vcc
	v_add_lshl_u32 v45, v22, v31, 2
	ds_bpermute_b32 v22, v45, v21
	v_cmp_le_u32_e32 vcc, v46, v19
	s_waitcnt lgkmcnt(0)
	s_nop 0
	;; [unrolled: 10-line block ×3, first 2 shown]
	v_cndmask_b32_e32 v22, 0, v22, vcc
	v_add_u32_e32 v21, v21, v22
	v_mov_b32_e32 v22, 0x80
	v_lshl_or_b32 v49, v31, 2, v22
	ds_bpermute_b32 v22, v49, v21
	v_cmp_le_u32_e32 vcc, v50, v19
	s_waitcnt lgkmcnt(0)
	s_nop 0
	v_cndmask_b32_e32 v19, 0, v22, vcc
	v_add_u32_e32 v22, v21, v19
	v_mov_b32_e32 v21, 0
	s_branch .LBB228_164
.LBB228_162:                            ;   in Loop: Header=BB228_164 Depth=1
	s_or_b64 exec, exec, s[26:27]
	v_cmp_eq_u16_sdwa s[26:27], v23, v38 src0_sel:BYTE_0 src1_sel:DWORD
	ds_bpermute_b32 v51, v40, v22
	v_subrev_u32_e32 v20, 64, v20
	v_and_b32_e32 v26, s27, v25
	v_or_b32_e32 v26, 0x80000000, v26
	v_and_b32_e32 v27, s26, v24
	v_ffbl_b32_e32 v26, v26
	v_add_u32_e32 v26, 32, v26
	v_ffbl_b32_e32 v27, v27
	v_min_u32_e32 v26, v27, v26
	v_cmp_lt_u32_e32 vcc, v39, v26
	s_mov_b64 s[26:27], 0
	s_waitcnt lgkmcnt(0)
	v_cndmask_b32_e32 v27, 0, v51, vcc
	v_add_u32_e32 v22, v27, v22
	ds_bpermute_b32 v27, v41, v22
	v_cmp_le_u32_e32 vcc, v42, v26
	s_waitcnt lgkmcnt(0)
	s_nop 0
	v_cndmask_b32_e32 v27, 0, v27, vcc
	v_add_u32_e32 v22, v22, v27
	ds_bpermute_b32 v27, v43, v22
	v_cmp_le_u32_e32 vcc, v44, v26
	s_waitcnt lgkmcnt(0)
	s_nop 0
	;; [unrolled: 6-line block ×5, first 2 shown]
	v_cndmask_b32_e32 v26, 0, v27, vcc
	v_add3_u32 v22, v26, v19, v22
.LBB228_163:                            ;   in Loop: Header=BB228_164 Depth=1
	s_and_b64 vcc, exec, s[26:27]
	s_cbranch_vccnz .LBB228_170
.LBB228_164:                            ; =>This Loop Header: Depth=1
                                        ;     Child Loop BB228_167 Depth 2
	v_cmp_ne_u16_sdwa s[26:27], v23, v38 src0_sel:BYTE_0 src1_sel:DWORD
	v_mov_b32_e32 v19, v22
	s_cmp_lg_u64 s[26:27], exec
	s_mov_b64 s[26:27], -1
                                        ; implicit-def: $vgpr22
                                        ; implicit-def: $vgpr23
	s_cbranch_scc1 .LBB228_163
; %bb.165:                              ;   in Loop: Header=BB228_164 Depth=1
	v_lshl_add_u64 v[26:27], v[20:21], 3, s[38:39]
	global_load_dwordx2 v[22:23], v[26:27], off sc1
	s_waitcnt vmcnt(0)
	v_cmp_eq_u16_sdwa s[36:37], v23, v21 src0_sel:BYTE_0 src1_sel:DWORD
	s_and_saveexec_b64 s[26:27], s[36:37]
	s_cbranch_execz .LBB228_162
; %bb.166:                              ;   in Loop: Header=BB228_164 Depth=1
	s_mov_b64 s[36:37], 0
.LBB228_167:                            ;   Parent Loop BB228_164 Depth=1
                                        ; =>  This Inner Loop Header: Depth=2
	global_load_dwordx2 v[22:23], v[26:27], off sc1
	s_waitcnt vmcnt(0)
	v_cmp_ne_u16_sdwa s[40:41], v23, v21 src0_sel:BYTE_0 src1_sel:DWORD
	s_or_b64 s[36:37], s[40:41], s[36:37]
	s_andn2_b64 exec, exec, s[36:37]
	s_cbranch_execnz .LBB228_167
; %bb.168:                              ;   in Loop: Header=BB228_164 Depth=1
	s_or_b64 exec, exec, s[36:37]
	s_branch .LBB228_162
.LBB228_169:
                                        ; implicit-def: $vgpr22
                                        ; implicit-def: $vgpr24
                                        ; implicit-def: $vgpr26
                                        ; implicit-def: $vgpr28
                                        ; implicit-def: $vgpr30
                                        ; implicit-def: $vgpr20
                                        ; implicit-def: $vgpr18
	s_cbranch_execnz .LBB228_175
	s_branch .LBB228_184
.LBB228_170:
	s_and_saveexec_b64 s[26:27], s[16:17]
	s_cbranch_execz .LBB228_172
; %bb.171:
	s_add_i32 s36, s33, 64
	s_mov_b32 s37, 0
	s_lshl_b64 s[36:37], s[36:37], 3
	s_add_u32 s36, s38, s36
	v_add_u32_e32 v20, v19, v18
	v_mov_b32_e32 v21, 2
	s_addc_u32 s37, s39, s37
	v_mov_b32_e32 v22, 0
	global_store_dwordx2 v22, v[20:21], s[36:37] sc1
	ds_write_b64 v22, v[18:19] offset:5120
.LBB228_172:
	s_or_b64 exec, exec, s[26:27]
	s_and_b64 exec, exec, s[18:19]
; %bb.173:
	v_mov_b32_e32 v18, 0
	ds_write_b32 v18, v19 offset:4
.LBB228_174:
	s_or_b64 exec, exec, s[0:1]
	v_mov_b32_e32 v18, 0
	s_waitcnt lgkmcnt(0)
	s_barrier
	ds_read_b32 v19, v18 offset:4
	v_cndmask_b32_e64 v20, v30, v28, s[16:17]
	v_cndmask_b32_e64 v20, v20, 0, s[18:19]
	s_waitcnt lgkmcnt(0)
	s_barrier
	v_add_u32_e32 v30, v19, v20
	ds_read_b64 v[18:19], v18 offset:5120
	v_add_u32_e32 v28, v30, v1
	v_add_u32_e32 v26, v28, v15
	;; [unrolled: 1-line block ×4, first 2 shown]
	s_waitcnt lgkmcnt(0)
	v_mov_b32_e32 v20, v19
	s_branch .LBB228_184
.LBB228_175:
	v_mov_b32_dpp v18, v37 row_shr:1 row_mask:0xf bank_mask:0xf
	v_cndmask_b32_e64 v18, v18, 0, s[14:15]
	v_add_u32_e32 v18, v18, v37
	s_nop 1
	v_mov_b32_dpp v19, v18 row_shr:2 row_mask:0xf bank_mask:0xf
	v_cndmask_b32_e64 v19, 0, v19, s[12:13]
	v_add_u32_e32 v18, v18, v19
	s_nop 1
	;; [unrolled: 4-line block ×4, first 2 shown]
	v_mov_b32_dpp v19, v18 row_bcast:15 row_mask:0xf bank_mask:0xf
	v_cndmask_b32_e64 v19, v19, 0, s[6:7]
	v_add_u32_e32 v18, v18, v19
	s_nop 1
	v_mov_b32_dpp v19, v18 row_bcast:31 row_mask:0xf bank_mask:0xf
	v_cndmask_b32_e64 v19, 0, v19, s[2:3]
	v_add_u32_e32 v18, v18, v19
	s_and_saveexec_b64 s[0:1], s[4:5]
; %bb.176:
	v_lshlrev_b32_e32 v19, 2, v36
	ds_write_b32 v19, v18
; %bb.177:
	s_or_b64 exec, exec, s[0:1]
	v_cmp_gt_u32_e32 vcc, 2, v0
	s_waitcnt lgkmcnt(0)
	s_barrier
	s_and_saveexec_b64 s[0:1], vcc
	s_cbranch_execz .LBB228_179
; %bb.178:
	v_lshlrev_b32_e32 v19, 2, v0
	ds_read_b32 v20, v19
	v_bfe_i32 v21, v31, 0, 1
	s_waitcnt lgkmcnt(0)
	v_mov_b32_dpp v22, v20 row_shr:1 row_mask:0xf bank_mask:0xf
	v_and_b32_e32 v21, v21, v22
	v_add_u32_e32 v20, v21, v20
	ds_write_b32 v19, v20
.LBB228_179:
	s_or_b64 exec, exec, s[0:1]
	v_cmp_lt_u32_e32 vcc, 63, v0
	v_mov_b32_e32 v19, 0
	v_mov_b32_e32 v20, 0
	s_waitcnt lgkmcnt(0)
	s_barrier
	s_and_saveexec_b64 s[0:1], vcc
; %bb.180:
	v_lshl_add_u32 v20, v36, 2, -4
	ds_read_b32 v20, v20
; %bb.181:
	s_or_b64 exec, exec, s[0:1]
	v_subrev_co_u32_e32 v21, vcc, 1, v31
	v_and_b32_e32 v22, 64, v31
	v_cmp_lt_i32_e64 s[0:1], v21, v22
	s_waitcnt lgkmcnt(0)
	v_add_u32_e32 v18, v20, v18
	v_cndmask_b32_e64 v21, v21, v31, s[0:1]
	v_lshlrev_b32_e32 v21, 2, v21
	ds_bpermute_b32 v21, v21, v18
	ds_read_b32 v18, v19 offset:4
	s_and_saveexec_b64 s[0:1], s[18:19]
	s_cbranch_execz .LBB228_183
; %bb.182:
	v_mov_b32_e32 v22, 0
	v_mov_b32_e32 v19, 2
	s_waitcnt lgkmcnt(0)
	global_store_dwordx2 v22, v[18:19], s[38:39] offset:512 sc1
.LBB228_183:
	s_or_b64 exec, exec, s[0:1]
	s_waitcnt lgkmcnt(1)
	v_cndmask_b32_e32 v19, v21, v20, vcc
	v_cndmask_b32_e64 v30, v19, 0, s[18:19]
	v_add_u32_e32 v28, v30, v1
	v_add_u32_e32 v26, v28, v15
	;; [unrolled: 1-line block ×4, first 2 shown]
	s_waitcnt lgkmcnt(0)
	s_barrier
	v_mov_b32_e32 v20, 0
.LBB228_184:
	s_movk_i32 s0, 0x81
	v_cmp_gt_u32_e64 s[2:3], s0, v18
	v_add_u32_e32 v15, v20, v18
	v_and_b32_e32 v1, 1, v16
	s_mov_b64 s[6:7], -1
	s_and_b64 vcc, exec, s[2:3]
	v_cmp_lt_u32_e64 s[0:1], v30, v15
	v_cmp_eq_u32_e64 s[4:5], 1, v1
	s_cbranch_vccz .LBB228_196
; %bb.185:
	s_or_b64 s[0:1], s[34:35], s[0:1]
	s_and_b64 s[4:5], s[0:1], s[4:5]
	s_and_saveexec_b64 s[0:1], s[4:5]
	s_cbranch_execz .LBB228_187
; %bb.186:
	s_lshl_b64 s[4:5], s[22:23], 3
	s_add_u32 s4, s28, s4
	s_addc_u32 s5, s29, s5
	v_mov_b32_e32 v31, 0
	v_lshl_add_u64 v[16:17], v[30:31], 3, s[4:5]
	global_store_dwordx2 v[16:17], v[6:7], off
.LBB228_187:
	s_or_b64 exec, exec, s[0:1]
	v_cmp_lt_u32_e32 vcc, v28, v15
	v_and_b32_e32 v16, 1, v35
	s_or_b64 s[0:1], s[34:35], vcc
	v_cmp_eq_u32_e32 vcc, 1, v16
	s_and_b64 s[4:5], s[0:1], vcc
	s_and_saveexec_b64 s[0:1], s[4:5]
	s_cbranch_execz .LBB228_189
; %bb.188:
	s_lshl_b64 s[4:5], s[22:23], 3
	s_add_u32 s4, s28, s4
	s_addc_u32 s5, s29, s5
	v_mov_b32_e32 v29, 0
	v_lshl_add_u64 v[16:17], v[28:29], 3, s[4:5]
	global_store_dwordx2 v[16:17], v[8:9], off
.LBB228_189:
	s_or_b64 exec, exec, s[0:1]
	v_cmp_lt_u32_e32 vcc, v26, v15
	v_and_b32_e32 v16, 1, v34
	s_or_b64 s[0:1], s[34:35], vcc
	v_cmp_eq_u32_e32 vcc, 1, v16
	s_and_b64 s[4:5], s[0:1], vcc
	;; [unrolled: 16-line block ×4, first 2 shown]
	s_and_saveexec_b64 s[0:1], s[4:5]
	s_cbranch_execz .LBB228_195
; %bb.194:
	s_lshl_b64 s[4:5], s[22:23], 3
	s_add_u32 s4, s28, s4
	s_addc_u32 s5, s29, s5
	v_mov_b32_e32 v23, 0
	v_lshl_add_u64 v[16:17], v[22:23], 3, s[4:5]
	global_store_dwordx2 v[16:17], v[12:13], off
.LBB228_195:
	s_or_b64 exec, exec, s[0:1]
	s_mov_b64 s[6:7], 0
.LBB228_196:
	s_and_b64 vcc, exec, s[6:7]
	s_cbranch_vccz .LBB228_210
; %bb.197:
	v_cmp_eq_u32_e32 vcc, 1, v1
	s_and_saveexec_b64 s[0:1], vcc
; %bb.198:
	v_sub_u32_e32 v16, v30, v20
	v_lshlrev_b32_e32 v16, 3, v16
	ds_write_b64 v16, v[6:7]
; %bb.199:
	s_or_b64 exec, exec, s[0:1]
	v_and_b32_e32 v6, 1, v35
	v_cmp_eq_u32_e32 vcc, 1, v6
	s_and_saveexec_b64 s[0:1], vcc
; %bb.200:
	v_sub_u32_e32 v6, v28, v20
	v_lshlrev_b32_e32 v6, 3, v6
	ds_write_b64 v6, v[8:9]
; %bb.201:
	s_or_b64 exec, exec, s[0:1]
	v_and_b32_e32 v6, 1, v34
	;; [unrolled: 9-line block ×4, first 2 shown]
	v_cmp_eq_u32_e32 vcc, 1, v2
	s_and_saveexec_b64 s[0:1], vcc
; %bb.206:
	v_sub_u32_e32 v2, v22, v20
	v_lshlrev_b32_e32 v2, 3, v2
	ds_write_b64 v2, v[12:13]
; %bb.207:
	s_or_b64 exec, exec, s[0:1]
	v_mov_b32_e32 v3, 0
	v_mov_b32_e32 v21, v3
	v_lshlrev_b64 v[4:5], 3, v[20:21]
	v_lshl_add_u64 v[4:5], s[28:29], 0, v[4:5]
	s_lshl_b64 s[0:1], s[22:23], 3
	v_lshl_add_u64 v[4:5], v[4:5], 0, s[0:1]
	v_lshlrev_b32_e32 v6, 3, v0
	s_mov_b64 s[0:1], 0
	v_mov_b32_e32 v2, v0
	s_waitcnt lgkmcnt(0)
	s_barrier
.LBB228_208:                            ; =>This Inner Loop Header: Depth=1
	ds_read_b64 v[8:9], v6
	v_lshl_add_u64 v[12:13], v[2:3], 3, v[4:5]
	v_add_u32_e32 v2, 0x80, v2
	v_cmp_ge_u32_e32 vcc, v2, v18
	v_add_u32_e32 v6, 0x400, v6
	s_or_b64 s[0:1], vcc, s[0:1]
	s_waitcnt lgkmcnt(0)
	global_store_dwordx2 v[12:13], v[8:9], off
	s_andn2_b64 exec, exec, s[0:1]
	s_cbranch_execnz .LBB228_208
; %bb.209:
	s_or_b64 exec, exec, s[0:1]
.LBB228_210:
	s_mov_b64 s[0:1], -1
	s_and_b64 vcc, exec, s[2:3]
	s_barrier
	s_cbranch_vccnz .LBB228_214
; %bb.211:
	s_and_b64 vcc, exec, s[0:1]
	s_cbranch_vccnz .LBB228_225
.LBB228_212:
	s_and_b64 s[0:1], s[18:19], s[24:25]
	s_and_saveexec_b64 s[2:3], s[0:1]
	s_cbranch_execnz .LBB228_238
.LBB228_213:
	s_endpgm
.LBB228_214:
	v_cmp_lt_u32_e32 vcc, v30, v15
	s_or_b64 s[0:1], s[34:35], vcc
	v_cmp_eq_u32_e32 vcc, 1, v1
	s_and_b64 s[2:3], s[0:1], vcc
	s_and_saveexec_b64 s[0:1], s[2:3]
	s_cbranch_execz .LBB228_216
; %bb.215:
	s_lshl_b64 s[2:3], s[22:23], 3
	s_add_u32 s2, s30, s2
	s_addc_u32 s3, s31, s3
	v_mov_b32_e32 v31, 0
	v_lshl_add_u64 v[2:3], v[30:31], 3, s[2:3]
	global_store_dwordx2 v[2:3], v[56:57], off
.LBB228_216:
	s_or_b64 exec, exec, s[0:1]
	v_cmp_lt_u32_e32 vcc, v28, v15
	v_and_b32_e32 v2, 1, v35
	s_or_b64 s[0:1], s[34:35], vcc
	v_cmp_eq_u32_e32 vcc, 1, v2
	s_and_b64 s[2:3], s[0:1], vcc
	s_and_saveexec_b64 s[0:1], s[2:3]
	s_cbranch_execz .LBB228_218
; %bb.217:
	s_lshl_b64 s[2:3], s[22:23], 3
	s_add_u32 s2, s30, s2
	s_addc_u32 s3, s31, s3
	v_mov_b32_e32 v29, 0
	v_lshl_add_u64 v[2:3], v[28:29], 3, s[2:3]
	global_store_dwordx2 v[2:3], v[58:59], off
.LBB228_218:
	s_or_b64 exec, exec, s[0:1]
	v_cmp_lt_u32_e32 vcc, v26, v15
	v_and_b32_e32 v2, 1, v34
	;; [unrolled: 16-line block ×4, first 2 shown]
	s_or_b64 s[0:1], s[34:35], vcc
	v_cmp_eq_u32_e32 vcc, 1, v2
	s_and_b64 s[2:3], s[0:1], vcc
	s_and_saveexec_b64 s[0:1], s[2:3]
	s_cbranch_execz .LBB228_224
; %bb.223:
	s_lshl_b64 s[2:3], s[22:23], 3
	s_add_u32 s2, s30, s2
	s_addc_u32 s3, s31, s3
	v_mov_b32_e32 v23, 0
	v_lshl_add_u64 v[2:3], v[22:23], 3, s[2:3]
	global_store_dwordx2 v[2:3], v[10:11], off
.LBB228_224:
	s_or_b64 exec, exec, s[0:1]
	s_branch .LBB228_212
.LBB228_225:
	v_cmp_eq_u32_e32 vcc, 1, v1
	s_and_saveexec_b64 s[0:1], vcc
; %bb.226:
	v_sub_u32_e32 v1, v30, v20
	v_lshlrev_b32_e32 v1, 3, v1
	ds_write_b64 v1, v[56:57]
; %bb.227:
	s_or_b64 exec, exec, s[0:1]
	v_and_b32_e32 v1, 1, v35
	v_cmp_eq_u32_e32 vcc, 1, v1
	s_and_saveexec_b64 s[0:1], vcc
; %bb.228:
	v_sub_u32_e32 v1, v28, v20
	v_lshlrev_b32_e32 v1, 3, v1
	ds_write_b64 v1, v[58:59]
; %bb.229:
	s_or_b64 exec, exec, s[0:1]
	v_and_b32_e32 v1, 1, v34
	;; [unrolled: 9-line block ×4, first 2 shown]
	v_cmp_eq_u32_e32 vcc, 1, v1
	s_and_saveexec_b64 s[0:1], vcc
; %bb.234:
	v_sub_u32_e32 v1, v22, v20
	v_lshlrev_b32_e32 v1, 3, v1
	ds_write_b64 v1, v[10:11]
; %bb.235:
	s_or_b64 exec, exec, s[0:1]
	v_mov_b32_e32 v1, 0
	v_mov_b32_e32 v21, v1
	v_lshlrev_b64 v[2:3], 3, v[20:21]
	v_lshl_add_u64 v[2:3], s[30:31], 0, v[2:3]
	s_lshl_b64 s[0:1], s[22:23], 3
	v_lshl_add_u64 v[2:3], v[2:3], 0, s[0:1]
	s_mov_b64 s[0:1], 0
	s_waitcnt lgkmcnt(0)
	s_barrier
.LBB228_236:                            ; =>This Inner Loop Header: Depth=1
	ds_read_b64 v[4:5], v32
	v_lshl_add_u64 v[6:7], v[0:1], 3, v[2:3]
	v_add_u32_e32 v0, 0x80, v0
	v_cmp_ge_u32_e32 vcc, v0, v18
	v_add_u32_e32 v32, 0x400, v32
	s_or_b64 s[0:1], vcc, s[0:1]
	s_waitcnt lgkmcnt(0)
	global_store_dwordx2 v[6:7], v[4:5], off
	s_andn2_b64 exec, exec, s[0:1]
	s_cbranch_execnz .LBB228_236
; %bb.237:
	s_or_b64 exec, exec, s[0:1]
	s_and_b64 s[0:1], s[18:19], s[24:25]
	s_and_saveexec_b64 s[2:3], s[0:1]
	s_cbranch_execz .LBB228_213
.LBB228_238:
	v_mov_b32_e32 v19, 0
	v_lshl_add_u64 v[0:1], s[22:23], 0, v[18:19]
	v_mov_b32_e32 v21, v19
	v_lshl_add_u64 v[0:1], v[0:1], 0, v[20:21]
	global_store_dwordx2 v19, v[0:1], s[20:21]
	s_endpgm
	.section	.rodata,"a",@progbits
	.p2align	6, 0x0
	.amdhsa_kernel _ZN7rocprim17ROCPRIM_400000_NS6detail17trampoline_kernelINS0_14default_configENS1_25partition_config_selectorILNS1_17partition_subalgoE9EllbEEZZNS1_14partition_implILS5_9ELb0ES3_jPlS8_PNS0_10empty_typeENS0_5tupleIJS8_S9_EEENSB_IJS8_SA_EEENS0_18inequality_wrapperIZN2at6native12_GLOBAL__N_124unique_dim_cuda_templateIhEESt5tupleIJNSF_6TensorESK_SK_EERKSK_lbbbEUlllE0_EEPmJS9_EEE10hipError_tPvRmT3_T4_T5_T6_T7_T9_mT8_P12ihipStream_tbDpT10_ENKUlT_T0_E_clISt17integral_constantIbLb0EES19_IbLb1EEEEDaS15_S16_EUlS15_E_NS1_11comp_targetILNS1_3genE0ELNS1_11target_archE4294967295ELNS1_3gpuE0ELNS1_3repE0EEENS1_30default_config_static_selectorELNS0_4arch9wavefront6targetE1EEEvT1_
		.amdhsa_group_segment_fixed_size 5128
		.amdhsa_private_segment_fixed_size 0
		.amdhsa_kernarg_size 136
		.amdhsa_user_sgpr_count 2
		.amdhsa_user_sgpr_dispatch_ptr 0
		.amdhsa_user_sgpr_queue_ptr 0
		.amdhsa_user_sgpr_kernarg_segment_ptr 1
		.amdhsa_user_sgpr_dispatch_id 0
		.amdhsa_user_sgpr_kernarg_preload_length 0
		.amdhsa_user_sgpr_kernarg_preload_offset 0
		.amdhsa_user_sgpr_private_segment_size 0
		.amdhsa_uses_dynamic_stack 0
		.amdhsa_enable_private_segment 0
		.amdhsa_system_sgpr_workgroup_id_x 1
		.amdhsa_system_sgpr_workgroup_id_y 0
		.amdhsa_system_sgpr_workgroup_id_z 0
		.amdhsa_system_sgpr_workgroup_info 0
		.amdhsa_system_vgpr_workitem_id 0
		.amdhsa_next_free_vgpr 60
		.amdhsa_next_free_sgpr 52
		.amdhsa_accum_offset 60
		.amdhsa_reserve_vcc 1
		.amdhsa_float_round_mode_32 0
		.amdhsa_float_round_mode_16_64 0
		.amdhsa_float_denorm_mode_32 3
		.amdhsa_float_denorm_mode_16_64 3
		.amdhsa_dx10_clamp 1
		.amdhsa_ieee_mode 1
		.amdhsa_fp16_overflow 0
		.amdhsa_tg_split 0
		.amdhsa_exception_fp_ieee_invalid_op 0
		.amdhsa_exception_fp_denorm_src 0
		.amdhsa_exception_fp_ieee_div_zero 0
		.amdhsa_exception_fp_ieee_overflow 0
		.amdhsa_exception_fp_ieee_underflow 0
		.amdhsa_exception_fp_ieee_inexact 0
		.amdhsa_exception_int_div_zero 0
	.end_amdhsa_kernel
	.section	.text._ZN7rocprim17ROCPRIM_400000_NS6detail17trampoline_kernelINS0_14default_configENS1_25partition_config_selectorILNS1_17partition_subalgoE9EllbEEZZNS1_14partition_implILS5_9ELb0ES3_jPlS8_PNS0_10empty_typeENS0_5tupleIJS8_S9_EEENSB_IJS8_SA_EEENS0_18inequality_wrapperIZN2at6native12_GLOBAL__N_124unique_dim_cuda_templateIhEESt5tupleIJNSF_6TensorESK_SK_EERKSK_lbbbEUlllE0_EEPmJS9_EEE10hipError_tPvRmT3_T4_T5_T6_T7_T9_mT8_P12ihipStream_tbDpT10_ENKUlT_T0_E_clISt17integral_constantIbLb0EES19_IbLb1EEEEDaS15_S16_EUlS15_E_NS1_11comp_targetILNS1_3genE0ELNS1_11target_archE4294967295ELNS1_3gpuE0ELNS1_3repE0EEENS1_30default_config_static_selectorELNS0_4arch9wavefront6targetE1EEEvT1_,"axG",@progbits,_ZN7rocprim17ROCPRIM_400000_NS6detail17trampoline_kernelINS0_14default_configENS1_25partition_config_selectorILNS1_17partition_subalgoE9EllbEEZZNS1_14partition_implILS5_9ELb0ES3_jPlS8_PNS0_10empty_typeENS0_5tupleIJS8_S9_EEENSB_IJS8_SA_EEENS0_18inequality_wrapperIZN2at6native12_GLOBAL__N_124unique_dim_cuda_templateIhEESt5tupleIJNSF_6TensorESK_SK_EERKSK_lbbbEUlllE0_EEPmJS9_EEE10hipError_tPvRmT3_T4_T5_T6_T7_T9_mT8_P12ihipStream_tbDpT10_ENKUlT_T0_E_clISt17integral_constantIbLb0EES19_IbLb1EEEEDaS15_S16_EUlS15_E_NS1_11comp_targetILNS1_3genE0ELNS1_11target_archE4294967295ELNS1_3gpuE0ELNS1_3repE0EEENS1_30default_config_static_selectorELNS0_4arch9wavefront6targetE1EEEvT1_,comdat
.Lfunc_end228:
	.size	_ZN7rocprim17ROCPRIM_400000_NS6detail17trampoline_kernelINS0_14default_configENS1_25partition_config_selectorILNS1_17partition_subalgoE9EllbEEZZNS1_14partition_implILS5_9ELb0ES3_jPlS8_PNS0_10empty_typeENS0_5tupleIJS8_S9_EEENSB_IJS8_SA_EEENS0_18inequality_wrapperIZN2at6native12_GLOBAL__N_124unique_dim_cuda_templateIhEESt5tupleIJNSF_6TensorESK_SK_EERKSK_lbbbEUlllE0_EEPmJS9_EEE10hipError_tPvRmT3_T4_T5_T6_T7_T9_mT8_P12ihipStream_tbDpT10_ENKUlT_T0_E_clISt17integral_constantIbLb0EES19_IbLb1EEEEDaS15_S16_EUlS15_E_NS1_11comp_targetILNS1_3genE0ELNS1_11target_archE4294967295ELNS1_3gpuE0ELNS1_3repE0EEENS1_30default_config_static_selectorELNS0_4arch9wavefront6targetE1EEEvT1_, .Lfunc_end228-_ZN7rocprim17ROCPRIM_400000_NS6detail17trampoline_kernelINS0_14default_configENS1_25partition_config_selectorILNS1_17partition_subalgoE9EllbEEZZNS1_14partition_implILS5_9ELb0ES3_jPlS8_PNS0_10empty_typeENS0_5tupleIJS8_S9_EEENSB_IJS8_SA_EEENS0_18inequality_wrapperIZN2at6native12_GLOBAL__N_124unique_dim_cuda_templateIhEESt5tupleIJNSF_6TensorESK_SK_EERKSK_lbbbEUlllE0_EEPmJS9_EEE10hipError_tPvRmT3_T4_T5_T6_T7_T9_mT8_P12ihipStream_tbDpT10_ENKUlT_T0_E_clISt17integral_constantIbLb0EES19_IbLb1EEEEDaS15_S16_EUlS15_E_NS1_11comp_targetILNS1_3genE0ELNS1_11target_archE4294967295ELNS1_3gpuE0ELNS1_3repE0EEENS1_30default_config_static_selectorELNS0_4arch9wavefront6targetE1EEEvT1_
                                        ; -- End function
	.set _ZN7rocprim17ROCPRIM_400000_NS6detail17trampoline_kernelINS0_14default_configENS1_25partition_config_selectorILNS1_17partition_subalgoE9EllbEEZZNS1_14partition_implILS5_9ELb0ES3_jPlS8_PNS0_10empty_typeENS0_5tupleIJS8_S9_EEENSB_IJS8_SA_EEENS0_18inequality_wrapperIZN2at6native12_GLOBAL__N_124unique_dim_cuda_templateIhEESt5tupleIJNSF_6TensorESK_SK_EERKSK_lbbbEUlllE0_EEPmJS9_EEE10hipError_tPvRmT3_T4_T5_T6_T7_T9_mT8_P12ihipStream_tbDpT10_ENKUlT_T0_E_clISt17integral_constantIbLb0EES19_IbLb1EEEEDaS15_S16_EUlS15_E_NS1_11comp_targetILNS1_3genE0ELNS1_11target_archE4294967295ELNS1_3gpuE0ELNS1_3repE0EEENS1_30default_config_static_selectorELNS0_4arch9wavefront6targetE1EEEvT1_.num_vgpr, 60
	.set _ZN7rocprim17ROCPRIM_400000_NS6detail17trampoline_kernelINS0_14default_configENS1_25partition_config_selectorILNS1_17partition_subalgoE9EllbEEZZNS1_14partition_implILS5_9ELb0ES3_jPlS8_PNS0_10empty_typeENS0_5tupleIJS8_S9_EEENSB_IJS8_SA_EEENS0_18inequality_wrapperIZN2at6native12_GLOBAL__N_124unique_dim_cuda_templateIhEESt5tupleIJNSF_6TensorESK_SK_EERKSK_lbbbEUlllE0_EEPmJS9_EEE10hipError_tPvRmT3_T4_T5_T6_T7_T9_mT8_P12ihipStream_tbDpT10_ENKUlT_T0_E_clISt17integral_constantIbLb0EES19_IbLb1EEEEDaS15_S16_EUlS15_E_NS1_11comp_targetILNS1_3genE0ELNS1_11target_archE4294967295ELNS1_3gpuE0ELNS1_3repE0EEENS1_30default_config_static_selectorELNS0_4arch9wavefront6targetE1EEEvT1_.num_agpr, 0
	.set _ZN7rocprim17ROCPRIM_400000_NS6detail17trampoline_kernelINS0_14default_configENS1_25partition_config_selectorILNS1_17partition_subalgoE9EllbEEZZNS1_14partition_implILS5_9ELb0ES3_jPlS8_PNS0_10empty_typeENS0_5tupleIJS8_S9_EEENSB_IJS8_SA_EEENS0_18inequality_wrapperIZN2at6native12_GLOBAL__N_124unique_dim_cuda_templateIhEESt5tupleIJNSF_6TensorESK_SK_EERKSK_lbbbEUlllE0_EEPmJS9_EEE10hipError_tPvRmT3_T4_T5_T6_T7_T9_mT8_P12ihipStream_tbDpT10_ENKUlT_T0_E_clISt17integral_constantIbLb0EES19_IbLb1EEEEDaS15_S16_EUlS15_E_NS1_11comp_targetILNS1_3genE0ELNS1_11target_archE4294967295ELNS1_3gpuE0ELNS1_3repE0EEENS1_30default_config_static_selectorELNS0_4arch9wavefront6targetE1EEEvT1_.numbered_sgpr, 52
	.set _ZN7rocprim17ROCPRIM_400000_NS6detail17trampoline_kernelINS0_14default_configENS1_25partition_config_selectorILNS1_17partition_subalgoE9EllbEEZZNS1_14partition_implILS5_9ELb0ES3_jPlS8_PNS0_10empty_typeENS0_5tupleIJS8_S9_EEENSB_IJS8_SA_EEENS0_18inequality_wrapperIZN2at6native12_GLOBAL__N_124unique_dim_cuda_templateIhEESt5tupleIJNSF_6TensorESK_SK_EERKSK_lbbbEUlllE0_EEPmJS9_EEE10hipError_tPvRmT3_T4_T5_T6_T7_T9_mT8_P12ihipStream_tbDpT10_ENKUlT_T0_E_clISt17integral_constantIbLb0EES19_IbLb1EEEEDaS15_S16_EUlS15_E_NS1_11comp_targetILNS1_3genE0ELNS1_11target_archE4294967295ELNS1_3gpuE0ELNS1_3repE0EEENS1_30default_config_static_selectorELNS0_4arch9wavefront6targetE1EEEvT1_.num_named_barrier, 0
	.set _ZN7rocprim17ROCPRIM_400000_NS6detail17trampoline_kernelINS0_14default_configENS1_25partition_config_selectorILNS1_17partition_subalgoE9EllbEEZZNS1_14partition_implILS5_9ELb0ES3_jPlS8_PNS0_10empty_typeENS0_5tupleIJS8_S9_EEENSB_IJS8_SA_EEENS0_18inequality_wrapperIZN2at6native12_GLOBAL__N_124unique_dim_cuda_templateIhEESt5tupleIJNSF_6TensorESK_SK_EERKSK_lbbbEUlllE0_EEPmJS9_EEE10hipError_tPvRmT3_T4_T5_T6_T7_T9_mT8_P12ihipStream_tbDpT10_ENKUlT_T0_E_clISt17integral_constantIbLb0EES19_IbLb1EEEEDaS15_S16_EUlS15_E_NS1_11comp_targetILNS1_3genE0ELNS1_11target_archE4294967295ELNS1_3gpuE0ELNS1_3repE0EEENS1_30default_config_static_selectorELNS0_4arch9wavefront6targetE1EEEvT1_.private_seg_size, 0
	.set _ZN7rocprim17ROCPRIM_400000_NS6detail17trampoline_kernelINS0_14default_configENS1_25partition_config_selectorILNS1_17partition_subalgoE9EllbEEZZNS1_14partition_implILS5_9ELb0ES3_jPlS8_PNS0_10empty_typeENS0_5tupleIJS8_S9_EEENSB_IJS8_SA_EEENS0_18inequality_wrapperIZN2at6native12_GLOBAL__N_124unique_dim_cuda_templateIhEESt5tupleIJNSF_6TensorESK_SK_EERKSK_lbbbEUlllE0_EEPmJS9_EEE10hipError_tPvRmT3_T4_T5_T6_T7_T9_mT8_P12ihipStream_tbDpT10_ENKUlT_T0_E_clISt17integral_constantIbLb0EES19_IbLb1EEEEDaS15_S16_EUlS15_E_NS1_11comp_targetILNS1_3genE0ELNS1_11target_archE4294967295ELNS1_3gpuE0ELNS1_3repE0EEENS1_30default_config_static_selectorELNS0_4arch9wavefront6targetE1EEEvT1_.uses_vcc, 1
	.set _ZN7rocprim17ROCPRIM_400000_NS6detail17trampoline_kernelINS0_14default_configENS1_25partition_config_selectorILNS1_17partition_subalgoE9EllbEEZZNS1_14partition_implILS5_9ELb0ES3_jPlS8_PNS0_10empty_typeENS0_5tupleIJS8_S9_EEENSB_IJS8_SA_EEENS0_18inequality_wrapperIZN2at6native12_GLOBAL__N_124unique_dim_cuda_templateIhEESt5tupleIJNSF_6TensorESK_SK_EERKSK_lbbbEUlllE0_EEPmJS9_EEE10hipError_tPvRmT3_T4_T5_T6_T7_T9_mT8_P12ihipStream_tbDpT10_ENKUlT_T0_E_clISt17integral_constantIbLb0EES19_IbLb1EEEEDaS15_S16_EUlS15_E_NS1_11comp_targetILNS1_3genE0ELNS1_11target_archE4294967295ELNS1_3gpuE0ELNS1_3repE0EEENS1_30default_config_static_selectorELNS0_4arch9wavefront6targetE1EEEvT1_.uses_flat_scratch, 0
	.set _ZN7rocprim17ROCPRIM_400000_NS6detail17trampoline_kernelINS0_14default_configENS1_25partition_config_selectorILNS1_17partition_subalgoE9EllbEEZZNS1_14partition_implILS5_9ELb0ES3_jPlS8_PNS0_10empty_typeENS0_5tupleIJS8_S9_EEENSB_IJS8_SA_EEENS0_18inequality_wrapperIZN2at6native12_GLOBAL__N_124unique_dim_cuda_templateIhEESt5tupleIJNSF_6TensorESK_SK_EERKSK_lbbbEUlllE0_EEPmJS9_EEE10hipError_tPvRmT3_T4_T5_T6_T7_T9_mT8_P12ihipStream_tbDpT10_ENKUlT_T0_E_clISt17integral_constantIbLb0EES19_IbLb1EEEEDaS15_S16_EUlS15_E_NS1_11comp_targetILNS1_3genE0ELNS1_11target_archE4294967295ELNS1_3gpuE0ELNS1_3repE0EEENS1_30default_config_static_selectorELNS0_4arch9wavefront6targetE1EEEvT1_.has_dyn_sized_stack, 0
	.set _ZN7rocprim17ROCPRIM_400000_NS6detail17trampoline_kernelINS0_14default_configENS1_25partition_config_selectorILNS1_17partition_subalgoE9EllbEEZZNS1_14partition_implILS5_9ELb0ES3_jPlS8_PNS0_10empty_typeENS0_5tupleIJS8_S9_EEENSB_IJS8_SA_EEENS0_18inequality_wrapperIZN2at6native12_GLOBAL__N_124unique_dim_cuda_templateIhEESt5tupleIJNSF_6TensorESK_SK_EERKSK_lbbbEUlllE0_EEPmJS9_EEE10hipError_tPvRmT3_T4_T5_T6_T7_T9_mT8_P12ihipStream_tbDpT10_ENKUlT_T0_E_clISt17integral_constantIbLb0EES19_IbLb1EEEEDaS15_S16_EUlS15_E_NS1_11comp_targetILNS1_3genE0ELNS1_11target_archE4294967295ELNS1_3gpuE0ELNS1_3repE0EEENS1_30default_config_static_selectorELNS0_4arch9wavefront6targetE1EEEvT1_.has_recursion, 0
	.set _ZN7rocprim17ROCPRIM_400000_NS6detail17trampoline_kernelINS0_14default_configENS1_25partition_config_selectorILNS1_17partition_subalgoE9EllbEEZZNS1_14partition_implILS5_9ELb0ES3_jPlS8_PNS0_10empty_typeENS0_5tupleIJS8_S9_EEENSB_IJS8_SA_EEENS0_18inequality_wrapperIZN2at6native12_GLOBAL__N_124unique_dim_cuda_templateIhEESt5tupleIJNSF_6TensorESK_SK_EERKSK_lbbbEUlllE0_EEPmJS9_EEE10hipError_tPvRmT3_T4_T5_T6_T7_T9_mT8_P12ihipStream_tbDpT10_ENKUlT_T0_E_clISt17integral_constantIbLb0EES19_IbLb1EEEEDaS15_S16_EUlS15_E_NS1_11comp_targetILNS1_3genE0ELNS1_11target_archE4294967295ELNS1_3gpuE0ELNS1_3repE0EEENS1_30default_config_static_selectorELNS0_4arch9wavefront6targetE1EEEvT1_.has_indirect_call, 0
	.section	.AMDGPU.csdata,"",@progbits
; Kernel info:
; codeLenInByte = 9416
; TotalNumSgprs: 58
; NumVgprs: 60
; NumAgprs: 0
; TotalNumVgprs: 60
; ScratchSize: 0
; MemoryBound: 0
; FloatMode: 240
; IeeeMode: 1
; LDSByteSize: 5128 bytes/workgroup (compile time only)
; SGPRBlocks: 7
; VGPRBlocks: 7
; NumSGPRsForWavesPerEU: 58
; NumVGPRsForWavesPerEU: 60
; AccumOffset: 60
; Occupancy: 8
; WaveLimiterHint : 1
; COMPUTE_PGM_RSRC2:SCRATCH_EN: 0
; COMPUTE_PGM_RSRC2:USER_SGPR: 2
; COMPUTE_PGM_RSRC2:TRAP_HANDLER: 0
; COMPUTE_PGM_RSRC2:TGID_X_EN: 1
; COMPUTE_PGM_RSRC2:TGID_Y_EN: 0
; COMPUTE_PGM_RSRC2:TGID_Z_EN: 0
; COMPUTE_PGM_RSRC2:TIDIG_COMP_CNT: 0
; COMPUTE_PGM_RSRC3_GFX90A:ACCUM_OFFSET: 14
; COMPUTE_PGM_RSRC3_GFX90A:TG_SPLIT: 0
	.section	.text._ZN7rocprim17ROCPRIM_400000_NS6detail17trampoline_kernelINS0_14default_configENS1_25partition_config_selectorILNS1_17partition_subalgoE9EllbEEZZNS1_14partition_implILS5_9ELb0ES3_jPlS8_PNS0_10empty_typeENS0_5tupleIJS8_S9_EEENSB_IJS8_SA_EEENS0_18inequality_wrapperIZN2at6native12_GLOBAL__N_124unique_dim_cuda_templateIhEESt5tupleIJNSF_6TensorESK_SK_EERKSK_lbbbEUlllE0_EEPmJS9_EEE10hipError_tPvRmT3_T4_T5_T6_T7_T9_mT8_P12ihipStream_tbDpT10_ENKUlT_T0_E_clISt17integral_constantIbLb0EES19_IbLb1EEEEDaS15_S16_EUlS15_E_NS1_11comp_targetILNS1_3genE5ELNS1_11target_archE942ELNS1_3gpuE9ELNS1_3repE0EEENS1_30default_config_static_selectorELNS0_4arch9wavefront6targetE1EEEvT1_,"axG",@progbits,_ZN7rocprim17ROCPRIM_400000_NS6detail17trampoline_kernelINS0_14default_configENS1_25partition_config_selectorILNS1_17partition_subalgoE9EllbEEZZNS1_14partition_implILS5_9ELb0ES3_jPlS8_PNS0_10empty_typeENS0_5tupleIJS8_S9_EEENSB_IJS8_SA_EEENS0_18inequality_wrapperIZN2at6native12_GLOBAL__N_124unique_dim_cuda_templateIhEESt5tupleIJNSF_6TensorESK_SK_EERKSK_lbbbEUlllE0_EEPmJS9_EEE10hipError_tPvRmT3_T4_T5_T6_T7_T9_mT8_P12ihipStream_tbDpT10_ENKUlT_T0_E_clISt17integral_constantIbLb0EES19_IbLb1EEEEDaS15_S16_EUlS15_E_NS1_11comp_targetILNS1_3genE5ELNS1_11target_archE942ELNS1_3gpuE9ELNS1_3repE0EEENS1_30default_config_static_selectorELNS0_4arch9wavefront6targetE1EEEvT1_,comdat
	.globl	_ZN7rocprim17ROCPRIM_400000_NS6detail17trampoline_kernelINS0_14default_configENS1_25partition_config_selectorILNS1_17partition_subalgoE9EllbEEZZNS1_14partition_implILS5_9ELb0ES3_jPlS8_PNS0_10empty_typeENS0_5tupleIJS8_S9_EEENSB_IJS8_SA_EEENS0_18inequality_wrapperIZN2at6native12_GLOBAL__N_124unique_dim_cuda_templateIhEESt5tupleIJNSF_6TensorESK_SK_EERKSK_lbbbEUlllE0_EEPmJS9_EEE10hipError_tPvRmT3_T4_T5_T6_T7_T9_mT8_P12ihipStream_tbDpT10_ENKUlT_T0_E_clISt17integral_constantIbLb0EES19_IbLb1EEEEDaS15_S16_EUlS15_E_NS1_11comp_targetILNS1_3genE5ELNS1_11target_archE942ELNS1_3gpuE9ELNS1_3repE0EEENS1_30default_config_static_selectorELNS0_4arch9wavefront6targetE1EEEvT1_ ; -- Begin function _ZN7rocprim17ROCPRIM_400000_NS6detail17trampoline_kernelINS0_14default_configENS1_25partition_config_selectorILNS1_17partition_subalgoE9EllbEEZZNS1_14partition_implILS5_9ELb0ES3_jPlS8_PNS0_10empty_typeENS0_5tupleIJS8_S9_EEENSB_IJS8_SA_EEENS0_18inequality_wrapperIZN2at6native12_GLOBAL__N_124unique_dim_cuda_templateIhEESt5tupleIJNSF_6TensorESK_SK_EERKSK_lbbbEUlllE0_EEPmJS9_EEE10hipError_tPvRmT3_T4_T5_T6_T7_T9_mT8_P12ihipStream_tbDpT10_ENKUlT_T0_E_clISt17integral_constantIbLb0EES19_IbLb1EEEEDaS15_S16_EUlS15_E_NS1_11comp_targetILNS1_3genE5ELNS1_11target_archE942ELNS1_3gpuE9ELNS1_3repE0EEENS1_30default_config_static_selectorELNS0_4arch9wavefront6targetE1EEEvT1_
	.p2align	8
	.type	_ZN7rocprim17ROCPRIM_400000_NS6detail17trampoline_kernelINS0_14default_configENS1_25partition_config_selectorILNS1_17partition_subalgoE9EllbEEZZNS1_14partition_implILS5_9ELb0ES3_jPlS8_PNS0_10empty_typeENS0_5tupleIJS8_S9_EEENSB_IJS8_SA_EEENS0_18inequality_wrapperIZN2at6native12_GLOBAL__N_124unique_dim_cuda_templateIhEESt5tupleIJNSF_6TensorESK_SK_EERKSK_lbbbEUlllE0_EEPmJS9_EEE10hipError_tPvRmT3_T4_T5_T6_T7_T9_mT8_P12ihipStream_tbDpT10_ENKUlT_T0_E_clISt17integral_constantIbLb0EES19_IbLb1EEEEDaS15_S16_EUlS15_E_NS1_11comp_targetILNS1_3genE5ELNS1_11target_archE942ELNS1_3gpuE9ELNS1_3repE0EEENS1_30default_config_static_selectorELNS0_4arch9wavefront6targetE1EEEvT1_,@function
_ZN7rocprim17ROCPRIM_400000_NS6detail17trampoline_kernelINS0_14default_configENS1_25partition_config_selectorILNS1_17partition_subalgoE9EllbEEZZNS1_14partition_implILS5_9ELb0ES3_jPlS8_PNS0_10empty_typeENS0_5tupleIJS8_S9_EEENSB_IJS8_SA_EEENS0_18inequality_wrapperIZN2at6native12_GLOBAL__N_124unique_dim_cuda_templateIhEESt5tupleIJNSF_6TensorESK_SK_EERKSK_lbbbEUlllE0_EEPmJS9_EEE10hipError_tPvRmT3_T4_T5_T6_T7_T9_mT8_P12ihipStream_tbDpT10_ENKUlT_T0_E_clISt17integral_constantIbLb0EES19_IbLb1EEEEDaS15_S16_EUlS15_E_NS1_11comp_targetILNS1_3genE5ELNS1_11target_archE942ELNS1_3gpuE9ELNS1_3repE0EEENS1_30default_config_static_selectorELNS0_4arch9wavefront6targetE1EEEvT1_: ; @_ZN7rocprim17ROCPRIM_400000_NS6detail17trampoline_kernelINS0_14default_configENS1_25partition_config_selectorILNS1_17partition_subalgoE9EllbEEZZNS1_14partition_implILS5_9ELb0ES3_jPlS8_PNS0_10empty_typeENS0_5tupleIJS8_S9_EEENSB_IJS8_SA_EEENS0_18inequality_wrapperIZN2at6native12_GLOBAL__N_124unique_dim_cuda_templateIhEESt5tupleIJNSF_6TensorESK_SK_EERKSK_lbbbEUlllE0_EEPmJS9_EEE10hipError_tPvRmT3_T4_T5_T6_T7_T9_mT8_P12ihipStream_tbDpT10_ENKUlT_T0_E_clISt17integral_constantIbLb0EES19_IbLb1EEEEDaS15_S16_EUlS15_E_NS1_11comp_targetILNS1_3genE5ELNS1_11target_archE942ELNS1_3gpuE9ELNS1_3repE0EEENS1_30default_config_static_selectorELNS0_4arch9wavefront6targetE1EEEvT1_
; %bb.0:
	.section	.rodata,"a",@progbits
	.p2align	6, 0x0
	.amdhsa_kernel _ZN7rocprim17ROCPRIM_400000_NS6detail17trampoline_kernelINS0_14default_configENS1_25partition_config_selectorILNS1_17partition_subalgoE9EllbEEZZNS1_14partition_implILS5_9ELb0ES3_jPlS8_PNS0_10empty_typeENS0_5tupleIJS8_S9_EEENSB_IJS8_SA_EEENS0_18inequality_wrapperIZN2at6native12_GLOBAL__N_124unique_dim_cuda_templateIhEESt5tupleIJNSF_6TensorESK_SK_EERKSK_lbbbEUlllE0_EEPmJS9_EEE10hipError_tPvRmT3_T4_T5_T6_T7_T9_mT8_P12ihipStream_tbDpT10_ENKUlT_T0_E_clISt17integral_constantIbLb0EES19_IbLb1EEEEDaS15_S16_EUlS15_E_NS1_11comp_targetILNS1_3genE5ELNS1_11target_archE942ELNS1_3gpuE9ELNS1_3repE0EEENS1_30default_config_static_selectorELNS0_4arch9wavefront6targetE1EEEvT1_
		.amdhsa_group_segment_fixed_size 0
		.amdhsa_private_segment_fixed_size 0
		.amdhsa_kernarg_size 136
		.amdhsa_user_sgpr_count 2
		.amdhsa_user_sgpr_dispatch_ptr 0
		.amdhsa_user_sgpr_queue_ptr 0
		.amdhsa_user_sgpr_kernarg_segment_ptr 1
		.amdhsa_user_sgpr_dispatch_id 0
		.amdhsa_user_sgpr_kernarg_preload_length 0
		.amdhsa_user_sgpr_kernarg_preload_offset 0
		.amdhsa_user_sgpr_private_segment_size 0
		.amdhsa_uses_dynamic_stack 0
		.amdhsa_enable_private_segment 0
		.amdhsa_system_sgpr_workgroup_id_x 1
		.amdhsa_system_sgpr_workgroup_id_y 0
		.amdhsa_system_sgpr_workgroup_id_z 0
		.amdhsa_system_sgpr_workgroup_info 0
		.amdhsa_system_vgpr_workitem_id 0
		.amdhsa_next_free_vgpr 1
		.amdhsa_next_free_sgpr 0
		.amdhsa_accum_offset 4
		.amdhsa_reserve_vcc 0
		.amdhsa_float_round_mode_32 0
		.amdhsa_float_round_mode_16_64 0
		.amdhsa_float_denorm_mode_32 3
		.amdhsa_float_denorm_mode_16_64 3
		.amdhsa_dx10_clamp 1
		.amdhsa_ieee_mode 1
		.amdhsa_fp16_overflow 0
		.amdhsa_tg_split 0
		.amdhsa_exception_fp_ieee_invalid_op 0
		.amdhsa_exception_fp_denorm_src 0
		.amdhsa_exception_fp_ieee_div_zero 0
		.amdhsa_exception_fp_ieee_overflow 0
		.amdhsa_exception_fp_ieee_underflow 0
		.amdhsa_exception_fp_ieee_inexact 0
		.amdhsa_exception_int_div_zero 0
	.end_amdhsa_kernel
	.section	.text._ZN7rocprim17ROCPRIM_400000_NS6detail17trampoline_kernelINS0_14default_configENS1_25partition_config_selectorILNS1_17partition_subalgoE9EllbEEZZNS1_14partition_implILS5_9ELb0ES3_jPlS8_PNS0_10empty_typeENS0_5tupleIJS8_S9_EEENSB_IJS8_SA_EEENS0_18inequality_wrapperIZN2at6native12_GLOBAL__N_124unique_dim_cuda_templateIhEESt5tupleIJNSF_6TensorESK_SK_EERKSK_lbbbEUlllE0_EEPmJS9_EEE10hipError_tPvRmT3_T4_T5_T6_T7_T9_mT8_P12ihipStream_tbDpT10_ENKUlT_T0_E_clISt17integral_constantIbLb0EES19_IbLb1EEEEDaS15_S16_EUlS15_E_NS1_11comp_targetILNS1_3genE5ELNS1_11target_archE942ELNS1_3gpuE9ELNS1_3repE0EEENS1_30default_config_static_selectorELNS0_4arch9wavefront6targetE1EEEvT1_,"axG",@progbits,_ZN7rocprim17ROCPRIM_400000_NS6detail17trampoline_kernelINS0_14default_configENS1_25partition_config_selectorILNS1_17partition_subalgoE9EllbEEZZNS1_14partition_implILS5_9ELb0ES3_jPlS8_PNS0_10empty_typeENS0_5tupleIJS8_S9_EEENSB_IJS8_SA_EEENS0_18inequality_wrapperIZN2at6native12_GLOBAL__N_124unique_dim_cuda_templateIhEESt5tupleIJNSF_6TensorESK_SK_EERKSK_lbbbEUlllE0_EEPmJS9_EEE10hipError_tPvRmT3_T4_T5_T6_T7_T9_mT8_P12ihipStream_tbDpT10_ENKUlT_T0_E_clISt17integral_constantIbLb0EES19_IbLb1EEEEDaS15_S16_EUlS15_E_NS1_11comp_targetILNS1_3genE5ELNS1_11target_archE942ELNS1_3gpuE9ELNS1_3repE0EEENS1_30default_config_static_selectorELNS0_4arch9wavefront6targetE1EEEvT1_,comdat
.Lfunc_end229:
	.size	_ZN7rocprim17ROCPRIM_400000_NS6detail17trampoline_kernelINS0_14default_configENS1_25partition_config_selectorILNS1_17partition_subalgoE9EllbEEZZNS1_14partition_implILS5_9ELb0ES3_jPlS8_PNS0_10empty_typeENS0_5tupleIJS8_S9_EEENSB_IJS8_SA_EEENS0_18inequality_wrapperIZN2at6native12_GLOBAL__N_124unique_dim_cuda_templateIhEESt5tupleIJNSF_6TensorESK_SK_EERKSK_lbbbEUlllE0_EEPmJS9_EEE10hipError_tPvRmT3_T4_T5_T6_T7_T9_mT8_P12ihipStream_tbDpT10_ENKUlT_T0_E_clISt17integral_constantIbLb0EES19_IbLb1EEEEDaS15_S16_EUlS15_E_NS1_11comp_targetILNS1_3genE5ELNS1_11target_archE942ELNS1_3gpuE9ELNS1_3repE0EEENS1_30default_config_static_selectorELNS0_4arch9wavefront6targetE1EEEvT1_, .Lfunc_end229-_ZN7rocprim17ROCPRIM_400000_NS6detail17trampoline_kernelINS0_14default_configENS1_25partition_config_selectorILNS1_17partition_subalgoE9EllbEEZZNS1_14partition_implILS5_9ELb0ES3_jPlS8_PNS0_10empty_typeENS0_5tupleIJS8_S9_EEENSB_IJS8_SA_EEENS0_18inequality_wrapperIZN2at6native12_GLOBAL__N_124unique_dim_cuda_templateIhEESt5tupleIJNSF_6TensorESK_SK_EERKSK_lbbbEUlllE0_EEPmJS9_EEE10hipError_tPvRmT3_T4_T5_T6_T7_T9_mT8_P12ihipStream_tbDpT10_ENKUlT_T0_E_clISt17integral_constantIbLb0EES19_IbLb1EEEEDaS15_S16_EUlS15_E_NS1_11comp_targetILNS1_3genE5ELNS1_11target_archE942ELNS1_3gpuE9ELNS1_3repE0EEENS1_30default_config_static_selectorELNS0_4arch9wavefront6targetE1EEEvT1_
                                        ; -- End function
	.set _ZN7rocprim17ROCPRIM_400000_NS6detail17trampoline_kernelINS0_14default_configENS1_25partition_config_selectorILNS1_17partition_subalgoE9EllbEEZZNS1_14partition_implILS5_9ELb0ES3_jPlS8_PNS0_10empty_typeENS0_5tupleIJS8_S9_EEENSB_IJS8_SA_EEENS0_18inequality_wrapperIZN2at6native12_GLOBAL__N_124unique_dim_cuda_templateIhEESt5tupleIJNSF_6TensorESK_SK_EERKSK_lbbbEUlllE0_EEPmJS9_EEE10hipError_tPvRmT3_T4_T5_T6_T7_T9_mT8_P12ihipStream_tbDpT10_ENKUlT_T0_E_clISt17integral_constantIbLb0EES19_IbLb1EEEEDaS15_S16_EUlS15_E_NS1_11comp_targetILNS1_3genE5ELNS1_11target_archE942ELNS1_3gpuE9ELNS1_3repE0EEENS1_30default_config_static_selectorELNS0_4arch9wavefront6targetE1EEEvT1_.num_vgpr, 0
	.set _ZN7rocprim17ROCPRIM_400000_NS6detail17trampoline_kernelINS0_14default_configENS1_25partition_config_selectorILNS1_17partition_subalgoE9EllbEEZZNS1_14partition_implILS5_9ELb0ES3_jPlS8_PNS0_10empty_typeENS0_5tupleIJS8_S9_EEENSB_IJS8_SA_EEENS0_18inequality_wrapperIZN2at6native12_GLOBAL__N_124unique_dim_cuda_templateIhEESt5tupleIJNSF_6TensorESK_SK_EERKSK_lbbbEUlllE0_EEPmJS9_EEE10hipError_tPvRmT3_T4_T5_T6_T7_T9_mT8_P12ihipStream_tbDpT10_ENKUlT_T0_E_clISt17integral_constantIbLb0EES19_IbLb1EEEEDaS15_S16_EUlS15_E_NS1_11comp_targetILNS1_3genE5ELNS1_11target_archE942ELNS1_3gpuE9ELNS1_3repE0EEENS1_30default_config_static_selectorELNS0_4arch9wavefront6targetE1EEEvT1_.num_agpr, 0
	.set _ZN7rocprim17ROCPRIM_400000_NS6detail17trampoline_kernelINS0_14default_configENS1_25partition_config_selectorILNS1_17partition_subalgoE9EllbEEZZNS1_14partition_implILS5_9ELb0ES3_jPlS8_PNS0_10empty_typeENS0_5tupleIJS8_S9_EEENSB_IJS8_SA_EEENS0_18inequality_wrapperIZN2at6native12_GLOBAL__N_124unique_dim_cuda_templateIhEESt5tupleIJNSF_6TensorESK_SK_EERKSK_lbbbEUlllE0_EEPmJS9_EEE10hipError_tPvRmT3_T4_T5_T6_T7_T9_mT8_P12ihipStream_tbDpT10_ENKUlT_T0_E_clISt17integral_constantIbLb0EES19_IbLb1EEEEDaS15_S16_EUlS15_E_NS1_11comp_targetILNS1_3genE5ELNS1_11target_archE942ELNS1_3gpuE9ELNS1_3repE0EEENS1_30default_config_static_selectorELNS0_4arch9wavefront6targetE1EEEvT1_.numbered_sgpr, 0
	.set _ZN7rocprim17ROCPRIM_400000_NS6detail17trampoline_kernelINS0_14default_configENS1_25partition_config_selectorILNS1_17partition_subalgoE9EllbEEZZNS1_14partition_implILS5_9ELb0ES3_jPlS8_PNS0_10empty_typeENS0_5tupleIJS8_S9_EEENSB_IJS8_SA_EEENS0_18inequality_wrapperIZN2at6native12_GLOBAL__N_124unique_dim_cuda_templateIhEESt5tupleIJNSF_6TensorESK_SK_EERKSK_lbbbEUlllE0_EEPmJS9_EEE10hipError_tPvRmT3_T4_T5_T6_T7_T9_mT8_P12ihipStream_tbDpT10_ENKUlT_T0_E_clISt17integral_constantIbLb0EES19_IbLb1EEEEDaS15_S16_EUlS15_E_NS1_11comp_targetILNS1_3genE5ELNS1_11target_archE942ELNS1_3gpuE9ELNS1_3repE0EEENS1_30default_config_static_selectorELNS0_4arch9wavefront6targetE1EEEvT1_.num_named_barrier, 0
	.set _ZN7rocprim17ROCPRIM_400000_NS6detail17trampoline_kernelINS0_14default_configENS1_25partition_config_selectorILNS1_17partition_subalgoE9EllbEEZZNS1_14partition_implILS5_9ELb0ES3_jPlS8_PNS0_10empty_typeENS0_5tupleIJS8_S9_EEENSB_IJS8_SA_EEENS0_18inequality_wrapperIZN2at6native12_GLOBAL__N_124unique_dim_cuda_templateIhEESt5tupleIJNSF_6TensorESK_SK_EERKSK_lbbbEUlllE0_EEPmJS9_EEE10hipError_tPvRmT3_T4_T5_T6_T7_T9_mT8_P12ihipStream_tbDpT10_ENKUlT_T0_E_clISt17integral_constantIbLb0EES19_IbLb1EEEEDaS15_S16_EUlS15_E_NS1_11comp_targetILNS1_3genE5ELNS1_11target_archE942ELNS1_3gpuE9ELNS1_3repE0EEENS1_30default_config_static_selectorELNS0_4arch9wavefront6targetE1EEEvT1_.private_seg_size, 0
	.set _ZN7rocprim17ROCPRIM_400000_NS6detail17trampoline_kernelINS0_14default_configENS1_25partition_config_selectorILNS1_17partition_subalgoE9EllbEEZZNS1_14partition_implILS5_9ELb0ES3_jPlS8_PNS0_10empty_typeENS0_5tupleIJS8_S9_EEENSB_IJS8_SA_EEENS0_18inequality_wrapperIZN2at6native12_GLOBAL__N_124unique_dim_cuda_templateIhEESt5tupleIJNSF_6TensorESK_SK_EERKSK_lbbbEUlllE0_EEPmJS9_EEE10hipError_tPvRmT3_T4_T5_T6_T7_T9_mT8_P12ihipStream_tbDpT10_ENKUlT_T0_E_clISt17integral_constantIbLb0EES19_IbLb1EEEEDaS15_S16_EUlS15_E_NS1_11comp_targetILNS1_3genE5ELNS1_11target_archE942ELNS1_3gpuE9ELNS1_3repE0EEENS1_30default_config_static_selectorELNS0_4arch9wavefront6targetE1EEEvT1_.uses_vcc, 0
	.set _ZN7rocprim17ROCPRIM_400000_NS6detail17trampoline_kernelINS0_14default_configENS1_25partition_config_selectorILNS1_17partition_subalgoE9EllbEEZZNS1_14partition_implILS5_9ELb0ES3_jPlS8_PNS0_10empty_typeENS0_5tupleIJS8_S9_EEENSB_IJS8_SA_EEENS0_18inequality_wrapperIZN2at6native12_GLOBAL__N_124unique_dim_cuda_templateIhEESt5tupleIJNSF_6TensorESK_SK_EERKSK_lbbbEUlllE0_EEPmJS9_EEE10hipError_tPvRmT3_T4_T5_T6_T7_T9_mT8_P12ihipStream_tbDpT10_ENKUlT_T0_E_clISt17integral_constantIbLb0EES19_IbLb1EEEEDaS15_S16_EUlS15_E_NS1_11comp_targetILNS1_3genE5ELNS1_11target_archE942ELNS1_3gpuE9ELNS1_3repE0EEENS1_30default_config_static_selectorELNS0_4arch9wavefront6targetE1EEEvT1_.uses_flat_scratch, 0
	.set _ZN7rocprim17ROCPRIM_400000_NS6detail17trampoline_kernelINS0_14default_configENS1_25partition_config_selectorILNS1_17partition_subalgoE9EllbEEZZNS1_14partition_implILS5_9ELb0ES3_jPlS8_PNS0_10empty_typeENS0_5tupleIJS8_S9_EEENSB_IJS8_SA_EEENS0_18inequality_wrapperIZN2at6native12_GLOBAL__N_124unique_dim_cuda_templateIhEESt5tupleIJNSF_6TensorESK_SK_EERKSK_lbbbEUlllE0_EEPmJS9_EEE10hipError_tPvRmT3_T4_T5_T6_T7_T9_mT8_P12ihipStream_tbDpT10_ENKUlT_T0_E_clISt17integral_constantIbLb0EES19_IbLb1EEEEDaS15_S16_EUlS15_E_NS1_11comp_targetILNS1_3genE5ELNS1_11target_archE942ELNS1_3gpuE9ELNS1_3repE0EEENS1_30default_config_static_selectorELNS0_4arch9wavefront6targetE1EEEvT1_.has_dyn_sized_stack, 0
	.set _ZN7rocprim17ROCPRIM_400000_NS6detail17trampoline_kernelINS0_14default_configENS1_25partition_config_selectorILNS1_17partition_subalgoE9EllbEEZZNS1_14partition_implILS5_9ELb0ES3_jPlS8_PNS0_10empty_typeENS0_5tupleIJS8_S9_EEENSB_IJS8_SA_EEENS0_18inequality_wrapperIZN2at6native12_GLOBAL__N_124unique_dim_cuda_templateIhEESt5tupleIJNSF_6TensorESK_SK_EERKSK_lbbbEUlllE0_EEPmJS9_EEE10hipError_tPvRmT3_T4_T5_T6_T7_T9_mT8_P12ihipStream_tbDpT10_ENKUlT_T0_E_clISt17integral_constantIbLb0EES19_IbLb1EEEEDaS15_S16_EUlS15_E_NS1_11comp_targetILNS1_3genE5ELNS1_11target_archE942ELNS1_3gpuE9ELNS1_3repE0EEENS1_30default_config_static_selectorELNS0_4arch9wavefront6targetE1EEEvT1_.has_recursion, 0
	.set _ZN7rocprim17ROCPRIM_400000_NS6detail17trampoline_kernelINS0_14default_configENS1_25partition_config_selectorILNS1_17partition_subalgoE9EllbEEZZNS1_14partition_implILS5_9ELb0ES3_jPlS8_PNS0_10empty_typeENS0_5tupleIJS8_S9_EEENSB_IJS8_SA_EEENS0_18inequality_wrapperIZN2at6native12_GLOBAL__N_124unique_dim_cuda_templateIhEESt5tupleIJNSF_6TensorESK_SK_EERKSK_lbbbEUlllE0_EEPmJS9_EEE10hipError_tPvRmT3_T4_T5_T6_T7_T9_mT8_P12ihipStream_tbDpT10_ENKUlT_T0_E_clISt17integral_constantIbLb0EES19_IbLb1EEEEDaS15_S16_EUlS15_E_NS1_11comp_targetILNS1_3genE5ELNS1_11target_archE942ELNS1_3gpuE9ELNS1_3repE0EEENS1_30default_config_static_selectorELNS0_4arch9wavefront6targetE1EEEvT1_.has_indirect_call, 0
	.section	.AMDGPU.csdata,"",@progbits
; Kernel info:
; codeLenInByte = 0
; TotalNumSgprs: 6
; NumVgprs: 0
; NumAgprs: 0
; TotalNumVgprs: 0
; ScratchSize: 0
; MemoryBound: 0
; FloatMode: 240
; IeeeMode: 1
; LDSByteSize: 0 bytes/workgroup (compile time only)
; SGPRBlocks: 0
; VGPRBlocks: 0
; NumSGPRsForWavesPerEU: 6
; NumVGPRsForWavesPerEU: 1
; AccumOffset: 4
; Occupancy: 8
; WaveLimiterHint : 0
; COMPUTE_PGM_RSRC2:SCRATCH_EN: 0
; COMPUTE_PGM_RSRC2:USER_SGPR: 2
; COMPUTE_PGM_RSRC2:TRAP_HANDLER: 0
; COMPUTE_PGM_RSRC2:TGID_X_EN: 1
; COMPUTE_PGM_RSRC2:TGID_Y_EN: 0
; COMPUTE_PGM_RSRC2:TGID_Z_EN: 0
; COMPUTE_PGM_RSRC2:TIDIG_COMP_CNT: 0
; COMPUTE_PGM_RSRC3_GFX90A:ACCUM_OFFSET: 0
; COMPUTE_PGM_RSRC3_GFX90A:TG_SPLIT: 0
	.section	.text._ZN7rocprim17ROCPRIM_400000_NS6detail17trampoline_kernelINS0_14default_configENS1_25partition_config_selectorILNS1_17partition_subalgoE9EllbEEZZNS1_14partition_implILS5_9ELb0ES3_jPlS8_PNS0_10empty_typeENS0_5tupleIJS8_S9_EEENSB_IJS8_SA_EEENS0_18inequality_wrapperIZN2at6native12_GLOBAL__N_124unique_dim_cuda_templateIhEESt5tupleIJNSF_6TensorESK_SK_EERKSK_lbbbEUlllE0_EEPmJS9_EEE10hipError_tPvRmT3_T4_T5_T6_T7_T9_mT8_P12ihipStream_tbDpT10_ENKUlT_T0_E_clISt17integral_constantIbLb0EES19_IbLb1EEEEDaS15_S16_EUlS15_E_NS1_11comp_targetILNS1_3genE4ELNS1_11target_archE910ELNS1_3gpuE8ELNS1_3repE0EEENS1_30default_config_static_selectorELNS0_4arch9wavefront6targetE1EEEvT1_,"axG",@progbits,_ZN7rocprim17ROCPRIM_400000_NS6detail17trampoline_kernelINS0_14default_configENS1_25partition_config_selectorILNS1_17partition_subalgoE9EllbEEZZNS1_14partition_implILS5_9ELb0ES3_jPlS8_PNS0_10empty_typeENS0_5tupleIJS8_S9_EEENSB_IJS8_SA_EEENS0_18inequality_wrapperIZN2at6native12_GLOBAL__N_124unique_dim_cuda_templateIhEESt5tupleIJNSF_6TensorESK_SK_EERKSK_lbbbEUlllE0_EEPmJS9_EEE10hipError_tPvRmT3_T4_T5_T6_T7_T9_mT8_P12ihipStream_tbDpT10_ENKUlT_T0_E_clISt17integral_constantIbLb0EES19_IbLb1EEEEDaS15_S16_EUlS15_E_NS1_11comp_targetILNS1_3genE4ELNS1_11target_archE910ELNS1_3gpuE8ELNS1_3repE0EEENS1_30default_config_static_selectorELNS0_4arch9wavefront6targetE1EEEvT1_,comdat
	.globl	_ZN7rocprim17ROCPRIM_400000_NS6detail17trampoline_kernelINS0_14default_configENS1_25partition_config_selectorILNS1_17partition_subalgoE9EllbEEZZNS1_14partition_implILS5_9ELb0ES3_jPlS8_PNS0_10empty_typeENS0_5tupleIJS8_S9_EEENSB_IJS8_SA_EEENS0_18inequality_wrapperIZN2at6native12_GLOBAL__N_124unique_dim_cuda_templateIhEESt5tupleIJNSF_6TensorESK_SK_EERKSK_lbbbEUlllE0_EEPmJS9_EEE10hipError_tPvRmT3_T4_T5_T6_T7_T9_mT8_P12ihipStream_tbDpT10_ENKUlT_T0_E_clISt17integral_constantIbLb0EES19_IbLb1EEEEDaS15_S16_EUlS15_E_NS1_11comp_targetILNS1_3genE4ELNS1_11target_archE910ELNS1_3gpuE8ELNS1_3repE0EEENS1_30default_config_static_selectorELNS0_4arch9wavefront6targetE1EEEvT1_ ; -- Begin function _ZN7rocprim17ROCPRIM_400000_NS6detail17trampoline_kernelINS0_14default_configENS1_25partition_config_selectorILNS1_17partition_subalgoE9EllbEEZZNS1_14partition_implILS5_9ELb0ES3_jPlS8_PNS0_10empty_typeENS0_5tupleIJS8_S9_EEENSB_IJS8_SA_EEENS0_18inequality_wrapperIZN2at6native12_GLOBAL__N_124unique_dim_cuda_templateIhEESt5tupleIJNSF_6TensorESK_SK_EERKSK_lbbbEUlllE0_EEPmJS9_EEE10hipError_tPvRmT3_T4_T5_T6_T7_T9_mT8_P12ihipStream_tbDpT10_ENKUlT_T0_E_clISt17integral_constantIbLb0EES19_IbLb1EEEEDaS15_S16_EUlS15_E_NS1_11comp_targetILNS1_3genE4ELNS1_11target_archE910ELNS1_3gpuE8ELNS1_3repE0EEENS1_30default_config_static_selectorELNS0_4arch9wavefront6targetE1EEEvT1_
	.p2align	8
	.type	_ZN7rocprim17ROCPRIM_400000_NS6detail17trampoline_kernelINS0_14default_configENS1_25partition_config_selectorILNS1_17partition_subalgoE9EllbEEZZNS1_14partition_implILS5_9ELb0ES3_jPlS8_PNS0_10empty_typeENS0_5tupleIJS8_S9_EEENSB_IJS8_SA_EEENS0_18inequality_wrapperIZN2at6native12_GLOBAL__N_124unique_dim_cuda_templateIhEESt5tupleIJNSF_6TensorESK_SK_EERKSK_lbbbEUlllE0_EEPmJS9_EEE10hipError_tPvRmT3_T4_T5_T6_T7_T9_mT8_P12ihipStream_tbDpT10_ENKUlT_T0_E_clISt17integral_constantIbLb0EES19_IbLb1EEEEDaS15_S16_EUlS15_E_NS1_11comp_targetILNS1_3genE4ELNS1_11target_archE910ELNS1_3gpuE8ELNS1_3repE0EEENS1_30default_config_static_selectorELNS0_4arch9wavefront6targetE1EEEvT1_,@function
_ZN7rocprim17ROCPRIM_400000_NS6detail17trampoline_kernelINS0_14default_configENS1_25partition_config_selectorILNS1_17partition_subalgoE9EllbEEZZNS1_14partition_implILS5_9ELb0ES3_jPlS8_PNS0_10empty_typeENS0_5tupleIJS8_S9_EEENSB_IJS8_SA_EEENS0_18inequality_wrapperIZN2at6native12_GLOBAL__N_124unique_dim_cuda_templateIhEESt5tupleIJNSF_6TensorESK_SK_EERKSK_lbbbEUlllE0_EEPmJS9_EEE10hipError_tPvRmT3_T4_T5_T6_T7_T9_mT8_P12ihipStream_tbDpT10_ENKUlT_T0_E_clISt17integral_constantIbLb0EES19_IbLb1EEEEDaS15_S16_EUlS15_E_NS1_11comp_targetILNS1_3genE4ELNS1_11target_archE910ELNS1_3gpuE8ELNS1_3repE0EEENS1_30default_config_static_selectorELNS0_4arch9wavefront6targetE1EEEvT1_: ; @_ZN7rocprim17ROCPRIM_400000_NS6detail17trampoline_kernelINS0_14default_configENS1_25partition_config_selectorILNS1_17partition_subalgoE9EllbEEZZNS1_14partition_implILS5_9ELb0ES3_jPlS8_PNS0_10empty_typeENS0_5tupleIJS8_S9_EEENSB_IJS8_SA_EEENS0_18inequality_wrapperIZN2at6native12_GLOBAL__N_124unique_dim_cuda_templateIhEESt5tupleIJNSF_6TensorESK_SK_EERKSK_lbbbEUlllE0_EEPmJS9_EEE10hipError_tPvRmT3_T4_T5_T6_T7_T9_mT8_P12ihipStream_tbDpT10_ENKUlT_T0_E_clISt17integral_constantIbLb0EES19_IbLb1EEEEDaS15_S16_EUlS15_E_NS1_11comp_targetILNS1_3genE4ELNS1_11target_archE910ELNS1_3gpuE8ELNS1_3repE0EEENS1_30default_config_static_selectorELNS0_4arch9wavefront6targetE1EEEvT1_
; %bb.0:
	.section	.rodata,"a",@progbits
	.p2align	6, 0x0
	.amdhsa_kernel _ZN7rocprim17ROCPRIM_400000_NS6detail17trampoline_kernelINS0_14default_configENS1_25partition_config_selectorILNS1_17partition_subalgoE9EllbEEZZNS1_14partition_implILS5_9ELb0ES3_jPlS8_PNS0_10empty_typeENS0_5tupleIJS8_S9_EEENSB_IJS8_SA_EEENS0_18inequality_wrapperIZN2at6native12_GLOBAL__N_124unique_dim_cuda_templateIhEESt5tupleIJNSF_6TensorESK_SK_EERKSK_lbbbEUlllE0_EEPmJS9_EEE10hipError_tPvRmT3_T4_T5_T6_T7_T9_mT8_P12ihipStream_tbDpT10_ENKUlT_T0_E_clISt17integral_constantIbLb0EES19_IbLb1EEEEDaS15_S16_EUlS15_E_NS1_11comp_targetILNS1_3genE4ELNS1_11target_archE910ELNS1_3gpuE8ELNS1_3repE0EEENS1_30default_config_static_selectorELNS0_4arch9wavefront6targetE1EEEvT1_
		.amdhsa_group_segment_fixed_size 0
		.amdhsa_private_segment_fixed_size 0
		.amdhsa_kernarg_size 136
		.amdhsa_user_sgpr_count 2
		.amdhsa_user_sgpr_dispatch_ptr 0
		.amdhsa_user_sgpr_queue_ptr 0
		.amdhsa_user_sgpr_kernarg_segment_ptr 1
		.amdhsa_user_sgpr_dispatch_id 0
		.amdhsa_user_sgpr_kernarg_preload_length 0
		.amdhsa_user_sgpr_kernarg_preload_offset 0
		.amdhsa_user_sgpr_private_segment_size 0
		.amdhsa_uses_dynamic_stack 0
		.amdhsa_enable_private_segment 0
		.amdhsa_system_sgpr_workgroup_id_x 1
		.amdhsa_system_sgpr_workgroup_id_y 0
		.amdhsa_system_sgpr_workgroup_id_z 0
		.amdhsa_system_sgpr_workgroup_info 0
		.amdhsa_system_vgpr_workitem_id 0
		.amdhsa_next_free_vgpr 1
		.amdhsa_next_free_sgpr 0
		.amdhsa_accum_offset 4
		.amdhsa_reserve_vcc 0
		.amdhsa_float_round_mode_32 0
		.amdhsa_float_round_mode_16_64 0
		.amdhsa_float_denorm_mode_32 3
		.amdhsa_float_denorm_mode_16_64 3
		.amdhsa_dx10_clamp 1
		.amdhsa_ieee_mode 1
		.amdhsa_fp16_overflow 0
		.amdhsa_tg_split 0
		.amdhsa_exception_fp_ieee_invalid_op 0
		.amdhsa_exception_fp_denorm_src 0
		.amdhsa_exception_fp_ieee_div_zero 0
		.amdhsa_exception_fp_ieee_overflow 0
		.amdhsa_exception_fp_ieee_underflow 0
		.amdhsa_exception_fp_ieee_inexact 0
		.amdhsa_exception_int_div_zero 0
	.end_amdhsa_kernel
	.section	.text._ZN7rocprim17ROCPRIM_400000_NS6detail17trampoline_kernelINS0_14default_configENS1_25partition_config_selectorILNS1_17partition_subalgoE9EllbEEZZNS1_14partition_implILS5_9ELb0ES3_jPlS8_PNS0_10empty_typeENS0_5tupleIJS8_S9_EEENSB_IJS8_SA_EEENS0_18inequality_wrapperIZN2at6native12_GLOBAL__N_124unique_dim_cuda_templateIhEESt5tupleIJNSF_6TensorESK_SK_EERKSK_lbbbEUlllE0_EEPmJS9_EEE10hipError_tPvRmT3_T4_T5_T6_T7_T9_mT8_P12ihipStream_tbDpT10_ENKUlT_T0_E_clISt17integral_constantIbLb0EES19_IbLb1EEEEDaS15_S16_EUlS15_E_NS1_11comp_targetILNS1_3genE4ELNS1_11target_archE910ELNS1_3gpuE8ELNS1_3repE0EEENS1_30default_config_static_selectorELNS0_4arch9wavefront6targetE1EEEvT1_,"axG",@progbits,_ZN7rocprim17ROCPRIM_400000_NS6detail17trampoline_kernelINS0_14default_configENS1_25partition_config_selectorILNS1_17partition_subalgoE9EllbEEZZNS1_14partition_implILS5_9ELb0ES3_jPlS8_PNS0_10empty_typeENS0_5tupleIJS8_S9_EEENSB_IJS8_SA_EEENS0_18inequality_wrapperIZN2at6native12_GLOBAL__N_124unique_dim_cuda_templateIhEESt5tupleIJNSF_6TensorESK_SK_EERKSK_lbbbEUlllE0_EEPmJS9_EEE10hipError_tPvRmT3_T4_T5_T6_T7_T9_mT8_P12ihipStream_tbDpT10_ENKUlT_T0_E_clISt17integral_constantIbLb0EES19_IbLb1EEEEDaS15_S16_EUlS15_E_NS1_11comp_targetILNS1_3genE4ELNS1_11target_archE910ELNS1_3gpuE8ELNS1_3repE0EEENS1_30default_config_static_selectorELNS0_4arch9wavefront6targetE1EEEvT1_,comdat
.Lfunc_end230:
	.size	_ZN7rocprim17ROCPRIM_400000_NS6detail17trampoline_kernelINS0_14default_configENS1_25partition_config_selectorILNS1_17partition_subalgoE9EllbEEZZNS1_14partition_implILS5_9ELb0ES3_jPlS8_PNS0_10empty_typeENS0_5tupleIJS8_S9_EEENSB_IJS8_SA_EEENS0_18inequality_wrapperIZN2at6native12_GLOBAL__N_124unique_dim_cuda_templateIhEESt5tupleIJNSF_6TensorESK_SK_EERKSK_lbbbEUlllE0_EEPmJS9_EEE10hipError_tPvRmT3_T4_T5_T6_T7_T9_mT8_P12ihipStream_tbDpT10_ENKUlT_T0_E_clISt17integral_constantIbLb0EES19_IbLb1EEEEDaS15_S16_EUlS15_E_NS1_11comp_targetILNS1_3genE4ELNS1_11target_archE910ELNS1_3gpuE8ELNS1_3repE0EEENS1_30default_config_static_selectorELNS0_4arch9wavefront6targetE1EEEvT1_, .Lfunc_end230-_ZN7rocprim17ROCPRIM_400000_NS6detail17trampoline_kernelINS0_14default_configENS1_25partition_config_selectorILNS1_17partition_subalgoE9EllbEEZZNS1_14partition_implILS5_9ELb0ES3_jPlS8_PNS0_10empty_typeENS0_5tupleIJS8_S9_EEENSB_IJS8_SA_EEENS0_18inequality_wrapperIZN2at6native12_GLOBAL__N_124unique_dim_cuda_templateIhEESt5tupleIJNSF_6TensorESK_SK_EERKSK_lbbbEUlllE0_EEPmJS9_EEE10hipError_tPvRmT3_T4_T5_T6_T7_T9_mT8_P12ihipStream_tbDpT10_ENKUlT_T0_E_clISt17integral_constantIbLb0EES19_IbLb1EEEEDaS15_S16_EUlS15_E_NS1_11comp_targetILNS1_3genE4ELNS1_11target_archE910ELNS1_3gpuE8ELNS1_3repE0EEENS1_30default_config_static_selectorELNS0_4arch9wavefront6targetE1EEEvT1_
                                        ; -- End function
	.set _ZN7rocprim17ROCPRIM_400000_NS6detail17trampoline_kernelINS0_14default_configENS1_25partition_config_selectorILNS1_17partition_subalgoE9EllbEEZZNS1_14partition_implILS5_9ELb0ES3_jPlS8_PNS0_10empty_typeENS0_5tupleIJS8_S9_EEENSB_IJS8_SA_EEENS0_18inequality_wrapperIZN2at6native12_GLOBAL__N_124unique_dim_cuda_templateIhEESt5tupleIJNSF_6TensorESK_SK_EERKSK_lbbbEUlllE0_EEPmJS9_EEE10hipError_tPvRmT3_T4_T5_T6_T7_T9_mT8_P12ihipStream_tbDpT10_ENKUlT_T0_E_clISt17integral_constantIbLb0EES19_IbLb1EEEEDaS15_S16_EUlS15_E_NS1_11comp_targetILNS1_3genE4ELNS1_11target_archE910ELNS1_3gpuE8ELNS1_3repE0EEENS1_30default_config_static_selectorELNS0_4arch9wavefront6targetE1EEEvT1_.num_vgpr, 0
	.set _ZN7rocprim17ROCPRIM_400000_NS6detail17trampoline_kernelINS0_14default_configENS1_25partition_config_selectorILNS1_17partition_subalgoE9EllbEEZZNS1_14partition_implILS5_9ELb0ES3_jPlS8_PNS0_10empty_typeENS0_5tupleIJS8_S9_EEENSB_IJS8_SA_EEENS0_18inequality_wrapperIZN2at6native12_GLOBAL__N_124unique_dim_cuda_templateIhEESt5tupleIJNSF_6TensorESK_SK_EERKSK_lbbbEUlllE0_EEPmJS9_EEE10hipError_tPvRmT3_T4_T5_T6_T7_T9_mT8_P12ihipStream_tbDpT10_ENKUlT_T0_E_clISt17integral_constantIbLb0EES19_IbLb1EEEEDaS15_S16_EUlS15_E_NS1_11comp_targetILNS1_3genE4ELNS1_11target_archE910ELNS1_3gpuE8ELNS1_3repE0EEENS1_30default_config_static_selectorELNS0_4arch9wavefront6targetE1EEEvT1_.num_agpr, 0
	.set _ZN7rocprim17ROCPRIM_400000_NS6detail17trampoline_kernelINS0_14default_configENS1_25partition_config_selectorILNS1_17partition_subalgoE9EllbEEZZNS1_14partition_implILS5_9ELb0ES3_jPlS8_PNS0_10empty_typeENS0_5tupleIJS8_S9_EEENSB_IJS8_SA_EEENS0_18inequality_wrapperIZN2at6native12_GLOBAL__N_124unique_dim_cuda_templateIhEESt5tupleIJNSF_6TensorESK_SK_EERKSK_lbbbEUlllE0_EEPmJS9_EEE10hipError_tPvRmT3_T4_T5_T6_T7_T9_mT8_P12ihipStream_tbDpT10_ENKUlT_T0_E_clISt17integral_constantIbLb0EES19_IbLb1EEEEDaS15_S16_EUlS15_E_NS1_11comp_targetILNS1_3genE4ELNS1_11target_archE910ELNS1_3gpuE8ELNS1_3repE0EEENS1_30default_config_static_selectorELNS0_4arch9wavefront6targetE1EEEvT1_.numbered_sgpr, 0
	.set _ZN7rocprim17ROCPRIM_400000_NS6detail17trampoline_kernelINS0_14default_configENS1_25partition_config_selectorILNS1_17partition_subalgoE9EllbEEZZNS1_14partition_implILS5_9ELb0ES3_jPlS8_PNS0_10empty_typeENS0_5tupleIJS8_S9_EEENSB_IJS8_SA_EEENS0_18inequality_wrapperIZN2at6native12_GLOBAL__N_124unique_dim_cuda_templateIhEESt5tupleIJNSF_6TensorESK_SK_EERKSK_lbbbEUlllE0_EEPmJS9_EEE10hipError_tPvRmT3_T4_T5_T6_T7_T9_mT8_P12ihipStream_tbDpT10_ENKUlT_T0_E_clISt17integral_constantIbLb0EES19_IbLb1EEEEDaS15_S16_EUlS15_E_NS1_11comp_targetILNS1_3genE4ELNS1_11target_archE910ELNS1_3gpuE8ELNS1_3repE0EEENS1_30default_config_static_selectorELNS0_4arch9wavefront6targetE1EEEvT1_.num_named_barrier, 0
	.set _ZN7rocprim17ROCPRIM_400000_NS6detail17trampoline_kernelINS0_14default_configENS1_25partition_config_selectorILNS1_17partition_subalgoE9EllbEEZZNS1_14partition_implILS5_9ELb0ES3_jPlS8_PNS0_10empty_typeENS0_5tupleIJS8_S9_EEENSB_IJS8_SA_EEENS0_18inequality_wrapperIZN2at6native12_GLOBAL__N_124unique_dim_cuda_templateIhEESt5tupleIJNSF_6TensorESK_SK_EERKSK_lbbbEUlllE0_EEPmJS9_EEE10hipError_tPvRmT3_T4_T5_T6_T7_T9_mT8_P12ihipStream_tbDpT10_ENKUlT_T0_E_clISt17integral_constantIbLb0EES19_IbLb1EEEEDaS15_S16_EUlS15_E_NS1_11comp_targetILNS1_3genE4ELNS1_11target_archE910ELNS1_3gpuE8ELNS1_3repE0EEENS1_30default_config_static_selectorELNS0_4arch9wavefront6targetE1EEEvT1_.private_seg_size, 0
	.set _ZN7rocprim17ROCPRIM_400000_NS6detail17trampoline_kernelINS0_14default_configENS1_25partition_config_selectorILNS1_17partition_subalgoE9EllbEEZZNS1_14partition_implILS5_9ELb0ES3_jPlS8_PNS0_10empty_typeENS0_5tupleIJS8_S9_EEENSB_IJS8_SA_EEENS0_18inequality_wrapperIZN2at6native12_GLOBAL__N_124unique_dim_cuda_templateIhEESt5tupleIJNSF_6TensorESK_SK_EERKSK_lbbbEUlllE0_EEPmJS9_EEE10hipError_tPvRmT3_T4_T5_T6_T7_T9_mT8_P12ihipStream_tbDpT10_ENKUlT_T0_E_clISt17integral_constantIbLb0EES19_IbLb1EEEEDaS15_S16_EUlS15_E_NS1_11comp_targetILNS1_3genE4ELNS1_11target_archE910ELNS1_3gpuE8ELNS1_3repE0EEENS1_30default_config_static_selectorELNS0_4arch9wavefront6targetE1EEEvT1_.uses_vcc, 0
	.set _ZN7rocprim17ROCPRIM_400000_NS6detail17trampoline_kernelINS0_14default_configENS1_25partition_config_selectorILNS1_17partition_subalgoE9EllbEEZZNS1_14partition_implILS5_9ELb0ES3_jPlS8_PNS0_10empty_typeENS0_5tupleIJS8_S9_EEENSB_IJS8_SA_EEENS0_18inequality_wrapperIZN2at6native12_GLOBAL__N_124unique_dim_cuda_templateIhEESt5tupleIJNSF_6TensorESK_SK_EERKSK_lbbbEUlllE0_EEPmJS9_EEE10hipError_tPvRmT3_T4_T5_T6_T7_T9_mT8_P12ihipStream_tbDpT10_ENKUlT_T0_E_clISt17integral_constantIbLb0EES19_IbLb1EEEEDaS15_S16_EUlS15_E_NS1_11comp_targetILNS1_3genE4ELNS1_11target_archE910ELNS1_3gpuE8ELNS1_3repE0EEENS1_30default_config_static_selectorELNS0_4arch9wavefront6targetE1EEEvT1_.uses_flat_scratch, 0
	.set _ZN7rocprim17ROCPRIM_400000_NS6detail17trampoline_kernelINS0_14default_configENS1_25partition_config_selectorILNS1_17partition_subalgoE9EllbEEZZNS1_14partition_implILS5_9ELb0ES3_jPlS8_PNS0_10empty_typeENS0_5tupleIJS8_S9_EEENSB_IJS8_SA_EEENS0_18inequality_wrapperIZN2at6native12_GLOBAL__N_124unique_dim_cuda_templateIhEESt5tupleIJNSF_6TensorESK_SK_EERKSK_lbbbEUlllE0_EEPmJS9_EEE10hipError_tPvRmT3_T4_T5_T6_T7_T9_mT8_P12ihipStream_tbDpT10_ENKUlT_T0_E_clISt17integral_constantIbLb0EES19_IbLb1EEEEDaS15_S16_EUlS15_E_NS1_11comp_targetILNS1_3genE4ELNS1_11target_archE910ELNS1_3gpuE8ELNS1_3repE0EEENS1_30default_config_static_selectorELNS0_4arch9wavefront6targetE1EEEvT1_.has_dyn_sized_stack, 0
	.set _ZN7rocprim17ROCPRIM_400000_NS6detail17trampoline_kernelINS0_14default_configENS1_25partition_config_selectorILNS1_17partition_subalgoE9EllbEEZZNS1_14partition_implILS5_9ELb0ES3_jPlS8_PNS0_10empty_typeENS0_5tupleIJS8_S9_EEENSB_IJS8_SA_EEENS0_18inequality_wrapperIZN2at6native12_GLOBAL__N_124unique_dim_cuda_templateIhEESt5tupleIJNSF_6TensorESK_SK_EERKSK_lbbbEUlllE0_EEPmJS9_EEE10hipError_tPvRmT3_T4_T5_T6_T7_T9_mT8_P12ihipStream_tbDpT10_ENKUlT_T0_E_clISt17integral_constantIbLb0EES19_IbLb1EEEEDaS15_S16_EUlS15_E_NS1_11comp_targetILNS1_3genE4ELNS1_11target_archE910ELNS1_3gpuE8ELNS1_3repE0EEENS1_30default_config_static_selectorELNS0_4arch9wavefront6targetE1EEEvT1_.has_recursion, 0
	.set _ZN7rocprim17ROCPRIM_400000_NS6detail17trampoline_kernelINS0_14default_configENS1_25partition_config_selectorILNS1_17partition_subalgoE9EllbEEZZNS1_14partition_implILS5_9ELb0ES3_jPlS8_PNS0_10empty_typeENS0_5tupleIJS8_S9_EEENSB_IJS8_SA_EEENS0_18inequality_wrapperIZN2at6native12_GLOBAL__N_124unique_dim_cuda_templateIhEESt5tupleIJNSF_6TensorESK_SK_EERKSK_lbbbEUlllE0_EEPmJS9_EEE10hipError_tPvRmT3_T4_T5_T6_T7_T9_mT8_P12ihipStream_tbDpT10_ENKUlT_T0_E_clISt17integral_constantIbLb0EES19_IbLb1EEEEDaS15_S16_EUlS15_E_NS1_11comp_targetILNS1_3genE4ELNS1_11target_archE910ELNS1_3gpuE8ELNS1_3repE0EEENS1_30default_config_static_selectorELNS0_4arch9wavefront6targetE1EEEvT1_.has_indirect_call, 0
	.section	.AMDGPU.csdata,"",@progbits
; Kernel info:
; codeLenInByte = 0
; TotalNumSgprs: 6
; NumVgprs: 0
; NumAgprs: 0
; TotalNumVgprs: 0
; ScratchSize: 0
; MemoryBound: 0
; FloatMode: 240
; IeeeMode: 1
; LDSByteSize: 0 bytes/workgroup (compile time only)
; SGPRBlocks: 0
; VGPRBlocks: 0
; NumSGPRsForWavesPerEU: 6
; NumVGPRsForWavesPerEU: 1
; AccumOffset: 4
; Occupancy: 8
; WaveLimiterHint : 0
; COMPUTE_PGM_RSRC2:SCRATCH_EN: 0
; COMPUTE_PGM_RSRC2:USER_SGPR: 2
; COMPUTE_PGM_RSRC2:TRAP_HANDLER: 0
; COMPUTE_PGM_RSRC2:TGID_X_EN: 1
; COMPUTE_PGM_RSRC2:TGID_Y_EN: 0
; COMPUTE_PGM_RSRC2:TGID_Z_EN: 0
; COMPUTE_PGM_RSRC2:TIDIG_COMP_CNT: 0
; COMPUTE_PGM_RSRC3_GFX90A:ACCUM_OFFSET: 0
; COMPUTE_PGM_RSRC3_GFX90A:TG_SPLIT: 0
	.section	.text._ZN7rocprim17ROCPRIM_400000_NS6detail17trampoline_kernelINS0_14default_configENS1_25partition_config_selectorILNS1_17partition_subalgoE9EllbEEZZNS1_14partition_implILS5_9ELb0ES3_jPlS8_PNS0_10empty_typeENS0_5tupleIJS8_S9_EEENSB_IJS8_SA_EEENS0_18inequality_wrapperIZN2at6native12_GLOBAL__N_124unique_dim_cuda_templateIhEESt5tupleIJNSF_6TensorESK_SK_EERKSK_lbbbEUlllE0_EEPmJS9_EEE10hipError_tPvRmT3_T4_T5_T6_T7_T9_mT8_P12ihipStream_tbDpT10_ENKUlT_T0_E_clISt17integral_constantIbLb0EES19_IbLb1EEEEDaS15_S16_EUlS15_E_NS1_11comp_targetILNS1_3genE3ELNS1_11target_archE908ELNS1_3gpuE7ELNS1_3repE0EEENS1_30default_config_static_selectorELNS0_4arch9wavefront6targetE1EEEvT1_,"axG",@progbits,_ZN7rocprim17ROCPRIM_400000_NS6detail17trampoline_kernelINS0_14default_configENS1_25partition_config_selectorILNS1_17partition_subalgoE9EllbEEZZNS1_14partition_implILS5_9ELb0ES3_jPlS8_PNS0_10empty_typeENS0_5tupleIJS8_S9_EEENSB_IJS8_SA_EEENS0_18inequality_wrapperIZN2at6native12_GLOBAL__N_124unique_dim_cuda_templateIhEESt5tupleIJNSF_6TensorESK_SK_EERKSK_lbbbEUlllE0_EEPmJS9_EEE10hipError_tPvRmT3_T4_T5_T6_T7_T9_mT8_P12ihipStream_tbDpT10_ENKUlT_T0_E_clISt17integral_constantIbLb0EES19_IbLb1EEEEDaS15_S16_EUlS15_E_NS1_11comp_targetILNS1_3genE3ELNS1_11target_archE908ELNS1_3gpuE7ELNS1_3repE0EEENS1_30default_config_static_selectorELNS0_4arch9wavefront6targetE1EEEvT1_,comdat
	.globl	_ZN7rocprim17ROCPRIM_400000_NS6detail17trampoline_kernelINS0_14default_configENS1_25partition_config_selectorILNS1_17partition_subalgoE9EllbEEZZNS1_14partition_implILS5_9ELb0ES3_jPlS8_PNS0_10empty_typeENS0_5tupleIJS8_S9_EEENSB_IJS8_SA_EEENS0_18inequality_wrapperIZN2at6native12_GLOBAL__N_124unique_dim_cuda_templateIhEESt5tupleIJNSF_6TensorESK_SK_EERKSK_lbbbEUlllE0_EEPmJS9_EEE10hipError_tPvRmT3_T4_T5_T6_T7_T9_mT8_P12ihipStream_tbDpT10_ENKUlT_T0_E_clISt17integral_constantIbLb0EES19_IbLb1EEEEDaS15_S16_EUlS15_E_NS1_11comp_targetILNS1_3genE3ELNS1_11target_archE908ELNS1_3gpuE7ELNS1_3repE0EEENS1_30default_config_static_selectorELNS0_4arch9wavefront6targetE1EEEvT1_ ; -- Begin function _ZN7rocprim17ROCPRIM_400000_NS6detail17trampoline_kernelINS0_14default_configENS1_25partition_config_selectorILNS1_17partition_subalgoE9EllbEEZZNS1_14partition_implILS5_9ELb0ES3_jPlS8_PNS0_10empty_typeENS0_5tupleIJS8_S9_EEENSB_IJS8_SA_EEENS0_18inequality_wrapperIZN2at6native12_GLOBAL__N_124unique_dim_cuda_templateIhEESt5tupleIJNSF_6TensorESK_SK_EERKSK_lbbbEUlllE0_EEPmJS9_EEE10hipError_tPvRmT3_T4_T5_T6_T7_T9_mT8_P12ihipStream_tbDpT10_ENKUlT_T0_E_clISt17integral_constantIbLb0EES19_IbLb1EEEEDaS15_S16_EUlS15_E_NS1_11comp_targetILNS1_3genE3ELNS1_11target_archE908ELNS1_3gpuE7ELNS1_3repE0EEENS1_30default_config_static_selectorELNS0_4arch9wavefront6targetE1EEEvT1_
	.p2align	8
	.type	_ZN7rocprim17ROCPRIM_400000_NS6detail17trampoline_kernelINS0_14default_configENS1_25partition_config_selectorILNS1_17partition_subalgoE9EllbEEZZNS1_14partition_implILS5_9ELb0ES3_jPlS8_PNS0_10empty_typeENS0_5tupleIJS8_S9_EEENSB_IJS8_SA_EEENS0_18inequality_wrapperIZN2at6native12_GLOBAL__N_124unique_dim_cuda_templateIhEESt5tupleIJNSF_6TensorESK_SK_EERKSK_lbbbEUlllE0_EEPmJS9_EEE10hipError_tPvRmT3_T4_T5_T6_T7_T9_mT8_P12ihipStream_tbDpT10_ENKUlT_T0_E_clISt17integral_constantIbLb0EES19_IbLb1EEEEDaS15_S16_EUlS15_E_NS1_11comp_targetILNS1_3genE3ELNS1_11target_archE908ELNS1_3gpuE7ELNS1_3repE0EEENS1_30default_config_static_selectorELNS0_4arch9wavefront6targetE1EEEvT1_,@function
_ZN7rocprim17ROCPRIM_400000_NS6detail17trampoline_kernelINS0_14default_configENS1_25partition_config_selectorILNS1_17partition_subalgoE9EllbEEZZNS1_14partition_implILS5_9ELb0ES3_jPlS8_PNS0_10empty_typeENS0_5tupleIJS8_S9_EEENSB_IJS8_SA_EEENS0_18inequality_wrapperIZN2at6native12_GLOBAL__N_124unique_dim_cuda_templateIhEESt5tupleIJNSF_6TensorESK_SK_EERKSK_lbbbEUlllE0_EEPmJS9_EEE10hipError_tPvRmT3_T4_T5_T6_T7_T9_mT8_P12ihipStream_tbDpT10_ENKUlT_T0_E_clISt17integral_constantIbLb0EES19_IbLb1EEEEDaS15_S16_EUlS15_E_NS1_11comp_targetILNS1_3genE3ELNS1_11target_archE908ELNS1_3gpuE7ELNS1_3repE0EEENS1_30default_config_static_selectorELNS0_4arch9wavefront6targetE1EEEvT1_: ; @_ZN7rocprim17ROCPRIM_400000_NS6detail17trampoline_kernelINS0_14default_configENS1_25partition_config_selectorILNS1_17partition_subalgoE9EllbEEZZNS1_14partition_implILS5_9ELb0ES3_jPlS8_PNS0_10empty_typeENS0_5tupleIJS8_S9_EEENSB_IJS8_SA_EEENS0_18inequality_wrapperIZN2at6native12_GLOBAL__N_124unique_dim_cuda_templateIhEESt5tupleIJNSF_6TensorESK_SK_EERKSK_lbbbEUlllE0_EEPmJS9_EEE10hipError_tPvRmT3_T4_T5_T6_T7_T9_mT8_P12ihipStream_tbDpT10_ENKUlT_T0_E_clISt17integral_constantIbLb0EES19_IbLb1EEEEDaS15_S16_EUlS15_E_NS1_11comp_targetILNS1_3genE3ELNS1_11target_archE908ELNS1_3gpuE7ELNS1_3repE0EEENS1_30default_config_static_selectorELNS0_4arch9wavefront6targetE1EEEvT1_
; %bb.0:
	.section	.rodata,"a",@progbits
	.p2align	6, 0x0
	.amdhsa_kernel _ZN7rocprim17ROCPRIM_400000_NS6detail17trampoline_kernelINS0_14default_configENS1_25partition_config_selectorILNS1_17partition_subalgoE9EllbEEZZNS1_14partition_implILS5_9ELb0ES3_jPlS8_PNS0_10empty_typeENS0_5tupleIJS8_S9_EEENSB_IJS8_SA_EEENS0_18inequality_wrapperIZN2at6native12_GLOBAL__N_124unique_dim_cuda_templateIhEESt5tupleIJNSF_6TensorESK_SK_EERKSK_lbbbEUlllE0_EEPmJS9_EEE10hipError_tPvRmT3_T4_T5_T6_T7_T9_mT8_P12ihipStream_tbDpT10_ENKUlT_T0_E_clISt17integral_constantIbLb0EES19_IbLb1EEEEDaS15_S16_EUlS15_E_NS1_11comp_targetILNS1_3genE3ELNS1_11target_archE908ELNS1_3gpuE7ELNS1_3repE0EEENS1_30default_config_static_selectorELNS0_4arch9wavefront6targetE1EEEvT1_
		.amdhsa_group_segment_fixed_size 0
		.amdhsa_private_segment_fixed_size 0
		.amdhsa_kernarg_size 136
		.amdhsa_user_sgpr_count 2
		.amdhsa_user_sgpr_dispatch_ptr 0
		.amdhsa_user_sgpr_queue_ptr 0
		.amdhsa_user_sgpr_kernarg_segment_ptr 1
		.amdhsa_user_sgpr_dispatch_id 0
		.amdhsa_user_sgpr_kernarg_preload_length 0
		.amdhsa_user_sgpr_kernarg_preload_offset 0
		.amdhsa_user_sgpr_private_segment_size 0
		.amdhsa_uses_dynamic_stack 0
		.amdhsa_enable_private_segment 0
		.amdhsa_system_sgpr_workgroup_id_x 1
		.amdhsa_system_sgpr_workgroup_id_y 0
		.amdhsa_system_sgpr_workgroup_id_z 0
		.amdhsa_system_sgpr_workgroup_info 0
		.amdhsa_system_vgpr_workitem_id 0
		.amdhsa_next_free_vgpr 1
		.amdhsa_next_free_sgpr 0
		.amdhsa_accum_offset 4
		.amdhsa_reserve_vcc 0
		.amdhsa_float_round_mode_32 0
		.amdhsa_float_round_mode_16_64 0
		.amdhsa_float_denorm_mode_32 3
		.amdhsa_float_denorm_mode_16_64 3
		.amdhsa_dx10_clamp 1
		.amdhsa_ieee_mode 1
		.amdhsa_fp16_overflow 0
		.amdhsa_tg_split 0
		.amdhsa_exception_fp_ieee_invalid_op 0
		.amdhsa_exception_fp_denorm_src 0
		.amdhsa_exception_fp_ieee_div_zero 0
		.amdhsa_exception_fp_ieee_overflow 0
		.amdhsa_exception_fp_ieee_underflow 0
		.amdhsa_exception_fp_ieee_inexact 0
		.amdhsa_exception_int_div_zero 0
	.end_amdhsa_kernel
	.section	.text._ZN7rocprim17ROCPRIM_400000_NS6detail17trampoline_kernelINS0_14default_configENS1_25partition_config_selectorILNS1_17partition_subalgoE9EllbEEZZNS1_14partition_implILS5_9ELb0ES3_jPlS8_PNS0_10empty_typeENS0_5tupleIJS8_S9_EEENSB_IJS8_SA_EEENS0_18inequality_wrapperIZN2at6native12_GLOBAL__N_124unique_dim_cuda_templateIhEESt5tupleIJNSF_6TensorESK_SK_EERKSK_lbbbEUlllE0_EEPmJS9_EEE10hipError_tPvRmT3_T4_T5_T6_T7_T9_mT8_P12ihipStream_tbDpT10_ENKUlT_T0_E_clISt17integral_constantIbLb0EES19_IbLb1EEEEDaS15_S16_EUlS15_E_NS1_11comp_targetILNS1_3genE3ELNS1_11target_archE908ELNS1_3gpuE7ELNS1_3repE0EEENS1_30default_config_static_selectorELNS0_4arch9wavefront6targetE1EEEvT1_,"axG",@progbits,_ZN7rocprim17ROCPRIM_400000_NS6detail17trampoline_kernelINS0_14default_configENS1_25partition_config_selectorILNS1_17partition_subalgoE9EllbEEZZNS1_14partition_implILS5_9ELb0ES3_jPlS8_PNS0_10empty_typeENS0_5tupleIJS8_S9_EEENSB_IJS8_SA_EEENS0_18inequality_wrapperIZN2at6native12_GLOBAL__N_124unique_dim_cuda_templateIhEESt5tupleIJNSF_6TensorESK_SK_EERKSK_lbbbEUlllE0_EEPmJS9_EEE10hipError_tPvRmT3_T4_T5_T6_T7_T9_mT8_P12ihipStream_tbDpT10_ENKUlT_T0_E_clISt17integral_constantIbLb0EES19_IbLb1EEEEDaS15_S16_EUlS15_E_NS1_11comp_targetILNS1_3genE3ELNS1_11target_archE908ELNS1_3gpuE7ELNS1_3repE0EEENS1_30default_config_static_selectorELNS0_4arch9wavefront6targetE1EEEvT1_,comdat
.Lfunc_end231:
	.size	_ZN7rocprim17ROCPRIM_400000_NS6detail17trampoline_kernelINS0_14default_configENS1_25partition_config_selectorILNS1_17partition_subalgoE9EllbEEZZNS1_14partition_implILS5_9ELb0ES3_jPlS8_PNS0_10empty_typeENS0_5tupleIJS8_S9_EEENSB_IJS8_SA_EEENS0_18inequality_wrapperIZN2at6native12_GLOBAL__N_124unique_dim_cuda_templateIhEESt5tupleIJNSF_6TensorESK_SK_EERKSK_lbbbEUlllE0_EEPmJS9_EEE10hipError_tPvRmT3_T4_T5_T6_T7_T9_mT8_P12ihipStream_tbDpT10_ENKUlT_T0_E_clISt17integral_constantIbLb0EES19_IbLb1EEEEDaS15_S16_EUlS15_E_NS1_11comp_targetILNS1_3genE3ELNS1_11target_archE908ELNS1_3gpuE7ELNS1_3repE0EEENS1_30default_config_static_selectorELNS0_4arch9wavefront6targetE1EEEvT1_, .Lfunc_end231-_ZN7rocprim17ROCPRIM_400000_NS6detail17trampoline_kernelINS0_14default_configENS1_25partition_config_selectorILNS1_17partition_subalgoE9EllbEEZZNS1_14partition_implILS5_9ELb0ES3_jPlS8_PNS0_10empty_typeENS0_5tupleIJS8_S9_EEENSB_IJS8_SA_EEENS0_18inequality_wrapperIZN2at6native12_GLOBAL__N_124unique_dim_cuda_templateIhEESt5tupleIJNSF_6TensorESK_SK_EERKSK_lbbbEUlllE0_EEPmJS9_EEE10hipError_tPvRmT3_T4_T5_T6_T7_T9_mT8_P12ihipStream_tbDpT10_ENKUlT_T0_E_clISt17integral_constantIbLb0EES19_IbLb1EEEEDaS15_S16_EUlS15_E_NS1_11comp_targetILNS1_3genE3ELNS1_11target_archE908ELNS1_3gpuE7ELNS1_3repE0EEENS1_30default_config_static_selectorELNS0_4arch9wavefront6targetE1EEEvT1_
                                        ; -- End function
	.set _ZN7rocprim17ROCPRIM_400000_NS6detail17trampoline_kernelINS0_14default_configENS1_25partition_config_selectorILNS1_17partition_subalgoE9EllbEEZZNS1_14partition_implILS5_9ELb0ES3_jPlS8_PNS0_10empty_typeENS0_5tupleIJS8_S9_EEENSB_IJS8_SA_EEENS0_18inequality_wrapperIZN2at6native12_GLOBAL__N_124unique_dim_cuda_templateIhEESt5tupleIJNSF_6TensorESK_SK_EERKSK_lbbbEUlllE0_EEPmJS9_EEE10hipError_tPvRmT3_T4_T5_T6_T7_T9_mT8_P12ihipStream_tbDpT10_ENKUlT_T0_E_clISt17integral_constantIbLb0EES19_IbLb1EEEEDaS15_S16_EUlS15_E_NS1_11comp_targetILNS1_3genE3ELNS1_11target_archE908ELNS1_3gpuE7ELNS1_3repE0EEENS1_30default_config_static_selectorELNS0_4arch9wavefront6targetE1EEEvT1_.num_vgpr, 0
	.set _ZN7rocprim17ROCPRIM_400000_NS6detail17trampoline_kernelINS0_14default_configENS1_25partition_config_selectorILNS1_17partition_subalgoE9EllbEEZZNS1_14partition_implILS5_9ELb0ES3_jPlS8_PNS0_10empty_typeENS0_5tupleIJS8_S9_EEENSB_IJS8_SA_EEENS0_18inequality_wrapperIZN2at6native12_GLOBAL__N_124unique_dim_cuda_templateIhEESt5tupleIJNSF_6TensorESK_SK_EERKSK_lbbbEUlllE0_EEPmJS9_EEE10hipError_tPvRmT3_T4_T5_T6_T7_T9_mT8_P12ihipStream_tbDpT10_ENKUlT_T0_E_clISt17integral_constantIbLb0EES19_IbLb1EEEEDaS15_S16_EUlS15_E_NS1_11comp_targetILNS1_3genE3ELNS1_11target_archE908ELNS1_3gpuE7ELNS1_3repE0EEENS1_30default_config_static_selectorELNS0_4arch9wavefront6targetE1EEEvT1_.num_agpr, 0
	.set _ZN7rocprim17ROCPRIM_400000_NS6detail17trampoline_kernelINS0_14default_configENS1_25partition_config_selectorILNS1_17partition_subalgoE9EllbEEZZNS1_14partition_implILS5_9ELb0ES3_jPlS8_PNS0_10empty_typeENS0_5tupleIJS8_S9_EEENSB_IJS8_SA_EEENS0_18inequality_wrapperIZN2at6native12_GLOBAL__N_124unique_dim_cuda_templateIhEESt5tupleIJNSF_6TensorESK_SK_EERKSK_lbbbEUlllE0_EEPmJS9_EEE10hipError_tPvRmT3_T4_T5_T6_T7_T9_mT8_P12ihipStream_tbDpT10_ENKUlT_T0_E_clISt17integral_constantIbLb0EES19_IbLb1EEEEDaS15_S16_EUlS15_E_NS1_11comp_targetILNS1_3genE3ELNS1_11target_archE908ELNS1_3gpuE7ELNS1_3repE0EEENS1_30default_config_static_selectorELNS0_4arch9wavefront6targetE1EEEvT1_.numbered_sgpr, 0
	.set _ZN7rocprim17ROCPRIM_400000_NS6detail17trampoline_kernelINS0_14default_configENS1_25partition_config_selectorILNS1_17partition_subalgoE9EllbEEZZNS1_14partition_implILS5_9ELb0ES3_jPlS8_PNS0_10empty_typeENS0_5tupleIJS8_S9_EEENSB_IJS8_SA_EEENS0_18inequality_wrapperIZN2at6native12_GLOBAL__N_124unique_dim_cuda_templateIhEESt5tupleIJNSF_6TensorESK_SK_EERKSK_lbbbEUlllE0_EEPmJS9_EEE10hipError_tPvRmT3_T4_T5_T6_T7_T9_mT8_P12ihipStream_tbDpT10_ENKUlT_T0_E_clISt17integral_constantIbLb0EES19_IbLb1EEEEDaS15_S16_EUlS15_E_NS1_11comp_targetILNS1_3genE3ELNS1_11target_archE908ELNS1_3gpuE7ELNS1_3repE0EEENS1_30default_config_static_selectorELNS0_4arch9wavefront6targetE1EEEvT1_.num_named_barrier, 0
	.set _ZN7rocprim17ROCPRIM_400000_NS6detail17trampoline_kernelINS0_14default_configENS1_25partition_config_selectorILNS1_17partition_subalgoE9EllbEEZZNS1_14partition_implILS5_9ELb0ES3_jPlS8_PNS0_10empty_typeENS0_5tupleIJS8_S9_EEENSB_IJS8_SA_EEENS0_18inequality_wrapperIZN2at6native12_GLOBAL__N_124unique_dim_cuda_templateIhEESt5tupleIJNSF_6TensorESK_SK_EERKSK_lbbbEUlllE0_EEPmJS9_EEE10hipError_tPvRmT3_T4_T5_T6_T7_T9_mT8_P12ihipStream_tbDpT10_ENKUlT_T0_E_clISt17integral_constantIbLb0EES19_IbLb1EEEEDaS15_S16_EUlS15_E_NS1_11comp_targetILNS1_3genE3ELNS1_11target_archE908ELNS1_3gpuE7ELNS1_3repE0EEENS1_30default_config_static_selectorELNS0_4arch9wavefront6targetE1EEEvT1_.private_seg_size, 0
	.set _ZN7rocprim17ROCPRIM_400000_NS6detail17trampoline_kernelINS0_14default_configENS1_25partition_config_selectorILNS1_17partition_subalgoE9EllbEEZZNS1_14partition_implILS5_9ELb0ES3_jPlS8_PNS0_10empty_typeENS0_5tupleIJS8_S9_EEENSB_IJS8_SA_EEENS0_18inequality_wrapperIZN2at6native12_GLOBAL__N_124unique_dim_cuda_templateIhEESt5tupleIJNSF_6TensorESK_SK_EERKSK_lbbbEUlllE0_EEPmJS9_EEE10hipError_tPvRmT3_T4_T5_T6_T7_T9_mT8_P12ihipStream_tbDpT10_ENKUlT_T0_E_clISt17integral_constantIbLb0EES19_IbLb1EEEEDaS15_S16_EUlS15_E_NS1_11comp_targetILNS1_3genE3ELNS1_11target_archE908ELNS1_3gpuE7ELNS1_3repE0EEENS1_30default_config_static_selectorELNS0_4arch9wavefront6targetE1EEEvT1_.uses_vcc, 0
	.set _ZN7rocprim17ROCPRIM_400000_NS6detail17trampoline_kernelINS0_14default_configENS1_25partition_config_selectorILNS1_17partition_subalgoE9EllbEEZZNS1_14partition_implILS5_9ELb0ES3_jPlS8_PNS0_10empty_typeENS0_5tupleIJS8_S9_EEENSB_IJS8_SA_EEENS0_18inequality_wrapperIZN2at6native12_GLOBAL__N_124unique_dim_cuda_templateIhEESt5tupleIJNSF_6TensorESK_SK_EERKSK_lbbbEUlllE0_EEPmJS9_EEE10hipError_tPvRmT3_T4_T5_T6_T7_T9_mT8_P12ihipStream_tbDpT10_ENKUlT_T0_E_clISt17integral_constantIbLb0EES19_IbLb1EEEEDaS15_S16_EUlS15_E_NS1_11comp_targetILNS1_3genE3ELNS1_11target_archE908ELNS1_3gpuE7ELNS1_3repE0EEENS1_30default_config_static_selectorELNS0_4arch9wavefront6targetE1EEEvT1_.uses_flat_scratch, 0
	.set _ZN7rocprim17ROCPRIM_400000_NS6detail17trampoline_kernelINS0_14default_configENS1_25partition_config_selectorILNS1_17partition_subalgoE9EllbEEZZNS1_14partition_implILS5_9ELb0ES3_jPlS8_PNS0_10empty_typeENS0_5tupleIJS8_S9_EEENSB_IJS8_SA_EEENS0_18inequality_wrapperIZN2at6native12_GLOBAL__N_124unique_dim_cuda_templateIhEESt5tupleIJNSF_6TensorESK_SK_EERKSK_lbbbEUlllE0_EEPmJS9_EEE10hipError_tPvRmT3_T4_T5_T6_T7_T9_mT8_P12ihipStream_tbDpT10_ENKUlT_T0_E_clISt17integral_constantIbLb0EES19_IbLb1EEEEDaS15_S16_EUlS15_E_NS1_11comp_targetILNS1_3genE3ELNS1_11target_archE908ELNS1_3gpuE7ELNS1_3repE0EEENS1_30default_config_static_selectorELNS0_4arch9wavefront6targetE1EEEvT1_.has_dyn_sized_stack, 0
	.set _ZN7rocprim17ROCPRIM_400000_NS6detail17trampoline_kernelINS0_14default_configENS1_25partition_config_selectorILNS1_17partition_subalgoE9EllbEEZZNS1_14partition_implILS5_9ELb0ES3_jPlS8_PNS0_10empty_typeENS0_5tupleIJS8_S9_EEENSB_IJS8_SA_EEENS0_18inequality_wrapperIZN2at6native12_GLOBAL__N_124unique_dim_cuda_templateIhEESt5tupleIJNSF_6TensorESK_SK_EERKSK_lbbbEUlllE0_EEPmJS9_EEE10hipError_tPvRmT3_T4_T5_T6_T7_T9_mT8_P12ihipStream_tbDpT10_ENKUlT_T0_E_clISt17integral_constantIbLb0EES19_IbLb1EEEEDaS15_S16_EUlS15_E_NS1_11comp_targetILNS1_3genE3ELNS1_11target_archE908ELNS1_3gpuE7ELNS1_3repE0EEENS1_30default_config_static_selectorELNS0_4arch9wavefront6targetE1EEEvT1_.has_recursion, 0
	.set _ZN7rocprim17ROCPRIM_400000_NS6detail17trampoline_kernelINS0_14default_configENS1_25partition_config_selectorILNS1_17partition_subalgoE9EllbEEZZNS1_14partition_implILS5_9ELb0ES3_jPlS8_PNS0_10empty_typeENS0_5tupleIJS8_S9_EEENSB_IJS8_SA_EEENS0_18inequality_wrapperIZN2at6native12_GLOBAL__N_124unique_dim_cuda_templateIhEESt5tupleIJNSF_6TensorESK_SK_EERKSK_lbbbEUlllE0_EEPmJS9_EEE10hipError_tPvRmT3_T4_T5_T6_T7_T9_mT8_P12ihipStream_tbDpT10_ENKUlT_T0_E_clISt17integral_constantIbLb0EES19_IbLb1EEEEDaS15_S16_EUlS15_E_NS1_11comp_targetILNS1_3genE3ELNS1_11target_archE908ELNS1_3gpuE7ELNS1_3repE0EEENS1_30default_config_static_selectorELNS0_4arch9wavefront6targetE1EEEvT1_.has_indirect_call, 0
	.section	.AMDGPU.csdata,"",@progbits
; Kernel info:
; codeLenInByte = 0
; TotalNumSgprs: 6
; NumVgprs: 0
; NumAgprs: 0
; TotalNumVgprs: 0
; ScratchSize: 0
; MemoryBound: 0
; FloatMode: 240
; IeeeMode: 1
; LDSByteSize: 0 bytes/workgroup (compile time only)
; SGPRBlocks: 0
; VGPRBlocks: 0
; NumSGPRsForWavesPerEU: 6
; NumVGPRsForWavesPerEU: 1
; AccumOffset: 4
; Occupancy: 8
; WaveLimiterHint : 0
; COMPUTE_PGM_RSRC2:SCRATCH_EN: 0
; COMPUTE_PGM_RSRC2:USER_SGPR: 2
; COMPUTE_PGM_RSRC2:TRAP_HANDLER: 0
; COMPUTE_PGM_RSRC2:TGID_X_EN: 1
; COMPUTE_PGM_RSRC2:TGID_Y_EN: 0
; COMPUTE_PGM_RSRC2:TGID_Z_EN: 0
; COMPUTE_PGM_RSRC2:TIDIG_COMP_CNT: 0
; COMPUTE_PGM_RSRC3_GFX90A:ACCUM_OFFSET: 0
; COMPUTE_PGM_RSRC3_GFX90A:TG_SPLIT: 0
	.section	.text._ZN7rocprim17ROCPRIM_400000_NS6detail17trampoline_kernelINS0_14default_configENS1_25partition_config_selectorILNS1_17partition_subalgoE9EllbEEZZNS1_14partition_implILS5_9ELb0ES3_jPlS8_PNS0_10empty_typeENS0_5tupleIJS8_S9_EEENSB_IJS8_SA_EEENS0_18inequality_wrapperIZN2at6native12_GLOBAL__N_124unique_dim_cuda_templateIhEESt5tupleIJNSF_6TensorESK_SK_EERKSK_lbbbEUlllE0_EEPmJS9_EEE10hipError_tPvRmT3_T4_T5_T6_T7_T9_mT8_P12ihipStream_tbDpT10_ENKUlT_T0_E_clISt17integral_constantIbLb0EES19_IbLb1EEEEDaS15_S16_EUlS15_E_NS1_11comp_targetILNS1_3genE2ELNS1_11target_archE906ELNS1_3gpuE6ELNS1_3repE0EEENS1_30default_config_static_selectorELNS0_4arch9wavefront6targetE1EEEvT1_,"axG",@progbits,_ZN7rocprim17ROCPRIM_400000_NS6detail17trampoline_kernelINS0_14default_configENS1_25partition_config_selectorILNS1_17partition_subalgoE9EllbEEZZNS1_14partition_implILS5_9ELb0ES3_jPlS8_PNS0_10empty_typeENS0_5tupleIJS8_S9_EEENSB_IJS8_SA_EEENS0_18inequality_wrapperIZN2at6native12_GLOBAL__N_124unique_dim_cuda_templateIhEESt5tupleIJNSF_6TensorESK_SK_EERKSK_lbbbEUlllE0_EEPmJS9_EEE10hipError_tPvRmT3_T4_T5_T6_T7_T9_mT8_P12ihipStream_tbDpT10_ENKUlT_T0_E_clISt17integral_constantIbLb0EES19_IbLb1EEEEDaS15_S16_EUlS15_E_NS1_11comp_targetILNS1_3genE2ELNS1_11target_archE906ELNS1_3gpuE6ELNS1_3repE0EEENS1_30default_config_static_selectorELNS0_4arch9wavefront6targetE1EEEvT1_,comdat
	.globl	_ZN7rocprim17ROCPRIM_400000_NS6detail17trampoline_kernelINS0_14default_configENS1_25partition_config_selectorILNS1_17partition_subalgoE9EllbEEZZNS1_14partition_implILS5_9ELb0ES3_jPlS8_PNS0_10empty_typeENS0_5tupleIJS8_S9_EEENSB_IJS8_SA_EEENS0_18inequality_wrapperIZN2at6native12_GLOBAL__N_124unique_dim_cuda_templateIhEESt5tupleIJNSF_6TensorESK_SK_EERKSK_lbbbEUlllE0_EEPmJS9_EEE10hipError_tPvRmT3_T4_T5_T6_T7_T9_mT8_P12ihipStream_tbDpT10_ENKUlT_T0_E_clISt17integral_constantIbLb0EES19_IbLb1EEEEDaS15_S16_EUlS15_E_NS1_11comp_targetILNS1_3genE2ELNS1_11target_archE906ELNS1_3gpuE6ELNS1_3repE0EEENS1_30default_config_static_selectorELNS0_4arch9wavefront6targetE1EEEvT1_ ; -- Begin function _ZN7rocprim17ROCPRIM_400000_NS6detail17trampoline_kernelINS0_14default_configENS1_25partition_config_selectorILNS1_17partition_subalgoE9EllbEEZZNS1_14partition_implILS5_9ELb0ES3_jPlS8_PNS0_10empty_typeENS0_5tupleIJS8_S9_EEENSB_IJS8_SA_EEENS0_18inequality_wrapperIZN2at6native12_GLOBAL__N_124unique_dim_cuda_templateIhEESt5tupleIJNSF_6TensorESK_SK_EERKSK_lbbbEUlllE0_EEPmJS9_EEE10hipError_tPvRmT3_T4_T5_T6_T7_T9_mT8_P12ihipStream_tbDpT10_ENKUlT_T0_E_clISt17integral_constantIbLb0EES19_IbLb1EEEEDaS15_S16_EUlS15_E_NS1_11comp_targetILNS1_3genE2ELNS1_11target_archE906ELNS1_3gpuE6ELNS1_3repE0EEENS1_30default_config_static_selectorELNS0_4arch9wavefront6targetE1EEEvT1_
	.p2align	8
	.type	_ZN7rocprim17ROCPRIM_400000_NS6detail17trampoline_kernelINS0_14default_configENS1_25partition_config_selectorILNS1_17partition_subalgoE9EllbEEZZNS1_14partition_implILS5_9ELb0ES3_jPlS8_PNS0_10empty_typeENS0_5tupleIJS8_S9_EEENSB_IJS8_SA_EEENS0_18inequality_wrapperIZN2at6native12_GLOBAL__N_124unique_dim_cuda_templateIhEESt5tupleIJNSF_6TensorESK_SK_EERKSK_lbbbEUlllE0_EEPmJS9_EEE10hipError_tPvRmT3_T4_T5_T6_T7_T9_mT8_P12ihipStream_tbDpT10_ENKUlT_T0_E_clISt17integral_constantIbLb0EES19_IbLb1EEEEDaS15_S16_EUlS15_E_NS1_11comp_targetILNS1_3genE2ELNS1_11target_archE906ELNS1_3gpuE6ELNS1_3repE0EEENS1_30default_config_static_selectorELNS0_4arch9wavefront6targetE1EEEvT1_,@function
_ZN7rocprim17ROCPRIM_400000_NS6detail17trampoline_kernelINS0_14default_configENS1_25partition_config_selectorILNS1_17partition_subalgoE9EllbEEZZNS1_14partition_implILS5_9ELb0ES3_jPlS8_PNS0_10empty_typeENS0_5tupleIJS8_S9_EEENSB_IJS8_SA_EEENS0_18inequality_wrapperIZN2at6native12_GLOBAL__N_124unique_dim_cuda_templateIhEESt5tupleIJNSF_6TensorESK_SK_EERKSK_lbbbEUlllE0_EEPmJS9_EEE10hipError_tPvRmT3_T4_T5_T6_T7_T9_mT8_P12ihipStream_tbDpT10_ENKUlT_T0_E_clISt17integral_constantIbLb0EES19_IbLb1EEEEDaS15_S16_EUlS15_E_NS1_11comp_targetILNS1_3genE2ELNS1_11target_archE906ELNS1_3gpuE6ELNS1_3repE0EEENS1_30default_config_static_selectorELNS0_4arch9wavefront6targetE1EEEvT1_: ; @_ZN7rocprim17ROCPRIM_400000_NS6detail17trampoline_kernelINS0_14default_configENS1_25partition_config_selectorILNS1_17partition_subalgoE9EllbEEZZNS1_14partition_implILS5_9ELb0ES3_jPlS8_PNS0_10empty_typeENS0_5tupleIJS8_S9_EEENSB_IJS8_SA_EEENS0_18inequality_wrapperIZN2at6native12_GLOBAL__N_124unique_dim_cuda_templateIhEESt5tupleIJNSF_6TensorESK_SK_EERKSK_lbbbEUlllE0_EEPmJS9_EEE10hipError_tPvRmT3_T4_T5_T6_T7_T9_mT8_P12ihipStream_tbDpT10_ENKUlT_T0_E_clISt17integral_constantIbLb0EES19_IbLb1EEEEDaS15_S16_EUlS15_E_NS1_11comp_targetILNS1_3genE2ELNS1_11target_archE906ELNS1_3gpuE6ELNS1_3repE0EEENS1_30default_config_static_selectorELNS0_4arch9wavefront6targetE1EEEvT1_
; %bb.0:
	.section	.rodata,"a",@progbits
	.p2align	6, 0x0
	.amdhsa_kernel _ZN7rocprim17ROCPRIM_400000_NS6detail17trampoline_kernelINS0_14default_configENS1_25partition_config_selectorILNS1_17partition_subalgoE9EllbEEZZNS1_14partition_implILS5_9ELb0ES3_jPlS8_PNS0_10empty_typeENS0_5tupleIJS8_S9_EEENSB_IJS8_SA_EEENS0_18inequality_wrapperIZN2at6native12_GLOBAL__N_124unique_dim_cuda_templateIhEESt5tupleIJNSF_6TensorESK_SK_EERKSK_lbbbEUlllE0_EEPmJS9_EEE10hipError_tPvRmT3_T4_T5_T6_T7_T9_mT8_P12ihipStream_tbDpT10_ENKUlT_T0_E_clISt17integral_constantIbLb0EES19_IbLb1EEEEDaS15_S16_EUlS15_E_NS1_11comp_targetILNS1_3genE2ELNS1_11target_archE906ELNS1_3gpuE6ELNS1_3repE0EEENS1_30default_config_static_selectorELNS0_4arch9wavefront6targetE1EEEvT1_
		.amdhsa_group_segment_fixed_size 0
		.amdhsa_private_segment_fixed_size 0
		.amdhsa_kernarg_size 136
		.amdhsa_user_sgpr_count 2
		.amdhsa_user_sgpr_dispatch_ptr 0
		.amdhsa_user_sgpr_queue_ptr 0
		.amdhsa_user_sgpr_kernarg_segment_ptr 1
		.amdhsa_user_sgpr_dispatch_id 0
		.amdhsa_user_sgpr_kernarg_preload_length 0
		.amdhsa_user_sgpr_kernarg_preload_offset 0
		.amdhsa_user_sgpr_private_segment_size 0
		.amdhsa_uses_dynamic_stack 0
		.amdhsa_enable_private_segment 0
		.amdhsa_system_sgpr_workgroup_id_x 1
		.amdhsa_system_sgpr_workgroup_id_y 0
		.amdhsa_system_sgpr_workgroup_id_z 0
		.amdhsa_system_sgpr_workgroup_info 0
		.amdhsa_system_vgpr_workitem_id 0
		.amdhsa_next_free_vgpr 1
		.amdhsa_next_free_sgpr 0
		.amdhsa_accum_offset 4
		.amdhsa_reserve_vcc 0
		.amdhsa_float_round_mode_32 0
		.amdhsa_float_round_mode_16_64 0
		.amdhsa_float_denorm_mode_32 3
		.amdhsa_float_denorm_mode_16_64 3
		.amdhsa_dx10_clamp 1
		.amdhsa_ieee_mode 1
		.amdhsa_fp16_overflow 0
		.amdhsa_tg_split 0
		.amdhsa_exception_fp_ieee_invalid_op 0
		.amdhsa_exception_fp_denorm_src 0
		.amdhsa_exception_fp_ieee_div_zero 0
		.amdhsa_exception_fp_ieee_overflow 0
		.amdhsa_exception_fp_ieee_underflow 0
		.amdhsa_exception_fp_ieee_inexact 0
		.amdhsa_exception_int_div_zero 0
	.end_amdhsa_kernel
	.section	.text._ZN7rocprim17ROCPRIM_400000_NS6detail17trampoline_kernelINS0_14default_configENS1_25partition_config_selectorILNS1_17partition_subalgoE9EllbEEZZNS1_14partition_implILS5_9ELb0ES3_jPlS8_PNS0_10empty_typeENS0_5tupleIJS8_S9_EEENSB_IJS8_SA_EEENS0_18inequality_wrapperIZN2at6native12_GLOBAL__N_124unique_dim_cuda_templateIhEESt5tupleIJNSF_6TensorESK_SK_EERKSK_lbbbEUlllE0_EEPmJS9_EEE10hipError_tPvRmT3_T4_T5_T6_T7_T9_mT8_P12ihipStream_tbDpT10_ENKUlT_T0_E_clISt17integral_constantIbLb0EES19_IbLb1EEEEDaS15_S16_EUlS15_E_NS1_11comp_targetILNS1_3genE2ELNS1_11target_archE906ELNS1_3gpuE6ELNS1_3repE0EEENS1_30default_config_static_selectorELNS0_4arch9wavefront6targetE1EEEvT1_,"axG",@progbits,_ZN7rocprim17ROCPRIM_400000_NS6detail17trampoline_kernelINS0_14default_configENS1_25partition_config_selectorILNS1_17partition_subalgoE9EllbEEZZNS1_14partition_implILS5_9ELb0ES3_jPlS8_PNS0_10empty_typeENS0_5tupleIJS8_S9_EEENSB_IJS8_SA_EEENS0_18inequality_wrapperIZN2at6native12_GLOBAL__N_124unique_dim_cuda_templateIhEESt5tupleIJNSF_6TensorESK_SK_EERKSK_lbbbEUlllE0_EEPmJS9_EEE10hipError_tPvRmT3_T4_T5_T6_T7_T9_mT8_P12ihipStream_tbDpT10_ENKUlT_T0_E_clISt17integral_constantIbLb0EES19_IbLb1EEEEDaS15_S16_EUlS15_E_NS1_11comp_targetILNS1_3genE2ELNS1_11target_archE906ELNS1_3gpuE6ELNS1_3repE0EEENS1_30default_config_static_selectorELNS0_4arch9wavefront6targetE1EEEvT1_,comdat
.Lfunc_end232:
	.size	_ZN7rocprim17ROCPRIM_400000_NS6detail17trampoline_kernelINS0_14default_configENS1_25partition_config_selectorILNS1_17partition_subalgoE9EllbEEZZNS1_14partition_implILS5_9ELb0ES3_jPlS8_PNS0_10empty_typeENS0_5tupleIJS8_S9_EEENSB_IJS8_SA_EEENS0_18inequality_wrapperIZN2at6native12_GLOBAL__N_124unique_dim_cuda_templateIhEESt5tupleIJNSF_6TensorESK_SK_EERKSK_lbbbEUlllE0_EEPmJS9_EEE10hipError_tPvRmT3_T4_T5_T6_T7_T9_mT8_P12ihipStream_tbDpT10_ENKUlT_T0_E_clISt17integral_constantIbLb0EES19_IbLb1EEEEDaS15_S16_EUlS15_E_NS1_11comp_targetILNS1_3genE2ELNS1_11target_archE906ELNS1_3gpuE6ELNS1_3repE0EEENS1_30default_config_static_selectorELNS0_4arch9wavefront6targetE1EEEvT1_, .Lfunc_end232-_ZN7rocprim17ROCPRIM_400000_NS6detail17trampoline_kernelINS0_14default_configENS1_25partition_config_selectorILNS1_17partition_subalgoE9EllbEEZZNS1_14partition_implILS5_9ELb0ES3_jPlS8_PNS0_10empty_typeENS0_5tupleIJS8_S9_EEENSB_IJS8_SA_EEENS0_18inequality_wrapperIZN2at6native12_GLOBAL__N_124unique_dim_cuda_templateIhEESt5tupleIJNSF_6TensorESK_SK_EERKSK_lbbbEUlllE0_EEPmJS9_EEE10hipError_tPvRmT3_T4_T5_T6_T7_T9_mT8_P12ihipStream_tbDpT10_ENKUlT_T0_E_clISt17integral_constantIbLb0EES19_IbLb1EEEEDaS15_S16_EUlS15_E_NS1_11comp_targetILNS1_3genE2ELNS1_11target_archE906ELNS1_3gpuE6ELNS1_3repE0EEENS1_30default_config_static_selectorELNS0_4arch9wavefront6targetE1EEEvT1_
                                        ; -- End function
	.set _ZN7rocprim17ROCPRIM_400000_NS6detail17trampoline_kernelINS0_14default_configENS1_25partition_config_selectorILNS1_17partition_subalgoE9EllbEEZZNS1_14partition_implILS5_9ELb0ES3_jPlS8_PNS0_10empty_typeENS0_5tupleIJS8_S9_EEENSB_IJS8_SA_EEENS0_18inequality_wrapperIZN2at6native12_GLOBAL__N_124unique_dim_cuda_templateIhEESt5tupleIJNSF_6TensorESK_SK_EERKSK_lbbbEUlllE0_EEPmJS9_EEE10hipError_tPvRmT3_T4_T5_T6_T7_T9_mT8_P12ihipStream_tbDpT10_ENKUlT_T0_E_clISt17integral_constantIbLb0EES19_IbLb1EEEEDaS15_S16_EUlS15_E_NS1_11comp_targetILNS1_3genE2ELNS1_11target_archE906ELNS1_3gpuE6ELNS1_3repE0EEENS1_30default_config_static_selectorELNS0_4arch9wavefront6targetE1EEEvT1_.num_vgpr, 0
	.set _ZN7rocprim17ROCPRIM_400000_NS6detail17trampoline_kernelINS0_14default_configENS1_25partition_config_selectorILNS1_17partition_subalgoE9EllbEEZZNS1_14partition_implILS5_9ELb0ES3_jPlS8_PNS0_10empty_typeENS0_5tupleIJS8_S9_EEENSB_IJS8_SA_EEENS0_18inequality_wrapperIZN2at6native12_GLOBAL__N_124unique_dim_cuda_templateIhEESt5tupleIJNSF_6TensorESK_SK_EERKSK_lbbbEUlllE0_EEPmJS9_EEE10hipError_tPvRmT3_T4_T5_T6_T7_T9_mT8_P12ihipStream_tbDpT10_ENKUlT_T0_E_clISt17integral_constantIbLb0EES19_IbLb1EEEEDaS15_S16_EUlS15_E_NS1_11comp_targetILNS1_3genE2ELNS1_11target_archE906ELNS1_3gpuE6ELNS1_3repE0EEENS1_30default_config_static_selectorELNS0_4arch9wavefront6targetE1EEEvT1_.num_agpr, 0
	.set _ZN7rocprim17ROCPRIM_400000_NS6detail17trampoline_kernelINS0_14default_configENS1_25partition_config_selectorILNS1_17partition_subalgoE9EllbEEZZNS1_14partition_implILS5_9ELb0ES3_jPlS8_PNS0_10empty_typeENS0_5tupleIJS8_S9_EEENSB_IJS8_SA_EEENS0_18inequality_wrapperIZN2at6native12_GLOBAL__N_124unique_dim_cuda_templateIhEESt5tupleIJNSF_6TensorESK_SK_EERKSK_lbbbEUlllE0_EEPmJS9_EEE10hipError_tPvRmT3_T4_T5_T6_T7_T9_mT8_P12ihipStream_tbDpT10_ENKUlT_T0_E_clISt17integral_constantIbLb0EES19_IbLb1EEEEDaS15_S16_EUlS15_E_NS1_11comp_targetILNS1_3genE2ELNS1_11target_archE906ELNS1_3gpuE6ELNS1_3repE0EEENS1_30default_config_static_selectorELNS0_4arch9wavefront6targetE1EEEvT1_.numbered_sgpr, 0
	.set _ZN7rocprim17ROCPRIM_400000_NS6detail17trampoline_kernelINS0_14default_configENS1_25partition_config_selectorILNS1_17partition_subalgoE9EllbEEZZNS1_14partition_implILS5_9ELb0ES3_jPlS8_PNS0_10empty_typeENS0_5tupleIJS8_S9_EEENSB_IJS8_SA_EEENS0_18inequality_wrapperIZN2at6native12_GLOBAL__N_124unique_dim_cuda_templateIhEESt5tupleIJNSF_6TensorESK_SK_EERKSK_lbbbEUlllE0_EEPmJS9_EEE10hipError_tPvRmT3_T4_T5_T6_T7_T9_mT8_P12ihipStream_tbDpT10_ENKUlT_T0_E_clISt17integral_constantIbLb0EES19_IbLb1EEEEDaS15_S16_EUlS15_E_NS1_11comp_targetILNS1_3genE2ELNS1_11target_archE906ELNS1_3gpuE6ELNS1_3repE0EEENS1_30default_config_static_selectorELNS0_4arch9wavefront6targetE1EEEvT1_.num_named_barrier, 0
	.set _ZN7rocprim17ROCPRIM_400000_NS6detail17trampoline_kernelINS0_14default_configENS1_25partition_config_selectorILNS1_17partition_subalgoE9EllbEEZZNS1_14partition_implILS5_9ELb0ES3_jPlS8_PNS0_10empty_typeENS0_5tupleIJS8_S9_EEENSB_IJS8_SA_EEENS0_18inequality_wrapperIZN2at6native12_GLOBAL__N_124unique_dim_cuda_templateIhEESt5tupleIJNSF_6TensorESK_SK_EERKSK_lbbbEUlllE0_EEPmJS9_EEE10hipError_tPvRmT3_T4_T5_T6_T7_T9_mT8_P12ihipStream_tbDpT10_ENKUlT_T0_E_clISt17integral_constantIbLb0EES19_IbLb1EEEEDaS15_S16_EUlS15_E_NS1_11comp_targetILNS1_3genE2ELNS1_11target_archE906ELNS1_3gpuE6ELNS1_3repE0EEENS1_30default_config_static_selectorELNS0_4arch9wavefront6targetE1EEEvT1_.private_seg_size, 0
	.set _ZN7rocprim17ROCPRIM_400000_NS6detail17trampoline_kernelINS0_14default_configENS1_25partition_config_selectorILNS1_17partition_subalgoE9EllbEEZZNS1_14partition_implILS5_9ELb0ES3_jPlS8_PNS0_10empty_typeENS0_5tupleIJS8_S9_EEENSB_IJS8_SA_EEENS0_18inequality_wrapperIZN2at6native12_GLOBAL__N_124unique_dim_cuda_templateIhEESt5tupleIJNSF_6TensorESK_SK_EERKSK_lbbbEUlllE0_EEPmJS9_EEE10hipError_tPvRmT3_T4_T5_T6_T7_T9_mT8_P12ihipStream_tbDpT10_ENKUlT_T0_E_clISt17integral_constantIbLb0EES19_IbLb1EEEEDaS15_S16_EUlS15_E_NS1_11comp_targetILNS1_3genE2ELNS1_11target_archE906ELNS1_3gpuE6ELNS1_3repE0EEENS1_30default_config_static_selectorELNS0_4arch9wavefront6targetE1EEEvT1_.uses_vcc, 0
	.set _ZN7rocprim17ROCPRIM_400000_NS6detail17trampoline_kernelINS0_14default_configENS1_25partition_config_selectorILNS1_17partition_subalgoE9EllbEEZZNS1_14partition_implILS5_9ELb0ES3_jPlS8_PNS0_10empty_typeENS0_5tupleIJS8_S9_EEENSB_IJS8_SA_EEENS0_18inequality_wrapperIZN2at6native12_GLOBAL__N_124unique_dim_cuda_templateIhEESt5tupleIJNSF_6TensorESK_SK_EERKSK_lbbbEUlllE0_EEPmJS9_EEE10hipError_tPvRmT3_T4_T5_T6_T7_T9_mT8_P12ihipStream_tbDpT10_ENKUlT_T0_E_clISt17integral_constantIbLb0EES19_IbLb1EEEEDaS15_S16_EUlS15_E_NS1_11comp_targetILNS1_3genE2ELNS1_11target_archE906ELNS1_3gpuE6ELNS1_3repE0EEENS1_30default_config_static_selectorELNS0_4arch9wavefront6targetE1EEEvT1_.uses_flat_scratch, 0
	.set _ZN7rocprim17ROCPRIM_400000_NS6detail17trampoline_kernelINS0_14default_configENS1_25partition_config_selectorILNS1_17partition_subalgoE9EllbEEZZNS1_14partition_implILS5_9ELb0ES3_jPlS8_PNS0_10empty_typeENS0_5tupleIJS8_S9_EEENSB_IJS8_SA_EEENS0_18inequality_wrapperIZN2at6native12_GLOBAL__N_124unique_dim_cuda_templateIhEESt5tupleIJNSF_6TensorESK_SK_EERKSK_lbbbEUlllE0_EEPmJS9_EEE10hipError_tPvRmT3_T4_T5_T6_T7_T9_mT8_P12ihipStream_tbDpT10_ENKUlT_T0_E_clISt17integral_constantIbLb0EES19_IbLb1EEEEDaS15_S16_EUlS15_E_NS1_11comp_targetILNS1_3genE2ELNS1_11target_archE906ELNS1_3gpuE6ELNS1_3repE0EEENS1_30default_config_static_selectorELNS0_4arch9wavefront6targetE1EEEvT1_.has_dyn_sized_stack, 0
	.set _ZN7rocprim17ROCPRIM_400000_NS6detail17trampoline_kernelINS0_14default_configENS1_25partition_config_selectorILNS1_17partition_subalgoE9EllbEEZZNS1_14partition_implILS5_9ELb0ES3_jPlS8_PNS0_10empty_typeENS0_5tupleIJS8_S9_EEENSB_IJS8_SA_EEENS0_18inequality_wrapperIZN2at6native12_GLOBAL__N_124unique_dim_cuda_templateIhEESt5tupleIJNSF_6TensorESK_SK_EERKSK_lbbbEUlllE0_EEPmJS9_EEE10hipError_tPvRmT3_T4_T5_T6_T7_T9_mT8_P12ihipStream_tbDpT10_ENKUlT_T0_E_clISt17integral_constantIbLb0EES19_IbLb1EEEEDaS15_S16_EUlS15_E_NS1_11comp_targetILNS1_3genE2ELNS1_11target_archE906ELNS1_3gpuE6ELNS1_3repE0EEENS1_30default_config_static_selectorELNS0_4arch9wavefront6targetE1EEEvT1_.has_recursion, 0
	.set _ZN7rocprim17ROCPRIM_400000_NS6detail17trampoline_kernelINS0_14default_configENS1_25partition_config_selectorILNS1_17partition_subalgoE9EllbEEZZNS1_14partition_implILS5_9ELb0ES3_jPlS8_PNS0_10empty_typeENS0_5tupleIJS8_S9_EEENSB_IJS8_SA_EEENS0_18inequality_wrapperIZN2at6native12_GLOBAL__N_124unique_dim_cuda_templateIhEESt5tupleIJNSF_6TensorESK_SK_EERKSK_lbbbEUlllE0_EEPmJS9_EEE10hipError_tPvRmT3_T4_T5_T6_T7_T9_mT8_P12ihipStream_tbDpT10_ENKUlT_T0_E_clISt17integral_constantIbLb0EES19_IbLb1EEEEDaS15_S16_EUlS15_E_NS1_11comp_targetILNS1_3genE2ELNS1_11target_archE906ELNS1_3gpuE6ELNS1_3repE0EEENS1_30default_config_static_selectorELNS0_4arch9wavefront6targetE1EEEvT1_.has_indirect_call, 0
	.section	.AMDGPU.csdata,"",@progbits
; Kernel info:
; codeLenInByte = 0
; TotalNumSgprs: 6
; NumVgprs: 0
; NumAgprs: 0
; TotalNumVgprs: 0
; ScratchSize: 0
; MemoryBound: 0
; FloatMode: 240
; IeeeMode: 1
; LDSByteSize: 0 bytes/workgroup (compile time only)
; SGPRBlocks: 0
; VGPRBlocks: 0
; NumSGPRsForWavesPerEU: 6
; NumVGPRsForWavesPerEU: 1
; AccumOffset: 4
; Occupancy: 8
; WaveLimiterHint : 0
; COMPUTE_PGM_RSRC2:SCRATCH_EN: 0
; COMPUTE_PGM_RSRC2:USER_SGPR: 2
; COMPUTE_PGM_RSRC2:TRAP_HANDLER: 0
; COMPUTE_PGM_RSRC2:TGID_X_EN: 1
; COMPUTE_PGM_RSRC2:TGID_Y_EN: 0
; COMPUTE_PGM_RSRC2:TGID_Z_EN: 0
; COMPUTE_PGM_RSRC2:TIDIG_COMP_CNT: 0
; COMPUTE_PGM_RSRC3_GFX90A:ACCUM_OFFSET: 0
; COMPUTE_PGM_RSRC3_GFX90A:TG_SPLIT: 0
	.section	.text._ZN7rocprim17ROCPRIM_400000_NS6detail17trampoline_kernelINS0_14default_configENS1_25partition_config_selectorILNS1_17partition_subalgoE9EllbEEZZNS1_14partition_implILS5_9ELb0ES3_jPlS8_PNS0_10empty_typeENS0_5tupleIJS8_S9_EEENSB_IJS8_SA_EEENS0_18inequality_wrapperIZN2at6native12_GLOBAL__N_124unique_dim_cuda_templateIhEESt5tupleIJNSF_6TensorESK_SK_EERKSK_lbbbEUlllE0_EEPmJS9_EEE10hipError_tPvRmT3_T4_T5_T6_T7_T9_mT8_P12ihipStream_tbDpT10_ENKUlT_T0_E_clISt17integral_constantIbLb0EES19_IbLb1EEEEDaS15_S16_EUlS15_E_NS1_11comp_targetILNS1_3genE10ELNS1_11target_archE1200ELNS1_3gpuE4ELNS1_3repE0EEENS1_30default_config_static_selectorELNS0_4arch9wavefront6targetE1EEEvT1_,"axG",@progbits,_ZN7rocprim17ROCPRIM_400000_NS6detail17trampoline_kernelINS0_14default_configENS1_25partition_config_selectorILNS1_17partition_subalgoE9EllbEEZZNS1_14partition_implILS5_9ELb0ES3_jPlS8_PNS0_10empty_typeENS0_5tupleIJS8_S9_EEENSB_IJS8_SA_EEENS0_18inequality_wrapperIZN2at6native12_GLOBAL__N_124unique_dim_cuda_templateIhEESt5tupleIJNSF_6TensorESK_SK_EERKSK_lbbbEUlllE0_EEPmJS9_EEE10hipError_tPvRmT3_T4_T5_T6_T7_T9_mT8_P12ihipStream_tbDpT10_ENKUlT_T0_E_clISt17integral_constantIbLb0EES19_IbLb1EEEEDaS15_S16_EUlS15_E_NS1_11comp_targetILNS1_3genE10ELNS1_11target_archE1200ELNS1_3gpuE4ELNS1_3repE0EEENS1_30default_config_static_selectorELNS0_4arch9wavefront6targetE1EEEvT1_,comdat
	.globl	_ZN7rocprim17ROCPRIM_400000_NS6detail17trampoline_kernelINS0_14default_configENS1_25partition_config_selectorILNS1_17partition_subalgoE9EllbEEZZNS1_14partition_implILS5_9ELb0ES3_jPlS8_PNS0_10empty_typeENS0_5tupleIJS8_S9_EEENSB_IJS8_SA_EEENS0_18inequality_wrapperIZN2at6native12_GLOBAL__N_124unique_dim_cuda_templateIhEESt5tupleIJNSF_6TensorESK_SK_EERKSK_lbbbEUlllE0_EEPmJS9_EEE10hipError_tPvRmT3_T4_T5_T6_T7_T9_mT8_P12ihipStream_tbDpT10_ENKUlT_T0_E_clISt17integral_constantIbLb0EES19_IbLb1EEEEDaS15_S16_EUlS15_E_NS1_11comp_targetILNS1_3genE10ELNS1_11target_archE1200ELNS1_3gpuE4ELNS1_3repE0EEENS1_30default_config_static_selectorELNS0_4arch9wavefront6targetE1EEEvT1_ ; -- Begin function _ZN7rocprim17ROCPRIM_400000_NS6detail17trampoline_kernelINS0_14default_configENS1_25partition_config_selectorILNS1_17partition_subalgoE9EllbEEZZNS1_14partition_implILS5_9ELb0ES3_jPlS8_PNS0_10empty_typeENS0_5tupleIJS8_S9_EEENSB_IJS8_SA_EEENS0_18inequality_wrapperIZN2at6native12_GLOBAL__N_124unique_dim_cuda_templateIhEESt5tupleIJNSF_6TensorESK_SK_EERKSK_lbbbEUlllE0_EEPmJS9_EEE10hipError_tPvRmT3_T4_T5_T6_T7_T9_mT8_P12ihipStream_tbDpT10_ENKUlT_T0_E_clISt17integral_constantIbLb0EES19_IbLb1EEEEDaS15_S16_EUlS15_E_NS1_11comp_targetILNS1_3genE10ELNS1_11target_archE1200ELNS1_3gpuE4ELNS1_3repE0EEENS1_30default_config_static_selectorELNS0_4arch9wavefront6targetE1EEEvT1_
	.p2align	8
	.type	_ZN7rocprim17ROCPRIM_400000_NS6detail17trampoline_kernelINS0_14default_configENS1_25partition_config_selectorILNS1_17partition_subalgoE9EllbEEZZNS1_14partition_implILS5_9ELb0ES3_jPlS8_PNS0_10empty_typeENS0_5tupleIJS8_S9_EEENSB_IJS8_SA_EEENS0_18inequality_wrapperIZN2at6native12_GLOBAL__N_124unique_dim_cuda_templateIhEESt5tupleIJNSF_6TensorESK_SK_EERKSK_lbbbEUlllE0_EEPmJS9_EEE10hipError_tPvRmT3_T4_T5_T6_T7_T9_mT8_P12ihipStream_tbDpT10_ENKUlT_T0_E_clISt17integral_constantIbLb0EES19_IbLb1EEEEDaS15_S16_EUlS15_E_NS1_11comp_targetILNS1_3genE10ELNS1_11target_archE1200ELNS1_3gpuE4ELNS1_3repE0EEENS1_30default_config_static_selectorELNS0_4arch9wavefront6targetE1EEEvT1_,@function
_ZN7rocprim17ROCPRIM_400000_NS6detail17trampoline_kernelINS0_14default_configENS1_25partition_config_selectorILNS1_17partition_subalgoE9EllbEEZZNS1_14partition_implILS5_9ELb0ES3_jPlS8_PNS0_10empty_typeENS0_5tupleIJS8_S9_EEENSB_IJS8_SA_EEENS0_18inequality_wrapperIZN2at6native12_GLOBAL__N_124unique_dim_cuda_templateIhEESt5tupleIJNSF_6TensorESK_SK_EERKSK_lbbbEUlllE0_EEPmJS9_EEE10hipError_tPvRmT3_T4_T5_T6_T7_T9_mT8_P12ihipStream_tbDpT10_ENKUlT_T0_E_clISt17integral_constantIbLb0EES19_IbLb1EEEEDaS15_S16_EUlS15_E_NS1_11comp_targetILNS1_3genE10ELNS1_11target_archE1200ELNS1_3gpuE4ELNS1_3repE0EEENS1_30default_config_static_selectorELNS0_4arch9wavefront6targetE1EEEvT1_: ; @_ZN7rocprim17ROCPRIM_400000_NS6detail17trampoline_kernelINS0_14default_configENS1_25partition_config_selectorILNS1_17partition_subalgoE9EllbEEZZNS1_14partition_implILS5_9ELb0ES3_jPlS8_PNS0_10empty_typeENS0_5tupleIJS8_S9_EEENSB_IJS8_SA_EEENS0_18inequality_wrapperIZN2at6native12_GLOBAL__N_124unique_dim_cuda_templateIhEESt5tupleIJNSF_6TensorESK_SK_EERKSK_lbbbEUlllE0_EEPmJS9_EEE10hipError_tPvRmT3_T4_T5_T6_T7_T9_mT8_P12ihipStream_tbDpT10_ENKUlT_T0_E_clISt17integral_constantIbLb0EES19_IbLb1EEEEDaS15_S16_EUlS15_E_NS1_11comp_targetILNS1_3genE10ELNS1_11target_archE1200ELNS1_3gpuE4ELNS1_3repE0EEENS1_30default_config_static_selectorELNS0_4arch9wavefront6targetE1EEEvT1_
; %bb.0:
	.section	.rodata,"a",@progbits
	.p2align	6, 0x0
	.amdhsa_kernel _ZN7rocprim17ROCPRIM_400000_NS6detail17trampoline_kernelINS0_14default_configENS1_25partition_config_selectorILNS1_17partition_subalgoE9EllbEEZZNS1_14partition_implILS5_9ELb0ES3_jPlS8_PNS0_10empty_typeENS0_5tupleIJS8_S9_EEENSB_IJS8_SA_EEENS0_18inequality_wrapperIZN2at6native12_GLOBAL__N_124unique_dim_cuda_templateIhEESt5tupleIJNSF_6TensorESK_SK_EERKSK_lbbbEUlllE0_EEPmJS9_EEE10hipError_tPvRmT3_T4_T5_T6_T7_T9_mT8_P12ihipStream_tbDpT10_ENKUlT_T0_E_clISt17integral_constantIbLb0EES19_IbLb1EEEEDaS15_S16_EUlS15_E_NS1_11comp_targetILNS1_3genE10ELNS1_11target_archE1200ELNS1_3gpuE4ELNS1_3repE0EEENS1_30default_config_static_selectorELNS0_4arch9wavefront6targetE1EEEvT1_
		.amdhsa_group_segment_fixed_size 0
		.amdhsa_private_segment_fixed_size 0
		.amdhsa_kernarg_size 136
		.amdhsa_user_sgpr_count 2
		.amdhsa_user_sgpr_dispatch_ptr 0
		.amdhsa_user_sgpr_queue_ptr 0
		.amdhsa_user_sgpr_kernarg_segment_ptr 1
		.amdhsa_user_sgpr_dispatch_id 0
		.amdhsa_user_sgpr_kernarg_preload_length 0
		.amdhsa_user_sgpr_kernarg_preload_offset 0
		.amdhsa_user_sgpr_private_segment_size 0
		.amdhsa_uses_dynamic_stack 0
		.amdhsa_enable_private_segment 0
		.amdhsa_system_sgpr_workgroup_id_x 1
		.amdhsa_system_sgpr_workgroup_id_y 0
		.amdhsa_system_sgpr_workgroup_id_z 0
		.amdhsa_system_sgpr_workgroup_info 0
		.amdhsa_system_vgpr_workitem_id 0
		.amdhsa_next_free_vgpr 1
		.amdhsa_next_free_sgpr 0
		.amdhsa_accum_offset 4
		.amdhsa_reserve_vcc 0
		.amdhsa_float_round_mode_32 0
		.amdhsa_float_round_mode_16_64 0
		.amdhsa_float_denorm_mode_32 3
		.amdhsa_float_denorm_mode_16_64 3
		.amdhsa_dx10_clamp 1
		.amdhsa_ieee_mode 1
		.amdhsa_fp16_overflow 0
		.amdhsa_tg_split 0
		.amdhsa_exception_fp_ieee_invalid_op 0
		.amdhsa_exception_fp_denorm_src 0
		.amdhsa_exception_fp_ieee_div_zero 0
		.amdhsa_exception_fp_ieee_overflow 0
		.amdhsa_exception_fp_ieee_underflow 0
		.amdhsa_exception_fp_ieee_inexact 0
		.amdhsa_exception_int_div_zero 0
	.end_amdhsa_kernel
	.section	.text._ZN7rocprim17ROCPRIM_400000_NS6detail17trampoline_kernelINS0_14default_configENS1_25partition_config_selectorILNS1_17partition_subalgoE9EllbEEZZNS1_14partition_implILS5_9ELb0ES3_jPlS8_PNS0_10empty_typeENS0_5tupleIJS8_S9_EEENSB_IJS8_SA_EEENS0_18inequality_wrapperIZN2at6native12_GLOBAL__N_124unique_dim_cuda_templateIhEESt5tupleIJNSF_6TensorESK_SK_EERKSK_lbbbEUlllE0_EEPmJS9_EEE10hipError_tPvRmT3_T4_T5_T6_T7_T9_mT8_P12ihipStream_tbDpT10_ENKUlT_T0_E_clISt17integral_constantIbLb0EES19_IbLb1EEEEDaS15_S16_EUlS15_E_NS1_11comp_targetILNS1_3genE10ELNS1_11target_archE1200ELNS1_3gpuE4ELNS1_3repE0EEENS1_30default_config_static_selectorELNS0_4arch9wavefront6targetE1EEEvT1_,"axG",@progbits,_ZN7rocprim17ROCPRIM_400000_NS6detail17trampoline_kernelINS0_14default_configENS1_25partition_config_selectorILNS1_17partition_subalgoE9EllbEEZZNS1_14partition_implILS5_9ELb0ES3_jPlS8_PNS0_10empty_typeENS0_5tupleIJS8_S9_EEENSB_IJS8_SA_EEENS0_18inequality_wrapperIZN2at6native12_GLOBAL__N_124unique_dim_cuda_templateIhEESt5tupleIJNSF_6TensorESK_SK_EERKSK_lbbbEUlllE0_EEPmJS9_EEE10hipError_tPvRmT3_T4_T5_T6_T7_T9_mT8_P12ihipStream_tbDpT10_ENKUlT_T0_E_clISt17integral_constantIbLb0EES19_IbLb1EEEEDaS15_S16_EUlS15_E_NS1_11comp_targetILNS1_3genE10ELNS1_11target_archE1200ELNS1_3gpuE4ELNS1_3repE0EEENS1_30default_config_static_selectorELNS0_4arch9wavefront6targetE1EEEvT1_,comdat
.Lfunc_end233:
	.size	_ZN7rocprim17ROCPRIM_400000_NS6detail17trampoline_kernelINS0_14default_configENS1_25partition_config_selectorILNS1_17partition_subalgoE9EllbEEZZNS1_14partition_implILS5_9ELb0ES3_jPlS8_PNS0_10empty_typeENS0_5tupleIJS8_S9_EEENSB_IJS8_SA_EEENS0_18inequality_wrapperIZN2at6native12_GLOBAL__N_124unique_dim_cuda_templateIhEESt5tupleIJNSF_6TensorESK_SK_EERKSK_lbbbEUlllE0_EEPmJS9_EEE10hipError_tPvRmT3_T4_T5_T6_T7_T9_mT8_P12ihipStream_tbDpT10_ENKUlT_T0_E_clISt17integral_constantIbLb0EES19_IbLb1EEEEDaS15_S16_EUlS15_E_NS1_11comp_targetILNS1_3genE10ELNS1_11target_archE1200ELNS1_3gpuE4ELNS1_3repE0EEENS1_30default_config_static_selectorELNS0_4arch9wavefront6targetE1EEEvT1_, .Lfunc_end233-_ZN7rocprim17ROCPRIM_400000_NS6detail17trampoline_kernelINS0_14default_configENS1_25partition_config_selectorILNS1_17partition_subalgoE9EllbEEZZNS1_14partition_implILS5_9ELb0ES3_jPlS8_PNS0_10empty_typeENS0_5tupleIJS8_S9_EEENSB_IJS8_SA_EEENS0_18inequality_wrapperIZN2at6native12_GLOBAL__N_124unique_dim_cuda_templateIhEESt5tupleIJNSF_6TensorESK_SK_EERKSK_lbbbEUlllE0_EEPmJS9_EEE10hipError_tPvRmT3_T4_T5_T6_T7_T9_mT8_P12ihipStream_tbDpT10_ENKUlT_T0_E_clISt17integral_constantIbLb0EES19_IbLb1EEEEDaS15_S16_EUlS15_E_NS1_11comp_targetILNS1_3genE10ELNS1_11target_archE1200ELNS1_3gpuE4ELNS1_3repE0EEENS1_30default_config_static_selectorELNS0_4arch9wavefront6targetE1EEEvT1_
                                        ; -- End function
	.set _ZN7rocprim17ROCPRIM_400000_NS6detail17trampoline_kernelINS0_14default_configENS1_25partition_config_selectorILNS1_17partition_subalgoE9EllbEEZZNS1_14partition_implILS5_9ELb0ES3_jPlS8_PNS0_10empty_typeENS0_5tupleIJS8_S9_EEENSB_IJS8_SA_EEENS0_18inequality_wrapperIZN2at6native12_GLOBAL__N_124unique_dim_cuda_templateIhEESt5tupleIJNSF_6TensorESK_SK_EERKSK_lbbbEUlllE0_EEPmJS9_EEE10hipError_tPvRmT3_T4_T5_T6_T7_T9_mT8_P12ihipStream_tbDpT10_ENKUlT_T0_E_clISt17integral_constantIbLb0EES19_IbLb1EEEEDaS15_S16_EUlS15_E_NS1_11comp_targetILNS1_3genE10ELNS1_11target_archE1200ELNS1_3gpuE4ELNS1_3repE0EEENS1_30default_config_static_selectorELNS0_4arch9wavefront6targetE1EEEvT1_.num_vgpr, 0
	.set _ZN7rocprim17ROCPRIM_400000_NS6detail17trampoline_kernelINS0_14default_configENS1_25partition_config_selectorILNS1_17partition_subalgoE9EllbEEZZNS1_14partition_implILS5_9ELb0ES3_jPlS8_PNS0_10empty_typeENS0_5tupleIJS8_S9_EEENSB_IJS8_SA_EEENS0_18inequality_wrapperIZN2at6native12_GLOBAL__N_124unique_dim_cuda_templateIhEESt5tupleIJNSF_6TensorESK_SK_EERKSK_lbbbEUlllE0_EEPmJS9_EEE10hipError_tPvRmT3_T4_T5_T6_T7_T9_mT8_P12ihipStream_tbDpT10_ENKUlT_T0_E_clISt17integral_constantIbLb0EES19_IbLb1EEEEDaS15_S16_EUlS15_E_NS1_11comp_targetILNS1_3genE10ELNS1_11target_archE1200ELNS1_3gpuE4ELNS1_3repE0EEENS1_30default_config_static_selectorELNS0_4arch9wavefront6targetE1EEEvT1_.num_agpr, 0
	.set _ZN7rocprim17ROCPRIM_400000_NS6detail17trampoline_kernelINS0_14default_configENS1_25partition_config_selectorILNS1_17partition_subalgoE9EllbEEZZNS1_14partition_implILS5_9ELb0ES3_jPlS8_PNS0_10empty_typeENS0_5tupleIJS8_S9_EEENSB_IJS8_SA_EEENS0_18inequality_wrapperIZN2at6native12_GLOBAL__N_124unique_dim_cuda_templateIhEESt5tupleIJNSF_6TensorESK_SK_EERKSK_lbbbEUlllE0_EEPmJS9_EEE10hipError_tPvRmT3_T4_T5_T6_T7_T9_mT8_P12ihipStream_tbDpT10_ENKUlT_T0_E_clISt17integral_constantIbLb0EES19_IbLb1EEEEDaS15_S16_EUlS15_E_NS1_11comp_targetILNS1_3genE10ELNS1_11target_archE1200ELNS1_3gpuE4ELNS1_3repE0EEENS1_30default_config_static_selectorELNS0_4arch9wavefront6targetE1EEEvT1_.numbered_sgpr, 0
	.set _ZN7rocprim17ROCPRIM_400000_NS6detail17trampoline_kernelINS0_14default_configENS1_25partition_config_selectorILNS1_17partition_subalgoE9EllbEEZZNS1_14partition_implILS5_9ELb0ES3_jPlS8_PNS0_10empty_typeENS0_5tupleIJS8_S9_EEENSB_IJS8_SA_EEENS0_18inequality_wrapperIZN2at6native12_GLOBAL__N_124unique_dim_cuda_templateIhEESt5tupleIJNSF_6TensorESK_SK_EERKSK_lbbbEUlllE0_EEPmJS9_EEE10hipError_tPvRmT3_T4_T5_T6_T7_T9_mT8_P12ihipStream_tbDpT10_ENKUlT_T0_E_clISt17integral_constantIbLb0EES19_IbLb1EEEEDaS15_S16_EUlS15_E_NS1_11comp_targetILNS1_3genE10ELNS1_11target_archE1200ELNS1_3gpuE4ELNS1_3repE0EEENS1_30default_config_static_selectorELNS0_4arch9wavefront6targetE1EEEvT1_.num_named_barrier, 0
	.set _ZN7rocprim17ROCPRIM_400000_NS6detail17trampoline_kernelINS0_14default_configENS1_25partition_config_selectorILNS1_17partition_subalgoE9EllbEEZZNS1_14partition_implILS5_9ELb0ES3_jPlS8_PNS0_10empty_typeENS0_5tupleIJS8_S9_EEENSB_IJS8_SA_EEENS0_18inequality_wrapperIZN2at6native12_GLOBAL__N_124unique_dim_cuda_templateIhEESt5tupleIJNSF_6TensorESK_SK_EERKSK_lbbbEUlllE0_EEPmJS9_EEE10hipError_tPvRmT3_T4_T5_T6_T7_T9_mT8_P12ihipStream_tbDpT10_ENKUlT_T0_E_clISt17integral_constantIbLb0EES19_IbLb1EEEEDaS15_S16_EUlS15_E_NS1_11comp_targetILNS1_3genE10ELNS1_11target_archE1200ELNS1_3gpuE4ELNS1_3repE0EEENS1_30default_config_static_selectorELNS0_4arch9wavefront6targetE1EEEvT1_.private_seg_size, 0
	.set _ZN7rocprim17ROCPRIM_400000_NS6detail17trampoline_kernelINS0_14default_configENS1_25partition_config_selectorILNS1_17partition_subalgoE9EllbEEZZNS1_14partition_implILS5_9ELb0ES3_jPlS8_PNS0_10empty_typeENS0_5tupleIJS8_S9_EEENSB_IJS8_SA_EEENS0_18inequality_wrapperIZN2at6native12_GLOBAL__N_124unique_dim_cuda_templateIhEESt5tupleIJNSF_6TensorESK_SK_EERKSK_lbbbEUlllE0_EEPmJS9_EEE10hipError_tPvRmT3_T4_T5_T6_T7_T9_mT8_P12ihipStream_tbDpT10_ENKUlT_T0_E_clISt17integral_constantIbLb0EES19_IbLb1EEEEDaS15_S16_EUlS15_E_NS1_11comp_targetILNS1_3genE10ELNS1_11target_archE1200ELNS1_3gpuE4ELNS1_3repE0EEENS1_30default_config_static_selectorELNS0_4arch9wavefront6targetE1EEEvT1_.uses_vcc, 0
	.set _ZN7rocprim17ROCPRIM_400000_NS6detail17trampoline_kernelINS0_14default_configENS1_25partition_config_selectorILNS1_17partition_subalgoE9EllbEEZZNS1_14partition_implILS5_9ELb0ES3_jPlS8_PNS0_10empty_typeENS0_5tupleIJS8_S9_EEENSB_IJS8_SA_EEENS0_18inequality_wrapperIZN2at6native12_GLOBAL__N_124unique_dim_cuda_templateIhEESt5tupleIJNSF_6TensorESK_SK_EERKSK_lbbbEUlllE0_EEPmJS9_EEE10hipError_tPvRmT3_T4_T5_T6_T7_T9_mT8_P12ihipStream_tbDpT10_ENKUlT_T0_E_clISt17integral_constantIbLb0EES19_IbLb1EEEEDaS15_S16_EUlS15_E_NS1_11comp_targetILNS1_3genE10ELNS1_11target_archE1200ELNS1_3gpuE4ELNS1_3repE0EEENS1_30default_config_static_selectorELNS0_4arch9wavefront6targetE1EEEvT1_.uses_flat_scratch, 0
	.set _ZN7rocprim17ROCPRIM_400000_NS6detail17trampoline_kernelINS0_14default_configENS1_25partition_config_selectorILNS1_17partition_subalgoE9EllbEEZZNS1_14partition_implILS5_9ELb0ES3_jPlS8_PNS0_10empty_typeENS0_5tupleIJS8_S9_EEENSB_IJS8_SA_EEENS0_18inequality_wrapperIZN2at6native12_GLOBAL__N_124unique_dim_cuda_templateIhEESt5tupleIJNSF_6TensorESK_SK_EERKSK_lbbbEUlllE0_EEPmJS9_EEE10hipError_tPvRmT3_T4_T5_T6_T7_T9_mT8_P12ihipStream_tbDpT10_ENKUlT_T0_E_clISt17integral_constantIbLb0EES19_IbLb1EEEEDaS15_S16_EUlS15_E_NS1_11comp_targetILNS1_3genE10ELNS1_11target_archE1200ELNS1_3gpuE4ELNS1_3repE0EEENS1_30default_config_static_selectorELNS0_4arch9wavefront6targetE1EEEvT1_.has_dyn_sized_stack, 0
	.set _ZN7rocprim17ROCPRIM_400000_NS6detail17trampoline_kernelINS0_14default_configENS1_25partition_config_selectorILNS1_17partition_subalgoE9EllbEEZZNS1_14partition_implILS5_9ELb0ES3_jPlS8_PNS0_10empty_typeENS0_5tupleIJS8_S9_EEENSB_IJS8_SA_EEENS0_18inequality_wrapperIZN2at6native12_GLOBAL__N_124unique_dim_cuda_templateIhEESt5tupleIJNSF_6TensorESK_SK_EERKSK_lbbbEUlllE0_EEPmJS9_EEE10hipError_tPvRmT3_T4_T5_T6_T7_T9_mT8_P12ihipStream_tbDpT10_ENKUlT_T0_E_clISt17integral_constantIbLb0EES19_IbLb1EEEEDaS15_S16_EUlS15_E_NS1_11comp_targetILNS1_3genE10ELNS1_11target_archE1200ELNS1_3gpuE4ELNS1_3repE0EEENS1_30default_config_static_selectorELNS0_4arch9wavefront6targetE1EEEvT1_.has_recursion, 0
	.set _ZN7rocprim17ROCPRIM_400000_NS6detail17trampoline_kernelINS0_14default_configENS1_25partition_config_selectorILNS1_17partition_subalgoE9EllbEEZZNS1_14partition_implILS5_9ELb0ES3_jPlS8_PNS0_10empty_typeENS0_5tupleIJS8_S9_EEENSB_IJS8_SA_EEENS0_18inequality_wrapperIZN2at6native12_GLOBAL__N_124unique_dim_cuda_templateIhEESt5tupleIJNSF_6TensorESK_SK_EERKSK_lbbbEUlllE0_EEPmJS9_EEE10hipError_tPvRmT3_T4_T5_T6_T7_T9_mT8_P12ihipStream_tbDpT10_ENKUlT_T0_E_clISt17integral_constantIbLb0EES19_IbLb1EEEEDaS15_S16_EUlS15_E_NS1_11comp_targetILNS1_3genE10ELNS1_11target_archE1200ELNS1_3gpuE4ELNS1_3repE0EEENS1_30default_config_static_selectorELNS0_4arch9wavefront6targetE1EEEvT1_.has_indirect_call, 0
	.section	.AMDGPU.csdata,"",@progbits
; Kernel info:
; codeLenInByte = 0
; TotalNumSgprs: 6
; NumVgprs: 0
; NumAgprs: 0
; TotalNumVgprs: 0
; ScratchSize: 0
; MemoryBound: 0
; FloatMode: 240
; IeeeMode: 1
; LDSByteSize: 0 bytes/workgroup (compile time only)
; SGPRBlocks: 0
; VGPRBlocks: 0
; NumSGPRsForWavesPerEU: 6
; NumVGPRsForWavesPerEU: 1
; AccumOffset: 4
; Occupancy: 8
; WaveLimiterHint : 0
; COMPUTE_PGM_RSRC2:SCRATCH_EN: 0
; COMPUTE_PGM_RSRC2:USER_SGPR: 2
; COMPUTE_PGM_RSRC2:TRAP_HANDLER: 0
; COMPUTE_PGM_RSRC2:TGID_X_EN: 1
; COMPUTE_PGM_RSRC2:TGID_Y_EN: 0
; COMPUTE_PGM_RSRC2:TGID_Z_EN: 0
; COMPUTE_PGM_RSRC2:TIDIG_COMP_CNT: 0
; COMPUTE_PGM_RSRC3_GFX90A:ACCUM_OFFSET: 0
; COMPUTE_PGM_RSRC3_GFX90A:TG_SPLIT: 0
	.section	.text._ZN7rocprim17ROCPRIM_400000_NS6detail17trampoline_kernelINS0_14default_configENS1_25partition_config_selectorILNS1_17partition_subalgoE9EllbEEZZNS1_14partition_implILS5_9ELb0ES3_jPlS8_PNS0_10empty_typeENS0_5tupleIJS8_S9_EEENSB_IJS8_SA_EEENS0_18inequality_wrapperIZN2at6native12_GLOBAL__N_124unique_dim_cuda_templateIhEESt5tupleIJNSF_6TensorESK_SK_EERKSK_lbbbEUlllE0_EEPmJS9_EEE10hipError_tPvRmT3_T4_T5_T6_T7_T9_mT8_P12ihipStream_tbDpT10_ENKUlT_T0_E_clISt17integral_constantIbLb0EES19_IbLb1EEEEDaS15_S16_EUlS15_E_NS1_11comp_targetILNS1_3genE9ELNS1_11target_archE1100ELNS1_3gpuE3ELNS1_3repE0EEENS1_30default_config_static_selectorELNS0_4arch9wavefront6targetE1EEEvT1_,"axG",@progbits,_ZN7rocprim17ROCPRIM_400000_NS6detail17trampoline_kernelINS0_14default_configENS1_25partition_config_selectorILNS1_17partition_subalgoE9EllbEEZZNS1_14partition_implILS5_9ELb0ES3_jPlS8_PNS0_10empty_typeENS0_5tupleIJS8_S9_EEENSB_IJS8_SA_EEENS0_18inequality_wrapperIZN2at6native12_GLOBAL__N_124unique_dim_cuda_templateIhEESt5tupleIJNSF_6TensorESK_SK_EERKSK_lbbbEUlllE0_EEPmJS9_EEE10hipError_tPvRmT3_T4_T5_T6_T7_T9_mT8_P12ihipStream_tbDpT10_ENKUlT_T0_E_clISt17integral_constantIbLb0EES19_IbLb1EEEEDaS15_S16_EUlS15_E_NS1_11comp_targetILNS1_3genE9ELNS1_11target_archE1100ELNS1_3gpuE3ELNS1_3repE0EEENS1_30default_config_static_selectorELNS0_4arch9wavefront6targetE1EEEvT1_,comdat
	.globl	_ZN7rocprim17ROCPRIM_400000_NS6detail17trampoline_kernelINS0_14default_configENS1_25partition_config_selectorILNS1_17partition_subalgoE9EllbEEZZNS1_14partition_implILS5_9ELb0ES3_jPlS8_PNS0_10empty_typeENS0_5tupleIJS8_S9_EEENSB_IJS8_SA_EEENS0_18inequality_wrapperIZN2at6native12_GLOBAL__N_124unique_dim_cuda_templateIhEESt5tupleIJNSF_6TensorESK_SK_EERKSK_lbbbEUlllE0_EEPmJS9_EEE10hipError_tPvRmT3_T4_T5_T6_T7_T9_mT8_P12ihipStream_tbDpT10_ENKUlT_T0_E_clISt17integral_constantIbLb0EES19_IbLb1EEEEDaS15_S16_EUlS15_E_NS1_11comp_targetILNS1_3genE9ELNS1_11target_archE1100ELNS1_3gpuE3ELNS1_3repE0EEENS1_30default_config_static_selectorELNS0_4arch9wavefront6targetE1EEEvT1_ ; -- Begin function _ZN7rocprim17ROCPRIM_400000_NS6detail17trampoline_kernelINS0_14default_configENS1_25partition_config_selectorILNS1_17partition_subalgoE9EllbEEZZNS1_14partition_implILS5_9ELb0ES3_jPlS8_PNS0_10empty_typeENS0_5tupleIJS8_S9_EEENSB_IJS8_SA_EEENS0_18inequality_wrapperIZN2at6native12_GLOBAL__N_124unique_dim_cuda_templateIhEESt5tupleIJNSF_6TensorESK_SK_EERKSK_lbbbEUlllE0_EEPmJS9_EEE10hipError_tPvRmT3_T4_T5_T6_T7_T9_mT8_P12ihipStream_tbDpT10_ENKUlT_T0_E_clISt17integral_constantIbLb0EES19_IbLb1EEEEDaS15_S16_EUlS15_E_NS1_11comp_targetILNS1_3genE9ELNS1_11target_archE1100ELNS1_3gpuE3ELNS1_3repE0EEENS1_30default_config_static_selectorELNS0_4arch9wavefront6targetE1EEEvT1_
	.p2align	8
	.type	_ZN7rocprim17ROCPRIM_400000_NS6detail17trampoline_kernelINS0_14default_configENS1_25partition_config_selectorILNS1_17partition_subalgoE9EllbEEZZNS1_14partition_implILS5_9ELb0ES3_jPlS8_PNS0_10empty_typeENS0_5tupleIJS8_S9_EEENSB_IJS8_SA_EEENS0_18inequality_wrapperIZN2at6native12_GLOBAL__N_124unique_dim_cuda_templateIhEESt5tupleIJNSF_6TensorESK_SK_EERKSK_lbbbEUlllE0_EEPmJS9_EEE10hipError_tPvRmT3_T4_T5_T6_T7_T9_mT8_P12ihipStream_tbDpT10_ENKUlT_T0_E_clISt17integral_constantIbLb0EES19_IbLb1EEEEDaS15_S16_EUlS15_E_NS1_11comp_targetILNS1_3genE9ELNS1_11target_archE1100ELNS1_3gpuE3ELNS1_3repE0EEENS1_30default_config_static_selectorELNS0_4arch9wavefront6targetE1EEEvT1_,@function
_ZN7rocprim17ROCPRIM_400000_NS6detail17trampoline_kernelINS0_14default_configENS1_25partition_config_selectorILNS1_17partition_subalgoE9EllbEEZZNS1_14partition_implILS5_9ELb0ES3_jPlS8_PNS0_10empty_typeENS0_5tupleIJS8_S9_EEENSB_IJS8_SA_EEENS0_18inequality_wrapperIZN2at6native12_GLOBAL__N_124unique_dim_cuda_templateIhEESt5tupleIJNSF_6TensorESK_SK_EERKSK_lbbbEUlllE0_EEPmJS9_EEE10hipError_tPvRmT3_T4_T5_T6_T7_T9_mT8_P12ihipStream_tbDpT10_ENKUlT_T0_E_clISt17integral_constantIbLb0EES19_IbLb1EEEEDaS15_S16_EUlS15_E_NS1_11comp_targetILNS1_3genE9ELNS1_11target_archE1100ELNS1_3gpuE3ELNS1_3repE0EEENS1_30default_config_static_selectorELNS0_4arch9wavefront6targetE1EEEvT1_: ; @_ZN7rocprim17ROCPRIM_400000_NS6detail17trampoline_kernelINS0_14default_configENS1_25partition_config_selectorILNS1_17partition_subalgoE9EllbEEZZNS1_14partition_implILS5_9ELb0ES3_jPlS8_PNS0_10empty_typeENS0_5tupleIJS8_S9_EEENSB_IJS8_SA_EEENS0_18inequality_wrapperIZN2at6native12_GLOBAL__N_124unique_dim_cuda_templateIhEESt5tupleIJNSF_6TensorESK_SK_EERKSK_lbbbEUlllE0_EEPmJS9_EEE10hipError_tPvRmT3_T4_T5_T6_T7_T9_mT8_P12ihipStream_tbDpT10_ENKUlT_T0_E_clISt17integral_constantIbLb0EES19_IbLb1EEEEDaS15_S16_EUlS15_E_NS1_11comp_targetILNS1_3genE9ELNS1_11target_archE1100ELNS1_3gpuE3ELNS1_3repE0EEENS1_30default_config_static_selectorELNS0_4arch9wavefront6targetE1EEEvT1_
; %bb.0:
	.section	.rodata,"a",@progbits
	.p2align	6, 0x0
	.amdhsa_kernel _ZN7rocprim17ROCPRIM_400000_NS6detail17trampoline_kernelINS0_14default_configENS1_25partition_config_selectorILNS1_17partition_subalgoE9EllbEEZZNS1_14partition_implILS5_9ELb0ES3_jPlS8_PNS0_10empty_typeENS0_5tupleIJS8_S9_EEENSB_IJS8_SA_EEENS0_18inequality_wrapperIZN2at6native12_GLOBAL__N_124unique_dim_cuda_templateIhEESt5tupleIJNSF_6TensorESK_SK_EERKSK_lbbbEUlllE0_EEPmJS9_EEE10hipError_tPvRmT3_T4_T5_T6_T7_T9_mT8_P12ihipStream_tbDpT10_ENKUlT_T0_E_clISt17integral_constantIbLb0EES19_IbLb1EEEEDaS15_S16_EUlS15_E_NS1_11comp_targetILNS1_3genE9ELNS1_11target_archE1100ELNS1_3gpuE3ELNS1_3repE0EEENS1_30default_config_static_selectorELNS0_4arch9wavefront6targetE1EEEvT1_
		.amdhsa_group_segment_fixed_size 0
		.amdhsa_private_segment_fixed_size 0
		.amdhsa_kernarg_size 136
		.amdhsa_user_sgpr_count 2
		.amdhsa_user_sgpr_dispatch_ptr 0
		.amdhsa_user_sgpr_queue_ptr 0
		.amdhsa_user_sgpr_kernarg_segment_ptr 1
		.amdhsa_user_sgpr_dispatch_id 0
		.amdhsa_user_sgpr_kernarg_preload_length 0
		.amdhsa_user_sgpr_kernarg_preload_offset 0
		.amdhsa_user_sgpr_private_segment_size 0
		.amdhsa_uses_dynamic_stack 0
		.amdhsa_enable_private_segment 0
		.amdhsa_system_sgpr_workgroup_id_x 1
		.amdhsa_system_sgpr_workgroup_id_y 0
		.amdhsa_system_sgpr_workgroup_id_z 0
		.amdhsa_system_sgpr_workgroup_info 0
		.amdhsa_system_vgpr_workitem_id 0
		.amdhsa_next_free_vgpr 1
		.amdhsa_next_free_sgpr 0
		.amdhsa_accum_offset 4
		.amdhsa_reserve_vcc 0
		.amdhsa_float_round_mode_32 0
		.amdhsa_float_round_mode_16_64 0
		.amdhsa_float_denorm_mode_32 3
		.amdhsa_float_denorm_mode_16_64 3
		.amdhsa_dx10_clamp 1
		.amdhsa_ieee_mode 1
		.amdhsa_fp16_overflow 0
		.amdhsa_tg_split 0
		.amdhsa_exception_fp_ieee_invalid_op 0
		.amdhsa_exception_fp_denorm_src 0
		.amdhsa_exception_fp_ieee_div_zero 0
		.amdhsa_exception_fp_ieee_overflow 0
		.amdhsa_exception_fp_ieee_underflow 0
		.amdhsa_exception_fp_ieee_inexact 0
		.amdhsa_exception_int_div_zero 0
	.end_amdhsa_kernel
	.section	.text._ZN7rocprim17ROCPRIM_400000_NS6detail17trampoline_kernelINS0_14default_configENS1_25partition_config_selectorILNS1_17partition_subalgoE9EllbEEZZNS1_14partition_implILS5_9ELb0ES3_jPlS8_PNS0_10empty_typeENS0_5tupleIJS8_S9_EEENSB_IJS8_SA_EEENS0_18inequality_wrapperIZN2at6native12_GLOBAL__N_124unique_dim_cuda_templateIhEESt5tupleIJNSF_6TensorESK_SK_EERKSK_lbbbEUlllE0_EEPmJS9_EEE10hipError_tPvRmT3_T4_T5_T6_T7_T9_mT8_P12ihipStream_tbDpT10_ENKUlT_T0_E_clISt17integral_constantIbLb0EES19_IbLb1EEEEDaS15_S16_EUlS15_E_NS1_11comp_targetILNS1_3genE9ELNS1_11target_archE1100ELNS1_3gpuE3ELNS1_3repE0EEENS1_30default_config_static_selectorELNS0_4arch9wavefront6targetE1EEEvT1_,"axG",@progbits,_ZN7rocprim17ROCPRIM_400000_NS6detail17trampoline_kernelINS0_14default_configENS1_25partition_config_selectorILNS1_17partition_subalgoE9EllbEEZZNS1_14partition_implILS5_9ELb0ES3_jPlS8_PNS0_10empty_typeENS0_5tupleIJS8_S9_EEENSB_IJS8_SA_EEENS0_18inequality_wrapperIZN2at6native12_GLOBAL__N_124unique_dim_cuda_templateIhEESt5tupleIJNSF_6TensorESK_SK_EERKSK_lbbbEUlllE0_EEPmJS9_EEE10hipError_tPvRmT3_T4_T5_T6_T7_T9_mT8_P12ihipStream_tbDpT10_ENKUlT_T0_E_clISt17integral_constantIbLb0EES19_IbLb1EEEEDaS15_S16_EUlS15_E_NS1_11comp_targetILNS1_3genE9ELNS1_11target_archE1100ELNS1_3gpuE3ELNS1_3repE0EEENS1_30default_config_static_selectorELNS0_4arch9wavefront6targetE1EEEvT1_,comdat
.Lfunc_end234:
	.size	_ZN7rocprim17ROCPRIM_400000_NS6detail17trampoline_kernelINS0_14default_configENS1_25partition_config_selectorILNS1_17partition_subalgoE9EllbEEZZNS1_14partition_implILS5_9ELb0ES3_jPlS8_PNS0_10empty_typeENS0_5tupleIJS8_S9_EEENSB_IJS8_SA_EEENS0_18inequality_wrapperIZN2at6native12_GLOBAL__N_124unique_dim_cuda_templateIhEESt5tupleIJNSF_6TensorESK_SK_EERKSK_lbbbEUlllE0_EEPmJS9_EEE10hipError_tPvRmT3_T4_T5_T6_T7_T9_mT8_P12ihipStream_tbDpT10_ENKUlT_T0_E_clISt17integral_constantIbLb0EES19_IbLb1EEEEDaS15_S16_EUlS15_E_NS1_11comp_targetILNS1_3genE9ELNS1_11target_archE1100ELNS1_3gpuE3ELNS1_3repE0EEENS1_30default_config_static_selectorELNS0_4arch9wavefront6targetE1EEEvT1_, .Lfunc_end234-_ZN7rocprim17ROCPRIM_400000_NS6detail17trampoline_kernelINS0_14default_configENS1_25partition_config_selectorILNS1_17partition_subalgoE9EllbEEZZNS1_14partition_implILS5_9ELb0ES3_jPlS8_PNS0_10empty_typeENS0_5tupleIJS8_S9_EEENSB_IJS8_SA_EEENS0_18inequality_wrapperIZN2at6native12_GLOBAL__N_124unique_dim_cuda_templateIhEESt5tupleIJNSF_6TensorESK_SK_EERKSK_lbbbEUlllE0_EEPmJS9_EEE10hipError_tPvRmT3_T4_T5_T6_T7_T9_mT8_P12ihipStream_tbDpT10_ENKUlT_T0_E_clISt17integral_constantIbLb0EES19_IbLb1EEEEDaS15_S16_EUlS15_E_NS1_11comp_targetILNS1_3genE9ELNS1_11target_archE1100ELNS1_3gpuE3ELNS1_3repE0EEENS1_30default_config_static_selectorELNS0_4arch9wavefront6targetE1EEEvT1_
                                        ; -- End function
	.set _ZN7rocprim17ROCPRIM_400000_NS6detail17trampoline_kernelINS0_14default_configENS1_25partition_config_selectorILNS1_17partition_subalgoE9EllbEEZZNS1_14partition_implILS5_9ELb0ES3_jPlS8_PNS0_10empty_typeENS0_5tupleIJS8_S9_EEENSB_IJS8_SA_EEENS0_18inequality_wrapperIZN2at6native12_GLOBAL__N_124unique_dim_cuda_templateIhEESt5tupleIJNSF_6TensorESK_SK_EERKSK_lbbbEUlllE0_EEPmJS9_EEE10hipError_tPvRmT3_T4_T5_T6_T7_T9_mT8_P12ihipStream_tbDpT10_ENKUlT_T0_E_clISt17integral_constantIbLb0EES19_IbLb1EEEEDaS15_S16_EUlS15_E_NS1_11comp_targetILNS1_3genE9ELNS1_11target_archE1100ELNS1_3gpuE3ELNS1_3repE0EEENS1_30default_config_static_selectorELNS0_4arch9wavefront6targetE1EEEvT1_.num_vgpr, 0
	.set _ZN7rocprim17ROCPRIM_400000_NS6detail17trampoline_kernelINS0_14default_configENS1_25partition_config_selectorILNS1_17partition_subalgoE9EllbEEZZNS1_14partition_implILS5_9ELb0ES3_jPlS8_PNS0_10empty_typeENS0_5tupleIJS8_S9_EEENSB_IJS8_SA_EEENS0_18inequality_wrapperIZN2at6native12_GLOBAL__N_124unique_dim_cuda_templateIhEESt5tupleIJNSF_6TensorESK_SK_EERKSK_lbbbEUlllE0_EEPmJS9_EEE10hipError_tPvRmT3_T4_T5_T6_T7_T9_mT8_P12ihipStream_tbDpT10_ENKUlT_T0_E_clISt17integral_constantIbLb0EES19_IbLb1EEEEDaS15_S16_EUlS15_E_NS1_11comp_targetILNS1_3genE9ELNS1_11target_archE1100ELNS1_3gpuE3ELNS1_3repE0EEENS1_30default_config_static_selectorELNS0_4arch9wavefront6targetE1EEEvT1_.num_agpr, 0
	.set _ZN7rocprim17ROCPRIM_400000_NS6detail17trampoline_kernelINS0_14default_configENS1_25partition_config_selectorILNS1_17partition_subalgoE9EllbEEZZNS1_14partition_implILS5_9ELb0ES3_jPlS8_PNS0_10empty_typeENS0_5tupleIJS8_S9_EEENSB_IJS8_SA_EEENS0_18inequality_wrapperIZN2at6native12_GLOBAL__N_124unique_dim_cuda_templateIhEESt5tupleIJNSF_6TensorESK_SK_EERKSK_lbbbEUlllE0_EEPmJS9_EEE10hipError_tPvRmT3_T4_T5_T6_T7_T9_mT8_P12ihipStream_tbDpT10_ENKUlT_T0_E_clISt17integral_constantIbLb0EES19_IbLb1EEEEDaS15_S16_EUlS15_E_NS1_11comp_targetILNS1_3genE9ELNS1_11target_archE1100ELNS1_3gpuE3ELNS1_3repE0EEENS1_30default_config_static_selectorELNS0_4arch9wavefront6targetE1EEEvT1_.numbered_sgpr, 0
	.set _ZN7rocprim17ROCPRIM_400000_NS6detail17trampoline_kernelINS0_14default_configENS1_25partition_config_selectorILNS1_17partition_subalgoE9EllbEEZZNS1_14partition_implILS5_9ELb0ES3_jPlS8_PNS0_10empty_typeENS0_5tupleIJS8_S9_EEENSB_IJS8_SA_EEENS0_18inequality_wrapperIZN2at6native12_GLOBAL__N_124unique_dim_cuda_templateIhEESt5tupleIJNSF_6TensorESK_SK_EERKSK_lbbbEUlllE0_EEPmJS9_EEE10hipError_tPvRmT3_T4_T5_T6_T7_T9_mT8_P12ihipStream_tbDpT10_ENKUlT_T0_E_clISt17integral_constantIbLb0EES19_IbLb1EEEEDaS15_S16_EUlS15_E_NS1_11comp_targetILNS1_3genE9ELNS1_11target_archE1100ELNS1_3gpuE3ELNS1_3repE0EEENS1_30default_config_static_selectorELNS0_4arch9wavefront6targetE1EEEvT1_.num_named_barrier, 0
	.set _ZN7rocprim17ROCPRIM_400000_NS6detail17trampoline_kernelINS0_14default_configENS1_25partition_config_selectorILNS1_17partition_subalgoE9EllbEEZZNS1_14partition_implILS5_9ELb0ES3_jPlS8_PNS0_10empty_typeENS0_5tupleIJS8_S9_EEENSB_IJS8_SA_EEENS0_18inequality_wrapperIZN2at6native12_GLOBAL__N_124unique_dim_cuda_templateIhEESt5tupleIJNSF_6TensorESK_SK_EERKSK_lbbbEUlllE0_EEPmJS9_EEE10hipError_tPvRmT3_T4_T5_T6_T7_T9_mT8_P12ihipStream_tbDpT10_ENKUlT_T0_E_clISt17integral_constantIbLb0EES19_IbLb1EEEEDaS15_S16_EUlS15_E_NS1_11comp_targetILNS1_3genE9ELNS1_11target_archE1100ELNS1_3gpuE3ELNS1_3repE0EEENS1_30default_config_static_selectorELNS0_4arch9wavefront6targetE1EEEvT1_.private_seg_size, 0
	.set _ZN7rocprim17ROCPRIM_400000_NS6detail17trampoline_kernelINS0_14default_configENS1_25partition_config_selectorILNS1_17partition_subalgoE9EllbEEZZNS1_14partition_implILS5_9ELb0ES3_jPlS8_PNS0_10empty_typeENS0_5tupleIJS8_S9_EEENSB_IJS8_SA_EEENS0_18inequality_wrapperIZN2at6native12_GLOBAL__N_124unique_dim_cuda_templateIhEESt5tupleIJNSF_6TensorESK_SK_EERKSK_lbbbEUlllE0_EEPmJS9_EEE10hipError_tPvRmT3_T4_T5_T6_T7_T9_mT8_P12ihipStream_tbDpT10_ENKUlT_T0_E_clISt17integral_constantIbLb0EES19_IbLb1EEEEDaS15_S16_EUlS15_E_NS1_11comp_targetILNS1_3genE9ELNS1_11target_archE1100ELNS1_3gpuE3ELNS1_3repE0EEENS1_30default_config_static_selectorELNS0_4arch9wavefront6targetE1EEEvT1_.uses_vcc, 0
	.set _ZN7rocprim17ROCPRIM_400000_NS6detail17trampoline_kernelINS0_14default_configENS1_25partition_config_selectorILNS1_17partition_subalgoE9EllbEEZZNS1_14partition_implILS5_9ELb0ES3_jPlS8_PNS0_10empty_typeENS0_5tupleIJS8_S9_EEENSB_IJS8_SA_EEENS0_18inequality_wrapperIZN2at6native12_GLOBAL__N_124unique_dim_cuda_templateIhEESt5tupleIJNSF_6TensorESK_SK_EERKSK_lbbbEUlllE0_EEPmJS9_EEE10hipError_tPvRmT3_T4_T5_T6_T7_T9_mT8_P12ihipStream_tbDpT10_ENKUlT_T0_E_clISt17integral_constantIbLb0EES19_IbLb1EEEEDaS15_S16_EUlS15_E_NS1_11comp_targetILNS1_3genE9ELNS1_11target_archE1100ELNS1_3gpuE3ELNS1_3repE0EEENS1_30default_config_static_selectorELNS0_4arch9wavefront6targetE1EEEvT1_.uses_flat_scratch, 0
	.set _ZN7rocprim17ROCPRIM_400000_NS6detail17trampoline_kernelINS0_14default_configENS1_25partition_config_selectorILNS1_17partition_subalgoE9EllbEEZZNS1_14partition_implILS5_9ELb0ES3_jPlS8_PNS0_10empty_typeENS0_5tupleIJS8_S9_EEENSB_IJS8_SA_EEENS0_18inequality_wrapperIZN2at6native12_GLOBAL__N_124unique_dim_cuda_templateIhEESt5tupleIJNSF_6TensorESK_SK_EERKSK_lbbbEUlllE0_EEPmJS9_EEE10hipError_tPvRmT3_T4_T5_T6_T7_T9_mT8_P12ihipStream_tbDpT10_ENKUlT_T0_E_clISt17integral_constantIbLb0EES19_IbLb1EEEEDaS15_S16_EUlS15_E_NS1_11comp_targetILNS1_3genE9ELNS1_11target_archE1100ELNS1_3gpuE3ELNS1_3repE0EEENS1_30default_config_static_selectorELNS0_4arch9wavefront6targetE1EEEvT1_.has_dyn_sized_stack, 0
	.set _ZN7rocprim17ROCPRIM_400000_NS6detail17trampoline_kernelINS0_14default_configENS1_25partition_config_selectorILNS1_17partition_subalgoE9EllbEEZZNS1_14partition_implILS5_9ELb0ES3_jPlS8_PNS0_10empty_typeENS0_5tupleIJS8_S9_EEENSB_IJS8_SA_EEENS0_18inequality_wrapperIZN2at6native12_GLOBAL__N_124unique_dim_cuda_templateIhEESt5tupleIJNSF_6TensorESK_SK_EERKSK_lbbbEUlllE0_EEPmJS9_EEE10hipError_tPvRmT3_T4_T5_T6_T7_T9_mT8_P12ihipStream_tbDpT10_ENKUlT_T0_E_clISt17integral_constantIbLb0EES19_IbLb1EEEEDaS15_S16_EUlS15_E_NS1_11comp_targetILNS1_3genE9ELNS1_11target_archE1100ELNS1_3gpuE3ELNS1_3repE0EEENS1_30default_config_static_selectorELNS0_4arch9wavefront6targetE1EEEvT1_.has_recursion, 0
	.set _ZN7rocprim17ROCPRIM_400000_NS6detail17trampoline_kernelINS0_14default_configENS1_25partition_config_selectorILNS1_17partition_subalgoE9EllbEEZZNS1_14partition_implILS5_9ELb0ES3_jPlS8_PNS0_10empty_typeENS0_5tupleIJS8_S9_EEENSB_IJS8_SA_EEENS0_18inequality_wrapperIZN2at6native12_GLOBAL__N_124unique_dim_cuda_templateIhEESt5tupleIJNSF_6TensorESK_SK_EERKSK_lbbbEUlllE0_EEPmJS9_EEE10hipError_tPvRmT3_T4_T5_T6_T7_T9_mT8_P12ihipStream_tbDpT10_ENKUlT_T0_E_clISt17integral_constantIbLb0EES19_IbLb1EEEEDaS15_S16_EUlS15_E_NS1_11comp_targetILNS1_3genE9ELNS1_11target_archE1100ELNS1_3gpuE3ELNS1_3repE0EEENS1_30default_config_static_selectorELNS0_4arch9wavefront6targetE1EEEvT1_.has_indirect_call, 0
	.section	.AMDGPU.csdata,"",@progbits
; Kernel info:
; codeLenInByte = 0
; TotalNumSgprs: 6
; NumVgprs: 0
; NumAgprs: 0
; TotalNumVgprs: 0
; ScratchSize: 0
; MemoryBound: 0
; FloatMode: 240
; IeeeMode: 1
; LDSByteSize: 0 bytes/workgroup (compile time only)
; SGPRBlocks: 0
; VGPRBlocks: 0
; NumSGPRsForWavesPerEU: 6
; NumVGPRsForWavesPerEU: 1
; AccumOffset: 4
; Occupancy: 8
; WaveLimiterHint : 0
; COMPUTE_PGM_RSRC2:SCRATCH_EN: 0
; COMPUTE_PGM_RSRC2:USER_SGPR: 2
; COMPUTE_PGM_RSRC2:TRAP_HANDLER: 0
; COMPUTE_PGM_RSRC2:TGID_X_EN: 1
; COMPUTE_PGM_RSRC2:TGID_Y_EN: 0
; COMPUTE_PGM_RSRC2:TGID_Z_EN: 0
; COMPUTE_PGM_RSRC2:TIDIG_COMP_CNT: 0
; COMPUTE_PGM_RSRC3_GFX90A:ACCUM_OFFSET: 0
; COMPUTE_PGM_RSRC3_GFX90A:TG_SPLIT: 0
	.section	.text._ZN7rocprim17ROCPRIM_400000_NS6detail17trampoline_kernelINS0_14default_configENS1_25partition_config_selectorILNS1_17partition_subalgoE9EllbEEZZNS1_14partition_implILS5_9ELb0ES3_jPlS8_PNS0_10empty_typeENS0_5tupleIJS8_S9_EEENSB_IJS8_SA_EEENS0_18inequality_wrapperIZN2at6native12_GLOBAL__N_124unique_dim_cuda_templateIhEESt5tupleIJNSF_6TensorESK_SK_EERKSK_lbbbEUlllE0_EEPmJS9_EEE10hipError_tPvRmT3_T4_T5_T6_T7_T9_mT8_P12ihipStream_tbDpT10_ENKUlT_T0_E_clISt17integral_constantIbLb0EES19_IbLb1EEEEDaS15_S16_EUlS15_E_NS1_11comp_targetILNS1_3genE8ELNS1_11target_archE1030ELNS1_3gpuE2ELNS1_3repE0EEENS1_30default_config_static_selectorELNS0_4arch9wavefront6targetE1EEEvT1_,"axG",@progbits,_ZN7rocprim17ROCPRIM_400000_NS6detail17trampoline_kernelINS0_14default_configENS1_25partition_config_selectorILNS1_17partition_subalgoE9EllbEEZZNS1_14partition_implILS5_9ELb0ES3_jPlS8_PNS0_10empty_typeENS0_5tupleIJS8_S9_EEENSB_IJS8_SA_EEENS0_18inequality_wrapperIZN2at6native12_GLOBAL__N_124unique_dim_cuda_templateIhEESt5tupleIJNSF_6TensorESK_SK_EERKSK_lbbbEUlllE0_EEPmJS9_EEE10hipError_tPvRmT3_T4_T5_T6_T7_T9_mT8_P12ihipStream_tbDpT10_ENKUlT_T0_E_clISt17integral_constantIbLb0EES19_IbLb1EEEEDaS15_S16_EUlS15_E_NS1_11comp_targetILNS1_3genE8ELNS1_11target_archE1030ELNS1_3gpuE2ELNS1_3repE0EEENS1_30default_config_static_selectorELNS0_4arch9wavefront6targetE1EEEvT1_,comdat
	.globl	_ZN7rocprim17ROCPRIM_400000_NS6detail17trampoline_kernelINS0_14default_configENS1_25partition_config_selectorILNS1_17partition_subalgoE9EllbEEZZNS1_14partition_implILS5_9ELb0ES3_jPlS8_PNS0_10empty_typeENS0_5tupleIJS8_S9_EEENSB_IJS8_SA_EEENS0_18inequality_wrapperIZN2at6native12_GLOBAL__N_124unique_dim_cuda_templateIhEESt5tupleIJNSF_6TensorESK_SK_EERKSK_lbbbEUlllE0_EEPmJS9_EEE10hipError_tPvRmT3_T4_T5_T6_T7_T9_mT8_P12ihipStream_tbDpT10_ENKUlT_T0_E_clISt17integral_constantIbLb0EES19_IbLb1EEEEDaS15_S16_EUlS15_E_NS1_11comp_targetILNS1_3genE8ELNS1_11target_archE1030ELNS1_3gpuE2ELNS1_3repE0EEENS1_30default_config_static_selectorELNS0_4arch9wavefront6targetE1EEEvT1_ ; -- Begin function _ZN7rocprim17ROCPRIM_400000_NS6detail17trampoline_kernelINS0_14default_configENS1_25partition_config_selectorILNS1_17partition_subalgoE9EllbEEZZNS1_14partition_implILS5_9ELb0ES3_jPlS8_PNS0_10empty_typeENS0_5tupleIJS8_S9_EEENSB_IJS8_SA_EEENS0_18inequality_wrapperIZN2at6native12_GLOBAL__N_124unique_dim_cuda_templateIhEESt5tupleIJNSF_6TensorESK_SK_EERKSK_lbbbEUlllE0_EEPmJS9_EEE10hipError_tPvRmT3_T4_T5_T6_T7_T9_mT8_P12ihipStream_tbDpT10_ENKUlT_T0_E_clISt17integral_constantIbLb0EES19_IbLb1EEEEDaS15_S16_EUlS15_E_NS1_11comp_targetILNS1_3genE8ELNS1_11target_archE1030ELNS1_3gpuE2ELNS1_3repE0EEENS1_30default_config_static_selectorELNS0_4arch9wavefront6targetE1EEEvT1_
	.p2align	8
	.type	_ZN7rocprim17ROCPRIM_400000_NS6detail17trampoline_kernelINS0_14default_configENS1_25partition_config_selectorILNS1_17partition_subalgoE9EllbEEZZNS1_14partition_implILS5_9ELb0ES3_jPlS8_PNS0_10empty_typeENS0_5tupleIJS8_S9_EEENSB_IJS8_SA_EEENS0_18inequality_wrapperIZN2at6native12_GLOBAL__N_124unique_dim_cuda_templateIhEESt5tupleIJNSF_6TensorESK_SK_EERKSK_lbbbEUlllE0_EEPmJS9_EEE10hipError_tPvRmT3_T4_T5_T6_T7_T9_mT8_P12ihipStream_tbDpT10_ENKUlT_T0_E_clISt17integral_constantIbLb0EES19_IbLb1EEEEDaS15_S16_EUlS15_E_NS1_11comp_targetILNS1_3genE8ELNS1_11target_archE1030ELNS1_3gpuE2ELNS1_3repE0EEENS1_30default_config_static_selectorELNS0_4arch9wavefront6targetE1EEEvT1_,@function
_ZN7rocprim17ROCPRIM_400000_NS6detail17trampoline_kernelINS0_14default_configENS1_25partition_config_selectorILNS1_17partition_subalgoE9EllbEEZZNS1_14partition_implILS5_9ELb0ES3_jPlS8_PNS0_10empty_typeENS0_5tupleIJS8_S9_EEENSB_IJS8_SA_EEENS0_18inequality_wrapperIZN2at6native12_GLOBAL__N_124unique_dim_cuda_templateIhEESt5tupleIJNSF_6TensorESK_SK_EERKSK_lbbbEUlllE0_EEPmJS9_EEE10hipError_tPvRmT3_T4_T5_T6_T7_T9_mT8_P12ihipStream_tbDpT10_ENKUlT_T0_E_clISt17integral_constantIbLb0EES19_IbLb1EEEEDaS15_S16_EUlS15_E_NS1_11comp_targetILNS1_3genE8ELNS1_11target_archE1030ELNS1_3gpuE2ELNS1_3repE0EEENS1_30default_config_static_selectorELNS0_4arch9wavefront6targetE1EEEvT1_: ; @_ZN7rocprim17ROCPRIM_400000_NS6detail17trampoline_kernelINS0_14default_configENS1_25partition_config_selectorILNS1_17partition_subalgoE9EllbEEZZNS1_14partition_implILS5_9ELb0ES3_jPlS8_PNS0_10empty_typeENS0_5tupleIJS8_S9_EEENSB_IJS8_SA_EEENS0_18inequality_wrapperIZN2at6native12_GLOBAL__N_124unique_dim_cuda_templateIhEESt5tupleIJNSF_6TensorESK_SK_EERKSK_lbbbEUlllE0_EEPmJS9_EEE10hipError_tPvRmT3_T4_T5_T6_T7_T9_mT8_P12ihipStream_tbDpT10_ENKUlT_T0_E_clISt17integral_constantIbLb0EES19_IbLb1EEEEDaS15_S16_EUlS15_E_NS1_11comp_targetILNS1_3genE8ELNS1_11target_archE1030ELNS1_3gpuE2ELNS1_3repE0EEENS1_30default_config_static_selectorELNS0_4arch9wavefront6targetE1EEEvT1_
; %bb.0:
	.section	.rodata,"a",@progbits
	.p2align	6, 0x0
	.amdhsa_kernel _ZN7rocprim17ROCPRIM_400000_NS6detail17trampoline_kernelINS0_14default_configENS1_25partition_config_selectorILNS1_17partition_subalgoE9EllbEEZZNS1_14partition_implILS5_9ELb0ES3_jPlS8_PNS0_10empty_typeENS0_5tupleIJS8_S9_EEENSB_IJS8_SA_EEENS0_18inequality_wrapperIZN2at6native12_GLOBAL__N_124unique_dim_cuda_templateIhEESt5tupleIJNSF_6TensorESK_SK_EERKSK_lbbbEUlllE0_EEPmJS9_EEE10hipError_tPvRmT3_T4_T5_T6_T7_T9_mT8_P12ihipStream_tbDpT10_ENKUlT_T0_E_clISt17integral_constantIbLb0EES19_IbLb1EEEEDaS15_S16_EUlS15_E_NS1_11comp_targetILNS1_3genE8ELNS1_11target_archE1030ELNS1_3gpuE2ELNS1_3repE0EEENS1_30default_config_static_selectorELNS0_4arch9wavefront6targetE1EEEvT1_
		.amdhsa_group_segment_fixed_size 0
		.amdhsa_private_segment_fixed_size 0
		.amdhsa_kernarg_size 136
		.amdhsa_user_sgpr_count 2
		.amdhsa_user_sgpr_dispatch_ptr 0
		.amdhsa_user_sgpr_queue_ptr 0
		.amdhsa_user_sgpr_kernarg_segment_ptr 1
		.amdhsa_user_sgpr_dispatch_id 0
		.amdhsa_user_sgpr_kernarg_preload_length 0
		.amdhsa_user_sgpr_kernarg_preload_offset 0
		.amdhsa_user_sgpr_private_segment_size 0
		.amdhsa_uses_dynamic_stack 0
		.amdhsa_enable_private_segment 0
		.amdhsa_system_sgpr_workgroup_id_x 1
		.amdhsa_system_sgpr_workgroup_id_y 0
		.amdhsa_system_sgpr_workgroup_id_z 0
		.amdhsa_system_sgpr_workgroup_info 0
		.amdhsa_system_vgpr_workitem_id 0
		.amdhsa_next_free_vgpr 1
		.amdhsa_next_free_sgpr 0
		.amdhsa_accum_offset 4
		.amdhsa_reserve_vcc 0
		.amdhsa_float_round_mode_32 0
		.amdhsa_float_round_mode_16_64 0
		.amdhsa_float_denorm_mode_32 3
		.amdhsa_float_denorm_mode_16_64 3
		.amdhsa_dx10_clamp 1
		.amdhsa_ieee_mode 1
		.amdhsa_fp16_overflow 0
		.amdhsa_tg_split 0
		.amdhsa_exception_fp_ieee_invalid_op 0
		.amdhsa_exception_fp_denorm_src 0
		.amdhsa_exception_fp_ieee_div_zero 0
		.amdhsa_exception_fp_ieee_overflow 0
		.amdhsa_exception_fp_ieee_underflow 0
		.amdhsa_exception_fp_ieee_inexact 0
		.amdhsa_exception_int_div_zero 0
	.end_amdhsa_kernel
	.section	.text._ZN7rocprim17ROCPRIM_400000_NS6detail17trampoline_kernelINS0_14default_configENS1_25partition_config_selectorILNS1_17partition_subalgoE9EllbEEZZNS1_14partition_implILS5_9ELb0ES3_jPlS8_PNS0_10empty_typeENS0_5tupleIJS8_S9_EEENSB_IJS8_SA_EEENS0_18inequality_wrapperIZN2at6native12_GLOBAL__N_124unique_dim_cuda_templateIhEESt5tupleIJNSF_6TensorESK_SK_EERKSK_lbbbEUlllE0_EEPmJS9_EEE10hipError_tPvRmT3_T4_T5_T6_T7_T9_mT8_P12ihipStream_tbDpT10_ENKUlT_T0_E_clISt17integral_constantIbLb0EES19_IbLb1EEEEDaS15_S16_EUlS15_E_NS1_11comp_targetILNS1_3genE8ELNS1_11target_archE1030ELNS1_3gpuE2ELNS1_3repE0EEENS1_30default_config_static_selectorELNS0_4arch9wavefront6targetE1EEEvT1_,"axG",@progbits,_ZN7rocprim17ROCPRIM_400000_NS6detail17trampoline_kernelINS0_14default_configENS1_25partition_config_selectorILNS1_17partition_subalgoE9EllbEEZZNS1_14partition_implILS5_9ELb0ES3_jPlS8_PNS0_10empty_typeENS0_5tupleIJS8_S9_EEENSB_IJS8_SA_EEENS0_18inequality_wrapperIZN2at6native12_GLOBAL__N_124unique_dim_cuda_templateIhEESt5tupleIJNSF_6TensorESK_SK_EERKSK_lbbbEUlllE0_EEPmJS9_EEE10hipError_tPvRmT3_T4_T5_T6_T7_T9_mT8_P12ihipStream_tbDpT10_ENKUlT_T0_E_clISt17integral_constantIbLb0EES19_IbLb1EEEEDaS15_S16_EUlS15_E_NS1_11comp_targetILNS1_3genE8ELNS1_11target_archE1030ELNS1_3gpuE2ELNS1_3repE0EEENS1_30default_config_static_selectorELNS0_4arch9wavefront6targetE1EEEvT1_,comdat
.Lfunc_end235:
	.size	_ZN7rocprim17ROCPRIM_400000_NS6detail17trampoline_kernelINS0_14default_configENS1_25partition_config_selectorILNS1_17partition_subalgoE9EllbEEZZNS1_14partition_implILS5_9ELb0ES3_jPlS8_PNS0_10empty_typeENS0_5tupleIJS8_S9_EEENSB_IJS8_SA_EEENS0_18inequality_wrapperIZN2at6native12_GLOBAL__N_124unique_dim_cuda_templateIhEESt5tupleIJNSF_6TensorESK_SK_EERKSK_lbbbEUlllE0_EEPmJS9_EEE10hipError_tPvRmT3_T4_T5_T6_T7_T9_mT8_P12ihipStream_tbDpT10_ENKUlT_T0_E_clISt17integral_constantIbLb0EES19_IbLb1EEEEDaS15_S16_EUlS15_E_NS1_11comp_targetILNS1_3genE8ELNS1_11target_archE1030ELNS1_3gpuE2ELNS1_3repE0EEENS1_30default_config_static_selectorELNS0_4arch9wavefront6targetE1EEEvT1_, .Lfunc_end235-_ZN7rocprim17ROCPRIM_400000_NS6detail17trampoline_kernelINS0_14default_configENS1_25partition_config_selectorILNS1_17partition_subalgoE9EllbEEZZNS1_14partition_implILS5_9ELb0ES3_jPlS8_PNS0_10empty_typeENS0_5tupleIJS8_S9_EEENSB_IJS8_SA_EEENS0_18inequality_wrapperIZN2at6native12_GLOBAL__N_124unique_dim_cuda_templateIhEESt5tupleIJNSF_6TensorESK_SK_EERKSK_lbbbEUlllE0_EEPmJS9_EEE10hipError_tPvRmT3_T4_T5_T6_T7_T9_mT8_P12ihipStream_tbDpT10_ENKUlT_T0_E_clISt17integral_constantIbLb0EES19_IbLb1EEEEDaS15_S16_EUlS15_E_NS1_11comp_targetILNS1_3genE8ELNS1_11target_archE1030ELNS1_3gpuE2ELNS1_3repE0EEENS1_30default_config_static_selectorELNS0_4arch9wavefront6targetE1EEEvT1_
                                        ; -- End function
	.set _ZN7rocprim17ROCPRIM_400000_NS6detail17trampoline_kernelINS0_14default_configENS1_25partition_config_selectorILNS1_17partition_subalgoE9EllbEEZZNS1_14partition_implILS5_9ELb0ES3_jPlS8_PNS0_10empty_typeENS0_5tupleIJS8_S9_EEENSB_IJS8_SA_EEENS0_18inequality_wrapperIZN2at6native12_GLOBAL__N_124unique_dim_cuda_templateIhEESt5tupleIJNSF_6TensorESK_SK_EERKSK_lbbbEUlllE0_EEPmJS9_EEE10hipError_tPvRmT3_T4_T5_T6_T7_T9_mT8_P12ihipStream_tbDpT10_ENKUlT_T0_E_clISt17integral_constantIbLb0EES19_IbLb1EEEEDaS15_S16_EUlS15_E_NS1_11comp_targetILNS1_3genE8ELNS1_11target_archE1030ELNS1_3gpuE2ELNS1_3repE0EEENS1_30default_config_static_selectorELNS0_4arch9wavefront6targetE1EEEvT1_.num_vgpr, 0
	.set _ZN7rocprim17ROCPRIM_400000_NS6detail17trampoline_kernelINS0_14default_configENS1_25partition_config_selectorILNS1_17partition_subalgoE9EllbEEZZNS1_14partition_implILS5_9ELb0ES3_jPlS8_PNS0_10empty_typeENS0_5tupleIJS8_S9_EEENSB_IJS8_SA_EEENS0_18inequality_wrapperIZN2at6native12_GLOBAL__N_124unique_dim_cuda_templateIhEESt5tupleIJNSF_6TensorESK_SK_EERKSK_lbbbEUlllE0_EEPmJS9_EEE10hipError_tPvRmT3_T4_T5_T6_T7_T9_mT8_P12ihipStream_tbDpT10_ENKUlT_T0_E_clISt17integral_constantIbLb0EES19_IbLb1EEEEDaS15_S16_EUlS15_E_NS1_11comp_targetILNS1_3genE8ELNS1_11target_archE1030ELNS1_3gpuE2ELNS1_3repE0EEENS1_30default_config_static_selectorELNS0_4arch9wavefront6targetE1EEEvT1_.num_agpr, 0
	.set _ZN7rocprim17ROCPRIM_400000_NS6detail17trampoline_kernelINS0_14default_configENS1_25partition_config_selectorILNS1_17partition_subalgoE9EllbEEZZNS1_14partition_implILS5_9ELb0ES3_jPlS8_PNS0_10empty_typeENS0_5tupleIJS8_S9_EEENSB_IJS8_SA_EEENS0_18inequality_wrapperIZN2at6native12_GLOBAL__N_124unique_dim_cuda_templateIhEESt5tupleIJNSF_6TensorESK_SK_EERKSK_lbbbEUlllE0_EEPmJS9_EEE10hipError_tPvRmT3_T4_T5_T6_T7_T9_mT8_P12ihipStream_tbDpT10_ENKUlT_T0_E_clISt17integral_constantIbLb0EES19_IbLb1EEEEDaS15_S16_EUlS15_E_NS1_11comp_targetILNS1_3genE8ELNS1_11target_archE1030ELNS1_3gpuE2ELNS1_3repE0EEENS1_30default_config_static_selectorELNS0_4arch9wavefront6targetE1EEEvT1_.numbered_sgpr, 0
	.set _ZN7rocprim17ROCPRIM_400000_NS6detail17trampoline_kernelINS0_14default_configENS1_25partition_config_selectorILNS1_17partition_subalgoE9EllbEEZZNS1_14partition_implILS5_9ELb0ES3_jPlS8_PNS0_10empty_typeENS0_5tupleIJS8_S9_EEENSB_IJS8_SA_EEENS0_18inequality_wrapperIZN2at6native12_GLOBAL__N_124unique_dim_cuda_templateIhEESt5tupleIJNSF_6TensorESK_SK_EERKSK_lbbbEUlllE0_EEPmJS9_EEE10hipError_tPvRmT3_T4_T5_T6_T7_T9_mT8_P12ihipStream_tbDpT10_ENKUlT_T0_E_clISt17integral_constantIbLb0EES19_IbLb1EEEEDaS15_S16_EUlS15_E_NS1_11comp_targetILNS1_3genE8ELNS1_11target_archE1030ELNS1_3gpuE2ELNS1_3repE0EEENS1_30default_config_static_selectorELNS0_4arch9wavefront6targetE1EEEvT1_.num_named_barrier, 0
	.set _ZN7rocprim17ROCPRIM_400000_NS6detail17trampoline_kernelINS0_14default_configENS1_25partition_config_selectorILNS1_17partition_subalgoE9EllbEEZZNS1_14partition_implILS5_9ELb0ES3_jPlS8_PNS0_10empty_typeENS0_5tupleIJS8_S9_EEENSB_IJS8_SA_EEENS0_18inequality_wrapperIZN2at6native12_GLOBAL__N_124unique_dim_cuda_templateIhEESt5tupleIJNSF_6TensorESK_SK_EERKSK_lbbbEUlllE0_EEPmJS9_EEE10hipError_tPvRmT3_T4_T5_T6_T7_T9_mT8_P12ihipStream_tbDpT10_ENKUlT_T0_E_clISt17integral_constantIbLb0EES19_IbLb1EEEEDaS15_S16_EUlS15_E_NS1_11comp_targetILNS1_3genE8ELNS1_11target_archE1030ELNS1_3gpuE2ELNS1_3repE0EEENS1_30default_config_static_selectorELNS0_4arch9wavefront6targetE1EEEvT1_.private_seg_size, 0
	.set _ZN7rocprim17ROCPRIM_400000_NS6detail17trampoline_kernelINS0_14default_configENS1_25partition_config_selectorILNS1_17partition_subalgoE9EllbEEZZNS1_14partition_implILS5_9ELb0ES3_jPlS8_PNS0_10empty_typeENS0_5tupleIJS8_S9_EEENSB_IJS8_SA_EEENS0_18inequality_wrapperIZN2at6native12_GLOBAL__N_124unique_dim_cuda_templateIhEESt5tupleIJNSF_6TensorESK_SK_EERKSK_lbbbEUlllE0_EEPmJS9_EEE10hipError_tPvRmT3_T4_T5_T6_T7_T9_mT8_P12ihipStream_tbDpT10_ENKUlT_T0_E_clISt17integral_constantIbLb0EES19_IbLb1EEEEDaS15_S16_EUlS15_E_NS1_11comp_targetILNS1_3genE8ELNS1_11target_archE1030ELNS1_3gpuE2ELNS1_3repE0EEENS1_30default_config_static_selectorELNS0_4arch9wavefront6targetE1EEEvT1_.uses_vcc, 0
	.set _ZN7rocprim17ROCPRIM_400000_NS6detail17trampoline_kernelINS0_14default_configENS1_25partition_config_selectorILNS1_17partition_subalgoE9EllbEEZZNS1_14partition_implILS5_9ELb0ES3_jPlS8_PNS0_10empty_typeENS0_5tupleIJS8_S9_EEENSB_IJS8_SA_EEENS0_18inequality_wrapperIZN2at6native12_GLOBAL__N_124unique_dim_cuda_templateIhEESt5tupleIJNSF_6TensorESK_SK_EERKSK_lbbbEUlllE0_EEPmJS9_EEE10hipError_tPvRmT3_T4_T5_T6_T7_T9_mT8_P12ihipStream_tbDpT10_ENKUlT_T0_E_clISt17integral_constantIbLb0EES19_IbLb1EEEEDaS15_S16_EUlS15_E_NS1_11comp_targetILNS1_3genE8ELNS1_11target_archE1030ELNS1_3gpuE2ELNS1_3repE0EEENS1_30default_config_static_selectorELNS0_4arch9wavefront6targetE1EEEvT1_.uses_flat_scratch, 0
	.set _ZN7rocprim17ROCPRIM_400000_NS6detail17trampoline_kernelINS0_14default_configENS1_25partition_config_selectorILNS1_17partition_subalgoE9EllbEEZZNS1_14partition_implILS5_9ELb0ES3_jPlS8_PNS0_10empty_typeENS0_5tupleIJS8_S9_EEENSB_IJS8_SA_EEENS0_18inequality_wrapperIZN2at6native12_GLOBAL__N_124unique_dim_cuda_templateIhEESt5tupleIJNSF_6TensorESK_SK_EERKSK_lbbbEUlllE0_EEPmJS9_EEE10hipError_tPvRmT3_T4_T5_T6_T7_T9_mT8_P12ihipStream_tbDpT10_ENKUlT_T0_E_clISt17integral_constantIbLb0EES19_IbLb1EEEEDaS15_S16_EUlS15_E_NS1_11comp_targetILNS1_3genE8ELNS1_11target_archE1030ELNS1_3gpuE2ELNS1_3repE0EEENS1_30default_config_static_selectorELNS0_4arch9wavefront6targetE1EEEvT1_.has_dyn_sized_stack, 0
	.set _ZN7rocprim17ROCPRIM_400000_NS6detail17trampoline_kernelINS0_14default_configENS1_25partition_config_selectorILNS1_17partition_subalgoE9EllbEEZZNS1_14partition_implILS5_9ELb0ES3_jPlS8_PNS0_10empty_typeENS0_5tupleIJS8_S9_EEENSB_IJS8_SA_EEENS0_18inequality_wrapperIZN2at6native12_GLOBAL__N_124unique_dim_cuda_templateIhEESt5tupleIJNSF_6TensorESK_SK_EERKSK_lbbbEUlllE0_EEPmJS9_EEE10hipError_tPvRmT3_T4_T5_T6_T7_T9_mT8_P12ihipStream_tbDpT10_ENKUlT_T0_E_clISt17integral_constantIbLb0EES19_IbLb1EEEEDaS15_S16_EUlS15_E_NS1_11comp_targetILNS1_3genE8ELNS1_11target_archE1030ELNS1_3gpuE2ELNS1_3repE0EEENS1_30default_config_static_selectorELNS0_4arch9wavefront6targetE1EEEvT1_.has_recursion, 0
	.set _ZN7rocprim17ROCPRIM_400000_NS6detail17trampoline_kernelINS0_14default_configENS1_25partition_config_selectorILNS1_17partition_subalgoE9EllbEEZZNS1_14partition_implILS5_9ELb0ES3_jPlS8_PNS0_10empty_typeENS0_5tupleIJS8_S9_EEENSB_IJS8_SA_EEENS0_18inequality_wrapperIZN2at6native12_GLOBAL__N_124unique_dim_cuda_templateIhEESt5tupleIJNSF_6TensorESK_SK_EERKSK_lbbbEUlllE0_EEPmJS9_EEE10hipError_tPvRmT3_T4_T5_T6_T7_T9_mT8_P12ihipStream_tbDpT10_ENKUlT_T0_E_clISt17integral_constantIbLb0EES19_IbLb1EEEEDaS15_S16_EUlS15_E_NS1_11comp_targetILNS1_3genE8ELNS1_11target_archE1030ELNS1_3gpuE2ELNS1_3repE0EEENS1_30default_config_static_selectorELNS0_4arch9wavefront6targetE1EEEvT1_.has_indirect_call, 0
	.section	.AMDGPU.csdata,"",@progbits
; Kernel info:
; codeLenInByte = 0
; TotalNumSgprs: 6
; NumVgprs: 0
; NumAgprs: 0
; TotalNumVgprs: 0
; ScratchSize: 0
; MemoryBound: 0
; FloatMode: 240
; IeeeMode: 1
; LDSByteSize: 0 bytes/workgroup (compile time only)
; SGPRBlocks: 0
; VGPRBlocks: 0
; NumSGPRsForWavesPerEU: 6
; NumVGPRsForWavesPerEU: 1
; AccumOffset: 4
; Occupancy: 8
; WaveLimiterHint : 0
; COMPUTE_PGM_RSRC2:SCRATCH_EN: 0
; COMPUTE_PGM_RSRC2:USER_SGPR: 2
; COMPUTE_PGM_RSRC2:TRAP_HANDLER: 0
; COMPUTE_PGM_RSRC2:TGID_X_EN: 1
; COMPUTE_PGM_RSRC2:TGID_Y_EN: 0
; COMPUTE_PGM_RSRC2:TGID_Z_EN: 0
; COMPUTE_PGM_RSRC2:TIDIG_COMP_CNT: 0
; COMPUTE_PGM_RSRC3_GFX90A:ACCUM_OFFSET: 0
; COMPUTE_PGM_RSRC3_GFX90A:TG_SPLIT: 0
	.section	.text._ZN7rocprim17ROCPRIM_400000_NS6detail17trampoline_kernelINS0_14default_configENS1_35adjacent_difference_config_selectorILb0ElEEZNS1_24adjacent_difference_implIS3_Lb0ELb0EPlS7_N6thrust23THRUST_200600_302600_NS5minusIlEEEE10hipError_tPvRmT2_T3_mT4_P12ihipStream_tbEUlT_E_NS1_11comp_targetILNS1_3genE0ELNS1_11target_archE4294967295ELNS1_3gpuE0ELNS1_3repE0EEENS1_30default_config_static_selectorELNS0_4arch9wavefront6targetE1EEEvT1_,"axG",@progbits,_ZN7rocprim17ROCPRIM_400000_NS6detail17trampoline_kernelINS0_14default_configENS1_35adjacent_difference_config_selectorILb0ElEEZNS1_24adjacent_difference_implIS3_Lb0ELb0EPlS7_N6thrust23THRUST_200600_302600_NS5minusIlEEEE10hipError_tPvRmT2_T3_mT4_P12ihipStream_tbEUlT_E_NS1_11comp_targetILNS1_3genE0ELNS1_11target_archE4294967295ELNS1_3gpuE0ELNS1_3repE0EEENS1_30default_config_static_selectorELNS0_4arch9wavefront6targetE1EEEvT1_,comdat
	.protected	_ZN7rocprim17ROCPRIM_400000_NS6detail17trampoline_kernelINS0_14default_configENS1_35adjacent_difference_config_selectorILb0ElEEZNS1_24adjacent_difference_implIS3_Lb0ELb0EPlS7_N6thrust23THRUST_200600_302600_NS5minusIlEEEE10hipError_tPvRmT2_T3_mT4_P12ihipStream_tbEUlT_E_NS1_11comp_targetILNS1_3genE0ELNS1_11target_archE4294967295ELNS1_3gpuE0ELNS1_3repE0EEENS1_30default_config_static_selectorELNS0_4arch9wavefront6targetE1EEEvT1_ ; -- Begin function _ZN7rocprim17ROCPRIM_400000_NS6detail17trampoline_kernelINS0_14default_configENS1_35adjacent_difference_config_selectorILb0ElEEZNS1_24adjacent_difference_implIS3_Lb0ELb0EPlS7_N6thrust23THRUST_200600_302600_NS5minusIlEEEE10hipError_tPvRmT2_T3_mT4_P12ihipStream_tbEUlT_E_NS1_11comp_targetILNS1_3genE0ELNS1_11target_archE4294967295ELNS1_3gpuE0ELNS1_3repE0EEENS1_30default_config_static_selectorELNS0_4arch9wavefront6targetE1EEEvT1_
	.globl	_ZN7rocprim17ROCPRIM_400000_NS6detail17trampoline_kernelINS0_14default_configENS1_35adjacent_difference_config_selectorILb0ElEEZNS1_24adjacent_difference_implIS3_Lb0ELb0EPlS7_N6thrust23THRUST_200600_302600_NS5minusIlEEEE10hipError_tPvRmT2_T3_mT4_P12ihipStream_tbEUlT_E_NS1_11comp_targetILNS1_3genE0ELNS1_11target_archE4294967295ELNS1_3gpuE0ELNS1_3repE0EEENS1_30default_config_static_selectorELNS0_4arch9wavefront6targetE1EEEvT1_
	.p2align	8
	.type	_ZN7rocprim17ROCPRIM_400000_NS6detail17trampoline_kernelINS0_14default_configENS1_35adjacent_difference_config_selectorILb0ElEEZNS1_24adjacent_difference_implIS3_Lb0ELb0EPlS7_N6thrust23THRUST_200600_302600_NS5minusIlEEEE10hipError_tPvRmT2_T3_mT4_P12ihipStream_tbEUlT_E_NS1_11comp_targetILNS1_3genE0ELNS1_11target_archE4294967295ELNS1_3gpuE0ELNS1_3repE0EEENS1_30default_config_static_selectorELNS0_4arch9wavefront6targetE1EEEvT1_,@function
_ZN7rocprim17ROCPRIM_400000_NS6detail17trampoline_kernelINS0_14default_configENS1_35adjacent_difference_config_selectorILb0ElEEZNS1_24adjacent_difference_implIS3_Lb0ELb0EPlS7_N6thrust23THRUST_200600_302600_NS5minusIlEEEE10hipError_tPvRmT2_T3_mT4_P12ihipStream_tbEUlT_E_NS1_11comp_targetILNS1_3genE0ELNS1_11target_archE4294967295ELNS1_3gpuE0ELNS1_3repE0EEENS1_30default_config_static_selectorELNS0_4arch9wavefront6targetE1EEEvT1_: ; @_ZN7rocprim17ROCPRIM_400000_NS6detail17trampoline_kernelINS0_14default_configENS1_35adjacent_difference_config_selectorILb0ElEEZNS1_24adjacent_difference_implIS3_Lb0ELb0EPlS7_N6thrust23THRUST_200600_302600_NS5minusIlEEEE10hipError_tPvRmT2_T3_mT4_P12ihipStream_tbEUlT_E_NS1_11comp_targetILNS1_3genE0ELNS1_11target_archE4294967295ELNS1_3gpuE0ELNS1_3repE0EEENS1_30default_config_static_selectorELNS0_4arch9wavefront6targetE1EEEvT1_
; %bb.0:
	s_load_dwordx8 s[4:11], s[0:1], 0x0
	s_load_dwordx2 s[12:13], s[0:1], 0x30
	s_mov_b32 s15, 0
	s_mov_b64 s[16:17], -1
	s_waitcnt lgkmcnt(0)
	s_lshl_b64 s[6:7], s[6:7], 3
	s_add_u32 s18, s4, s6
	s_addc_u32 s19, s5, s7
	s_lshl_b32 s4, s2, 7
	s_lshr_b64 s[0:1], s[10:11], 7
	s_and_b32 s14, s10, 0x7f
	s_cmp_lg_u64 s[14:15], 0
	s_cselect_b64 s[14:15], -1, 0
	v_cndmask_b32_e64 v1, 0, 1, s[14:15]
	s_nop 0
	v_readfirstlane_b32 s3, v1
	s_add_u32 s14, s0, s3
	s_addc_u32 s15, s1, 0
	s_add_u32 s2, s12, s2
	s_addc_u32 s3, s13, 0
	s_add_u32 s12, s14, -1
	s_addc_u32 s13, s15, -1
	v_mov_b64_e32 v[2:3], s[12:13]
	v_cmp_ge_u64_e64 s[0:1], s[2:3], v[2:3]
	s_and_b64 vcc, exec, s[0:1]
                                        ; implicit-def: $vgpr2
	s_cbranch_vccz .LBB236_4
; %bb.1:
	s_lshl_b32 s5, s12, 7
	s_sub_i32 s5, s10, s5
	v_cmp_gt_u32_e32 vcc, s5, v0
                                        ; implicit-def: $vgpr4_vgpr5
	s_and_saveexec_b64 s[16:17], vcc
	s_cbranch_execz .LBB236_3
; %bb.2:
	s_mov_b32 s5, 0
	s_lshl_b64 s[20:21], s[4:5], 3
	s_add_u32 s20, s18, s20
	s_addc_u32 s21, s19, s21
	v_lshlrev_b32_e32 v1, 3, v0
	global_load_dwordx2 v[4:5], v1, s[20:21]
.LBB236_3:
	s_or_b64 exec, exec, s[16:17]
	v_lshlrev_b32_e32 v2, 3, v0
	s_mov_b64 s[16:17], 0
	s_waitcnt vmcnt(0)
	ds_write_b64 v2, v[4:5]
	s_waitcnt lgkmcnt(0)
	s_barrier
.LBB236_4:
	s_and_b64 vcc, exec, s[16:17]
	v_lshlrev_b32_e32 v1, 3, v0
	s_cbranch_vccz .LBB236_6
; %bb.5:
	s_mov_b32 s5, 0
	s_lshl_b64 s[16:17], s[4:5], 3
	s_add_u32 s16, s18, s16
	s_addc_u32 s17, s19, s17
	global_load_dwordx2 v[2:3], v1, s[16:17]
	s_waitcnt vmcnt(0)
	ds_write_b64 v1, v[2:3]
	v_mov_b32_e32 v2, v1
	s_waitcnt lgkmcnt(0)
	s_barrier
.LBB236_6:
	ds_read_b64 v[2:3], v2
	s_cmp_eq_u64 s[2:3], 0
	s_waitcnt lgkmcnt(0)
	s_barrier
	s_cbranch_scc1 .LBB236_11
; %bb.7:
	s_mov_b32 s5, 0
	s_lshl_b64 s[16:17], s[4:5], 3
	s_add_u32 s5, s18, s16
	s_addc_u32 s11, s19, s17
	s_add_u32 s16, s5, -8
	s_addc_u32 s17, s11, -1
	s_load_dwordx2 s[16:17], s[16:17], 0x0
	s_cmp_eq_u64 s[2:3], s[12:13]
	s_cbranch_scc1 .LBB236_12
; %bb.8:
	v_cmp_ne_u32_e32 vcc, 0, v0
	s_waitcnt lgkmcnt(0)
	v_mov_b64_e32 v[4:5], s[16:17]
	ds_write_b64 v1, v[2:3]
	s_waitcnt lgkmcnt(0)
	s_barrier
	s_and_saveexec_b64 s[18:19], vcc
; %bb.9:
	v_add_u32_e32 v4, -8, v1
	ds_read_b64 v[4:5], v4
; %bb.10:
	s_or_b64 exec, exec, s[18:19]
	s_cbranch_execz .LBB236_13
	s_branch .LBB236_16
.LBB236_11:
	s_mov_b64 s[16:17], 0
                                        ; implicit-def: $vgpr4_vgpr5
	s_branch .LBB236_17
.LBB236_12:
                                        ; implicit-def: $vgpr4_vgpr5
.LBB236_13:
	v_cmp_ne_u32_e32 vcc, 0, v0
	s_waitcnt lgkmcnt(0)
	v_mov_b64_e32 v[4:5], s[16:17]
	ds_write_b64 v1, v[2:3]
	s_waitcnt lgkmcnt(0)
	s_barrier
	s_and_saveexec_b64 s[16:17], vcc
; %bb.14:
	v_add_u32_e32 v4, -8, v1
	ds_read_b64 v[4:5], v4
; %bb.15:
	s_or_b64 exec, exec, s[16:17]
	s_lshl_b32 s2, s2, 7
	s_sub_i32 s2, s10, s2
	v_cmp_gt_u32_e32 vcc, s2, v0
	s_waitcnt lgkmcnt(0)
	s_nop 0
	v_cndmask_b32_e32 v5, 0, v5, vcc
	v_cndmask_b32_e32 v4, 0, v4, vcc
.LBB236_16:
	s_waitcnt lgkmcnt(0)
	s_mov_b64 s[16:17], -1
	s_cbranch_execnz .LBB236_25
.LBB236_17:
	s_cmp_lg_u64 s[14:15], 1
	v_cmp_ne_u32_e32 vcc, 0, v0
	s_cbranch_scc0 .LBB236_21
; %bb.18:
	ds_write_b64 v1, v[2:3]
	s_waitcnt lgkmcnt(0)
	s_barrier
                                        ; implicit-def: $vgpr4_vgpr5
	s_and_saveexec_b64 s[2:3], vcc
; %bb.19:
	v_add_u32_e32 v4, -8, v1
	ds_read_b64 v[4:5], v4
	s_or_b64 s[16:17], s[16:17], exec
; %bb.20:
	s_or_b64 exec, exec, s[2:3]
	s_branch .LBB236_25
.LBB236_21:
                                        ; implicit-def: $vgpr4_vgpr5
	s_cbranch_execz .LBB236_25
; %bb.22:
	v_cmp_ne_u32_e32 vcc, 0, v0
	v_cmp_gt_u32_e64 s[2:3], s10, v0
	s_and_b64 s[14:15], vcc, s[2:3]
	ds_write_b64 v1, v[2:3]
	s_waitcnt lgkmcnt(0)
	s_barrier
                                        ; implicit-def: $vgpr4_vgpr5
	s_and_saveexec_b64 s[2:3], s[14:15]
; %bb.23:
	v_add_u32_e32 v4, -8, v1
	ds_read_b64 v[4:5], v4
	s_or_b64 s[16:17], s[16:17], exec
; %bb.24:
	s_or_b64 exec, exec, s[2:3]
.LBB236_25:
	s_and_saveexec_b64 s[2:3], s[16:17]
	s_cbranch_execz .LBB236_27
; %bb.26:
	s_waitcnt lgkmcnt(0)
	v_sub_co_u32_e32 v2, vcc, v2, v4
	s_nop 1
	v_subb_co_u32_e32 v3, vcc, v3, v5, vcc
.LBB236_27:
	s_or_b64 exec, exec, s[2:3]
	s_add_u32 s6, s8, s6
	s_addc_u32 s7, s9, s7
	s_mov_b64 s[2:3], -1
	s_and_b64 vcc, exec, s[0:1]
	s_waitcnt lgkmcnt(0)
	s_barrier
	s_cbranch_vccnz .LBB236_30
; %bb.28:
	s_andn2_b64 vcc, exec, s[2:3]
	s_cbranch_vccz .LBB236_33
.LBB236_29:
	s_endpgm
.LBB236_30:
	s_lshl_b32 s0, s12, 7
	s_sub_i32 s0, s10, s0
	v_cmp_gt_u32_e32 vcc, s0, v0
	ds_write_b64 v1, v[2:3]
	s_waitcnt lgkmcnt(0)
	s_barrier
	s_and_saveexec_b64 s[0:1], vcc
	s_cbranch_execz .LBB236_32
; %bb.31:
	ds_read_b64 v[4:5], v1
	s_mov_b32 s5, 0
	s_lshl_b64 s[2:3], s[4:5], 3
	s_add_u32 s2, s6, s2
	s_addc_u32 s3, s7, s3
	s_waitcnt lgkmcnt(0)
	global_store_dwordx2 v1, v[4:5], s[2:3]
.LBB236_32:
	s_or_b64 exec, exec, s[0:1]
	s_cbranch_execnz .LBB236_29
.LBB236_33:
	ds_write_b64 v1, v[2:3]
	s_waitcnt lgkmcnt(0)
	s_barrier
	ds_read_b64 v[2:3], v1
	s_mov_b32 s5, 0
	s_lshl_b64 s[0:1], s[4:5], 3
	s_add_u32 s0, s6, s0
	s_addc_u32 s1, s7, s1
	s_waitcnt lgkmcnt(0)
	global_store_dwordx2 v1, v[2:3], s[0:1]
	s_endpgm
	.section	.rodata,"a",@progbits
	.p2align	6, 0x0
	.amdhsa_kernel _ZN7rocprim17ROCPRIM_400000_NS6detail17trampoline_kernelINS0_14default_configENS1_35adjacent_difference_config_selectorILb0ElEEZNS1_24adjacent_difference_implIS3_Lb0ELb0EPlS7_N6thrust23THRUST_200600_302600_NS5minusIlEEEE10hipError_tPvRmT2_T3_mT4_P12ihipStream_tbEUlT_E_NS1_11comp_targetILNS1_3genE0ELNS1_11target_archE4294967295ELNS1_3gpuE0ELNS1_3repE0EEENS1_30default_config_static_selectorELNS0_4arch9wavefront6targetE1EEEvT1_
		.amdhsa_group_segment_fixed_size 2048
		.amdhsa_private_segment_fixed_size 0
		.amdhsa_kernarg_size 56
		.amdhsa_user_sgpr_count 2
		.amdhsa_user_sgpr_dispatch_ptr 0
		.amdhsa_user_sgpr_queue_ptr 0
		.amdhsa_user_sgpr_kernarg_segment_ptr 1
		.amdhsa_user_sgpr_dispatch_id 0
		.amdhsa_user_sgpr_kernarg_preload_length 0
		.amdhsa_user_sgpr_kernarg_preload_offset 0
		.amdhsa_user_sgpr_private_segment_size 0
		.amdhsa_uses_dynamic_stack 0
		.amdhsa_enable_private_segment 0
		.amdhsa_system_sgpr_workgroup_id_x 1
		.amdhsa_system_sgpr_workgroup_id_y 0
		.amdhsa_system_sgpr_workgroup_id_z 0
		.amdhsa_system_sgpr_workgroup_info 0
		.amdhsa_system_vgpr_workitem_id 0
		.amdhsa_next_free_vgpr 6
		.amdhsa_next_free_sgpr 22
		.amdhsa_accum_offset 8
		.amdhsa_reserve_vcc 1
		.amdhsa_float_round_mode_32 0
		.amdhsa_float_round_mode_16_64 0
		.amdhsa_float_denorm_mode_32 3
		.amdhsa_float_denorm_mode_16_64 3
		.amdhsa_dx10_clamp 1
		.amdhsa_ieee_mode 1
		.amdhsa_fp16_overflow 0
		.amdhsa_tg_split 0
		.amdhsa_exception_fp_ieee_invalid_op 0
		.amdhsa_exception_fp_denorm_src 0
		.amdhsa_exception_fp_ieee_div_zero 0
		.amdhsa_exception_fp_ieee_overflow 0
		.amdhsa_exception_fp_ieee_underflow 0
		.amdhsa_exception_fp_ieee_inexact 0
		.amdhsa_exception_int_div_zero 0
	.end_amdhsa_kernel
	.section	.text._ZN7rocprim17ROCPRIM_400000_NS6detail17trampoline_kernelINS0_14default_configENS1_35adjacent_difference_config_selectorILb0ElEEZNS1_24adjacent_difference_implIS3_Lb0ELb0EPlS7_N6thrust23THRUST_200600_302600_NS5minusIlEEEE10hipError_tPvRmT2_T3_mT4_P12ihipStream_tbEUlT_E_NS1_11comp_targetILNS1_3genE0ELNS1_11target_archE4294967295ELNS1_3gpuE0ELNS1_3repE0EEENS1_30default_config_static_selectorELNS0_4arch9wavefront6targetE1EEEvT1_,"axG",@progbits,_ZN7rocprim17ROCPRIM_400000_NS6detail17trampoline_kernelINS0_14default_configENS1_35adjacent_difference_config_selectorILb0ElEEZNS1_24adjacent_difference_implIS3_Lb0ELb0EPlS7_N6thrust23THRUST_200600_302600_NS5minusIlEEEE10hipError_tPvRmT2_T3_mT4_P12ihipStream_tbEUlT_E_NS1_11comp_targetILNS1_3genE0ELNS1_11target_archE4294967295ELNS1_3gpuE0ELNS1_3repE0EEENS1_30default_config_static_selectorELNS0_4arch9wavefront6targetE1EEEvT1_,comdat
.Lfunc_end236:
	.size	_ZN7rocprim17ROCPRIM_400000_NS6detail17trampoline_kernelINS0_14default_configENS1_35adjacent_difference_config_selectorILb0ElEEZNS1_24adjacent_difference_implIS3_Lb0ELb0EPlS7_N6thrust23THRUST_200600_302600_NS5minusIlEEEE10hipError_tPvRmT2_T3_mT4_P12ihipStream_tbEUlT_E_NS1_11comp_targetILNS1_3genE0ELNS1_11target_archE4294967295ELNS1_3gpuE0ELNS1_3repE0EEENS1_30default_config_static_selectorELNS0_4arch9wavefront6targetE1EEEvT1_, .Lfunc_end236-_ZN7rocprim17ROCPRIM_400000_NS6detail17trampoline_kernelINS0_14default_configENS1_35adjacent_difference_config_selectorILb0ElEEZNS1_24adjacent_difference_implIS3_Lb0ELb0EPlS7_N6thrust23THRUST_200600_302600_NS5minusIlEEEE10hipError_tPvRmT2_T3_mT4_P12ihipStream_tbEUlT_E_NS1_11comp_targetILNS1_3genE0ELNS1_11target_archE4294967295ELNS1_3gpuE0ELNS1_3repE0EEENS1_30default_config_static_selectorELNS0_4arch9wavefront6targetE1EEEvT1_
                                        ; -- End function
	.set _ZN7rocprim17ROCPRIM_400000_NS6detail17trampoline_kernelINS0_14default_configENS1_35adjacent_difference_config_selectorILb0ElEEZNS1_24adjacent_difference_implIS3_Lb0ELb0EPlS7_N6thrust23THRUST_200600_302600_NS5minusIlEEEE10hipError_tPvRmT2_T3_mT4_P12ihipStream_tbEUlT_E_NS1_11comp_targetILNS1_3genE0ELNS1_11target_archE4294967295ELNS1_3gpuE0ELNS1_3repE0EEENS1_30default_config_static_selectorELNS0_4arch9wavefront6targetE1EEEvT1_.num_vgpr, 6
	.set _ZN7rocprim17ROCPRIM_400000_NS6detail17trampoline_kernelINS0_14default_configENS1_35adjacent_difference_config_selectorILb0ElEEZNS1_24adjacent_difference_implIS3_Lb0ELb0EPlS7_N6thrust23THRUST_200600_302600_NS5minusIlEEEE10hipError_tPvRmT2_T3_mT4_P12ihipStream_tbEUlT_E_NS1_11comp_targetILNS1_3genE0ELNS1_11target_archE4294967295ELNS1_3gpuE0ELNS1_3repE0EEENS1_30default_config_static_selectorELNS0_4arch9wavefront6targetE1EEEvT1_.num_agpr, 0
	.set _ZN7rocprim17ROCPRIM_400000_NS6detail17trampoline_kernelINS0_14default_configENS1_35adjacent_difference_config_selectorILb0ElEEZNS1_24adjacent_difference_implIS3_Lb0ELb0EPlS7_N6thrust23THRUST_200600_302600_NS5minusIlEEEE10hipError_tPvRmT2_T3_mT4_P12ihipStream_tbEUlT_E_NS1_11comp_targetILNS1_3genE0ELNS1_11target_archE4294967295ELNS1_3gpuE0ELNS1_3repE0EEENS1_30default_config_static_selectorELNS0_4arch9wavefront6targetE1EEEvT1_.numbered_sgpr, 22
	.set _ZN7rocprim17ROCPRIM_400000_NS6detail17trampoline_kernelINS0_14default_configENS1_35adjacent_difference_config_selectorILb0ElEEZNS1_24adjacent_difference_implIS3_Lb0ELb0EPlS7_N6thrust23THRUST_200600_302600_NS5minusIlEEEE10hipError_tPvRmT2_T3_mT4_P12ihipStream_tbEUlT_E_NS1_11comp_targetILNS1_3genE0ELNS1_11target_archE4294967295ELNS1_3gpuE0ELNS1_3repE0EEENS1_30default_config_static_selectorELNS0_4arch9wavefront6targetE1EEEvT1_.num_named_barrier, 0
	.set _ZN7rocprim17ROCPRIM_400000_NS6detail17trampoline_kernelINS0_14default_configENS1_35adjacent_difference_config_selectorILb0ElEEZNS1_24adjacent_difference_implIS3_Lb0ELb0EPlS7_N6thrust23THRUST_200600_302600_NS5minusIlEEEE10hipError_tPvRmT2_T3_mT4_P12ihipStream_tbEUlT_E_NS1_11comp_targetILNS1_3genE0ELNS1_11target_archE4294967295ELNS1_3gpuE0ELNS1_3repE0EEENS1_30default_config_static_selectorELNS0_4arch9wavefront6targetE1EEEvT1_.private_seg_size, 0
	.set _ZN7rocprim17ROCPRIM_400000_NS6detail17trampoline_kernelINS0_14default_configENS1_35adjacent_difference_config_selectorILb0ElEEZNS1_24adjacent_difference_implIS3_Lb0ELb0EPlS7_N6thrust23THRUST_200600_302600_NS5minusIlEEEE10hipError_tPvRmT2_T3_mT4_P12ihipStream_tbEUlT_E_NS1_11comp_targetILNS1_3genE0ELNS1_11target_archE4294967295ELNS1_3gpuE0ELNS1_3repE0EEENS1_30default_config_static_selectorELNS0_4arch9wavefront6targetE1EEEvT1_.uses_vcc, 1
	.set _ZN7rocprim17ROCPRIM_400000_NS6detail17trampoline_kernelINS0_14default_configENS1_35adjacent_difference_config_selectorILb0ElEEZNS1_24adjacent_difference_implIS3_Lb0ELb0EPlS7_N6thrust23THRUST_200600_302600_NS5minusIlEEEE10hipError_tPvRmT2_T3_mT4_P12ihipStream_tbEUlT_E_NS1_11comp_targetILNS1_3genE0ELNS1_11target_archE4294967295ELNS1_3gpuE0ELNS1_3repE0EEENS1_30default_config_static_selectorELNS0_4arch9wavefront6targetE1EEEvT1_.uses_flat_scratch, 0
	.set _ZN7rocprim17ROCPRIM_400000_NS6detail17trampoline_kernelINS0_14default_configENS1_35adjacent_difference_config_selectorILb0ElEEZNS1_24adjacent_difference_implIS3_Lb0ELb0EPlS7_N6thrust23THRUST_200600_302600_NS5minusIlEEEE10hipError_tPvRmT2_T3_mT4_P12ihipStream_tbEUlT_E_NS1_11comp_targetILNS1_3genE0ELNS1_11target_archE4294967295ELNS1_3gpuE0ELNS1_3repE0EEENS1_30default_config_static_selectorELNS0_4arch9wavefront6targetE1EEEvT1_.has_dyn_sized_stack, 0
	.set _ZN7rocprim17ROCPRIM_400000_NS6detail17trampoline_kernelINS0_14default_configENS1_35adjacent_difference_config_selectorILb0ElEEZNS1_24adjacent_difference_implIS3_Lb0ELb0EPlS7_N6thrust23THRUST_200600_302600_NS5minusIlEEEE10hipError_tPvRmT2_T3_mT4_P12ihipStream_tbEUlT_E_NS1_11comp_targetILNS1_3genE0ELNS1_11target_archE4294967295ELNS1_3gpuE0ELNS1_3repE0EEENS1_30default_config_static_selectorELNS0_4arch9wavefront6targetE1EEEvT1_.has_recursion, 0
	.set _ZN7rocprim17ROCPRIM_400000_NS6detail17trampoline_kernelINS0_14default_configENS1_35adjacent_difference_config_selectorILb0ElEEZNS1_24adjacent_difference_implIS3_Lb0ELb0EPlS7_N6thrust23THRUST_200600_302600_NS5minusIlEEEE10hipError_tPvRmT2_T3_mT4_P12ihipStream_tbEUlT_E_NS1_11comp_targetILNS1_3genE0ELNS1_11target_archE4294967295ELNS1_3gpuE0ELNS1_3repE0EEENS1_30default_config_static_selectorELNS0_4arch9wavefront6targetE1EEEvT1_.has_indirect_call, 0
	.section	.AMDGPU.csdata,"",@progbits
; Kernel info:
; codeLenInByte = 800
; TotalNumSgprs: 28
; NumVgprs: 6
; NumAgprs: 0
; TotalNumVgprs: 6
; ScratchSize: 0
; MemoryBound: 0
; FloatMode: 240
; IeeeMode: 1
; LDSByteSize: 2048 bytes/workgroup (compile time only)
; SGPRBlocks: 3
; VGPRBlocks: 0
; NumSGPRsForWavesPerEU: 28
; NumVGPRsForWavesPerEU: 6
; AccumOffset: 8
; Occupancy: 8
; WaveLimiterHint : 0
; COMPUTE_PGM_RSRC2:SCRATCH_EN: 0
; COMPUTE_PGM_RSRC2:USER_SGPR: 2
; COMPUTE_PGM_RSRC2:TRAP_HANDLER: 0
; COMPUTE_PGM_RSRC2:TGID_X_EN: 1
; COMPUTE_PGM_RSRC2:TGID_Y_EN: 0
; COMPUTE_PGM_RSRC2:TGID_Z_EN: 0
; COMPUTE_PGM_RSRC2:TIDIG_COMP_CNT: 0
; COMPUTE_PGM_RSRC3_GFX90A:ACCUM_OFFSET: 1
; COMPUTE_PGM_RSRC3_GFX90A:TG_SPLIT: 0
	.section	.text._ZN7rocprim17ROCPRIM_400000_NS6detail17trampoline_kernelINS0_14default_configENS1_35adjacent_difference_config_selectorILb0ElEEZNS1_24adjacent_difference_implIS3_Lb0ELb0EPlS7_N6thrust23THRUST_200600_302600_NS5minusIlEEEE10hipError_tPvRmT2_T3_mT4_P12ihipStream_tbEUlT_E_NS1_11comp_targetILNS1_3genE10ELNS1_11target_archE1201ELNS1_3gpuE5ELNS1_3repE0EEENS1_30default_config_static_selectorELNS0_4arch9wavefront6targetE1EEEvT1_,"axG",@progbits,_ZN7rocprim17ROCPRIM_400000_NS6detail17trampoline_kernelINS0_14default_configENS1_35adjacent_difference_config_selectorILb0ElEEZNS1_24adjacent_difference_implIS3_Lb0ELb0EPlS7_N6thrust23THRUST_200600_302600_NS5minusIlEEEE10hipError_tPvRmT2_T3_mT4_P12ihipStream_tbEUlT_E_NS1_11comp_targetILNS1_3genE10ELNS1_11target_archE1201ELNS1_3gpuE5ELNS1_3repE0EEENS1_30default_config_static_selectorELNS0_4arch9wavefront6targetE1EEEvT1_,comdat
	.protected	_ZN7rocprim17ROCPRIM_400000_NS6detail17trampoline_kernelINS0_14default_configENS1_35adjacent_difference_config_selectorILb0ElEEZNS1_24adjacent_difference_implIS3_Lb0ELb0EPlS7_N6thrust23THRUST_200600_302600_NS5minusIlEEEE10hipError_tPvRmT2_T3_mT4_P12ihipStream_tbEUlT_E_NS1_11comp_targetILNS1_3genE10ELNS1_11target_archE1201ELNS1_3gpuE5ELNS1_3repE0EEENS1_30default_config_static_selectorELNS0_4arch9wavefront6targetE1EEEvT1_ ; -- Begin function _ZN7rocprim17ROCPRIM_400000_NS6detail17trampoline_kernelINS0_14default_configENS1_35adjacent_difference_config_selectorILb0ElEEZNS1_24adjacent_difference_implIS3_Lb0ELb0EPlS7_N6thrust23THRUST_200600_302600_NS5minusIlEEEE10hipError_tPvRmT2_T3_mT4_P12ihipStream_tbEUlT_E_NS1_11comp_targetILNS1_3genE10ELNS1_11target_archE1201ELNS1_3gpuE5ELNS1_3repE0EEENS1_30default_config_static_selectorELNS0_4arch9wavefront6targetE1EEEvT1_
	.globl	_ZN7rocprim17ROCPRIM_400000_NS6detail17trampoline_kernelINS0_14default_configENS1_35adjacent_difference_config_selectorILb0ElEEZNS1_24adjacent_difference_implIS3_Lb0ELb0EPlS7_N6thrust23THRUST_200600_302600_NS5minusIlEEEE10hipError_tPvRmT2_T3_mT4_P12ihipStream_tbEUlT_E_NS1_11comp_targetILNS1_3genE10ELNS1_11target_archE1201ELNS1_3gpuE5ELNS1_3repE0EEENS1_30default_config_static_selectorELNS0_4arch9wavefront6targetE1EEEvT1_
	.p2align	8
	.type	_ZN7rocprim17ROCPRIM_400000_NS6detail17trampoline_kernelINS0_14default_configENS1_35adjacent_difference_config_selectorILb0ElEEZNS1_24adjacent_difference_implIS3_Lb0ELb0EPlS7_N6thrust23THRUST_200600_302600_NS5minusIlEEEE10hipError_tPvRmT2_T3_mT4_P12ihipStream_tbEUlT_E_NS1_11comp_targetILNS1_3genE10ELNS1_11target_archE1201ELNS1_3gpuE5ELNS1_3repE0EEENS1_30default_config_static_selectorELNS0_4arch9wavefront6targetE1EEEvT1_,@function
_ZN7rocprim17ROCPRIM_400000_NS6detail17trampoline_kernelINS0_14default_configENS1_35adjacent_difference_config_selectorILb0ElEEZNS1_24adjacent_difference_implIS3_Lb0ELb0EPlS7_N6thrust23THRUST_200600_302600_NS5minusIlEEEE10hipError_tPvRmT2_T3_mT4_P12ihipStream_tbEUlT_E_NS1_11comp_targetILNS1_3genE10ELNS1_11target_archE1201ELNS1_3gpuE5ELNS1_3repE0EEENS1_30default_config_static_selectorELNS0_4arch9wavefront6targetE1EEEvT1_: ; @_ZN7rocprim17ROCPRIM_400000_NS6detail17trampoline_kernelINS0_14default_configENS1_35adjacent_difference_config_selectorILb0ElEEZNS1_24adjacent_difference_implIS3_Lb0ELb0EPlS7_N6thrust23THRUST_200600_302600_NS5minusIlEEEE10hipError_tPvRmT2_T3_mT4_P12ihipStream_tbEUlT_E_NS1_11comp_targetILNS1_3genE10ELNS1_11target_archE1201ELNS1_3gpuE5ELNS1_3repE0EEENS1_30default_config_static_selectorELNS0_4arch9wavefront6targetE1EEEvT1_
; %bb.0:
	.section	.rodata,"a",@progbits
	.p2align	6, 0x0
	.amdhsa_kernel _ZN7rocprim17ROCPRIM_400000_NS6detail17trampoline_kernelINS0_14default_configENS1_35adjacent_difference_config_selectorILb0ElEEZNS1_24adjacent_difference_implIS3_Lb0ELb0EPlS7_N6thrust23THRUST_200600_302600_NS5minusIlEEEE10hipError_tPvRmT2_T3_mT4_P12ihipStream_tbEUlT_E_NS1_11comp_targetILNS1_3genE10ELNS1_11target_archE1201ELNS1_3gpuE5ELNS1_3repE0EEENS1_30default_config_static_selectorELNS0_4arch9wavefront6targetE1EEEvT1_
		.amdhsa_group_segment_fixed_size 0
		.amdhsa_private_segment_fixed_size 0
		.amdhsa_kernarg_size 56
		.amdhsa_user_sgpr_count 2
		.amdhsa_user_sgpr_dispatch_ptr 0
		.amdhsa_user_sgpr_queue_ptr 0
		.amdhsa_user_sgpr_kernarg_segment_ptr 1
		.amdhsa_user_sgpr_dispatch_id 0
		.amdhsa_user_sgpr_kernarg_preload_length 0
		.amdhsa_user_sgpr_kernarg_preload_offset 0
		.amdhsa_user_sgpr_private_segment_size 0
		.amdhsa_uses_dynamic_stack 0
		.amdhsa_enable_private_segment 0
		.amdhsa_system_sgpr_workgroup_id_x 1
		.amdhsa_system_sgpr_workgroup_id_y 0
		.amdhsa_system_sgpr_workgroup_id_z 0
		.amdhsa_system_sgpr_workgroup_info 0
		.amdhsa_system_vgpr_workitem_id 0
		.amdhsa_next_free_vgpr 1
		.amdhsa_next_free_sgpr 0
		.amdhsa_accum_offset 4
		.amdhsa_reserve_vcc 0
		.amdhsa_float_round_mode_32 0
		.amdhsa_float_round_mode_16_64 0
		.amdhsa_float_denorm_mode_32 3
		.amdhsa_float_denorm_mode_16_64 3
		.amdhsa_dx10_clamp 1
		.amdhsa_ieee_mode 1
		.amdhsa_fp16_overflow 0
		.amdhsa_tg_split 0
		.amdhsa_exception_fp_ieee_invalid_op 0
		.amdhsa_exception_fp_denorm_src 0
		.amdhsa_exception_fp_ieee_div_zero 0
		.amdhsa_exception_fp_ieee_overflow 0
		.amdhsa_exception_fp_ieee_underflow 0
		.amdhsa_exception_fp_ieee_inexact 0
		.amdhsa_exception_int_div_zero 0
	.end_amdhsa_kernel
	.section	.text._ZN7rocprim17ROCPRIM_400000_NS6detail17trampoline_kernelINS0_14default_configENS1_35adjacent_difference_config_selectorILb0ElEEZNS1_24adjacent_difference_implIS3_Lb0ELb0EPlS7_N6thrust23THRUST_200600_302600_NS5minusIlEEEE10hipError_tPvRmT2_T3_mT4_P12ihipStream_tbEUlT_E_NS1_11comp_targetILNS1_3genE10ELNS1_11target_archE1201ELNS1_3gpuE5ELNS1_3repE0EEENS1_30default_config_static_selectorELNS0_4arch9wavefront6targetE1EEEvT1_,"axG",@progbits,_ZN7rocprim17ROCPRIM_400000_NS6detail17trampoline_kernelINS0_14default_configENS1_35adjacent_difference_config_selectorILb0ElEEZNS1_24adjacent_difference_implIS3_Lb0ELb0EPlS7_N6thrust23THRUST_200600_302600_NS5minusIlEEEE10hipError_tPvRmT2_T3_mT4_P12ihipStream_tbEUlT_E_NS1_11comp_targetILNS1_3genE10ELNS1_11target_archE1201ELNS1_3gpuE5ELNS1_3repE0EEENS1_30default_config_static_selectorELNS0_4arch9wavefront6targetE1EEEvT1_,comdat
.Lfunc_end237:
	.size	_ZN7rocprim17ROCPRIM_400000_NS6detail17trampoline_kernelINS0_14default_configENS1_35adjacent_difference_config_selectorILb0ElEEZNS1_24adjacent_difference_implIS3_Lb0ELb0EPlS7_N6thrust23THRUST_200600_302600_NS5minusIlEEEE10hipError_tPvRmT2_T3_mT4_P12ihipStream_tbEUlT_E_NS1_11comp_targetILNS1_3genE10ELNS1_11target_archE1201ELNS1_3gpuE5ELNS1_3repE0EEENS1_30default_config_static_selectorELNS0_4arch9wavefront6targetE1EEEvT1_, .Lfunc_end237-_ZN7rocprim17ROCPRIM_400000_NS6detail17trampoline_kernelINS0_14default_configENS1_35adjacent_difference_config_selectorILb0ElEEZNS1_24adjacent_difference_implIS3_Lb0ELb0EPlS7_N6thrust23THRUST_200600_302600_NS5minusIlEEEE10hipError_tPvRmT2_T3_mT4_P12ihipStream_tbEUlT_E_NS1_11comp_targetILNS1_3genE10ELNS1_11target_archE1201ELNS1_3gpuE5ELNS1_3repE0EEENS1_30default_config_static_selectorELNS0_4arch9wavefront6targetE1EEEvT1_
                                        ; -- End function
	.set _ZN7rocprim17ROCPRIM_400000_NS6detail17trampoline_kernelINS0_14default_configENS1_35adjacent_difference_config_selectorILb0ElEEZNS1_24adjacent_difference_implIS3_Lb0ELb0EPlS7_N6thrust23THRUST_200600_302600_NS5minusIlEEEE10hipError_tPvRmT2_T3_mT4_P12ihipStream_tbEUlT_E_NS1_11comp_targetILNS1_3genE10ELNS1_11target_archE1201ELNS1_3gpuE5ELNS1_3repE0EEENS1_30default_config_static_selectorELNS0_4arch9wavefront6targetE1EEEvT1_.num_vgpr, 0
	.set _ZN7rocprim17ROCPRIM_400000_NS6detail17trampoline_kernelINS0_14default_configENS1_35adjacent_difference_config_selectorILb0ElEEZNS1_24adjacent_difference_implIS3_Lb0ELb0EPlS7_N6thrust23THRUST_200600_302600_NS5minusIlEEEE10hipError_tPvRmT2_T3_mT4_P12ihipStream_tbEUlT_E_NS1_11comp_targetILNS1_3genE10ELNS1_11target_archE1201ELNS1_3gpuE5ELNS1_3repE0EEENS1_30default_config_static_selectorELNS0_4arch9wavefront6targetE1EEEvT1_.num_agpr, 0
	.set _ZN7rocprim17ROCPRIM_400000_NS6detail17trampoline_kernelINS0_14default_configENS1_35adjacent_difference_config_selectorILb0ElEEZNS1_24adjacent_difference_implIS3_Lb0ELb0EPlS7_N6thrust23THRUST_200600_302600_NS5minusIlEEEE10hipError_tPvRmT2_T3_mT4_P12ihipStream_tbEUlT_E_NS1_11comp_targetILNS1_3genE10ELNS1_11target_archE1201ELNS1_3gpuE5ELNS1_3repE0EEENS1_30default_config_static_selectorELNS0_4arch9wavefront6targetE1EEEvT1_.numbered_sgpr, 0
	.set _ZN7rocprim17ROCPRIM_400000_NS6detail17trampoline_kernelINS0_14default_configENS1_35adjacent_difference_config_selectorILb0ElEEZNS1_24adjacent_difference_implIS3_Lb0ELb0EPlS7_N6thrust23THRUST_200600_302600_NS5minusIlEEEE10hipError_tPvRmT2_T3_mT4_P12ihipStream_tbEUlT_E_NS1_11comp_targetILNS1_3genE10ELNS1_11target_archE1201ELNS1_3gpuE5ELNS1_3repE0EEENS1_30default_config_static_selectorELNS0_4arch9wavefront6targetE1EEEvT1_.num_named_barrier, 0
	.set _ZN7rocprim17ROCPRIM_400000_NS6detail17trampoline_kernelINS0_14default_configENS1_35adjacent_difference_config_selectorILb0ElEEZNS1_24adjacent_difference_implIS3_Lb0ELb0EPlS7_N6thrust23THRUST_200600_302600_NS5minusIlEEEE10hipError_tPvRmT2_T3_mT4_P12ihipStream_tbEUlT_E_NS1_11comp_targetILNS1_3genE10ELNS1_11target_archE1201ELNS1_3gpuE5ELNS1_3repE0EEENS1_30default_config_static_selectorELNS0_4arch9wavefront6targetE1EEEvT1_.private_seg_size, 0
	.set _ZN7rocprim17ROCPRIM_400000_NS6detail17trampoline_kernelINS0_14default_configENS1_35adjacent_difference_config_selectorILb0ElEEZNS1_24adjacent_difference_implIS3_Lb0ELb0EPlS7_N6thrust23THRUST_200600_302600_NS5minusIlEEEE10hipError_tPvRmT2_T3_mT4_P12ihipStream_tbEUlT_E_NS1_11comp_targetILNS1_3genE10ELNS1_11target_archE1201ELNS1_3gpuE5ELNS1_3repE0EEENS1_30default_config_static_selectorELNS0_4arch9wavefront6targetE1EEEvT1_.uses_vcc, 0
	.set _ZN7rocprim17ROCPRIM_400000_NS6detail17trampoline_kernelINS0_14default_configENS1_35adjacent_difference_config_selectorILb0ElEEZNS1_24adjacent_difference_implIS3_Lb0ELb0EPlS7_N6thrust23THRUST_200600_302600_NS5minusIlEEEE10hipError_tPvRmT2_T3_mT4_P12ihipStream_tbEUlT_E_NS1_11comp_targetILNS1_3genE10ELNS1_11target_archE1201ELNS1_3gpuE5ELNS1_3repE0EEENS1_30default_config_static_selectorELNS0_4arch9wavefront6targetE1EEEvT1_.uses_flat_scratch, 0
	.set _ZN7rocprim17ROCPRIM_400000_NS6detail17trampoline_kernelINS0_14default_configENS1_35adjacent_difference_config_selectorILb0ElEEZNS1_24adjacent_difference_implIS3_Lb0ELb0EPlS7_N6thrust23THRUST_200600_302600_NS5minusIlEEEE10hipError_tPvRmT2_T3_mT4_P12ihipStream_tbEUlT_E_NS1_11comp_targetILNS1_3genE10ELNS1_11target_archE1201ELNS1_3gpuE5ELNS1_3repE0EEENS1_30default_config_static_selectorELNS0_4arch9wavefront6targetE1EEEvT1_.has_dyn_sized_stack, 0
	.set _ZN7rocprim17ROCPRIM_400000_NS6detail17trampoline_kernelINS0_14default_configENS1_35adjacent_difference_config_selectorILb0ElEEZNS1_24adjacent_difference_implIS3_Lb0ELb0EPlS7_N6thrust23THRUST_200600_302600_NS5minusIlEEEE10hipError_tPvRmT2_T3_mT4_P12ihipStream_tbEUlT_E_NS1_11comp_targetILNS1_3genE10ELNS1_11target_archE1201ELNS1_3gpuE5ELNS1_3repE0EEENS1_30default_config_static_selectorELNS0_4arch9wavefront6targetE1EEEvT1_.has_recursion, 0
	.set _ZN7rocprim17ROCPRIM_400000_NS6detail17trampoline_kernelINS0_14default_configENS1_35adjacent_difference_config_selectorILb0ElEEZNS1_24adjacent_difference_implIS3_Lb0ELb0EPlS7_N6thrust23THRUST_200600_302600_NS5minusIlEEEE10hipError_tPvRmT2_T3_mT4_P12ihipStream_tbEUlT_E_NS1_11comp_targetILNS1_3genE10ELNS1_11target_archE1201ELNS1_3gpuE5ELNS1_3repE0EEENS1_30default_config_static_selectorELNS0_4arch9wavefront6targetE1EEEvT1_.has_indirect_call, 0
	.section	.AMDGPU.csdata,"",@progbits
; Kernel info:
; codeLenInByte = 0
; TotalNumSgprs: 6
; NumVgprs: 0
; NumAgprs: 0
; TotalNumVgprs: 0
; ScratchSize: 0
; MemoryBound: 0
; FloatMode: 240
; IeeeMode: 1
; LDSByteSize: 0 bytes/workgroup (compile time only)
; SGPRBlocks: 0
; VGPRBlocks: 0
; NumSGPRsForWavesPerEU: 6
; NumVGPRsForWavesPerEU: 1
; AccumOffset: 4
; Occupancy: 8
; WaveLimiterHint : 0
; COMPUTE_PGM_RSRC2:SCRATCH_EN: 0
; COMPUTE_PGM_RSRC2:USER_SGPR: 2
; COMPUTE_PGM_RSRC2:TRAP_HANDLER: 0
; COMPUTE_PGM_RSRC2:TGID_X_EN: 1
; COMPUTE_PGM_RSRC2:TGID_Y_EN: 0
; COMPUTE_PGM_RSRC2:TGID_Z_EN: 0
; COMPUTE_PGM_RSRC2:TIDIG_COMP_CNT: 0
; COMPUTE_PGM_RSRC3_GFX90A:ACCUM_OFFSET: 0
; COMPUTE_PGM_RSRC3_GFX90A:TG_SPLIT: 0
	.section	.text._ZN7rocprim17ROCPRIM_400000_NS6detail17trampoline_kernelINS0_14default_configENS1_35adjacent_difference_config_selectorILb0ElEEZNS1_24adjacent_difference_implIS3_Lb0ELb0EPlS7_N6thrust23THRUST_200600_302600_NS5minusIlEEEE10hipError_tPvRmT2_T3_mT4_P12ihipStream_tbEUlT_E_NS1_11comp_targetILNS1_3genE5ELNS1_11target_archE942ELNS1_3gpuE9ELNS1_3repE0EEENS1_30default_config_static_selectorELNS0_4arch9wavefront6targetE1EEEvT1_,"axG",@progbits,_ZN7rocprim17ROCPRIM_400000_NS6detail17trampoline_kernelINS0_14default_configENS1_35adjacent_difference_config_selectorILb0ElEEZNS1_24adjacent_difference_implIS3_Lb0ELb0EPlS7_N6thrust23THRUST_200600_302600_NS5minusIlEEEE10hipError_tPvRmT2_T3_mT4_P12ihipStream_tbEUlT_E_NS1_11comp_targetILNS1_3genE5ELNS1_11target_archE942ELNS1_3gpuE9ELNS1_3repE0EEENS1_30default_config_static_selectorELNS0_4arch9wavefront6targetE1EEEvT1_,comdat
	.protected	_ZN7rocprim17ROCPRIM_400000_NS6detail17trampoline_kernelINS0_14default_configENS1_35adjacent_difference_config_selectorILb0ElEEZNS1_24adjacent_difference_implIS3_Lb0ELb0EPlS7_N6thrust23THRUST_200600_302600_NS5minusIlEEEE10hipError_tPvRmT2_T3_mT4_P12ihipStream_tbEUlT_E_NS1_11comp_targetILNS1_3genE5ELNS1_11target_archE942ELNS1_3gpuE9ELNS1_3repE0EEENS1_30default_config_static_selectorELNS0_4arch9wavefront6targetE1EEEvT1_ ; -- Begin function _ZN7rocprim17ROCPRIM_400000_NS6detail17trampoline_kernelINS0_14default_configENS1_35adjacent_difference_config_selectorILb0ElEEZNS1_24adjacent_difference_implIS3_Lb0ELb0EPlS7_N6thrust23THRUST_200600_302600_NS5minusIlEEEE10hipError_tPvRmT2_T3_mT4_P12ihipStream_tbEUlT_E_NS1_11comp_targetILNS1_3genE5ELNS1_11target_archE942ELNS1_3gpuE9ELNS1_3repE0EEENS1_30default_config_static_selectorELNS0_4arch9wavefront6targetE1EEEvT1_
	.globl	_ZN7rocprim17ROCPRIM_400000_NS6detail17trampoline_kernelINS0_14default_configENS1_35adjacent_difference_config_selectorILb0ElEEZNS1_24adjacent_difference_implIS3_Lb0ELb0EPlS7_N6thrust23THRUST_200600_302600_NS5minusIlEEEE10hipError_tPvRmT2_T3_mT4_P12ihipStream_tbEUlT_E_NS1_11comp_targetILNS1_3genE5ELNS1_11target_archE942ELNS1_3gpuE9ELNS1_3repE0EEENS1_30default_config_static_selectorELNS0_4arch9wavefront6targetE1EEEvT1_
	.p2align	8
	.type	_ZN7rocprim17ROCPRIM_400000_NS6detail17trampoline_kernelINS0_14default_configENS1_35adjacent_difference_config_selectorILb0ElEEZNS1_24adjacent_difference_implIS3_Lb0ELb0EPlS7_N6thrust23THRUST_200600_302600_NS5minusIlEEEE10hipError_tPvRmT2_T3_mT4_P12ihipStream_tbEUlT_E_NS1_11comp_targetILNS1_3genE5ELNS1_11target_archE942ELNS1_3gpuE9ELNS1_3repE0EEENS1_30default_config_static_selectorELNS0_4arch9wavefront6targetE1EEEvT1_,@function
_ZN7rocprim17ROCPRIM_400000_NS6detail17trampoline_kernelINS0_14default_configENS1_35adjacent_difference_config_selectorILb0ElEEZNS1_24adjacent_difference_implIS3_Lb0ELb0EPlS7_N6thrust23THRUST_200600_302600_NS5minusIlEEEE10hipError_tPvRmT2_T3_mT4_P12ihipStream_tbEUlT_E_NS1_11comp_targetILNS1_3genE5ELNS1_11target_archE942ELNS1_3gpuE9ELNS1_3repE0EEENS1_30default_config_static_selectorELNS0_4arch9wavefront6targetE1EEEvT1_: ; @_ZN7rocprim17ROCPRIM_400000_NS6detail17trampoline_kernelINS0_14default_configENS1_35adjacent_difference_config_selectorILb0ElEEZNS1_24adjacent_difference_implIS3_Lb0ELb0EPlS7_N6thrust23THRUST_200600_302600_NS5minusIlEEEE10hipError_tPvRmT2_T3_mT4_P12ihipStream_tbEUlT_E_NS1_11comp_targetILNS1_3genE5ELNS1_11target_archE942ELNS1_3gpuE9ELNS1_3repE0EEENS1_30default_config_static_selectorELNS0_4arch9wavefront6targetE1EEEvT1_
; %bb.0:
	.section	.rodata,"a",@progbits
	.p2align	6, 0x0
	.amdhsa_kernel _ZN7rocprim17ROCPRIM_400000_NS6detail17trampoline_kernelINS0_14default_configENS1_35adjacent_difference_config_selectorILb0ElEEZNS1_24adjacent_difference_implIS3_Lb0ELb0EPlS7_N6thrust23THRUST_200600_302600_NS5minusIlEEEE10hipError_tPvRmT2_T3_mT4_P12ihipStream_tbEUlT_E_NS1_11comp_targetILNS1_3genE5ELNS1_11target_archE942ELNS1_3gpuE9ELNS1_3repE0EEENS1_30default_config_static_selectorELNS0_4arch9wavefront6targetE1EEEvT1_
		.amdhsa_group_segment_fixed_size 0
		.amdhsa_private_segment_fixed_size 0
		.amdhsa_kernarg_size 56
		.amdhsa_user_sgpr_count 2
		.amdhsa_user_sgpr_dispatch_ptr 0
		.amdhsa_user_sgpr_queue_ptr 0
		.amdhsa_user_sgpr_kernarg_segment_ptr 1
		.amdhsa_user_sgpr_dispatch_id 0
		.amdhsa_user_sgpr_kernarg_preload_length 0
		.amdhsa_user_sgpr_kernarg_preload_offset 0
		.amdhsa_user_sgpr_private_segment_size 0
		.amdhsa_uses_dynamic_stack 0
		.amdhsa_enable_private_segment 0
		.amdhsa_system_sgpr_workgroup_id_x 1
		.amdhsa_system_sgpr_workgroup_id_y 0
		.amdhsa_system_sgpr_workgroup_id_z 0
		.amdhsa_system_sgpr_workgroup_info 0
		.amdhsa_system_vgpr_workitem_id 0
		.amdhsa_next_free_vgpr 1
		.amdhsa_next_free_sgpr 0
		.amdhsa_accum_offset 4
		.amdhsa_reserve_vcc 0
		.amdhsa_float_round_mode_32 0
		.amdhsa_float_round_mode_16_64 0
		.amdhsa_float_denorm_mode_32 3
		.amdhsa_float_denorm_mode_16_64 3
		.amdhsa_dx10_clamp 1
		.amdhsa_ieee_mode 1
		.amdhsa_fp16_overflow 0
		.amdhsa_tg_split 0
		.amdhsa_exception_fp_ieee_invalid_op 0
		.amdhsa_exception_fp_denorm_src 0
		.amdhsa_exception_fp_ieee_div_zero 0
		.amdhsa_exception_fp_ieee_overflow 0
		.amdhsa_exception_fp_ieee_underflow 0
		.amdhsa_exception_fp_ieee_inexact 0
		.amdhsa_exception_int_div_zero 0
	.end_amdhsa_kernel
	.section	.text._ZN7rocprim17ROCPRIM_400000_NS6detail17trampoline_kernelINS0_14default_configENS1_35adjacent_difference_config_selectorILb0ElEEZNS1_24adjacent_difference_implIS3_Lb0ELb0EPlS7_N6thrust23THRUST_200600_302600_NS5minusIlEEEE10hipError_tPvRmT2_T3_mT4_P12ihipStream_tbEUlT_E_NS1_11comp_targetILNS1_3genE5ELNS1_11target_archE942ELNS1_3gpuE9ELNS1_3repE0EEENS1_30default_config_static_selectorELNS0_4arch9wavefront6targetE1EEEvT1_,"axG",@progbits,_ZN7rocprim17ROCPRIM_400000_NS6detail17trampoline_kernelINS0_14default_configENS1_35adjacent_difference_config_selectorILb0ElEEZNS1_24adjacent_difference_implIS3_Lb0ELb0EPlS7_N6thrust23THRUST_200600_302600_NS5minusIlEEEE10hipError_tPvRmT2_T3_mT4_P12ihipStream_tbEUlT_E_NS1_11comp_targetILNS1_3genE5ELNS1_11target_archE942ELNS1_3gpuE9ELNS1_3repE0EEENS1_30default_config_static_selectorELNS0_4arch9wavefront6targetE1EEEvT1_,comdat
.Lfunc_end238:
	.size	_ZN7rocprim17ROCPRIM_400000_NS6detail17trampoline_kernelINS0_14default_configENS1_35adjacent_difference_config_selectorILb0ElEEZNS1_24adjacent_difference_implIS3_Lb0ELb0EPlS7_N6thrust23THRUST_200600_302600_NS5minusIlEEEE10hipError_tPvRmT2_T3_mT4_P12ihipStream_tbEUlT_E_NS1_11comp_targetILNS1_3genE5ELNS1_11target_archE942ELNS1_3gpuE9ELNS1_3repE0EEENS1_30default_config_static_selectorELNS0_4arch9wavefront6targetE1EEEvT1_, .Lfunc_end238-_ZN7rocprim17ROCPRIM_400000_NS6detail17trampoline_kernelINS0_14default_configENS1_35adjacent_difference_config_selectorILb0ElEEZNS1_24adjacent_difference_implIS3_Lb0ELb0EPlS7_N6thrust23THRUST_200600_302600_NS5minusIlEEEE10hipError_tPvRmT2_T3_mT4_P12ihipStream_tbEUlT_E_NS1_11comp_targetILNS1_3genE5ELNS1_11target_archE942ELNS1_3gpuE9ELNS1_3repE0EEENS1_30default_config_static_selectorELNS0_4arch9wavefront6targetE1EEEvT1_
                                        ; -- End function
	.set _ZN7rocprim17ROCPRIM_400000_NS6detail17trampoline_kernelINS0_14default_configENS1_35adjacent_difference_config_selectorILb0ElEEZNS1_24adjacent_difference_implIS3_Lb0ELb0EPlS7_N6thrust23THRUST_200600_302600_NS5minusIlEEEE10hipError_tPvRmT2_T3_mT4_P12ihipStream_tbEUlT_E_NS1_11comp_targetILNS1_3genE5ELNS1_11target_archE942ELNS1_3gpuE9ELNS1_3repE0EEENS1_30default_config_static_selectorELNS0_4arch9wavefront6targetE1EEEvT1_.num_vgpr, 0
	.set _ZN7rocprim17ROCPRIM_400000_NS6detail17trampoline_kernelINS0_14default_configENS1_35adjacent_difference_config_selectorILb0ElEEZNS1_24adjacent_difference_implIS3_Lb0ELb0EPlS7_N6thrust23THRUST_200600_302600_NS5minusIlEEEE10hipError_tPvRmT2_T3_mT4_P12ihipStream_tbEUlT_E_NS1_11comp_targetILNS1_3genE5ELNS1_11target_archE942ELNS1_3gpuE9ELNS1_3repE0EEENS1_30default_config_static_selectorELNS0_4arch9wavefront6targetE1EEEvT1_.num_agpr, 0
	.set _ZN7rocprim17ROCPRIM_400000_NS6detail17trampoline_kernelINS0_14default_configENS1_35adjacent_difference_config_selectorILb0ElEEZNS1_24adjacent_difference_implIS3_Lb0ELb0EPlS7_N6thrust23THRUST_200600_302600_NS5minusIlEEEE10hipError_tPvRmT2_T3_mT4_P12ihipStream_tbEUlT_E_NS1_11comp_targetILNS1_3genE5ELNS1_11target_archE942ELNS1_3gpuE9ELNS1_3repE0EEENS1_30default_config_static_selectorELNS0_4arch9wavefront6targetE1EEEvT1_.numbered_sgpr, 0
	.set _ZN7rocprim17ROCPRIM_400000_NS6detail17trampoline_kernelINS0_14default_configENS1_35adjacent_difference_config_selectorILb0ElEEZNS1_24adjacent_difference_implIS3_Lb0ELb0EPlS7_N6thrust23THRUST_200600_302600_NS5minusIlEEEE10hipError_tPvRmT2_T3_mT4_P12ihipStream_tbEUlT_E_NS1_11comp_targetILNS1_3genE5ELNS1_11target_archE942ELNS1_3gpuE9ELNS1_3repE0EEENS1_30default_config_static_selectorELNS0_4arch9wavefront6targetE1EEEvT1_.num_named_barrier, 0
	.set _ZN7rocprim17ROCPRIM_400000_NS6detail17trampoline_kernelINS0_14default_configENS1_35adjacent_difference_config_selectorILb0ElEEZNS1_24adjacent_difference_implIS3_Lb0ELb0EPlS7_N6thrust23THRUST_200600_302600_NS5minusIlEEEE10hipError_tPvRmT2_T3_mT4_P12ihipStream_tbEUlT_E_NS1_11comp_targetILNS1_3genE5ELNS1_11target_archE942ELNS1_3gpuE9ELNS1_3repE0EEENS1_30default_config_static_selectorELNS0_4arch9wavefront6targetE1EEEvT1_.private_seg_size, 0
	.set _ZN7rocprim17ROCPRIM_400000_NS6detail17trampoline_kernelINS0_14default_configENS1_35adjacent_difference_config_selectorILb0ElEEZNS1_24adjacent_difference_implIS3_Lb0ELb0EPlS7_N6thrust23THRUST_200600_302600_NS5minusIlEEEE10hipError_tPvRmT2_T3_mT4_P12ihipStream_tbEUlT_E_NS1_11comp_targetILNS1_3genE5ELNS1_11target_archE942ELNS1_3gpuE9ELNS1_3repE0EEENS1_30default_config_static_selectorELNS0_4arch9wavefront6targetE1EEEvT1_.uses_vcc, 0
	.set _ZN7rocprim17ROCPRIM_400000_NS6detail17trampoline_kernelINS0_14default_configENS1_35adjacent_difference_config_selectorILb0ElEEZNS1_24adjacent_difference_implIS3_Lb0ELb0EPlS7_N6thrust23THRUST_200600_302600_NS5minusIlEEEE10hipError_tPvRmT2_T3_mT4_P12ihipStream_tbEUlT_E_NS1_11comp_targetILNS1_3genE5ELNS1_11target_archE942ELNS1_3gpuE9ELNS1_3repE0EEENS1_30default_config_static_selectorELNS0_4arch9wavefront6targetE1EEEvT1_.uses_flat_scratch, 0
	.set _ZN7rocprim17ROCPRIM_400000_NS6detail17trampoline_kernelINS0_14default_configENS1_35adjacent_difference_config_selectorILb0ElEEZNS1_24adjacent_difference_implIS3_Lb0ELb0EPlS7_N6thrust23THRUST_200600_302600_NS5minusIlEEEE10hipError_tPvRmT2_T3_mT4_P12ihipStream_tbEUlT_E_NS1_11comp_targetILNS1_3genE5ELNS1_11target_archE942ELNS1_3gpuE9ELNS1_3repE0EEENS1_30default_config_static_selectorELNS0_4arch9wavefront6targetE1EEEvT1_.has_dyn_sized_stack, 0
	.set _ZN7rocprim17ROCPRIM_400000_NS6detail17trampoline_kernelINS0_14default_configENS1_35adjacent_difference_config_selectorILb0ElEEZNS1_24adjacent_difference_implIS3_Lb0ELb0EPlS7_N6thrust23THRUST_200600_302600_NS5minusIlEEEE10hipError_tPvRmT2_T3_mT4_P12ihipStream_tbEUlT_E_NS1_11comp_targetILNS1_3genE5ELNS1_11target_archE942ELNS1_3gpuE9ELNS1_3repE0EEENS1_30default_config_static_selectorELNS0_4arch9wavefront6targetE1EEEvT1_.has_recursion, 0
	.set _ZN7rocprim17ROCPRIM_400000_NS6detail17trampoline_kernelINS0_14default_configENS1_35adjacent_difference_config_selectorILb0ElEEZNS1_24adjacent_difference_implIS3_Lb0ELb0EPlS7_N6thrust23THRUST_200600_302600_NS5minusIlEEEE10hipError_tPvRmT2_T3_mT4_P12ihipStream_tbEUlT_E_NS1_11comp_targetILNS1_3genE5ELNS1_11target_archE942ELNS1_3gpuE9ELNS1_3repE0EEENS1_30default_config_static_selectorELNS0_4arch9wavefront6targetE1EEEvT1_.has_indirect_call, 0
	.section	.AMDGPU.csdata,"",@progbits
; Kernel info:
; codeLenInByte = 0
; TotalNumSgprs: 6
; NumVgprs: 0
; NumAgprs: 0
; TotalNumVgprs: 0
; ScratchSize: 0
; MemoryBound: 0
; FloatMode: 240
; IeeeMode: 1
; LDSByteSize: 0 bytes/workgroup (compile time only)
; SGPRBlocks: 0
; VGPRBlocks: 0
; NumSGPRsForWavesPerEU: 6
; NumVGPRsForWavesPerEU: 1
; AccumOffset: 4
; Occupancy: 8
; WaveLimiterHint : 0
; COMPUTE_PGM_RSRC2:SCRATCH_EN: 0
; COMPUTE_PGM_RSRC2:USER_SGPR: 2
; COMPUTE_PGM_RSRC2:TRAP_HANDLER: 0
; COMPUTE_PGM_RSRC2:TGID_X_EN: 1
; COMPUTE_PGM_RSRC2:TGID_Y_EN: 0
; COMPUTE_PGM_RSRC2:TGID_Z_EN: 0
; COMPUTE_PGM_RSRC2:TIDIG_COMP_CNT: 0
; COMPUTE_PGM_RSRC3_GFX90A:ACCUM_OFFSET: 0
; COMPUTE_PGM_RSRC3_GFX90A:TG_SPLIT: 0
	.section	.text._ZN7rocprim17ROCPRIM_400000_NS6detail17trampoline_kernelINS0_14default_configENS1_35adjacent_difference_config_selectorILb0ElEEZNS1_24adjacent_difference_implIS3_Lb0ELb0EPlS7_N6thrust23THRUST_200600_302600_NS5minusIlEEEE10hipError_tPvRmT2_T3_mT4_P12ihipStream_tbEUlT_E_NS1_11comp_targetILNS1_3genE4ELNS1_11target_archE910ELNS1_3gpuE8ELNS1_3repE0EEENS1_30default_config_static_selectorELNS0_4arch9wavefront6targetE1EEEvT1_,"axG",@progbits,_ZN7rocprim17ROCPRIM_400000_NS6detail17trampoline_kernelINS0_14default_configENS1_35adjacent_difference_config_selectorILb0ElEEZNS1_24adjacent_difference_implIS3_Lb0ELb0EPlS7_N6thrust23THRUST_200600_302600_NS5minusIlEEEE10hipError_tPvRmT2_T3_mT4_P12ihipStream_tbEUlT_E_NS1_11comp_targetILNS1_3genE4ELNS1_11target_archE910ELNS1_3gpuE8ELNS1_3repE0EEENS1_30default_config_static_selectorELNS0_4arch9wavefront6targetE1EEEvT1_,comdat
	.protected	_ZN7rocprim17ROCPRIM_400000_NS6detail17trampoline_kernelINS0_14default_configENS1_35adjacent_difference_config_selectorILb0ElEEZNS1_24adjacent_difference_implIS3_Lb0ELb0EPlS7_N6thrust23THRUST_200600_302600_NS5minusIlEEEE10hipError_tPvRmT2_T3_mT4_P12ihipStream_tbEUlT_E_NS1_11comp_targetILNS1_3genE4ELNS1_11target_archE910ELNS1_3gpuE8ELNS1_3repE0EEENS1_30default_config_static_selectorELNS0_4arch9wavefront6targetE1EEEvT1_ ; -- Begin function _ZN7rocprim17ROCPRIM_400000_NS6detail17trampoline_kernelINS0_14default_configENS1_35adjacent_difference_config_selectorILb0ElEEZNS1_24adjacent_difference_implIS3_Lb0ELb0EPlS7_N6thrust23THRUST_200600_302600_NS5minusIlEEEE10hipError_tPvRmT2_T3_mT4_P12ihipStream_tbEUlT_E_NS1_11comp_targetILNS1_3genE4ELNS1_11target_archE910ELNS1_3gpuE8ELNS1_3repE0EEENS1_30default_config_static_selectorELNS0_4arch9wavefront6targetE1EEEvT1_
	.globl	_ZN7rocprim17ROCPRIM_400000_NS6detail17trampoline_kernelINS0_14default_configENS1_35adjacent_difference_config_selectorILb0ElEEZNS1_24adjacent_difference_implIS3_Lb0ELb0EPlS7_N6thrust23THRUST_200600_302600_NS5minusIlEEEE10hipError_tPvRmT2_T3_mT4_P12ihipStream_tbEUlT_E_NS1_11comp_targetILNS1_3genE4ELNS1_11target_archE910ELNS1_3gpuE8ELNS1_3repE0EEENS1_30default_config_static_selectorELNS0_4arch9wavefront6targetE1EEEvT1_
	.p2align	8
	.type	_ZN7rocprim17ROCPRIM_400000_NS6detail17trampoline_kernelINS0_14default_configENS1_35adjacent_difference_config_selectorILb0ElEEZNS1_24adjacent_difference_implIS3_Lb0ELb0EPlS7_N6thrust23THRUST_200600_302600_NS5minusIlEEEE10hipError_tPvRmT2_T3_mT4_P12ihipStream_tbEUlT_E_NS1_11comp_targetILNS1_3genE4ELNS1_11target_archE910ELNS1_3gpuE8ELNS1_3repE0EEENS1_30default_config_static_selectorELNS0_4arch9wavefront6targetE1EEEvT1_,@function
_ZN7rocprim17ROCPRIM_400000_NS6detail17trampoline_kernelINS0_14default_configENS1_35adjacent_difference_config_selectorILb0ElEEZNS1_24adjacent_difference_implIS3_Lb0ELb0EPlS7_N6thrust23THRUST_200600_302600_NS5minusIlEEEE10hipError_tPvRmT2_T3_mT4_P12ihipStream_tbEUlT_E_NS1_11comp_targetILNS1_3genE4ELNS1_11target_archE910ELNS1_3gpuE8ELNS1_3repE0EEENS1_30default_config_static_selectorELNS0_4arch9wavefront6targetE1EEEvT1_: ; @_ZN7rocprim17ROCPRIM_400000_NS6detail17trampoline_kernelINS0_14default_configENS1_35adjacent_difference_config_selectorILb0ElEEZNS1_24adjacent_difference_implIS3_Lb0ELb0EPlS7_N6thrust23THRUST_200600_302600_NS5minusIlEEEE10hipError_tPvRmT2_T3_mT4_P12ihipStream_tbEUlT_E_NS1_11comp_targetILNS1_3genE4ELNS1_11target_archE910ELNS1_3gpuE8ELNS1_3repE0EEENS1_30default_config_static_selectorELNS0_4arch9wavefront6targetE1EEEvT1_
; %bb.0:
	.section	.rodata,"a",@progbits
	.p2align	6, 0x0
	.amdhsa_kernel _ZN7rocprim17ROCPRIM_400000_NS6detail17trampoline_kernelINS0_14default_configENS1_35adjacent_difference_config_selectorILb0ElEEZNS1_24adjacent_difference_implIS3_Lb0ELb0EPlS7_N6thrust23THRUST_200600_302600_NS5minusIlEEEE10hipError_tPvRmT2_T3_mT4_P12ihipStream_tbEUlT_E_NS1_11comp_targetILNS1_3genE4ELNS1_11target_archE910ELNS1_3gpuE8ELNS1_3repE0EEENS1_30default_config_static_selectorELNS0_4arch9wavefront6targetE1EEEvT1_
		.amdhsa_group_segment_fixed_size 0
		.amdhsa_private_segment_fixed_size 0
		.amdhsa_kernarg_size 56
		.amdhsa_user_sgpr_count 2
		.amdhsa_user_sgpr_dispatch_ptr 0
		.amdhsa_user_sgpr_queue_ptr 0
		.amdhsa_user_sgpr_kernarg_segment_ptr 1
		.amdhsa_user_sgpr_dispatch_id 0
		.amdhsa_user_sgpr_kernarg_preload_length 0
		.amdhsa_user_sgpr_kernarg_preload_offset 0
		.amdhsa_user_sgpr_private_segment_size 0
		.amdhsa_uses_dynamic_stack 0
		.amdhsa_enable_private_segment 0
		.amdhsa_system_sgpr_workgroup_id_x 1
		.amdhsa_system_sgpr_workgroup_id_y 0
		.amdhsa_system_sgpr_workgroup_id_z 0
		.amdhsa_system_sgpr_workgroup_info 0
		.amdhsa_system_vgpr_workitem_id 0
		.amdhsa_next_free_vgpr 1
		.amdhsa_next_free_sgpr 0
		.amdhsa_accum_offset 4
		.amdhsa_reserve_vcc 0
		.amdhsa_float_round_mode_32 0
		.amdhsa_float_round_mode_16_64 0
		.amdhsa_float_denorm_mode_32 3
		.amdhsa_float_denorm_mode_16_64 3
		.amdhsa_dx10_clamp 1
		.amdhsa_ieee_mode 1
		.amdhsa_fp16_overflow 0
		.amdhsa_tg_split 0
		.amdhsa_exception_fp_ieee_invalid_op 0
		.amdhsa_exception_fp_denorm_src 0
		.amdhsa_exception_fp_ieee_div_zero 0
		.amdhsa_exception_fp_ieee_overflow 0
		.amdhsa_exception_fp_ieee_underflow 0
		.amdhsa_exception_fp_ieee_inexact 0
		.amdhsa_exception_int_div_zero 0
	.end_amdhsa_kernel
	.section	.text._ZN7rocprim17ROCPRIM_400000_NS6detail17trampoline_kernelINS0_14default_configENS1_35adjacent_difference_config_selectorILb0ElEEZNS1_24adjacent_difference_implIS3_Lb0ELb0EPlS7_N6thrust23THRUST_200600_302600_NS5minusIlEEEE10hipError_tPvRmT2_T3_mT4_P12ihipStream_tbEUlT_E_NS1_11comp_targetILNS1_3genE4ELNS1_11target_archE910ELNS1_3gpuE8ELNS1_3repE0EEENS1_30default_config_static_selectorELNS0_4arch9wavefront6targetE1EEEvT1_,"axG",@progbits,_ZN7rocprim17ROCPRIM_400000_NS6detail17trampoline_kernelINS0_14default_configENS1_35adjacent_difference_config_selectorILb0ElEEZNS1_24adjacent_difference_implIS3_Lb0ELb0EPlS7_N6thrust23THRUST_200600_302600_NS5minusIlEEEE10hipError_tPvRmT2_T3_mT4_P12ihipStream_tbEUlT_E_NS1_11comp_targetILNS1_3genE4ELNS1_11target_archE910ELNS1_3gpuE8ELNS1_3repE0EEENS1_30default_config_static_selectorELNS0_4arch9wavefront6targetE1EEEvT1_,comdat
.Lfunc_end239:
	.size	_ZN7rocprim17ROCPRIM_400000_NS6detail17trampoline_kernelINS0_14default_configENS1_35adjacent_difference_config_selectorILb0ElEEZNS1_24adjacent_difference_implIS3_Lb0ELb0EPlS7_N6thrust23THRUST_200600_302600_NS5minusIlEEEE10hipError_tPvRmT2_T3_mT4_P12ihipStream_tbEUlT_E_NS1_11comp_targetILNS1_3genE4ELNS1_11target_archE910ELNS1_3gpuE8ELNS1_3repE0EEENS1_30default_config_static_selectorELNS0_4arch9wavefront6targetE1EEEvT1_, .Lfunc_end239-_ZN7rocprim17ROCPRIM_400000_NS6detail17trampoline_kernelINS0_14default_configENS1_35adjacent_difference_config_selectorILb0ElEEZNS1_24adjacent_difference_implIS3_Lb0ELb0EPlS7_N6thrust23THRUST_200600_302600_NS5minusIlEEEE10hipError_tPvRmT2_T3_mT4_P12ihipStream_tbEUlT_E_NS1_11comp_targetILNS1_3genE4ELNS1_11target_archE910ELNS1_3gpuE8ELNS1_3repE0EEENS1_30default_config_static_selectorELNS0_4arch9wavefront6targetE1EEEvT1_
                                        ; -- End function
	.set _ZN7rocprim17ROCPRIM_400000_NS6detail17trampoline_kernelINS0_14default_configENS1_35adjacent_difference_config_selectorILb0ElEEZNS1_24adjacent_difference_implIS3_Lb0ELb0EPlS7_N6thrust23THRUST_200600_302600_NS5minusIlEEEE10hipError_tPvRmT2_T3_mT4_P12ihipStream_tbEUlT_E_NS1_11comp_targetILNS1_3genE4ELNS1_11target_archE910ELNS1_3gpuE8ELNS1_3repE0EEENS1_30default_config_static_selectorELNS0_4arch9wavefront6targetE1EEEvT1_.num_vgpr, 0
	.set _ZN7rocprim17ROCPRIM_400000_NS6detail17trampoline_kernelINS0_14default_configENS1_35adjacent_difference_config_selectorILb0ElEEZNS1_24adjacent_difference_implIS3_Lb0ELb0EPlS7_N6thrust23THRUST_200600_302600_NS5minusIlEEEE10hipError_tPvRmT2_T3_mT4_P12ihipStream_tbEUlT_E_NS1_11comp_targetILNS1_3genE4ELNS1_11target_archE910ELNS1_3gpuE8ELNS1_3repE0EEENS1_30default_config_static_selectorELNS0_4arch9wavefront6targetE1EEEvT1_.num_agpr, 0
	.set _ZN7rocprim17ROCPRIM_400000_NS6detail17trampoline_kernelINS0_14default_configENS1_35adjacent_difference_config_selectorILb0ElEEZNS1_24adjacent_difference_implIS3_Lb0ELb0EPlS7_N6thrust23THRUST_200600_302600_NS5minusIlEEEE10hipError_tPvRmT2_T3_mT4_P12ihipStream_tbEUlT_E_NS1_11comp_targetILNS1_3genE4ELNS1_11target_archE910ELNS1_3gpuE8ELNS1_3repE0EEENS1_30default_config_static_selectorELNS0_4arch9wavefront6targetE1EEEvT1_.numbered_sgpr, 0
	.set _ZN7rocprim17ROCPRIM_400000_NS6detail17trampoline_kernelINS0_14default_configENS1_35adjacent_difference_config_selectorILb0ElEEZNS1_24adjacent_difference_implIS3_Lb0ELb0EPlS7_N6thrust23THRUST_200600_302600_NS5minusIlEEEE10hipError_tPvRmT2_T3_mT4_P12ihipStream_tbEUlT_E_NS1_11comp_targetILNS1_3genE4ELNS1_11target_archE910ELNS1_3gpuE8ELNS1_3repE0EEENS1_30default_config_static_selectorELNS0_4arch9wavefront6targetE1EEEvT1_.num_named_barrier, 0
	.set _ZN7rocprim17ROCPRIM_400000_NS6detail17trampoline_kernelINS0_14default_configENS1_35adjacent_difference_config_selectorILb0ElEEZNS1_24adjacent_difference_implIS3_Lb0ELb0EPlS7_N6thrust23THRUST_200600_302600_NS5minusIlEEEE10hipError_tPvRmT2_T3_mT4_P12ihipStream_tbEUlT_E_NS1_11comp_targetILNS1_3genE4ELNS1_11target_archE910ELNS1_3gpuE8ELNS1_3repE0EEENS1_30default_config_static_selectorELNS0_4arch9wavefront6targetE1EEEvT1_.private_seg_size, 0
	.set _ZN7rocprim17ROCPRIM_400000_NS6detail17trampoline_kernelINS0_14default_configENS1_35adjacent_difference_config_selectorILb0ElEEZNS1_24adjacent_difference_implIS3_Lb0ELb0EPlS7_N6thrust23THRUST_200600_302600_NS5minusIlEEEE10hipError_tPvRmT2_T3_mT4_P12ihipStream_tbEUlT_E_NS1_11comp_targetILNS1_3genE4ELNS1_11target_archE910ELNS1_3gpuE8ELNS1_3repE0EEENS1_30default_config_static_selectorELNS0_4arch9wavefront6targetE1EEEvT1_.uses_vcc, 0
	.set _ZN7rocprim17ROCPRIM_400000_NS6detail17trampoline_kernelINS0_14default_configENS1_35adjacent_difference_config_selectorILb0ElEEZNS1_24adjacent_difference_implIS3_Lb0ELb0EPlS7_N6thrust23THRUST_200600_302600_NS5minusIlEEEE10hipError_tPvRmT2_T3_mT4_P12ihipStream_tbEUlT_E_NS1_11comp_targetILNS1_3genE4ELNS1_11target_archE910ELNS1_3gpuE8ELNS1_3repE0EEENS1_30default_config_static_selectorELNS0_4arch9wavefront6targetE1EEEvT1_.uses_flat_scratch, 0
	.set _ZN7rocprim17ROCPRIM_400000_NS6detail17trampoline_kernelINS0_14default_configENS1_35adjacent_difference_config_selectorILb0ElEEZNS1_24adjacent_difference_implIS3_Lb0ELb0EPlS7_N6thrust23THRUST_200600_302600_NS5minusIlEEEE10hipError_tPvRmT2_T3_mT4_P12ihipStream_tbEUlT_E_NS1_11comp_targetILNS1_3genE4ELNS1_11target_archE910ELNS1_3gpuE8ELNS1_3repE0EEENS1_30default_config_static_selectorELNS0_4arch9wavefront6targetE1EEEvT1_.has_dyn_sized_stack, 0
	.set _ZN7rocprim17ROCPRIM_400000_NS6detail17trampoline_kernelINS0_14default_configENS1_35adjacent_difference_config_selectorILb0ElEEZNS1_24adjacent_difference_implIS3_Lb0ELb0EPlS7_N6thrust23THRUST_200600_302600_NS5minusIlEEEE10hipError_tPvRmT2_T3_mT4_P12ihipStream_tbEUlT_E_NS1_11comp_targetILNS1_3genE4ELNS1_11target_archE910ELNS1_3gpuE8ELNS1_3repE0EEENS1_30default_config_static_selectorELNS0_4arch9wavefront6targetE1EEEvT1_.has_recursion, 0
	.set _ZN7rocprim17ROCPRIM_400000_NS6detail17trampoline_kernelINS0_14default_configENS1_35adjacent_difference_config_selectorILb0ElEEZNS1_24adjacent_difference_implIS3_Lb0ELb0EPlS7_N6thrust23THRUST_200600_302600_NS5minusIlEEEE10hipError_tPvRmT2_T3_mT4_P12ihipStream_tbEUlT_E_NS1_11comp_targetILNS1_3genE4ELNS1_11target_archE910ELNS1_3gpuE8ELNS1_3repE0EEENS1_30default_config_static_selectorELNS0_4arch9wavefront6targetE1EEEvT1_.has_indirect_call, 0
	.section	.AMDGPU.csdata,"",@progbits
; Kernel info:
; codeLenInByte = 0
; TotalNumSgprs: 6
; NumVgprs: 0
; NumAgprs: 0
; TotalNumVgprs: 0
; ScratchSize: 0
; MemoryBound: 0
; FloatMode: 240
; IeeeMode: 1
; LDSByteSize: 0 bytes/workgroup (compile time only)
; SGPRBlocks: 0
; VGPRBlocks: 0
; NumSGPRsForWavesPerEU: 6
; NumVGPRsForWavesPerEU: 1
; AccumOffset: 4
; Occupancy: 8
; WaveLimiterHint : 0
; COMPUTE_PGM_RSRC2:SCRATCH_EN: 0
; COMPUTE_PGM_RSRC2:USER_SGPR: 2
; COMPUTE_PGM_RSRC2:TRAP_HANDLER: 0
; COMPUTE_PGM_RSRC2:TGID_X_EN: 1
; COMPUTE_PGM_RSRC2:TGID_Y_EN: 0
; COMPUTE_PGM_RSRC2:TGID_Z_EN: 0
; COMPUTE_PGM_RSRC2:TIDIG_COMP_CNT: 0
; COMPUTE_PGM_RSRC3_GFX90A:ACCUM_OFFSET: 0
; COMPUTE_PGM_RSRC3_GFX90A:TG_SPLIT: 0
	.section	.text._ZN7rocprim17ROCPRIM_400000_NS6detail17trampoline_kernelINS0_14default_configENS1_35adjacent_difference_config_selectorILb0ElEEZNS1_24adjacent_difference_implIS3_Lb0ELb0EPlS7_N6thrust23THRUST_200600_302600_NS5minusIlEEEE10hipError_tPvRmT2_T3_mT4_P12ihipStream_tbEUlT_E_NS1_11comp_targetILNS1_3genE3ELNS1_11target_archE908ELNS1_3gpuE7ELNS1_3repE0EEENS1_30default_config_static_selectorELNS0_4arch9wavefront6targetE1EEEvT1_,"axG",@progbits,_ZN7rocprim17ROCPRIM_400000_NS6detail17trampoline_kernelINS0_14default_configENS1_35adjacent_difference_config_selectorILb0ElEEZNS1_24adjacent_difference_implIS3_Lb0ELb0EPlS7_N6thrust23THRUST_200600_302600_NS5minusIlEEEE10hipError_tPvRmT2_T3_mT4_P12ihipStream_tbEUlT_E_NS1_11comp_targetILNS1_3genE3ELNS1_11target_archE908ELNS1_3gpuE7ELNS1_3repE0EEENS1_30default_config_static_selectorELNS0_4arch9wavefront6targetE1EEEvT1_,comdat
	.protected	_ZN7rocprim17ROCPRIM_400000_NS6detail17trampoline_kernelINS0_14default_configENS1_35adjacent_difference_config_selectorILb0ElEEZNS1_24adjacent_difference_implIS3_Lb0ELb0EPlS7_N6thrust23THRUST_200600_302600_NS5minusIlEEEE10hipError_tPvRmT2_T3_mT4_P12ihipStream_tbEUlT_E_NS1_11comp_targetILNS1_3genE3ELNS1_11target_archE908ELNS1_3gpuE7ELNS1_3repE0EEENS1_30default_config_static_selectorELNS0_4arch9wavefront6targetE1EEEvT1_ ; -- Begin function _ZN7rocprim17ROCPRIM_400000_NS6detail17trampoline_kernelINS0_14default_configENS1_35adjacent_difference_config_selectorILb0ElEEZNS1_24adjacent_difference_implIS3_Lb0ELb0EPlS7_N6thrust23THRUST_200600_302600_NS5minusIlEEEE10hipError_tPvRmT2_T3_mT4_P12ihipStream_tbEUlT_E_NS1_11comp_targetILNS1_3genE3ELNS1_11target_archE908ELNS1_3gpuE7ELNS1_3repE0EEENS1_30default_config_static_selectorELNS0_4arch9wavefront6targetE1EEEvT1_
	.globl	_ZN7rocprim17ROCPRIM_400000_NS6detail17trampoline_kernelINS0_14default_configENS1_35adjacent_difference_config_selectorILb0ElEEZNS1_24adjacent_difference_implIS3_Lb0ELb0EPlS7_N6thrust23THRUST_200600_302600_NS5minusIlEEEE10hipError_tPvRmT2_T3_mT4_P12ihipStream_tbEUlT_E_NS1_11comp_targetILNS1_3genE3ELNS1_11target_archE908ELNS1_3gpuE7ELNS1_3repE0EEENS1_30default_config_static_selectorELNS0_4arch9wavefront6targetE1EEEvT1_
	.p2align	8
	.type	_ZN7rocprim17ROCPRIM_400000_NS6detail17trampoline_kernelINS0_14default_configENS1_35adjacent_difference_config_selectorILb0ElEEZNS1_24adjacent_difference_implIS3_Lb0ELb0EPlS7_N6thrust23THRUST_200600_302600_NS5minusIlEEEE10hipError_tPvRmT2_T3_mT4_P12ihipStream_tbEUlT_E_NS1_11comp_targetILNS1_3genE3ELNS1_11target_archE908ELNS1_3gpuE7ELNS1_3repE0EEENS1_30default_config_static_selectorELNS0_4arch9wavefront6targetE1EEEvT1_,@function
_ZN7rocprim17ROCPRIM_400000_NS6detail17trampoline_kernelINS0_14default_configENS1_35adjacent_difference_config_selectorILb0ElEEZNS1_24adjacent_difference_implIS3_Lb0ELb0EPlS7_N6thrust23THRUST_200600_302600_NS5minusIlEEEE10hipError_tPvRmT2_T3_mT4_P12ihipStream_tbEUlT_E_NS1_11comp_targetILNS1_3genE3ELNS1_11target_archE908ELNS1_3gpuE7ELNS1_3repE0EEENS1_30default_config_static_selectorELNS0_4arch9wavefront6targetE1EEEvT1_: ; @_ZN7rocprim17ROCPRIM_400000_NS6detail17trampoline_kernelINS0_14default_configENS1_35adjacent_difference_config_selectorILb0ElEEZNS1_24adjacent_difference_implIS3_Lb0ELb0EPlS7_N6thrust23THRUST_200600_302600_NS5minusIlEEEE10hipError_tPvRmT2_T3_mT4_P12ihipStream_tbEUlT_E_NS1_11comp_targetILNS1_3genE3ELNS1_11target_archE908ELNS1_3gpuE7ELNS1_3repE0EEENS1_30default_config_static_selectorELNS0_4arch9wavefront6targetE1EEEvT1_
; %bb.0:
	.section	.rodata,"a",@progbits
	.p2align	6, 0x0
	.amdhsa_kernel _ZN7rocprim17ROCPRIM_400000_NS6detail17trampoline_kernelINS0_14default_configENS1_35adjacent_difference_config_selectorILb0ElEEZNS1_24adjacent_difference_implIS3_Lb0ELb0EPlS7_N6thrust23THRUST_200600_302600_NS5minusIlEEEE10hipError_tPvRmT2_T3_mT4_P12ihipStream_tbEUlT_E_NS1_11comp_targetILNS1_3genE3ELNS1_11target_archE908ELNS1_3gpuE7ELNS1_3repE0EEENS1_30default_config_static_selectorELNS0_4arch9wavefront6targetE1EEEvT1_
		.amdhsa_group_segment_fixed_size 0
		.amdhsa_private_segment_fixed_size 0
		.amdhsa_kernarg_size 56
		.amdhsa_user_sgpr_count 2
		.amdhsa_user_sgpr_dispatch_ptr 0
		.amdhsa_user_sgpr_queue_ptr 0
		.amdhsa_user_sgpr_kernarg_segment_ptr 1
		.amdhsa_user_sgpr_dispatch_id 0
		.amdhsa_user_sgpr_kernarg_preload_length 0
		.amdhsa_user_sgpr_kernarg_preload_offset 0
		.amdhsa_user_sgpr_private_segment_size 0
		.amdhsa_uses_dynamic_stack 0
		.amdhsa_enable_private_segment 0
		.amdhsa_system_sgpr_workgroup_id_x 1
		.amdhsa_system_sgpr_workgroup_id_y 0
		.amdhsa_system_sgpr_workgroup_id_z 0
		.amdhsa_system_sgpr_workgroup_info 0
		.amdhsa_system_vgpr_workitem_id 0
		.amdhsa_next_free_vgpr 1
		.amdhsa_next_free_sgpr 0
		.amdhsa_accum_offset 4
		.amdhsa_reserve_vcc 0
		.amdhsa_float_round_mode_32 0
		.amdhsa_float_round_mode_16_64 0
		.amdhsa_float_denorm_mode_32 3
		.amdhsa_float_denorm_mode_16_64 3
		.amdhsa_dx10_clamp 1
		.amdhsa_ieee_mode 1
		.amdhsa_fp16_overflow 0
		.amdhsa_tg_split 0
		.amdhsa_exception_fp_ieee_invalid_op 0
		.amdhsa_exception_fp_denorm_src 0
		.amdhsa_exception_fp_ieee_div_zero 0
		.amdhsa_exception_fp_ieee_overflow 0
		.amdhsa_exception_fp_ieee_underflow 0
		.amdhsa_exception_fp_ieee_inexact 0
		.amdhsa_exception_int_div_zero 0
	.end_amdhsa_kernel
	.section	.text._ZN7rocprim17ROCPRIM_400000_NS6detail17trampoline_kernelINS0_14default_configENS1_35adjacent_difference_config_selectorILb0ElEEZNS1_24adjacent_difference_implIS3_Lb0ELb0EPlS7_N6thrust23THRUST_200600_302600_NS5minusIlEEEE10hipError_tPvRmT2_T3_mT4_P12ihipStream_tbEUlT_E_NS1_11comp_targetILNS1_3genE3ELNS1_11target_archE908ELNS1_3gpuE7ELNS1_3repE0EEENS1_30default_config_static_selectorELNS0_4arch9wavefront6targetE1EEEvT1_,"axG",@progbits,_ZN7rocprim17ROCPRIM_400000_NS6detail17trampoline_kernelINS0_14default_configENS1_35adjacent_difference_config_selectorILb0ElEEZNS1_24adjacent_difference_implIS3_Lb0ELb0EPlS7_N6thrust23THRUST_200600_302600_NS5minusIlEEEE10hipError_tPvRmT2_T3_mT4_P12ihipStream_tbEUlT_E_NS1_11comp_targetILNS1_3genE3ELNS1_11target_archE908ELNS1_3gpuE7ELNS1_3repE0EEENS1_30default_config_static_selectorELNS0_4arch9wavefront6targetE1EEEvT1_,comdat
.Lfunc_end240:
	.size	_ZN7rocprim17ROCPRIM_400000_NS6detail17trampoline_kernelINS0_14default_configENS1_35adjacent_difference_config_selectorILb0ElEEZNS1_24adjacent_difference_implIS3_Lb0ELb0EPlS7_N6thrust23THRUST_200600_302600_NS5minusIlEEEE10hipError_tPvRmT2_T3_mT4_P12ihipStream_tbEUlT_E_NS1_11comp_targetILNS1_3genE3ELNS1_11target_archE908ELNS1_3gpuE7ELNS1_3repE0EEENS1_30default_config_static_selectorELNS0_4arch9wavefront6targetE1EEEvT1_, .Lfunc_end240-_ZN7rocprim17ROCPRIM_400000_NS6detail17trampoline_kernelINS0_14default_configENS1_35adjacent_difference_config_selectorILb0ElEEZNS1_24adjacent_difference_implIS3_Lb0ELb0EPlS7_N6thrust23THRUST_200600_302600_NS5minusIlEEEE10hipError_tPvRmT2_T3_mT4_P12ihipStream_tbEUlT_E_NS1_11comp_targetILNS1_3genE3ELNS1_11target_archE908ELNS1_3gpuE7ELNS1_3repE0EEENS1_30default_config_static_selectorELNS0_4arch9wavefront6targetE1EEEvT1_
                                        ; -- End function
	.set _ZN7rocprim17ROCPRIM_400000_NS6detail17trampoline_kernelINS0_14default_configENS1_35adjacent_difference_config_selectorILb0ElEEZNS1_24adjacent_difference_implIS3_Lb0ELb0EPlS7_N6thrust23THRUST_200600_302600_NS5minusIlEEEE10hipError_tPvRmT2_T3_mT4_P12ihipStream_tbEUlT_E_NS1_11comp_targetILNS1_3genE3ELNS1_11target_archE908ELNS1_3gpuE7ELNS1_3repE0EEENS1_30default_config_static_selectorELNS0_4arch9wavefront6targetE1EEEvT1_.num_vgpr, 0
	.set _ZN7rocprim17ROCPRIM_400000_NS6detail17trampoline_kernelINS0_14default_configENS1_35adjacent_difference_config_selectorILb0ElEEZNS1_24adjacent_difference_implIS3_Lb0ELb0EPlS7_N6thrust23THRUST_200600_302600_NS5minusIlEEEE10hipError_tPvRmT2_T3_mT4_P12ihipStream_tbEUlT_E_NS1_11comp_targetILNS1_3genE3ELNS1_11target_archE908ELNS1_3gpuE7ELNS1_3repE0EEENS1_30default_config_static_selectorELNS0_4arch9wavefront6targetE1EEEvT1_.num_agpr, 0
	.set _ZN7rocprim17ROCPRIM_400000_NS6detail17trampoline_kernelINS0_14default_configENS1_35adjacent_difference_config_selectorILb0ElEEZNS1_24adjacent_difference_implIS3_Lb0ELb0EPlS7_N6thrust23THRUST_200600_302600_NS5minusIlEEEE10hipError_tPvRmT2_T3_mT4_P12ihipStream_tbEUlT_E_NS1_11comp_targetILNS1_3genE3ELNS1_11target_archE908ELNS1_3gpuE7ELNS1_3repE0EEENS1_30default_config_static_selectorELNS0_4arch9wavefront6targetE1EEEvT1_.numbered_sgpr, 0
	.set _ZN7rocprim17ROCPRIM_400000_NS6detail17trampoline_kernelINS0_14default_configENS1_35adjacent_difference_config_selectorILb0ElEEZNS1_24adjacent_difference_implIS3_Lb0ELb0EPlS7_N6thrust23THRUST_200600_302600_NS5minusIlEEEE10hipError_tPvRmT2_T3_mT4_P12ihipStream_tbEUlT_E_NS1_11comp_targetILNS1_3genE3ELNS1_11target_archE908ELNS1_3gpuE7ELNS1_3repE0EEENS1_30default_config_static_selectorELNS0_4arch9wavefront6targetE1EEEvT1_.num_named_barrier, 0
	.set _ZN7rocprim17ROCPRIM_400000_NS6detail17trampoline_kernelINS0_14default_configENS1_35adjacent_difference_config_selectorILb0ElEEZNS1_24adjacent_difference_implIS3_Lb0ELb0EPlS7_N6thrust23THRUST_200600_302600_NS5minusIlEEEE10hipError_tPvRmT2_T3_mT4_P12ihipStream_tbEUlT_E_NS1_11comp_targetILNS1_3genE3ELNS1_11target_archE908ELNS1_3gpuE7ELNS1_3repE0EEENS1_30default_config_static_selectorELNS0_4arch9wavefront6targetE1EEEvT1_.private_seg_size, 0
	.set _ZN7rocprim17ROCPRIM_400000_NS6detail17trampoline_kernelINS0_14default_configENS1_35adjacent_difference_config_selectorILb0ElEEZNS1_24adjacent_difference_implIS3_Lb0ELb0EPlS7_N6thrust23THRUST_200600_302600_NS5minusIlEEEE10hipError_tPvRmT2_T3_mT4_P12ihipStream_tbEUlT_E_NS1_11comp_targetILNS1_3genE3ELNS1_11target_archE908ELNS1_3gpuE7ELNS1_3repE0EEENS1_30default_config_static_selectorELNS0_4arch9wavefront6targetE1EEEvT1_.uses_vcc, 0
	.set _ZN7rocprim17ROCPRIM_400000_NS6detail17trampoline_kernelINS0_14default_configENS1_35adjacent_difference_config_selectorILb0ElEEZNS1_24adjacent_difference_implIS3_Lb0ELb0EPlS7_N6thrust23THRUST_200600_302600_NS5minusIlEEEE10hipError_tPvRmT2_T3_mT4_P12ihipStream_tbEUlT_E_NS1_11comp_targetILNS1_3genE3ELNS1_11target_archE908ELNS1_3gpuE7ELNS1_3repE0EEENS1_30default_config_static_selectorELNS0_4arch9wavefront6targetE1EEEvT1_.uses_flat_scratch, 0
	.set _ZN7rocprim17ROCPRIM_400000_NS6detail17trampoline_kernelINS0_14default_configENS1_35adjacent_difference_config_selectorILb0ElEEZNS1_24adjacent_difference_implIS3_Lb0ELb0EPlS7_N6thrust23THRUST_200600_302600_NS5minusIlEEEE10hipError_tPvRmT2_T3_mT4_P12ihipStream_tbEUlT_E_NS1_11comp_targetILNS1_3genE3ELNS1_11target_archE908ELNS1_3gpuE7ELNS1_3repE0EEENS1_30default_config_static_selectorELNS0_4arch9wavefront6targetE1EEEvT1_.has_dyn_sized_stack, 0
	.set _ZN7rocprim17ROCPRIM_400000_NS6detail17trampoline_kernelINS0_14default_configENS1_35adjacent_difference_config_selectorILb0ElEEZNS1_24adjacent_difference_implIS3_Lb0ELb0EPlS7_N6thrust23THRUST_200600_302600_NS5minusIlEEEE10hipError_tPvRmT2_T3_mT4_P12ihipStream_tbEUlT_E_NS1_11comp_targetILNS1_3genE3ELNS1_11target_archE908ELNS1_3gpuE7ELNS1_3repE0EEENS1_30default_config_static_selectorELNS0_4arch9wavefront6targetE1EEEvT1_.has_recursion, 0
	.set _ZN7rocprim17ROCPRIM_400000_NS6detail17trampoline_kernelINS0_14default_configENS1_35adjacent_difference_config_selectorILb0ElEEZNS1_24adjacent_difference_implIS3_Lb0ELb0EPlS7_N6thrust23THRUST_200600_302600_NS5minusIlEEEE10hipError_tPvRmT2_T3_mT4_P12ihipStream_tbEUlT_E_NS1_11comp_targetILNS1_3genE3ELNS1_11target_archE908ELNS1_3gpuE7ELNS1_3repE0EEENS1_30default_config_static_selectorELNS0_4arch9wavefront6targetE1EEEvT1_.has_indirect_call, 0
	.section	.AMDGPU.csdata,"",@progbits
; Kernel info:
; codeLenInByte = 0
; TotalNumSgprs: 6
; NumVgprs: 0
; NumAgprs: 0
; TotalNumVgprs: 0
; ScratchSize: 0
; MemoryBound: 0
; FloatMode: 240
; IeeeMode: 1
; LDSByteSize: 0 bytes/workgroup (compile time only)
; SGPRBlocks: 0
; VGPRBlocks: 0
; NumSGPRsForWavesPerEU: 6
; NumVGPRsForWavesPerEU: 1
; AccumOffset: 4
; Occupancy: 8
; WaveLimiterHint : 0
; COMPUTE_PGM_RSRC2:SCRATCH_EN: 0
; COMPUTE_PGM_RSRC2:USER_SGPR: 2
; COMPUTE_PGM_RSRC2:TRAP_HANDLER: 0
; COMPUTE_PGM_RSRC2:TGID_X_EN: 1
; COMPUTE_PGM_RSRC2:TGID_Y_EN: 0
; COMPUTE_PGM_RSRC2:TGID_Z_EN: 0
; COMPUTE_PGM_RSRC2:TIDIG_COMP_CNT: 0
; COMPUTE_PGM_RSRC3_GFX90A:ACCUM_OFFSET: 0
; COMPUTE_PGM_RSRC3_GFX90A:TG_SPLIT: 0
	.section	.text._ZN7rocprim17ROCPRIM_400000_NS6detail17trampoline_kernelINS0_14default_configENS1_35adjacent_difference_config_selectorILb0ElEEZNS1_24adjacent_difference_implIS3_Lb0ELb0EPlS7_N6thrust23THRUST_200600_302600_NS5minusIlEEEE10hipError_tPvRmT2_T3_mT4_P12ihipStream_tbEUlT_E_NS1_11comp_targetILNS1_3genE2ELNS1_11target_archE906ELNS1_3gpuE6ELNS1_3repE0EEENS1_30default_config_static_selectorELNS0_4arch9wavefront6targetE1EEEvT1_,"axG",@progbits,_ZN7rocprim17ROCPRIM_400000_NS6detail17trampoline_kernelINS0_14default_configENS1_35adjacent_difference_config_selectorILb0ElEEZNS1_24adjacent_difference_implIS3_Lb0ELb0EPlS7_N6thrust23THRUST_200600_302600_NS5minusIlEEEE10hipError_tPvRmT2_T3_mT4_P12ihipStream_tbEUlT_E_NS1_11comp_targetILNS1_3genE2ELNS1_11target_archE906ELNS1_3gpuE6ELNS1_3repE0EEENS1_30default_config_static_selectorELNS0_4arch9wavefront6targetE1EEEvT1_,comdat
	.protected	_ZN7rocprim17ROCPRIM_400000_NS6detail17trampoline_kernelINS0_14default_configENS1_35adjacent_difference_config_selectorILb0ElEEZNS1_24adjacent_difference_implIS3_Lb0ELb0EPlS7_N6thrust23THRUST_200600_302600_NS5minusIlEEEE10hipError_tPvRmT2_T3_mT4_P12ihipStream_tbEUlT_E_NS1_11comp_targetILNS1_3genE2ELNS1_11target_archE906ELNS1_3gpuE6ELNS1_3repE0EEENS1_30default_config_static_selectorELNS0_4arch9wavefront6targetE1EEEvT1_ ; -- Begin function _ZN7rocprim17ROCPRIM_400000_NS6detail17trampoline_kernelINS0_14default_configENS1_35adjacent_difference_config_selectorILb0ElEEZNS1_24adjacent_difference_implIS3_Lb0ELb0EPlS7_N6thrust23THRUST_200600_302600_NS5minusIlEEEE10hipError_tPvRmT2_T3_mT4_P12ihipStream_tbEUlT_E_NS1_11comp_targetILNS1_3genE2ELNS1_11target_archE906ELNS1_3gpuE6ELNS1_3repE0EEENS1_30default_config_static_selectorELNS0_4arch9wavefront6targetE1EEEvT1_
	.globl	_ZN7rocprim17ROCPRIM_400000_NS6detail17trampoline_kernelINS0_14default_configENS1_35adjacent_difference_config_selectorILb0ElEEZNS1_24adjacent_difference_implIS3_Lb0ELb0EPlS7_N6thrust23THRUST_200600_302600_NS5minusIlEEEE10hipError_tPvRmT2_T3_mT4_P12ihipStream_tbEUlT_E_NS1_11comp_targetILNS1_3genE2ELNS1_11target_archE906ELNS1_3gpuE6ELNS1_3repE0EEENS1_30default_config_static_selectorELNS0_4arch9wavefront6targetE1EEEvT1_
	.p2align	8
	.type	_ZN7rocprim17ROCPRIM_400000_NS6detail17trampoline_kernelINS0_14default_configENS1_35adjacent_difference_config_selectorILb0ElEEZNS1_24adjacent_difference_implIS3_Lb0ELb0EPlS7_N6thrust23THRUST_200600_302600_NS5minusIlEEEE10hipError_tPvRmT2_T3_mT4_P12ihipStream_tbEUlT_E_NS1_11comp_targetILNS1_3genE2ELNS1_11target_archE906ELNS1_3gpuE6ELNS1_3repE0EEENS1_30default_config_static_selectorELNS0_4arch9wavefront6targetE1EEEvT1_,@function
_ZN7rocprim17ROCPRIM_400000_NS6detail17trampoline_kernelINS0_14default_configENS1_35adjacent_difference_config_selectorILb0ElEEZNS1_24adjacent_difference_implIS3_Lb0ELb0EPlS7_N6thrust23THRUST_200600_302600_NS5minusIlEEEE10hipError_tPvRmT2_T3_mT4_P12ihipStream_tbEUlT_E_NS1_11comp_targetILNS1_3genE2ELNS1_11target_archE906ELNS1_3gpuE6ELNS1_3repE0EEENS1_30default_config_static_selectorELNS0_4arch9wavefront6targetE1EEEvT1_: ; @_ZN7rocprim17ROCPRIM_400000_NS6detail17trampoline_kernelINS0_14default_configENS1_35adjacent_difference_config_selectorILb0ElEEZNS1_24adjacent_difference_implIS3_Lb0ELb0EPlS7_N6thrust23THRUST_200600_302600_NS5minusIlEEEE10hipError_tPvRmT2_T3_mT4_P12ihipStream_tbEUlT_E_NS1_11comp_targetILNS1_3genE2ELNS1_11target_archE906ELNS1_3gpuE6ELNS1_3repE0EEENS1_30default_config_static_selectorELNS0_4arch9wavefront6targetE1EEEvT1_
; %bb.0:
	.section	.rodata,"a",@progbits
	.p2align	6, 0x0
	.amdhsa_kernel _ZN7rocprim17ROCPRIM_400000_NS6detail17trampoline_kernelINS0_14default_configENS1_35adjacent_difference_config_selectorILb0ElEEZNS1_24adjacent_difference_implIS3_Lb0ELb0EPlS7_N6thrust23THRUST_200600_302600_NS5minusIlEEEE10hipError_tPvRmT2_T3_mT4_P12ihipStream_tbEUlT_E_NS1_11comp_targetILNS1_3genE2ELNS1_11target_archE906ELNS1_3gpuE6ELNS1_3repE0EEENS1_30default_config_static_selectorELNS0_4arch9wavefront6targetE1EEEvT1_
		.amdhsa_group_segment_fixed_size 0
		.amdhsa_private_segment_fixed_size 0
		.amdhsa_kernarg_size 56
		.amdhsa_user_sgpr_count 2
		.amdhsa_user_sgpr_dispatch_ptr 0
		.amdhsa_user_sgpr_queue_ptr 0
		.amdhsa_user_sgpr_kernarg_segment_ptr 1
		.amdhsa_user_sgpr_dispatch_id 0
		.amdhsa_user_sgpr_kernarg_preload_length 0
		.amdhsa_user_sgpr_kernarg_preload_offset 0
		.amdhsa_user_sgpr_private_segment_size 0
		.amdhsa_uses_dynamic_stack 0
		.amdhsa_enable_private_segment 0
		.amdhsa_system_sgpr_workgroup_id_x 1
		.amdhsa_system_sgpr_workgroup_id_y 0
		.amdhsa_system_sgpr_workgroup_id_z 0
		.amdhsa_system_sgpr_workgroup_info 0
		.amdhsa_system_vgpr_workitem_id 0
		.amdhsa_next_free_vgpr 1
		.amdhsa_next_free_sgpr 0
		.amdhsa_accum_offset 4
		.amdhsa_reserve_vcc 0
		.amdhsa_float_round_mode_32 0
		.amdhsa_float_round_mode_16_64 0
		.amdhsa_float_denorm_mode_32 3
		.amdhsa_float_denorm_mode_16_64 3
		.amdhsa_dx10_clamp 1
		.amdhsa_ieee_mode 1
		.amdhsa_fp16_overflow 0
		.amdhsa_tg_split 0
		.amdhsa_exception_fp_ieee_invalid_op 0
		.amdhsa_exception_fp_denorm_src 0
		.amdhsa_exception_fp_ieee_div_zero 0
		.amdhsa_exception_fp_ieee_overflow 0
		.amdhsa_exception_fp_ieee_underflow 0
		.amdhsa_exception_fp_ieee_inexact 0
		.amdhsa_exception_int_div_zero 0
	.end_amdhsa_kernel
	.section	.text._ZN7rocprim17ROCPRIM_400000_NS6detail17trampoline_kernelINS0_14default_configENS1_35adjacent_difference_config_selectorILb0ElEEZNS1_24adjacent_difference_implIS3_Lb0ELb0EPlS7_N6thrust23THRUST_200600_302600_NS5minusIlEEEE10hipError_tPvRmT2_T3_mT4_P12ihipStream_tbEUlT_E_NS1_11comp_targetILNS1_3genE2ELNS1_11target_archE906ELNS1_3gpuE6ELNS1_3repE0EEENS1_30default_config_static_selectorELNS0_4arch9wavefront6targetE1EEEvT1_,"axG",@progbits,_ZN7rocprim17ROCPRIM_400000_NS6detail17trampoline_kernelINS0_14default_configENS1_35adjacent_difference_config_selectorILb0ElEEZNS1_24adjacent_difference_implIS3_Lb0ELb0EPlS7_N6thrust23THRUST_200600_302600_NS5minusIlEEEE10hipError_tPvRmT2_T3_mT4_P12ihipStream_tbEUlT_E_NS1_11comp_targetILNS1_3genE2ELNS1_11target_archE906ELNS1_3gpuE6ELNS1_3repE0EEENS1_30default_config_static_selectorELNS0_4arch9wavefront6targetE1EEEvT1_,comdat
.Lfunc_end241:
	.size	_ZN7rocprim17ROCPRIM_400000_NS6detail17trampoline_kernelINS0_14default_configENS1_35adjacent_difference_config_selectorILb0ElEEZNS1_24adjacent_difference_implIS3_Lb0ELb0EPlS7_N6thrust23THRUST_200600_302600_NS5minusIlEEEE10hipError_tPvRmT2_T3_mT4_P12ihipStream_tbEUlT_E_NS1_11comp_targetILNS1_3genE2ELNS1_11target_archE906ELNS1_3gpuE6ELNS1_3repE0EEENS1_30default_config_static_selectorELNS0_4arch9wavefront6targetE1EEEvT1_, .Lfunc_end241-_ZN7rocprim17ROCPRIM_400000_NS6detail17trampoline_kernelINS0_14default_configENS1_35adjacent_difference_config_selectorILb0ElEEZNS1_24adjacent_difference_implIS3_Lb0ELb0EPlS7_N6thrust23THRUST_200600_302600_NS5minusIlEEEE10hipError_tPvRmT2_T3_mT4_P12ihipStream_tbEUlT_E_NS1_11comp_targetILNS1_3genE2ELNS1_11target_archE906ELNS1_3gpuE6ELNS1_3repE0EEENS1_30default_config_static_selectorELNS0_4arch9wavefront6targetE1EEEvT1_
                                        ; -- End function
	.set _ZN7rocprim17ROCPRIM_400000_NS6detail17trampoline_kernelINS0_14default_configENS1_35adjacent_difference_config_selectorILb0ElEEZNS1_24adjacent_difference_implIS3_Lb0ELb0EPlS7_N6thrust23THRUST_200600_302600_NS5minusIlEEEE10hipError_tPvRmT2_T3_mT4_P12ihipStream_tbEUlT_E_NS1_11comp_targetILNS1_3genE2ELNS1_11target_archE906ELNS1_3gpuE6ELNS1_3repE0EEENS1_30default_config_static_selectorELNS0_4arch9wavefront6targetE1EEEvT1_.num_vgpr, 0
	.set _ZN7rocprim17ROCPRIM_400000_NS6detail17trampoline_kernelINS0_14default_configENS1_35adjacent_difference_config_selectorILb0ElEEZNS1_24adjacent_difference_implIS3_Lb0ELb0EPlS7_N6thrust23THRUST_200600_302600_NS5minusIlEEEE10hipError_tPvRmT2_T3_mT4_P12ihipStream_tbEUlT_E_NS1_11comp_targetILNS1_3genE2ELNS1_11target_archE906ELNS1_3gpuE6ELNS1_3repE0EEENS1_30default_config_static_selectorELNS0_4arch9wavefront6targetE1EEEvT1_.num_agpr, 0
	.set _ZN7rocprim17ROCPRIM_400000_NS6detail17trampoline_kernelINS0_14default_configENS1_35adjacent_difference_config_selectorILb0ElEEZNS1_24adjacent_difference_implIS3_Lb0ELb0EPlS7_N6thrust23THRUST_200600_302600_NS5minusIlEEEE10hipError_tPvRmT2_T3_mT4_P12ihipStream_tbEUlT_E_NS1_11comp_targetILNS1_3genE2ELNS1_11target_archE906ELNS1_3gpuE6ELNS1_3repE0EEENS1_30default_config_static_selectorELNS0_4arch9wavefront6targetE1EEEvT1_.numbered_sgpr, 0
	.set _ZN7rocprim17ROCPRIM_400000_NS6detail17trampoline_kernelINS0_14default_configENS1_35adjacent_difference_config_selectorILb0ElEEZNS1_24adjacent_difference_implIS3_Lb0ELb0EPlS7_N6thrust23THRUST_200600_302600_NS5minusIlEEEE10hipError_tPvRmT2_T3_mT4_P12ihipStream_tbEUlT_E_NS1_11comp_targetILNS1_3genE2ELNS1_11target_archE906ELNS1_3gpuE6ELNS1_3repE0EEENS1_30default_config_static_selectorELNS0_4arch9wavefront6targetE1EEEvT1_.num_named_barrier, 0
	.set _ZN7rocprim17ROCPRIM_400000_NS6detail17trampoline_kernelINS0_14default_configENS1_35adjacent_difference_config_selectorILb0ElEEZNS1_24adjacent_difference_implIS3_Lb0ELb0EPlS7_N6thrust23THRUST_200600_302600_NS5minusIlEEEE10hipError_tPvRmT2_T3_mT4_P12ihipStream_tbEUlT_E_NS1_11comp_targetILNS1_3genE2ELNS1_11target_archE906ELNS1_3gpuE6ELNS1_3repE0EEENS1_30default_config_static_selectorELNS0_4arch9wavefront6targetE1EEEvT1_.private_seg_size, 0
	.set _ZN7rocprim17ROCPRIM_400000_NS6detail17trampoline_kernelINS0_14default_configENS1_35adjacent_difference_config_selectorILb0ElEEZNS1_24adjacent_difference_implIS3_Lb0ELb0EPlS7_N6thrust23THRUST_200600_302600_NS5minusIlEEEE10hipError_tPvRmT2_T3_mT4_P12ihipStream_tbEUlT_E_NS1_11comp_targetILNS1_3genE2ELNS1_11target_archE906ELNS1_3gpuE6ELNS1_3repE0EEENS1_30default_config_static_selectorELNS0_4arch9wavefront6targetE1EEEvT1_.uses_vcc, 0
	.set _ZN7rocprim17ROCPRIM_400000_NS6detail17trampoline_kernelINS0_14default_configENS1_35adjacent_difference_config_selectorILb0ElEEZNS1_24adjacent_difference_implIS3_Lb0ELb0EPlS7_N6thrust23THRUST_200600_302600_NS5minusIlEEEE10hipError_tPvRmT2_T3_mT4_P12ihipStream_tbEUlT_E_NS1_11comp_targetILNS1_3genE2ELNS1_11target_archE906ELNS1_3gpuE6ELNS1_3repE0EEENS1_30default_config_static_selectorELNS0_4arch9wavefront6targetE1EEEvT1_.uses_flat_scratch, 0
	.set _ZN7rocprim17ROCPRIM_400000_NS6detail17trampoline_kernelINS0_14default_configENS1_35adjacent_difference_config_selectorILb0ElEEZNS1_24adjacent_difference_implIS3_Lb0ELb0EPlS7_N6thrust23THRUST_200600_302600_NS5minusIlEEEE10hipError_tPvRmT2_T3_mT4_P12ihipStream_tbEUlT_E_NS1_11comp_targetILNS1_3genE2ELNS1_11target_archE906ELNS1_3gpuE6ELNS1_3repE0EEENS1_30default_config_static_selectorELNS0_4arch9wavefront6targetE1EEEvT1_.has_dyn_sized_stack, 0
	.set _ZN7rocprim17ROCPRIM_400000_NS6detail17trampoline_kernelINS0_14default_configENS1_35adjacent_difference_config_selectorILb0ElEEZNS1_24adjacent_difference_implIS3_Lb0ELb0EPlS7_N6thrust23THRUST_200600_302600_NS5minusIlEEEE10hipError_tPvRmT2_T3_mT4_P12ihipStream_tbEUlT_E_NS1_11comp_targetILNS1_3genE2ELNS1_11target_archE906ELNS1_3gpuE6ELNS1_3repE0EEENS1_30default_config_static_selectorELNS0_4arch9wavefront6targetE1EEEvT1_.has_recursion, 0
	.set _ZN7rocprim17ROCPRIM_400000_NS6detail17trampoline_kernelINS0_14default_configENS1_35adjacent_difference_config_selectorILb0ElEEZNS1_24adjacent_difference_implIS3_Lb0ELb0EPlS7_N6thrust23THRUST_200600_302600_NS5minusIlEEEE10hipError_tPvRmT2_T3_mT4_P12ihipStream_tbEUlT_E_NS1_11comp_targetILNS1_3genE2ELNS1_11target_archE906ELNS1_3gpuE6ELNS1_3repE0EEENS1_30default_config_static_selectorELNS0_4arch9wavefront6targetE1EEEvT1_.has_indirect_call, 0
	.section	.AMDGPU.csdata,"",@progbits
; Kernel info:
; codeLenInByte = 0
; TotalNumSgprs: 6
; NumVgprs: 0
; NumAgprs: 0
; TotalNumVgprs: 0
; ScratchSize: 0
; MemoryBound: 0
; FloatMode: 240
; IeeeMode: 1
; LDSByteSize: 0 bytes/workgroup (compile time only)
; SGPRBlocks: 0
; VGPRBlocks: 0
; NumSGPRsForWavesPerEU: 6
; NumVGPRsForWavesPerEU: 1
; AccumOffset: 4
; Occupancy: 8
; WaveLimiterHint : 0
; COMPUTE_PGM_RSRC2:SCRATCH_EN: 0
; COMPUTE_PGM_RSRC2:USER_SGPR: 2
; COMPUTE_PGM_RSRC2:TRAP_HANDLER: 0
; COMPUTE_PGM_RSRC2:TGID_X_EN: 1
; COMPUTE_PGM_RSRC2:TGID_Y_EN: 0
; COMPUTE_PGM_RSRC2:TGID_Z_EN: 0
; COMPUTE_PGM_RSRC2:TIDIG_COMP_CNT: 0
; COMPUTE_PGM_RSRC3_GFX90A:ACCUM_OFFSET: 0
; COMPUTE_PGM_RSRC3_GFX90A:TG_SPLIT: 0
	.section	.text._ZN7rocprim17ROCPRIM_400000_NS6detail17trampoline_kernelINS0_14default_configENS1_35adjacent_difference_config_selectorILb0ElEEZNS1_24adjacent_difference_implIS3_Lb0ELb0EPlS7_N6thrust23THRUST_200600_302600_NS5minusIlEEEE10hipError_tPvRmT2_T3_mT4_P12ihipStream_tbEUlT_E_NS1_11comp_targetILNS1_3genE9ELNS1_11target_archE1100ELNS1_3gpuE3ELNS1_3repE0EEENS1_30default_config_static_selectorELNS0_4arch9wavefront6targetE1EEEvT1_,"axG",@progbits,_ZN7rocprim17ROCPRIM_400000_NS6detail17trampoline_kernelINS0_14default_configENS1_35adjacent_difference_config_selectorILb0ElEEZNS1_24adjacent_difference_implIS3_Lb0ELb0EPlS7_N6thrust23THRUST_200600_302600_NS5minusIlEEEE10hipError_tPvRmT2_T3_mT4_P12ihipStream_tbEUlT_E_NS1_11comp_targetILNS1_3genE9ELNS1_11target_archE1100ELNS1_3gpuE3ELNS1_3repE0EEENS1_30default_config_static_selectorELNS0_4arch9wavefront6targetE1EEEvT1_,comdat
	.protected	_ZN7rocprim17ROCPRIM_400000_NS6detail17trampoline_kernelINS0_14default_configENS1_35adjacent_difference_config_selectorILb0ElEEZNS1_24adjacent_difference_implIS3_Lb0ELb0EPlS7_N6thrust23THRUST_200600_302600_NS5minusIlEEEE10hipError_tPvRmT2_T3_mT4_P12ihipStream_tbEUlT_E_NS1_11comp_targetILNS1_3genE9ELNS1_11target_archE1100ELNS1_3gpuE3ELNS1_3repE0EEENS1_30default_config_static_selectorELNS0_4arch9wavefront6targetE1EEEvT1_ ; -- Begin function _ZN7rocprim17ROCPRIM_400000_NS6detail17trampoline_kernelINS0_14default_configENS1_35adjacent_difference_config_selectorILb0ElEEZNS1_24adjacent_difference_implIS3_Lb0ELb0EPlS7_N6thrust23THRUST_200600_302600_NS5minusIlEEEE10hipError_tPvRmT2_T3_mT4_P12ihipStream_tbEUlT_E_NS1_11comp_targetILNS1_3genE9ELNS1_11target_archE1100ELNS1_3gpuE3ELNS1_3repE0EEENS1_30default_config_static_selectorELNS0_4arch9wavefront6targetE1EEEvT1_
	.globl	_ZN7rocprim17ROCPRIM_400000_NS6detail17trampoline_kernelINS0_14default_configENS1_35adjacent_difference_config_selectorILb0ElEEZNS1_24adjacent_difference_implIS3_Lb0ELb0EPlS7_N6thrust23THRUST_200600_302600_NS5minusIlEEEE10hipError_tPvRmT2_T3_mT4_P12ihipStream_tbEUlT_E_NS1_11comp_targetILNS1_3genE9ELNS1_11target_archE1100ELNS1_3gpuE3ELNS1_3repE0EEENS1_30default_config_static_selectorELNS0_4arch9wavefront6targetE1EEEvT1_
	.p2align	8
	.type	_ZN7rocprim17ROCPRIM_400000_NS6detail17trampoline_kernelINS0_14default_configENS1_35adjacent_difference_config_selectorILb0ElEEZNS1_24adjacent_difference_implIS3_Lb0ELb0EPlS7_N6thrust23THRUST_200600_302600_NS5minusIlEEEE10hipError_tPvRmT2_T3_mT4_P12ihipStream_tbEUlT_E_NS1_11comp_targetILNS1_3genE9ELNS1_11target_archE1100ELNS1_3gpuE3ELNS1_3repE0EEENS1_30default_config_static_selectorELNS0_4arch9wavefront6targetE1EEEvT1_,@function
_ZN7rocprim17ROCPRIM_400000_NS6detail17trampoline_kernelINS0_14default_configENS1_35adjacent_difference_config_selectorILb0ElEEZNS1_24adjacent_difference_implIS3_Lb0ELb0EPlS7_N6thrust23THRUST_200600_302600_NS5minusIlEEEE10hipError_tPvRmT2_T3_mT4_P12ihipStream_tbEUlT_E_NS1_11comp_targetILNS1_3genE9ELNS1_11target_archE1100ELNS1_3gpuE3ELNS1_3repE0EEENS1_30default_config_static_selectorELNS0_4arch9wavefront6targetE1EEEvT1_: ; @_ZN7rocprim17ROCPRIM_400000_NS6detail17trampoline_kernelINS0_14default_configENS1_35adjacent_difference_config_selectorILb0ElEEZNS1_24adjacent_difference_implIS3_Lb0ELb0EPlS7_N6thrust23THRUST_200600_302600_NS5minusIlEEEE10hipError_tPvRmT2_T3_mT4_P12ihipStream_tbEUlT_E_NS1_11comp_targetILNS1_3genE9ELNS1_11target_archE1100ELNS1_3gpuE3ELNS1_3repE0EEENS1_30default_config_static_selectorELNS0_4arch9wavefront6targetE1EEEvT1_
; %bb.0:
	.section	.rodata,"a",@progbits
	.p2align	6, 0x0
	.amdhsa_kernel _ZN7rocprim17ROCPRIM_400000_NS6detail17trampoline_kernelINS0_14default_configENS1_35adjacent_difference_config_selectorILb0ElEEZNS1_24adjacent_difference_implIS3_Lb0ELb0EPlS7_N6thrust23THRUST_200600_302600_NS5minusIlEEEE10hipError_tPvRmT2_T3_mT4_P12ihipStream_tbEUlT_E_NS1_11comp_targetILNS1_3genE9ELNS1_11target_archE1100ELNS1_3gpuE3ELNS1_3repE0EEENS1_30default_config_static_selectorELNS0_4arch9wavefront6targetE1EEEvT1_
		.amdhsa_group_segment_fixed_size 0
		.amdhsa_private_segment_fixed_size 0
		.amdhsa_kernarg_size 56
		.amdhsa_user_sgpr_count 2
		.amdhsa_user_sgpr_dispatch_ptr 0
		.amdhsa_user_sgpr_queue_ptr 0
		.amdhsa_user_sgpr_kernarg_segment_ptr 1
		.amdhsa_user_sgpr_dispatch_id 0
		.amdhsa_user_sgpr_kernarg_preload_length 0
		.amdhsa_user_sgpr_kernarg_preload_offset 0
		.amdhsa_user_sgpr_private_segment_size 0
		.amdhsa_uses_dynamic_stack 0
		.amdhsa_enable_private_segment 0
		.amdhsa_system_sgpr_workgroup_id_x 1
		.amdhsa_system_sgpr_workgroup_id_y 0
		.amdhsa_system_sgpr_workgroup_id_z 0
		.amdhsa_system_sgpr_workgroup_info 0
		.amdhsa_system_vgpr_workitem_id 0
		.amdhsa_next_free_vgpr 1
		.amdhsa_next_free_sgpr 0
		.amdhsa_accum_offset 4
		.amdhsa_reserve_vcc 0
		.amdhsa_float_round_mode_32 0
		.amdhsa_float_round_mode_16_64 0
		.amdhsa_float_denorm_mode_32 3
		.amdhsa_float_denorm_mode_16_64 3
		.amdhsa_dx10_clamp 1
		.amdhsa_ieee_mode 1
		.amdhsa_fp16_overflow 0
		.amdhsa_tg_split 0
		.amdhsa_exception_fp_ieee_invalid_op 0
		.amdhsa_exception_fp_denorm_src 0
		.amdhsa_exception_fp_ieee_div_zero 0
		.amdhsa_exception_fp_ieee_overflow 0
		.amdhsa_exception_fp_ieee_underflow 0
		.amdhsa_exception_fp_ieee_inexact 0
		.amdhsa_exception_int_div_zero 0
	.end_amdhsa_kernel
	.section	.text._ZN7rocprim17ROCPRIM_400000_NS6detail17trampoline_kernelINS0_14default_configENS1_35adjacent_difference_config_selectorILb0ElEEZNS1_24adjacent_difference_implIS3_Lb0ELb0EPlS7_N6thrust23THRUST_200600_302600_NS5minusIlEEEE10hipError_tPvRmT2_T3_mT4_P12ihipStream_tbEUlT_E_NS1_11comp_targetILNS1_3genE9ELNS1_11target_archE1100ELNS1_3gpuE3ELNS1_3repE0EEENS1_30default_config_static_selectorELNS0_4arch9wavefront6targetE1EEEvT1_,"axG",@progbits,_ZN7rocprim17ROCPRIM_400000_NS6detail17trampoline_kernelINS0_14default_configENS1_35adjacent_difference_config_selectorILb0ElEEZNS1_24adjacent_difference_implIS3_Lb0ELb0EPlS7_N6thrust23THRUST_200600_302600_NS5minusIlEEEE10hipError_tPvRmT2_T3_mT4_P12ihipStream_tbEUlT_E_NS1_11comp_targetILNS1_3genE9ELNS1_11target_archE1100ELNS1_3gpuE3ELNS1_3repE0EEENS1_30default_config_static_selectorELNS0_4arch9wavefront6targetE1EEEvT1_,comdat
.Lfunc_end242:
	.size	_ZN7rocprim17ROCPRIM_400000_NS6detail17trampoline_kernelINS0_14default_configENS1_35adjacent_difference_config_selectorILb0ElEEZNS1_24adjacent_difference_implIS3_Lb0ELb0EPlS7_N6thrust23THRUST_200600_302600_NS5minusIlEEEE10hipError_tPvRmT2_T3_mT4_P12ihipStream_tbEUlT_E_NS1_11comp_targetILNS1_3genE9ELNS1_11target_archE1100ELNS1_3gpuE3ELNS1_3repE0EEENS1_30default_config_static_selectorELNS0_4arch9wavefront6targetE1EEEvT1_, .Lfunc_end242-_ZN7rocprim17ROCPRIM_400000_NS6detail17trampoline_kernelINS0_14default_configENS1_35adjacent_difference_config_selectorILb0ElEEZNS1_24adjacent_difference_implIS3_Lb0ELb0EPlS7_N6thrust23THRUST_200600_302600_NS5minusIlEEEE10hipError_tPvRmT2_T3_mT4_P12ihipStream_tbEUlT_E_NS1_11comp_targetILNS1_3genE9ELNS1_11target_archE1100ELNS1_3gpuE3ELNS1_3repE0EEENS1_30default_config_static_selectorELNS0_4arch9wavefront6targetE1EEEvT1_
                                        ; -- End function
	.set _ZN7rocprim17ROCPRIM_400000_NS6detail17trampoline_kernelINS0_14default_configENS1_35adjacent_difference_config_selectorILb0ElEEZNS1_24adjacent_difference_implIS3_Lb0ELb0EPlS7_N6thrust23THRUST_200600_302600_NS5minusIlEEEE10hipError_tPvRmT2_T3_mT4_P12ihipStream_tbEUlT_E_NS1_11comp_targetILNS1_3genE9ELNS1_11target_archE1100ELNS1_3gpuE3ELNS1_3repE0EEENS1_30default_config_static_selectorELNS0_4arch9wavefront6targetE1EEEvT1_.num_vgpr, 0
	.set _ZN7rocprim17ROCPRIM_400000_NS6detail17trampoline_kernelINS0_14default_configENS1_35adjacent_difference_config_selectorILb0ElEEZNS1_24adjacent_difference_implIS3_Lb0ELb0EPlS7_N6thrust23THRUST_200600_302600_NS5minusIlEEEE10hipError_tPvRmT2_T3_mT4_P12ihipStream_tbEUlT_E_NS1_11comp_targetILNS1_3genE9ELNS1_11target_archE1100ELNS1_3gpuE3ELNS1_3repE0EEENS1_30default_config_static_selectorELNS0_4arch9wavefront6targetE1EEEvT1_.num_agpr, 0
	.set _ZN7rocprim17ROCPRIM_400000_NS6detail17trampoline_kernelINS0_14default_configENS1_35adjacent_difference_config_selectorILb0ElEEZNS1_24adjacent_difference_implIS3_Lb0ELb0EPlS7_N6thrust23THRUST_200600_302600_NS5minusIlEEEE10hipError_tPvRmT2_T3_mT4_P12ihipStream_tbEUlT_E_NS1_11comp_targetILNS1_3genE9ELNS1_11target_archE1100ELNS1_3gpuE3ELNS1_3repE0EEENS1_30default_config_static_selectorELNS0_4arch9wavefront6targetE1EEEvT1_.numbered_sgpr, 0
	.set _ZN7rocprim17ROCPRIM_400000_NS6detail17trampoline_kernelINS0_14default_configENS1_35adjacent_difference_config_selectorILb0ElEEZNS1_24adjacent_difference_implIS3_Lb0ELb0EPlS7_N6thrust23THRUST_200600_302600_NS5minusIlEEEE10hipError_tPvRmT2_T3_mT4_P12ihipStream_tbEUlT_E_NS1_11comp_targetILNS1_3genE9ELNS1_11target_archE1100ELNS1_3gpuE3ELNS1_3repE0EEENS1_30default_config_static_selectorELNS0_4arch9wavefront6targetE1EEEvT1_.num_named_barrier, 0
	.set _ZN7rocprim17ROCPRIM_400000_NS6detail17trampoline_kernelINS0_14default_configENS1_35adjacent_difference_config_selectorILb0ElEEZNS1_24adjacent_difference_implIS3_Lb0ELb0EPlS7_N6thrust23THRUST_200600_302600_NS5minusIlEEEE10hipError_tPvRmT2_T3_mT4_P12ihipStream_tbEUlT_E_NS1_11comp_targetILNS1_3genE9ELNS1_11target_archE1100ELNS1_3gpuE3ELNS1_3repE0EEENS1_30default_config_static_selectorELNS0_4arch9wavefront6targetE1EEEvT1_.private_seg_size, 0
	.set _ZN7rocprim17ROCPRIM_400000_NS6detail17trampoline_kernelINS0_14default_configENS1_35adjacent_difference_config_selectorILb0ElEEZNS1_24adjacent_difference_implIS3_Lb0ELb0EPlS7_N6thrust23THRUST_200600_302600_NS5minusIlEEEE10hipError_tPvRmT2_T3_mT4_P12ihipStream_tbEUlT_E_NS1_11comp_targetILNS1_3genE9ELNS1_11target_archE1100ELNS1_3gpuE3ELNS1_3repE0EEENS1_30default_config_static_selectorELNS0_4arch9wavefront6targetE1EEEvT1_.uses_vcc, 0
	.set _ZN7rocprim17ROCPRIM_400000_NS6detail17trampoline_kernelINS0_14default_configENS1_35adjacent_difference_config_selectorILb0ElEEZNS1_24adjacent_difference_implIS3_Lb0ELb0EPlS7_N6thrust23THRUST_200600_302600_NS5minusIlEEEE10hipError_tPvRmT2_T3_mT4_P12ihipStream_tbEUlT_E_NS1_11comp_targetILNS1_3genE9ELNS1_11target_archE1100ELNS1_3gpuE3ELNS1_3repE0EEENS1_30default_config_static_selectorELNS0_4arch9wavefront6targetE1EEEvT1_.uses_flat_scratch, 0
	.set _ZN7rocprim17ROCPRIM_400000_NS6detail17trampoline_kernelINS0_14default_configENS1_35adjacent_difference_config_selectorILb0ElEEZNS1_24adjacent_difference_implIS3_Lb0ELb0EPlS7_N6thrust23THRUST_200600_302600_NS5minusIlEEEE10hipError_tPvRmT2_T3_mT4_P12ihipStream_tbEUlT_E_NS1_11comp_targetILNS1_3genE9ELNS1_11target_archE1100ELNS1_3gpuE3ELNS1_3repE0EEENS1_30default_config_static_selectorELNS0_4arch9wavefront6targetE1EEEvT1_.has_dyn_sized_stack, 0
	.set _ZN7rocprim17ROCPRIM_400000_NS6detail17trampoline_kernelINS0_14default_configENS1_35adjacent_difference_config_selectorILb0ElEEZNS1_24adjacent_difference_implIS3_Lb0ELb0EPlS7_N6thrust23THRUST_200600_302600_NS5minusIlEEEE10hipError_tPvRmT2_T3_mT4_P12ihipStream_tbEUlT_E_NS1_11comp_targetILNS1_3genE9ELNS1_11target_archE1100ELNS1_3gpuE3ELNS1_3repE0EEENS1_30default_config_static_selectorELNS0_4arch9wavefront6targetE1EEEvT1_.has_recursion, 0
	.set _ZN7rocprim17ROCPRIM_400000_NS6detail17trampoline_kernelINS0_14default_configENS1_35adjacent_difference_config_selectorILb0ElEEZNS1_24adjacent_difference_implIS3_Lb0ELb0EPlS7_N6thrust23THRUST_200600_302600_NS5minusIlEEEE10hipError_tPvRmT2_T3_mT4_P12ihipStream_tbEUlT_E_NS1_11comp_targetILNS1_3genE9ELNS1_11target_archE1100ELNS1_3gpuE3ELNS1_3repE0EEENS1_30default_config_static_selectorELNS0_4arch9wavefront6targetE1EEEvT1_.has_indirect_call, 0
	.section	.AMDGPU.csdata,"",@progbits
; Kernel info:
; codeLenInByte = 0
; TotalNumSgprs: 6
; NumVgprs: 0
; NumAgprs: 0
; TotalNumVgprs: 0
; ScratchSize: 0
; MemoryBound: 0
; FloatMode: 240
; IeeeMode: 1
; LDSByteSize: 0 bytes/workgroup (compile time only)
; SGPRBlocks: 0
; VGPRBlocks: 0
; NumSGPRsForWavesPerEU: 6
; NumVGPRsForWavesPerEU: 1
; AccumOffset: 4
; Occupancy: 8
; WaveLimiterHint : 0
; COMPUTE_PGM_RSRC2:SCRATCH_EN: 0
; COMPUTE_PGM_RSRC2:USER_SGPR: 2
; COMPUTE_PGM_RSRC2:TRAP_HANDLER: 0
; COMPUTE_PGM_RSRC2:TGID_X_EN: 1
; COMPUTE_PGM_RSRC2:TGID_Y_EN: 0
; COMPUTE_PGM_RSRC2:TGID_Z_EN: 0
; COMPUTE_PGM_RSRC2:TIDIG_COMP_CNT: 0
; COMPUTE_PGM_RSRC3_GFX90A:ACCUM_OFFSET: 0
; COMPUTE_PGM_RSRC3_GFX90A:TG_SPLIT: 0
	.section	.text._ZN7rocprim17ROCPRIM_400000_NS6detail17trampoline_kernelINS0_14default_configENS1_35adjacent_difference_config_selectorILb0ElEEZNS1_24adjacent_difference_implIS3_Lb0ELb0EPlS7_N6thrust23THRUST_200600_302600_NS5minusIlEEEE10hipError_tPvRmT2_T3_mT4_P12ihipStream_tbEUlT_E_NS1_11comp_targetILNS1_3genE8ELNS1_11target_archE1030ELNS1_3gpuE2ELNS1_3repE0EEENS1_30default_config_static_selectorELNS0_4arch9wavefront6targetE1EEEvT1_,"axG",@progbits,_ZN7rocprim17ROCPRIM_400000_NS6detail17trampoline_kernelINS0_14default_configENS1_35adjacent_difference_config_selectorILb0ElEEZNS1_24adjacent_difference_implIS3_Lb0ELb0EPlS7_N6thrust23THRUST_200600_302600_NS5minusIlEEEE10hipError_tPvRmT2_T3_mT4_P12ihipStream_tbEUlT_E_NS1_11comp_targetILNS1_3genE8ELNS1_11target_archE1030ELNS1_3gpuE2ELNS1_3repE0EEENS1_30default_config_static_selectorELNS0_4arch9wavefront6targetE1EEEvT1_,comdat
	.protected	_ZN7rocprim17ROCPRIM_400000_NS6detail17trampoline_kernelINS0_14default_configENS1_35adjacent_difference_config_selectorILb0ElEEZNS1_24adjacent_difference_implIS3_Lb0ELb0EPlS7_N6thrust23THRUST_200600_302600_NS5minusIlEEEE10hipError_tPvRmT2_T3_mT4_P12ihipStream_tbEUlT_E_NS1_11comp_targetILNS1_3genE8ELNS1_11target_archE1030ELNS1_3gpuE2ELNS1_3repE0EEENS1_30default_config_static_selectorELNS0_4arch9wavefront6targetE1EEEvT1_ ; -- Begin function _ZN7rocprim17ROCPRIM_400000_NS6detail17trampoline_kernelINS0_14default_configENS1_35adjacent_difference_config_selectorILb0ElEEZNS1_24adjacent_difference_implIS3_Lb0ELb0EPlS7_N6thrust23THRUST_200600_302600_NS5minusIlEEEE10hipError_tPvRmT2_T3_mT4_P12ihipStream_tbEUlT_E_NS1_11comp_targetILNS1_3genE8ELNS1_11target_archE1030ELNS1_3gpuE2ELNS1_3repE0EEENS1_30default_config_static_selectorELNS0_4arch9wavefront6targetE1EEEvT1_
	.globl	_ZN7rocprim17ROCPRIM_400000_NS6detail17trampoline_kernelINS0_14default_configENS1_35adjacent_difference_config_selectorILb0ElEEZNS1_24adjacent_difference_implIS3_Lb0ELb0EPlS7_N6thrust23THRUST_200600_302600_NS5minusIlEEEE10hipError_tPvRmT2_T3_mT4_P12ihipStream_tbEUlT_E_NS1_11comp_targetILNS1_3genE8ELNS1_11target_archE1030ELNS1_3gpuE2ELNS1_3repE0EEENS1_30default_config_static_selectorELNS0_4arch9wavefront6targetE1EEEvT1_
	.p2align	8
	.type	_ZN7rocprim17ROCPRIM_400000_NS6detail17trampoline_kernelINS0_14default_configENS1_35adjacent_difference_config_selectorILb0ElEEZNS1_24adjacent_difference_implIS3_Lb0ELb0EPlS7_N6thrust23THRUST_200600_302600_NS5minusIlEEEE10hipError_tPvRmT2_T3_mT4_P12ihipStream_tbEUlT_E_NS1_11comp_targetILNS1_3genE8ELNS1_11target_archE1030ELNS1_3gpuE2ELNS1_3repE0EEENS1_30default_config_static_selectorELNS0_4arch9wavefront6targetE1EEEvT1_,@function
_ZN7rocprim17ROCPRIM_400000_NS6detail17trampoline_kernelINS0_14default_configENS1_35adjacent_difference_config_selectorILb0ElEEZNS1_24adjacent_difference_implIS3_Lb0ELb0EPlS7_N6thrust23THRUST_200600_302600_NS5minusIlEEEE10hipError_tPvRmT2_T3_mT4_P12ihipStream_tbEUlT_E_NS1_11comp_targetILNS1_3genE8ELNS1_11target_archE1030ELNS1_3gpuE2ELNS1_3repE0EEENS1_30default_config_static_selectorELNS0_4arch9wavefront6targetE1EEEvT1_: ; @_ZN7rocprim17ROCPRIM_400000_NS6detail17trampoline_kernelINS0_14default_configENS1_35adjacent_difference_config_selectorILb0ElEEZNS1_24adjacent_difference_implIS3_Lb0ELb0EPlS7_N6thrust23THRUST_200600_302600_NS5minusIlEEEE10hipError_tPvRmT2_T3_mT4_P12ihipStream_tbEUlT_E_NS1_11comp_targetILNS1_3genE8ELNS1_11target_archE1030ELNS1_3gpuE2ELNS1_3repE0EEENS1_30default_config_static_selectorELNS0_4arch9wavefront6targetE1EEEvT1_
; %bb.0:
	.section	.rodata,"a",@progbits
	.p2align	6, 0x0
	.amdhsa_kernel _ZN7rocprim17ROCPRIM_400000_NS6detail17trampoline_kernelINS0_14default_configENS1_35adjacent_difference_config_selectorILb0ElEEZNS1_24adjacent_difference_implIS3_Lb0ELb0EPlS7_N6thrust23THRUST_200600_302600_NS5minusIlEEEE10hipError_tPvRmT2_T3_mT4_P12ihipStream_tbEUlT_E_NS1_11comp_targetILNS1_3genE8ELNS1_11target_archE1030ELNS1_3gpuE2ELNS1_3repE0EEENS1_30default_config_static_selectorELNS0_4arch9wavefront6targetE1EEEvT1_
		.amdhsa_group_segment_fixed_size 0
		.amdhsa_private_segment_fixed_size 0
		.amdhsa_kernarg_size 56
		.amdhsa_user_sgpr_count 2
		.amdhsa_user_sgpr_dispatch_ptr 0
		.amdhsa_user_sgpr_queue_ptr 0
		.amdhsa_user_sgpr_kernarg_segment_ptr 1
		.amdhsa_user_sgpr_dispatch_id 0
		.amdhsa_user_sgpr_kernarg_preload_length 0
		.amdhsa_user_sgpr_kernarg_preload_offset 0
		.amdhsa_user_sgpr_private_segment_size 0
		.amdhsa_uses_dynamic_stack 0
		.amdhsa_enable_private_segment 0
		.amdhsa_system_sgpr_workgroup_id_x 1
		.amdhsa_system_sgpr_workgroup_id_y 0
		.amdhsa_system_sgpr_workgroup_id_z 0
		.amdhsa_system_sgpr_workgroup_info 0
		.amdhsa_system_vgpr_workitem_id 0
		.amdhsa_next_free_vgpr 1
		.amdhsa_next_free_sgpr 0
		.amdhsa_accum_offset 4
		.amdhsa_reserve_vcc 0
		.amdhsa_float_round_mode_32 0
		.amdhsa_float_round_mode_16_64 0
		.amdhsa_float_denorm_mode_32 3
		.amdhsa_float_denorm_mode_16_64 3
		.amdhsa_dx10_clamp 1
		.amdhsa_ieee_mode 1
		.amdhsa_fp16_overflow 0
		.amdhsa_tg_split 0
		.amdhsa_exception_fp_ieee_invalid_op 0
		.amdhsa_exception_fp_denorm_src 0
		.amdhsa_exception_fp_ieee_div_zero 0
		.amdhsa_exception_fp_ieee_overflow 0
		.amdhsa_exception_fp_ieee_underflow 0
		.amdhsa_exception_fp_ieee_inexact 0
		.amdhsa_exception_int_div_zero 0
	.end_amdhsa_kernel
	.section	.text._ZN7rocprim17ROCPRIM_400000_NS6detail17trampoline_kernelINS0_14default_configENS1_35adjacent_difference_config_selectorILb0ElEEZNS1_24adjacent_difference_implIS3_Lb0ELb0EPlS7_N6thrust23THRUST_200600_302600_NS5minusIlEEEE10hipError_tPvRmT2_T3_mT4_P12ihipStream_tbEUlT_E_NS1_11comp_targetILNS1_3genE8ELNS1_11target_archE1030ELNS1_3gpuE2ELNS1_3repE0EEENS1_30default_config_static_selectorELNS0_4arch9wavefront6targetE1EEEvT1_,"axG",@progbits,_ZN7rocprim17ROCPRIM_400000_NS6detail17trampoline_kernelINS0_14default_configENS1_35adjacent_difference_config_selectorILb0ElEEZNS1_24adjacent_difference_implIS3_Lb0ELb0EPlS7_N6thrust23THRUST_200600_302600_NS5minusIlEEEE10hipError_tPvRmT2_T3_mT4_P12ihipStream_tbEUlT_E_NS1_11comp_targetILNS1_3genE8ELNS1_11target_archE1030ELNS1_3gpuE2ELNS1_3repE0EEENS1_30default_config_static_selectorELNS0_4arch9wavefront6targetE1EEEvT1_,comdat
.Lfunc_end243:
	.size	_ZN7rocprim17ROCPRIM_400000_NS6detail17trampoline_kernelINS0_14default_configENS1_35adjacent_difference_config_selectorILb0ElEEZNS1_24adjacent_difference_implIS3_Lb0ELb0EPlS7_N6thrust23THRUST_200600_302600_NS5minusIlEEEE10hipError_tPvRmT2_T3_mT4_P12ihipStream_tbEUlT_E_NS1_11comp_targetILNS1_3genE8ELNS1_11target_archE1030ELNS1_3gpuE2ELNS1_3repE0EEENS1_30default_config_static_selectorELNS0_4arch9wavefront6targetE1EEEvT1_, .Lfunc_end243-_ZN7rocprim17ROCPRIM_400000_NS6detail17trampoline_kernelINS0_14default_configENS1_35adjacent_difference_config_selectorILb0ElEEZNS1_24adjacent_difference_implIS3_Lb0ELb0EPlS7_N6thrust23THRUST_200600_302600_NS5minusIlEEEE10hipError_tPvRmT2_T3_mT4_P12ihipStream_tbEUlT_E_NS1_11comp_targetILNS1_3genE8ELNS1_11target_archE1030ELNS1_3gpuE2ELNS1_3repE0EEENS1_30default_config_static_selectorELNS0_4arch9wavefront6targetE1EEEvT1_
                                        ; -- End function
	.set _ZN7rocprim17ROCPRIM_400000_NS6detail17trampoline_kernelINS0_14default_configENS1_35adjacent_difference_config_selectorILb0ElEEZNS1_24adjacent_difference_implIS3_Lb0ELb0EPlS7_N6thrust23THRUST_200600_302600_NS5minusIlEEEE10hipError_tPvRmT2_T3_mT4_P12ihipStream_tbEUlT_E_NS1_11comp_targetILNS1_3genE8ELNS1_11target_archE1030ELNS1_3gpuE2ELNS1_3repE0EEENS1_30default_config_static_selectorELNS0_4arch9wavefront6targetE1EEEvT1_.num_vgpr, 0
	.set _ZN7rocprim17ROCPRIM_400000_NS6detail17trampoline_kernelINS0_14default_configENS1_35adjacent_difference_config_selectorILb0ElEEZNS1_24adjacent_difference_implIS3_Lb0ELb0EPlS7_N6thrust23THRUST_200600_302600_NS5minusIlEEEE10hipError_tPvRmT2_T3_mT4_P12ihipStream_tbEUlT_E_NS1_11comp_targetILNS1_3genE8ELNS1_11target_archE1030ELNS1_3gpuE2ELNS1_3repE0EEENS1_30default_config_static_selectorELNS0_4arch9wavefront6targetE1EEEvT1_.num_agpr, 0
	.set _ZN7rocprim17ROCPRIM_400000_NS6detail17trampoline_kernelINS0_14default_configENS1_35adjacent_difference_config_selectorILb0ElEEZNS1_24adjacent_difference_implIS3_Lb0ELb0EPlS7_N6thrust23THRUST_200600_302600_NS5minusIlEEEE10hipError_tPvRmT2_T3_mT4_P12ihipStream_tbEUlT_E_NS1_11comp_targetILNS1_3genE8ELNS1_11target_archE1030ELNS1_3gpuE2ELNS1_3repE0EEENS1_30default_config_static_selectorELNS0_4arch9wavefront6targetE1EEEvT1_.numbered_sgpr, 0
	.set _ZN7rocprim17ROCPRIM_400000_NS6detail17trampoline_kernelINS0_14default_configENS1_35adjacent_difference_config_selectorILb0ElEEZNS1_24adjacent_difference_implIS3_Lb0ELb0EPlS7_N6thrust23THRUST_200600_302600_NS5minusIlEEEE10hipError_tPvRmT2_T3_mT4_P12ihipStream_tbEUlT_E_NS1_11comp_targetILNS1_3genE8ELNS1_11target_archE1030ELNS1_3gpuE2ELNS1_3repE0EEENS1_30default_config_static_selectorELNS0_4arch9wavefront6targetE1EEEvT1_.num_named_barrier, 0
	.set _ZN7rocprim17ROCPRIM_400000_NS6detail17trampoline_kernelINS0_14default_configENS1_35adjacent_difference_config_selectorILb0ElEEZNS1_24adjacent_difference_implIS3_Lb0ELb0EPlS7_N6thrust23THRUST_200600_302600_NS5minusIlEEEE10hipError_tPvRmT2_T3_mT4_P12ihipStream_tbEUlT_E_NS1_11comp_targetILNS1_3genE8ELNS1_11target_archE1030ELNS1_3gpuE2ELNS1_3repE0EEENS1_30default_config_static_selectorELNS0_4arch9wavefront6targetE1EEEvT1_.private_seg_size, 0
	.set _ZN7rocprim17ROCPRIM_400000_NS6detail17trampoline_kernelINS0_14default_configENS1_35adjacent_difference_config_selectorILb0ElEEZNS1_24adjacent_difference_implIS3_Lb0ELb0EPlS7_N6thrust23THRUST_200600_302600_NS5minusIlEEEE10hipError_tPvRmT2_T3_mT4_P12ihipStream_tbEUlT_E_NS1_11comp_targetILNS1_3genE8ELNS1_11target_archE1030ELNS1_3gpuE2ELNS1_3repE0EEENS1_30default_config_static_selectorELNS0_4arch9wavefront6targetE1EEEvT1_.uses_vcc, 0
	.set _ZN7rocprim17ROCPRIM_400000_NS6detail17trampoline_kernelINS0_14default_configENS1_35adjacent_difference_config_selectorILb0ElEEZNS1_24adjacent_difference_implIS3_Lb0ELb0EPlS7_N6thrust23THRUST_200600_302600_NS5minusIlEEEE10hipError_tPvRmT2_T3_mT4_P12ihipStream_tbEUlT_E_NS1_11comp_targetILNS1_3genE8ELNS1_11target_archE1030ELNS1_3gpuE2ELNS1_3repE0EEENS1_30default_config_static_selectorELNS0_4arch9wavefront6targetE1EEEvT1_.uses_flat_scratch, 0
	.set _ZN7rocprim17ROCPRIM_400000_NS6detail17trampoline_kernelINS0_14default_configENS1_35adjacent_difference_config_selectorILb0ElEEZNS1_24adjacent_difference_implIS3_Lb0ELb0EPlS7_N6thrust23THRUST_200600_302600_NS5minusIlEEEE10hipError_tPvRmT2_T3_mT4_P12ihipStream_tbEUlT_E_NS1_11comp_targetILNS1_3genE8ELNS1_11target_archE1030ELNS1_3gpuE2ELNS1_3repE0EEENS1_30default_config_static_selectorELNS0_4arch9wavefront6targetE1EEEvT1_.has_dyn_sized_stack, 0
	.set _ZN7rocprim17ROCPRIM_400000_NS6detail17trampoline_kernelINS0_14default_configENS1_35adjacent_difference_config_selectorILb0ElEEZNS1_24adjacent_difference_implIS3_Lb0ELb0EPlS7_N6thrust23THRUST_200600_302600_NS5minusIlEEEE10hipError_tPvRmT2_T3_mT4_P12ihipStream_tbEUlT_E_NS1_11comp_targetILNS1_3genE8ELNS1_11target_archE1030ELNS1_3gpuE2ELNS1_3repE0EEENS1_30default_config_static_selectorELNS0_4arch9wavefront6targetE1EEEvT1_.has_recursion, 0
	.set _ZN7rocprim17ROCPRIM_400000_NS6detail17trampoline_kernelINS0_14default_configENS1_35adjacent_difference_config_selectorILb0ElEEZNS1_24adjacent_difference_implIS3_Lb0ELb0EPlS7_N6thrust23THRUST_200600_302600_NS5minusIlEEEE10hipError_tPvRmT2_T3_mT4_P12ihipStream_tbEUlT_E_NS1_11comp_targetILNS1_3genE8ELNS1_11target_archE1030ELNS1_3gpuE2ELNS1_3repE0EEENS1_30default_config_static_selectorELNS0_4arch9wavefront6targetE1EEEvT1_.has_indirect_call, 0
	.section	.AMDGPU.csdata,"",@progbits
; Kernel info:
; codeLenInByte = 0
; TotalNumSgprs: 6
; NumVgprs: 0
; NumAgprs: 0
; TotalNumVgprs: 0
; ScratchSize: 0
; MemoryBound: 0
; FloatMode: 240
; IeeeMode: 1
; LDSByteSize: 0 bytes/workgroup (compile time only)
; SGPRBlocks: 0
; VGPRBlocks: 0
; NumSGPRsForWavesPerEU: 6
; NumVGPRsForWavesPerEU: 1
; AccumOffset: 4
; Occupancy: 8
; WaveLimiterHint : 0
; COMPUTE_PGM_RSRC2:SCRATCH_EN: 0
; COMPUTE_PGM_RSRC2:USER_SGPR: 2
; COMPUTE_PGM_RSRC2:TRAP_HANDLER: 0
; COMPUTE_PGM_RSRC2:TGID_X_EN: 1
; COMPUTE_PGM_RSRC2:TGID_Y_EN: 0
; COMPUTE_PGM_RSRC2:TGID_Z_EN: 0
; COMPUTE_PGM_RSRC2:TIDIG_COMP_CNT: 0
; COMPUTE_PGM_RSRC3_GFX90A:ACCUM_OFFSET: 0
; COMPUTE_PGM_RSRC3_GFX90A:TG_SPLIT: 0
	.section	.text._ZN7rocprim17ROCPRIM_400000_NS6detail17trampoline_kernelINS0_14default_configENS1_25transform_config_selectorIlLb0EEEZNS1_14transform_implILb0ES3_S5_NS0_18transform_iteratorINS0_17counting_iteratorImlEEZNS1_24adjacent_difference_implIS3_Lb1ELb0EPlSB_N6thrust23THRUST_200600_302600_NS5minusIlEEEE10hipError_tPvRmT2_T3_mT4_P12ihipStream_tbEUlmE_lEESB_NS0_8identityIvEEEESG_SJ_SK_mSL_SN_bEUlT_E_NS1_11comp_targetILNS1_3genE0ELNS1_11target_archE4294967295ELNS1_3gpuE0ELNS1_3repE0EEENS1_30default_config_static_selectorELNS0_4arch9wavefront6targetE1EEEvT1_,"axG",@progbits,_ZN7rocprim17ROCPRIM_400000_NS6detail17trampoline_kernelINS0_14default_configENS1_25transform_config_selectorIlLb0EEEZNS1_14transform_implILb0ES3_S5_NS0_18transform_iteratorINS0_17counting_iteratorImlEEZNS1_24adjacent_difference_implIS3_Lb1ELb0EPlSB_N6thrust23THRUST_200600_302600_NS5minusIlEEEE10hipError_tPvRmT2_T3_mT4_P12ihipStream_tbEUlmE_lEESB_NS0_8identityIvEEEESG_SJ_SK_mSL_SN_bEUlT_E_NS1_11comp_targetILNS1_3genE0ELNS1_11target_archE4294967295ELNS1_3gpuE0ELNS1_3repE0EEENS1_30default_config_static_selectorELNS0_4arch9wavefront6targetE1EEEvT1_,comdat
	.protected	_ZN7rocprim17ROCPRIM_400000_NS6detail17trampoline_kernelINS0_14default_configENS1_25transform_config_selectorIlLb0EEEZNS1_14transform_implILb0ES3_S5_NS0_18transform_iteratorINS0_17counting_iteratorImlEEZNS1_24adjacent_difference_implIS3_Lb1ELb0EPlSB_N6thrust23THRUST_200600_302600_NS5minusIlEEEE10hipError_tPvRmT2_T3_mT4_P12ihipStream_tbEUlmE_lEESB_NS0_8identityIvEEEESG_SJ_SK_mSL_SN_bEUlT_E_NS1_11comp_targetILNS1_3genE0ELNS1_11target_archE4294967295ELNS1_3gpuE0ELNS1_3repE0EEENS1_30default_config_static_selectorELNS0_4arch9wavefront6targetE1EEEvT1_ ; -- Begin function _ZN7rocprim17ROCPRIM_400000_NS6detail17trampoline_kernelINS0_14default_configENS1_25transform_config_selectorIlLb0EEEZNS1_14transform_implILb0ES3_S5_NS0_18transform_iteratorINS0_17counting_iteratorImlEEZNS1_24adjacent_difference_implIS3_Lb1ELb0EPlSB_N6thrust23THRUST_200600_302600_NS5minusIlEEEE10hipError_tPvRmT2_T3_mT4_P12ihipStream_tbEUlmE_lEESB_NS0_8identityIvEEEESG_SJ_SK_mSL_SN_bEUlT_E_NS1_11comp_targetILNS1_3genE0ELNS1_11target_archE4294967295ELNS1_3gpuE0ELNS1_3repE0EEENS1_30default_config_static_selectorELNS0_4arch9wavefront6targetE1EEEvT1_
	.globl	_ZN7rocprim17ROCPRIM_400000_NS6detail17trampoline_kernelINS0_14default_configENS1_25transform_config_selectorIlLb0EEEZNS1_14transform_implILb0ES3_S5_NS0_18transform_iteratorINS0_17counting_iteratorImlEEZNS1_24adjacent_difference_implIS3_Lb1ELb0EPlSB_N6thrust23THRUST_200600_302600_NS5minusIlEEEE10hipError_tPvRmT2_T3_mT4_P12ihipStream_tbEUlmE_lEESB_NS0_8identityIvEEEESG_SJ_SK_mSL_SN_bEUlT_E_NS1_11comp_targetILNS1_3genE0ELNS1_11target_archE4294967295ELNS1_3gpuE0ELNS1_3repE0EEENS1_30default_config_static_selectorELNS0_4arch9wavefront6targetE1EEEvT1_
	.p2align	8
	.type	_ZN7rocprim17ROCPRIM_400000_NS6detail17trampoline_kernelINS0_14default_configENS1_25transform_config_selectorIlLb0EEEZNS1_14transform_implILb0ES3_S5_NS0_18transform_iteratorINS0_17counting_iteratorImlEEZNS1_24adjacent_difference_implIS3_Lb1ELb0EPlSB_N6thrust23THRUST_200600_302600_NS5minusIlEEEE10hipError_tPvRmT2_T3_mT4_P12ihipStream_tbEUlmE_lEESB_NS0_8identityIvEEEESG_SJ_SK_mSL_SN_bEUlT_E_NS1_11comp_targetILNS1_3genE0ELNS1_11target_archE4294967295ELNS1_3gpuE0ELNS1_3repE0EEENS1_30default_config_static_selectorELNS0_4arch9wavefront6targetE1EEEvT1_,@function
_ZN7rocprim17ROCPRIM_400000_NS6detail17trampoline_kernelINS0_14default_configENS1_25transform_config_selectorIlLb0EEEZNS1_14transform_implILb0ES3_S5_NS0_18transform_iteratorINS0_17counting_iteratorImlEEZNS1_24adjacent_difference_implIS3_Lb1ELb0EPlSB_N6thrust23THRUST_200600_302600_NS5minusIlEEEE10hipError_tPvRmT2_T3_mT4_P12ihipStream_tbEUlmE_lEESB_NS0_8identityIvEEEESG_SJ_SK_mSL_SN_bEUlT_E_NS1_11comp_targetILNS1_3genE0ELNS1_11target_archE4294967295ELNS1_3gpuE0ELNS1_3repE0EEENS1_30default_config_static_selectorELNS0_4arch9wavefront6targetE1EEEvT1_: ; @_ZN7rocprim17ROCPRIM_400000_NS6detail17trampoline_kernelINS0_14default_configENS1_25transform_config_selectorIlLb0EEEZNS1_14transform_implILb0ES3_S5_NS0_18transform_iteratorINS0_17counting_iteratorImlEEZNS1_24adjacent_difference_implIS3_Lb1ELb0EPlSB_N6thrust23THRUST_200600_302600_NS5minusIlEEEE10hipError_tPvRmT2_T3_mT4_P12ihipStream_tbEUlmE_lEESB_NS0_8identityIvEEEESG_SJ_SK_mSL_SN_bEUlT_E_NS1_11comp_targetILNS1_3genE0ELNS1_11target_archE4294967295ELNS1_3gpuE0ELNS1_3repE0EEENS1_30default_config_static_selectorELNS0_4arch9wavefront6targetE1EEEvT1_
; %bb.0:
	s_load_dword s3, s[0:1], 0x38
	s_load_dword s5, s[0:1], 0x20
	s_lshl_b32 s4, s2, 7
	s_waitcnt lgkmcnt(0)
	s_add_i32 s3, s3, -1
	s_cmp_lg_u32 s2, s3
	s_cselect_b64 s[2:3], -1, 0
	s_sub_i32 s5, s5, s4
	v_cmp_gt_u32_e32 vcc, s5, v0
	s_or_b64 s[2:3], s[2:3], vcc
	s_and_saveexec_b64 s[6:7], s[2:3]
	s_cbranch_execz .LBB244_2
; %bb.1:
	s_load_dwordx2 s[2:3], s[0:1], 0x18
	s_load_dwordx4 s[8:11], s[0:1], 0x0
	s_load_dwordx2 s[6:7], s[0:1], 0x28
	s_load_dword s5, s[0:1], 0x10
	v_mov_b32_e32 v1, 0
	s_waitcnt lgkmcnt(0)
	s_lshl_b64 s[0:1], s[2:3], 3
	v_mov_b32_e32 v2, s10
	s_add_u32 s6, s6, s0
	s_addc_u32 s7, s7, s1
	s_add_u32 s0, s8, s2
	s_addc_u32 s1, s9, s3
	;; [unrolled: 2-line block ×3, first 2 shown]
	v_lshl_add_u64 v[4:5], s[0:1], 0, v[0:1]
	v_mad_u64_u32 v[6:7], s[0:1], v4, s5, 0
	v_mov_b32_e32 v4, v7
	v_mad_u64_u32 v[4:5], s[0:1], v5, s5, v[4:5]
	v_mov_b32_e32 v3, s11
	v_mov_b32_e32 v7, v4
	v_lshl_add_u64 v[2:3], v[6:7], 3, v[2:3]
	global_load_dwordx2 v[2:3], v[2:3], off
	s_mov_b32 s5, 0
	s_lshl_b64 s[0:1], s[4:5], 3
	s_add_u32 s0, s6, s0
	s_addc_u32 s1, s7, s1
	v_lshl_add_u64 v[0:1], v[0:1], 3, s[0:1]
	s_waitcnt vmcnt(0)
	global_store_dwordx2 v[0:1], v[2:3], off
.LBB244_2:
	s_endpgm
	.section	.rodata,"a",@progbits
	.p2align	6, 0x0
	.amdhsa_kernel _ZN7rocprim17ROCPRIM_400000_NS6detail17trampoline_kernelINS0_14default_configENS1_25transform_config_selectorIlLb0EEEZNS1_14transform_implILb0ES3_S5_NS0_18transform_iteratorINS0_17counting_iteratorImlEEZNS1_24adjacent_difference_implIS3_Lb1ELb0EPlSB_N6thrust23THRUST_200600_302600_NS5minusIlEEEE10hipError_tPvRmT2_T3_mT4_P12ihipStream_tbEUlmE_lEESB_NS0_8identityIvEEEESG_SJ_SK_mSL_SN_bEUlT_E_NS1_11comp_targetILNS1_3genE0ELNS1_11target_archE4294967295ELNS1_3gpuE0ELNS1_3repE0EEENS1_30default_config_static_selectorELNS0_4arch9wavefront6targetE1EEEvT1_
		.amdhsa_group_segment_fixed_size 0
		.amdhsa_private_segment_fixed_size 0
		.amdhsa_kernarg_size 312
		.amdhsa_user_sgpr_count 2
		.amdhsa_user_sgpr_dispatch_ptr 0
		.amdhsa_user_sgpr_queue_ptr 0
		.amdhsa_user_sgpr_kernarg_segment_ptr 1
		.amdhsa_user_sgpr_dispatch_id 0
		.amdhsa_user_sgpr_kernarg_preload_length 0
		.amdhsa_user_sgpr_kernarg_preload_offset 0
		.amdhsa_user_sgpr_private_segment_size 0
		.amdhsa_uses_dynamic_stack 0
		.amdhsa_enable_private_segment 0
		.amdhsa_system_sgpr_workgroup_id_x 1
		.amdhsa_system_sgpr_workgroup_id_y 0
		.amdhsa_system_sgpr_workgroup_id_z 0
		.amdhsa_system_sgpr_workgroup_info 0
		.amdhsa_system_vgpr_workitem_id 0
		.amdhsa_next_free_vgpr 8
		.amdhsa_next_free_sgpr 12
		.amdhsa_accum_offset 8
		.amdhsa_reserve_vcc 1
		.amdhsa_float_round_mode_32 0
		.amdhsa_float_round_mode_16_64 0
		.amdhsa_float_denorm_mode_32 3
		.amdhsa_float_denorm_mode_16_64 3
		.amdhsa_dx10_clamp 1
		.amdhsa_ieee_mode 1
		.amdhsa_fp16_overflow 0
		.amdhsa_tg_split 0
		.amdhsa_exception_fp_ieee_invalid_op 0
		.amdhsa_exception_fp_denorm_src 0
		.amdhsa_exception_fp_ieee_div_zero 0
		.amdhsa_exception_fp_ieee_overflow 0
		.amdhsa_exception_fp_ieee_underflow 0
		.amdhsa_exception_fp_ieee_inexact 0
		.amdhsa_exception_int_div_zero 0
	.end_amdhsa_kernel
	.section	.text._ZN7rocprim17ROCPRIM_400000_NS6detail17trampoline_kernelINS0_14default_configENS1_25transform_config_selectorIlLb0EEEZNS1_14transform_implILb0ES3_S5_NS0_18transform_iteratorINS0_17counting_iteratorImlEEZNS1_24adjacent_difference_implIS3_Lb1ELb0EPlSB_N6thrust23THRUST_200600_302600_NS5minusIlEEEE10hipError_tPvRmT2_T3_mT4_P12ihipStream_tbEUlmE_lEESB_NS0_8identityIvEEEESG_SJ_SK_mSL_SN_bEUlT_E_NS1_11comp_targetILNS1_3genE0ELNS1_11target_archE4294967295ELNS1_3gpuE0ELNS1_3repE0EEENS1_30default_config_static_selectorELNS0_4arch9wavefront6targetE1EEEvT1_,"axG",@progbits,_ZN7rocprim17ROCPRIM_400000_NS6detail17trampoline_kernelINS0_14default_configENS1_25transform_config_selectorIlLb0EEEZNS1_14transform_implILb0ES3_S5_NS0_18transform_iteratorINS0_17counting_iteratorImlEEZNS1_24adjacent_difference_implIS3_Lb1ELb0EPlSB_N6thrust23THRUST_200600_302600_NS5minusIlEEEE10hipError_tPvRmT2_T3_mT4_P12ihipStream_tbEUlmE_lEESB_NS0_8identityIvEEEESG_SJ_SK_mSL_SN_bEUlT_E_NS1_11comp_targetILNS1_3genE0ELNS1_11target_archE4294967295ELNS1_3gpuE0ELNS1_3repE0EEENS1_30default_config_static_selectorELNS0_4arch9wavefront6targetE1EEEvT1_,comdat
.Lfunc_end244:
	.size	_ZN7rocprim17ROCPRIM_400000_NS6detail17trampoline_kernelINS0_14default_configENS1_25transform_config_selectorIlLb0EEEZNS1_14transform_implILb0ES3_S5_NS0_18transform_iteratorINS0_17counting_iteratorImlEEZNS1_24adjacent_difference_implIS3_Lb1ELb0EPlSB_N6thrust23THRUST_200600_302600_NS5minusIlEEEE10hipError_tPvRmT2_T3_mT4_P12ihipStream_tbEUlmE_lEESB_NS0_8identityIvEEEESG_SJ_SK_mSL_SN_bEUlT_E_NS1_11comp_targetILNS1_3genE0ELNS1_11target_archE4294967295ELNS1_3gpuE0ELNS1_3repE0EEENS1_30default_config_static_selectorELNS0_4arch9wavefront6targetE1EEEvT1_, .Lfunc_end244-_ZN7rocprim17ROCPRIM_400000_NS6detail17trampoline_kernelINS0_14default_configENS1_25transform_config_selectorIlLb0EEEZNS1_14transform_implILb0ES3_S5_NS0_18transform_iteratorINS0_17counting_iteratorImlEEZNS1_24adjacent_difference_implIS3_Lb1ELb0EPlSB_N6thrust23THRUST_200600_302600_NS5minusIlEEEE10hipError_tPvRmT2_T3_mT4_P12ihipStream_tbEUlmE_lEESB_NS0_8identityIvEEEESG_SJ_SK_mSL_SN_bEUlT_E_NS1_11comp_targetILNS1_3genE0ELNS1_11target_archE4294967295ELNS1_3gpuE0ELNS1_3repE0EEENS1_30default_config_static_selectorELNS0_4arch9wavefront6targetE1EEEvT1_
                                        ; -- End function
	.set _ZN7rocprim17ROCPRIM_400000_NS6detail17trampoline_kernelINS0_14default_configENS1_25transform_config_selectorIlLb0EEEZNS1_14transform_implILb0ES3_S5_NS0_18transform_iteratorINS0_17counting_iteratorImlEEZNS1_24adjacent_difference_implIS3_Lb1ELb0EPlSB_N6thrust23THRUST_200600_302600_NS5minusIlEEEE10hipError_tPvRmT2_T3_mT4_P12ihipStream_tbEUlmE_lEESB_NS0_8identityIvEEEESG_SJ_SK_mSL_SN_bEUlT_E_NS1_11comp_targetILNS1_3genE0ELNS1_11target_archE4294967295ELNS1_3gpuE0ELNS1_3repE0EEENS1_30default_config_static_selectorELNS0_4arch9wavefront6targetE1EEEvT1_.num_vgpr, 8
	.set _ZN7rocprim17ROCPRIM_400000_NS6detail17trampoline_kernelINS0_14default_configENS1_25transform_config_selectorIlLb0EEEZNS1_14transform_implILb0ES3_S5_NS0_18transform_iteratorINS0_17counting_iteratorImlEEZNS1_24adjacent_difference_implIS3_Lb1ELb0EPlSB_N6thrust23THRUST_200600_302600_NS5minusIlEEEE10hipError_tPvRmT2_T3_mT4_P12ihipStream_tbEUlmE_lEESB_NS0_8identityIvEEEESG_SJ_SK_mSL_SN_bEUlT_E_NS1_11comp_targetILNS1_3genE0ELNS1_11target_archE4294967295ELNS1_3gpuE0ELNS1_3repE0EEENS1_30default_config_static_selectorELNS0_4arch9wavefront6targetE1EEEvT1_.num_agpr, 0
	.set _ZN7rocprim17ROCPRIM_400000_NS6detail17trampoline_kernelINS0_14default_configENS1_25transform_config_selectorIlLb0EEEZNS1_14transform_implILb0ES3_S5_NS0_18transform_iteratorINS0_17counting_iteratorImlEEZNS1_24adjacent_difference_implIS3_Lb1ELb0EPlSB_N6thrust23THRUST_200600_302600_NS5minusIlEEEE10hipError_tPvRmT2_T3_mT4_P12ihipStream_tbEUlmE_lEESB_NS0_8identityIvEEEESG_SJ_SK_mSL_SN_bEUlT_E_NS1_11comp_targetILNS1_3genE0ELNS1_11target_archE4294967295ELNS1_3gpuE0ELNS1_3repE0EEENS1_30default_config_static_selectorELNS0_4arch9wavefront6targetE1EEEvT1_.numbered_sgpr, 12
	.set _ZN7rocprim17ROCPRIM_400000_NS6detail17trampoline_kernelINS0_14default_configENS1_25transform_config_selectorIlLb0EEEZNS1_14transform_implILb0ES3_S5_NS0_18transform_iteratorINS0_17counting_iteratorImlEEZNS1_24adjacent_difference_implIS3_Lb1ELb0EPlSB_N6thrust23THRUST_200600_302600_NS5minusIlEEEE10hipError_tPvRmT2_T3_mT4_P12ihipStream_tbEUlmE_lEESB_NS0_8identityIvEEEESG_SJ_SK_mSL_SN_bEUlT_E_NS1_11comp_targetILNS1_3genE0ELNS1_11target_archE4294967295ELNS1_3gpuE0ELNS1_3repE0EEENS1_30default_config_static_selectorELNS0_4arch9wavefront6targetE1EEEvT1_.num_named_barrier, 0
	.set _ZN7rocprim17ROCPRIM_400000_NS6detail17trampoline_kernelINS0_14default_configENS1_25transform_config_selectorIlLb0EEEZNS1_14transform_implILb0ES3_S5_NS0_18transform_iteratorINS0_17counting_iteratorImlEEZNS1_24adjacent_difference_implIS3_Lb1ELb0EPlSB_N6thrust23THRUST_200600_302600_NS5minusIlEEEE10hipError_tPvRmT2_T3_mT4_P12ihipStream_tbEUlmE_lEESB_NS0_8identityIvEEEESG_SJ_SK_mSL_SN_bEUlT_E_NS1_11comp_targetILNS1_3genE0ELNS1_11target_archE4294967295ELNS1_3gpuE0ELNS1_3repE0EEENS1_30default_config_static_selectorELNS0_4arch9wavefront6targetE1EEEvT1_.private_seg_size, 0
	.set _ZN7rocprim17ROCPRIM_400000_NS6detail17trampoline_kernelINS0_14default_configENS1_25transform_config_selectorIlLb0EEEZNS1_14transform_implILb0ES3_S5_NS0_18transform_iteratorINS0_17counting_iteratorImlEEZNS1_24adjacent_difference_implIS3_Lb1ELb0EPlSB_N6thrust23THRUST_200600_302600_NS5minusIlEEEE10hipError_tPvRmT2_T3_mT4_P12ihipStream_tbEUlmE_lEESB_NS0_8identityIvEEEESG_SJ_SK_mSL_SN_bEUlT_E_NS1_11comp_targetILNS1_3genE0ELNS1_11target_archE4294967295ELNS1_3gpuE0ELNS1_3repE0EEENS1_30default_config_static_selectorELNS0_4arch9wavefront6targetE1EEEvT1_.uses_vcc, 1
	.set _ZN7rocprim17ROCPRIM_400000_NS6detail17trampoline_kernelINS0_14default_configENS1_25transform_config_selectorIlLb0EEEZNS1_14transform_implILb0ES3_S5_NS0_18transform_iteratorINS0_17counting_iteratorImlEEZNS1_24adjacent_difference_implIS3_Lb1ELb0EPlSB_N6thrust23THRUST_200600_302600_NS5minusIlEEEE10hipError_tPvRmT2_T3_mT4_P12ihipStream_tbEUlmE_lEESB_NS0_8identityIvEEEESG_SJ_SK_mSL_SN_bEUlT_E_NS1_11comp_targetILNS1_3genE0ELNS1_11target_archE4294967295ELNS1_3gpuE0ELNS1_3repE0EEENS1_30default_config_static_selectorELNS0_4arch9wavefront6targetE1EEEvT1_.uses_flat_scratch, 0
	.set _ZN7rocprim17ROCPRIM_400000_NS6detail17trampoline_kernelINS0_14default_configENS1_25transform_config_selectorIlLb0EEEZNS1_14transform_implILb0ES3_S5_NS0_18transform_iteratorINS0_17counting_iteratorImlEEZNS1_24adjacent_difference_implIS3_Lb1ELb0EPlSB_N6thrust23THRUST_200600_302600_NS5minusIlEEEE10hipError_tPvRmT2_T3_mT4_P12ihipStream_tbEUlmE_lEESB_NS0_8identityIvEEEESG_SJ_SK_mSL_SN_bEUlT_E_NS1_11comp_targetILNS1_3genE0ELNS1_11target_archE4294967295ELNS1_3gpuE0ELNS1_3repE0EEENS1_30default_config_static_selectorELNS0_4arch9wavefront6targetE1EEEvT1_.has_dyn_sized_stack, 0
	.set _ZN7rocprim17ROCPRIM_400000_NS6detail17trampoline_kernelINS0_14default_configENS1_25transform_config_selectorIlLb0EEEZNS1_14transform_implILb0ES3_S5_NS0_18transform_iteratorINS0_17counting_iteratorImlEEZNS1_24adjacent_difference_implIS3_Lb1ELb0EPlSB_N6thrust23THRUST_200600_302600_NS5minusIlEEEE10hipError_tPvRmT2_T3_mT4_P12ihipStream_tbEUlmE_lEESB_NS0_8identityIvEEEESG_SJ_SK_mSL_SN_bEUlT_E_NS1_11comp_targetILNS1_3genE0ELNS1_11target_archE4294967295ELNS1_3gpuE0ELNS1_3repE0EEENS1_30default_config_static_selectorELNS0_4arch9wavefront6targetE1EEEvT1_.has_recursion, 0
	.set _ZN7rocprim17ROCPRIM_400000_NS6detail17trampoline_kernelINS0_14default_configENS1_25transform_config_selectorIlLb0EEEZNS1_14transform_implILb0ES3_S5_NS0_18transform_iteratorINS0_17counting_iteratorImlEEZNS1_24adjacent_difference_implIS3_Lb1ELb0EPlSB_N6thrust23THRUST_200600_302600_NS5minusIlEEEE10hipError_tPvRmT2_T3_mT4_P12ihipStream_tbEUlmE_lEESB_NS0_8identityIvEEEESG_SJ_SK_mSL_SN_bEUlT_E_NS1_11comp_targetILNS1_3genE0ELNS1_11target_archE4294967295ELNS1_3gpuE0ELNS1_3repE0EEENS1_30default_config_static_selectorELNS0_4arch9wavefront6targetE1EEEvT1_.has_indirect_call, 0
	.section	.AMDGPU.csdata,"",@progbits
; Kernel info:
; codeLenInByte = 220
; TotalNumSgprs: 18
; NumVgprs: 8
; NumAgprs: 0
; TotalNumVgprs: 8
; ScratchSize: 0
; MemoryBound: 0
; FloatMode: 240
; IeeeMode: 1
; LDSByteSize: 0 bytes/workgroup (compile time only)
; SGPRBlocks: 2
; VGPRBlocks: 0
; NumSGPRsForWavesPerEU: 18
; NumVGPRsForWavesPerEU: 8
; AccumOffset: 8
; Occupancy: 8
; WaveLimiterHint : 0
; COMPUTE_PGM_RSRC2:SCRATCH_EN: 0
; COMPUTE_PGM_RSRC2:USER_SGPR: 2
; COMPUTE_PGM_RSRC2:TRAP_HANDLER: 0
; COMPUTE_PGM_RSRC2:TGID_X_EN: 1
; COMPUTE_PGM_RSRC2:TGID_Y_EN: 0
; COMPUTE_PGM_RSRC2:TGID_Z_EN: 0
; COMPUTE_PGM_RSRC2:TIDIG_COMP_CNT: 0
; COMPUTE_PGM_RSRC3_GFX90A:ACCUM_OFFSET: 1
; COMPUTE_PGM_RSRC3_GFX90A:TG_SPLIT: 0
	.section	.text._ZN7rocprim17ROCPRIM_400000_NS6detail17trampoline_kernelINS0_14default_configENS1_25transform_config_selectorIlLb0EEEZNS1_14transform_implILb0ES3_S5_NS0_18transform_iteratorINS0_17counting_iteratorImlEEZNS1_24adjacent_difference_implIS3_Lb1ELb0EPlSB_N6thrust23THRUST_200600_302600_NS5minusIlEEEE10hipError_tPvRmT2_T3_mT4_P12ihipStream_tbEUlmE_lEESB_NS0_8identityIvEEEESG_SJ_SK_mSL_SN_bEUlT_E_NS1_11comp_targetILNS1_3genE5ELNS1_11target_archE942ELNS1_3gpuE9ELNS1_3repE0EEENS1_30default_config_static_selectorELNS0_4arch9wavefront6targetE1EEEvT1_,"axG",@progbits,_ZN7rocprim17ROCPRIM_400000_NS6detail17trampoline_kernelINS0_14default_configENS1_25transform_config_selectorIlLb0EEEZNS1_14transform_implILb0ES3_S5_NS0_18transform_iteratorINS0_17counting_iteratorImlEEZNS1_24adjacent_difference_implIS3_Lb1ELb0EPlSB_N6thrust23THRUST_200600_302600_NS5minusIlEEEE10hipError_tPvRmT2_T3_mT4_P12ihipStream_tbEUlmE_lEESB_NS0_8identityIvEEEESG_SJ_SK_mSL_SN_bEUlT_E_NS1_11comp_targetILNS1_3genE5ELNS1_11target_archE942ELNS1_3gpuE9ELNS1_3repE0EEENS1_30default_config_static_selectorELNS0_4arch9wavefront6targetE1EEEvT1_,comdat
	.protected	_ZN7rocprim17ROCPRIM_400000_NS6detail17trampoline_kernelINS0_14default_configENS1_25transform_config_selectorIlLb0EEEZNS1_14transform_implILb0ES3_S5_NS0_18transform_iteratorINS0_17counting_iteratorImlEEZNS1_24adjacent_difference_implIS3_Lb1ELb0EPlSB_N6thrust23THRUST_200600_302600_NS5minusIlEEEE10hipError_tPvRmT2_T3_mT4_P12ihipStream_tbEUlmE_lEESB_NS0_8identityIvEEEESG_SJ_SK_mSL_SN_bEUlT_E_NS1_11comp_targetILNS1_3genE5ELNS1_11target_archE942ELNS1_3gpuE9ELNS1_3repE0EEENS1_30default_config_static_selectorELNS0_4arch9wavefront6targetE1EEEvT1_ ; -- Begin function _ZN7rocprim17ROCPRIM_400000_NS6detail17trampoline_kernelINS0_14default_configENS1_25transform_config_selectorIlLb0EEEZNS1_14transform_implILb0ES3_S5_NS0_18transform_iteratorINS0_17counting_iteratorImlEEZNS1_24adjacent_difference_implIS3_Lb1ELb0EPlSB_N6thrust23THRUST_200600_302600_NS5minusIlEEEE10hipError_tPvRmT2_T3_mT4_P12ihipStream_tbEUlmE_lEESB_NS0_8identityIvEEEESG_SJ_SK_mSL_SN_bEUlT_E_NS1_11comp_targetILNS1_3genE5ELNS1_11target_archE942ELNS1_3gpuE9ELNS1_3repE0EEENS1_30default_config_static_selectorELNS0_4arch9wavefront6targetE1EEEvT1_
	.globl	_ZN7rocprim17ROCPRIM_400000_NS6detail17trampoline_kernelINS0_14default_configENS1_25transform_config_selectorIlLb0EEEZNS1_14transform_implILb0ES3_S5_NS0_18transform_iteratorINS0_17counting_iteratorImlEEZNS1_24adjacent_difference_implIS3_Lb1ELb0EPlSB_N6thrust23THRUST_200600_302600_NS5minusIlEEEE10hipError_tPvRmT2_T3_mT4_P12ihipStream_tbEUlmE_lEESB_NS0_8identityIvEEEESG_SJ_SK_mSL_SN_bEUlT_E_NS1_11comp_targetILNS1_3genE5ELNS1_11target_archE942ELNS1_3gpuE9ELNS1_3repE0EEENS1_30default_config_static_selectorELNS0_4arch9wavefront6targetE1EEEvT1_
	.p2align	8
	.type	_ZN7rocprim17ROCPRIM_400000_NS6detail17trampoline_kernelINS0_14default_configENS1_25transform_config_selectorIlLb0EEEZNS1_14transform_implILb0ES3_S5_NS0_18transform_iteratorINS0_17counting_iteratorImlEEZNS1_24adjacent_difference_implIS3_Lb1ELb0EPlSB_N6thrust23THRUST_200600_302600_NS5minusIlEEEE10hipError_tPvRmT2_T3_mT4_P12ihipStream_tbEUlmE_lEESB_NS0_8identityIvEEEESG_SJ_SK_mSL_SN_bEUlT_E_NS1_11comp_targetILNS1_3genE5ELNS1_11target_archE942ELNS1_3gpuE9ELNS1_3repE0EEENS1_30default_config_static_selectorELNS0_4arch9wavefront6targetE1EEEvT1_,@function
_ZN7rocprim17ROCPRIM_400000_NS6detail17trampoline_kernelINS0_14default_configENS1_25transform_config_selectorIlLb0EEEZNS1_14transform_implILb0ES3_S5_NS0_18transform_iteratorINS0_17counting_iteratorImlEEZNS1_24adjacent_difference_implIS3_Lb1ELb0EPlSB_N6thrust23THRUST_200600_302600_NS5minusIlEEEE10hipError_tPvRmT2_T3_mT4_P12ihipStream_tbEUlmE_lEESB_NS0_8identityIvEEEESG_SJ_SK_mSL_SN_bEUlT_E_NS1_11comp_targetILNS1_3genE5ELNS1_11target_archE942ELNS1_3gpuE9ELNS1_3repE0EEENS1_30default_config_static_selectorELNS0_4arch9wavefront6targetE1EEEvT1_: ; @_ZN7rocprim17ROCPRIM_400000_NS6detail17trampoline_kernelINS0_14default_configENS1_25transform_config_selectorIlLb0EEEZNS1_14transform_implILb0ES3_S5_NS0_18transform_iteratorINS0_17counting_iteratorImlEEZNS1_24adjacent_difference_implIS3_Lb1ELb0EPlSB_N6thrust23THRUST_200600_302600_NS5minusIlEEEE10hipError_tPvRmT2_T3_mT4_P12ihipStream_tbEUlmE_lEESB_NS0_8identityIvEEEESG_SJ_SK_mSL_SN_bEUlT_E_NS1_11comp_targetILNS1_3genE5ELNS1_11target_archE942ELNS1_3gpuE9ELNS1_3repE0EEENS1_30default_config_static_selectorELNS0_4arch9wavefront6targetE1EEEvT1_
; %bb.0:
	.section	.rodata,"a",@progbits
	.p2align	6, 0x0
	.amdhsa_kernel _ZN7rocprim17ROCPRIM_400000_NS6detail17trampoline_kernelINS0_14default_configENS1_25transform_config_selectorIlLb0EEEZNS1_14transform_implILb0ES3_S5_NS0_18transform_iteratorINS0_17counting_iteratorImlEEZNS1_24adjacent_difference_implIS3_Lb1ELb0EPlSB_N6thrust23THRUST_200600_302600_NS5minusIlEEEE10hipError_tPvRmT2_T3_mT4_P12ihipStream_tbEUlmE_lEESB_NS0_8identityIvEEEESG_SJ_SK_mSL_SN_bEUlT_E_NS1_11comp_targetILNS1_3genE5ELNS1_11target_archE942ELNS1_3gpuE9ELNS1_3repE0EEENS1_30default_config_static_selectorELNS0_4arch9wavefront6targetE1EEEvT1_
		.amdhsa_group_segment_fixed_size 0
		.amdhsa_private_segment_fixed_size 0
		.amdhsa_kernarg_size 56
		.amdhsa_user_sgpr_count 2
		.amdhsa_user_sgpr_dispatch_ptr 0
		.amdhsa_user_sgpr_queue_ptr 0
		.amdhsa_user_sgpr_kernarg_segment_ptr 1
		.amdhsa_user_sgpr_dispatch_id 0
		.amdhsa_user_sgpr_kernarg_preload_length 0
		.amdhsa_user_sgpr_kernarg_preload_offset 0
		.amdhsa_user_sgpr_private_segment_size 0
		.amdhsa_uses_dynamic_stack 0
		.amdhsa_enable_private_segment 0
		.amdhsa_system_sgpr_workgroup_id_x 1
		.amdhsa_system_sgpr_workgroup_id_y 0
		.amdhsa_system_sgpr_workgroup_id_z 0
		.amdhsa_system_sgpr_workgroup_info 0
		.amdhsa_system_vgpr_workitem_id 0
		.amdhsa_next_free_vgpr 1
		.amdhsa_next_free_sgpr 0
		.amdhsa_accum_offset 4
		.amdhsa_reserve_vcc 0
		.amdhsa_float_round_mode_32 0
		.amdhsa_float_round_mode_16_64 0
		.amdhsa_float_denorm_mode_32 3
		.amdhsa_float_denorm_mode_16_64 3
		.amdhsa_dx10_clamp 1
		.amdhsa_ieee_mode 1
		.amdhsa_fp16_overflow 0
		.amdhsa_tg_split 0
		.amdhsa_exception_fp_ieee_invalid_op 0
		.amdhsa_exception_fp_denorm_src 0
		.amdhsa_exception_fp_ieee_div_zero 0
		.amdhsa_exception_fp_ieee_overflow 0
		.amdhsa_exception_fp_ieee_underflow 0
		.amdhsa_exception_fp_ieee_inexact 0
		.amdhsa_exception_int_div_zero 0
	.end_amdhsa_kernel
	.section	.text._ZN7rocprim17ROCPRIM_400000_NS6detail17trampoline_kernelINS0_14default_configENS1_25transform_config_selectorIlLb0EEEZNS1_14transform_implILb0ES3_S5_NS0_18transform_iteratorINS0_17counting_iteratorImlEEZNS1_24adjacent_difference_implIS3_Lb1ELb0EPlSB_N6thrust23THRUST_200600_302600_NS5minusIlEEEE10hipError_tPvRmT2_T3_mT4_P12ihipStream_tbEUlmE_lEESB_NS0_8identityIvEEEESG_SJ_SK_mSL_SN_bEUlT_E_NS1_11comp_targetILNS1_3genE5ELNS1_11target_archE942ELNS1_3gpuE9ELNS1_3repE0EEENS1_30default_config_static_selectorELNS0_4arch9wavefront6targetE1EEEvT1_,"axG",@progbits,_ZN7rocprim17ROCPRIM_400000_NS6detail17trampoline_kernelINS0_14default_configENS1_25transform_config_selectorIlLb0EEEZNS1_14transform_implILb0ES3_S5_NS0_18transform_iteratorINS0_17counting_iteratorImlEEZNS1_24adjacent_difference_implIS3_Lb1ELb0EPlSB_N6thrust23THRUST_200600_302600_NS5minusIlEEEE10hipError_tPvRmT2_T3_mT4_P12ihipStream_tbEUlmE_lEESB_NS0_8identityIvEEEESG_SJ_SK_mSL_SN_bEUlT_E_NS1_11comp_targetILNS1_3genE5ELNS1_11target_archE942ELNS1_3gpuE9ELNS1_3repE0EEENS1_30default_config_static_selectorELNS0_4arch9wavefront6targetE1EEEvT1_,comdat
.Lfunc_end245:
	.size	_ZN7rocprim17ROCPRIM_400000_NS6detail17trampoline_kernelINS0_14default_configENS1_25transform_config_selectorIlLb0EEEZNS1_14transform_implILb0ES3_S5_NS0_18transform_iteratorINS0_17counting_iteratorImlEEZNS1_24adjacent_difference_implIS3_Lb1ELb0EPlSB_N6thrust23THRUST_200600_302600_NS5minusIlEEEE10hipError_tPvRmT2_T3_mT4_P12ihipStream_tbEUlmE_lEESB_NS0_8identityIvEEEESG_SJ_SK_mSL_SN_bEUlT_E_NS1_11comp_targetILNS1_3genE5ELNS1_11target_archE942ELNS1_3gpuE9ELNS1_3repE0EEENS1_30default_config_static_selectorELNS0_4arch9wavefront6targetE1EEEvT1_, .Lfunc_end245-_ZN7rocprim17ROCPRIM_400000_NS6detail17trampoline_kernelINS0_14default_configENS1_25transform_config_selectorIlLb0EEEZNS1_14transform_implILb0ES3_S5_NS0_18transform_iteratorINS0_17counting_iteratorImlEEZNS1_24adjacent_difference_implIS3_Lb1ELb0EPlSB_N6thrust23THRUST_200600_302600_NS5minusIlEEEE10hipError_tPvRmT2_T3_mT4_P12ihipStream_tbEUlmE_lEESB_NS0_8identityIvEEEESG_SJ_SK_mSL_SN_bEUlT_E_NS1_11comp_targetILNS1_3genE5ELNS1_11target_archE942ELNS1_3gpuE9ELNS1_3repE0EEENS1_30default_config_static_selectorELNS0_4arch9wavefront6targetE1EEEvT1_
                                        ; -- End function
	.set _ZN7rocprim17ROCPRIM_400000_NS6detail17trampoline_kernelINS0_14default_configENS1_25transform_config_selectorIlLb0EEEZNS1_14transform_implILb0ES3_S5_NS0_18transform_iteratorINS0_17counting_iteratorImlEEZNS1_24adjacent_difference_implIS3_Lb1ELb0EPlSB_N6thrust23THRUST_200600_302600_NS5minusIlEEEE10hipError_tPvRmT2_T3_mT4_P12ihipStream_tbEUlmE_lEESB_NS0_8identityIvEEEESG_SJ_SK_mSL_SN_bEUlT_E_NS1_11comp_targetILNS1_3genE5ELNS1_11target_archE942ELNS1_3gpuE9ELNS1_3repE0EEENS1_30default_config_static_selectorELNS0_4arch9wavefront6targetE1EEEvT1_.num_vgpr, 0
	.set _ZN7rocprim17ROCPRIM_400000_NS6detail17trampoline_kernelINS0_14default_configENS1_25transform_config_selectorIlLb0EEEZNS1_14transform_implILb0ES3_S5_NS0_18transform_iteratorINS0_17counting_iteratorImlEEZNS1_24adjacent_difference_implIS3_Lb1ELb0EPlSB_N6thrust23THRUST_200600_302600_NS5minusIlEEEE10hipError_tPvRmT2_T3_mT4_P12ihipStream_tbEUlmE_lEESB_NS0_8identityIvEEEESG_SJ_SK_mSL_SN_bEUlT_E_NS1_11comp_targetILNS1_3genE5ELNS1_11target_archE942ELNS1_3gpuE9ELNS1_3repE0EEENS1_30default_config_static_selectorELNS0_4arch9wavefront6targetE1EEEvT1_.num_agpr, 0
	.set _ZN7rocprim17ROCPRIM_400000_NS6detail17trampoline_kernelINS0_14default_configENS1_25transform_config_selectorIlLb0EEEZNS1_14transform_implILb0ES3_S5_NS0_18transform_iteratorINS0_17counting_iteratorImlEEZNS1_24adjacent_difference_implIS3_Lb1ELb0EPlSB_N6thrust23THRUST_200600_302600_NS5minusIlEEEE10hipError_tPvRmT2_T3_mT4_P12ihipStream_tbEUlmE_lEESB_NS0_8identityIvEEEESG_SJ_SK_mSL_SN_bEUlT_E_NS1_11comp_targetILNS1_3genE5ELNS1_11target_archE942ELNS1_3gpuE9ELNS1_3repE0EEENS1_30default_config_static_selectorELNS0_4arch9wavefront6targetE1EEEvT1_.numbered_sgpr, 0
	.set _ZN7rocprim17ROCPRIM_400000_NS6detail17trampoline_kernelINS0_14default_configENS1_25transform_config_selectorIlLb0EEEZNS1_14transform_implILb0ES3_S5_NS0_18transform_iteratorINS0_17counting_iteratorImlEEZNS1_24adjacent_difference_implIS3_Lb1ELb0EPlSB_N6thrust23THRUST_200600_302600_NS5minusIlEEEE10hipError_tPvRmT2_T3_mT4_P12ihipStream_tbEUlmE_lEESB_NS0_8identityIvEEEESG_SJ_SK_mSL_SN_bEUlT_E_NS1_11comp_targetILNS1_3genE5ELNS1_11target_archE942ELNS1_3gpuE9ELNS1_3repE0EEENS1_30default_config_static_selectorELNS0_4arch9wavefront6targetE1EEEvT1_.num_named_barrier, 0
	.set _ZN7rocprim17ROCPRIM_400000_NS6detail17trampoline_kernelINS0_14default_configENS1_25transform_config_selectorIlLb0EEEZNS1_14transform_implILb0ES3_S5_NS0_18transform_iteratorINS0_17counting_iteratorImlEEZNS1_24adjacent_difference_implIS3_Lb1ELb0EPlSB_N6thrust23THRUST_200600_302600_NS5minusIlEEEE10hipError_tPvRmT2_T3_mT4_P12ihipStream_tbEUlmE_lEESB_NS0_8identityIvEEEESG_SJ_SK_mSL_SN_bEUlT_E_NS1_11comp_targetILNS1_3genE5ELNS1_11target_archE942ELNS1_3gpuE9ELNS1_3repE0EEENS1_30default_config_static_selectorELNS0_4arch9wavefront6targetE1EEEvT1_.private_seg_size, 0
	.set _ZN7rocprim17ROCPRIM_400000_NS6detail17trampoline_kernelINS0_14default_configENS1_25transform_config_selectorIlLb0EEEZNS1_14transform_implILb0ES3_S5_NS0_18transform_iteratorINS0_17counting_iteratorImlEEZNS1_24adjacent_difference_implIS3_Lb1ELb0EPlSB_N6thrust23THRUST_200600_302600_NS5minusIlEEEE10hipError_tPvRmT2_T3_mT4_P12ihipStream_tbEUlmE_lEESB_NS0_8identityIvEEEESG_SJ_SK_mSL_SN_bEUlT_E_NS1_11comp_targetILNS1_3genE5ELNS1_11target_archE942ELNS1_3gpuE9ELNS1_3repE0EEENS1_30default_config_static_selectorELNS0_4arch9wavefront6targetE1EEEvT1_.uses_vcc, 0
	.set _ZN7rocprim17ROCPRIM_400000_NS6detail17trampoline_kernelINS0_14default_configENS1_25transform_config_selectorIlLb0EEEZNS1_14transform_implILb0ES3_S5_NS0_18transform_iteratorINS0_17counting_iteratorImlEEZNS1_24adjacent_difference_implIS3_Lb1ELb0EPlSB_N6thrust23THRUST_200600_302600_NS5minusIlEEEE10hipError_tPvRmT2_T3_mT4_P12ihipStream_tbEUlmE_lEESB_NS0_8identityIvEEEESG_SJ_SK_mSL_SN_bEUlT_E_NS1_11comp_targetILNS1_3genE5ELNS1_11target_archE942ELNS1_3gpuE9ELNS1_3repE0EEENS1_30default_config_static_selectorELNS0_4arch9wavefront6targetE1EEEvT1_.uses_flat_scratch, 0
	.set _ZN7rocprim17ROCPRIM_400000_NS6detail17trampoline_kernelINS0_14default_configENS1_25transform_config_selectorIlLb0EEEZNS1_14transform_implILb0ES3_S5_NS0_18transform_iteratorINS0_17counting_iteratorImlEEZNS1_24adjacent_difference_implIS3_Lb1ELb0EPlSB_N6thrust23THRUST_200600_302600_NS5minusIlEEEE10hipError_tPvRmT2_T3_mT4_P12ihipStream_tbEUlmE_lEESB_NS0_8identityIvEEEESG_SJ_SK_mSL_SN_bEUlT_E_NS1_11comp_targetILNS1_3genE5ELNS1_11target_archE942ELNS1_3gpuE9ELNS1_3repE0EEENS1_30default_config_static_selectorELNS0_4arch9wavefront6targetE1EEEvT1_.has_dyn_sized_stack, 0
	.set _ZN7rocprim17ROCPRIM_400000_NS6detail17trampoline_kernelINS0_14default_configENS1_25transform_config_selectorIlLb0EEEZNS1_14transform_implILb0ES3_S5_NS0_18transform_iteratorINS0_17counting_iteratorImlEEZNS1_24adjacent_difference_implIS3_Lb1ELb0EPlSB_N6thrust23THRUST_200600_302600_NS5minusIlEEEE10hipError_tPvRmT2_T3_mT4_P12ihipStream_tbEUlmE_lEESB_NS0_8identityIvEEEESG_SJ_SK_mSL_SN_bEUlT_E_NS1_11comp_targetILNS1_3genE5ELNS1_11target_archE942ELNS1_3gpuE9ELNS1_3repE0EEENS1_30default_config_static_selectorELNS0_4arch9wavefront6targetE1EEEvT1_.has_recursion, 0
	.set _ZN7rocprim17ROCPRIM_400000_NS6detail17trampoline_kernelINS0_14default_configENS1_25transform_config_selectorIlLb0EEEZNS1_14transform_implILb0ES3_S5_NS0_18transform_iteratorINS0_17counting_iteratorImlEEZNS1_24adjacent_difference_implIS3_Lb1ELb0EPlSB_N6thrust23THRUST_200600_302600_NS5minusIlEEEE10hipError_tPvRmT2_T3_mT4_P12ihipStream_tbEUlmE_lEESB_NS0_8identityIvEEEESG_SJ_SK_mSL_SN_bEUlT_E_NS1_11comp_targetILNS1_3genE5ELNS1_11target_archE942ELNS1_3gpuE9ELNS1_3repE0EEENS1_30default_config_static_selectorELNS0_4arch9wavefront6targetE1EEEvT1_.has_indirect_call, 0
	.section	.AMDGPU.csdata,"",@progbits
; Kernel info:
; codeLenInByte = 0
; TotalNumSgprs: 6
; NumVgprs: 0
; NumAgprs: 0
; TotalNumVgprs: 0
; ScratchSize: 0
; MemoryBound: 0
; FloatMode: 240
; IeeeMode: 1
; LDSByteSize: 0 bytes/workgroup (compile time only)
; SGPRBlocks: 0
; VGPRBlocks: 0
; NumSGPRsForWavesPerEU: 6
; NumVGPRsForWavesPerEU: 1
; AccumOffset: 4
; Occupancy: 8
; WaveLimiterHint : 0
; COMPUTE_PGM_RSRC2:SCRATCH_EN: 0
; COMPUTE_PGM_RSRC2:USER_SGPR: 2
; COMPUTE_PGM_RSRC2:TRAP_HANDLER: 0
; COMPUTE_PGM_RSRC2:TGID_X_EN: 1
; COMPUTE_PGM_RSRC2:TGID_Y_EN: 0
; COMPUTE_PGM_RSRC2:TGID_Z_EN: 0
; COMPUTE_PGM_RSRC2:TIDIG_COMP_CNT: 0
; COMPUTE_PGM_RSRC3_GFX90A:ACCUM_OFFSET: 0
; COMPUTE_PGM_RSRC3_GFX90A:TG_SPLIT: 0
	.section	.text._ZN7rocprim17ROCPRIM_400000_NS6detail17trampoline_kernelINS0_14default_configENS1_25transform_config_selectorIlLb0EEEZNS1_14transform_implILb0ES3_S5_NS0_18transform_iteratorINS0_17counting_iteratorImlEEZNS1_24adjacent_difference_implIS3_Lb1ELb0EPlSB_N6thrust23THRUST_200600_302600_NS5minusIlEEEE10hipError_tPvRmT2_T3_mT4_P12ihipStream_tbEUlmE_lEESB_NS0_8identityIvEEEESG_SJ_SK_mSL_SN_bEUlT_E_NS1_11comp_targetILNS1_3genE4ELNS1_11target_archE910ELNS1_3gpuE8ELNS1_3repE0EEENS1_30default_config_static_selectorELNS0_4arch9wavefront6targetE1EEEvT1_,"axG",@progbits,_ZN7rocprim17ROCPRIM_400000_NS6detail17trampoline_kernelINS0_14default_configENS1_25transform_config_selectorIlLb0EEEZNS1_14transform_implILb0ES3_S5_NS0_18transform_iteratorINS0_17counting_iteratorImlEEZNS1_24adjacent_difference_implIS3_Lb1ELb0EPlSB_N6thrust23THRUST_200600_302600_NS5minusIlEEEE10hipError_tPvRmT2_T3_mT4_P12ihipStream_tbEUlmE_lEESB_NS0_8identityIvEEEESG_SJ_SK_mSL_SN_bEUlT_E_NS1_11comp_targetILNS1_3genE4ELNS1_11target_archE910ELNS1_3gpuE8ELNS1_3repE0EEENS1_30default_config_static_selectorELNS0_4arch9wavefront6targetE1EEEvT1_,comdat
	.protected	_ZN7rocprim17ROCPRIM_400000_NS6detail17trampoline_kernelINS0_14default_configENS1_25transform_config_selectorIlLb0EEEZNS1_14transform_implILb0ES3_S5_NS0_18transform_iteratorINS0_17counting_iteratorImlEEZNS1_24adjacent_difference_implIS3_Lb1ELb0EPlSB_N6thrust23THRUST_200600_302600_NS5minusIlEEEE10hipError_tPvRmT2_T3_mT4_P12ihipStream_tbEUlmE_lEESB_NS0_8identityIvEEEESG_SJ_SK_mSL_SN_bEUlT_E_NS1_11comp_targetILNS1_3genE4ELNS1_11target_archE910ELNS1_3gpuE8ELNS1_3repE0EEENS1_30default_config_static_selectorELNS0_4arch9wavefront6targetE1EEEvT1_ ; -- Begin function _ZN7rocprim17ROCPRIM_400000_NS6detail17trampoline_kernelINS0_14default_configENS1_25transform_config_selectorIlLb0EEEZNS1_14transform_implILb0ES3_S5_NS0_18transform_iteratorINS0_17counting_iteratorImlEEZNS1_24adjacent_difference_implIS3_Lb1ELb0EPlSB_N6thrust23THRUST_200600_302600_NS5minusIlEEEE10hipError_tPvRmT2_T3_mT4_P12ihipStream_tbEUlmE_lEESB_NS0_8identityIvEEEESG_SJ_SK_mSL_SN_bEUlT_E_NS1_11comp_targetILNS1_3genE4ELNS1_11target_archE910ELNS1_3gpuE8ELNS1_3repE0EEENS1_30default_config_static_selectorELNS0_4arch9wavefront6targetE1EEEvT1_
	.globl	_ZN7rocprim17ROCPRIM_400000_NS6detail17trampoline_kernelINS0_14default_configENS1_25transform_config_selectorIlLb0EEEZNS1_14transform_implILb0ES3_S5_NS0_18transform_iteratorINS0_17counting_iteratorImlEEZNS1_24adjacent_difference_implIS3_Lb1ELb0EPlSB_N6thrust23THRUST_200600_302600_NS5minusIlEEEE10hipError_tPvRmT2_T3_mT4_P12ihipStream_tbEUlmE_lEESB_NS0_8identityIvEEEESG_SJ_SK_mSL_SN_bEUlT_E_NS1_11comp_targetILNS1_3genE4ELNS1_11target_archE910ELNS1_3gpuE8ELNS1_3repE0EEENS1_30default_config_static_selectorELNS0_4arch9wavefront6targetE1EEEvT1_
	.p2align	8
	.type	_ZN7rocprim17ROCPRIM_400000_NS6detail17trampoline_kernelINS0_14default_configENS1_25transform_config_selectorIlLb0EEEZNS1_14transform_implILb0ES3_S5_NS0_18transform_iteratorINS0_17counting_iteratorImlEEZNS1_24adjacent_difference_implIS3_Lb1ELb0EPlSB_N6thrust23THRUST_200600_302600_NS5minusIlEEEE10hipError_tPvRmT2_T3_mT4_P12ihipStream_tbEUlmE_lEESB_NS0_8identityIvEEEESG_SJ_SK_mSL_SN_bEUlT_E_NS1_11comp_targetILNS1_3genE4ELNS1_11target_archE910ELNS1_3gpuE8ELNS1_3repE0EEENS1_30default_config_static_selectorELNS0_4arch9wavefront6targetE1EEEvT1_,@function
_ZN7rocprim17ROCPRIM_400000_NS6detail17trampoline_kernelINS0_14default_configENS1_25transform_config_selectorIlLb0EEEZNS1_14transform_implILb0ES3_S5_NS0_18transform_iteratorINS0_17counting_iteratorImlEEZNS1_24adjacent_difference_implIS3_Lb1ELb0EPlSB_N6thrust23THRUST_200600_302600_NS5minusIlEEEE10hipError_tPvRmT2_T3_mT4_P12ihipStream_tbEUlmE_lEESB_NS0_8identityIvEEEESG_SJ_SK_mSL_SN_bEUlT_E_NS1_11comp_targetILNS1_3genE4ELNS1_11target_archE910ELNS1_3gpuE8ELNS1_3repE0EEENS1_30default_config_static_selectorELNS0_4arch9wavefront6targetE1EEEvT1_: ; @_ZN7rocprim17ROCPRIM_400000_NS6detail17trampoline_kernelINS0_14default_configENS1_25transform_config_selectorIlLb0EEEZNS1_14transform_implILb0ES3_S5_NS0_18transform_iteratorINS0_17counting_iteratorImlEEZNS1_24adjacent_difference_implIS3_Lb1ELb0EPlSB_N6thrust23THRUST_200600_302600_NS5minusIlEEEE10hipError_tPvRmT2_T3_mT4_P12ihipStream_tbEUlmE_lEESB_NS0_8identityIvEEEESG_SJ_SK_mSL_SN_bEUlT_E_NS1_11comp_targetILNS1_3genE4ELNS1_11target_archE910ELNS1_3gpuE8ELNS1_3repE0EEENS1_30default_config_static_selectorELNS0_4arch9wavefront6targetE1EEEvT1_
; %bb.0:
	.section	.rodata,"a",@progbits
	.p2align	6, 0x0
	.amdhsa_kernel _ZN7rocprim17ROCPRIM_400000_NS6detail17trampoline_kernelINS0_14default_configENS1_25transform_config_selectorIlLb0EEEZNS1_14transform_implILb0ES3_S5_NS0_18transform_iteratorINS0_17counting_iteratorImlEEZNS1_24adjacent_difference_implIS3_Lb1ELb0EPlSB_N6thrust23THRUST_200600_302600_NS5minusIlEEEE10hipError_tPvRmT2_T3_mT4_P12ihipStream_tbEUlmE_lEESB_NS0_8identityIvEEEESG_SJ_SK_mSL_SN_bEUlT_E_NS1_11comp_targetILNS1_3genE4ELNS1_11target_archE910ELNS1_3gpuE8ELNS1_3repE0EEENS1_30default_config_static_selectorELNS0_4arch9wavefront6targetE1EEEvT1_
		.amdhsa_group_segment_fixed_size 0
		.amdhsa_private_segment_fixed_size 0
		.amdhsa_kernarg_size 56
		.amdhsa_user_sgpr_count 2
		.amdhsa_user_sgpr_dispatch_ptr 0
		.amdhsa_user_sgpr_queue_ptr 0
		.amdhsa_user_sgpr_kernarg_segment_ptr 1
		.amdhsa_user_sgpr_dispatch_id 0
		.amdhsa_user_sgpr_kernarg_preload_length 0
		.amdhsa_user_sgpr_kernarg_preload_offset 0
		.amdhsa_user_sgpr_private_segment_size 0
		.amdhsa_uses_dynamic_stack 0
		.amdhsa_enable_private_segment 0
		.amdhsa_system_sgpr_workgroup_id_x 1
		.amdhsa_system_sgpr_workgroup_id_y 0
		.amdhsa_system_sgpr_workgroup_id_z 0
		.amdhsa_system_sgpr_workgroup_info 0
		.amdhsa_system_vgpr_workitem_id 0
		.amdhsa_next_free_vgpr 1
		.amdhsa_next_free_sgpr 0
		.amdhsa_accum_offset 4
		.amdhsa_reserve_vcc 0
		.amdhsa_float_round_mode_32 0
		.amdhsa_float_round_mode_16_64 0
		.amdhsa_float_denorm_mode_32 3
		.amdhsa_float_denorm_mode_16_64 3
		.amdhsa_dx10_clamp 1
		.amdhsa_ieee_mode 1
		.amdhsa_fp16_overflow 0
		.amdhsa_tg_split 0
		.amdhsa_exception_fp_ieee_invalid_op 0
		.amdhsa_exception_fp_denorm_src 0
		.amdhsa_exception_fp_ieee_div_zero 0
		.amdhsa_exception_fp_ieee_overflow 0
		.amdhsa_exception_fp_ieee_underflow 0
		.amdhsa_exception_fp_ieee_inexact 0
		.amdhsa_exception_int_div_zero 0
	.end_amdhsa_kernel
	.section	.text._ZN7rocprim17ROCPRIM_400000_NS6detail17trampoline_kernelINS0_14default_configENS1_25transform_config_selectorIlLb0EEEZNS1_14transform_implILb0ES3_S5_NS0_18transform_iteratorINS0_17counting_iteratorImlEEZNS1_24adjacent_difference_implIS3_Lb1ELb0EPlSB_N6thrust23THRUST_200600_302600_NS5minusIlEEEE10hipError_tPvRmT2_T3_mT4_P12ihipStream_tbEUlmE_lEESB_NS0_8identityIvEEEESG_SJ_SK_mSL_SN_bEUlT_E_NS1_11comp_targetILNS1_3genE4ELNS1_11target_archE910ELNS1_3gpuE8ELNS1_3repE0EEENS1_30default_config_static_selectorELNS0_4arch9wavefront6targetE1EEEvT1_,"axG",@progbits,_ZN7rocprim17ROCPRIM_400000_NS6detail17trampoline_kernelINS0_14default_configENS1_25transform_config_selectorIlLb0EEEZNS1_14transform_implILb0ES3_S5_NS0_18transform_iteratorINS0_17counting_iteratorImlEEZNS1_24adjacent_difference_implIS3_Lb1ELb0EPlSB_N6thrust23THRUST_200600_302600_NS5minusIlEEEE10hipError_tPvRmT2_T3_mT4_P12ihipStream_tbEUlmE_lEESB_NS0_8identityIvEEEESG_SJ_SK_mSL_SN_bEUlT_E_NS1_11comp_targetILNS1_3genE4ELNS1_11target_archE910ELNS1_3gpuE8ELNS1_3repE0EEENS1_30default_config_static_selectorELNS0_4arch9wavefront6targetE1EEEvT1_,comdat
.Lfunc_end246:
	.size	_ZN7rocprim17ROCPRIM_400000_NS6detail17trampoline_kernelINS0_14default_configENS1_25transform_config_selectorIlLb0EEEZNS1_14transform_implILb0ES3_S5_NS0_18transform_iteratorINS0_17counting_iteratorImlEEZNS1_24adjacent_difference_implIS3_Lb1ELb0EPlSB_N6thrust23THRUST_200600_302600_NS5minusIlEEEE10hipError_tPvRmT2_T3_mT4_P12ihipStream_tbEUlmE_lEESB_NS0_8identityIvEEEESG_SJ_SK_mSL_SN_bEUlT_E_NS1_11comp_targetILNS1_3genE4ELNS1_11target_archE910ELNS1_3gpuE8ELNS1_3repE0EEENS1_30default_config_static_selectorELNS0_4arch9wavefront6targetE1EEEvT1_, .Lfunc_end246-_ZN7rocprim17ROCPRIM_400000_NS6detail17trampoline_kernelINS0_14default_configENS1_25transform_config_selectorIlLb0EEEZNS1_14transform_implILb0ES3_S5_NS0_18transform_iteratorINS0_17counting_iteratorImlEEZNS1_24adjacent_difference_implIS3_Lb1ELb0EPlSB_N6thrust23THRUST_200600_302600_NS5minusIlEEEE10hipError_tPvRmT2_T3_mT4_P12ihipStream_tbEUlmE_lEESB_NS0_8identityIvEEEESG_SJ_SK_mSL_SN_bEUlT_E_NS1_11comp_targetILNS1_3genE4ELNS1_11target_archE910ELNS1_3gpuE8ELNS1_3repE0EEENS1_30default_config_static_selectorELNS0_4arch9wavefront6targetE1EEEvT1_
                                        ; -- End function
	.set _ZN7rocprim17ROCPRIM_400000_NS6detail17trampoline_kernelINS0_14default_configENS1_25transform_config_selectorIlLb0EEEZNS1_14transform_implILb0ES3_S5_NS0_18transform_iteratorINS0_17counting_iteratorImlEEZNS1_24adjacent_difference_implIS3_Lb1ELb0EPlSB_N6thrust23THRUST_200600_302600_NS5minusIlEEEE10hipError_tPvRmT2_T3_mT4_P12ihipStream_tbEUlmE_lEESB_NS0_8identityIvEEEESG_SJ_SK_mSL_SN_bEUlT_E_NS1_11comp_targetILNS1_3genE4ELNS1_11target_archE910ELNS1_3gpuE8ELNS1_3repE0EEENS1_30default_config_static_selectorELNS0_4arch9wavefront6targetE1EEEvT1_.num_vgpr, 0
	.set _ZN7rocprim17ROCPRIM_400000_NS6detail17trampoline_kernelINS0_14default_configENS1_25transform_config_selectorIlLb0EEEZNS1_14transform_implILb0ES3_S5_NS0_18transform_iteratorINS0_17counting_iteratorImlEEZNS1_24adjacent_difference_implIS3_Lb1ELb0EPlSB_N6thrust23THRUST_200600_302600_NS5minusIlEEEE10hipError_tPvRmT2_T3_mT4_P12ihipStream_tbEUlmE_lEESB_NS0_8identityIvEEEESG_SJ_SK_mSL_SN_bEUlT_E_NS1_11comp_targetILNS1_3genE4ELNS1_11target_archE910ELNS1_3gpuE8ELNS1_3repE0EEENS1_30default_config_static_selectorELNS0_4arch9wavefront6targetE1EEEvT1_.num_agpr, 0
	.set _ZN7rocprim17ROCPRIM_400000_NS6detail17trampoline_kernelINS0_14default_configENS1_25transform_config_selectorIlLb0EEEZNS1_14transform_implILb0ES3_S5_NS0_18transform_iteratorINS0_17counting_iteratorImlEEZNS1_24adjacent_difference_implIS3_Lb1ELb0EPlSB_N6thrust23THRUST_200600_302600_NS5minusIlEEEE10hipError_tPvRmT2_T3_mT4_P12ihipStream_tbEUlmE_lEESB_NS0_8identityIvEEEESG_SJ_SK_mSL_SN_bEUlT_E_NS1_11comp_targetILNS1_3genE4ELNS1_11target_archE910ELNS1_3gpuE8ELNS1_3repE0EEENS1_30default_config_static_selectorELNS0_4arch9wavefront6targetE1EEEvT1_.numbered_sgpr, 0
	.set _ZN7rocprim17ROCPRIM_400000_NS6detail17trampoline_kernelINS0_14default_configENS1_25transform_config_selectorIlLb0EEEZNS1_14transform_implILb0ES3_S5_NS0_18transform_iteratorINS0_17counting_iteratorImlEEZNS1_24adjacent_difference_implIS3_Lb1ELb0EPlSB_N6thrust23THRUST_200600_302600_NS5minusIlEEEE10hipError_tPvRmT2_T3_mT4_P12ihipStream_tbEUlmE_lEESB_NS0_8identityIvEEEESG_SJ_SK_mSL_SN_bEUlT_E_NS1_11comp_targetILNS1_3genE4ELNS1_11target_archE910ELNS1_3gpuE8ELNS1_3repE0EEENS1_30default_config_static_selectorELNS0_4arch9wavefront6targetE1EEEvT1_.num_named_barrier, 0
	.set _ZN7rocprim17ROCPRIM_400000_NS6detail17trampoline_kernelINS0_14default_configENS1_25transform_config_selectorIlLb0EEEZNS1_14transform_implILb0ES3_S5_NS0_18transform_iteratorINS0_17counting_iteratorImlEEZNS1_24adjacent_difference_implIS3_Lb1ELb0EPlSB_N6thrust23THRUST_200600_302600_NS5minusIlEEEE10hipError_tPvRmT2_T3_mT4_P12ihipStream_tbEUlmE_lEESB_NS0_8identityIvEEEESG_SJ_SK_mSL_SN_bEUlT_E_NS1_11comp_targetILNS1_3genE4ELNS1_11target_archE910ELNS1_3gpuE8ELNS1_3repE0EEENS1_30default_config_static_selectorELNS0_4arch9wavefront6targetE1EEEvT1_.private_seg_size, 0
	.set _ZN7rocprim17ROCPRIM_400000_NS6detail17trampoline_kernelINS0_14default_configENS1_25transform_config_selectorIlLb0EEEZNS1_14transform_implILb0ES3_S5_NS0_18transform_iteratorINS0_17counting_iteratorImlEEZNS1_24adjacent_difference_implIS3_Lb1ELb0EPlSB_N6thrust23THRUST_200600_302600_NS5minusIlEEEE10hipError_tPvRmT2_T3_mT4_P12ihipStream_tbEUlmE_lEESB_NS0_8identityIvEEEESG_SJ_SK_mSL_SN_bEUlT_E_NS1_11comp_targetILNS1_3genE4ELNS1_11target_archE910ELNS1_3gpuE8ELNS1_3repE0EEENS1_30default_config_static_selectorELNS0_4arch9wavefront6targetE1EEEvT1_.uses_vcc, 0
	.set _ZN7rocprim17ROCPRIM_400000_NS6detail17trampoline_kernelINS0_14default_configENS1_25transform_config_selectorIlLb0EEEZNS1_14transform_implILb0ES3_S5_NS0_18transform_iteratorINS0_17counting_iteratorImlEEZNS1_24adjacent_difference_implIS3_Lb1ELb0EPlSB_N6thrust23THRUST_200600_302600_NS5minusIlEEEE10hipError_tPvRmT2_T3_mT4_P12ihipStream_tbEUlmE_lEESB_NS0_8identityIvEEEESG_SJ_SK_mSL_SN_bEUlT_E_NS1_11comp_targetILNS1_3genE4ELNS1_11target_archE910ELNS1_3gpuE8ELNS1_3repE0EEENS1_30default_config_static_selectorELNS0_4arch9wavefront6targetE1EEEvT1_.uses_flat_scratch, 0
	.set _ZN7rocprim17ROCPRIM_400000_NS6detail17trampoline_kernelINS0_14default_configENS1_25transform_config_selectorIlLb0EEEZNS1_14transform_implILb0ES3_S5_NS0_18transform_iteratorINS0_17counting_iteratorImlEEZNS1_24adjacent_difference_implIS3_Lb1ELb0EPlSB_N6thrust23THRUST_200600_302600_NS5minusIlEEEE10hipError_tPvRmT2_T3_mT4_P12ihipStream_tbEUlmE_lEESB_NS0_8identityIvEEEESG_SJ_SK_mSL_SN_bEUlT_E_NS1_11comp_targetILNS1_3genE4ELNS1_11target_archE910ELNS1_3gpuE8ELNS1_3repE0EEENS1_30default_config_static_selectorELNS0_4arch9wavefront6targetE1EEEvT1_.has_dyn_sized_stack, 0
	.set _ZN7rocprim17ROCPRIM_400000_NS6detail17trampoline_kernelINS0_14default_configENS1_25transform_config_selectorIlLb0EEEZNS1_14transform_implILb0ES3_S5_NS0_18transform_iteratorINS0_17counting_iteratorImlEEZNS1_24adjacent_difference_implIS3_Lb1ELb0EPlSB_N6thrust23THRUST_200600_302600_NS5minusIlEEEE10hipError_tPvRmT2_T3_mT4_P12ihipStream_tbEUlmE_lEESB_NS0_8identityIvEEEESG_SJ_SK_mSL_SN_bEUlT_E_NS1_11comp_targetILNS1_3genE4ELNS1_11target_archE910ELNS1_3gpuE8ELNS1_3repE0EEENS1_30default_config_static_selectorELNS0_4arch9wavefront6targetE1EEEvT1_.has_recursion, 0
	.set _ZN7rocprim17ROCPRIM_400000_NS6detail17trampoline_kernelINS0_14default_configENS1_25transform_config_selectorIlLb0EEEZNS1_14transform_implILb0ES3_S5_NS0_18transform_iteratorINS0_17counting_iteratorImlEEZNS1_24adjacent_difference_implIS3_Lb1ELb0EPlSB_N6thrust23THRUST_200600_302600_NS5minusIlEEEE10hipError_tPvRmT2_T3_mT4_P12ihipStream_tbEUlmE_lEESB_NS0_8identityIvEEEESG_SJ_SK_mSL_SN_bEUlT_E_NS1_11comp_targetILNS1_3genE4ELNS1_11target_archE910ELNS1_3gpuE8ELNS1_3repE0EEENS1_30default_config_static_selectorELNS0_4arch9wavefront6targetE1EEEvT1_.has_indirect_call, 0
	.section	.AMDGPU.csdata,"",@progbits
; Kernel info:
; codeLenInByte = 0
; TotalNumSgprs: 6
; NumVgprs: 0
; NumAgprs: 0
; TotalNumVgprs: 0
; ScratchSize: 0
; MemoryBound: 0
; FloatMode: 240
; IeeeMode: 1
; LDSByteSize: 0 bytes/workgroup (compile time only)
; SGPRBlocks: 0
; VGPRBlocks: 0
; NumSGPRsForWavesPerEU: 6
; NumVGPRsForWavesPerEU: 1
; AccumOffset: 4
; Occupancy: 8
; WaveLimiterHint : 0
; COMPUTE_PGM_RSRC2:SCRATCH_EN: 0
; COMPUTE_PGM_RSRC2:USER_SGPR: 2
; COMPUTE_PGM_RSRC2:TRAP_HANDLER: 0
; COMPUTE_PGM_RSRC2:TGID_X_EN: 1
; COMPUTE_PGM_RSRC2:TGID_Y_EN: 0
; COMPUTE_PGM_RSRC2:TGID_Z_EN: 0
; COMPUTE_PGM_RSRC2:TIDIG_COMP_CNT: 0
; COMPUTE_PGM_RSRC3_GFX90A:ACCUM_OFFSET: 0
; COMPUTE_PGM_RSRC3_GFX90A:TG_SPLIT: 0
	.section	.text._ZN7rocprim17ROCPRIM_400000_NS6detail17trampoline_kernelINS0_14default_configENS1_25transform_config_selectorIlLb0EEEZNS1_14transform_implILb0ES3_S5_NS0_18transform_iteratorINS0_17counting_iteratorImlEEZNS1_24adjacent_difference_implIS3_Lb1ELb0EPlSB_N6thrust23THRUST_200600_302600_NS5minusIlEEEE10hipError_tPvRmT2_T3_mT4_P12ihipStream_tbEUlmE_lEESB_NS0_8identityIvEEEESG_SJ_SK_mSL_SN_bEUlT_E_NS1_11comp_targetILNS1_3genE3ELNS1_11target_archE908ELNS1_3gpuE7ELNS1_3repE0EEENS1_30default_config_static_selectorELNS0_4arch9wavefront6targetE1EEEvT1_,"axG",@progbits,_ZN7rocprim17ROCPRIM_400000_NS6detail17trampoline_kernelINS0_14default_configENS1_25transform_config_selectorIlLb0EEEZNS1_14transform_implILb0ES3_S5_NS0_18transform_iteratorINS0_17counting_iteratorImlEEZNS1_24adjacent_difference_implIS3_Lb1ELb0EPlSB_N6thrust23THRUST_200600_302600_NS5minusIlEEEE10hipError_tPvRmT2_T3_mT4_P12ihipStream_tbEUlmE_lEESB_NS0_8identityIvEEEESG_SJ_SK_mSL_SN_bEUlT_E_NS1_11comp_targetILNS1_3genE3ELNS1_11target_archE908ELNS1_3gpuE7ELNS1_3repE0EEENS1_30default_config_static_selectorELNS0_4arch9wavefront6targetE1EEEvT1_,comdat
	.protected	_ZN7rocprim17ROCPRIM_400000_NS6detail17trampoline_kernelINS0_14default_configENS1_25transform_config_selectorIlLb0EEEZNS1_14transform_implILb0ES3_S5_NS0_18transform_iteratorINS0_17counting_iteratorImlEEZNS1_24adjacent_difference_implIS3_Lb1ELb0EPlSB_N6thrust23THRUST_200600_302600_NS5minusIlEEEE10hipError_tPvRmT2_T3_mT4_P12ihipStream_tbEUlmE_lEESB_NS0_8identityIvEEEESG_SJ_SK_mSL_SN_bEUlT_E_NS1_11comp_targetILNS1_3genE3ELNS1_11target_archE908ELNS1_3gpuE7ELNS1_3repE0EEENS1_30default_config_static_selectorELNS0_4arch9wavefront6targetE1EEEvT1_ ; -- Begin function _ZN7rocprim17ROCPRIM_400000_NS6detail17trampoline_kernelINS0_14default_configENS1_25transform_config_selectorIlLb0EEEZNS1_14transform_implILb0ES3_S5_NS0_18transform_iteratorINS0_17counting_iteratorImlEEZNS1_24adjacent_difference_implIS3_Lb1ELb0EPlSB_N6thrust23THRUST_200600_302600_NS5minusIlEEEE10hipError_tPvRmT2_T3_mT4_P12ihipStream_tbEUlmE_lEESB_NS0_8identityIvEEEESG_SJ_SK_mSL_SN_bEUlT_E_NS1_11comp_targetILNS1_3genE3ELNS1_11target_archE908ELNS1_3gpuE7ELNS1_3repE0EEENS1_30default_config_static_selectorELNS0_4arch9wavefront6targetE1EEEvT1_
	.globl	_ZN7rocprim17ROCPRIM_400000_NS6detail17trampoline_kernelINS0_14default_configENS1_25transform_config_selectorIlLb0EEEZNS1_14transform_implILb0ES3_S5_NS0_18transform_iteratorINS0_17counting_iteratorImlEEZNS1_24adjacent_difference_implIS3_Lb1ELb0EPlSB_N6thrust23THRUST_200600_302600_NS5minusIlEEEE10hipError_tPvRmT2_T3_mT4_P12ihipStream_tbEUlmE_lEESB_NS0_8identityIvEEEESG_SJ_SK_mSL_SN_bEUlT_E_NS1_11comp_targetILNS1_3genE3ELNS1_11target_archE908ELNS1_3gpuE7ELNS1_3repE0EEENS1_30default_config_static_selectorELNS0_4arch9wavefront6targetE1EEEvT1_
	.p2align	8
	.type	_ZN7rocprim17ROCPRIM_400000_NS6detail17trampoline_kernelINS0_14default_configENS1_25transform_config_selectorIlLb0EEEZNS1_14transform_implILb0ES3_S5_NS0_18transform_iteratorINS0_17counting_iteratorImlEEZNS1_24adjacent_difference_implIS3_Lb1ELb0EPlSB_N6thrust23THRUST_200600_302600_NS5minusIlEEEE10hipError_tPvRmT2_T3_mT4_P12ihipStream_tbEUlmE_lEESB_NS0_8identityIvEEEESG_SJ_SK_mSL_SN_bEUlT_E_NS1_11comp_targetILNS1_3genE3ELNS1_11target_archE908ELNS1_3gpuE7ELNS1_3repE0EEENS1_30default_config_static_selectorELNS0_4arch9wavefront6targetE1EEEvT1_,@function
_ZN7rocprim17ROCPRIM_400000_NS6detail17trampoline_kernelINS0_14default_configENS1_25transform_config_selectorIlLb0EEEZNS1_14transform_implILb0ES3_S5_NS0_18transform_iteratorINS0_17counting_iteratorImlEEZNS1_24adjacent_difference_implIS3_Lb1ELb0EPlSB_N6thrust23THRUST_200600_302600_NS5minusIlEEEE10hipError_tPvRmT2_T3_mT4_P12ihipStream_tbEUlmE_lEESB_NS0_8identityIvEEEESG_SJ_SK_mSL_SN_bEUlT_E_NS1_11comp_targetILNS1_3genE3ELNS1_11target_archE908ELNS1_3gpuE7ELNS1_3repE0EEENS1_30default_config_static_selectorELNS0_4arch9wavefront6targetE1EEEvT1_: ; @_ZN7rocprim17ROCPRIM_400000_NS6detail17trampoline_kernelINS0_14default_configENS1_25transform_config_selectorIlLb0EEEZNS1_14transform_implILb0ES3_S5_NS0_18transform_iteratorINS0_17counting_iteratorImlEEZNS1_24adjacent_difference_implIS3_Lb1ELb0EPlSB_N6thrust23THRUST_200600_302600_NS5minusIlEEEE10hipError_tPvRmT2_T3_mT4_P12ihipStream_tbEUlmE_lEESB_NS0_8identityIvEEEESG_SJ_SK_mSL_SN_bEUlT_E_NS1_11comp_targetILNS1_3genE3ELNS1_11target_archE908ELNS1_3gpuE7ELNS1_3repE0EEENS1_30default_config_static_selectorELNS0_4arch9wavefront6targetE1EEEvT1_
; %bb.0:
	.section	.rodata,"a",@progbits
	.p2align	6, 0x0
	.amdhsa_kernel _ZN7rocprim17ROCPRIM_400000_NS6detail17trampoline_kernelINS0_14default_configENS1_25transform_config_selectorIlLb0EEEZNS1_14transform_implILb0ES3_S5_NS0_18transform_iteratorINS0_17counting_iteratorImlEEZNS1_24adjacent_difference_implIS3_Lb1ELb0EPlSB_N6thrust23THRUST_200600_302600_NS5minusIlEEEE10hipError_tPvRmT2_T3_mT4_P12ihipStream_tbEUlmE_lEESB_NS0_8identityIvEEEESG_SJ_SK_mSL_SN_bEUlT_E_NS1_11comp_targetILNS1_3genE3ELNS1_11target_archE908ELNS1_3gpuE7ELNS1_3repE0EEENS1_30default_config_static_selectorELNS0_4arch9wavefront6targetE1EEEvT1_
		.amdhsa_group_segment_fixed_size 0
		.amdhsa_private_segment_fixed_size 0
		.amdhsa_kernarg_size 56
		.amdhsa_user_sgpr_count 2
		.amdhsa_user_sgpr_dispatch_ptr 0
		.amdhsa_user_sgpr_queue_ptr 0
		.amdhsa_user_sgpr_kernarg_segment_ptr 1
		.amdhsa_user_sgpr_dispatch_id 0
		.amdhsa_user_sgpr_kernarg_preload_length 0
		.amdhsa_user_sgpr_kernarg_preload_offset 0
		.amdhsa_user_sgpr_private_segment_size 0
		.amdhsa_uses_dynamic_stack 0
		.amdhsa_enable_private_segment 0
		.amdhsa_system_sgpr_workgroup_id_x 1
		.amdhsa_system_sgpr_workgroup_id_y 0
		.amdhsa_system_sgpr_workgroup_id_z 0
		.amdhsa_system_sgpr_workgroup_info 0
		.amdhsa_system_vgpr_workitem_id 0
		.amdhsa_next_free_vgpr 1
		.amdhsa_next_free_sgpr 0
		.amdhsa_accum_offset 4
		.amdhsa_reserve_vcc 0
		.amdhsa_float_round_mode_32 0
		.amdhsa_float_round_mode_16_64 0
		.amdhsa_float_denorm_mode_32 3
		.amdhsa_float_denorm_mode_16_64 3
		.amdhsa_dx10_clamp 1
		.amdhsa_ieee_mode 1
		.amdhsa_fp16_overflow 0
		.amdhsa_tg_split 0
		.amdhsa_exception_fp_ieee_invalid_op 0
		.amdhsa_exception_fp_denorm_src 0
		.amdhsa_exception_fp_ieee_div_zero 0
		.amdhsa_exception_fp_ieee_overflow 0
		.amdhsa_exception_fp_ieee_underflow 0
		.amdhsa_exception_fp_ieee_inexact 0
		.amdhsa_exception_int_div_zero 0
	.end_amdhsa_kernel
	.section	.text._ZN7rocprim17ROCPRIM_400000_NS6detail17trampoline_kernelINS0_14default_configENS1_25transform_config_selectorIlLb0EEEZNS1_14transform_implILb0ES3_S5_NS0_18transform_iteratorINS0_17counting_iteratorImlEEZNS1_24adjacent_difference_implIS3_Lb1ELb0EPlSB_N6thrust23THRUST_200600_302600_NS5minusIlEEEE10hipError_tPvRmT2_T3_mT4_P12ihipStream_tbEUlmE_lEESB_NS0_8identityIvEEEESG_SJ_SK_mSL_SN_bEUlT_E_NS1_11comp_targetILNS1_3genE3ELNS1_11target_archE908ELNS1_3gpuE7ELNS1_3repE0EEENS1_30default_config_static_selectorELNS0_4arch9wavefront6targetE1EEEvT1_,"axG",@progbits,_ZN7rocprim17ROCPRIM_400000_NS6detail17trampoline_kernelINS0_14default_configENS1_25transform_config_selectorIlLb0EEEZNS1_14transform_implILb0ES3_S5_NS0_18transform_iteratorINS0_17counting_iteratorImlEEZNS1_24adjacent_difference_implIS3_Lb1ELb0EPlSB_N6thrust23THRUST_200600_302600_NS5minusIlEEEE10hipError_tPvRmT2_T3_mT4_P12ihipStream_tbEUlmE_lEESB_NS0_8identityIvEEEESG_SJ_SK_mSL_SN_bEUlT_E_NS1_11comp_targetILNS1_3genE3ELNS1_11target_archE908ELNS1_3gpuE7ELNS1_3repE0EEENS1_30default_config_static_selectorELNS0_4arch9wavefront6targetE1EEEvT1_,comdat
.Lfunc_end247:
	.size	_ZN7rocprim17ROCPRIM_400000_NS6detail17trampoline_kernelINS0_14default_configENS1_25transform_config_selectorIlLb0EEEZNS1_14transform_implILb0ES3_S5_NS0_18transform_iteratorINS0_17counting_iteratorImlEEZNS1_24adjacent_difference_implIS3_Lb1ELb0EPlSB_N6thrust23THRUST_200600_302600_NS5minusIlEEEE10hipError_tPvRmT2_T3_mT4_P12ihipStream_tbEUlmE_lEESB_NS0_8identityIvEEEESG_SJ_SK_mSL_SN_bEUlT_E_NS1_11comp_targetILNS1_3genE3ELNS1_11target_archE908ELNS1_3gpuE7ELNS1_3repE0EEENS1_30default_config_static_selectorELNS0_4arch9wavefront6targetE1EEEvT1_, .Lfunc_end247-_ZN7rocprim17ROCPRIM_400000_NS6detail17trampoline_kernelINS0_14default_configENS1_25transform_config_selectorIlLb0EEEZNS1_14transform_implILb0ES3_S5_NS0_18transform_iteratorINS0_17counting_iteratorImlEEZNS1_24adjacent_difference_implIS3_Lb1ELb0EPlSB_N6thrust23THRUST_200600_302600_NS5minusIlEEEE10hipError_tPvRmT2_T3_mT4_P12ihipStream_tbEUlmE_lEESB_NS0_8identityIvEEEESG_SJ_SK_mSL_SN_bEUlT_E_NS1_11comp_targetILNS1_3genE3ELNS1_11target_archE908ELNS1_3gpuE7ELNS1_3repE0EEENS1_30default_config_static_selectorELNS0_4arch9wavefront6targetE1EEEvT1_
                                        ; -- End function
	.set _ZN7rocprim17ROCPRIM_400000_NS6detail17trampoline_kernelINS0_14default_configENS1_25transform_config_selectorIlLb0EEEZNS1_14transform_implILb0ES3_S5_NS0_18transform_iteratorINS0_17counting_iteratorImlEEZNS1_24adjacent_difference_implIS3_Lb1ELb0EPlSB_N6thrust23THRUST_200600_302600_NS5minusIlEEEE10hipError_tPvRmT2_T3_mT4_P12ihipStream_tbEUlmE_lEESB_NS0_8identityIvEEEESG_SJ_SK_mSL_SN_bEUlT_E_NS1_11comp_targetILNS1_3genE3ELNS1_11target_archE908ELNS1_3gpuE7ELNS1_3repE0EEENS1_30default_config_static_selectorELNS0_4arch9wavefront6targetE1EEEvT1_.num_vgpr, 0
	.set _ZN7rocprim17ROCPRIM_400000_NS6detail17trampoline_kernelINS0_14default_configENS1_25transform_config_selectorIlLb0EEEZNS1_14transform_implILb0ES3_S5_NS0_18transform_iteratorINS0_17counting_iteratorImlEEZNS1_24adjacent_difference_implIS3_Lb1ELb0EPlSB_N6thrust23THRUST_200600_302600_NS5minusIlEEEE10hipError_tPvRmT2_T3_mT4_P12ihipStream_tbEUlmE_lEESB_NS0_8identityIvEEEESG_SJ_SK_mSL_SN_bEUlT_E_NS1_11comp_targetILNS1_3genE3ELNS1_11target_archE908ELNS1_3gpuE7ELNS1_3repE0EEENS1_30default_config_static_selectorELNS0_4arch9wavefront6targetE1EEEvT1_.num_agpr, 0
	.set _ZN7rocprim17ROCPRIM_400000_NS6detail17trampoline_kernelINS0_14default_configENS1_25transform_config_selectorIlLb0EEEZNS1_14transform_implILb0ES3_S5_NS0_18transform_iteratorINS0_17counting_iteratorImlEEZNS1_24adjacent_difference_implIS3_Lb1ELb0EPlSB_N6thrust23THRUST_200600_302600_NS5minusIlEEEE10hipError_tPvRmT2_T3_mT4_P12ihipStream_tbEUlmE_lEESB_NS0_8identityIvEEEESG_SJ_SK_mSL_SN_bEUlT_E_NS1_11comp_targetILNS1_3genE3ELNS1_11target_archE908ELNS1_3gpuE7ELNS1_3repE0EEENS1_30default_config_static_selectorELNS0_4arch9wavefront6targetE1EEEvT1_.numbered_sgpr, 0
	.set _ZN7rocprim17ROCPRIM_400000_NS6detail17trampoline_kernelINS0_14default_configENS1_25transform_config_selectorIlLb0EEEZNS1_14transform_implILb0ES3_S5_NS0_18transform_iteratorINS0_17counting_iteratorImlEEZNS1_24adjacent_difference_implIS3_Lb1ELb0EPlSB_N6thrust23THRUST_200600_302600_NS5minusIlEEEE10hipError_tPvRmT2_T3_mT4_P12ihipStream_tbEUlmE_lEESB_NS0_8identityIvEEEESG_SJ_SK_mSL_SN_bEUlT_E_NS1_11comp_targetILNS1_3genE3ELNS1_11target_archE908ELNS1_3gpuE7ELNS1_3repE0EEENS1_30default_config_static_selectorELNS0_4arch9wavefront6targetE1EEEvT1_.num_named_barrier, 0
	.set _ZN7rocprim17ROCPRIM_400000_NS6detail17trampoline_kernelINS0_14default_configENS1_25transform_config_selectorIlLb0EEEZNS1_14transform_implILb0ES3_S5_NS0_18transform_iteratorINS0_17counting_iteratorImlEEZNS1_24adjacent_difference_implIS3_Lb1ELb0EPlSB_N6thrust23THRUST_200600_302600_NS5minusIlEEEE10hipError_tPvRmT2_T3_mT4_P12ihipStream_tbEUlmE_lEESB_NS0_8identityIvEEEESG_SJ_SK_mSL_SN_bEUlT_E_NS1_11comp_targetILNS1_3genE3ELNS1_11target_archE908ELNS1_3gpuE7ELNS1_3repE0EEENS1_30default_config_static_selectorELNS0_4arch9wavefront6targetE1EEEvT1_.private_seg_size, 0
	.set _ZN7rocprim17ROCPRIM_400000_NS6detail17trampoline_kernelINS0_14default_configENS1_25transform_config_selectorIlLb0EEEZNS1_14transform_implILb0ES3_S5_NS0_18transform_iteratorINS0_17counting_iteratorImlEEZNS1_24adjacent_difference_implIS3_Lb1ELb0EPlSB_N6thrust23THRUST_200600_302600_NS5minusIlEEEE10hipError_tPvRmT2_T3_mT4_P12ihipStream_tbEUlmE_lEESB_NS0_8identityIvEEEESG_SJ_SK_mSL_SN_bEUlT_E_NS1_11comp_targetILNS1_3genE3ELNS1_11target_archE908ELNS1_3gpuE7ELNS1_3repE0EEENS1_30default_config_static_selectorELNS0_4arch9wavefront6targetE1EEEvT1_.uses_vcc, 0
	.set _ZN7rocprim17ROCPRIM_400000_NS6detail17trampoline_kernelINS0_14default_configENS1_25transform_config_selectorIlLb0EEEZNS1_14transform_implILb0ES3_S5_NS0_18transform_iteratorINS0_17counting_iteratorImlEEZNS1_24adjacent_difference_implIS3_Lb1ELb0EPlSB_N6thrust23THRUST_200600_302600_NS5minusIlEEEE10hipError_tPvRmT2_T3_mT4_P12ihipStream_tbEUlmE_lEESB_NS0_8identityIvEEEESG_SJ_SK_mSL_SN_bEUlT_E_NS1_11comp_targetILNS1_3genE3ELNS1_11target_archE908ELNS1_3gpuE7ELNS1_3repE0EEENS1_30default_config_static_selectorELNS0_4arch9wavefront6targetE1EEEvT1_.uses_flat_scratch, 0
	.set _ZN7rocprim17ROCPRIM_400000_NS6detail17trampoline_kernelINS0_14default_configENS1_25transform_config_selectorIlLb0EEEZNS1_14transform_implILb0ES3_S5_NS0_18transform_iteratorINS0_17counting_iteratorImlEEZNS1_24adjacent_difference_implIS3_Lb1ELb0EPlSB_N6thrust23THRUST_200600_302600_NS5minusIlEEEE10hipError_tPvRmT2_T3_mT4_P12ihipStream_tbEUlmE_lEESB_NS0_8identityIvEEEESG_SJ_SK_mSL_SN_bEUlT_E_NS1_11comp_targetILNS1_3genE3ELNS1_11target_archE908ELNS1_3gpuE7ELNS1_3repE0EEENS1_30default_config_static_selectorELNS0_4arch9wavefront6targetE1EEEvT1_.has_dyn_sized_stack, 0
	.set _ZN7rocprim17ROCPRIM_400000_NS6detail17trampoline_kernelINS0_14default_configENS1_25transform_config_selectorIlLb0EEEZNS1_14transform_implILb0ES3_S5_NS0_18transform_iteratorINS0_17counting_iteratorImlEEZNS1_24adjacent_difference_implIS3_Lb1ELb0EPlSB_N6thrust23THRUST_200600_302600_NS5minusIlEEEE10hipError_tPvRmT2_T3_mT4_P12ihipStream_tbEUlmE_lEESB_NS0_8identityIvEEEESG_SJ_SK_mSL_SN_bEUlT_E_NS1_11comp_targetILNS1_3genE3ELNS1_11target_archE908ELNS1_3gpuE7ELNS1_3repE0EEENS1_30default_config_static_selectorELNS0_4arch9wavefront6targetE1EEEvT1_.has_recursion, 0
	.set _ZN7rocprim17ROCPRIM_400000_NS6detail17trampoline_kernelINS0_14default_configENS1_25transform_config_selectorIlLb0EEEZNS1_14transform_implILb0ES3_S5_NS0_18transform_iteratorINS0_17counting_iteratorImlEEZNS1_24adjacent_difference_implIS3_Lb1ELb0EPlSB_N6thrust23THRUST_200600_302600_NS5minusIlEEEE10hipError_tPvRmT2_T3_mT4_P12ihipStream_tbEUlmE_lEESB_NS0_8identityIvEEEESG_SJ_SK_mSL_SN_bEUlT_E_NS1_11comp_targetILNS1_3genE3ELNS1_11target_archE908ELNS1_3gpuE7ELNS1_3repE0EEENS1_30default_config_static_selectorELNS0_4arch9wavefront6targetE1EEEvT1_.has_indirect_call, 0
	.section	.AMDGPU.csdata,"",@progbits
; Kernel info:
; codeLenInByte = 0
; TotalNumSgprs: 6
; NumVgprs: 0
; NumAgprs: 0
; TotalNumVgprs: 0
; ScratchSize: 0
; MemoryBound: 0
; FloatMode: 240
; IeeeMode: 1
; LDSByteSize: 0 bytes/workgroup (compile time only)
; SGPRBlocks: 0
; VGPRBlocks: 0
; NumSGPRsForWavesPerEU: 6
; NumVGPRsForWavesPerEU: 1
; AccumOffset: 4
; Occupancy: 8
; WaveLimiterHint : 0
; COMPUTE_PGM_RSRC2:SCRATCH_EN: 0
; COMPUTE_PGM_RSRC2:USER_SGPR: 2
; COMPUTE_PGM_RSRC2:TRAP_HANDLER: 0
; COMPUTE_PGM_RSRC2:TGID_X_EN: 1
; COMPUTE_PGM_RSRC2:TGID_Y_EN: 0
; COMPUTE_PGM_RSRC2:TGID_Z_EN: 0
; COMPUTE_PGM_RSRC2:TIDIG_COMP_CNT: 0
; COMPUTE_PGM_RSRC3_GFX90A:ACCUM_OFFSET: 0
; COMPUTE_PGM_RSRC3_GFX90A:TG_SPLIT: 0
	.section	.text._ZN7rocprim17ROCPRIM_400000_NS6detail17trampoline_kernelINS0_14default_configENS1_25transform_config_selectorIlLb0EEEZNS1_14transform_implILb0ES3_S5_NS0_18transform_iteratorINS0_17counting_iteratorImlEEZNS1_24adjacent_difference_implIS3_Lb1ELb0EPlSB_N6thrust23THRUST_200600_302600_NS5minusIlEEEE10hipError_tPvRmT2_T3_mT4_P12ihipStream_tbEUlmE_lEESB_NS0_8identityIvEEEESG_SJ_SK_mSL_SN_bEUlT_E_NS1_11comp_targetILNS1_3genE2ELNS1_11target_archE906ELNS1_3gpuE6ELNS1_3repE0EEENS1_30default_config_static_selectorELNS0_4arch9wavefront6targetE1EEEvT1_,"axG",@progbits,_ZN7rocprim17ROCPRIM_400000_NS6detail17trampoline_kernelINS0_14default_configENS1_25transform_config_selectorIlLb0EEEZNS1_14transform_implILb0ES3_S5_NS0_18transform_iteratorINS0_17counting_iteratorImlEEZNS1_24adjacent_difference_implIS3_Lb1ELb0EPlSB_N6thrust23THRUST_200600_302600_NS5minusIlEEEE10hipError_tPvRmT2_T3_mT4_P12ihipStream_tbEUlmE_lEESB_NS0_8identityIvEEEESG_SJ_SK_mSL_SN_bEUlT_E_NS1_11comp_targetILNS1_3genE2ELNS1_11target_archE906ELNS1_3gpuE6ELNS1_3repE0EEENS1_30default_config_static_selectorELNS0_4arch9wavefront6targetE1EEEvT1_,comdat
	.protected	_ZN7rocprim17ROCPRIM_400000_NS6detail17trampoline_kernelINS0_14default_configENS1_25transform_config_selectorIlLb0EEEZNS1_14transform_implILb0ES3_S5_NS0_18transform_iteratorINS0_17counting_iteratorImlEEZNS1_24adjacent_difference_implIS3_Lb1ELb0EPlSB_N6thrust23THRUST_200600_302600_NS5minusIlEEEE10hipError_tPvRmT2_T3_mT4_P12ihipStream_tbEUlmE_lEESB_NS0_8identityIvEEEESG_SJ_SK_mSL_SN_bEUlT_E_NS1_11comp_targetILNS1_3genE2ELNS1_11target_archE906ELNS1_3gpuE6ELNS1_3repE0EEENS1_30default_config_static_selectorELNS0_4arch9wavefront6targetE1EEEvT1_ ; -- Begin function _ZN7rocprim17ROCPRIM_400000_NS6detail17trampoline_kernelINS0_14default_configENS1_25transform_config_selectorIlLb0EEEZNS1_14transform_implILb0ES3_S5_NS0_18transform_iteratorINS0_17counting_iteratorImlEEZNS1_24adjacent_difference_implIS3_Lb1ELb0EPlSB_N6thrust23THRUST_200600_302600_NS5minusIlEEEE10hipError_tPvRmT2_T3_mT4_P12ihipStream_tbEUlmE_lEESB_NS0_8identityIvEEEESG_SJ_SK_mSL_SN_bEUlT_E_NS1_11comp_targetILNS1_3genE2ELNS1_11target_archE906ELNS1_3gpuE6ELNS1_3repE0EEENS1_30default_config_static_selectorELNS0_4arch9wavefront6targetE1EEEvT1_
	.globl	_ZN7rocprim17ROCPRIM_400000_NS6detail17trampoline_kernelINS0_14default_configENS1_25transform_config_selectorIlLb0EEEZNS1_14transform_implILb0ES3_S5_NS0_18transform_iteratorINS0_17counting_iteratorImlEEZNS1_24adjacent_difference_implIS3_Lb1ELb0EPlSB_N6thrust23THRUST_200600_302600_NS5minusIlEEEE10hipError_tPvRmT2_T3_mT4_P12ihipStream_tbEUlmE_lEESB_NS0_8identityIvEEEESG_SJ_SK_mSL_SN_bEUlT_E_NS1_11comp_targetILNS1_3genE2ELNS1_11target_archE906ELNS1_3gpuE6ELNS1_3repE0EEENS1_30default_config_static_selectorELNS0_4arch9wavefront6targetE1EEEvT1_
	.p2align	8
	.type	_ZN7rocprim17ROCPRIM_400000_NS6detail17trampoline_kernelINS0_14default_configENS1_25transform_config_selectorIlLb0EEEZNS1_14transform_implILb0ES3_S5_NS0_18transform_iteratorINS0_17counting_iteratorImlEEZNS1_24adjacent_difference_implIS3_Lb1ELb0EPlSB_N6thrust23THRUST_200600_302600_NS5minusIlEEEE10hipError_tPvRmT2_T3_mT4_P12ihipStream_tbEUlmE_lEESB_NS0_8identityIvEEEESG_SJ_SK_mSL_SN_bEUlT_E_NS1_11comp_targetILNS1_3genE2ELNS1_11target_archE906ELNS1_3gpuE6ELNS1_3repE0EEENS1_30default_config_static_selectorELNS0_4arch9wavefront6targetE1EEEvT1_,@function
_ZN7rocprim17ROCPRIM_400000_NS6detail17trampoline_kernelINS0_14default_configENS1_25transform_config_selectorIlLb0EEEZNS1_14transform_implILb0ES3_S5_NS0_18transform_iteratorINS0_17counting_iteratorImlEEZNS1_24adjacent_difference_implIS3_Lb1ELb0EPlSB_N6thrust23THRUST_200600_302600_NS5minusIlEEEE10hipError_tPvRmT2_T3_mT4_P12ihipStream_tbEUlmE_lEESB_NS0_8identityIvEEEESG_SJ_SK_mSL_SN_bEUlT_E_NS1_11comp_targetILNS1_3genE2ELNS1_11target_archE906ELNS1_3gpuE6ELNS1_3repE0EEENS1_30default_config_static_selectorELNS0_4arch9wavefront6targetE1EEEvT1_: ; @_ZN7rocprim17ROCPRIM_400000_NS6detail17trampoline_kernelINS0_14default_configENS1_25transform_config_selectorIlLb0EEEZNS1_14transform_implILb0ES3_S5_NS0_18transform_iteratorINS0_17counting_iteratorImlEEZNS1_24adjacent_difference_implIS3_Lb1ELb0EPlSB_N6thrust23THRUST_200600_302600_NS5minusIlEEEE10hipError_tPvRmT2_T3_mT4_P12ihipStream_tbEUlmE_lEESB_NS0_8identityIvEEEESG_SJ_SK_mSL_SN_bEUlT_E_NS1_11comp_targetILNS1_3genE2ELNS1_11target_archE906ELNS1_3gpuE6ELNS1_3repE0EEENS1_30default_config_static_selectorELNS0_4arch9wavefront6targetE1EEEvT1_
; %bb.0:
	.section	.rodata,"a",@progbits
	.p2align	6, 0x0
	.amdhsa_kernel _ZN7rocprim17ROCPRIM_400000_NS6detail17trampoline_kernelINS0_14default_configENS1_25transform_config_selectorIlLb0EEEZNS1_14transform_implILb0ES3_S5_NS0_18transform_iteratorINS0_17counting_iteratorImlEEZNS1_24adjacent_difference_implIS3_Lb1ELb0EPlSB_N6thrust23THRUST_200600_302600_NS5minusIlEEEE10hipError_tPvRmT2_T3_mT4_P12ihipStream_tbEUlmE_lEESB_NS0_8identityIvEEEESG_SJ_SK_mSL_SN_bEUlT_E_NS1_11comp_targetILNS1_3genE2ELNS1_11target_archE906ELNS1_3gpuE6ELNS1_3repE0EEENS1_30default_config_static_selectorELNS0_4arch9wavefront6targetE1EEEvT1_
		.amdhsa_group_segment_fixed_size 0
		.amdhsa_private_segment_fixed_size 0
		.amdhsa_kernarg_size 56
		.amdhsa_user_sgpr_count 2
		.amdhsa_user_sgpr_dispatch_ptr 0
		.amdhsa_user_sgpr_queue_ptr 0
		.amdhsa_user_sgpr_kernarg_segment_ptr 1
		.amdhsa_user_sgpr_dispatch_id 0
		.amdhsa_user_sgpr_kernarg_preload_length 0
		.amdhsa_user_sgpr_kernarg_preload_offset 0
		.amdhsa_user_sgpr_private_segment_size 0
		.amdhsa_uses_dynamic_stack 0
		.amdhsa_enable_private_segment 0
		.amdhsa_system_sgpr_workgroup_id_x 1
		.amdhsa_system_sgpr_workgroup_id_y 0
		.amdhsa_system_sgpr_workgroup_id_z 0
		.amdhsa_system_sgpr_workgroup_info 0
		.amdhsa_system_vgpr_workitem_id 0
		.amdhsa_next_free_vgpr 1
		.amdhsa_next_free_sgpr 0
		.amdhsa_accum_offset 4
		.amdhsa_reserve_vcc 0
		.amdhsa_float_round_mode_32 0
		.amdhsa_float_round_mode_16_64 0
		.amdhsa_float_denorm_mode_32 3
		.amdhsa_float_denorm_mode_16_64 3
		.amdhsa_dx10_clamp 1
		.amdhsa_ieee_mode 1
		.amdhsa_fp16_overflow 0
		.amdhsa_tg_split 0
		.amdhsa_exception_fp_ieee_invalid_op 0
		.amdhsa_exception_fp_denorm_src 0
		.amdhsa_exception_fp_ieee_div_zero 0
		.amdhsa_exception_fp_ieee_overflow 0
		.amdhsa_exception_fp_ieee_underflow 0
		.amdhsa_exception_fp_ieee_inexact 0
		.amdhsa_exception_int_div_zero 0
	.end_amdhsa_kernel
	.section	.text._ZN7rocprim17ROCPRIM_400000_NS6detail17trampoline_kernelINS0_14default_configENS1_25transform_config_selectorIlLb0EEEZNS1_14transform_implILb0ES3_S5_NS0_18transform_iteratorINS0_17counting_iteratorImlEEZNS1_24adjacent_difference_implIS3_Lb1ELb0EPlSB_N6thrust23THRUST_200600_302600_NS5minusIlEEEE10hipError_tPvRmT2_T3_mT4_P12ihipStream_tbEUlmE_lEESB_NS0_8identityIvEEEESG_SJ_SK_mSL_SN_bEUlT_E_NS1_11comp_targetILNS1_3genE2ELNS1_11target_archE906ELNS1_3gpuE6ELNS1_3repE0EEENS1_30default_config_static_selectorELNS0_4arch9wavefront6targetE1EEEvT1_,"axG",@progbits,_ZN7rocprim17ROCPRIM_400000_NS6detail17trampoline_kernelINS0_14default_configENS1_25transform_config_selectorIlLb0EEEZNS1_14transform_implILb0ES3_S5_NS0_18transform_iteratorINS0_17counting_iteratorImlEEZNS1_24adjacent_difference_implIS3_Lb1ELb0EPlSB_N6thrust23THRUST_200600_302600_NS5minusIlEEEE10hipError_tPvRmT2_T3_mT4_P12ihipStream_tbEUlmE_lEESB_NS0_8identityIvEEEESG_SJ_SK_mSL_SN_bEUlT_E_NS1_11comp_targetILNS1_3genE2ELNS1_11target_archE906ELNS1_3gpuE6ELNS1_3repE0EEENS1_30default_config_static_selectorELNS0_4arch9wavefront6targetE1EEEvT1_,comdat
.Lfunc_end248:
	.size	_ZN7rocprim17ROCPRIM_400000_NS6detail17trampoline_kernelINS0_14default_configENS1_25transform_config_selectorIlLb0EEEZNS1_14transform_implILb0ES3_S5_NS0_18transform_iteratorINS0_17counting_iteratorImlEEZNS1_24adjacent_difference_implIS3_Lb1ELb0EPlSB_N6thrust23THRUST_200600_302600_NS5minusIlEEEE10hipError_tPvRmT2_T3_mT4_P12ihipStream_tbEUlmE_lEESB_NS0_8identityIvEEEESG_SJ_SK_mSL_SN_bEUlT_E_NS1_11comp_targetILNS1_3genE2ELNS1_11target_archE906ELNS1_3gpuE6ELNS1_3repE0EEENS1_30default_config_static_selectorELNS0_4arch9wavefront6targetE1EEEvT1_, .Lfunc_end248-_ZN7rocprim17ROCPRIM_400000_NS6detail17trampoline_kernelINS0_14default_configENS1_25transform_config_selectorIlLb0EEEZNS1_14transform_implILb0ES3_S5_NS0_18transform_iteratorINS0_17counting_iteratorImlEEZNS1_24adjacent_difference_implIS3_Lb1ELb0EPlSB_N6thrust23THRUST_200600_302600_NS5minusIlEEEE10hipError_tPvRmT2_T3_mT4_P12ihipStream_tbEUlmE_lEESB_NS0_8identityIvEEEESG_SJ_SK_mSL_SN_bEUlT_E_NS1_11comp_targetILNS1_3genE2ELNS1_11target_archE906ELNS1_3gpuE6ELNS1_3repE0EEENS1_30default_config_static_selectorELNS0_4arch9wavefront6targetE1EEEvT1_
                                        ; -- End function
	.set _ZN7rocprim17ROCPRIM_400000_NS6detail17trampoline_kernelINS0_14default_configENS1_25transform_config_selectorIlLb0EEEZNS1_14transform_implILb0ES3_S5_NS0_18transform_iteratorINS0_17counting_iteratorImlEEZNS1_24adjacent_difference_implIS3_Lb1ELb0EPlSB_N6thrust23THRUST_200600_302600_NS5minusIlEEEE10hipError_tPvRmT2_T3_mT4_P12ihipStream_tbEUlmE_lEESB_NS0_8identityIvEEEESG_SJ_SK_mSL_SN_bEUlT_E_NS1_11comp_targetILNS1_3genE2ELNS1_11target_archE906ELNS1_3gpuE6ELNS1_3repE0EEENS1_30default_config_static_selectorELNS0_4arch9wavefront6targetE1EEEvT1_.num_vgpr, 0
	.set _ZN7rocprim17ROCPRIM_400000_NS6detail17trampoline_kernelINS0_14default_configENS1_25transform_config_selectorIlLb0EEEZNS1_14transform_implILb0ES3_S5_NS0_18transform_iteratorINS0_17counting_iteratorImlEEZNS1_24adjacent_difference_implIS3_Lb1ELb0EPlSB_N6thrust23THRUST_200600_302600_NS5minusIlEEEE10hipError_tPvRmT2_T3_mT4_P12ihipStream_tbEUlmE_lEESB_NS0_8identityIvEEEESG_SJ_SK_mSL_SN_bEUlT_E_NS1_11comp_targetILNS1_3genE2ELNS1_11target_archE906ELNS1_3gpuE6ELNS1_3repE0EEENS1_30default_config_static_selectorELNS0_4arch9wavefront6targetE1EEEvT1_.num_agpr, 0
	.set _ZN7rocprim17ROCPRIM_400000_NS6detail17trampoline_kernelINS0_14default_configENS1_25transform_config_selectorIlLb0EEEZNS1_14transform_implILb0ES3_S5_NS0_18transform_iteratorINS0_17counting_iteratorImlEEZNS1_24adjacent_difference_implIS3_Lb1ELb0EPlSB_N6thrust23THRUST_200600_302600_NS5minusIlEEEE10hipError_tPvRmT2_T3_mT4_P12ihipStream_tbEUlmE_lEESB_NS0_8identityIvEEEESG_SJ_SK_mSL_SN_bEUlT_E_NS1_11comp_targetILNS1_3genE2ELNS1_11target_archE906ELNS1_3gpuE6ELNS1_3repE0EEENS1_30default_config_static_selectorELNS0_4arch9wavefront6targetE1EEEvT1_.numbered_sgpr, 0
	.set _ZN7rocprim17ROCPRIM_400000_NS6detail17trampoline_kernelINS0_14default_configENS1_25transform_config_selectorIlLb0EEEZNS1_14transform_implILb0ES3_S5_NS0_18transform_iteratorINS0_17counting_iteratorImlEEZNS1_24adjacent_difference_implIS3_Lb1ELb0EPlSB_N6thrust23THRUST_200600_302600_NS5minusIlEEEE10hipError_tPvRmT2_T3_mT4_P12ihipStream_tbEUlmE_lEESB_NS0_8identityIvEEEESG_SJ_SK_mSL_SN_bEUlT_E_NS1_11comp_targetILNS1_3genE2ELNS1_11target_archE906ELNS1_3gpuE6ELNS1_3repE0EEENS1_30default_config_static_selectorELNS0_4arch9wavefront6targetE1EEEvT1_.num_named_barrier, 0
	.set _ZN7rocprim17ROCPRIM_400000_NS6detail17trampoline_kernelINS0_14default_configENS1_25transform_config_selectorIlLb0EEEZNS1_14transform_implILb0ES3_S5_NS0_18transform_iteratorINS0_17counting_iteratorImlEEZNS1_24adjacent_difference_implIS3_Lb1ELb0EPlSB_N6thrust23THRUST_200600_302600_NS5minusIlEEEE10hipError_tPvRmT2_T3_mT4_P12ihipStream_tbEUlmE_lEESB_NS0_8identityIvEEEESG_SJ_SK_mSL_SN_bEUlT_E_NS1_11comp_targetILNS1_3genE2ELNS1_11target_archE906ELNS1_3gpuE6ELNS1_3repE0EEENS1_30default_config_static_selectorELNS0_4arch9wavefront6targetE1EEEvT1_.private_seg_size, 0
	.set _ZN7rocprim17ROCPRIM_400000_NS6detail17trampoline_kernelINS0_14default_configENS1_25transform_config_selectorIlLb0EEEZNS1_14transform_implILb0ES3_S5_NS0_18transform_iteratorINS0_17counting_iteratorImlEEZNS1_24adjacent_difference_implIS3_Lb1ELb0EPlSB_N6thrust23THRUST_200600_302600_NS5minusIlEEEE10hipError_tPvRmT2_T3_mT4_P12ihipStream_tbEUlmE_lEESB_NS0_8identityIvEEEESG_SJ_SK_mSL_SN_bEUlT_E_NS1_11comp_targetILNS1_3genE2ELNS1_11target_archE906ELNS1_3gpuE6ELNS1_3repE0EEENS1_30default_config_static_selectorELNS0_4arch9wavefront6targetE1EEEvT1_.uses_vcc, 0
	.set _ZN7rocprim17ROCPRIM_400000_NS6detail17trampoline_kernelINS0_14default_configENS1_25transform_config_selectorIlLb0EEEZNS1_14transform_implILb0ES3_S5_NS0_18transform_iteratorINS0_17counting_iteratorImlEEZNS1_24adjacent_difference_implIS3_Lb1ELb0EPlSB_N6thrust23THRUST_200600_302600_NS5minusIlEEEE10hipError_tPvRmT2_T3_mT4_P12ihipStream_tbEUlmE_lEESB_NS0_8identityIvEEEESG_SJ_SK_mSL_SN_bEUlT_E_NS1_11comp_targetILNS1_3genE2ELNS1_11target_archE906ELNS1_3gpuE6ELNS1_3repE0EEENS1_30default_config_static_selectorELNS0_4arch9wavefront6targetE1EEEvT1_.uses_flat_scratch, 0
	.set _ZN7rocprim17ROCPRIM_400000_NS6detail17trampoline_kernelINS0_14default_configENS1_25transform_config_selectorIlLb0EEEZNS1_14transform_implILb0ES3_S5_NS0_18transform_iteratorINS0_17counting_iteratorImlEEZNS1_24adjacent_difference_implIS3_Lb1ELb0EPlSB_N6thrust23THRUST_200600_302600_NS5minusIlEEEE10hipError_tPvRmT2_T3_mT4_P12ihipStream_tbEUlmE_lEESB_NS0_8identityIvEEEESG_SJ_SK_mSL_SN_bEUlT_E_NS1_11comp_targetILNS1_3genE2ELNS1_11target_archE906ELNS1_3gpuE6ELNS1_3repE0EEENS1_30default_config_static_selectorELNS0_4arch9wavefront6targetE1EEEvT1_.has_dyn_sized_stack, 0
	.set _ZN7rocprim17ROCPRIM_400000_NS6detail17trampoline_kernelINS0_14default_configENS1_25transform_config_selectorIlLb0EEEZNS1_14transform_implILb0ES3_S5_NS0_18transform_iteratorINS0_17counting_iteratorImlEEZNS1_24adjacent_difference_implIS3_Lb1ELb0EPlSB_N6thrust23THRUST_200600_302600_NS5minusIlEEEE10hipError_tPvRmT2_T3_mT4_P12ihipStream_tbEUlmE_lEESB_NS0_8identityIvEEEESG_SJ_SK_mSL_SN_bEUlT_E_NS1_11comp_targetILNS1_3genE2ELNS1_11target_archE906ELNS1_3gpuE6ELNS1_3repE0EEENS1_30default_config_static_selectorELNS0_4arch9wavefront6targetE1EEEvT1_.has_recursion, 0
	.set _ZN7rocprim17ROCPRIM_400000_NS6detail17trampoline_kernelINS0_14default_configENS1_25transform_config_selectorIlLb0EEEZNS1_14transform_implILb0ES3_S5_NS0_18transform_iteratorINS0_17counting_iteratorImlEEZNS1_24adjacent_difference_implIS3_Lb1ELb0EPlSB_N6thrust23THRUST_200600_302600_NS5minusIlEEEE10hipError_tPvRmT2_T3_mT4_P12ihipStream_tbEUlmE_lEESB_NS0_8identityIvEEEESG_SJ_SK_mSL_SN_bEUlT_E_NS1_11comp_targetILNS1_3genE2ELNS1_11target_archE906ELNS1_3gpuE6ELNS1_3repE0EEENS1_30default_config_static_selectorELNS0_4arch9wavefront6targetE1EEEvT1_.has_indirect_call, 0
	.section	.AMDGPU.csdata,"",@progbits
; Kernel info:
; codeLenInByte = 0
; TotalNumSgprs: 6
; NumVgprs: 0
; NumAgprs: 0
; TotalNumVgprs: 0
; ScratchSize: 0
; MemoryBound: 0
; FloatMode: 240
; IeeeMode: 1
; LDSByteSize: 0 bytes/workgroup (compile time only)
; SGPRBlocks: 0
; VGPRBlocks: 0
; NumSGPRsForWavesPerEU: 6
; NumVGPRsForWavesPerEU: 1
; AccumOffset: 4
; Occupancy: 8
; WaveLimiterHint : 0
; COMPUTE_PGM_RSRC2:SCRATCH_EN: 0
; COMPUTE_PGM_RSRC2:USER_SGPR: 2
; COMPUTE_PGM_RSRC2:TRAP_HANDLER: 0
; COMPUTE_PGM_RSRC2:TGID_X_EN: 1
; COMPUTE_PGM_RSRC2:TGID_Y_EN: 0
; COMPUTE_PGM_RSRC2:TGID_Z_EN: 0
; COMPUTE_PGM_RSRC2:TIDIG_COMP_CNT: 0
; COMPUTE_PGM_RSRC3_GFX90A:ACCUM_OFFSET: 0
; COMPUTE_PGM_RSRC3_GFX90A:TG_SPLIT: 0
	.section	.text._ZN7rocprim17ROCPRIM_400000_NS6detail17trampoline_kernelINS0_14default_configENS1_25transform_config_selectorIlLb0EEEZNS1_14transform_implILb0ES3_S5_NS0_18transform_iteratorINS0_17counting_iteratorImlEEZNS1_24adjacent_difference_implIS3_Lb1ELb0EPlSB_N6thrust23THRUST_200600_302600_NS5minusIlEEEE10hipError_tPvRmT2_T3_mT4_P12ihipStream_tbEUlmE_lEESB_NS0_8identityIvEEEESG_SJ_SK_mSL_SN_bEUlT_E_NS1_11comp_targetILNS1_3genE10ELNS1_11target_archE1201ELNS1_3gpuE5ELNS1_3repE0EEENS1_30default_config_static_selectorELNS0_4arch9wavefront6targetE1EEEvT1_,"axG",@progbits,_ZN7rocprim17ROCPRIM_400000_NS6detail17trampoline_kernelINS0_14default_configENS1_25transform_config_selectorIlLb0EEEZNS1_14transform_implILb0ES3_S5_NS0_18transform_iteratorINS0_17counting_iteratorImlEEZNS1_24adjacent_difference_implIS3_Lb1ELb0EPlSB_N6thrust23THRUST_200600_302600_NS5minusIlEEEE10hipError_tPvRmT2_T3_mT4_P12ihipStream_tbEUlmE_lEESB_NS0_8identityIvEEEESG_SJ_SK_mSL_SN_bEUlT_E_NS1_11comp_targetILNS1_3genE10ELNS1_11target_archE1201ELNS1_3gpuE5ELNS1_3repE0EEENS1_30default_config_static_selectorELNS0_4arch9wavefront6targetE1EEEvT1_,comdat
	.protected	_ZN7rocprim17ROCPRIM_400000_NS6detail17trampoline_kernelINS0_14default_configENS1_25transform_config_selectorIlLb0EEEZNS1_14transform_implILb0ES3_S5_NS0_18transform_iteratorINS0_17counting_iteratorImlEEZNS1_24adjacent_difference_implIS3_Lb1ELb0EPlSB_N6thrust23THRUST_200600_302600_NS5minusIlEEEE10hipError_tPvRmT2_T3_mT4_P12ihipStream_tbEUlmE_lEESB_NS0_8identityIvEEEESG_SJ_SK_mSL_SN_bEUlT_E_NS1_11comp_targetILNS1_3genE10ELNS1_11target_archE1201ELNS1_3gpuE5ELNS1_3repE0EEENS1_30default_config_static_selectorELNS0_4arch9wavefront6targetE1EEEvT1_ ; -- Begin function _ZN7rocprim17ROCPRIM_400000_NS6detail17trampoline_kernelINS0_14default_configENS1_25transform_config_selectorIlLb0EEEZNS1_14transform_implILb0ES3_S5_NS0_18transform_iteratorINS0_17counting_iteratorImlEEZNS1_24adjacent_difference_implIS3_Lb1ELb0EPlSB_N6thrust23THRUST_200600_302600_NS5minusIlEEEE10hipError_tPvRmT2_T3_mT4_P12ihipStream_tbEUlmE_lEESB_NS0_8identityIvEEEESG_SJ_SK_mSL_SN_bEUlT_E_NS1_11comp_targetILNS1_3genE10ELNS1_11target_archE1201ELNS1_3gpuE5ELNS1_3repE0EEENS1_30default_config_static_selectorELNS0_4arch9wavefront6targetE1EEEvT1_
	.globl	_ZN7rocprim17ROCPRIM_400000_NS6detail17trampoline_kernelINS0_14default_configENS1_25transform_config_selectorIlLb0EEEZNS1_14transform_implILb0ES3_S5_NS0_18transform_iteratorINS0_17counting_iteratorImlEEZNS1_24adjacent_difference_implIS3_Lb1ELb0EPlSB_N6thrust23THRUST_200600_302600_NS5minusIlEEEE10hipError_tPvRmT2_T3_mT4_P12ihipStream_tbEUlmE_lEESB_NS0_8identityIvEEEESG_SJ_SK_mSL_SN_bEUlT_E_NS1_11comp_targetILNS1_3genE10ELNS1_11target_archE1201ELNS1_3gpuE5ELNS1_3repE0EEENS1_30default_config_static_selectorELNS0_4arch9wavefront6targetE1EEEvT1_
	.p2align	8
	.type	_ZN7rocprim17ROCPRIM_400000_NS6detail17trampoline_kernelINS0_14default_configENS1_25transform_config_selectorIlLb0EEEZNS1_14transform_implILb0ES3_S5_NS0_18transform_iteratorINS0_17counting_iteratorImlEEZNS1_24adjacent_difference_implIS3_Lb1ELb0EPlSB_N6thrust23THRUST_200600_302600_NS5minusIlEEEE10hipError_tPvRmT2_T3_mT4_P12ihipStream_tbEUlmE_lEESB_NS0_8identityIvEEEESG_SJ_SK_mSL_SN_bEUlT_E_NS1_11comp_targetILNS1_3genE10ELNS1_11target_archE1201ELNS1_3gpuE5ELNS1_3repE0EEENS1_30default_config_static_selectorELNS0_4arch9wavefront6targetE1EEEvT1_,@function
_ZN7rocprim17ROCPRIM_400000_NS6detail17trampoline_kernelINS0_14default_configENS1_25transform_config_selectorIlLb0EEEZNS1_14transform_implILb0ES3_S5_NS0_18transform_iteratorINS0_17counting_iteratorImlEEZNS1_24adjacent_difference_implIS3_Lb1ELb0EPlSB_N6thrust23THRUST_200600_302600_NS5minusIlEEEE10hipError_tPvRmT2_T3_mT4_P12ihipStream_tbEUlmE_lEESB_NS0_8identityIvEEEESG_SJ_SK_mSL_SN_bEUlT_E_NS1_11comp_targetILNS1_3genE10ELNS1_11target_archE1201ELNS1_3gpuE5ELNS1_3repE0EEENS1_30default_config_static_selectorELNS0_4arch9wavefront6targetE1EEEvT1_: ; @_ZN7rocprim17ROCPRIM_400000_NS6detail17trampoline_kernelINS0_14default_configENS1_25transform_config_selectorIlLb0EEEZNS1_14transform_implILb0ES3_S5_NS0_18transform_iteratorINS0_17counting_iteratorImlEEZNS1_24adjacent_difference_implIS3_Lb1ELb0EPlSB_N6thrust23THRUST_200600_302600_NS5minusIlEEEE10hipError_tPvRmT2_T3_mT4_P12ihipStream_tbEUlmE_lEESB_NS0_8identityIvEEEESG_SJ_SK_mSL_SN_bEUlT_E_NS1_11comp_targetILNS1_3genE10ELNS1_11target_archE1201ELNS1_3gpuE5ELNS1_3repE0EEENS1_30default_config_static_selectorELNS0_4arch9wavefront6targetE1EEEvT1_
; %bb.0:
	.section	.rodata,"a",@progbits
	.p2align	6, 0x0
	.amdhsa_kernel _ZN7rocprim17ROCPRIM_400000_NS6detail17trampoline_kernelINS0_14default_configENS1_25transform_config_selectorIlLb0EEEZNS1_14transform_implILb0ES3_S5_NS0_18transform_iteratorINS0_17counting_iteratorImlEEZNS1_24adjacent_difference_implIS3_Lb1ELb0EPlSB_N6thrust23THRUST_200600_302600_NS5minusIlEEEE10hipError_tPvRmT2_T3_mT4_P12ihipStream_tbEUlmE_lEESB_NS0_8identityIvEEEESG_SJ_SK_mSL_SN_bEUlT_E_NS1_11comp_targetILNS1_3genE10ELNS1_11target_archE1201ELNS1_3gpuE5ELNS1_3repE0EEENS1_30default_config_static_selectorELNS0_4arch9wavefront6targetE1EEEvT1_
		.amdhsa_group_segment_fixed_size 0
		.amdhsa_private_segment_fixed_size 0
		.amdhsa_kernarg_size 56
		.amdhsa_user_sgpr_count 2
		.amdhsa_user_sgpr_dispatch_ptr 0
		.amdhsa_user_sgpr_queue_ptr 0
		.amdhsa_user_sgpr_kernarg_segment_ptr 1
		.amdhsa_user_sgpr_dispatch_id 0
		.amdhsa_user_sgpr_kernarg_preload_length 0
		.amdhsa_user_sgpr_kernarg_preload_offset 0
		.amdhsa_user_sgpr_private_segment_size 0
		.amdhsa_uses_dynamic_stack 0
		.amdhsa_enable_private_segment 0
		.amdhsa_system_sgpr_workgroup_id_x 1
		.amdhsa_system_sgpr_workgroup_id_y 0
		.amdhsa_system_sgpr_workgroup_id_z 0
		.amdhsa_system_sgpr_workgroup_info 0
		.amdhsa_system_vgpr_workitem_id 0
		.amdhsa_next_free_vgpr 1
		.amdhsa_next_free_sgpr 0
		.amdhsa_accum_offset 4
		.amdhsa_reserve_vcc 0
		.amdhsa_float_round_mode_32 0
		.amdhsa_float_round_mode_16_64 0
		.amdhsa_float_denorm_mode_32 3
		.amdhsa_float_denorm_mode_16_64 3
		.amdhsa_dx10_clamp 1
		.amdhsa_ieee_mode 1
		.amdhsa_fp16_overflow 0
		.amdhsa_tg_split 0
		.amdhsa_exception_fp_ieee_invalid_op 0
		.amdhsa_exception_fp_denorm_src 0
		.amdhsa_exception_fp_ieee_div_zero 0
		.amdhsa_exception_fp_ieee_overflow 0
		.amdhsa_exception_fp_ieee_underflow 0
		.amdhsa_exception_fp_ieee_inexact 0
		.amdhsa_exception_int_div_zero 0
	.end_amdhsa_kernel
	.section	.text._ZN7rocprim17ROCPRIM_400000_NS6detail17trampoline_kernelINS0_14default_configENS1_25transform_config_selectorIlLb0EEEZNS1_14transform_implILb0ES3_S5_NS0_18transform_iteratorINS0_17counting_iteratorImlEEZNS1_24adjacent_difference_implIS3_Lb1ELb0EPlSB_N6thrust23THRUST_200600_302600_NS5minusIlEEEE10hipError_tPvRmT2_T3_mT4_P12ihipStream_tbEUlmE_lEESB_NS0_8identityIvEEEESG_SJ_SK_mSL_SN_bEUlT_E_NS1_11comp_targetILNS1_3genE10ELNS1_11target_archE1201ELNS1_3gpuE5ELNS1_3repE0EEENS1_30default_config_static_selectorELNS0_4arch9wavefront6targetE1EEEvT1_,"axG",@progbits,_ZN7rocprim17ROCPRIM_400000_NS6detail17trampoline_kernelINS0_14default_configENS1_25transform_config_selectorIlLb0EEEZNS1_14transform_implILb0ES3_S5_NS0_18transform_iteratorINS0_17counting_iteratorImlEEZNS1_24adjacent_difference_implIS3_Lb1ELb0EPlSB_N6thrust23THRUST_200600_302600_NS5minusIlEEEE10hipError_tPvRmT2_T3_mT4_P12ihipStream_tbEUlmE_lEESB_NS0_8identityIvEEEESG_SJ_SK_mSL_SN_bEUlT_E_NS1_11comp_targetILNS1_3genE10ELNS1_11target_archE1201ELNS1_3gpuE5ELNS1_3repE0EEENS1_30default_config_static_selectorELNS0_4arch9wavefront6targetE1EEEvT1_,comdat
.Lfunc_end249:
	.size	_ZN7rocprim17ROCPRIM_400000_NS6detail17trampoline_kernelINS0_14default_configENS1_25transform_config_selectorIlLb0EEEZNS1_14transform_implILb0ES3_S5_NS0_18transform_iteratorINS0_17counting_iteratorImlEEZNS1_24adjacent_difference_implIS3_Lb1ELb0EPlSB_N6thrust23THRUST_200600_302600_NS5minusIlEEEE10hipError_tPvRmT2_T3_mT4_P12ihipStream_tbEUlmE_lEESB_NS0_8identityIvEEEESG_SJ_SK_mSL_SN_bEUlT_E_NS1_11comp_targetILNS1_3genE10ELNS1_11target_archE1201ELNS1_3gpuE5ELNS1_3repE0EEENS1_30default_config_static_selectorELNS0_4arch9wavefront6targetE1EEEvT1_, .Lfunc_end249-_ZN7rocprim17ROCPRIM_400000_NS6detail17trampoline_kernelINS0_14default_configENS1_25transform_config_selectorIlLb0EEEZNS1_14transform_implILb0ES3_S5_NS0_18transform_iteratorINS0_17counting_iteratorImlEEZNS1_24adjacent_difference_implIS3_Lb1ELb0EPlSB_N6thrust23THRUST_200600_302600_NS5minusIlEEEE10hipError_tPvRmT2_T3_mT4_P12ihipStream_tbEUlmE_lEESB_NS0_8identityIvEEEESG_SJ_SK_mSL_SN_bEUlT_E_NS1_11comp_targetILNS1_3genE10ELNS1_11target_archE1201ELNS1_3gpuE5ELNS1_3repE0EEENS1_30default_config_static_selectorELNS0_4arch9wavefront6targetE1EEEvT1_
                                        ; -- End function
	.set _ZN7rocprim17ROCPRIM_400000_NS6detail17trampoline_kernelINS0_14default_configENS1_25transform_config_selectorIlLb0EEEZNS1_14transform_implILb0ES3_S5_NS0_18transform_iteratorINS0_17counting_iteratorImlEEZNS1_24adjacent_difference_implIS3_Lb1ELb0EPlSB_N6thrust23THRUST_200600_302600_NS5minusIlEEEE10hipError_tPvRmT2_T3_mT4_P12ihipStream_tbEUlmE_lEESB_NS0_8identityIvEEEESG_SJ_SK_mSL_SN_bEUlT_E_NS1_11comp_targetILNS1_3genE10ELNS1_11target_archE1201ELNS1_3gpuE5ELNS1_3repE0EEENS1_30default_config_static_selectorELNS0_4arch9wavefront6targetE1EEEvT1_.num_vgpr, 0
	.set _ZN7rocprim17ROCPRIM_400000_NS6detail17trampoline_kernelINS0_14default_configENS1_25transform_config_selectorIlLb0EEEZNS1_14transform_implILb0ES3_S5_NS0_18transform_iteratorINS0_17counting_iteratorImlEEZNS1_24adjacent_difference_implIS3_Lb1ELb0EPlSB_N6thrust23THRUST_200600_302600_NS5minusIlEEEE10hipError_tPvRmT2_T3_mT4_P12ihipStream_tbEUlmE_lEESB_NS0_8identityIvEEEESG_SJ_SK_mSL_SN_bEUlT_E_NS1_11comp_targetILNS1_3genE10ELNS1_11target_archE1201ELNS1_3gpuE5ELNS1_3repE0EEENS1_30default_config_static_selectorELNS0_4arch9wavefront6targetE1EEEvT1_.num_agpr, 0
	.set _ZN7rocprim17ROCPRIM_400000_NS6detail17trampoline_kernelINS0_14default_configENS1_25transform_config_selectorIlLb0EEEZNS1_14transform_implILb0ES3_S5_NS0_18transform_iteratorINS0_17counting_iteratorImlEEZNS1_24adjacent_difference_implIS3_Lb1ELb0EPlSB_N6thrust23THRUST_200600_302600_NS5minusIlEEEE10hipError_tPvRmT2_T3_mT4_P12ihipStream_tbEUlmE_lEESB_NS0_8identityIvEEEESG_SJ_SK_mSL_SN_bEUlT_E_NS1_11comp_targetILNS1_3genE10ELNS1_11target_archE1201ELNS1_3gpuE5ELNS1_3repE0EEENS1_30default_config_static_selectorELNS0_4arch9wavefront6targetE1EEEvT1_.numbered_sgpr, 0
	.set _ZN7rocprim17ROCPRIM_400000_NS6detail17trampoline_kernelINS0_14default_configENS1_25transform_config_selectorIlLb0EEEZNS1_14transform_implILb0ES3_S5_NS0_18transform_iteratorINS0_17counting_iteratorImlEEZNS1_24adjacent_difference_implIS3_Lb1ELb0EPlSB_N6thrust23THRUST_200600_302600_NS5minusIlEEEE10hipError_tPvRmT2_T3_mT4_P12ihipStream_tbEUlmE_lEESB_NS0_8identityIvEEEESG_SJ_SK_mSL_SN_bEUlT_E_NS1_11comp_targetILNS1_3genE10ELNS1_11target_archE1201ELNS1_3gpuE5ELNS1_3repE0EEENS1_30default_config_static_selectorELNS0_4arch9wavefront6targetE1EEEvT1_.num_named_barrier, 0
	.set _ZN7rocprim17ROCPRIM_400000_NS6detail17trampoline_kernelINS0_14default_configENS1_25transform_config_selectorIlLb0EEEZNS1_14transform_implILb0ES3_S5_NS0_18transform_iteratorINS0_17counting_iteratorImlEEZNS1_24adjacent_difference_implIS3_Lb1ELb0EPlSB_N6thrust23THRUST_200600_302600_NS5minusIlEEEE10hipError_tPvRmT2_T3_mT4_P12ihipStream_tbEUlmE_lEESB_NS0_8identityIvEEEESG_SJ_SK_mSL_SN_bEUlT_E_NS1_11comp_targetILNS1_3genE10ELNS1_11target_archE1201ELNS1_3gpuE5ELNS1_3repE0EEENS1_30default_config_static_selectorELNS0_4arch9wavefront6targetE1EEEvT1_.private_seg_size, 0
	.set _ZN7rocprim17ROCPRIM_400000_NS6detail17trampoline_kernelINS0_14default_configENS1_25transform_config_selectorIlLb0EEEZNS1_14transform_implILb0ES3_S5_NS0_18transform_iteratorINS0_17counting_iteratorImlEEZNS1_24adjacent_difference_implIS3_Lb1ELb0EPlSB_N6thrust23THRUST_200600_302600_NS5minusIlEEEE10hipError_tPvRmT2_T3_mT4_P12ihipStream_tbEUlmE_lEESB_NS0_8identityIvEEEESG_SJ_SK_mSL_SN_bEUlT_E_NS1_11comp_targetILNS1_3genE10ELNS1_11target_archE1201ELNS1_3gpuE5ELNS1_3repE0EEENS1_30default_config_static_selectorELNS0_4arch9wavefront6targetE1EEEvT1_.uses_vcc, 0
	.set _ZN7rocprim17ROCPRIM_400000_NS6detail17trampoline_kernelINS0_14default_configENS1_25transform_config_selectorIlLb0EEEZNS1_14transform_implILb0ES3_S5_NS0_18transform_iteratorINS0_17counting_iteratorImlEEZNS1_24adjacent_difference_implIS3_Lb1ELb0EPlSB_N6thrust23THRUST_200600_302600_NS5minusIlEEEE10hipError_tPvRmT2_T3_mT4_P12ihipStream_tbEUlmE_lEESB_NS0_8identityIvEEEESG_SJ_SK_mSL_SN_bEUlT_E_NS1_11comp_targetILNS1_3genE10ELNS1_11target_archE1201ELNS1_3gpuE5ELNS1_3repE0EEENS1_30default_config_static_selectorELNS0_4arch9wavefront6targetE1EEEvT1_.uses_flat_scratch, 0
	.set _ZN7rocprim17ROCPRIM_400000_NS6detail17trampoline_kernelINS0_14default_configENS1_25transform_config_selectorIlLb0EEEZNS1_14transform_implILb0ES3_S5_NS0_18transform_iteratorINS0_17counting_iteratorImlEEZNS1_24adjacent_difference_implIS3_Lb1ELb0EPlSB_N6thrust23THRUST_200600_302600_NS5minusIlEEEE10hipError_tPvRmT2_T3_mT4_P12ihipStream_tbEUlmE_lEESB_NS0_8identityIvEEEESG_SJ_SK_mSL_SN_bEUlT_E_NS1_11comp_targetILNS1_3genE10ELNS1_11target_archE1201ELNS1_3gpuE5ELNS1_3repE0EEENS1_30default_config_static_selectorELNS0_4arch9wavefront6targetE1EEEvT1_.has_dyn_sized_stack, 0
	.set _ZN7rocprim17ROCPRIM_400000_NS6detail17trampoline_kernelINS0_14default_configENS1_25transform_config_selectorIlLb0EEEZNS1_14transform_implILb0ES3_S5_NS0_18transform_iteratorINS0_17counting_iteratorImlEEZNS1_24adjacent_difference_implIS3_Lb1ELb0EPlSB_N6thrust23THRUST_200600_302600_NS5minusIlEEEE10hipError_tPvRmT2_T3_mT4_P12ihipStream_tbEUlmE_lEESB_NS0_8identityIvEEEESG_SJ_SK_mSL_SN_bEUlT_E_NS1_11comp_targetILNS1_3genE10ELNS1_11target_archE1201ELNS1_3gpuE5ELNS1_3repE0EEENS1_30default_config_static_selectorELNS0_4arch9wavefront6targetE1EEEvT1_.has_recursion, 0
	.set _ZN7rocprim17ROCPRIM_400000_NS6detail17trampoline_kernelINS0_14default_configENS1_25transform_config_selectorIlLb0EEEZNS1_14transform_implILb0ES3_S5_NS0_18transform_iteratorINS0_17counting_iteratorImlEEZNS1_24adjacent_difference_implIS3_Lb1ELb0EPlSB_N6thrust23THRUST_200600_302600_NS5minusIlEEEE10hipError_tPvRmT2_T3_mT4_P12ihipStream_tbEUlmE_lEESB_NS0_8identityIvEEEESG_SJ_SK_mSL_SN_bEUlT_E_NS1_11comp_targetILNS1_3genE10ELNS1_11target_archE1201ELNS1_3gpuE5ELNS1_3repE0EEENS1_30default_config_static_selectorELNS0_4arch9wavefront6targetE1EEEvT1_.has_indirect_call, 0
	.section	.AMDGPU.csdata,"",@progbits
; Kernel info:
; codeLenInByte = 0
; TotalNumSgprs: 6
; NumVgprs: 0
; NumAgprs: 0
; TotalNumVgprs: 0
; ScratchSize: 0
; MemoryBound: 0
; FloatMode: 240
; IeeeMode: 1
; LDSByteSize: 0 bytes/workgroup (compile time only)
; SGPRBlocks: 0
; VGPRBlocks: 0
; NumSGPRsForWavesPerEU: 6
; NumVGPRsForWavesPerEU: 1
; AccumOffset: 4
; Occupancy: 8
; WaveLimiterHint : 0
; COMPUTE_PGM_RSRC2:SCRATCH_EN: 0
; COMPUTE_PGM_RSRC2:USER_SGPR: 2
; COMPUTE_PGM_RSRC2:TRAP_HANDLER: 0
; COMPUTE_PGM_RSRC2:TGID_X_EN: 1
; COMPUTE_PGM_RSRC2:TGID_Y_EN: 0
; COMPUTE_PGM_RSRC2:TGID_Z_EN: 0
; COMPUTE_PGM_RSRC2:TIDIG_COMP_CNT: 0
; COMPUTE_PGM_RSRC3_GFX90A:ACCUM_OFFSET: 0
; COMPUTE_PGM_RSRC3_GFX90A:TG_SPLIT: 0
	.section	.text._ZN7rocprim17ROCPRIM_400000_NS6detail17trampoline_kernelINS0_14default_configENS1_25transform_config_selectorIlLb0EEEZNS1_14transform_implILb0ES3_S5_NS0_18transform_iteratorINS0_17counting_iteratorImlEEZNS1_24adjacent_difference_implIS3_Lb1ELb0EPlSB_N6thrust23THRUST_200600_302600_NS5minusIlEEEE10hipError_tPvRmT2_T3_mT4_P12ihipStream_tbEUlmE_lEESB_NS0_8identityIvEEEESG_SJ_SK_mSL_SN_bEUlT_E_NS1_11comp_targetILNS1_3genE10ELNS1_11target_archE1200ELNS1_3gpuE4ELNS1_3repE0EEENS1_30default_config_static_selectorELNS0_4arch9wavefront6targetE1EEEvT1_,"axG",@progbits,_ZN7rocprim17ROCPRIM_400000_NS6detail17trampoline_kernelINS0_14default_configENS1_25transform_config_selectorIlLb0EEEZNS1_14transform_implILb0ES3_S5_NS0_18transform_iteratorINS0_17counting_iteratorImlEEZNS1_24adjacent_difference_implIS3_Lb1ELb0EPlSB_N6thrust23THRUST_200600_302600_NS5minusIlEEEE10hipError_tPvRmT2_T3_mT4_P12ihipStream_tbEUlmE_lEESB_NS0_8identityIvEEEESG_SJ_SK_mSL_SN_bEUlT_E_NS1_11comp_targetILNS1_3genE10ELNS1_11target_archE1200ELNS1_3gpuE4ELNS1_3repE0EEENS1_30default_config_static_selectorELNS0_4arch9wavefront6targetE1EEEvT1_,comdat
	.protected	_ZN7rocprim17ROCPRIM_400000_NS6detail17trampoline_kernelINS0_14default_configENS1_25transform_config_selectorIlLb0EEEZNS1_14transform_implILb0ES3_S5_NS0_18transform_iteratorINS0_17counting_iteratorImlEEZNS1_24adjacent_difference_implIS3_Lb1ELb0EPlSB_N6thrust23THRUST_200600_302600_NS5minusIlEEEE10hipError_tPvRmT2_T3_mT4_P12ihipStream_tbEUlmE_lEESB_NS0_8identityIvEEEESG_SJ_SK_mSL_SN_bEUlT_E_NS1_11comp_targetILNS1_3genE10ELNS1_11target_archE1200ELNS1_3gpuE4ELNS1_3repE0EEENS1_30default_config_static_selectorELNS0_4arch9wavefront6targetE1EEEvT1_ ; -- Begin function _ZN7rocprim17ROCPRIM_400000_NS6detail17trampoline_kernelINS0_14default_configENS1_25transform_config_selectorIlLb0EEEZNS1_14transform_implILb0ES3_S5_NS0_18transform_iteratorINS0_17counting_iteratorImlEEZNS1_24adjacent_difference_implIS3_Lb1ELb0EPlSB_N6thrust23THRUST_200600_302600_NS5minusIlEEEE10hipError_tPvRmT2_T3_mT4_P12ihipStream_tbEUlmE_lEESB_NS0_8identityIvEEEESG_SJ_SK_mSL_SN_bEUlT_E_NS1_11comp_targetILNS1_3genE10ELNS1_11target_archE1200ELNS1_3gpuE4ELNS1_3repE0EEENS1_30default_config_static_selectorELNS0_4arch9wavefront6targetE1EEEvT1_
	.globl	_ZN7rocprim17ROCPRIM_400000_NS6detail17trampoline_kernelINS0_14default_configENS1_25transform_config_selectorIlLb0EEEZNS1_14transform_implILb0ES3_S5_NS0_18transform_iteratorINS0_17counting_iteratorImlEEZNS1_24adjacent_difference_implIS3_Lb1ELb0EPlSB_N6thrust23THRUST_200600_302600_NS5minusIlEEEE10hipError_tPvRmT2_T3_mT4_P12ihipStream_tbEUlmE_lEESB_NS0_8identityIvEEEESG_SJ_SK_mSL_SN_bEUlT_E_NS1_11comp_targetILNS1_3genE10ELNS1_11target_archE1200ELNS1_3gpuE4ELNS1_3repE0EEENS1_30default_config_static_selectorELNS0_4arch9wavefront6targetE1EEEvT1_
	.p2align	8
	.type	_ZN7rocprim17ROCPRIM_400000_NS6detail17trampoline_kernelINS0_14default_configENS1_25transform_config_selectorIlLb0EEEZNS1_14transform_implILb0ES3_S5_NS0_18transform_iteratorINS0_17counting_iteratorImlEEZNS1_24adjacent_difference_implIS3_Lb1ELb0EPlSB_N6thrust23THRUST_200600_302600_NS5minusIlEEEE10hipError_tPvRmT2_T3_mT4_P12ihipStream_tbEUlmE_lEESB_NS0_8identityIvEEEESG_SJ_SK_mSL_SN_bEUlT_E_NS1_11comp_targetILNS1_3genE10ELNS1_11target_archE1200ELNS1_3gpuE4ELNS1_3repE0EEENS1_30default_config_static_selectorELNS0_4arch9wavefront6targetE1EEEvT1_,@function
_ZN7rocprim17ROCPRIM_400000_NS6detail17trampoline_kernelINS0_14default_configENS1_25transform_config_selectorIlLb0EEEZNS1_14transform_implILb0ES3_S5_NS0_18transform_iteratorINS0_17counting_iteratorImlEEZNS1_24adjacent_difference_implIS3_Lb1ELb0EPlSB_N6thrust23THRUST_200600_302600_NS5minusIlEEEE10hipError_tPvRmT2_T3_mT4_P12ihipStream_tbEUlmE_lEESB_NS0_8identityIvEEEESG_SJ_SK_mSL_SN_bEUlT_E_NS1_11comp_targetILNS1_3genE10ELNS1_11target_archE1200ELNS1_3gpuE4ELNS1_3repE0EEENS1_30default_config_static_selectorELNS0_4arch9wavefront6targetE1EEEvT1_: ; @_ZN7rocprim17ROCPRIM_400000_NS6detail17trampoline_kernelINS0_14default_configENS1_25transform_config_selectorIlLb0EEEZNS1_14transform_implILb0ES3_S5_NS0_18transform_iteratorINS0_17counting_iteratorImlEEZNS1_24adjacent_difference_implIS3_Lb1ELb0EPlSB_N6thrust23THRUST_200600_302600_NS5minusIlEEEE10hipError_tPvRmT2_T3_mT4_P12ihipStream_tbEUlmE_lEESB_NS0_8identityIvEEEESG_SJ_SK_mSL_SN_bEUlT_E_NS1_11comp_targetILNS1_3genE10ELNS1_11target_archE1200ELNS1_3gpuE4ELNS1_3repE0EEENS1_30default_config_static_selectorELNS0_4arch9wavefront6targetE1EEEvT1_
; %bb.0:
	.section	.rodata,"a",@progbits
	.p2align	6, 0x0
	.amdhsa_kernel _ZN7rocprim17ROCPRIM_400000_NS6detail17trampoline_kernelINS0_14default_configENS1_25transform_config_selectorIlLb0EEEZNS1_14transform_implILb0ES3_S5_NS0_18transform_iteratorINS0_17counting_iteratorImlEEZNS1_24adjacent_difference_implIS3_Lb1ELb0EPlSB_N6thrust23THRUST_200600_302600_NS5minusIlEEEE10hipError_tPvRmT2_T3_mT4_P12ihipStream_tbEUlmE_lEESB_NS0_8identityIvEEEESG_SJ_SK_mSL_SN_bEUlT_E_NS1_11comp_targetILNS1_3genE10ELNS1_11target_archE1200ELNS1_3gpuE4ELNS1_3repE0EEENS1_30default_config_static_selectorELNS0_4arch9wavefront6targetE1EEEvT1_
		.amdhsa_group_segment_fixed_size 0
		.amdhsa_private_segment_fixed_size 0
		.amdhsa_kernarg_size 56
		.amdhsa_user_sgpr_count 2
		.amdhsa_user_sgpr_dispatch_ptr 0
		.amdhsa_user_sgpr_queue_ptr 0
		.amdhsa_user_sgpr_kernarg_segment_ptr 1
		.amdhsa_user_sgpr_dispatch_id 0
		.amdhsa_user_sgpr_kernarg_preload_length 0
		.amdhsa_user_sgpr_kernarg_preload_offset 0
		.amdhsa_user_sgpr_private_segment_size 0
		.amdhsa_uses_dynamic_stack 0
		.amdhsa_enable_private_segment 0
		.amdhsa_system_sgpr_workgroup_id_x 1
		.amdhsa_system_sgpr_workgroup_id_y 0
		.amdhsa_system_sgpr_workgroup_id_z 0
		.amdhsa_system_sgpr_workgroup_info 0
		.amdhsa_system_vgpr_workitem_id 0
		.amdhsa_next_free_vgpr 1
		.amdhsa_next_free_sgpr 0
		.amdhsa_accum_offset 4
		.amdhsa_reserve_vcc 0
		.amdhsa_float_round_mode_32 0
		.amdhsa_float_round_mode_16_64 0
		.amdhsa_float_denorm_mode_32 3
		.amdhsa_float_denorm_mode_16_64 3
		.amdhsa_dx10_clamp 1
		.amdhsa_ieee_mode 1
		.amdhsa_fp16_overflow 0
		.amdhsa_tg_split 0
		.amdhsa_exception_fp_ieee_invalid_op 0
		.amdhsa_exception_fp_denorm_src 0
		.amdhsa_exception_fp_ieee_div_zero 0
		.amdhsa_exception_fp_ieee_overflow 0
		.amdhsa_exception_fp_ieee_underflow 0
		.amdhsa_exception_fp_ieee_inexact 0
		.amdhsa_exception_int_div_zero 0
	.end_amdhsa_kernel
	.section	.text._ZN7rocprim17ROCPRIM_400000_NS6detail17trampoline_kernelINS0_14default_configENS1_25transform_config_selectorIlLb0EEEZNS1_14transform_implILb0ES3_S5_NS0_18transform_iteratorINS0_17counting_iteratorImlEEZNS1_24adjacent_difference_implIS3_Lb1ELb0EPlSB_N6thrust23THRUST_200600_302600_NS5minusIlEEEE10hipError_tPvRmT2_T3_mT4_P12ihipStream_tbEUlmE_lEESB_NS0_8identityIvEEEESG_SJ_SK_mSL_SN_bEUlT_E_NS1_11comp_targetILNS1_3genE10ELNS1_11target_archE1200ELNS1_3gpuE4ELNS1_3repE0EEENS1_30default_config_static_selectorELNS0_4arch9wavefront6targetE1EEEvT1_,"axG",@progbits,_ZN7rocprim17ROCPRIM_400000_NS6detail17trampoline_kernelINS0_14default_configENS1_25transform_config_selectorIlLb0EEEZNS1_14transform_implILb0ES3_S5_NS0_18transform_iteratorINS0_17counting_iteratorImlEEZNS1_24adjacent_difference_implIS3_Lb1ELb0EPlSB_N6thrust23THRUST_200600_302600_NS5minusIlEEEE10hipError_tPvRmT2_T3_mT4_P12ihipStream_tbEUlmE_lEESB_NS0_8identityIvEEEESG_SJ_SK_mSL_SN_bEUlT_E_NS1_11comp_targetILNS1_3genE10ELNS1_11target_archE1200ELNS1_3gpuE4ELNS1_3repE0EEENS1_30default_config_static_selectorELNS0_4arch9wavefront6targetE1EEEvT1_,comdat
.Lfunc_end250:
	.size	_ZN7rocprim17ROCPRIM_400000_NS6detail17trampoline_kernelINS0_14default_configENS1_25transform_config_selectorIlLb0EEEZNS1_14transform_implILb0ES3_S5_NS0_18transform_iteratorINS0_17counting_iteratorImlEEZNS1_24adjacent_difference_implIS3_Lb1ELb0EPlSB_N6thrust23THRUST_200600_302600_NS5minusIlEEEE10hipError_tPvRmT2_T3_mT4_P12ihipStream_tbEUlmE_lEESB_NS0_8identityIvEEEESG_SJ_SK_mSL_SN_bEUlT_E_NS1_11comp_targetILNS1_3genE10ELNS1_11target_archE1200ELNS1_3gpuE4ELNS1_3repE0EEENS1_30default_config_static_selectorELNS0_4arch9wavefront6targetE1EEEvT1_, .Lfunc_end250-_ZN7rocprim17ROCPRIM_400000_NS6detail17trampoline_kernelINS0_14default_configENS1_25transform_config_selectorIlLb0EEEZNS1_14transform_implILb0ES3_S5_NS0_18transform_iteratorINS0_17counting_iteratorImlEEZNS1_24adjacent_difference_implIS3_Lb1ELb0EPlSB_N6thrust23THRUST_200600_302600_NS5minusIlEEEE10hipError_tPvRmT2_T3_mT4_P12ihipStream_tbEUlmE_lEESB_NS0_8identityIvEEEESG_SJ_SK_mSL_SN_bEUlT_E_NS1_11comp_targetILNS1_3genE10ELNS1_11target_archE1200ELNS1_3gpuE4ELNS1_3repE0EEENS1_30default_config_static_selectorELNS0_4arch9wavefront6targetE1EEEvT1_
                                        ; -- End function
	.set _ZN7rocprim17ROCPRIM_400000_NS6detail17trampoline_kernelINS0_14default_configENS1_25transform_config_selectorIlLb0EEEZNS1_14transform_implILb0ES3_S5_NS0_18transform_iteratorINS0_17counting_iteratorImlEEZNS1_24adjacent_difference_implIS3_Lb1ELb0EPlSB_N6thrust23THRUST_200600_302600_NS5minusIlEEEE10hipError_tPvRmT2_T3_mT4_P12ihipStream_tbEUlmE_lEESB_NS0_8identityIvEEEESG_SJ_SK_mSL_SN_bEUlT_E_NS1_11comp_targetILNS1_3genE10ELNS1_11target_archE1200ELNS1_3gpuE4ELNS1_3repE0EEENS1_30default_config_static_selectorELNS0_4arch9wavefront6targetE1EEEvT1_.num_vgpr, 0
	.set _ZN7rocprim17ROCPRIM_400000_NS6detail17trampoline_kernelINS0_14default_configENS1_25transform_config_selectorIlLb0EEEZNS1_14transform_implILb0ES3_S5_NS0_18transform_iteratorINS0_17counting_iteratorImlEEZNS1_24adjacent_difference_implIS3_Lb1ELb0EPlSB_N6thrust23THRUST_200600_302600_NS5minusIlEEEE10hipError_tPvRmT2_T3_mT4_P12ihipStream_tbEUlmE_lEESB_NS0_8identityIvEEEESG_SJ_SK_mSL_SN_bEUlT_E_NS1_11comp_targetILNS1_3genE10ELNS1_11target_archE1200ELNS1_3gpuE4ELNS1_3repE0EEENS1_30default_config_static_selectorELNS0_4arch9wavefront6targetE1EEEvT1_.num_agpr, 0
	.set _ZN7rocprim17ROCPRIM_400000_NS6detail17trampoline_kernelINS0_14default_configENS1_25transform_config_selectorIlLb0EEEZNS1_14transform_implILb0ES3_S5_NS0_18transform_iteratorINS0_17counting_iteratorImlEEZNS1_24adjacent_difference_implIS3_Lb1ELb0EPlSB_N6thrust23THRUST_200600_302600_NS5minusIlEEEE10hipError_tPvRmT2_T3_mT4_P12ihipStream_tbEUlmE_lEESB_NS0_8identityIvEEEESG_SJ_SK_mSL_SN_bEUlT_E_NS1_11comp_targetILNS1_3genE10ELNS1_11target_archE1200ELNS1_3gpuE4ELNS1_3repE0EEENS1_30default_config_static_selectorELNS0_4arch9wavefront6targetE1EEEvT1_.numbered_sgpr, 0
	.set _ZN7rocprim17ROCPRIM_400000_NS6detail17trampoline_kernelINS0_14default_configENS1_25transform_config_selectorIlLb0EEEZNS1_14transform_implILb0ES3_S5_NS0_18transform_iteratorINS0_17counting_iteratorImlEEZNS1_24adjacent_difference_implIS3_Lb1ELb0EPlSB_N6thrust23THRUST_200600_302600_NS5minusIlEEEE10hipError_tPvRmT2_T3_mT4_P12ihipStream_tbEUlmE_lEESB_NS0_8identityIvEEEESG_SJ_SK_mSL_SN_bEUlT_E_NS1_11comp_targetILNS1_3genE10ELNS1_11target_archE1200ELNS1_3gpuE4ELNS1_3repE0EEENS1_30default_config_static_selectorELNS0_4arch9wavefront6targetE1EEEvT1_.num_named_barrier, 0
	.set _ZN7rocprim17ROCPRIM_400000_NS6detail17trampoline_kernelINS0_14default_configENS1_25transform_config_selectorIlLb0EEEZNS1_14transform_implILb0ES3_S5_NS0_18transform_iteratorINS0_17counting_iteratorImlEEZNS1_24adjacent_difference_implIS3_Lb1ELb0EPlSB_N6thrust23THRUST_200600_302600_NS5minusIlEEEE10hipError_tPvRmT2_T3_mT4_P12ihipStream_tbEUlmE_lEESB_NS0_8identityIvEEEESG_SJ_SK_mSL_SN_bEUlT_E_NS1_11comp_targetILNS1_3genE10ELNS1_11target_archE1200ELNS1_3gpuE4ELNS1_3repE0EEENS1_30default_config_static_selectorELNS0_4arch9wavefront6targetE1EEEvT1_.private_seg_size, 0
	.set _ZN7rocprim17ROCPRIM_400000_NS6detail17trampoline_kernelINS0_14default_configENS1_25transform_config_selectorIlLb0EEEZNS1_14transform_implILb0ES3_S5_NS0_18transform_iteratorINS0_17counting_iteratorImlEEZNS1_24adjacent_difference_implIS3_Lb1ELb0EPlSB_N6thrust23THRUST_200600_302600_NS5minusIlEEEE10hipError_tPvRmT2_T3_mT4_P12ihipStream_tbEUlmE_lEESB_NS0_8identityIvEEEESG_SJ_SK_mSL_SN_bEUlT_E_NS1_11comp_targetILNS1_3genE10ELNS1_11target_archE1200ELNS1_3gpuE4ELNS1_3repE0EEENS1_30default_config_static_selectorELNS0_4arch9wavefront6targetE1EEEvT1_.uses_vcc, 0
	.set _ZN7rocprim17ROCPRIM_400000_NS6detail17trampoline_kernelINS0_14default_configENS1_25transform_config_selectorIlLb0EEEZNS1_14transform_implILb0ES3_S5_NS0_18transform_iteratorINS0_17counting_iteratorImlEEZNS1_24adjacent_difference_implIS3_Lb1ELb0EPlSB_N6thrust23THRUST_200600_302600_NS5minusIlEEEE10hipError_tPvRmT2_T3_mT4_P12ihipStream_tbEUlmE_lEESB_NS0_8identityIvEEEESG_SJ_SK_mSL_SN_bEUlT_E_NS1_11comp_targetILNS1_3genE10ELNS1_11target_archE1200ELNS1_3gpuE4ELNS1_3repE0EEENS1_30default_config_static_selectorELNS0_4arch9wavefront6targetE1EEEvT1_.uses_flat_scratch, 0
	.set _ZN7rocprim17ROCPRIM_400000_NS6detail17trampoline_kernelINS0_14default_configENS1_25transform_config_selectorIlLb0EEEZNS1_14transform_implILb0ES3_S5_NS0_18transform_iteratorINS0_17counting_iteratorImlEEZNS1_24adjacent_difference_implIS3_Lb1ELb0EPlSB_N6thrust23THRUST_200600_302600_NS5minusIlEEEE10hipError_tPvRmT2_T3_mT4_P12ihipStream_tbEUlmE_lEESB_NS0_8identityIvEEEESG_SJ_SK_mSL_SN_bEUlT_E_NS1_11comp_targetILNS1_3genE10ELNS1_11target_archE1200ELNS1_3gpuE4ELNS1_3repE0EEENS1_30default_config_static_selectorELNS0_4arch9wavefront6targetE1EEEvT1_.has_dyn_sized_stack, 0
	.set _ZN7rocprim17ROCPRIM_400000_NS6detail17trampoline_kernelINS0_14default_configENS1_25transform_config_selectorIlLb0EEEZNS1_14transform_implILb0ES3_S5_NS0_18transform_iteratorINS0_17counting_iteratorImlEEZNS1_24adjacent_difference_implIS3_Lb1ELb0EPlSB_N6thrust23THRUST_200600_302600_NS5minusIlEEEE10hipError_tPvRmT2_T3_mT4_P12ihipStream_tbEUlmE_lEESB_NS0_8identityIvEEEESG_SJ_SK_mSL_SN_bEUlT_E_NS1_11comp_targetILNS1_3genE10ELNS1_11target_archE1200ELNS1_3gpuE4ELNS1_3repE0EEENS1_30default_config_static_selectorELNS0_4arch9wavefront6targetE1EEEvT1_.has_recursion, 0
	.set _ZN7rocprim17ROCPRIM_400000_NS6detail17trampoline_kernelINS0_14default_configENS1_25transform_config_selectorIlLb0EEEZNS1_14transform_implILb0ES3_S5_NS0_18transform_iteratorINS0_17counting_iteratorImlEEZNS1_24adjacent_difference_implIS3_Lb1ELb0EPlSB_N6thrust23THRUST_200600_302600_NS5minusIlEEEE10hipError_tPvRmT2_T3_mT4_P12ihipStream_tbEUlmE_lEESB_NS0_8identityIvEEEESG_SJ_SK_mSL_SN_bEUlT_E_NS1_11comp_targetILNS1_3genE10ELNS1_11target_archE1200ELNS1_3gpuE4ELNS1_3repE0EEENS1_30default_config_static_selectorELNS0_4arch9wavefront6targetE1EEEvT1_.has_indirect_call, 0
	.section	.AMDGPU.csdata,"",@progbits
; Kernel info:
; codeLenInByte = 0
; TotalNumSgprs: 6
; NumVgprs: 0
; NumAgprs: 0
; TotalNumVgprs: 0
; ScratchSize: 0
; MemoryBound: 0
; FloatMode: 240
; IeeeMode: 1
; LDSByteSize: 0 bytes/workgroup (compile time only)
; SGPRBlocks: 0
; VGPRBlocks: 0
; NumSGPRsForWavesPerEU: 6
; NumVGPRsForWavesPerEU: 1
; AccumOffset: 4
; Occupancy: 8
; WaveLimiterHint : 0
; COMPUTE_PGM_RSRC2:SCRATCH_EN: 0
; COMPUTE_PGM_RSRC2:USER_SGPR: 2
; COMPUTE_PGM_RSRC2:TRAP_HANDLER: 0
; COMPUTE_PGM_RSRC2:TGID_X_EN: 1
; COMPUTE_PGM_RSRC2:TGID_Y_EN: 0
; COMPUTE_PGM_RSRC2:TGID_Z_EN: 0
; COMPUTE_PGM_RSRC2:TIDIG_COMP_CNT: 0
; COMPUTE_PGM_RSRC3_GFX90A:ACCUM_OFFSET: 0
; COMPUTE_PGM_RSRC3_GFX90A:TG_SPLIT: 0
	.section	.text._ZN7rocprim17ROCPRIM_400000_NS6detail17trampoline_kernelINS0_14default_configENS1_25transform_config_selectorIlLb0EEEZNS1_14transform_implILb0ES3_S5_NS0_18transform_iteratorINS0_17counting_iteratorImlEEZNS1_24adjacent_difference_implIS3_Lb1ELb0EPlSB_N6thrust23THRUST_200600_302600_NS5minusIlEEEE10hipError_tPvRmT2_T3_mT4_P12ihipStream_tbEUlmE_lEESB_NS0_8identityIvEEEESG_SJ_SK_mSL_SN_bEUlT_E_NS1_11comp_targetILNS1_3genE9ELNS1_11target_archE1100ELNS1_3gpuE3ELNS1_3repE0EEENS1_30default_config_static_selectorELNS0_4arch9wavefront6targetE1EEEvT1_,"axG",@progbits,_ZN7rocprim17ROCPRIM_400000_NS6detail17trampoline_kernelINS0_14default_configENS1_25transform_config_selectorIlLb0EEEZNS1_14transform_implILb0ES3_S5_NS0_18transform_iteratorINS0_17counting_iteratorImlEEZNS1_24adjacent_difference_implIS3_Lb1ELb0EPlSB_N6thrust23THRUST_200600_302600_NS5minusIlEEEE10hipError_tPvRmT2_T3_mT4_P12ihipStream_tbEUlmE_lEESB_NS0_8identityIvEEEESG_SJ_SK_mSL_SN_bEUlT_E_NS1_11comp_targetILNS1_3genE9ELNS1_11target_archE1100ELNS1_3gpuE3ELNS1_3repE0EEENS1_30default_config_static_selectorELNS0_4arch9wavefront6targetE1EEEvT1_,comdat
	.protected	_ZN7rocprim17ROCPRIM_400000_NS6detail17trampoline_kernelINS0_14default_configENS1_25transform_config_selectorIlLb0EEEZNS1_14transform_implILb0ES3_S5_NS0_18transform_iteratorINS0_17counting_iteratorImlEEZNS1_24adjacent_difference_implIS3_Lb1ELb0EPlSB_N6thrust23THRUST_200600_302600_NS5minusIlEEEE10hipError_tPvRmT2_T3_mT4_P12ihipStream_tbEUlmE_lEESB_NS0_8identityIvEEEESG_SJ_SK_mSL_SN_bEUlT_E_NS1_11comp_targetILNS1_3genE9ELNS1_11target_archE1100ELNS1_3gpuE3ELNS1_3repE0EEENS1_30default_config_static_selectorELNS0_4arch9wavefront6targetE1EEEvT1_ ; -- Begin function _ZN7rocprim17ROCPRIM_400000_NS6detail17trampoline_kernelINS0_14default_configENS1_25transform_config_selectorIlLb0EEEZNS1_14transform_implILb0ES3_S5_NS0_18transform_iteratorINS0_17counting_iteratorImlEEZNS1_24adjacent_difference_implIS3_Lb1ELb0EPlSB_N6thrust23THRUST_200600_302600_NS5minusIlEEEE10hipError_tPvRmT2_T3_mT4_P12ihipStream_tbEUlmE_lEESB_NS0_8identityIvEEEESG_SJ_SK_mSL_SN_bEUlT_E_NS1_11comp_targetILNS1_3genE9ELNS1_11target_archE1100ELNS1_3gpuE3ELNS1_3repE0EEENS1_30default_config_static_selectorELNS0_4arch9wavefront6targetE1EEEvT1_
	.globl	_ZN7rocprim17ROCPRIM_400000_NS6detail17trampoline_kernelINS0_14default_configENS1_25transform_config_selectorIlLb0EEEZNS1_14transform_implILb0ES3_S5_NS0_18transform_iteratorINS0_17counting_iteratorImlEEZNS1_24adjacent_difference_implIS3_Lb1ELb0EPlSB_N6thrust23THRUST_200600_302600_NS5minusIlEEEE10hipError_tPvRmT2_T3_mT4_P12ihipStream_tbEUlmE_lEESB_NS0_8identityIvEEEESG_SJ_SK_mSL_SN_bEUlT_E_NS1_11comp_targetILNS1_3genE9ELNS1_11target_archE1100ELNS1_3gpuE3ELNS1_3repE0EEENS1_30default_config_static_selectorELNS0_4arch9wavefront6targetE1EEEvT1_
	.p2align	8
	.type	_ZN7rocprim17ROCPRIM_400000_NS6detail17trampoline_kernelINS0_14default_configENS1_25transform_config_selectorIlLb0EEEZNS1_14transform_implILb0ES3_S5_NS0_18transform_iteratorINS0_17counting_iteratorImlEEZNS1_24adjacent_difference_implIS3_Lb1ELb0EPlSB_N6thrust23THRUST_200600_302600_NS5minusIlEEEE10hipError_tPvRmT2_T3_mT4_P12ihipStream_tbEUlmE_lEESB_NS0_8identityIvEEEESG_SJ_SK_mSL_SN_bEUlT_E_NS1_11comp_targetILNS1_3genE9ELNS1_11target_archE1100ELNS1_3gpuE3ELNS1_3repE0EEENS1_30default_config_static_selectorELNS0_4arch9wavefront6targetE1EEEvT1_,@function
_ZN7rocprim17ROCPRIM_400000_NS6detail17trampoline_kernelINS0_14default_configENS1_25transform_config_selectorIlLb0EEEZNS1_14transform_implILb0ES3_S5_NS0_18transform_iteratorINS0_17counting_iteratorImlEEZNS1_24adjacent_difference_implIS3_Lb1ELb0EPlSB_N6thrust23THRUST_200600_302600_NS5minusIlEEEE10hipError_tPvRmT2_T3_mT4_P12ihipStream_tbEUlmE_lEESB_NS0_8identityIvEEEESG_SJ_SK_mSL_SN_bEUlT_E_NS1_11comp_targetILNS1_3genE9ELNS1_11target_archE1100ELNS1_3gpuE3ELNS1_3repE0EEENS1_30default_config_static_selectorELNS0_4arch9wavefront6targetE1EEEvT1_: ; @_ZN7rocprim17ROCPRIM_400000_NS6detail17trampoline_kernelINS0_14default_configENS1_25transform_config_selectorIlLb0EEEZNS1_14transform_implILb0ES3_S5_NS0_18transform_iteratorINS0_17counting_iteratorImlEEZNS1_24adjacent_difference_implIS3_Lb1ELb0EPlSB_N6thrust23THRUST_200600_302600_NS5minusIlEEEE10hipError_tPvRmT2_T3_mT4_P12ihipStream_tbEUlmE_lEESB_NS0_8identityIvEEEESG_SJ_SK_mSL_SN_bEUlT_E_NS1_11comp_targetILNS1_3genE9ELNS1_11target_archE1100ELNS1_3gpuE3ELNS1_3repE0EEENS1_30default_config_static_selectorELNS0_4arch9wavefront6targetE1EEEvT1_
; %bb.0:
	.section	.rodata,"a",@progbits
	.p2align	6, 0x0
	.amdhsa_kernel _ZN7rocprim17ROCPRIM_400000_NS6detail17trampoline_kernelINS0_14default_configENS1_25transform_config_selectorIlLb0EEEZNS1_14transform_implILb0ES3_S5_NS0_18transform_iteratorINS0_17counting_iteratorImlEEZNS1_24adjacent_difference_implIS3_Lb1ELb0EPlSB_N6thrust23THRUST_200600_302600_NS5minusIlEEEE10hipError_tPvRmT2_T3_mT4_P12ihipStream_tbEUlmE_lEESB_NS0_8identityIvEEEESG_SJ_SK_mSL_SN_bEUlT_E_NS1_11comp_targetILNS1_3genE9ELNS1_11target_archE1100ELNS1_3gpuE3ELNS1_3repE0EEENS1_30default_config_static_selectorELNS0_4arch9wavefront6targetE1EEEvT1_
		.amdhsa_group_segment_fixed_size 0
		.amdhsa_private_segment_fixed_size 0
		.amdhsa_kernarg_size 56
		.amdhsa_user_sgpr_count 2
		.amdhsa_user_sgpr_dispatch_ptr 0
		.amdhsa_user_sgpr_queue_ptr 0
		.amdhsa_user_sgpr_kernarg_segment_ptr 1
		.amdhsa_user_sgpr_dispatch_id 0
		.amdhsa_user_sgpr_kernarg_preload_length 0
		.amdhsa_user_sgpr_kernarg_preload_offset 0
		.amdhsa_user_sgpr_private_segment_size 0
		.amdhsa_uses_dynamic_stack 0
		.amdhsa_enable_private_segment 0
		.amdhsa_system_sgpr_workgroup_id_x 1
		.amdhsa_system_sgpr_workgroup_id_y 0
		.amdhsa_system_sgpr_workgroup_id_z 0
		.amdhsa_system_sgpr_workgroup_info 0
		.amdhsa_system_vgpr_workitem_id 0
		.amdhsa_next_free_vgpr 1
		.amdhsa_next_free_sgpr 0
		.amdhsa_accum_offset 4
		.amdhsa_reserve_vcc 0
		.amdhsa_float_round_mode_32 0
		.amdhsa_float_round_mode_16_64 0
		.amdhsa_float_denorm_mode_32 3
		.amdhsa_float_denorm_mode_16_64 3
		.amdhsa_dx10_clamp 1
		.amdhsa_ieee_mode 1
		.amdhsa_fp16_overflow 0
		.amdhsa_tg_split 0
		.amdhsa_exception_fp_ieee_invalid_op 0
		.amdhsa_exception_fp_denorm_src 0
		.amdhsa_exception_fp_ieee_div_zero 0
		.amdhsa_exception_fp_ieee_overflow 0
		.amdhsa_exception_fp_ieee_underflow 0
		.amdhsa_exception_fp_ieee_inexact 0
		.amdhsa_exception_int_div_zero 0
	.end_amdhsa_kernel
	.section	.text._ZN7rocprim17ROCPRIM_400000_NS6detail17trampoline_kernelINS0_14default_configENS1_25transform_config_selectorIlLb0EEEZNS1_14transform_implILb0ES3_S5_NS0_18transform_iteratorINS0_17counting_iteratorImlEEZNS1_24adjacent_difference_implIS3_Lb1ELb0EPlSB_N6thrust23THRUST_200600_302600_NS5minusIlEEEE10hipError_tPvRmT2_T3_mT4_P12ihipStream_tbEUlmE_lEESB_NS0_8identityIvEEEESG_SJ_SK_mSL_SN_bEUlT_E_NS1_11comp_targetILNS1_3genE9ELNS1_11target_archE1100ELNS1_3gpuE3ELNS1_3repE0EEENS1_30default_config_static_selectorELNS0_4arch9wavefront6targetE1EEEvT1_,"axG",@progbits,_ZN7rocprim17ROCPRIM_400000_NS6detail17trampoline_kernelINS0_14default_configENS1_25transform_config_selectorIlLb0EEEZNS1_14transform_implILb0ES3_S5_NS0_18transform_iteratorINS0_17counting_iteratorImlEEZNS1_24adjacent_difference_implIS3_Lb1ELb0EPlSB_N6thrust23THRUST_200600_302600_NS5minusIlEEEE10hipError_tPvRmT2_T3_mT4_P12ihipStream_tbEUlmE_lEESB_NS0_8identityIvEEEESG_SJ_SK_mSL_SN_bEUlT_E_NS1_11comp_targetILNS1_3genE9ELNS1_11target_archE1100ELNS1_3gpuE3ELNS1_3repE0EEENS1_30default_config_static_selectorELNS0_4arch9wavefront6targetE1EEEvT1_,comdat
.Lfunc_end251:
	.size	_ZN7rocprim17ROCPRIM_400000_NS6detail17trampoline_kernelINS0_14default_configENS1_25transform_config_selectorIlLb0EEEZNS1_14transform_implILb0ES3_S5_NS0_18transform_iteratorINS0_17counting_iteratorImlEEZNS1_24adjacent_difference_implIS3_Lb1ELb0EPlSB_N6thrust23THRUST_200600_302600_NS5minusIlEEEE10hipError_tPvRmT2_T3_mT4_P12ihipStream_tbEUlmE_lEESB_NS0_8identityIvEEEESG_SJ_SK_mSL_SN_bEUlT_E_NS1_11comp_targetILNS1_3genE9ELNS1_11target_archE1100ELNS1_3gpuE3ELNS1_3repE0EEENS1_30default_config_static_selectorELNS0_4arch9wavefront6targetE1EEEvT1_, .Lfunc_end251-_ZN7rocprim17ROCPRIM_400000_NS6detail17trampoline_kernelINS0_14default_configENS1_25transform_config_selectorIlLb0EEEZNS1_14transform_implILb0ES3_S5_NS0_18transform_iteratorINS0_17counting_iteratorImlEEZNS1_24adjacent_difference_implIS3_Lb1ELb0EPlSB_N6thrust23THRUST_200600_302600_NS5minusIlEEEE10hipError_tPvRmT2_T3_mT4_P12ihipStream_tbEUlmE_lEESB_NS0_8identityIvEEEESG_SJ_SK_mSL_SN_bEUlT_E_NS1_11comp_targetILNS1_3genE9ELNS1_11target_archE1100ELNS1_3gpuE3ELNS1_3repE0EEENS1_30default_config_static_selectorELNS0_4arch9wavefront6targetE1EEEvT1_
                                        ; -- End function
	.set _ZN7rocprim17ROCPRIM_400000_NS6detail17trampoline_kernelINS0_14default_configENS1_25transform_config_selectorIlLb0EEEZNS1_14transform_implILb0ES3_S5_NS0_18transform_iteratorINS0_17counting_iteratorImlEEZNS1_24adjacent_difference_implIS3_Lb1ELb0EPlSB_N6thrust23THRUST_200600_302600_NS5minusIlEEEE10hipError_tPvRmT2_T3_mT4_P12ihipStream_tbEUlmE_lEESB_NS0_8identityIvEEEESG_SJ_SK_mSL_SN_bEUlT_E_NS1_11comp_targetILNS1_3genE9ELNS1_11target_archE1100ELNS1_3gpuE3ELNS1_3repE0EEENS1_30default_config_static_selectorELNS0_4arch9wavefront6targetE1EEEvT1_.num_vgpr, 0
	.set _ZN7rocprim17ROCPRIM_400000_NS6detail17trampoline_kernelINS0_14default_configENS1_25transform_config_selectorIlLb0EEEZNS1_14transform_implILb0ES3_S5_NS0_18transform_iteratorINS0_17counting_iteratorImlEEZNS1_24adjacent_difference_implIS3_Lb1ELb0EPlSB_N6thrust23THRUST_200600_302600_NS5minusIlEEEE10hipError_tPvRmT2_T3_mT4_P12ihipStream_tbEUlmE_lEESB_NS0_8identityIvEEEESG_SJ_SK_mSL_SN_bEUlT_E_NS1_11comp_targetILNS1_3genE9ELNS1_11target_archE1100ELNS1_3gpuE3ELNS1_3repE0EEENS1_30default_config_static_selectorELNS0_4arch9wavefront6targetE1EEEvT1_.num_agpr, 0
	.set _ZN7rocprim17ROCPRIM_400000_NS6detail17trampoline_kernelINS0_14default_configENS1_25transform_config_selectorIlLb0EEEZNS1_14transform_implILb0ES3_S5_NS0_18transform_iteratorINS0_17counting_iteratorImlEEZNS1_24adjacent_difference_implIS3_Lb1ELb0EPlSB_N6thrust23THRUST_200600_302600_NS5minusIlEEEE10hipError_tPvRmT2_T3_mT4_P12ihipStream_tbEUlmE_lEESB_NS0_8identityIvEEEESG_SJ_SK_mSL_SN_bEUlT_E_NS1_11comp_targetILNS1_3genE9ELNS1_11target_archE1100ELNS1_3gpuE3ELNS1_3repE0EEENS1_30default_config_static_selectorELNS0_4arch9wavefront6targetE1EEEvT1_.numbered_sgpr, 0
	.set _ZN7rocprim17ROCPRIM_400000_NS6detail17trampoline_kernelINS0_14default_configENS1_25transform_config_selectorIlLb0EEEZNS1_14transform_implILb0ES3_S5_NS0_18transform_iteratorINS0_17counting_iteratorImlEEZNS1_24adjacent_difference_implIS3_Lb1ELb0EPlSB_N6thrust23THRUST_200600_302600_NS5minusIlEEEE10hipError_tPvRmT2_T3_mT4_P12ihipStream_tbEUlmE_lEESB_NS0_8identityIvEEEESG_SJ_SK_mSL_SN_bEUlT_E_NS1_11comp_targetILNS1_3genE9ELNS1_11target_archE1100ELNS1_3gpuE3ELNS1_3repE0EEENS1_30default_config_static_selectorELNS0_4arch9wavefront6targetE1EEEvT1_.num_named_barrier, 0
	.set _ZN7rocprim17ROCPRIM_400000_NS6detail17trampoline_kernelINS0_14default_configENS1_25transform_config_selectorIlLb0EEEZNS1_14transform_implILb0ES3_S5_NS0_18transform_iteratorINS0_17counting_iteratorImlEEZNS1_24adjacent_difference_implIS3_Lb1ELb0EPlSB_N6thrust23THRUST_200600_302600_NS5minusIlEEEE10hipError_tPvRmT2_T3_mT4_P12ihipStream_tbEUlmE_lEESB_NS0_8identityIvEEEESG_SJ_SK_mSL_SN_bEUlT_E_NS1_11comp_targetILNS1_3genE9ELNS1_11target_archE1100ELNS1_3gpuE3ELNS1_3repE0EEENS1_30default_config_static_selectorELNS0_4arch9wavefront6targetE1EEEvT1_.private_seg_size, 0
	.set _ZN7rocprim17ROCPRIM_400000_NS6detail17trampoline_kernelINS0_14default_configENS1_25transform_config_selectorIlLb0EEEZNS1_14transform_implILb0ES3_S5_NS0_18transform_iteratorINS0_17counting_iteratorImlEEZNS1_24adjacent_difference_implIS3_Lb1ELb0EPlSB_N6thrust23THRUST_200600_302600_NS5minusIlEEEE10hipError_tPvRmT2_T3_mT4_P12ihipStream_tbEUlmE_lEESB_NS0_8identityIvEEEESG_SJ_SK_mSL_SN_bEUlT_E_NS1_11comp_targetILNS1_3genE9ELNS1_11target_archE1100ELNS1_3gpuE3ELNS1_3repE0EEENS1_30default_config_static_selectorELNS0_4arch9wavefront6targetE1EEEvT1_.uses_vcc, 0
	.set _ZN7rocprim17ROCPRIM_400000_NS6detail17trampoline_kernelINS0_14default_configENS1_25transform_config_selectorIlLb0EEEZNS1_14transform_implILb0ES3_S5_NS0_18transform_iteratorINS0_17counting_iteratorImlEEZNS1_24adjacent_difference_implIS3_Lb1ELb0EPlSB_N6thrust23THRUST_200600_302600_NS5minusIlEEEE10hipError_tPvRmT2_T3_mT4_P12ihipStream_tbEUlmE_lEESB_NS0_8identityIvEEEESG_SJ_SK_mSL_SN_bEUlT_E_NS1_11comp_targetILNS1_3genE9ELNS1_11target_archE1100ELNS1_3gpuE3ELNS1_3repE0EEENS1_30default_config_static_selectorELNS0_4arch9wavefront6targetE1EEEvT1_.uses_flat_scratch, 0
	.set _ZN7rocprim17ROCPRIM_400000_NS6detail17trampoline_kernelINS0_14default_configENS1_25transform_config_selectorIlLb0EEEZNS1_14transform_implILb0ES3_S5_NS0_18transform_iteratorINS0_17counting_iteratorImlEEZNS1_24adjacent_difference_implIS3_Lb1ELb0EPlSB_N6thrust23THRUST_200600_302600_NS5minusIlEEEE10hipError_tPvRmT2_T3_mT4_P12ihipStream_tbEUlmE_lEESB_NS0_8identityIvEEEESG_SJ_SK_mSL_SN_bEUlT_E_NS1_11comp_targetILNS1_3genE9ELNS1_11target_archE1100ELNS1_3gpuE3ELNS1_3repE0EEENS1_30default_config_static_selectorELNS0_4arch9wavefront6targetE1EEEvT1_.has_dyn_sized_stack, 0
	.set _ZN7rocprim17ROCPRIM_400000_NS6detail17trampoline_kernelINS0_14default_configENS1_25transform_config_selectorIlLb0EEEZNS1_14transform_implILb0ES3_S5_NS0_18transform_iteratorINS0_17counting_iteratorImlEEZNS1_24adjacent_difference_implIS3_Lb1ELb0EPlSB_N6thrust23THRUST_200600_302600_NS5minusIlEEEE10hipError_tPvRmT2_T3_mT4_P12ihipStream_tbEUlmE_lEESB_NS0_8identityIvEEEESG_SJ_SK_mSL_SN_bEUlT_E_NS1_11comp_targetILNS1_3genE9ELNS1_11target_archE1100ELNS1_3gpuE3ELNS1_3repE0EEENS1_30default_config_static_selectorELNS0_4arch9wavefront6targetE1EEEvT1_.has_recursion, 0
	.set _ZN7rocprim17ROCPRIM_400000_NS6detail17trampoline_kernelINS0_14default_configENS1_25transform_config_selectorIlLb0EEEZNS1_14transform_implILb0ES3_S5_NS0_18transform_iteratorINS0_17counting_iteratorImlEEZNS1_24adjacent_difference_implIS3_Lb1ELb0EPlSB_N6thrust23THRUST_200600_302600_NS5minusIlEEEE10hipError_tPvRmT2_T3_mT4_P12ihipStream_tbEUlmE_lEESB_NS0_8identityIvEEEESG_SJ_SK_mSL_SN_bEUlT_E_NS1_11comp_targetILNS1_3genE9ELNS1_11target_archE1100ELNS1_3gpuE3ELNS1_3repE0EEENS1_30default_config_static_selectorELNS0_4arch9wavefront6targetE1EEEvT1_.has_indirect_call, 0
	.section	.AMDGPU.csdata,"",@progbits
; Kernel info:
; codeLenInByte = 0
; TotalNumSgprs: 6
; NumVgprs: 0
; NumAgprs: 0
; TotalNumVgprs: 0
; ScratchSize: 0
; MemoryBound: 0
; FloatMode: 240
; IeeeMode: 1
; LDSByteSize: 0 bytes/workgroup (compile time only)
; SGPRBlocks: 0
; VGPRBlocks: 0
; NumSGPRsForWavesPerEU: 6
; NumVGPRsForWavesPerEU: 1
; AccumOffset: 4
; Occupancy: 8
; WaveLimiterHint : 0
; COMPUTE_PGM_RSRC2:SCRATCH_EN: 0
; COMPUTE_PGM_RSRC2:USER_SGPR: 2
; COMPUTE_PGM_RSRC2:TRAP_HANDLER: 0
; COMPUTE_PGM_RSRC2:TGID_X_EN: 1
; COMPUTE_PGM_RSRC2:TGID_Y_EN: 0
; COMPUTE_PGM_RSRC2:TGID_Z_EN: 0
; COMPUTE_PGM_RSRC2:TIDIG_COMP_CNT: 0
; COMPUTE_PGM_RSRC3_GFX90A:ACCUM_OFFSET: 0
; COMPUTE_PGM_RSRC3_GFX90A:TG_SPLIT: 0
	.section	.text._ZN7rocprim17ROCPRIM_400000_NS6detail17trampoline_kernelINS0_14default_configENS1_25transform_config_selectorIlLb0EEEZNS1_14transform_implILb0ES3_S5_NS0_18transform_iteratorINS0_17counting_iteratorImlEEZNS1_24adjacent_difference_implIS3_Lb1ELb0EPlSB_N6thrust23THRUST_200600_302600_NS5minusIlEEEE10hipError_tPvRmT2_T3_mT4_P12ihipStream_tbEUlmE_lEESB_NS0_8identityIvEEEESG_SJ_SK_mSL_SN_bEUlT_E_NS1_11comp_targetILNS1_3genE8ELNS1_11target_archE1030ELNS1_3gpuE2ELNS1_3repE0EEENS1_30default_config_static_selectorELNS0_4arch9wavefront6targetE1EEEvT1_,"axG",@progbits,_ZN7rocprim17ROCPRIM_400000_NS6detail17trampoline_kernelINS0_14default_configENS1_25transform_config_selectorIlLb0EEEZNS1_14transform_implILb0ES3_S5_NS0_18transform_iteratorINS0_17counting_iteratorImlEEZNS1_24adjacent_difference_implIS3_Lb1ELb0EPlSB_N6thrust23THRUST_200600_302600_NS5minusIlEEEE10hipError_tPvRmT2_T3_mT4_P12ihipStream_tbEUlmE_lEESB_NS0_8identityIvEEEESG_SJ_SK_mSL_SN_bEUlT_E_NS1_11comp_targetILNS1_3genE8ELNS1_11target_archE1030ELNS1_3gpuE2ELNS1_3repE0EEENS1_30default_config_static_selectorELNS0_4arch9wavefront6targetE1EEEvT1_,comdat
	.protected	_ZN7rocprim17ROCPRIM_400000_NS6detail17trampoline_kernelINS0_14default_configENS1_25transform_config_selectorIlLb0EEEZNS1_14transform_implILb0ES3_S5_NS0_18transform_iteratorINS0_17counting_iteratorImlEEZNS1_24adjacent_difference_implIS3_Lb1ELb0EPlSB_N6thrust23THRUST_200600_302600_NS5minusIlEEEE10hipError_tPvRmT2_T3_mT4_P12ihipStream_tbEUlmE_lEESB_NS0_8identityIvEEEESG_SJ_SK_mSL_SN_bEUlT_E_NS1_11comp_targetILNS1_3genE8ELNS1_11target_archE1030ELNS1_3gpuE2ELNS1_3repE0EEENS1_30default_config_static_selectorELNS0_4arch9wavefront6targetE1EEEvT1_ ; -- Begin function _ZN7rocprim17ROCPRIM_400000_NS6detail17trampoline_kernelINS0_14default_configENS1_25transform_config_selectorIlLb0EEEZNS1_14transform_implILb0ES3_S5_NS0_18transform_iteratorINS0_17counting_iteratorImlEEZNS1_24adjacent_difference_implIS3_Lb1ELb0EPlSB_N6thrust23THRUST_200600_302600_NS5minusIlEEEE10hipError_tPvRmT2_T3_mT4_P12ihipStream_tbEUlmE_lEESB_NS0_8identityIvEEEESG_SJ_SK_mSL_SN_bEUlT_E_NS1_11comp_targetILNS1_3genE8ELNS1_11target_archE1030ELNS1_3gpuE2ELNS1_3repE0EEENS1_30default_config_static_selectorELNS0_4arch9wavefront6targetE1EEEvT1_
	.globl	_ZN7rocprim17ROCPRIM_400000_NS6detail17trampoline_kernelINS0_14default_configENS1_25transform_config_selectorIlLb0EEEZNS1_14transform_implILb0ES3_S5_NS0_18transform_iteratorINS0_17counting_iteratorImlEEZNS1_24adjacent_difference_implIS3_Lb1ELb0EPlSB_N6thrust23THRUST_200600_302600_NS5minusIlEEEE10hipError_tPvRmT2_T3_mT4_P12ihipStream_tbEUlmE_lEESB_NS0_8identityIvEEEESG_SJ_SK_mSL_SN_bEUlT_E_NS1_11comp_targetILNS1_3genE8ELNS1_11target_archE1030ELNS1_3gpuE2ELNS1_3repE0EEENS1_30default_config_static_selectorELNS0_4arch9wavefront6targetE1EEEvT1_
	.p2align	8
	.type	_ZN7rocprim17ROCPRIM_400000_NS6detail17trampoline_kernelINS0_14default_configENS1_25transform_config_selectorIlLb0EEEZNS1_14transform_implILb0ES3_S5_NS0_18transform_iteratorINS0_17counting_iteratorImlEEZNS1_24adjacent_difference_implIS3_Lb1ELb0EPlSB_N6thrust23THRUST_200600_302600_NS5minusIlEEEE10hipError_tPvRmT2_T3_mT4_P12ihipStream_tbEUlmE_lEESB_NS0_8identityIvEEEESG_SJ_SK_mSL_SN_bEUlT_E_NS1_11comp_targetILNS1_3genE8ELNS1_11target_archE1030ELNS1_3gpuE2ELNS1_3repE0EEENS1_30default_config_static_selectorELNS0_4arch9wavefront6targetE1EEEvT1_,@function
_ZN7rocprim17ROCPRIM_400000_NS6detail17trampoline_kernelINS0_14default_configENS1_25transform_config_selectorIlLb0EEEZNS1_14transform_implILb0ES3_S5_NS0_18transform_iteratorINS0_17counting_iteratorImlEEZNS1_24adjacent_difference_implIS3_Lb1ELb0EPlSB_N6thrust23THRUST_200600_302600_NS5minusIlEEEE10hipError_tPvRmT2_T3_mT4_P12ihipStream_tbEUlmE_lEESB_NS0_8identityIvEEEESG_SJ_SK_mSL_SN_bEUlT_E_NS1_11comp_targetILNS1_3genE8ELNS1_11target_archE1030ELNS1_3gpuE2ELNS1_3repE0EEENS1_30default_config_static_selectorELNS0_4arch9wavefront6targetE1EEEvT1_: ; @_ZN7rocprim17ROCPRIM_400000_NS6detail17trampoline_kernelINS0_14default_configENS1_25transform_config_selectorIlLb0EEEZNS1_14transform_implILb0ES3_S5_NS0_18transform_iteratorINS0_17counting_iteratorImlEEZNS1_24adjacent_difference_implIS3_Lb1ELb0EPlSB_N6thrust23THRUST_200600_302600_NS5minusIlEEEE10hipError_tPvRmT2_T3_mT4_P12ihipStream_tbEUlmE_lEESB_NS0_8identityIvEEEESG_SJ_SK_mSL_SN_bEUlT_E_NS1_11comp_targetILNS1_3genE8ELNS1_11target_archE1030ELNS1_3gpuE2ELNS1_3repE0EEENS1_30default_config_static_selectorELNS0_4arch9wavefront6targetE1EEEvT1_
; %bb.0:
	.section	.rodata,"a",@progbits
	.p2align	6, 0x0
	.amdhsa_kernel _ZN7rocprim17ROCPRIM_400000_NS6detail17trampoline_kernelINS0_14default_configENS1_25transform_config_selectorIlLb0EEEZNS1_14transform_implILb0ES3_S5_NS0_18transform_iteratorINS0_17counting_iteratorImlEEZNS1_24adjacent_difference_implIS3_Lb1ELb0EPlSB_N6thrust23THRUST_200600_302600_NS5minusIlEEEE10hipError_tPvRmT2_T3_mT4_P12ihipStream_tbEUlmE_lEESB_NS0_8identityIvEEEESG_SJ_SK_mSL_SN_bEUlT_E_NS1_11comp_targetILNS1_3genE8ELNS1_11target_archE1030ELNS1_3gpuE2ELNS1_3repE0EEENS1_30default_config_static_selectorELNS0_4arch9wavefront6targetE1EEEvT1_
		.amdhsa_group_segment_fixed_size 0
		.amdhsa_private_segment_fixed_size 0
		.amdhsa_kernarg_size 56
		.amdhsa_user_sgpr_count 2
		.amdhsa_user_sgpr_dispatch_ptr 0
		.amdhsa_user_sgpr_queue_ptr 0
		.amdhsa_user_sgpr_kernarg_segment_ptr 1
		.amdhsa_user_sgpr_dispatch_id 0
		.amdhsa_user_sgpr_kernarg_preload_length 0
		.amdhsa_user_sgpr_kernarg_preload_offset 0
		.amdhsa_user_sgpr_private_segment_size 0
		.amdhsa_uses_dynamic_stack 0
		.amdhsa_enable_private_segment 0
		.amdhsa_system_sgpr_workgroup_id_x 1
		.amdhsa_system_sgpr_workgroup_id_y 0
		.amdhsa_system_sgpr_workgroup_id_z 0
		.amdhsa_system_sgpr_workgroup_info 0
		.amdhsa_system_vgpr_workitem_id 0
		.amdhsa_next_free_vgpr 1
		.amdhsa_next_free_sgpr 0
		.amdhsa_accum_offset 4
		.amdhsa_reserve_vcc 0
		.amdhsa_float_round_mode_32 0
		.amdhsa_float_round_mode_16_64 0
		.amdhsa_float_denorm_mode_32 3
		.amdhsa_float_denorm_mode_16_64 3
		.amdhsa_dx10_clamp 1
		.amdhsa_ieee_mode 1
		.amdhsa_fp16_overflow 0
		.amdhsa_tg_split 0
		.amdhsa_exception_fp_ieee_invalid_op 0
		.amdhsa_exception_fp_denorm_src 0
		.amdhsa_exception_fp_ieee_div_zero 0
		.amdhsa_exception_fp_ieee_overflow 0
		.amdhsa_exception_fp_ieee_underflow 0
		.amdhsa_exception_fp_ieee_inexact 0
		.amdhsa_exception_int_div_zero 0
	.end_amdhsa_kernel
	.section	.text._ZN7rocprim17ROCPRIM_400000_NS6detail17trampoline_kernelINS0_14default_configENS1_25transform_config_selectorIlLb0EEEZNS1_14transform_implILb0ES3_S5_NS0_18transform_iteratorINS0_17counting_iteratorImlEEZNS1_24adjacent_difference_implIS3_Lb1ELb0EPlSB_N6thrust23THRUST_200600_302600_NS5minusIlEEEE10hipError_tPvRmT2_T3_mT4_P12ihipStream_tbEUlmE_lEESB_NS0_8identityIvEEEESG_SJ_SK_mSL_SN_bEUlT_E_NS1_11comp_targetILNS1_3genE8ELNS1_11target_archE1030ELNS1_3gpuE2ELNS1_3repE0EEENS1_30default_config_static_selectorELNS0_4arch9wavefront6targetE1EEEvT1_,"axG",@progbits,_ZN7rocprim17ROCPRIM_400000_NS6detail17trampoline_kernelINS0_14default_configENS1_25transform_config_selectorIlLb0EEEZNS1_14transform_implILb0ES3_S5_NS0_18transform_iteratorINS0_17counting_iteratorImlEEZNS1_24adjacent_difference_implIS3_Lb1ELb0EPlSB_N6thrust23THRUST_200600_302600_NS5minusIlEEEE10hipError_tPvRmT2_T3_mT4_P12ihipStream_tbEUlmE_lEESB_NS0_8identityIvEEEESG_SJ_SK_mSL_SN_bEUlT_E_NS1_11comp_targetILNS1_3genE8ELNS1_11target_archE1030ELNS1_3gpuE2ELNS1_3repE0EEENS1_30default_config_static_selectorELNS0_4arch9wavefront6targetE1EEEvT1_,comdat
.Lfunc_end252:
	.size	_ZN7rocprim17ROCPRIM_400000_NS6detail17trampoline_kernelINS0_14default_configENS1_25transform_config_selectorIlLb0EEEZNS1_14transform_implILb0ES3_S5_NS0_18transform_iteratorINS0_17counting_iteratorImlEEZNS1_24adjacent_difference_implIS3_Lb1ELb0EPlSB_N6thrust23THRUST_200600_302600_NS5minusIlEEEE10hipError_tPvRmT2_T3_mT4_P12ihipStream_tbEUlmE_lEESB_NS0_8identityIvEEEESG_SJ_SK_mSL_SN_bEUlT_E_NS1_11comp_targetILNS1_3genE8ELNS1_11target_archE1030ELNS1_3gpuE2ELNS1_3repE0EEENS1_30default_config_static_selectorELNS0_4arch9wavefront6targetE1EEEvT1_, .Lfunc_end252-_ZN7rocprim17ROCPRIM_400000_NS6detail17trampoline_kernelINS0_14default_configENS1_25transform_config_selectorIlLb0EEEZNS1_14transform_implILb0ES3_S5_NS0_18transform_iteratorINS0_17counting_iteratorImlEEZNS1_24adjacent_difference_implIS3_Lb1ELb0EPlSB_N6thrust23THRUST_200600_302600_NS5minusIlEEEE10hipError_tPvRmT2_T3_mT4_P12ihipStream_tbEUlmE_lEESB_NS0_8identityIvEEEESG_SJ_SK_mSL_SN_bEUlT_E_NS1_11comp_targetILNS1_3genE8ELNS1_11target_archE1030ELNS1_3gpuE2ELNS1_3repE0EEENS1_30default_config_static_selectorELNS0_4arch9wavefront6targetE1EEEvT1_
                                        ; -- End function
	.set _ZN7rocprim17ROCPRIM_400000_NS6detail17trampoline_kernelINS0_14default_configENS1_25transform_config_selectorIlLb0EEEZNS1_14transform_implILb0ES3_S5_NS0_18transform_iteratorINS0_17counting_iteratorImlEEZNS1_24adjacent_difference_implIS3_Lb1ELb0EPlSB_N6thrust23THRUST_200600_302600_NS5minusIlEEEE10hipError_tPvRmT2_T3_mT4_P12ihipStream_tbEUlmE_lEESB_NS0_8identityIvEEEESG_SJ_SK_mSL_SN_bEUlT_E_NS1_11comp_targetILNS1_3genE8ELNS1_11target_archE1030ELNS1_3gpuE2ELNS1_3repE0EEENS1_30default_config_static_selectorELNS0_4arch9wavefront6targetE1EEEvT1_.num_vgpr, 0
	.set _ZN7rocprim17ROCPRIM_400000_NS6detail17trampoline_kernelINS0_14default_configENS1_25transform_config_selectorIlLb0EEEZNS1_14transform_implILb0ES3_S5_NS0_18transform_iteratorINS0_17counting_iteratorImlEEZNS1_24adjacent_difference_implIS3_Lb1ELb0EPlSB_N6thrust23THRUST_200600_302600_NS5minusIlEEEE10hipError_tPvRmT2_T3_mT4_P12ihipStream_tbEUlmE_lEESB_NS0_8identityIvEEEESG_SJ_SK_mSL_SN_bEUlT_E_NS1_11comp_targetILNS1_3genE8ELNS1_11target_archE1030ELNS1_3gpuE2ELNS1_3repE0EEENS1_30default_config_static_selectorELNS0_4arch9wavefront6targetE1EEEvT1_.num_agpr, 0
	.set _ZN7rocprim17ROCPRIM_400000_NS6detail17trampoline_kernelINS0_14default_configENS1_25transform_config_selectorIlLb0EEEZNS1_14transform_implILb0ES3_S5_NS0_18transform_iteratorINS0_17counting_iteratorImlEEZNS1_24adjacent_difference_implIS3_Lb1ELb0EPlSB_N6thrust23THRUST_200600_302600_NS5minusIlEEEE10hipError_tPvRmT2_T3_mT4_P12ihipStream_tbEUlmE_lEESB_NS0_8identityIvEEEESG_SJ_SK_mSL_SN_bEUlT_E_NS1_11comp_targetILNS1_3genE8ELNS1_11target_archE1030ELNS1_3gpuE2ELNS1_3repE0EEENS1_30default_config_static_selectorELNS0_4arch9wavefront6targetE1EEEvT1_.numbered_sgpr, 0
	.set _ZN7rocprim17ROCPRIM_400000_NS6detail17trampoline_kernelINS0_14default_configENS1_25transform_config_selectorIlLb0EEEZNS1_14transform_implILb0ES3_S5_NS0_18transform_iteratorINS0_17counting_iteratorImlEEZNS1_24adjacent_difference_implIS3_Lb1ELb0EPlSB_N6thrust23THRUST_200600_302600_NS5minusIlEEEE10hipError_tPvRmT2_T3_mT4_P12ihipStream_tbEUlmE_lEESB_NS0_8identityIvEEEESG_SJ_SK_mSL_SN_bEUlT_E_NS1_11comp_targetILNS1_3genE8ELNS1_11target_archE1030ELNS1_3gpuE2ELNS1_3repE0EEENS1_30default_config_static_selectorELNS0_4arch9wavefront6targetE1EEEvT1_.num_named_barrier, 0
	.set _ZN7rocprim17ROCPRIM_400000_NS6detail17trampoline_kernelINS0_14default_configENS1_25transform_config_selectorIlLb0EEEZNS1_14transform_implILb0ES3_S5_NS0_18transform_iteratorINS0_17counting_iteratorImlEEZNS1_24adjacent_difference_implIS3_Lb1ELb0EPlSB_N6thrust23THRUST_200600_302600_NS5minusIlEEEE10hipError_tPvRmT2_T3_mT4_P12ihipStream_tbEUlmE_lEESB_NS0_8identityIvEEEESG_SJ_SK_mSL_SN_bEUlT_E_NS1_11comp_targetILNS1_3genE8ELNS1_11target_archE1030ELNS1_3gpuE2ELNS1_3repE0EEENS1_30default_config_static_selectorELNS0_4arch9wavefront6targetE1EEEvT1_.private_seg_size, 0
	.set _ZN7rocprim17ROCPRIM_400000_NS6detail17trampoline_kernelINS0_14default_configENS1_25transform_config_selectorIlLb0EEEZNS1_14transform_implILb0ES3_S5_NS0_18transform_iteratorINS0_17counting_iteratorImlEEZNS1_24adjacent_difference_implIS3_Lb1ELb0EPlSB_N6thrust23THRUST_200600_302600_NS5minusIlEEEE10hipError_tPvRmT2_T3_mT4_P12ihipStream_tbEUlmE_lEESB_NS0_8identityIvEEEESG_SJ_SK_mSL_SN_bEUlT_E_NS1_11comp_targetILNS1_3genE8ELNS1_11target_archE1030ELNS1_3gpuE2ELNS1_3repE0EEENS1_30default_config_static_selectorELNS0_4arch9wavefront6targetE1EEEvT1_.uses_vcc, 0
	.set _ZN7rocprim17ROCPRIM_400000_NS6detail17trampoline_kernelINS0_14default_configENS1_25transform_config_selectorIlLb0EEEZNS1_14transform_implILb0ES3_S5_NS0_18transform_iteratorINS0_17counting_iteratorImlEEZNS1_24adjacent_difference_implIS3_Lb1ELb0EPlSB_N6thrust23THRUST_200600_302600_NS5minusIlEEEE10hipError_tPvRmT2_T3_mT4_P12ihipStream_tbEUlmE_lEESB_NS0_8identityIvEEEESG_SJ_SK_mSL_SN_bEUlT_E_NS1_11comp_targetILNS1_3genE8ELNS1_11target_archE1030ELNS1_3gpuE2ELNS1_3repE0EEENS1_30default_config_static_selectorELNS0_4arch9wavefront6targetE1EEEvT1_.uses_flat_scratch, 0
	.set _ZN7rocprim17ROCPRIM_400000_NS6detail17trampoline_kernelINS0_14default_configENS1_25transform_config_selectorIlLb0EEEZNS1_14transform_implILb0ES3_S5_NS0_18transform_iteratorINS0_17counting_iteratorImlEEZNS1_24adjacent_difference_implIS3_Lb1ELb0EPlSB_N6thrust23THRUST_200600_302600_NS5minusIlEEEE10hipError_tPvRmT2_T3_mT4_P12ihipStream_tbEUlmE_lEESB_NS0_8identityIvEEEESG_SJ_SK_mSL_SN_bEUlT_E_NS1_11comp_targetILNS1_3genE8ELNS1_11target_archE1030ELNS1_3gpuE2ELNS1_3repE0EEENS1_30default_config_static_selectorELNS0_4arch9wavefront6targetE1EEEvT1_.has_dyn_sized_stack, 0
	.set _ZN7rocprim17ROCPRIM_400000_NS6detail17trampoline_kernelINS0_14default_configENS1_25transform_config_selectorIlLb0EEEZNS1_14transform_implILb0ES3_S5_NS0_18transform_iteratorINS0_17counting_iteratorImlEEZNS1_24adjacent_difference_implIS3_Lb1ELb0EPlSB_N6thrust23THRUST_200600_302600_NS5minusIlEEEE10hipError_tPvRmT2_T3_mT4_P12ihipStream_tbEUlmE_lEESB_NS0_8identityIvEEEESG_SJ_SK_mSL_SN_bEUlT_E_NS1_11comp_targetILNS1_3genE8ELNS1_11target_archE1030ELNS1_3gpuE2ELNS1_3repE0EEENS1_30default_config_static_selectorELNS0_4arch9wavefront6targetE1EEEvT1_.has_recursion, 0
	.set _ZN7rocprim17ROCPRIM_400000_NS6detail17trampoline_kernelINS0_14default_configENS1_25transform_config_selectorIlLb0EEEZNS1_14transform_implILb0ES3_S5_NS0_18transform_iteratorINS0_17counting_iteratorImlEEZNS1_24adjacent_difference_implIS3_Lb1ELb0EPlSB_N6thrust23THRUST_200600_302600_NS5minusIlEEEE10hipError_tPvRmT2_T3_mT4_P12ihipStream_tbEUlmE_lEESB_NS0_8identityIvEEEESG_SJ_SK_mSL_SN_bEUlT_E_NS1_11comp_targetILNS1_3genE8ELNS1_11target_archE1030ELNS1_3gpuE2ELNS1_3repE0EEENS1_30default_config_static_selectorELNS0_4arch9wavefront6targetE1EEEvT1_.has_indirect_call, 0
	.section	.AMDGPU.csdata,"",@progbits
; Kernel info:
; codeLenInByte = 0
; TotalNumSgprs: 6
; NumVgprs: 0
; NumAgprs: 0
; TotalNumVgprs: 0
; ScratchSize: 0
; MemoryBound: 0
; FloatMode: 240
; IeeeMode: 1
; LDSByteSize: 0 bytes/workgroup (compile time only)
; SGPRBlocks: 0
; VGPRBlocks: 0
; NumSGPRsForWavesPerEU: 6
; NumVGPRsForWavesPerEU: 1
; AccumOffset: 4
; Occupancy: 8
; WaveLimiterHint : 0
; COMPUTE_PGM_RSRC2:SCRATCH_EN: 0
; COMPUTE_PGM_RSRC2:USER_SGPR: 2
; COMPUTE_PGM_RSRC2:TRAP_HANDLER: 0
; COMPUTE_PGM_RSRC2:TGID_X_EN: 1
; COMPUTE_PGM_RSRC2:TGID_Y_EN: 0
; COMPUTE_PGM_RSRC2:TGID_Z_EN: 0
; COMPUTE_PGM_RSRC2:TIDIG_COMP_CNT: 0
; COMPUTE_PGM_RSRC3_GFX90A:ACCUM_OFFSET: 0
; COMPUTE_PGM_RSRC3_GFX90A:TG_SPLIT: 0
	.section	.text._ZN7rocprim17ROCPRIM_400000_NS6detail17trampoline_kernelINS0_14default_configENS1_35adjacent_difference_config_selectorILb1ElEEZNS1_24adjacent_difference_implIS3_Lb1ELb0EPlS7_N6thrust23THRUST_200600_302600_NS5minusIlEEEE10hipError_tPvRmT2_T3_mT4_P12ihipStream_tbEUlT_E_NS1_11comp_targetILNS1_3genE0ELNS1_11target_archE4294967295ELNS1_3gpuE0ELNS1_3repE0EEENS1_30default_config_static_selectorELNS0_4arch9wavefront6targetE1EEEvT1_,"axG",@progbits,_ZN7rocprim17ROCPRIM_400000_NS6detail17trampoline_kernelINS0_14default_configENS1_35adjacent_difference_config_selectorILb1ElEEZNS1_24adjacent_difference_implIS3_Lb1ELb0EPlS7_N6thrust23THRUST_200600_302600_NS5minusIlEEEE10hipError_tPvRmT2_T3_mT4_P12ihipStream_tbEUlT_E_NS1_11comp_targetILNS1_3genE0ELNS1_11target_archE4294967295ELNS1_3gpuE0ELNS1_3repE0EEENS1_30default_config_static_selectorELNS0_4arch9wavefront6targetE1EEEvT1_,comdat
	.protected	_ZN7rocprim17ROCPRIM_400000_NS6detail17trampoline_kernelINS0_14default_configENS1_35adjacent_difference_config_selectorILb1ElEEZNS1_24adjacent_difference_implIS3_Lb1ELb0EPlS7_N6thrust23THRUST_200600_302600_NS5minusIlEEEE10hipError_tPvRmT2_T3_mT4_P12ihipStream_tbEUlT_E_NS1_11comp_targetILNS1_3genE0ELNS1_11target_archE4294967295ELNS1_3gpuE0ELNS1_3repE0EEENS1_30default_config_static_selectorELNS0_4arch9wavefront6targetE1EEEvT1_ ; -- Begin function _ZN7rocprim17ROCPRIM_400000_NS6detail17trampoline_kernelINS0_14default_configENS1_35adjacent_difference_config_selectorILb1ElEEZNS1_24adjacent_difference_implIS3_Lb1ELb0EPlS7_N6thrust23THRUST_200600_302600_NS5minusIlEEEE10hipError_tPvRmT2_T3_mT4_P12ihipStream_tbEUlT_E_NS1_11comp_targetILNS1_3genE0ELNS1_11target_archE4294967295ELNS1_3gpuE0ELNS1_3repE0EEENS1_30default_config_static_selectorELNS0_4arch9wavefront6targetE1EEEvT1_
	.globl	_ZN7rocprim17ROCPRIM_400000_NS6detail17trampoline_kernelINS0_14default_configENS1_35adjacent_difference_config_selectorILb1ElEEZNS1_24adjacent_difference_implIS3_Lb1ELb0EPlS7_N6thrust23THRUST_200600_302600_NS5minusIlEEEE10hipError_tPvRmT2_T3_mT4_P12ihipStream_tbEUlT_E_NS1_11comp_targetILNS1_3genE0ELNS1_11target_archE4294967295ELNS1_3gpuE0ELNS1_3repE0EEENS1_30default_config_static_selectorELNS0_4arch9wavefront6targetE1EEEvT1_
	.p2align	8
	.type	_ZN7rocprim17ROCPRIM_400000_NS6detail17trampoline_kernelINS0_14default_configENS1_35adjacent_difference_config_selectorILb1ElEEZNS1_24adjacent_difference_implIS3_Lb1ELb0EPlS7_N6thrust23THRUST_200600_302600_NS5minusIlEEEE10hipError_tPvRmT2_T3_mT4_P12ihipStream_tbEUlT_E_NS1_11comp_targetILNS1_3genE0ELNS1_11target_archE4294967295ELNS1_3gpuE0ELNS1_3repE0EEENS1_30default_config_static_selectorELNS0_4arch9wavefront6targetE1EEEvT1_,@function
_ZN7rocprim17ROCPRIM_400000_NS6detail17trampoline_kernelINS0_14default_configENS1_35adjacent_difference_config_selectorILb1ElEEZNS1_24adjacent_difference_implIS3_Lb1ELb0EPlS7_N6thrust23THRUST_200600_302600_NS5minusIlEEEE10hipError_tPvRmT2_T3_mT4_P12ihipStream_tbEUlT_E_NS1_11comp_targetILNS1_3genE0ELNS1_11target_archE4294967295ELNS1_3gpuE0ELNS1_3repE0EEENS1_30default_config_static_selectorELNS0_4arch9wavefront6targetE1EEEvT1_: ; @_ZN7rocprim17ROCPRIM_400000_NS6detail17trampoline_kernelINS0_14default_configENS1_35adjacent_difference_config_selectorILb1ElEEZNS1_24adjacent_difference_implIS3_Lb1ELb0EPlS7_N6thrust23THRUST_200600_302600_NS5minusIlEEEE10hipError_tPvRmT2_T3_mT4_P12ihipStream_tbEUlT_E_NS1_11comp_targetILNS1_3genE0ELNS1_11target_archE4294967295ELNS1_3gpuE0ELNS1_3repE0EEENS1_30default_config_static_selectorELNS0_4arch9wavefront6targetE1EEEvT1_
; %bb.0:
	s_load_dwordx8 s[4:11], s[0:1], 0x0
	s_load_dwordx4 s[12:15], s[0:1], 0x28
	s_mov_b32 s21, 0
	s_mov_b64 s[22:23], -1
	s_waitcnt lgkmcnt(0)
	s_lshl_b64 s[6:7], s[6:7], 3
	s_add_u32 s26, s4, s6
	s_addc_u32 s27, s5, s7
	s_lshl_b32 s4, s2, 10
	s_lshr_b64 s[0:1], s[10:11], 10
	s_and_b32 s20, s10, 0x3ff
	s_cmp_lg_u64 s[20:21], 0
	s_cselect_b64 s[16:17], -1, 0
	v_cndmask_b32_e64 v1, 0, 1, s[16:17]
	s_mov_b32 s20, s2
	v_readfirstlane_b32 s3, v1
	s_add_u32 s18, s0, s3
	s_addc_u32 s19, s1, 0
	s_add_u32 s2, s14, s2
	s_addc_u32 s3, s15, 0
	s_add_u32 s16, s18, -1
	s_addc_u32 s17, s19, -1
	v_mov_b64_e32 v[2:3], s[16:17]
	v_cmp_ge_u64_e64 s[0:1], s[2:3], v[2:3]
	s_and_b64 vcc, exec, s[0:1]
	s_cbranch_vccz .LBB253_6
; %bb.1:
	s_lshl_b32 s5, s16, 10
	s_sub_i32 s11, s10, s5
	s_mov_b32 s5, s21
	s_lshl_b64 s[22:23], s[4:5], 3
	s_add_u32 s22, s26, s22
	v_mov_b32_e32 v2, 0
	s_addc_u32 s23, s27, s23
	v_cmp_gt_u32_e32 vcc, s11, v0
	v_mov_b32_e32 v3, v2
	v_mov_b32_e32 v4, v2
	;; [unrolled: 1-line block ×3, first 2 shown]
	s_and_saveexec_b64 s[24:25], vcc
	s_cbranch_execz .LBB253_3
; %bb.2:
	v_lshlrev_b32_e32 v1, 3, v0
	global_load_dwordx2 v[4:5], v1, s[22:23]
	v_mov_b32_e32 v6, v2
	v_mov_b32_e32 v7, v2
	s_waitcnt vmcnt(0)
	v_mov_b64_e32 v[2:3], v[4:5]
	v_mov_b64_e32 v[4:5], v[6:7]
.LBB253_3:
	s_or_b64 exec, exec, s[24:25]
	v_or_b32_e32 v1, 0x200, v0
	v_cmp_gt_u32_e32 vcc, s11, v1
	s_and_saveexec_b64 s[24:25], vcc
	s_cbranch_execz .LBB253_5
; %bb.4:
	v_lshlrev_b32_e32 v4, 3, v1
	global_load_dwordx2 v[4:5], v4, s[22:23]
.LBB253_5:
	s_or_b64 exec, exec, s[24:25]
	v_lshrrev_b32_e32 v6, 2, v0
	v_lshrrev_b32_e32 v1, 2, v1
	v_and_b32_e32 v6, 0x78, v6
	v_lshlrev_b32_e32 v7, 3, v0
	v_and_b32_e32 v1, 0xf8, v1
	v_add_u32_e32 v6, v6, v7
	v_add_u32_e32 v1, v1, v7
	s_mov_b64 s[22:23], 0
	ds_write_b64 v6, v[2:3]
	s_waitcnt vmcnt(0)
	ds_write_b64 v1, v[4:5] offset:4096
	s_waitcnt lgkmcnt(0)
	s_barrier
.LBB253_6:
	s_and_b64 vcc, exec, s[22:23]
	v_lshlrev_b32_e32 v6, 3, v0
	v_lshrrev_b32_e32 v1, 2, v0
	s_cbranch_vccz .LBB253_8
; %bb.7:
	s_mov_b32 s5, 0
	s_lshl_b64 s[22:23], s[4:5], 3
	s_add_u32 s22, s26, s22
	s_addc_u32 s23, s27, s23
	v_mov_b32_e32 v7, 0
	v_lshl_add_u64 v[2:3], s[22:23], 0, v[6:7]
	v_add_co_u32_e32 v2, vcc, 0x1000, v2
	s_nop 1
	v_addc_co_u32_e32 v3, vcc, 0, v3, vcc
	global_load_dwordx2 v[4:5], v6, s[22:23]
	global_load_dwordx2 v[8:9], v[2:3], off
	v_or_b32_e32 v3, 0x200, v0
	v_and_b32_e32 v2, 0x78, v1
	v_lshrrev_b32_e32 v3, 2, v3
	v_add_u32_e32 v2, v2, v6
	v_and_b32_e32 v3, 0xf8, v3
	v_add_u32_e32 v3, v3, v6
	s_waitcnt vmcnt(1)
	ds_write_b64 v2, v[4:5]
	s_waitcnt vmcnt(0)
	ds_write_b64 v3, v[8:9] offset:4096
	s_waitcnt lgkmcnt(0)
	s_barrier
.LBB253_8:
	v_lshrrev_b32_e32 v12, 1, v0
	v_and_b32_e32 v2, 0xf8, v12
	v_lshl_add_u32 v2, v0, 4, v2
	ds_read2_b64 v[2:5], v2 offset1:1
	s_cmp_eq_u64 s[2:3], 0
	s_waitcnt lgkmcnt(0)
	s_barrier
	s_cbranch_scc1 .LBB253_13
; %bb.9:
	s_lshl_b64 s[14:15], s[14:15], 3
	s_add_u32 s5, s12, s14
	s_addc_u32 s11, s13, s15
	s_lshl_b64 s[12:13], s[20:21], 3
	s_add_u32 s5, s5, s12
	s_addc_u32 s11, s11, s13
	s_add_u32 s12, s5, -8
	s_addc_u32 s13, s11, -1
	s_load_dwordx2 s[12:13], s[12:13], 0x0
	s_cmp_eq_u64 s[2:3], s[16:17]
	s_cbranch_scc1 .LBB253_14
; %bb.10:
	v_sub_co_u32_e32 v8, vcc, v4, v2
	s_waitcnt lgkmcnt(0)
	v_mov_b64_e32 v[10:11], s[12:13]
	v_subb_co_u32_e32 v9, vcc, v5, v3, vcc
	v_cmp_ne_u32_e32 vcc, 0, v0
	ds_write_b64 v6, v[4:5]
	s_waitcnt lgkmcnt(0)
	s_barrier
	s_and_saveexec_b64 s[14:15], vcc
; %bb.11:
	v_add_u32_e32 v7, -8, v6
	ds_read_b64 v[10:11], v7
; %bb.12:
	s_or_b64 exec, exec, s[14:15]
	s_cbranch_execz .LBB253_15
	s_branch .LBB253_18
.LBB253_13:
	s_mov_b64 s[12:13], 0
                                        ; implicit-def: $vgpr10_vgpr11
                                        ; implicit-def: $vgpr8_vgpr9
	s_branch .LBB253_19
.LBB253_14:
                                        ; implicit-def: $vgpr8_vgpr9
                                        ; implicit-def: $vgpr10_vgpr11
.LBB253_15:
	s_lshl_b32 s2, s2, 10
	v_lshlrev_b32_e32 v7, 1, v0
	s_sub_i32 s5, s10, s2
	v_or_b32_e32 v8, 1, v7
	v_cmp_gt_u32_e32 vcc, s5, v8
	s_waitcnt lgkmcnt(0)
	v_mov_b64_e32 v[10:11], s[12:13]
	ds_write_b64 v6, v[4:5]
	v_cndmask_b32_e32 v8, 0, v2, vcc
	v_cndmask_b32_e32 v9, 0, v3, vcc
	v_sub_co_u32_e32 v8, vcc, v4, v8
	s_waitcnt lgkmcnt(0)
	s_nop 0
	v_subb_co_u32_e32 v9, vcc, v5, v9, vcc
	v_cmp_ne_u32_e32 vcc, 0, v0
	s_barrier
	s_and_saveexec_b64 s[2:3], vcc
; %bb.16:
	v_add_u32_e32 v10, -8, v6
	ds_read_b64 v[10:11], v10
; %bb.17:
	s_or_b64 exec, exec, s[2:3]
	v_cmp_gt_u32_e32 vcc, s5, v7
	s_waitcnt lgkmcnt(0)
	s_nop 0
	v_cndmask_b32_e32 v11, 0, v11, vcc
	v_cndmask_b32_e32 v10, 0, v10, vcc
.LBB253_18:
	s_waitcnt lgkmcnt(0)
	s_mov_b64 s[12:13], -1
	s_cbranch_execnz .LBB253_27
.LBB253_19:
	s_cmp_lg_u64 s[18:19], 1
	v_cmp_ne_u32_e32 vcc, 0, v0
	s_cbranch_scc0 .LBB253_23
; %bb.20:
	v_sub_co_u32_e64 v8, s[2:3], v4, v2
	ds_write_b64 v6, v[4:5]
	s_nop 0
	v_subb_co_u32_e64 v9, s[2:3], v5, v3, s[2:3]
	s_waitcnt lgkmcnt(0)
	s_barrier
                                        ; implicit-def: $vgpr10_vgpr11
	s_and_saveexec_b64 s[2:3], vcc
; %bb.21:
	v_add_u32_e32 v7, -8, v6
	ds_read_b64 v[10:11], v7
	s_or_b64 s[12:13], s[12:13], exec
; %bb.22:
	s_or_b64 exec, exec, s[2:3]
	s_branch .LBB253_27
.LBB253_23:
                                        ; implicit-def: $vgpr8_vgpr9
                                        ; implicit-def: $vgpr10_vgpr11
	s_cbranch_execz .LBB253_27
; %bb.24:
	v_lshlrev_b32_e32 v7, 1, v0
	v_or_b32_e32 v8, 1, v7
	v_cmp_gt_u32_e32 vcc, s10, v8
	v_cmp_gt_u32_e64 s[2:3], s10, v7
	ds_write_b64 v6, v[4:5]
	v_cndmask_b32_e32 v8, 0, v2, vcc
	v_cndmask_b32_e32 v9, 0, v3, vcc
	v_sub_co_u32_e32 v8, vcc, v4, v8
	s_waitcnt lgkmcnt(0)
	s_nop 0
	v_subb_co_u32_e32 v9, vcc, v5, v9, vcc
	v_cmp_ne_u32_e32 vcc, 0, v0
	s_and_b64 s[14:15], vcc, s[2:3]
	s_barrier
                                        ; implicit-def: $vgpr10_vgpr11
	s_and_saveexec_b64 s[2:3], s[14:15]
; %bb.25:
	v_add_u32_e32 v4, -8, v6
	ds_read_b64 v[10:11], v4
	s_or_b64 s[12:13], s[12:13], exec
; %bb.26:
	s_or_b64 exec, exec, s[2:3]
.LBB253_27:
	s_and_saveexec_b64 s[2:3], s[12:13]
	s_cbranch_execz .LBB253_29
; %bb.28:
	s_waitcnt lgkmcnt(0)
	v_sub_co_u32_e32 v2, vcc, v2, v10
	s_nop 1
	v_subb_co_u32_e32 v3, vcc, v3, v11, vcc
.LBB253_29:
	s_or_b64 exec, exec, s[2:3]
	s_add_u32 s6, s8, s6
	s_addc_u32 s7, s9, s7
	s_and_b64 vcc, exec, s[0:1]
	s_waitcnt lgkmcnt(0)
	s_barrier
	s_cbranch_vccz .LBB253_33
; %bb.30:
	v_and_b32_e32 v4, 0xf8, v12
	v_lshl_add_u32 v7, v0, 4, v4
	v_mov_b32_e32 v4, v8
	v_mov_b32_e32 v5, v9
	v_or_b32_e32 v13, 0x200, v0
	ds_write2_b64 v7, v[2:3], v[4:5] offset1:1
	v_lshrrev_b32_e32 v4, 2, v13
	v_and_b32_e32 v4, 0xf8, v4
	v_add_u32_e32 v4, v4, v6
	s_lshl_b32 s0, s16, 10
	s_mov_b32 s5, 0
	s_waitcnt lgkmcnt(0)
	s_barrier
	ds_read_b64 v[4:5], v4 offset:4096
	s_sub_i32 s2, s10, s0
	s_lshl_b64 s[0:1], s[4:5], 3
	s_add_u32 s0, s6, s0
	s_addc_u32 s1, s7, s1
	v_mov_b32_e32 v7, 0
	v_lshl_add_u64 v[10:11], s[0:1], 0, v[6:7]
	v_cmp_gt_u32_e32 vcc, s2, v0
	s_and_saveexec_b64 s[0:1], vcc
	s_cbranch_execz .LBB253_32
; %bb.31:
	v_and_b32_e32 v7, 0x78, v1
	v_lshl_add_u32 v7, v0, 3, v7
	ds_read_b64 v[14:15], v7
	s_waitcnt lgkmcnt(0)
	global_store_dwordx2 v[10:11], v[14:15], off
.LBB253_32:
	s_or_b64 exec, exec, s[0:1]
	v_cmp_gt_u32_e64 s[0:1], s2, v13
	s_branch .LBB253_35
.LBB253_33:
	s_mov_b64 s[0:1], 0
                                        ; implicit-def: $vgpr4_vgpr5
                                        ; implicit-def: $vgpr10_vgpr11
	s_cbranch_execz .LBB253_35
; %bb.34:
	s_waitcnt lgkmcnt(0)
	v_and_b32_e32 v4, 0xf8, v12
	v_lshl_add_u32 v4, v0, 4, v4
	v_or_b32_e32 v0, 0x200, v0
	v_lshrrev_b32_e32 v0, 2, v0
	v_and_b32_e32 v1, 0x78, v1
	v_and_b32_e32 v0, 0xf8, v0
	v_add_u32_e32 v1, v1, v6
	v_add_u32_e32 v0, v0, v6
	s_mov_b32 s5, 0
	ds_write2_b64 v4, v[2:3], v[8:9] offset1:1
	s_waitcnt lgkmcnt(0)
	s_barrier
	ds_read_b64 v[2:3], v1
	ds_read_b64 v[4:5], v0 offset:4096
	s_lshl_b64 s[2:3], s[4:5], 3
	s_add_u32 s2, s6, s2
	s_addc_u32 s3, s7, s3
	v_mov_b32_e32 v7, 0
	v_lshl_add_u64 v[10:11], s[2:3], 0, v[6:7]
	s_or_b64 s[0:1], s[0:1], exec
	s_waitcnt lgkmcnt(1)
	global_store_dwordx2 v6, v[2:3], s[2:3]
.LBB253_35:
	s_and_saveexec_b64 s[2:3], s[0:1]
	s_cbranch_execnz .LBB253_37
; %bb.36:
	s_endpgm
.LBB253_37:
	v_add_co_u32_e32 v0, vcc, 0x1000, v10
	s_nop 1
	v_addc_co_u32_e32 v1, vcc, 0, v11, vcc
	s_waitcnt lgkmcnt(0)
	global_store_dwordx2 v[0:1], v[4:5], off
	s_endpgm
	.section	.rodata,"a",@progbits
	.p2align	6, 0x0
	.amdhsa_kernel _ZN7rocprim17ROCPRIM_400000_NS6detail17trampoline_kernelINS0_14default_configENS1_35adjacent_difference_config_selectorILb1ElEEZNS1_24adjacent_difference_implIS3_Lb1ELb0EPlS7_N6thrust23THRUST_200600_302600_NS5minusIlEEEE10hipError_tPvRmT2_T3_mT4_P12ihipStream_tbEUlT_E_NS1_11comp_targetILNS1_3genE0ELNS1_11target_archE4294967295ELNS1_3gpuE0ELNS1_3repE0EEENS1_30default_config_static_selectorELNS0_4arch9wavefront6targetE1EEEvT1_
		.amdhsa_group_segment_fixed_size 8448
		.amdhsa_private_segment_fixed_size 0
		.amdhsa_kernarg_size 56
		.amdhsa_user_sgpr_count 2
		.amdhsa_user_sgpr_dispatch_ptr 0
		.amdhsa_user_sgpr_queue_ptr 0
		.amdhsa_user_sgpr_kernarg_segment_ptr 1
		.amdhsa_user_sgpr_dispatch_id 0
		.amdhsa_user_sgpr_kernarg_preload_length 0
		.amdhsa_user_sgpr_kernarg_preload_offset 0
		.amdhsa_user_sgpr_private_segment_size 0
		.amdhsa_uses_dynamic_stack 0
		.amdhsa_enable_private_segment 0
		.amdhsa_system_sgpr_workgroup_id_x 1
		.amdhsa_system_sgpr_workgroup_id_y 0
		.amdhsa_system_sgpr_workgroup_id_z 0
		.amdhsa_system_sgpr_workgroup_info 0
		.amdhsa_system_vgpr_workitem_id 0
		.amdhsa_next_free_vgpr 16
		.amdhsa_next_free_sgpr 28
		.amdhsa_accum_offset 16
		.amdhsa_reserve_vcc 1
		.amdhsa_float_round_mode_32 0
		.amdhsa_float_round_mode_16_64 0
		.amdhsa_float_denorm_mode_32 3
		.amdhsa_float_denorm_mode_16_64 3
		.amdhsa_dx10_clamp 1
		.amdhsa_ieee_mode 1
		.amdhsa_fp16_overflow 0
		.amdhsa_tg_split 0
		.amdhsa_exception_fp_ieee_invalid_op 0
		.amdhsa_exception_fp_denorm_src 0
		.amdhsa_exception_fp_ieee_div_zero 0
		.amdhsa_exception_fp_ieee_overflow 0
		.amdhsa_exception_fp_ieee_underflow 0
		.amdhsa_exception_fp_ieee_inexact 0
		.amdhsa_exception_int_div_zero 0
	.end_amdhsa_kernel
	.section	.text._ZN7rocprim17ROCPRIM_400000_NS6detail17trampoline_kernelINS0_14default_configENS1_35adjacent_difference_config_selectorILb1ElEEZNS1_24adjacent_difference_implIS3_Lb1ELb0EPlS7_N6thrust23THRUST_200600_302600_NS5minusIlEEEE10hipError_tPvRmT2_T3_mT4_P12ihipStream_tbEUlT_E_NS1_11comp_targetILNS1_3genE0ELNS1_11target_archE4294967295ELNS1_3gpuE0ELNS1_3repE0EEENS1_30default_config_static_selectorELNS0_4arch9wavefront6targetE1EEEvT1_,"axG",@progbits,_ZN7rocprim17ROCPRIM_400000_NS6detail17trampoline_kernelINS0_14default_configENS1_35adjacent_difference_config_selectorILb1ElEEZNS1_24adjacent_difference_implIS3_Lb1ELb0EPlS7_N6thrust23THRUST_200600_302600_NS5minusIlEEEE10hipError_tPvRmT2_T3_mT4_P12ihipStream_tbEUlT_E_NS1_11comp_targetILNS1_3genE0ELNS1_11target_archE4294967295ELNS1_3gpuE0ELNS1_3repE0EEENS1_30default_config_static_selectorELNS0_4arch9wavefront6targetE1EEEvT1_,comdat
.Lfunc_end253:
	.size	_ZN7rocprim17ROCPRIM_400000_NS6detail17trampoline_kernelINS0_14default_configENS1_35adjacent_difference_config_selectorILb1ElEEZNS1_24adjacent_difference_implIS3_Lb1ELb0EPlS7_N6thrust23THRUST_200600_302600_NS5minusIlEEEE10hipError_tPvRmT2_T3_mT4_P12ihipStream_tbEUlT_E_NS1_11comp_targetILNS1_3genE0ELNS1_11target_archE4294967295ELNS1_3gpuE0ELNS1_3repE0EEENS1_30default_config_static_selectorELNS0_4arch9wavefront6targetE1EEEvT1_, .Lfunc_end253-_ZN7rocprim17ROCPRIM_400000_NS6detail17trampoline_kernelINS0_14default_configENS1_35adjacent_difference_config_selectorILb1ElEEZNS1_24adjacent_difference_implIS3_Lb1ELb0EPlS7_N6thrust23THRUST_200600_302600_NS5minusIlEEEE10hipError_tPvRmT2_T3_mT4_P12ihipStream_tbEUlT_E_NS1_11comp_targetILNS1_3genE0ELNS1_11target_archE4294967295ELNS1_3gpuE0ELNS1_3repE0EEENS1_30default_config_static_selectorELNS0_4arch9wavefront6targetE1EEEvT1_
                                        ; -- End function
	.set _ZN7rocprim17ROCPRIM_400000_NS6detail17trampoline_kernelINS0_14default_configENS1_35adjacent_difference_config_selectorILb1ElEEZNS1_24adjacent_difference_implIS3_Lb1ELb0EPlS7_N6thrust23THRUST_200600_302600_NS5minusIlEEEE10hipError_tPvRmT2_T3_mT4_P12ihipStream_tbEUlT_E_NS1_11comp_targetILNS1_3genE0ELNS1_11target_archE4294967295ELNS1_3gpuE0ELNS1_3repE0EEENS1_30default_config_static_selectorELNS0_4arch9wavefront6targetE1EEEvT1_.num_vgpr, 16
	.set _ZN7rocprim17ROCPRIM_400000_NS6detail17trampoline_kernelINS0_14default_configENS1_35adjacent_difference_config_selectorILb1ElEEZNS1_24adjacent_difference_implIS3_Lb1ELb0EPlS7_N6thrust23THRUST_200600_302600_NS5minusIlEEEE10hipError_tPvRmT2_T3_mT4_P12ihipStream_tbEUlT_E_NS1_11comp_targetILNS1_3genE0ELNS1_11target_archE4294967295ELNS1_3gpuE0ELNS1_3repE0EEENS1_30default_config_static_selectorELNS0_4arch9wavefront6targetE1EEEvT1_.num_agpr, 0
	.set _ZN7rocprim17ROCPRIM_400000_NS6detail17trampoline_kernelINS0_14default_configENS1_35adjacent_difference_config_selectorILb1ElEEZNS1_24adjacent_difference_implIS3_Lb1ELb0EPlS7_N6thrust23THRUST_200600_302600_NS5minusIlEEEE10hipError_tPvRmT2_T3_mT4_P12ihipStream_tbEUlT_E_NS1_11comp_targetILNS1_3genE0ELNS1_11target_archE4294967295ELNS1_3gpuE0ELNS1_3repE0EEENS1_30default_config_static_selectorELNS0_4arch9wavefront6targetE1EEEvT1_.numbered_sgpr, 28
	.set _ZN7rocprim17ROCPRIM_400000_NS6detail17trampoline_kernelINS0_14default_configENS1_35adjacent_difference_config_selectorILb1ElEEZNS1_24adjacent_difference_implIS3_Lb1ELb0EPlS7_N6thrust23THRUST_200600_302600_NS5minusIlEEEE10hipError_tPvRmT2_T3_mT4_P12ihipStream_tbEUlT_E_NS1_11comp_targetILNS1_3genE0ELNS1_11target_archE4294967295ELNS1_3gpuE0ELNS1_3repE0EEENS1_30default_config_static_selectorELNS0_4arch9wavefront6targetE1EEEvT1_.num_named_barrier, 0
	.set _ZN7rocprim17ROCPRIM_400000_NS6detail17trampoline_kernelINS0_14default_configENS1_35adjacent_difference_config_selectorILb1ElEEZNS1_24adjacent_difference_implIS3_Lb1ELb0EPlS7_N6thrust23THRUST_200600_302600_NS5minusIlEEEE10hipError_tPvRmT2_T3_mT4_P12ihipStream_tbEUlT_E_NS1_11comp_targetILNS1_3genE0ELNS1_11target_archE4294967295ELNS1_3gpuE0ELNS1_3repE0EEENS1_30default_config_static_selectorELNS0_4arch9wavefront6targetE1EEEvT1_.private_seg_size, 0
	.set _ZN7rocprim17ROCPRIM_400000_NS6detail17trampoline_kernelINS0_14default_configENS1_35adjacent_difference_config_selectorILb1ElEEZNS1_24adjacent_difference_implIS3_Lb1ELb0EPlS7_N6thrust23THRUST_200600_302600_NS5minusIlEEEE10hipError_tPvRmT2_T3_mT4_P12ihipStream_tbEUlT_E_NS1_11comp_targetILNS1_3genE0ELNS1_11target_archE4294967295ELNS1_3gpuE0ELNS1_3repE0EEENS1_30default_config_static_selectorELNS0_4arch9wavefront6targetE1EEEvT1_.uses_vcc, 1
	.set _ZN7rocprim17ROCPRIM_400000_NS6detail17trampoline_kernelINS0_14default_configENS1_35adjacent_difference_config_selectorILb1ElEEZNS1_24adjacent_difference_implIS3_Lb1ELb0EPlS7_N6thrust23THRUST_200600_302600_NS5minusIlEEEE10hipError_tPvRmT2_T3_mT4_P12ihipStream_tbEUlT_E_NS1_11comp_targetILNS1_3genE0ELNS1_11target_archE4294967295ELNS1_3gpuE0ELNS1_3repE0EEENS1_30default_config_static_selectorELNS0_4arch9wavefront6targetE1EEEvT1_.uses_flat_scratch, 0
	.set _ZN7rocprim17ROCPRIM_400000_NS6detail17trampoline_kernelINS0_14default_configENS1_35adjacent_difference_config_selectorILb1ElEEZNS1_24adjacent_difference_implIS3_Lb1ELb0EPlS7_N6thrust23THRUST_200600_302600_NS5minusIlEEEE10hipError_tPvRmT2_T3_mT4_P12ihipStream_tbEUlT_E_NS1_11comp_targetILNS1_3genE0ELNS1_11target_archE4294967295ELNS1_3gpuE0ELNS1_3repE0EEENS1_30default_config_static_selectorELNS0_4arch9wavefront6targetE1EEEvT1_.has_dyn_sized_stack, 0
	.set _ZN7rocprim17ROCPRIM_400000_NS6detail17trampoline_kernelINS0_14default_configENS1_35adjacent_difference_config_selectorILb1ElEEZNS1_24adjacent_difference_implIS3_Lb1ELb0EPlS7_N6thrust23THRUST_200600_302600_NS5minusIlEEEE10hipError_tPvRmT2_T3_mT4_P12ihipStream_tbEUlT_E_NS1_11comp_targetILNS1_3genE0ELNS1_11target_archE4294967295ELNS1_3gpuE0ELNS1_3repE0EEENS1_30default_config_static_selectorELNS0_4arch9wavefront6targetE1EEEvT1_.has_recursion, 0
	.set _ZN7rocprim17ROCPRIM_400000_NS6detail17trampoline_kernelINS0_14default_configENS1_35adjacent_difference_config_selectorILb1ElEEZNS1_24adjacent_difference_implIS3_Lb1ELb0EPlS7_N6thrust23THRUST_200600_302600_NS5minusIlEEEE10hipError_tPvRmT2_T3_mT4_P12ihipStream_tbEUlT_E_NS1_11comp_targetILNS1_3genE0ELNS1_11target_archE4294967295ELNS1_3gpuE0ELNS1_3repE0EEENS1_30default_config_static_selectorELNS0_4arch9wavefront6targetE1EEEvT1_.has_indirect_call, 0
	.section	.AMDGPU.csdata,"",@progbits
; Kernel info:
; codeLenInByte = 1320
; TotalNumSgprs: 34
; NumVgprs: 16
; NumAgprs: 0
; TotalNumVgprs: 16
; ScratchSize: 0
; MemoryBound: 0
; FloatMode: 240
; IeeeMode: 1
; LDSByteSize: 8448 bytes/workgroup (compile time only)
; SGPRBlocks: 4
; VGPRBlocks: 1
; NumSGPRsForWavesPerEU: 34
; NumVGPRsForWavesPerEU: 16
; AccumOffset: 16
; Occupancy: 8
; WaveLimiterHint : 1
; COMPUTE_PGM_RSRC2:SCRATCH_EN: 0
; COMPUTE_PGM_RSRC2:USER_SGPR: 2
; COMPUTE_PGM_RSRC2:TRAP_HANDLER: 0
; COMPUTE_PGM_RSRC2:TGID_X_EN: 1
; COMPUTE_PGM_RSRC2:TGID_Y_EN: 0
; COMPUTE_PGM_RSRC2:TGID_Z_EN: 0
; COMPUTE_PGM_RSRC2:TIDIG_COMP_CNT: 0
; COMPUTE_PGM_RSRC3_GFX90A:ACCUM_OFFSET: 3
; COMPUTE_PGM_RSRC3_GFX90A:TG_SPLIT: 0
	.section	.text._ZN7rocprim17ROCPRIM_400000_NS6detail17trampoline_kernelINS0_14default_configENS1_35adjacent_difference_config_selectorILb1ElEEZNS1_24adjacent_difference_implIS3_Lb1ELb0EPlS7_N6thrust23THRUST_200600_302600_NS5minusIlEEEE10hipError_tPvRmT2_T3_mT4_P12ihipStream_tbEUlT_E_NS1_11comp_targetILNS1_3genE10ELNS1_11target_archE1201ELNS1_3gpuE5ELNS1_3repE0EEENS1_30default_config_static_selectorELNS0_4arch9wavefront6targetE1EEEvT1_,"axG",@progbits,_ZN7rocprim17ROCPRIM_400000_NS6detail17trampoline_kernelINS0_14default_configENS1_35adjacent_difference_config_selectorILb1ElEEZNS1_24adjacent_difference_implIS3_Lb1ELb0EPlS7_N6thrust23THRUST_200600_302600_NS5minusIlEEEE10hipError_tPvRmT2_T3_mT4_P12ihipStream_tbEUlT_E_NS1_11comp_targetILNS1_3genE10ELNS1_11target_archE1201ELNS1_3gpuE5ELNS1_3repE0EEENS1_30default_config_static_selectorELNS0_4arch9wavefront6targetE1EEEvT1_,comdat
	.protected	_ZN7rocprim17ROCPRIM_400000_NS6detail17trampoline_kernelINS0_14default_configENS1_35adjacent_difference_config_selectorILb1ElEEZNS1_24adjacent_difference_implIS3_Lb1ELb0EPlS7_N6thrust23THRUST_200600_302600_NS5minusIlEEEE10hipError_tPvRmT2_T3_mT4_P12ihipStream_tbEUlT_E_NS1_11comp_targetILNS1_3genE10ELNS1_11target_archE1201ELNS1_3gpuE5ELNS1_3repE0EEENS1_30default_config_static_selectorELNS0_4arch9wavefront6targetE1EEEvT1_ ; -- Begin function _ZN7rocprim17ROCPRIM_400000_NS6detail17trampoline_kernelINS0_14default_configENS1_35adjacent_difference_config_selectorILb1ElEEZNS1_24adjacent_difference_implIS3_Lb1ELb0EPlS7_N6thrust23THRUST_200600_302600_NS5minusIlEEEE10hipError_tPvRmT2_T3_mT4_P12ihipStream_tbEUlT_E_NS1_11comp_targetILNS1_3genE10ELNS1_11target_archE1201ELNS1_3gpuE5ELNS1_3repE0EEENS1_30default_config_static_selectorELNS0_4arch9wavefront6targetE1EEEvT1_
	.globl	_ZN7rocprim17ROCPRIM_400000_NS6detail17trampoline_kernelINS0_14default_configENS1_35adjacent_difference_config_selectorILb1ElEEZNS1_24adjacent_difference_implIS3_Lb1ELb0EPlS7_N6thrust23THRUST_200600_302600_NS5minusIlEEEE10hipError_tPvRmT2_T3_mT4_P12ihipStream_tbEUlT_E_NS1_11comp_targetILNS1_3genE10ELNS1_11target_archE1201ELNS1_3gpuE5ELNS1_3repE0EEENS1_30default_config_static_selectorELNS0_4arch9wavefront6targetE1EEEvT1_
	.p2align	8
	.type	_ZN7rocprim17ROCPRIM_400000_NS6detail17trampoline_kernelINS0_14default_configENS1_35adjacent_difference_config_selectorILb1ElEEZNS1_24adjacent_difference_implIS3_Lb1ELb0EPlS7_N6thrust23THRUST_200600_302600_NS5minusIlEEEE10hipError_tPvRmT2_T3_mT4_P12ihipStream_tbEUlT_E_NS1_11comp_targetILNS1_3genE10ELNS1_11target_archE1201ELNS1_3gpuE5ELNS1_3repE0EEENS1_30default_config_static_selectorELNS0_4arch9wavefront6targetE1EEEvT1_,@function
_ZN7rocprim17ROCPRIM_400000_NS6detail17trampoline_kernelINS0_14default_configENS1_35adjacent_difference_config_selectorILb1ElEEZNS1_24adjacent_difference_implIS3_Lb1ELb0EPlS7_N6thrust23THRUST_200600_302600_NS5minusIlEEEE10hipError_tPvRmT2_T3_mT4_P12ihipStream_tbEUlT_E_NS1_11comp_targetILNS1_3genE10ELNS1_11target_archE1201ELNS1_3gpuE5ELNS1_3repE0EEENS1_30default_config_static_selectorELNS0_4arch9wavefront6targetE1EEEvT1_: ; @_ZN7rocprim17ROCPRIM_400000_NS6detail17trampoline_kernelINS0_14default_configENS1_35adjacent_difference_config_selectorILb1ElEEZNS1_24adjacent_difference_implIS3_Lb1ELb0EPlS7_N6thrust23THRUST_200600_302600_NS5minusIlEEEE10hipError_tPvRmT2_T3_mT4_P12ihipStream_tbEUlT_E_NS1_11comp_targetILNS1_3genE10ELNS1_11target_archE1201ELNS1_3gpuE5ELNS1_3repE0EEENS1_30default_config_static_selectorELNS0_4arch9wavefront6targetE1EEEvT1_
; %bb.0:
	.section	.rodata,"a",@progbits
	.p2align	6, 0x0
	.amdhsa_kernel _ZN7rocprim17ROCPRIM_400000_NS6detail17trampoline_kernelINS0_14default_configENS1_35adjacent_difference_config_selectorILb1ElEEZNS1_24adjacent_difference_implIS3_Lb1ELb0EPlS7_N6thrust23THRUST_200600_302600_NS5minusIlEEEE10hipError_tPvRmT2_T3_mT4_P12ihipStream_tbEUlT_E_NS1_11comp_targetILNS1_3genE10ELNS1_11target_archE1201ELNS1_3gpuE5ELNS1_3repE0EEENS1_30default_config_static_selectorELNS0_4arch9wavefront6targetE1EEEvT1_
		.amdhsa_group_segment_fixed_size 0
		.amdhsa_private_segment_fixed_size 0
		.amdhsa_kernarg_size 56
		.amdhsa_user_sgpr_count 2
		.amdhsa_user_sgpr_dispatch_ptr 0
		.amdhsa_user_sgpr_queue_ptr 0
		.amdhsa_user_sgpr_kernarg_segment_ptr 1
		.amdhsa_user_sgpr_dispatch_id 0
		.amdhsa_user_sgpr_kernarg_preload_length 0
		.amdhsa_user_sgpr_kernarg_preload_offset 0
		.amdhsa_user_sgpr_private_segment_size 0
		.amdhsa_uses_dynamic_stack 0
		.amdhsa_enable_private_segment 0
		.amdhsa_system_sgpr_workgroup_id_x 1
		.amdhsa_system_sgpr_workgroup_id_y 0
		.amdhsa_system_sgpr_workgroup_id_z 0
		.amdhsa_system_sgpr_workgroup_info 0
		.amdhsa_system_vgpr_workitem_id 0
		.amdhsa_next_free_vgpr 1
		.amdhsa_next_free_sgpr 0
		.amdhsa_accum_offset 4
		.amdhsa_reserve_vcc 0
		.amdhsa_float_round_mode_32 0
		.amdhsa_float_round_mode_16_64 0
		.amdhsa_float_denorm_mode_32 3
		.amdhsa_float_denorm_mode_16_64 3
		.amdhsa_dx10_clamp 1
		.amdhsa_ieee_mode 1
		.amdhsa_fp16_overflow 0
		.amdhsa_tg_split 0
		.amdhsa_exception_fp_ieee_invalid_op 0
		.amdhsa_exception_fp_denorm_src 0
		.amdhsa_exception_fp_ieee_div_zero 0
		.amdhsa_exception_fp_ieee_overflow 0
		.amdhsa_exception_fp_ieee_underflow 0
		.amdhsa_exception_fp_ieee_inexact 0
		.amdhsa_exception_int_div_zero 0
	.end_amdhsa_kernel
	.section	.text._ZN7rocprim17ROCPRIM_400000_NS6detail17trampoline_kernelINS0_14default_configENS1_35adjacent_difference_config_selectorILb1ElEEZNS1_24adjacent_difference_implIS3_Lb1ELb0EPlS7_N6thrust23THRUST_200600_302600_NS5minusIlEEEE10hipError_tPvRmT2_T3_mT4_P12ihipStream_tbEUlT_E_NS1_11comp_targetILNS1_3genE10ELNS1_11target_archE1201ELNS1_3gpuE5ELNS1_3repE0EEENS1_30default_config_static_selectorELNS0_4arch9wavefront6targetE1EEEvT1_,"axG",@progbits,_ZN7rocprim17ROCPRIM_400000_NS6detail17trampoline_kernelINS0_14default_configENS1_35adjacent_difference_config_selectorILb1ElEEZNS1_24adjacent_difference_implIS3_Lb1ELb0EPlS7_N6thrust23THRUST_200600_302600_NS5minusIlEEEE10hipError_tPvRmT2_T3_mT4_P12ihipStream_tbEUlT_E_NS1_11comp_targetILNS1_3genE10ELNS1_11target_archE1201ELNS1_3gpuE5ELNS1_3repE0EEENS1_30default_config_static_selectorELNS0_4arch9wavefront6targetE1EEEvT1_,comdat
.Lfunc_end254:
	.size	_ZN7rocprim17ROCPRIM_400000_NS6detail17trampoline_kernelINS0_14default_configENS1_35adjacent_difference_config_selectorILb1ElEEZNS1_24adjacent_difference_implIS3_Lb1ELb0EPlS7_N6thrust23THRUST_200600_302600_NS5minusIlEEEE10hipError_tPvRmT2_T3_mT4_P12ihipStream_tbEUlT_E_NS1_11comp_targetILNS1_3genE10ELNS1_11target_archE1201ELNS1_3gpuE5ELNS1_3repE0EEENS1_30default_config_static_selectorELNS0_4arch9wavefront6targetE1EEEvT1_, .Lfunc_end254-_ZN7rocprim17ROCPRIM_400000_NS6detail17trampoline_kernelINS0_14default_configENS1_35adjacent_difference_config_selectorILb1ElEEZNS1_24adjacent_difference_implIS3_Lb1ELb0EPlS7_N6thrust23THRUST_200600_302600_NS5minusIlEEEE10hipError_tPvRmT2_T3_mT4_P12ihipStream_tbEUlT_E_NS1_11comp_targetILNS1_3genE10ELNS1_11target_archE1201ELNS1_3gpuE5ELNS1_3repE0EEENS1_30default_config_static_selectorELNS0_4arch9wavefront6targetE1EEEvT1_
                                        ; -- End function
	.set _ZN7rocprim17ROCPRIM_400000_NS6detail17trampoline_kernelINS0_14default_configENS1_35adjacent_difference_config_selectorILb1ElEEZNS1_24adjacent_difference_implIS3_Lb1ELb0EPlS7_N6thrust23THRUST_200600_302600_NS5minusIlEEEE10hipError_tPvRmT2_T3_mT4_P12ihipStream_tbEUlT_E_NS1_11comp_targetILNS1_3genE10ELNS1_11target_archE1201ELNS1_3gpuE5ELNS1_3repE0EEENS1_30default_config_static_selectorELNS0_4arch9wavefront6targetE1EEEvT1_.num_vgpr, 0
	.set _ZN7rocprim17ROCPRIM_400000_NS6detail17trampoline_kernelINS0_14default_configENS1_35adjacent_difference_config_selectorILb1ElEEZNS1_24adjacent_difference_implIS3_Lb1ELb0EPlS7_N6thrust23THRUST_200600_302600_NS5minusIlEEEE10hipError_tPvRmT2_T3_mT4_P12ihipStream_tbEUlT_E_NS1_11comp_targetILNS1_3genE10ELNS1_11target_archE1201ELNS1_3gpuE5ELNS1_3repE0EEENS1_30default_config_static_selectorELNS0_4arch9wavefront6targetE1EEEvT1_.num_agpr, 0
	.set _ZN7rocprim17ROCPRIM_400000_NS6detail17trampoline_kernelINS0_14default_configENS1_35adjacent_difference_config_selectorILb1ElEEZNS1_24adjacent_difference_implIS3_Lb1ELb0EPlS7_N6thrust23THRUST_200600_302600_NS5minusIlEEEE10hipError_tPvRmT2_T3_mT4_P12ihipStream_tbEUlT_E_NS1_11comp_targetILNS1_3genE10ELNS1_11target_archE1201ELNS1_3gpuE5ELNS1_3repE0EEENS1_30default_config_static_selectorELNS0_4arch9wavefront6targetE1EEEvT1_.numbered_sgpr, 0
	.set _ZN7rocprim17ROCPRIM_400000_NS6detail17trampoline_kernelINS0_14default_configENS1_35adjacent_difference_config_selectorILb1ElEEZNS1_24adjacent_difference_implIS3_Lb1ELb0EPlS7_N6thrust23THRUST_200600_302600_NS5minusIlEEEE10hipError_tPvRmT2_T3_mT4_P12ihipStream_tbEUlT_E_NS1_11comp_targetILNS1_3genE10ELNS1_11target_archE1201ELNS1_3gpuE5ELNS1_3repE0EEENS1_30default_config_static_selectorELNS0_4arch9wavefront6targetE1EEEvT1_.num_named_barrier, 0
	.set _ZN7rocprim17ROCPRIM_400000_NS6detail17trampoline_kernelINS0_14default_configENS1_35adjacent_difference_config_selectorILb1ElEEZNS1_24adjacent_difference_implIS3_Lb1ELb0EPlS7_N6thrust23THRUST_200600_302600_NS5minusIlEEEE10hipError_tPvRmT2_T3_mT4_P12ihipStream_tbEUlT_E_NS1_11comp_targetILNS1_3genE10ELNS1_11target_archE1201ELNS1_3gpuE5ELNS1_3repE0EEENS1_30default_config_static_selectorELNS0_4arch9wavefront6targetE1EEEvT1_.private_seg_size, 0
	.set _ZN7rocprim17ROCPRIM_400000_NS6detail17trampoline_kernelINS0_14default_configENS1_35adjacent_difference_config_selectorILb1ElEEZNS1_24adjacent_difference_implIS3_Lb1ELb0EPlS7_N6thrust23THRUST_200600_302600_NS5minusIlEEEE10hipError_tPvRmT2_T3_mT4_P12ihipStream_tbEUlT_E_NS1_11comp_targetILNS1_3genE10ELNS1_11target_archE1201ELNS1_3gpuE5ELNS1_3repE0EEENS1_30default_config_static_selectorELNS0_4arch9wavefront6targetE1EEEvT1_.uses_vcc, 0
	.set _ZN7rocprim17ROCPRIM_400000_NS6detail17trampoline_kernelINS0_14default_configENS1_35adjacent_difference_config_selectorILb1ElEEZNS1_24adjacent_difference_implIS3_Lb1ELb0EPlS7_N6thrust23THRUST_200600_302600_NS5minusIlEEEE10hipError_tPvRmT2_T3_mT4_P12ihipStream_tbEUlT_E_NS1_11comp_targetILNS1_3genE10ELNS1_11target_archE1201ELNS1_3gpuE5ELNS1_3repE0EEENS1_30default_config_static_selectorELNS0_4arch9wavefront6targetE1EEEvT1_.uses_flat_scratch, 0
	.set _ZN7rocprim17ROCPRIM_400000_NS6detail17trampoline_kernelINS0_14default_configENS1_35adjacent_difference_config_selectorILb1ElEEZNS1_24adjacent_difference_implIS3_Lb1ELb0EPlS7_N6thrust23THRUST_200600_302600_NS5minusIlEEEE10hipError_tPvRmT2_T3_mT4_P12ihipStream_tbEUlT_E_NS1_11comp_targetILNS1_3genE10ELNS1_11target_archE1201ELNS1_3gpuE5ELNS1_3repE0EEENS1_30default_config_static_selectorELNS0_4arch9wavefront6targetE1EEEvT1_.has_dyn_sized_stack, 0
	.set _ZN7rocprim17ROCPRIM_400000_NS6detail17trampoline_kernelINS0_14default_configENS1_35adjacent_difference_config_selectorILb1ElEEZNS1_24adjacent_difference_implIS3_Lb1ELb0EPlS7_N6thrust23THRUST_200600_302600_NS5minusIlEEEE10hipError_tPvRmT2_T3_mT4_P12ihipStream_tbEUlT_E_NS1_11comp_targetILNS1_3genE10ELNS1_11target_archE1201ELNS1_3gpuE5ELNS1_3repE0EEENS1_30default_config_static_selectorELNS0_4arch9wavefront6targetE1EEEvT1_.has_recursion, 0
	.set _ZN7rocprim17ROCPRIM_400000_NS6detail17trampoline_kernelINS0_14default_configENS1_35adjacent_difference_config_selectorILb1ElEEZNS1_24adjacent_difference_implIS3_Lb1ELb0EPlS7_N6thrust23THRUST_200600_302600_NS5minusIlEEEE10hipError_tPvRmT2_T3_mT4_P12ihipStream_tbEUlT_E_NS1_11comp_targetILNS1_3genE10ELNS1_11target_archE1201ELNS1_3gpuE5ELNS1_3repE0EEENS1_30default_config_static_selectorELNS0_4arch9wavefront6targetE1EEEvT1_.has_indirect_call, 0
	.section	.AMDGPU.csdata,"",@progbits
; Kernel info:
; codeLenInByte = 0
; TotalNumSgprs: 6
; NumVgprs: 0
; NumAgprs: 0
; TotalNumVgprs: 0
; ScratchSize: 0
; MemoryBound: 0
; FloatMode: 240
; IeeeMode: 1
; LDSByteSize: 0 bytes/workgroup (compile time only)
; SGPRBlocks: 0
; VGPRBlocks: 0
; NumSGPRsForWavesPerEU: 6
; NumVGPRsForWavesPerEU: 1
; AccumOffset: 4
; Occupancy: 8
; WaveLimiterHint : 0
; COMPUTE_PGM_RSRC2:SCRATCH_EN: 0
; COMPUTE_PGM_RSRC2:USER_SGPR: 2
; COMPUTE_PGM_RSRC2:TRAP_HANDLER: 0
; COMPUTE_PGM_RSRC2:TGID_X_EN: 1
; COMPUTE_PGM_RSRC2:TGID_Y_EN: 0
; COMPUTE_PGM_RSRC2:TGID_Z_EN: 0
; COMPUTE_PGM_RSRC2:TIDIG_COMP_CNT: 0
; COMPUTE_PGM_RSRC3_GFX90A:ACCUM_OFFSET: 0
; COMPUTE_PGM_RSRC3_GFX90A:TG_SPLIT: 0
	.section	.text._ZN7rocprim17ROCPRIM_400000_NS6detail17trampoline_kernelINS0_14default_configENS1_35adjacent_difference_config_selectorILb1ElEEZNS1_24adjacent_difference_implIS3_Lb1ELb0EPlS7_N6thrust23THRUST_200600_302600_NS5minusIlEEEE10hipError_tPvRmT2_T3_mT4_P12ihipStream_tbEUlT_E_NS1_11comp_targetILNS1_3genE5ELNS1_11target_archE942ELNS1_3gpuE9ELNS1_3repE0EEENS1_30default_config_static_selectorELNS0_4arch9wavefront6targetE1EEEvT1_,"axG",@progbits,_ZN7rocprim17ROCPRIM_400000_NS6detail17trampoline_kernelINS0_14default_configENS1_35adjacent_difference_config_selectorILb1ElEEZNS1_24adjacent_difference_implIS3_Lb1ELb0EPlS7_N6thrust23THRUST_200600_302600_NS5minusIlEEEE10hipError_tPvRmT2_T3_mT4_P12ihipStream_tbEUlT_E_NS1_11comp_targetILNS1_3genE5ELNS1_11target_archE942ELNS1_3gpuE9ELNS1_3repE0EEENS1_30default_config_static_selectorELNS0_4arch9wavefront6targetE1EEEvT1_,comdat
	.protected	_ZN7rocprim17ROCPRIM_400000_NS6detail17trampoline_kernelINS0_14default_configENS1_35adjacent_difference_config_selectorILb1ElEEZNS1_24adjacent_difference_implIS3_Lb1ELb0EPlS7_N6thrust23THRUST_200600_302600_NS5minusIlEEEE10hipError_tPvRmT2_T3_mT4_P12ihipStream_tbEUlT_E_NS1_11comp_targetILNS1_3genE5ELNS1_11target_archE942ELNS1_3gpuE9ELNS1_3repE0EEENS1_30default_config_static_selectorELNS0_4arch9wavefront6targetE1EEEvT1_ ; -- Begin function _ZN7rocprim17ROCPRIM_400000_NS6detail17trampoline_kernelINS0_14default_configENS1_35adjacent_difference_config_selectorILb1ElEEZNS1_24adjacent_difference_implIS3_Lb1ELb0EPlS7_N6thrust23THRUST_200600_302600_NS5minusIlEEEE10hipError_tPvRmT2_T3_mT4_P12ihipStream_tbEUlT_E_NS1_11comp_targetILNS1_3genE5ELNS1_11target_archE942ELNS1_3gpuE9ELNS1_3repE0EEENS1_30default_config_static_selectorELNS0_4arch9wavefront6targetE1EEEvT1_
	.globl	_ZN7rocprim17ROCPRIM_400000_NS6detail17trampoline_kernelINS0_14default_configENS1_35adjacent_difference_config_selectorILb1ElEEZNS1_24adjacent_difference_implIS3_Lb1ELb0EPlS7_N6thrust23THRUST_200600_302600_NS5minusIlEEEE10hipError_tPvRmT2_T3_mT4_P12ihipStream_tbEUlT_E_NS1_11comp_targetILNS1_3genE5ELNS1_11target_archE942ELNS1_3gpuE9ELNS1_3repE0EEENS1_30default_config_static_selectorELNS0_4arch9wavefront6targetE1EEEvT1_
	.p2align	8
	.type	_ZN7rocprim17ROCPRIM_400000_NS6detail17trampoline_kernelINS0_14default_configENS1_35adjacent_difference_config_selectorILb1ElEEZNS1_24adjacent_difference_implIS3_Lb1ELb0EPlS7_N6thrust23THRUST_200600_302600_NS5minusIlEEEE10hipError_tPvRmT2_T3_mT4_P12ihipStream_tbEUlT_E_NS1_11comp_targetILNS1_3genE5ELNS1_11target_archE942ELNS1_3gpuE9ELNS1_3repE0EEENS1_30default_config_static_selectorELNS0_4arch9wavefront6targetE1EEEvT1_,@function
_ZN7rocprim17ROCPRIM_400000_NS6detail17trampoline_kernelINS0_14default_configENS1_35adjacent_difference_config_selectorILb1ElEEZNS1_24adjacent_difference_implIS3_Lb1ELb0EPlS7_N6thrust23THRUST_200600_302600_NS5minusIlEEEE10hipError_tPvRmT2_T3_mT4_P12ihipStream_tbEUlT_E_NS1_11comp_targetILNS1_3genE5ELNS1_11target_archE942ELNS1_3gpuE9ELNS1_3repE0EEENS1_30default_config_static_selectorELNS0_4arch9wavefront6targetE1EEEvT1_: ; @_ZN7rocprim17ROCPRIM_400000_NS6detail17trampoline_kernelINS0_14default_configENS1_35adjacent_difference_config_selectorILb1ElEEZNS1_24adjacent_difference_implIS3_Lb1ELb0EPlS7_N6thrust23THRUST_200600_302600_NS5minusIlEEEE10hipError_tPvRmT2_T3_mT4_P12ihipStream_tbEUlT_E_NS1_11comp_targetILNS1_3genE5ELNS1_11target_archE942ELNS1_3gpuE9ELNS1_3repE0EEENS1_30default_config_static_selectorELNS0_4arch9wavefront6targetE1EEEvT1_
; %bb.0:
	.section	.rodata,"a",@progbits
	.p2align	6, 0x0
	.amdhsa_kernel _ZN7rocprim17ROCPRIM_400000_NS6detail17trampoline_kernelINS0_14default_configENS1_35adjacent_difference_config_selectorILb1ElEEZNS1_24adjacent_difference_implIS3_Lb1ELb0EPlS7_N6thrust23THRUST_200600_302600_NS5minusIlEEEE10hipError_tPvRmT2_T3_mT4_P12ihipStream_tbEUlT_E_NS1_11comp_targetILNS1_3genE5ELNS1_11target_archE942ELNS1_3gpuE9ELNS1_3repE0EEENS1_30default_config_static_selectorELNS0_4arch9wavefront6targetE1EEEvT1_
		.amdhsa_group_segment_fixed_size 0
		.amdhsa_private_segment_fixed_size 0
		.amdhsa_kernarg_size 56
		.amdhsa_user_sgpr_count 2
		.amdhsa_user_sgpr_dispatch_ptr 0
		.amdhsa_user_sgpr_queue_ptr 0
		.amdhsa_user_sgpr_kernarg_segment_ptr 1
		.amdhsa_user_sgpr_dispatch_id 0
		.amdhsa_user_sgpr_kernarg_preload_length 0
		.amdhsa_user_sgpr_kernarg_preload_offset 0
		.amdhsa_user_sgpr_private_segment_size 0
		.amdhsa_uses_dynamic_stack 0
		.amdhsa_enable_private_segment 0
		.amdhsa_system_sgpr_workgroup_id_x 1
		.amdhsa_system_sgpr_workgroup_id_y 0
		.amdhsa_system_sgpr_workgroup_id_z 0
		.amdhsa_system_sgpr_workgroup_info 0
		.amdhsa_system_vgpr_workitem_id 0
		.amdhsa_next_free_vgpr 1
		.amdhsa_next_free_sgpr 0
		.amdhsa_accum_offset 4
		.amdhsa_reserve_vcc 0
		.amdhsa_float_round_mode_32 0
		.amdhsa_float_round_mode_16_64 0
		.amdhsa_float_denorm_mode_32 3
		.amdhsa_float_denorm_mode_16_64 3
		.amdhsa_dx10_clamp 1
		.amdhsa_ieee_mode 1
		.amdhsa_fp16_overflow 0
		.amdhsa_tg_split 0
		.amdhsa_exception_fp_ieee_invalid_op 0
		.amdhsa_exception_fp_denorm_src 0
		.amdhsa_exception_fp_ieee_div_zero 0
		.amdhsa_exception_fp_ieee_overflow 0
		.amdhsa_exception_fp_ieee_underflow 0
		.amdhsa_exception_fp_ieee_inexact 0
		.amdhsa_exception_int_div_zero 0
	.end_amdhsa_kernel
	.section	.text._ZN7rocprim17ROCPRIM_400000_NS6detail17trampoline_kernelINS0_14default_configENS1_35adjacent_difference_config_selectorILb1ElEEZNS1_24adjacent_difference_implIS3_Lb1ELb0EPlS7_N6thrust23THRUST_200600_302600_NS5minusIlEEEE10hipError_tPvRmT2_T3_mT4_P12ihipStream_tbEUlT_E_NS1_11comp_targetILNS1_3genE5ELNS1_11target_archE942ELNS1_3gpuE9ELNS1_3repE0EEENS1_30default_config_static_selectorELNS0_4arch9wavefront6targetE1EEEvT1_,"axG",@progbits,_ZN7rocprim17ROCPRIM_400000_NS6detail17trampoline_kernelINS0_14default_configENS1_35adjacent_difference_config_selectorILb1ElEEZNS1_24adjacent_difference_implIS3_Lb1ELb0EPlS7_N6thrust23THRUST_200600_302600_NS5minusIlEEEE10hipError_tPvRmT2_T3_mT4_P12ihipStream_tbEUlT_E_NS1_11comp_targetILNS1_3genE5ELNS1_11target_archE942ELNS1_3gpuE9ELNS1_3repE0EEENS1_30default_config_static_selectorELNS0_4arch9wavefront6targetE1EEEvT1_,comdat
.Lfunc_end255:
	.size	_ZN7rocprim17ROCPRIM_400000_NS6detail17trampoline_kernelINS0_14default_configENS1_35adjacent_difference_config_selectorILb1ElEEZNS1_24adjacent_difference_implIS3_Lb1ELb0EPlS7_N6thrust23THRUST_200600_302600_NS5minusIlEEEE10hipError_tPvRmT2_T3_mT4_P12ihipStream_tbEUlT_E_NS1_11comp_targetILNS1_3genE5ELNS1_11target_archE942ELNS1_3gpuE9ELNS1_3repE0EEENS1_30default_config_static_selectorELNS0_4arch9wavefront6targetE1EEEvT1_, .Lfunc_end255-_ZN7rocprim17ROCPRIM_400000_NS6detail17trampoline_kernelINS0_14default_configENS1_35adjacent_difference_config_selectorILb1ElEEZNS1_24adjacent_difference_implIS3_Lb1ELb0EPlS7_N6thrust23THRUST_200600_302600_NS5minusIlEEEE10hipError_tPvRmT2_T3_mT4_P12ihipStream_tbEUlT_E_NS1_11comp_targetILNS1_3genE5ELNS1_11target_archE942ELNS1_3gpuE9ELNS1_3repE0EEENS1_30default_config_static_selectorELNS0_4arch9wavefront6targetE1EEEvT1_
                                        ; -- End function
	.set _ZN7rocprim17ROCPRIM_400000_NS6detail17trampoline_kernelINS0_14default_configENS1_35adjacent_difference_config_selectorILb1ElEEZNS1_24adjacent_difference_implIS3_Lb1ELb0EPlS7_N6thrust23THRUST_200600_302600_NS5minusIlEEEE10hipError_tPvRmT2_T3_mT4_P12ihipStream_tbEUlT_E_NS1_11comp_targetILNS1_3genE5ELNS1_11target_archE942ELNS1_3gpuE9ELNS1_3repE0EEENS1_30default_config_static_selectorELNS0_4arch9wavefront6targetE1EEEvT1_.num_vgpr, 0
	.set _ZN7rocprim17ROCPRIM_400000_NS6detail17trampoline_kernelINS0_14default_configENS1_35adjacent_difference_config_selectorILb1ElEEZNS1_24adjacent_difference_implIS3_Lb1ELb0EPlS7_N6thrust23THRUST_200600_302600_NS5minusIlEEEE10hipError_tPvRmT2_T3_mT4_P12ihipStream_tbEUlT_E_NS1_11comp_targetILNS1_3genE5ELNS1_11target_archE942ELNS1_3gpuE9ELNS1_3repE0EEENS1_30default_config_static_selectorELNS0_4arch9wavefront6targetE1EEEvT1_.num_agpr, 0
	.set _ZN7rocprim17ROCPRIM_400000_NS6detail17trampoline_kernelINS0_14default_configENS1_35adjacent_difference_config_selectorILb1ElEEZNS1_24adjacent_difference_implIS3_Lb1ELb0EPlS7_N6thrust23THRUST_200600_302600_NS5minusIlEEEE10hipError_tPvRmT2_T3_mT4_P12ihipStream_tbEUlT_E_NS1_11comp_targetILNS1_3genE5ELNS1_11target_archE942ELNS1_3gpuE9ELNS1_3repE0EEENS1_30default_config_static_selectorELNS0_4arch9wavefront6targetE1EEEvT1_.numbered_sgpr, 0
	.set _ZN7rocprim17ROCPRIM_400000_NS6detail17trampoline_kernelINS0_14default_configENS1_35adjacent_difference_config_selectorILb1ElEEZNS1_24adjacent_difference_implIS3_Lb1ELb0EPlS7_N6thrust23THRUST_200600_302600_NS5minusIlEEEE10hipError_tPvRmT2_T3_mT4_P12ihipStream_tbEUlT_E_NS1_11comp_targetILNS1_3genE5ELNS1_11target_archE942ELNS1_3gpuE9ELNS1_3repE0EEENS1_30default_config_static_selectorELNS0_4arch9wavefront6targetE1EEEvT1_.num_named_barrier, 0
	.set _ZN7rocprim17ROCPRIM_400000_NS6detail17trampoline_kernelINS0_14default_configENS1_35adjacent_difference_config_selectorILb1ElEEZNS1_24adjacent_difference_implIS3_Lb1ELb0EPlS7_N6thrust23THRUST_200600_302600_NS5minusIlEEEE10hipError_tPvRmT2_T3_mT4_P12ihipStream_tbEUlT_E_NS1_11comp_targetILNS1_3genE5ELNS1_11target_archE942ELNS1_3gpuE9ELNS1_3repE0EEENS1_30default_config_static_selectorELNS0_4arch9wavefront6targetE1EEEvT1_.private_seg_size, 0
	.set _ZN7rocprim17ROCPRIM_400000_NS6detail17trampoline_kernelINS0_14default_configENS1_35adjacent_difference_config_selectorILb1ElEEZNS1_24adjacent_difference_implIS3_Lb1ELb0EPlS7_N6thrust23THRUST_200600_302600_NS5minusIlEEEE10hipError_tPvRmT2_T3_mT4_P12ihipStream_tbEUlT_E_NS1_11comp_targetILNS1_3genE5ELNS1_11target_archE942ELNS1_3gpuE9ELNS1_3repE0EEENS1_30default_config_static_selectorELNS0_4arch9wavefront6targetE1EEEvT1_.uses_vcc, 0
	.set _ZN7rocprim17ROCPRIM_400000_NS6detail17trampoline_kernelINS0_14default_configENS1_35adjacent_difference_config_selectorILb1ElEEZNS1_24adjacent_difference_implIS3_Lb1ELb0EPlS7_N6thrust23THRUST_200600_302600_NS5minusIlEEEE10hipError_tPvRmT2_T3_mT4_P12ihipStream_tbEUlT_E_NS1_11comp_targetILNS1_3genE5ELNS1_11target_archE942ELNS1_3gpuE9ELNS1_3repE0EEENS1_30default_config_static_selectorELNS0_4arch9wavefront6targetE1EEEvT1_.uses_flat_scratch, 0
	.set _ZN7rocprim17ROCPRIM_400000_NS6detail17trampoline_kernelINS0_14default_configENS1_35adjacent_difference_config_selectorILb1ElEEZNS1_24adjacent_difference_implIS3_Lb1ELb0EPlS7_N6thrust23THRUST_200600_302600_NS5minusIlEEEE10hipError_tPvRmT2_T3_mT4_P12ihipStream_tbEUlT_E_NS1_11comp_targetILNS1_3genE5ELNS1_11target_archE942ELNS1_3gpuE9ELNS1_3repE0EEENS1_30default_config_static_selectorELNS0_4arch9wavefront6targetE1EEEvT1_.has_dyn_sized_stack, 0
	.set _ZN7rocprim17ROCPRIM_400000_NS6detail17trampoline_kernelINS0_14default_configENS1_35adjacent_difference_config_selectorILb1ElEEZNS1_24adjacent_difference_implIS3_Lb1ELb0EPlS7_N6thrust23THRUST_200600_302600_NS5minusIlEEEE10hipError_tPvRmT2_T3_mT4_P12ihipStream_tbEUlT_E_NS1_11comp_targetILNS1_3genE5ELNS1_11target_archE942ELNS1_3gpuE9ELNS1_3repE0EEENS1_30default_config_static_selectorELNS0_4arch9wavefront6targetE1EEEvT1_.has_recursion, 0
	.set _ZN7rocprim17ROCPRIM_400000_NS6detail17trampoline_kernelINS0_14default_configENS1_35adjacent_difference_config_selectorILb1ElEEZNS1_24adjacent_difference_implIS3_Lb1ELb0EPlS7_N6thrust23THRUST_200600_302600_NS5minusIlEEEE10hipError_tPvRmT2_T3_mT4_P12ihipStream_tbEUlT_E_NS1_11comp_targetILNS1_3genE5ELNS1_11target_archE942ELNS1_3gpuE9ELNS1_3repE0EEENS1_30default_config_static_selectorELNS0_4arch9wavefront6targetE1EEEvT1_.has_indirect_call, 0
	.section	.AMDGPU.csdata,"",@progbits
; Kernel info:
; codeLenInByte = 0
; TotalNumSgprs: 6
; NumVgprs: 0
; NumAgprs: 0
; TotalNumVgprs: 0
; ScratchSize: 0
; MemoryBound: 0
; FloatMode: 240
; IeeeMode: 1
; LDSByteSize: 0 bytes/workgroup (compile time only)
; SGPRBlocks: 0
; VGPRBlocks: 0
; NumSGPRsForWavesPerEU: 6
; NumVGPRsForWavesPerEU: 1
; AccumOffset: 4
; Occupancy: 8
; WaveLimiterHint : 0
; COMPUTE_PGM_RSRC2:SCRATCH_EN: 0
; COMPUTE_PGM_RSRC2:USER_SGPR: 2
; COMPUTE_PGM_RSRC2:TRAP_HANDLER: 0
; COMPUTE_PGM_RSRC2:TGID_X_EN: 1
; COMPUTE_PGM_RSRC2:TGID_Y_EN: 0
; COMPUTE_PGM_RSRC2:TGID_Z_EN: 0
; COMPUTE_PGM_RSRC2:TIDIG_COMP_CNT: 0
; COMPUTE_PGM_RSRC3_GFX90A:ACCUM_OFFSET: 0
; COMPUTE_PGM_RSRC3_GFX90A:TG_SPLIT: 0
	.section	.text._ZN7rocprim17ROCPRIM_400000_NS6detail17trampoline_kernelINS0_14default_configENS1_35adjacent_difference_config_selectorILb1ElEEZNS1_24adjacent_difference_implIS3_Lb1ELb0EPlS7_N6thrust23THRUST_200600_302600_NS5minusIlEEEE10hipError_tPvRmT2_T3_mT4_P12ihipStream_tbEUlT_E_NS1_11comp_targetILNS1_3genE4ELNS1_11target_archE910ELNS1_3gpuE8ELNS1_3repE0EEENS1_30default_config_static_selectorELNS0_4arch9wavefront6targetE1EEEvT1_,"axG",@progbits,_ZN7rocprim17ROCPRIM_400000_NS6detail17trampoline_kernelINS0_14default_configENS1_35adjacent_difference_config_selectorILb1ElEEZNS1_24adjacent_difference_implIS3_Lb1ELb0EPlS7_N6thrust23THRUST_200600_302600_NS5minusIlEEEE10hipError_tPvRmT2_T3_mT4_P12ihipStream_tbEUlT_E_NS1_11comp_targetILNS1_3genE4ELNS1_11target_archE910ELNS1_3gpuE8ELNS1_3repE0EEENS1_30default_config_static_selectorELNS0_4arch9wavefront6targetE1EEEvT1_,comdat
	.protected	_ZN7rocprim17ROCPRIM_400000_NS6detail17trampoline_kernelINS0_14default_configENS1_35adjacent_difference_config_selectorILb1ElEEZNS1_24adjacent_difference_implIS3_Lb1ELb0EPlS7_N6thrust23THRUST_200600_302600_NS5minusIlEEEE10hipError_tPvRmT2_T3_mT4_P12ihipStream_tbEUlT_E_NS1_11comp_targetILNS1_3genE4ELNS1_11target_archE910ELNS1_3gpuE8ELNS1_3repE0EEENS1_30default_config_static_selectorELNS0_4arch9wavefront6targetE1EEEvT1_ ; -- Begin function _ZN7rocprim17ROCPRIM_400000_NS6detail17trampoline_kernelINS0_14default_configENS1_35adjacent_difference_config_selectorILb1ElEEZNS1_24adjacent_difference_implIS3_Lb1ELb0EPlS7_N6thrust23THRUST_200600_302600_NS5minusIlEEEE10hipError_tPvRmT2_T3_mT4_P12ihipStream_tbEUlT_E_NS1_11comp_targetILNS1_3genE4ELNS1_11target_archE910ELNS1_3gpuE8ELNS1_3repE0EEENS1_30default_config_static_selectorELNS0_4arch9wavefront6targetE1EEEvT1_
	.globl	_ZN7rocprim17ROCPRIM_400000_NS6detail17trampoline_kernelINS0_14default_configENS1_35adjacent_difference_config_selectorILb1ElEEZNS1_24adjacent_difference_implIS3_Lb1ELb0EPlS7_N6thrust23THRUST_200600_302600_NS5minusIlEEEE10hipError_tPvRmT2_T3_mT4_P12ihipStream_tbEUlT_E_NS1_11comp_targetILNS1_3genE4ELNS1_11target_archE910ELNS1_3gpuE8ELNS1_3repE0EEENS1_30default_config_static_selectorELNS0_4arch9wavefront6targetE1EEEvT1_
	.p2align	8
	.type	_ZN7rocprim17ROCPRIM_400000_NS6detail17trampoline_kernelINS0_14default_configENS1_35adjacent_difference_config_selectorILb1ElEEZNS1_24adjacent_difference_implIS3_Lb1ELb0EPlS7_N6thrust23THRUST_200600_302600_NS5minusIlEEEE10hipError_tPvRmT2_T3_mT4_P12ihipStream_tbEUlT_E_NS1_11comp_targetILNS1_3genE4ELNS1_11target_archE910ELNS1_3gpuE8ELNS1_3repE0EEENS1_30default_config_static_selectorELNS0_4arch9wavefront6targetE1EEEvT1_,@function
_ZN7rocprim17ROCPRIM_400000_NS6detail17trampoline_kernelINS0_14default_configENS1_35adjacent_difference_config_selectorILb1ElEEZNS1_24adjacent_difference_implIS3_Lb1ELb0EPlS7_N6thrust23THRUST_200600_302600_NS5minusIlEEEE10hipError_tPvRmT2_T3_mT4_P12ihipStream_tbEUlT_E_NS1_11comp_targetILNS1_3genE4ELNS1_11target_archE910ELNS1_3gpuE8ELNS1_3repE0EEENS1_30default_config_static_selectorELNS0_4arch9wavefront6targetE1EEEvT1_: ; @_ZN7rocprim17ROCPRIM_400000_NS6detail17trampoline_kernelINS0_14default_configENS1_35adjacent_difference_config_selectorILb1ElEEZNS1_24adjacent_difference_implIS3_Lb1ELb0EPlS7_N6thrust23THRUST_200600_302600_NS5minusIlEEEE10hipError_tPvRmT2_T3_mT4_P12ihipStream_tbEUlT_E_NS1_11comp_targetILNS1_3genE4ELNS1_11target_archE910ELNS1_3gpuE8ELNS1_3repE0EEENS1_30default_config_static_selectorELNS0_4arch9wavefront6targetE1EEEvT1_
; %bb.0:
	.section	.rodata,"a",@progbits
	.p2align	6, 0x0
	.amdhsa_kernel _ZN7rocprim17ROCPRIM_400000_NS6detail17trampoline_kernelINS0_14default_configENS1_35adjacent_difference_config_selectorILb1ElEEZNS1_24adjacent_difference_implIS3_Lb1ELb0EPlS7_N6thrust23THRUST_200600_302600_NS5minusIlEEEE10hipError_tPvRmT2_T3_mT4_P12ihipStream_tbEUlT_E_NS1_11comp_targetILNS1_3genE4ELNS1_11target_archE910ELNS1_3gpuE8ELNS1_3repE0EEENS1_30default_config_static_selectorELNS0_4arch9wavefront6targetE1EEEvT1_
		.amdhsa_group_segment_fixed_size 0
		.amdhsa_private_segment_fixed_size 0
		.amdhsa_kernarg_size 56
		.amdhsa_user_sgpr_count 2
		.amdhsa_user_sgpr_dispatch_ptr 0
		.amdhsa_user_sgpr_queue_ptr 0
		.amdhsa_user_sgpr_kernarg_segment_ptr 1
		.amdhsa_user_sgpr_dispatch_id 0
		.amdhsa_user_sgpr_kernarg_preload_length 0
		.amdhsa_user_sgpr_kernarg_preload_offset 0
		.amdhsa_user_sgpr_private_segment_size 0
		.amdhsa_uses_dynamic_stack 0
		.amdhsa_enable_private_segment 0
		.amdhsa_system_sgpr_workgroup_id_x 1
		.amdhsa_system_sgpr_workgroup_id_y 0
		.amdhsa_system_sgpr_workgroup_id_z 0
		.amdhsa_system_sgpr_workgroup_info 0
		.amdhsa_system_vgpr_workitem_id 0
		.amdhsa_next_free_vgpr 1
		.amdhsa_next_free_sgpr 0
		.amdhsa_accum_offset 4
		.amdhsa_reserve_vcc 0
		.amdhsa_float_round_mode_32 0
		.amdhsa_float_round_mode_16_64 0
		.amdhsa_float_denorm_mode_32 3
		.amdhsa_float_denorm_mode_16_64 3
		.amdhsa_dx10_clamp 1
		.amdhsa_ieee_mode 1
		.amdhsa_fp16_overflow 0
		.amdhsa_tg_split 0
		.amdhsa_exception_fp_ieee_invalid_op 0
		.amdhsa_exception_fp_denorm_src 0
		.amdhsa_exception_fp_ieee_div_zero 0
		.amdhsa_exception_fp_ieee_overflow 0
		.amdhsa_exception_fp_ieee_underflow 0
		.amdhsa_exception_fp_ieee_inexact 0
		.amdhsa_exception_int_div_zero 0
	.end_amdhsa_kernel
	.section	.text._ZN7rocprim17ROCPRIM_400000_NS6detail17trampoline_kernelINS0_14default_configENS1_35adjacent_difference_config_selectorILb1ElEEZNS1_24adjacent_difference_implIS3_Lb1ELb0EPlS7_N6thrust23THRUST_200600_302600_NS5minusIlEEEE10hipError_tPvRmT2_T3_mT4_P12ihipStream_tbEUlT_E_NS1_11comp_targetILNS1_3genE4ELNS1_11target_archE910ELNS1_3gpuE8ELNS1_3repE0EEENS1_30default_config_static_selectorELNS0_4arch9wavefront6targetE1EEEvT1_,"axG",@progbits,_ZN7rocprim17ROCPRIM_400000_NS6detail17trampoline_kernelINS0_14default_configENS1_35adjacent_difference_config_selectorILb1ElEEZNS1_24adjacent_difference_implIS3_Lb1ELb0EPlS7_N6thrust23THRUST_200600_302600_NS5minusIlEEEE10hipError_tPvRmT2_T3_mT4_P12ihipStream_tbEUlT_E_NS1_11comp_targetILNS1_3genE4ELNS1_11target_archE910ELNS1_3gpuE8ELNS1_3repE0EEENS1_30default_config_static_selectorELNS0_4arch9wavefront6targetE1EEEvT1_,comdat
.Lfunc_end256:
	.size	_ZN7rocprim17ROCPRIM_400000_NS6detail17trampoline_kernelINS0_14default_configENS1_35adjacent_difference_config_selectorILb1ElEEZNS1_24adjacent_difference_implIS3_Lb1ELb0EPlS7_N6thrust23THRUST_200600_302600_NS5minusIlEEEE10hipError_tPvRmT2_T3_mT4_P12ihipStream_tbEUlT_E_NS1_11comp_targetILNS1_3genE4ELNS1_11target_archE910ELNS1_3gpuE8ELNS1_3repE0EEENS1_30default_config_static_selectorELNS0_4arch9wavefront6targetE1EEEvT1_, .Lfunc_end256-_ZN7rocprim17ROCPRIM_400000_NS6detail17trampoline_kernelINS0_14default_configENS1_35adjacent_difference_config_selectorILb1ElEEZNS1_24adjacent_difference_implIS3_Lb1ELb0EPlS7_N6thrust23THRUST_200600_302600_NS5minusIlEEEE10hipError_tPvRmT2_T3_mT4_P12ihipStream_tbEUlT_E_NS1_11comp_targetILNS1_3genE4ELNS1_11target_archE910ELNS1_3gpuE8ELNS1_3repE0EEENS1_30default_config_static_selectorELNS0_4arch9wavefront6targetE1EEEvT1_
                                        ; -- End function
	.set _ZN7rocprim17ROCPRIM_400000_NS6detail17trampoline_kernelINS0_14default_configENS1_35adjacent_difference_config_selectorILb1ElEEZNS1_24adjacent_difference_implIS3_Lb1ELb0EPlS7_N6thrust23THRUST_200600_302600_NS5minusIlEEEE10hipError_tPvRmT2_T3_mT4_P12ihipStream_tbEUlT_E_NS1_11comp_targetILNS1_3genE4ELNS1_11target_archE910ELNS1_3gpuE8ELNS1_3repE0EEENS1_30default_config_static_selectorELNS0_4arch9wavefront6targetE1EEEvT1_.num_vgpr, 0
	.set _ZN7rocprim17ROCPRIM_400000_NS6detail17trampoline_kernelINS0_14default_configENS1_35adjacent_difference_config_selectorILb1ElEEZNS1_24adjacent_difference_implIS3_Lb1ELb0EPlS7_N6thrust23THRUST_200600_302600_NS5minusIlEEEE10hipError_tPvRmT2_T3_mT4_P12ihipStream_tbEUlT_E_NS1_11comp_targetILNS1_3genE4ELNS1_11target_archE910ELNS1_3gpuE8ELNS1_3repE0EEENS1_30default_config_static_selectorELNS0_4arch9wavefront6targetE1EEEvT1_.num_agpr, 0
	.set _ZN7rocprim17ROCPRIM_400000_NS6detail17trampoline_kernelINS0_14default_configENS1_35adjacent_difference_config_selectorILb1ElEEZNS1_24adjacent_difference_implIS3_Lb1ELb0EPlS7_N6thrust23THRUST_200600_302600_NS5minusIlEEEE10hipError_tPvRmT2_T3_mT4_P12ihipStream_tbEUlT_E_NS1_11comp_targetILNS1_3genE4ELNS1_11target_archE910ELNS1_3gpuE8ELNS1_3repE0EEENS1_30default_config_static_selectorELNS0_4arch9wavefront6targetE1EEEvT1_.numbered_sgpr, 0
	.set _ZN7rocprim17ROCPRIM_400000_NS6detail17trampoline_kernelINS0_14default_configENS1_35adjacent_difference_config_selectorILb1ElEEZNS1_24adjacent_difference_implIS3_Lb1ELb0EPlS7_N6thrust23THRUST_200600_302600_NS5minusIlEEEE10hipError_tPvRmT2_T3_mT4_P12ihipStream_tbEUlT_E_NS1_11comp_targetILNS1_3genE4ELNS1_11target_archE910ELNS1_3gpuE8ELNS1_3repE0EEENS1_30default_config_static_selectorELNS0_4arch9wavefront6targetE1EEEvT1_.num_named_barrier, 0
	.set _ZN7rocprim17ROCPRIM_400000_NS6detail17trampoline_kernelINS0_14default_configENS1_35adjacent_difference_config_selectorILb1ElEEZNS1_24adjacent_difference_implIS3_Lb1ELb0EPlS7_N6thrust23THRUST_200600_302600_NS5minusIlEEEE10hipError_tPvRmT2_T3_mT4_P12ihipStream_tbEUlT_E_NS1_11comp_targetILNS1_3genE4ELNS1_11target_archE910ELNS1_3gpuE8ELNS1_3repE0EEENS1_30default_config_static_selectorELNS0_4arch9wavefront6targetE1EEEvT1_.private_seg_size, 0
	.set _ZN7rocprim17ROCPRIM_400000_NS6detail17trampoline_kernelINS0_14default_configENS1_35adjacent_difference_config_selectorILb1ElEEZNS1_24adjacent_difference_implIS3_Lb1ELb0EPlS7_N6thrust23THRUST_200600_302600_NS5minusIlEEEE10hipError_tPvRmT2_T3_mT4_P12ihipStream_tbEUlT_E_NS1_11comp_targetILNS1_3genE4ELNS1_11target_archE910ELNS1_3gpuE8ELNS1_3repE0EEENS1_30default_config_static_selectorELNS0_4arch9wavefront6targetE1EEEvT1_.uses_vcc, 0
	.set _ZN7rocprim17ROCPRIM_400000_NS6detail17trampoline_kernelINS0_14default_configENS1_35adjacent_difference_config_selectorILb1ElEEZNS1_24adjacent_difference_implIS3_Lb1ELb0EPlS7_N6thrust23THRUST_200600_302600_NS5minusIlEEEE10hipError_tPvRmT2_T3_mT4_P12ihipStream_tbEUlT_E_NS1_11comp_targetILNS1_3genE4ELNS1_11target_archE910ELNS1_3gpuE8ELNS1_3repE0EEENS1_30default_config_static_selectorELNS0_4arch9wavefront6targetE1EEEvT1_.uses_flat_scratch, 0
	.set _ZN7rocprim17ROCPRIM_400000_NS6detail17trampoline_kernelINS0_14default_configENS1_35adjacent_difference_config_selectorILb1ElEEZNS1_24adjacent_difference_implIS3_Lb1ELb0EPlS7_N6thrust23THRUST_200600_302600_NS5minusIlEEEE10hipError_tPvRmT2_T3_mT4_P12ihipStream_tbEUlT_E_NS1_11comp_targetILNS1_3genE4ELNS1_11target_archE910ELNS1_3gpuE8ELNS1_3repE0EEENS1_30default_config_static_selectorELNS0_4arch9wavefront6targetE1EEEvT1_.has_dyn_sized_stack, 0
	.set _ZN7rocprim17ROCPRIM_400000_NS6detail17trampoline_kernelINS0_14default_configENS1_35adjacent_difference_config_selectorILb1ElEEZNS1_24adjacent_difference_implIS3_Lb1ELb0EPlS7_N6thrust23THRUST_200600_302600_NS5minusIlEEEE10hipError_tPvRmT2_T3_mT4_P12ihipStream_tbEUlT_E_NS1_11comp_targetILNS1_3genE4ELNS1_11target_archE910ELNS1_3gpuE8ELNS1_3repE0EEENS1_30default_config_static_selectorELNS0_4arch9wavefront6targetE1EEEvT1_.has_recursion, 0
	.set _ZN7rocprim17ROCPRIM_400000_NS6detail17trampoline_kernelINS0_14default_configENS1_35adjacent_difference_config_selectorILb1ElEEZNS1_24adjacent_difference_implIS3_Lb1ELb0EPlS7_N6thrust23THRUST_200600_302600_NS5minusIlEEEE10hipError_tPvRmT2_T3_mT4_P12ihipStream_tbEUlT_E_NS1_11comp_targetILNS1_3genE4ELNS1_11target_archE910ELNS1_3gpuE8ELNS1_3repE0EEENS1_30default_config_static_selectorELNS0_4arch9wavefront6targetE1EEEvT1_.has_indirect_call, 0
	.section	.AMDGPU.csdata,"",@progbits
; Kernel info:
; codeLenInByte = 0
; TotalNumSgprs: 6
; NumVgprs: 0
; NumAgprs: 0
; TotalNumVgprs: 0
; ScratchSize: 0
; MemoryBound: 0
; FloatMode: 240
; IeeeMode: 1
; LDSByteSize: 0 bytes/workgroup (compile time only)
; SGPRBlocks: 0
; VGPRBlocks: 0
; NumSGPRsForWavesPerEU: 6
; NumVGPRsForWavesPerEU: 1
; AccumOffset: 4
; Occupancy: 8
; WaveLimiterHint : 0
; COMPUTE_PGM_RSRC2:SCRATCH_EN: 0
; COMPUTE_PGM_RSRC2:USER_SGPR: 2
; COMPUTE_PGM_RSRC2:TRAP_HANDLER: 0
; COMPUTE_PGM_RSRC2:TGID_X_EN: 1
; COMPUTE_PGM_RSRC2:TGID_Y_EN: 0
; COMPUTE_PGM_RSRC2:TGID_Z_EN: 0
; COMPUTE_PGM_RSRC2:TIDIG_COMP_CNT: 0
; COMPUTE_PGM_RSRC3_GFX90A:ACCUM_OFFSET: 0
; COMPUTE_PGM_RSRC3_GFX90A:TG_SPLIT: 0
	.section	.text._ZN7rocprim17ROCPRIM_400000_NS6detail17trampoline_kernelINS0_14default_configENS1_35adjacent_difference_config_selectorILb1ElEEZNS1_24adjacent_difference_implIS3_Lb1ELb0EPlS7_N6thrust23THRUST_200600_302600_NS5minusIlEEEE10hipError_tPvRmT2_T3_mT4_P12ihipStream_tbEUlT_E_NS1_11comp_targetILNS1_3genE3ELNS1_11target_archE908ELNS1_3gpuE7ELNS1_3repE0EEENS1_30default_config_static_selectorELNS0_4arch9wavefront6targetE1EEEvT1_,"axG",@progbits,_ZN7rocprim17ROCPRIM_400000_NS6detail17trampoline_kernelINS0_14default_configENS1_35adjacent_difference_config_selectorILb1ElEEZNS1_24adjacent_difference_implIS3_Lb1ELb0EPlS7_N6thrust23THRUST_200600_302600_NS5minusIlEEEE10hipError_tPvRmT2_T3_mT4_P12ihipStream_tbEUlT_E_NS1_11comp_targetILNS1_3genE3ELNS1_11target_archE908ELNS1_3gpuE7ELNS1_3repE0EEENS1_30default_config_static_selectorELNS0_4arch9wavefront6targetE1EEEvT1_,comdat
	.protected	_ZN7rocprim17ROCPRIM_400000_NS6detail17trampoline_kernelINS0_14default_configENS1_35adjacent_difference_config_selectorILb1ElEEZNS1_24adjacent_difference_implIS3_Lb1ELb0EPlS7_N6thrust23THRUST_200600_302600_NS5minusIlEEEE10hipError_tPvRmT2_T3_mT4_P12ihipStream_tbEUlT_E_NS1_11comp_targetILNS1_3genE3ELNS1_11target_archE908ELNS1_3gpuE7ELNS1_3repE0EEENS1_30default_config_static_selectorELNS0_4arch9wavefront6targetE1EEEvT1_ ; -- Begin function _ZN7rocprim17ROCPRIM_400000_NS6detail17trampoline_kernelINS0_14default_configENS1_35adjacent_difference_config_selectorILb1ElEEZNS1_24adjacent_difference_implIS3_Lb1ELb0EPlS7_N6thrust23THRUST_200600_302600_NS5minusIlEEEE10hipError_tPvRmT2_T3_mT4_P12ihipStream_tbEUlT_E_NS1_11comp_targetILNS1_3genE3ELNS1_11target_archE908ELNS1_3gpuE7ELNS1_3repE0EEENS1_30default_config_static_selectorELNS0_4arch9wavefront6targetE1EEEvT1_
	.globl	_ZN7rocprim17ROCPRIM_400000_NS6detail17trampoline_kernelINS0_14default_configENS1_35adjacent_difference_config_selectorILb1ElEEZNS1_24adjacent_difference_implIS3_Lb1ELb0EPlS7_N6thrust23THRUST_200600_302600_NS5minusIlEEEE10hipError_tPvRmT2_T3_mT4_P12ihipStream_tbEUlT_E_NS1_11comp_targetILNS1_3genE3ELNS1_11target_archE908ELNS1_3gpuE7ELNS1_3repE0EEENS1_30default_config_static_selectorELNS0_4arch9wavefront6targetE1EEEvT1_
	.p2align	8
	.type	_ZN7rocprim17ROCPRIM_400000_NS6detail17trampoline_kernelINS0_14default_configENS1_35adjacent_difference_config_selectorILb1ElEEZNS1_24adjacent_difference_implIS3_Lb1ELb0EPlS7_N6thrust23THRUST_200600_302600_NS5minusIlEEEE10hipError_tPvRmT2_T3_mT4_P12ihipStream_tbEUlT_E_NS1_11comp_targetILNS1_3genE3ELNS1_11target_archE908ELNS1_3gpuE7ELNS1_3repE0EEENS1_30default_config_static_selectorELNS0_4arch9wavefront6targetE1EEEvT1_,@function
_ZN7rocprim17ROCPRIM_400000_NS6detail17trampoline_kernelINS0_14default_configENS1_35adjacent_difference_config_selectorILb1ElEEZNS1_24adjacent_difference_implIS3_Lb1ELb0EPlS7_N6thrust23THRUST_200600_302600_NS5minusIlEEEE10hipError_tPvRmT2_T3_mT4_P12ihipStream_tbEUlT_E_NS1_11comp_targetILNS1_3genE3ELNS1_11target_archE908ELNS1_3gpuE7ELNS1_3repE0EEENS1_30default_config_static_selectorELNS0_4arch9wavefront6targetE1EEEvT1_: ; @_ZN7rocprim17ROCPRIM_400000_NS6detail17trampoline_kernelINS0_14default_configENS1_35adjacent_difference_config_selectorILb1ElEEZNS1_24adjacent_difference_implIS3_Lb1ELb0EPlS7_N6thrust23THRUST_200600_302600_NS5minusIlEEEE10hipError_tPvRmT2_T3_mT4_P12ihipStream_tbEUlT_E_NS1_11comp_targetILNS1_3genE3ELNS1_11target_archE908ELNS1_3gpuE7ELNS1_3repE0EEENS1_30default_config_static_selectorELNS0_4arch9wavefront6targetE1EEEvT1_
; %bb.0:
	.section	.rodata,"a",@progbits
	.p2align	6, 0x0
	.amdhsa_kernel _ZN7rocprim17ROCPRIM_400000_NS6detail17trampoline_kernelINS0_14default_configENS1_35adjacent_difference_config_selectorILb1ElEEZNS1_24adjacent_difference_implIS3_Lb1ELb0EPlS7_N6thrust23THRUST_200600_302600_NS5minusIlEEEE10hipError_tPvRmT2_T3_mT4_P12ihipStream_tbEUlT_E_NS1_11comp_targetILNS1_3genE3ELNS1_11target_archE908ELNS1_3gpuE7ELNS1_3repE0EEENS1_30default_config_static_selectorELNS0_4arch9wavefront6targetE1EEEvT1_
		.amdhsa_group_segment_fixed_size 0
		.amdhsa_private_segment_fixed_size 0
		.amdhsa_kernarg_size 56
		.amdhsa_user_sgpr_count 2
		.amdhsa_user_sgpr_dispatch_ptr 0
		.amdhsa_user_sgpr_queue_ptr 0
		.amdhsa_user_sgpr_kernarg_segment_ptr 1
		.amdhsa_user_sgpr_dispatch_id 0
		.amdhsa_user_sgpr_kernarg_preload_length 0
		.amdhsa_user_sgpr_kernarg_preload_offset 0
		.amdhsa_user_sgpr_private_segment_size 0
		.amdhsa_uses_dynamic_stack 0
		.amdhsa_enable_private_segment 0
		.amdhsa_system_sgpr_workgroup_id_x 1
		.amdhsa_system_sgpr_workgroup_id_y 0
		.amdhsa_system_sgpr_workgroup_id_z 0
		.amdhsa_system_sgpr_workgroup_info 0
		.amdhsa_system_vgpr_workitem_id 0
		.amdhsa_next_free_vgpr 1
		.amdhsa_next_free_sgpr 0
		.amdhsa_accum_offset 4
		.amdhsa_reserve_vcc 0
		.amdhsa_float_round_mode_32 0
		.amdhsa_float_round_mode_16_64 0
		.amdhsa_float_denorm_mode_32 3
		.amdhsa_float_denorm_mode_16_64 3
		.amdhsa_dx10_clamp 1
		.amdhsa_ieee_mode 1
		.amdhsa_fp16_overflow 0
		.amdhsa_tg_split 0
		.amdhsa_exception_fp_ieee_invalid_op 0
		.amdhsa_exception_fp_denorm_src 0
		.amdhsa_exception_fp_ieee_div_zero 0
		.amdhsa_exception_fp_ieee_overflow 0
		.amdhsa_exception_fp_ieee_underflow 0
		.amdhsa_exception_fp_ieee_inexact 0
		.amdhsa_exception_int_div_zero 0
	.end_amdhsa_kernel
	.section	.text._ZN7rocprim17ROCPRIM_400000_NS6detail17trampoline_kernelINS0_14default_configENS1_35adjacent_difference_config_selectorILb1ElEEZNS1_24adjacent_difference_implIS3_Lb1ELb0EPlS7_N6thrust23THRUST_200600_302600_NS5minusIlEEEE10hipError_tPvRmT2_T3_mT4_P12ihipStream_tbEUlT_E_NS1_11comp_targetILNS1_3genE3ELNS1_11target_archE908ELNS1_3gpuE7ELNS1_3repE0EEENS1_30default_config_static_selectorELNS0_4arch9wavefront6targetE1EEEvT1_,"axG",@progbits,_ZN7rocprim17ROCPRIM_400000_NS6detail17trampoline_kernelINS0_14default_configENS1_35adjacent_difference_config_selectorILb1ElEEZNS1_24adjacent_difference_implIS3_Lb1ELb0EPlS7_N6thrust23THRUST_200600_302600_NS5minusIlEEEE10hipError_tPvRmT2_T3_mT4_P12ihipStream_tbEUlT_E_NS1_11comp_targetILNS1_3genE3ELNS1_11target_archE908ELNS1_3gpuE7ELNS1_3repE0EEENS1_30default_config_static_selectorELNS0_4arch9wavefront6targetE1EEEvT1_,comdat
.Lfunc_end257:
	.size	_ZN7rocprim17ROCPRIM_400000_NS6detail17trampoline_kernelINS0_14default_configENS1_35adjacent_difference_config_selectorILb1ElEEZNS1_24adjacent_difference_implIS3_Lb1ELb0EPlS7_N6thrust23THRUST_200600_302600_NS5minusIlEEEE10hipError_tPvRmT2_T3_mT4_P12ihipStream_tbEUlT_E_NS1_11comp_targetILNS1_3genE3ELNS1_11target_archE908ELNS1_3gpuE7ELNS1_3repE0EEENS1_30default_config_static_selectorELNS0_4arch9wavefront6targetE1EEEvT1_, .Lfunc_end257-_ZN7rocprim17ROCPRIM_400000_NS6detail17trampoline_kernelINS0_14default_configENS1_35adjacent_difference_config_selectorILb1ElEEZNS1_24adjacent_difference_implIS3_Lb1ELb0EPlS7_N6thrust23THRUST_200600_302600_NS5minusIlEEEE10hipError_tPvRmT2_T3_mT4_P12ihipStream_tbEUlT_E_NS1_11comp_targetILNS1_3genE3ELNS1_11target_archE908ELNS1_3gpuE7ELNS1_3repE0EEENS1_30default_config_static_selectorELNS0_4arch9wavefront6targetE1EEEvT1_
                                        ; -- End function
	.set _ZN7rocprim17ROCPRIM_400000_NS6detail17trampoline_kernelINS0_14default_configENS1_35adjacent_difference_config_selectorILb1ElEEZNS1_24adjacent_difference_implIS3_Lb1ELb0EPlS7_N6thrust23THRUST_200600_302600_NS5minusIlEEEE10hipError_tPvRmT2_T3_mT4_P12ihipStream_tbEUlT_E_NS1_11comp_targetILNS1_3genE3ELNS1_11target_archE908ELNS1_3gpuE7ELNS1_3repE0EEENS1_30default_config_static_selectorELNS0_4arch9wavefront6targetE1EEEvT1_.num_vgpr, 0
	.set _ZN7rocprim17ROCPRIM_400000_NS6detail17trampoline_kernelINS0_14default_configENS1_35adjacent_difference_config_selectorILb1ElEEZNS1_24adjacent_difference_implIS3_Lb1ELb0EPlS7_N6thrust23THRUST_200600_302600_NS5minusIlEEEE10hipError_tPvRmT2_T3_mT4_P12ihipStream_tbEUlT_E_NS1_11comp_targetILNS1_3genE3ELNS1_11target_archE908ELNS1_3gpuE7ELNS1_3repE0EEENS1_30default_config_static_selectorELNS0_4arch9wavefront6targetE1EEEvT1_.num_agpr, 0
	.set _ZN7rocprim17ROCPRIM_400000_NS6detail17trampoline_kernelINS0_14default_configENS1_35adjacent_difference_config_selectorILb1ElEEZNS1_24adjacent_difference_implIS3_Lb1ELb0EPlS7_N6thrust23THRUST_200600_302600_NS5minusIlEEEE10hipError_tPvRmT2_T3_mT4_P12ihipStream_tbEUlT_E_NS1_11comp_targetILNS1_3genE3ELNS1_11target_archE908ELNS1_3gpuE7ELNS1_3repE0EEENS1_30default_config_static_selectorELNS0_4arch9wavefront6targetE1EEEvT1_.numbered_sgpr, 0
	.set _ZN7rocprim17ROCPRIM_400000_NS6detail17trampoline_kernelINS0_14default_configENS1_35adjacent_difference_config_selectorILb1ElEEZNS1_24adjacent_difference_implIS3_Lb1ELb0EPlS7_N6thrust23THRUST_200600_302600_NS5minusIlEEEE10hipError_tPvRmT2_T3_mT4_P12ihipStream_tbEUlT_E_NS1_11comp_targetILNS1_3genE3ELNS1_11target_archE908ELNS1_3gpuE7ELNS1_3repE0EEENS1_30default_config_static_selectorELNS0_4arch9wavefront6targetE1EEEvT1_.num_named_barrier, 0
	.set _ZN7rocprim17ROCPRIM_400000_NS6detail17trampoline_kernelINS0_14default_configENS1_35adjacent_difference_config_selectorILb1ElEEZNS1_24adjacent_difference_implIS3_Lb1ELb0EPlS7_N6thrust23THRUST_200600_302600_NS5minusIlEEEE10hipError_tPvRmT2_T3_mT4_P12ihipStream_tbEUlT_E_NS1_11comp_targetILNS1_3genE3ELNS1_11target_archE908ELNS1_3gpuE7ELNS1_3repE0EEENS1_30default_config_static_selectorELNS0_4arch9wavefront6targetE1EEEvT1_.private_seg_size, 0
	.set _ZN7rocprim17ROCPRIM_400000_NS6detail17trampoline_kernelINS0_14default_configENS1_35adjacent_difference_config_selectorILb1ElEEZNS1_24adjacent_difference_implIS3_Lb1ELb0EPlS7_N6thrust23THRUST_200600_302600_NS5minusIlEEEE10hipError_tPvRmT2_T3_mT4_P12ihipStream_tbEUlT_E_NS1_11comp_targetILNS1_3genE3ELNS1_11target_archE908ELNS1_3gpuE7ELNS1_3repE0EEENS1_30default_config_static_selectorELNS0_4arch9wavefront6targetE1EEEvT1_.uses_vcc, 0
	.set _ZN7rocprim17ROCPRIM_400000_NS6detail17trampoline_kernelINS0_14default_configENS1_35adjacent_difference_config_selectorILb1ElEEZNS1_24adjacent_difference_implIS3_Lb1ELb0EPlS7_N6thrust23THRUST_200600_302600_NS5minusIlEEEE10hipError_tPvRmT2_T3_mT4_P12ihipStream_tbEUlT_E_NS1_11comp_targetILNS1_3genE3ELNS1_11target_archE908ELNS1_3gpuE7ELNS1_3repE0EEENS1_30default_config_static_selectorELNS0_4arch9wavefront6targetE1EEEvT1_.uses_flat_scratch, 0
	.set _ZN7rocprim17ROCPRIM_400000_NS6detail17trampoline_kernelINS0_14default_configENS1_35adjacent_difference_config_selectorILb1ElEEZNS1_24adjacent_difference_implIS3_Lb1ELb0EPlS7_N6thrust23THRUST_200600_302600_NS5minusIlEEEE10hipError_tPvRmT2_T3_mT4_P12ihipStream_tbEUlT_E_NS1_11comp_targetILNS1_3genE3ELNS1_11target_archE908ELNS1_3gpuE7ELNS1_3repE0EEENS1_30default_config_static_selectorELNS0_4arch9wavefront6targetE1EEEvT1_.has_dyn_sized_stack, 0
	.set _ZN7rocprim17ROCPRIM_400000_NS6detail17trampoline_kernelINS0_14default_configENS1_35adjacent_difference_config_selectorILb1ElEEZNS1_24adjacent_difference_implIS3_Lb1ELb0EPlS7_N6thrust23THRUST_200600_302600_NS5minusIlEEEE10hipError_tPvRmT2_T3_mT4_P12ihipStream_tbEUlT_E_NS1_11comp_targetILNS1_3genE3ELNS1_11target_archE908ELNS1_3gpuE7ELNS1_3repE0EEENS1_30default_config_static_selectorELNS0_4arch9wavefront6targetE1EEEvT1_.has_recursion, 0
	.set _ZN7rocprim17ROCPRIM_400000_NS6detail17trampoline_kernelINS0_14default_configENS1_35adjacent_difference_config_selectorILb1ElEEZNS1_24adjacent_difference_implIS3_Lb1ELb0EPlS7_N6thrust23THRUST_200600_302600_NS5minusIlEEEE10hipError_tPvRmT2_T3_mT4_P12ihipStream_tbEUlT_E_NS1_11comp_targetILNS1_3genE3ELNS1_11target_archE908ELNS1_3gpuE7ELNS1_3repE0EEENS1_30default_config_static_selectorELNS0_4arch9wavefront6targetE1EEEvT1_.has_indirect_call, 0
	.section	.AMDGPU.csdata,"",@progbits
; Kernel info:
; codeLenInByte = 0
; TotalNumSgprs: 6
; NumVgprs: 0
; NumAgprs: 0
; TotalNumVgprs: 0
; ScratchSize: 0
; MemoryBound: 0
; FloatMode: 240
; IeeeMode: 1
; LDSByteSize: 0 bytes/workgroup (compile time only)
; SGPRBlocks: 0
; VGPRBlocks: 0
; NumSGPRsForWavesPerEU: 6
; NumVGPRsForWavesPerEU: 1
; AccumOffset: 4
; Occupancy: 8
; WaveLimiterHint : 0
; COMPUTE_PGM_RSRC2:SCRATCH_EN: 0
; COMPUTE_PGM_RSRC2:USER_SGPR: 2
; COMPUTE_PGM_RSRC2:TRAP_HANDLER: 0
; COMPUTE_PGM_RSRC2:TGID_X_EN: 1
; COMPUTE_PGM_RSRC2:TGID_Y_EN: 0
; COMPUTE_PGM_RSRC2:TGID_Z_EN: 0
; COMPUTE_PGM_RSRC2:TIDIG_COMP_CNT: 0
; COMPUTE_PGM_RSRC3_GFX90A:ACCUM_OFFSET: 0
; COMPUTE_PGM_RSRC3_GFX90A:TG_SPLIT: 0
	.section	.text._ZN7rocprim17ROCPRIM_400000_NS6detail17trampoline_kernelINS0_14default_configENS1_35adjacent_difference_config_selectorILb1ElEEZNS1_24adjacent_difference_implIS3_Lb1ELb0EPlS7_N6thrust23THRUST_200600_302600_NS5minusIlEEEE10hipError_tPvRmT2_T3_mT4_P12ihipStream_tbEUlT_E_NS1_11comp_targetILNS1_3genE2ELNS1_11target_archE906ELNS1_3gpuE6ELNS1_3repE0EEENS1_30default_config_static_selectorELNS0_4arch9wavefront6targetE1EEEvT1_,"axG",@progbits,_ZN7rocprim17ROCPRIM_400000_NS6detail17trampoline_kernelINS0_14default_configENS1_35adjacent_difference_config_selectorILb1ElEEZNS1_24adjacent_difference_implIS3_Lb1ELb0EPlS7_N6thrust23THRUST_200600_302600_NS5minusIlEEEE10hipError_tPvRmT2_T3_mT4_P12ihipStream_tbEUlT_E_NS1_11comp_targetILNS1_3genE2ELNS1_11target_archE906ELNS1_3gpuE6ELNS1_3repE0EEENS1_30default_config_static_selectorELNS0_4arch9wavefront6targetE1EEEvT1_,comdat
	.protected	_ZN7rocprim17ROCPRIM_400000_NS6detail17trampoline_kernelINS0_14default_configENS1_35adjacent_difference_config_selectorILb1ElEEZNS1_24adjacent_difference_implIS3_Lb1ELb0EPlS7_N6thrust23THRUST_200600_302600_NS5minusIlEEEE10hipError_tPvRmT2_T3_mT4_P12ihipStream_tbEUlT_E_NS1_11comp_targetILNS1_3genE2ELNS1_11target_archE906ELNS1_3gpuE6ELNS1_3repE0EEENS1_30default_config_static_selectorELNS0_4arch9wavefront6targetE1EEEvT1_ ; -- Begin function _ZN7rocprim17ROCPRIM_400000_NS6detail17trampoline_kernelINS0_14default_configENS1_35adjacent_difference_config_selectorILb1ElEEZNS1_24adjacent_difference_implIS3_Lb1ELb0EPlS7_N6thrust23THRUST_200600_302600_NS5minusIlEEEE10hipError_tPvRmT2_T3_mT4_P12ihipStream_tbEUlT_E_NS1_11comp_targetILNS1_3genE2ELNS1_11target_archE906ELNS1_3gpuE6ELNS1_3repE0EEENS1_30default_config_static_selectorELNS0_4arch9wavefront6targetE1EEEvT1_
	.globl	_ZN7rocprim17ROCPRIM_400000_NS6detail17trampoline_kernelINS0_14default_configENS1_35adjacent_difference_config_selectorILb1ElEEZNS1_24adjacent_difference_implIS3_Lb1ELb0EPlS7_N6thrust23THRUST_200600_302600_NS5minusIlEEEE10hipError_tPvRmT2_T3_mT4_P12ihipStream_tbEUlT_E_NS1_11comp_targetILNS1_3genE2ELNS1_11target_archE906ELNS1_3gpuE6ELNS1_3repE0EEENS1_30default_config_static_selectorELNS0_4arch9wavefront6targetE1EEEvT1_
	.p2align	8
	.type	_ZN7rocprim17ROCPRIM_400000_NS6detail17trampoline_kernelINS0_14default_configENS1_35adjacent_difference_config_selectorILb1ElEEZNS1_24adjacent_difference_implIS3_Lb1ELb0EPlS7_N6thrust23THRUST_200600_302600_NS5minusIlEEEE10hipError_tPvRmT2_T3_mT4_P12ihipStream_tbEUlT_E_NS1_11comp_targetILNS1_3genE2ELNS1_11target_archE906ELNS1_3gpuE6ELNS1_3repE0EEENS1_30default_config_static_selectorELNS0_4arch9wavefront6targetE1EEEvT1_,@function
_ZN7rocprim17ROCPRIM_400000_NS6detail17trampoline_kernelINS0_14default_configENS1_35adjacent_difference_config_selectorILb1ElEEZNS1_24adjacent_difference_implIS3_Lb1ELb0EPlS7_N6thrust23THRUST_200600_302600_NS5minusIlEEEE10hipError_tPvRmT2_T3_mT4_P12ihipStream_tbEUlT_E_NS1_11comp_targetILNS1_3genE2ELNS1_11target_archE906ELNS1_3gpuE6ELNS1_3repE0EEENS1_30default_config_static_selectorELNS0_4arch9wavefront6targetE1EEEvT1_: ; @_ZN7rocprim17ROCPRIM_400000_NS6detail17trampoline_kernelINS0_14default_configENS1_35adjacent_difference_config_selectorILb1ElEEZNS1_24adjacent_difference_implIS3_Lb1ELb0EPlS7_N6thrust23THRUST_200600_302600_NS5minusIlEEEE10hipError_tPvRmT2_T3_mT4_P12ihipStream_tbEUlT_E_NS1_11comp_targetILNS1_3genE2ELNS1_11target_archE906ELNS1_3gpuE6ELNS1_3repE0EEENS1_30default_config_static_selectorELNS0_4arch9wavefront6targetE1EEEvT1_
; %bb.0:
	.section	.rodata,"a",@progbits
	.p2align	6, 0x0
	.amdhsa_kernel _ZN7rocprim17ROCPRIM_400000_NS6detail17trampoline_kernelINS0_14default_configENS1_35adjacent_difference_config_selectorILb1ElEEZNS1_24adjacent_difference_implIS3_Lb1ELb0EPlS7_N6thrust23THRUST_200600_302600_NS5minusIlEEEE10hipError_tPvRmT2_T3_mT4_P12ihipStream_tbEUlT_E_NS1_11comp_targetILNS1_3genE2ELNS1_11target_archE906ELNS1_3gpuE6ELNS1_3repE0EEENS1_30default_config_static_selectorELNS0_4arch9wavefront6targetE1EEEvT1_
		.amdhsa_group_segment_fixed_size 0
		.amdhsa_private_segment_fixed_size 0
		.amdhsa_kernarg_size 56
		.amdhsa_user_sgpr_count 2
		.amdhsa_user_sgpr_dispatch_ptr 0
		.amdhsa_user_sgpr_queue_ptr 0
		.amdhsa_user_sgpr_kernarg_segment_ptr 1
		.amdhsa_user_sgpr_dispatch_id 0
		.amdhsa_user_sgpr_kernarg_preload_length 0
		.amdhsa_user_sgpr_kernarg_preload_offset 0
		.amdhsa_user_sgpr_private_segment_size 0
		.amdhsa_uses_dynamic_stack 0
		.amdhsa_enable_private_segment 0
		.amdhsa_system_sgpr_workgroup_id_x 1
		.amdhsa_system_sgpr_workgroup_id_y 0
		.amdhsa_system_sgpr_workgroup_id_z 0
		.amdhsa_system_sgpr_workgroup_info 0
		.amdhsa_system_vgpr_workitem_id 0
		.amdhsa_next_free_vgpr 1
		.amdhsa_next_free_sgpr 0
		.amdhsa_accum_offset 4
		.amdhsa_reserve_vcc 0
		.amdhsa_float_round_mode_32 0
		.amdhsa_float_round_mode_16_64 0
		.amdhsa_float_denorm_mode_32 3
		.amdhsa_float_denorm_mode_16_64 3
		.amdhsa_dx10_clamp 1
		.amdhsa_ieee_mode 1
		.amdhsa_fp16_overflow 0
		.amdhsa_tg_split 0
		.amdhsa_exception_fp_ieee_invalid_op 0
		.amdhsa_exception_fp_denorm_src 0
		.amdhsa_exception_fp_ieee_div_zero 0
		.amdhsa_exception_fp_ieee_overflow 0
		.amdhsa_exception_fp_ieee_underflow 0
		.amdhsa_exception_fp_ieee_inexact 0
		.amdhsa_exception_int_div_zero 0
	.end_amdhsa_kernel
	.section	.text._ZN7rocprim17ROCPRIM_400000_NS6detail17trampoline_kernelINS0_14default_configENS1_35adjacent_difference_config_selectorILb1ElEEZNS1_24adjacent_difference_implIS3_Lb1ELb0EPlS7_N6thrust23THRUST_200600_302600_NS5minusIlEEEE10hipError_tPvRmT2_T3_mT4_P12ihipStream_tbEUlT_E_NS1_11comp_targetILNS1_3genE2ELNS1_11target_archE906ELNS1_3gpuE6ELNS1_3repE0EEENS1_30default_config_static_selectorELNS0_4arch9wavefront6targetE1EEEvT1_,"axG",@progbits,_ZN7rocprim17ROCPRIM_400000_NS6detail17trampoline_kernelINS0_14default_configENS1_35adjacent_difference_config_selectorILb1ElEEZNS1_24adjacent_difference_implIS3_Lb1ELb0EPlS7_N6thrust23THRUST_200600_302600_NS5minusIlEEEE10hipError_tPvRmT2_T3_mT4_P12ihipStream_tbEUlT_E_NS1_11comp_targetILNS1_3genE2ELNS1_11target_archE906ELNS1_3gpuE6ELNS1_3repE0EEENS1_30default_config_static_selectorELNS0_4arch9wavefront6targetE1EEEvT1_,comdat
.Lfunc_end258:
	.size	_ZN7rocprim17ROCPRIM_400000_NS6detail17trampoline_kernelINS0_14default_configENS1_35adjacent_difference_config_selectorILb1ElEEZNS1_24adjacent_difference_implIS3_Lb1ELb0EPlS7_N6thrust23THRUST_200600_302600_NS5minusIlEEEE10hipError_tPvRmT2_T3_mT4_P12ihipStream_tbEUlT_E_NS1_11comp_targetILNS1_3genE2ELNS1_11target_archE906ELNS1_3gpuE6ELNS1_3repE0EEENS1_30default_config_static_selectorELNS0_4arch9wavefront6targetE1EEEvT1_, .Lfunc_end258-_ZN7rocprim17ROCPRIM_400000_NS6detail17trampoline_kernelINS0_14default_configENS1_35adjacent_difference_config_selectorILb1ElEEZNS1_24adjacent_difference_implIS3_Lb1ELb0EPlS7_N6thrust23THRUST_200600_302600_NS5minusIlEEEE10hipError_tPvRmT2_T3_mT4_P12ihipStream_tbEUlT_E_NS1_11comp_targetILNS1_3genE2ELNS1_11target_archE906ELNS1_3gpuE6ELNS1_3repE0EEENS1_30default_config_static_selectorELNS0_4arch9wavefront6targetE1EEEvT1_
                                        ; -- End function
	.set _ZN7rocprim17ROCPRIM_400000_NS6detail17trampoline_kernelINS0_14default_configENS1_35adjacent_difference_config_selectorILb1ElEEZNS1_24adjacent_difference_implIS3_Lb1ELb0EPlS7_N6thrust23THRUST_200600_302600_NS5minusIlEEEE10hipError_tPvRmT2_T3_mT4_P12ihipStream_tbEUlT_E_NS1_11comp_targetILNS1_3genE2ELNS1_11target_archE906ELNS1_3gpuE6ELNS1_3repE0EEENS1_30default_config_static_selectorELNS0_4arch9wavefront6targetE1EEEvT1_.num_vgpr, 0
	.set _ZN7rocprim17ROCPRIM_400000_NS6detail17trampoline_kernelINS0_14default_configENS1_35adjacent_difference_config_selectorILb1ElEEZNS1_24adjacent_difference_implIS3_Lb1ELb0EPlS7_N6thrust23THRUST_200600_302600_NS5minusIlEEEE10hipError_tPvRmT2_T3_mT4_P12ihipStream_tbEUlT_E_NS1_11comp_targetILNS1_3genE2ELNS1_11target_archE906ELNS1_3gpuE6ELNS1_3repE0EEENS1_30default_config_static_selectorELNS0_4arch9wavefront6targetE1EEEvT1_.num_agpr, 0
	.set _ZN7rocprim17ROCPRIM_400000_NS6detail17trampoline_kernelINS0_14default_configENS1_35adjacent_difference_config_selectorILb1ElEEZNS1_24adjacent_difference_implIS3_Lb1ELb0EPlS7_N6thrust23THRUST_200600_302600_NS5minusIlEEEE10hipError_tPvRmT2_T3_mT4_P12ihipStream_tbEUlT_E_NS1_11comp_targetILNS1_3genE2ELNS1_11target_archE906ELNS1_3gpuE6ELNS1_3repE0EEENS1_30default_config_static_selectorELNS0_4arch9wavefront6targetE1EEEvT1_.numbered_sgpr, 0
	.set _ZN7rocprim17ROCPRIM_400000_NS6detail17trampoline_kernelINS0_14default_configENS1_35adjacent_difference_config_selectorILb1ElEEZNS1_24adjacent_difference_implIS3_Lb1ELb0EPlS7_N6thrust23THRUST_200600_302600_NS5minusIlEEEE10hipError_tPvRmT2_T3_mT4_P12ihipStream_tbEUlT_E_NS1_11comp_targetILNS1_3genE2ELNS1_11target_archE906ELNS1_3gpuE6ELNS1_3repE0EEENS1_30default_config_static_selectorELNS0_4arch9wavefront6targetE1EEEvT1_.num_named_barrier, 0
	.set _ZN7rocprim17ROCPRIM_400000_NS6detail17trampoline_kernelINS0_14default_configENS1_35adjacent_difference_config_selectorILb1ElEEZNS1_24adjacent_difference_implIS3_Lb1ELb0EPlS7_N6thrust23THRUST_200600_302600_NS5minusIlEEEE10hipError_tPvRmT2_T3_mT4_P12ihipStream_tbEUlT_E_NS1_11comp_targetILNS1_3genE2ELNS1_11target_archE906ELNS1_3gpuE6ELNS1_3repE0EEENS1_30default_config_static_selectorELNS0_4arch9wavefront6targetE1EEEvT1_.private_seg_size, 0
	.set _ZN7rocprim17ROCPRIM_400000_NS6detail17trampoline_kernelINS0_14default_configENS1_35adjacent_difference_config_selectorILb1ElEEZNS1_24adjacent_difference_implIS3_Lb1ELb0EPlS7_N6thrust23THRUST_200600_302600_NS5minusIlEEEE10hipError_tPvRmT2_T3_mT4_P12ihipStream_tbEUlT_E_NS1_11comp_targetILNS1_3genE2ELNS1_11target_archE906ELNS1_3gpuE6ELNS1_3repE0EEENS1_30default_config_static_selectorELNS0_4arch9wavefront6targetE1EEEvT1_.uses_vcc, 0
	.set _ZN7rocprim17ROCPRIM_400000_NS6detail17trampoline_kernelINS0_14default_configENS1_35adjacent_difference_config_selectorILb1ElEEZNS1_24adjacent_difference_implIS3_Lb1ELb0EPlS7_N6thrust23THRUST_200600_302600_NS5minusIlEEEE10hipError_tPvRmT2_T3_mT4_P12ihipStream_tbEUlT_E_NS1_11comp_targetILNS1_3genE2ELNS1_11target_archE906ELNS1_3gpuE6ELNS1_3repE0EEENS1_30default_config_static_selectorELNS0_4arch9wavefront6targetE1EEEvT1_.uses_flat_scratch, 0
	.set _ZN7rocprim17ROCPRIM_400000_NS6detail17trampoline_kernelINS0_14default_configENS1_35adjacent_difference_config_selectorILb1ElEEZNS1_24adjacent_difference_implIS3_Lb1ELb0EPlS7_N6thrust23THRUST_200600_302600_NS5minusIlEEEE10hipError_tPvRmT2_T3_mT4_P12ihipStream_tbEUlT_E_NS1_11comp_targetILNS1_3genE2ELNS1_11target_archE906ELNS1_3gpuE6ELNS1_3repE0EEENS1_30default_config_static_selectorELNS0_4arch9wavefront6targetE1EEEvT1_.has_dyn_sized_stack, 0
	.set _ZN7rocprim17ROCPRIM_400000_NS6detail17trampoline_kernelINS0_14default_configENS1_35adjacent_difference_config_selectorILb1ElEEZNS1_24adjacent_difference_implIS3_Lb1ELb0EPlS7_N6thrust23THRUST_200600_302600_NS5minusIlEEEE10hipError_tPvRmT2_T3_mT4_P12ihipStream_tbEUlT_E_NS1_11comp_targetILNS1_3genE2ELNS1_11target_archE906ELNS1_3gpuE6ELNS1_3repE0EEENS1_30default_config_static_selectorELNS0_4arch9wavefront6targetE1EEEvT1_.has_recursion, 0
	.set _ZN7rocprim17ROCPRIM_400000_NS6detail17trampoline_kernelINS0_14default_configENS1_35adjacent_difference_config_selectorILb1ElEEZNS1_24adjacent_difference_implIS3_Lb1ELb0EPlS7_N6thrust23THRUST_200600_302600_NS5minusIlEEEE10hipError_tPvRmT2_T3_mT4_P12ihipStream_tbEUlT_E_NS1_11comp_targetILNS1_3genE2ELNS1_11target_archE906ELNS1_3gpuE6ELNS1_3repE0EEENS1_30default_config_static_selectorELNS0_4arch9wavefront6targetE1EEEvT1_.has_indirect_call, 0
	.section	.AMDGPU.csdata,"",@progbits
; Kernel info:
; codeLenInByte = 0
; TotalNumSgprs: 6
; NumVgprs: 0
; NumAgprs: 0
; TotalNumVgprs: 0
; ScratchSize: 0
; MemoryBound: 0
; FloatMode: 240
; IeeeMode: 1
; LDSByteSize: 0 bytes/workgroup (compile time only)
; SGPRBlocks: 0
; VGPRBlocks: 0
; NumSGPRsForWavesPerEU: 6
; NumVGPRsForWavesPerEU: 1
; AccumOffset: 4
; Occupancy: 8
; WaveLimiterHint : 0
; COMPUTE_PGM_RSRC2:SCRATCH_EN: 0
; COMPUTE_PGM_RSRC2:USER_SGPR: 2
; COMPUTE_PGM_RSRC2:TRAP_HANDLER: 0
; COMPUTE_PGM_RSRC2:TGID_X_EN: 1
; COMPUTE_PGM_RSRC2:TGID_Y_EN: 0
; COMPUTE_PGM_RSRC2:TGID_Z_EN: 0
; COMPUTE_PGM_RSRC2:TIDIG_COMP_CNT: 0
; COMPUTE_PGM_RSRC3_GFX90A:ACCUM_OFFSET: 0
; COMPUTE_PGM_RSRC3_GFX90A:TG_SPLIT: 0
	.section	.text._ZN7rocprim17ROCPRIM_400000_NS6detail17trampoline_kernelINS0_14default_configENS1_35adjacent_difference_config_selectorILb1ElEEZNS1_24adjacent_difference_implIS3_Lb1ELb0EPlS7_N6thrust23THRUST_200600_302600_NS5minusIlEEEE10hipError_tPvRmT2_T3_mT4_P12ihipStream_tbEUlT_E_NS1_11comp_targetILNS1_3genE9ELNS1_11target_archE1100ELNS1_3gpuE3ELNS1_3repE0EEENS1_30default_config_static_selectorELNS0_4arch9wavefront6targetE1EEEvT1_,"axG",@progbits,_ZN7rocprim17ROCPRIM_400000_NS6detail17trampoline_kernelINS0_14default_configENS1_35adjacent_difference_config_selectorILb1ElEEZNS1_24adjacent_difference_implIS3_Lb1ELb0EPlS7_N6thrust23THRUST_200600_302600_NS5minusIlEEEE10hipError_tPvRmT2_T3_mT4_P12ihipStream_tbEUlT_E_NS1_11comp_targetILNS1_3genE9ELNS1_11target_archE1100ELNS1_3gpuE3ELNS1_3repE0EEENS1_30default_config_static_selectorELNS0_4arch9wavefront6targetE1EEEvT1_,comdat
	.protected	_ZN7rocprim17ROCPRIM_400000_NS6detail17trampoline_kernelINS0_14default_configENS1_35adjacent_difference_config_selectorILb1ElEEZNS1_24adjacent_difference_implIS3_Lb1ELb0EPlS7_N6thrust23THRUST_200600_302600_NS5minusIlEEEE10hipError_tPvRmT2_T3_mT4_P12ihipStream_tbEUlT_E_NS1_11comp_targetILNS1_3genE9ELNS1_11target_archE1100ELNS1_3gpuE3ELNS1_3repE0EEENS1_30default_config_static_selectorELNS0_4arch9wavefront6targetE1EEEvT1_ ; -- Begin function _ZN7rocprim17ROCPRIM_400000_NS6detail17trampoline_kernelINS0_14default_configENS1_35adjacent_difference_config_selectorILb1ElEEZNS1_24adjacent_difference_implIS3_Lb1ELb0EPlS7_N6thrust23THRUST_200600_302600_NS5minusIlEEEE10hipError_tPvRmT2_T3_mT4_P12ihipStream_tbEUlT_E_NS1_11comp_targetILNS1_3genE9ELNS1_11target_archE1100ELNS1_3gpuE3ELNS1_3repE0EEENS1_30default_config_static_selectorELNS0_4arch9wavefront6targetE1EEEvT1_
	.globl	_ZN7rocprim17ROCPRIM_400000_NS6detail17trampoline_kernelINS0_14default_configENS1_35adjacent_difference_config_selectorILb1ElEEZNS1_24adjacent_difference_implIS3_Lb1ELb0EPlS7_N6thrust23THRUST_200600_302600_NS5minusIlEEEE10hipError_tPvRmT2_T3_mT4_P12ihipStream_tbEUlT_E_NS1_11comp_targetILNS1_3genE9ELNS1_11target_archE1100ELNS1_3gpuE3ELNS1_3repE0EEENS1_30default_config_static_selectorELNS0_4arch9wavefront6targetE1EEEvT1_
	.p2align	8
	.type	_ZN7rocprim17ROCPRIM_400000_NS6detail17trampoline_kernelINS0_14default_configENS1_35adjacent_difference_config_selectorILb1ElEEZNS1_24adjacent_difference_implIS3_Lb1ELb0EPlS7_N6thrust23THRUST_200600_302600_NS5minusIlEEEE10hipError_tPvRmT2_T3_mT4_P12ihipStream_tbEUlT_E_NS1_11comp_targetILNS1_3genE9ELNS1_11target_archE1100ELNS1_3gpuE3ELNS1_3repE0EEENS1_30default_config_static_selectorELNS0_4arch9wavefront6targetE1EEEvT1_,@function
_ZN7rocprim17ROCPRIM_400000_NS6detail17trampoline_kernelINS0_14default_configENS1_35adjacent_difference_config_selectorILb1ElEEZNS1_24adjacent_difference_implIS3_Lb1ELb0EPlS7_N6thrust23THRUST_200600_302600_NS5minusIlEEEE10hipError_tPvRmT2_T3_mT4_P12ihipStream_tbEUlT_E_NS1_11comp_targetILNS1_3genE9ELNS1_11target_archE1100ELNS1_3gpuE3ELNS1_3repE0EEENS1_30default_config_static_selectorELNS0_4arch9wavefront6targetE1EEEvT1_: ; @_ZN7rocprim17ROCPRIM_400000_NS6detail17trampoline_kernelINS0_14default_configENS1_35adjacent_difference_config_selectorILb1ElEEZNS1_24adjacent_difference_implIS3_Lb1ELb0EPlS7_N6thrust23THRUST_200600_302600_NS5minusIlEEEE10hipError_tPvRmT2_T3_mT4_P12ihipStream_tbEUlT_E_NS1_11comp_targetILNS1_3genE9ELNS1_11target_archE1100ELNS1_3gpuE3ELNS1_3repE0EEENS1_30default_config_static_selectorELNS0_4arch9wavefront6targetE1EEEvT1_
; %bb.0:
	.section	.rodata,"a",@progbits
	.p2align	6, 0x0
	.amdhsa_kernel _ZN7rocprim17ROCPRIM_400000_NS6detail17trampoline_kernelINS0_14default_configENS1_35adjacent_difference_config_selectorILb1ElEEZNS1_24adjacent_difference_implIS3_Lb1ELb0EPlS7_N6thrust23THRUST_200600_302600_NS5minusIlEEEE10hipError_tPvRmT2_T3_mT4_P12ihipStream_tbEUlT_E_NS1_11comp_targetILNS1_3genE9ELNS1_11target_archE1100ELNS1_3gpuE3ELNS1_3repE0EEENS1_30default_config_static_selectorELNS0_4arch9wavefront6targetE1EEEvT1_
		.amdhsa_group_segment_fixed_size 0
		.amdhsa_private_segment_fixed_size 0
		.amdhsa_kernarg_size 56
		.amdhsa_user_sgpr_count 2
		.amdhsa_user_sgpr_dispatch_ptr 0
		.amdhsa_user_sgpr_queue_ptr 0
		.amdhsa_user_sgpr_kernarg_segment_ptr 1
		.amdhsa_user_sgpr_dispatch_id 0
		.amdhsa_user_sgpr_kernarg_preload_length 0
		.amdhsa_user_sgpr_kernarg_preload_offset 0
		.amdhsa_user_sgpr_private_segment_size 0
		.amdhsa_uses_dynamic_stack 0
		.amdhsa_enable_private_segment 0
		.amdhsa_system_sgpr_workgroup_id_x 1
		.amdhsa_system_sgpr_workgroup_id_y 0
		.amdhsa_system_sgpr_workgroup_id_z 0
		.amdhsa_system_sgpr_workgroup_info 0
		.amdhsa_system_vgpr_workitem_id 0
		.amdhsa_next_free_vgpr 1
		.amdhsa_next_free_sgpr 0
		.amdhsa_accum_offset 4
		.amdhsa_reserve_vcc 0
		.amdhsa_float_round_mode_32 0
		.amdhsa_float_round_mode_16_64 0
		.amdhsa_float_denorm_mode_32 3
		.amdhsa_float_denorm_mode_16_64 3
		.amdhsa_dx10_clamp 1
		.amdhsa_ieee_mode 1
		.amdhsa_fp16_overflow 0
		.amdhsa_tg_split 0
		.amdhsa_exception_fp_ieee_invalid_op 0
		.amdhsa_exception_fp_denorm_src 0
		.amdhsa_exception_fp_ieee_div_zero 0
		.amdhsa_exception_fp_ieee_overflow 0
		.amdhsa_exception_fp_ieee_underflow 0
		.amdhsa_exception_fp_ieee_inexact 0
		.amdhsa_exception_int_div_zero 0
	.end_amdhsa_kernel
	.section	.text._ZN7rocprim17ROCPRIM_400000_NS6detail17trampoline_kernelINS0_14default_configENS1_35adjacent_difference_config_selectorILb1ElEEZNS1_24adjacent_difference_implIS3_Lb1ELb0EPlS7_N6thrust23THRUST_200600_302600_NS5minusIlEEEE10hipError_tPvRmT2_T3_mT4_P12ihipStream_tbEUlT_E_NS1_11comp_targetILNS1_3genE9ELNS1_11target_archE1100ELNS1_3gpuE3ELNS1_3repE0EEENS1_30default_config_static_selectorELNS0_4arch9wavefront6targetE1EEEvT1_,"axG",@progbits,_ZN7rocprim17ROCPRIM_400000_NS6detail17trampoline_kernelINS0_14default_configENS1_35adjacent_difference_config_selectorILb1ElEEZNS1_24adjacent_difference_implIS3_Lb1ELb0EPlS7_N6thrust23THRUST_200600_302600_NS5minusIlEEEE10hipError_tPvRmT2_T3_mT4_P12ihipStream_tbEUlT_E_NS1_11comp_targetILNS1_3genE9ELNS1_11target_archE1100ELNS1_3gpuE3ELNS1_3repE0EEENS1_30default_config_static_selectorELNS0_4arch9wavefront6targetE1EEEvT1_,comdat
.Lfunc_end259:
	.size	_ZN7rocprim17ROCPRIM_400000_NS6detail17trampoline_kernelINS0_14default_configENS1_35adjacent_difference_config_selectorILb1ElEEZNS1_24adjacent_difference_implIS3_Lb1ELb0EPlS7_N6thrust23THRUST_200600_302600_NS5minusIlEEEE10hipError_tPvRmT2_T3_mT4_P12ihipStream_tbEUlT_E_NS1_11comp_targetILNS1_3genE9ELNS1_11target_archE1100ELNS1_3gpuE3ELNS1_3repE0EEENS1_30default_config_static_selectorELNS0_4arch9wavefront6targetE1EEEvT1_, .Lfunc_end259-_ZN7rocprim17ROCPRIM_400000_NS6detail17trampoline_kernelINS0_14default_configENS1_35adjacent_difference_config_selectorILb1ElEEZNS1_24adjacent_difference_implIS3_Lb1ELb0EPlS7_N6thrust23THRUST_200600_302600_NS5minusIlEEEE10hipError_tPvRmT2_T3_mT4_P12ihipStream_tbEUlT_E_NS1_11comp_targetILNS1_3genE9ELNS1_11target_archE1100ELNS1_3gpuE3ELNS1_3repE0EEENS1_30default_config_static_selectorELNS0_4arch9wavefront6targetE1EEEvT1_
                                        ; -- End function
	.set _ZN7rocprim17ROCPRIM_400000_NS6detail17trampoline_kernelINS0_14default_configENS1_35adjacent_difference_config_selectorILb1ElEEZNS1_24adjacent_difference_implIS3_Lb1ELb0EPlS7_N6thrust23THRUST_200600_302600_NS5minusIlEEEE10hipError_tPvRmT2_T3_mT4_P12ihipStream_tbEUlT_E_NS1_11comp_targetILNS1_3genE9ELNS1_11target_archE1100ELNS1_3gpuE3ELNS1_3repE0EEENS1_30default_config_static_selectorELNS0_4arch9wavefront6targetE1EEEvT1_.num_vgpr, 0
	.set _ZN7rocprim17ROCPRIM_400000_NS6detail17trampoline_kernelINS0_14default_configENS1_35adjacent_difference_config_selectorILb1ElEEZNS1_24adjacent_difference_implIS3_Lb1ELb0EPlS7_N6thrust23THRUST_200600_302600_NS5minusIlEEEE10hipError_tPvRmT2_T3_mT4_P12ihipStream_tbEUlT_E_NS1_11comp_targetILNS1_3genE9ELNS1_11target_archE1100ELNS1_3gpuE3ELNS1_3repE0EEENS1_30default_config_static_selectorELNS0_4arch9wavefront6targetE1EEEvT1_.num_agpr, 0
	.set _ZN7rocprim17ROCPRIM_400000_NS6detail17trampoline_kernelINS0_14default_configENS1_35adjacent_difference_config_selectorILb1ElEEZNS1_24adjacent_difference_implIS3_Lb1ELb0EPlS7_N6thrust23THRUST_200600_302600_NS5minusIlEEEE10hipError_tPvRmT2_T3_mT4_P12ihipStream_tbEUlT_E_NS1_11comp_targetILNS1_3genE9ELNS1_11target_archE1100ELNS1_3gpuE3ELNS1_3repE0EEENS1_30default_config_static_selectorELNS0_4arch9wavefront6targetE1EEEvT1_.numbered_sgpr, 0
	.set _ZN7rocprim17ROCPRIM_400000_NS6detail17trampoline_kernelINS0_14default_configENS1_35adjacent_difference_config_selectorILb1ElEEZNS1_24adjacent_difference_implIS3_Lb1ELb0EPlS7_N6thrust23THRUST_200600_302600_NS5minusIlEEEE10hipError_tPvRmT2_T3_mT4_P12ihipStream_tbEUlT_E_NS1_11comp_targetILNS1_3genE9ELNS1_11target_archE1100ELNS1_3gpuE3ELNS1_3repE0EEENS1_30default_config_static_selectorELNS0_4arch9wavefront6targetE1EEEvT1_.num_named_barrier, 0
	.set _ZN7rocprim17ROCPRIM_400000_NS6detail17trampoline_kernelINS0_14default_configENS1_35adjacent_difference_config_selectorILb1ElEEZNS1_24adjacent_difference_implIS3_Lb1ELb0EPlS7_N6thrust23THRUST_200600_302600_NS5minusIlEEEE10hipError_tPvRmT2_T3_mT4_P12ihipStream_tbEUlT_E_NS1_11comp_targetILNS1_3genE9ELNS1_11target_archE1100ELNS1_3gpuE3ELNS1_3repE0EEENS1_30default_config_static_selectorELNS0_4arch9wavefront6targetE1EEEvT1_.private_seg_size, 0
	.set _ZN7rocprim17ROCPRIM_400000_NS6detail17trampoline_kernelINS0_14default_configENS1_35adjacent_difference_config_selectorILb1ElEEZNS1_24adjacent_difference_implIS3_Lb1ELb0EPlS7_N6thrust23THRUST_200600_302600_NS5minusIlEEEE10hipError_tPvRmT2_T3_mT4_P12ihipStream_tbEUlT_E_NS1_11comp_targetILNS1_3genE9ELNS1_11target_archE1100ELNS1_3gpuE3ELNS1_3repE0EEENS1_30default_config_static_selectorELNS0_4arch9wavefront6targetE1EEEvT1_.uses_vcc, 0
	.set _ZN7rocprim17ROCPRIM_400000_NS6detail17trampoline_kernelINS0_14default_configENS1_35adjacent_difference_config_selectorILb1ElEEZNS1_24adjacent_difference_implIS3_Lb1ELb0EPlS7_N6thrust23THRUST_200600_302600_NS5minusIlEEEE10hipError_tPvRmT2_T3_mT4_P12ihipStream_tbEUlT_E_NS1_11comp_targetILNS1_3genE9ELNS1_11target_archE1100ELNS1_3gpuE3ELNS1_3repE0EEENS1_30default_config_static_selectorELNS0_4arch9wavefront6targetE1EEEvT1_.uses_flat_scratch, 0
	.set _ZN7rocprim17ROCPRIM_400000_NS6detail17trampoline_kernelINS0_14default_configENS1_35adjacent_difference_config_selectorILb1ElEEZNS1_24adjacent_difference_implIS3_Lb1ELb0EPlS7_N6thrust23THRUST_200600_302600_NS5minusIlEEEE10hipError_tPvRmT2_T3_mT4_P12ihipStream_tbEUlT_E_NS1_11comp_targetILNS1_3genE9ELNS1_11target_archE1100ELNS1_3gpuE3ELNS1_3repE0EEENS1_30default_config_static_selectorELNS0_4arch9wavefront6targetE1EEEvT1_.has_dyn_sized_stack, 0
	.set _ZN7rocprim17ROCPRIM_400000_NS6detail17trampoline_kernelINS0_14default_configENS1_35adjacent_difference_config_selectorILb1ElEEZNS1_24adjacent_difference_implIS3_Lb1ELb0EPlS7_N6thrust23THRUST_200600_302600_NS5minusIlEEEE10hipError_tPvRmT2_T3_mT4_P12ihipStream_tbEUlT_E_NS1_11comp_targetILNS1_3genE9ELNS1_11target_archE1100ELNS1_3gpuE3ELNS1_3repE0EEENS1_30default_config_static_selectorELNS0_4arch9wavefront6targetE1EEEvT1_.has_recursion, 0
	.set _ZN7rocprim17ROCPRIM_400000_NS6detail17trampoline_kernelINS0_14default_configENS1_35adjacent_difference_config_selectorILb1ElEEZNS1_24adjacent_difference_implIS3_Lb1ELb0EPlS7_N6thrust23THRUST_200600_302600_NS5minusIlEEEE10hipError_tPvRmT2_T3_mT4_P12ihipStream_tbEUlT_E_NS1_11comp_targetILNS1_3genE9ELNS1_11target_archE1100ELNS1_3gpuE3ELNS1_3repE0EEENS1_30default_config_static_selectorELNS0_4arch9wavefront6targetE1EEEvT1_.has_indirect_call, 0
	.section	.AMDGPU.csdata,"",@progbits
; Kernel info:
; codeLenInByte = 0
; TotalNumSgprs: 6
; NumVgprs: 0
; NumAgprs: 0
; TotalNumVgprs: 0
; ScratchSize: 0
; MemoryBound: 0
; FloatMode: 240
; IeeeMode: 1
; LDSByteSize: 0 bytes/workgroup (compile time only)
; SGPRBlocks: 0
; VGPRBlocks: 0
; NumSGPRsForWavesPerEU: 6
; NumVGPRsForWavesPerEU: 1
; AccumOffset: 4
; Occupancy: 8
; WaveLimiterHint : 0
; COMPUTE_PGM_RSRC2:SCRATCH_EN: 0
; COMPUTE_PGM_RSRC2:USER_SGPR: 2
; COMPUTE_PGM_RSRC2:TRAP_HANDLER: 0
; COMPUTE_PGM_RSRC2:TGID_X_EN: 1
; COMPUTE_PGM_RSRC2:TGID_Y_EN: 0
; COMPUTE_PGM_RSRC2:TGID_Z_EN: 0
; COMPUTE_PGM_RSRC2:TIDIG_COMP_CNT: 0
; COMPUTE_PGM_RSRC3_GFX90A:ACCUM_OFFSET: 0
; COMPUTE_PGM_RSRC3_GFX90A:TG_SPLIT: 0
	.section	.text._ZN7rocprim17ROCPRIM_400000_NS6detail17trampoline_kernelINS0_14default_configENS1_35adjacent_difference_config_selectorILb1ElEEZNS1_24adjacent_difference_implIS3_Lb1ELb0EPlS7_N6thrust23THRUST_200600_302600_NS5minusIlEEEE10hipError_tPvRmT2_T3_mT4_P12ihipStream_tbEUlT_E_NS1_11comp_targetILNS1_3genE8ELNS1_11target_archE1030ELNS1_3gpuE2ELNS1_3repE0EEENS1_30default_config_static_selectorELNS0_4arch9wavefront6targetE1EEEvT1_,"axG",@progbits,_ZN7rocprim17ROCPRIM_400000_NS6detail17trampoline_kernelINS0_14default_configENS1_35adjacent_difference_config_selectorILb1ElEEZNS1_24adjacent_difference_implIS3_Lb1ELb0EPlS7_N6thrust23THRUST_200600_302600_NS5minusIlEEEE10hipError_tPvRmT2_T3_mT4_P12ihipStream_tbEUlT_E_NS1_11comp_targetILNS1_3genE8ELNS1_11target_archE1030ELNS1_3gpuE2ELNS1_3repE0EEENS1_30default_config_static_selectorELNS0_4arch9wavefront6targetE1EEEvT1_,comdat
	.protected	_ZN7rocprim17ROCPRIM_400000_NS6detail17trampoline_kernelINS0_14default_configENS1_35adjacent_difference_config_selectorILb1ElEEZNS1_24adjacent_difference_implIS3_Lb1ELb0EPlS7_N6thrust23THRUST_200600_302600_NS5minusIlEEEE10hipError_tPvRmT2_T3_mT4_P12ihipStream_tbEUlT_E_NS1_11comp_targetILNS1_3genE8ELNS1_11target_archE1030ELNS1_3gpuE2ELNS1_3repE0EEENS1_30default_config_static_selectorELNS0_4arch9wavefront6targetE1EEEvT1_ ; -- Begin function _ZN7rocprim17ROCPRIM_400000_NS6detail17trampoline_kernelINS0_14default_configENS1_35adjacent_difference_config_selectorILb1ElEEZNS1_24adjacent_difference_implIS3_Lb1ELb0EPlS7_N6thrust23THRUST_200600_302600_NS5minusIlEEEE10hipError_tPvRmT2_T3_mT4_P12ihipStream_tbEUlT_E_NS1_11comp_targetILNS1_3genE8ELNS1_11target_archE1030ELNS1_3gpuE2ELNS1_3repE0EEENS1_30default_config_static_selectorELNS0_4arch9wavefront6targetE1EEEvT1_
	.globl	_ZN7rocprim17ROCPRIM_400000_NS6detail17trampoline_kernelINS0_14default_configENS1_35adjacent_difference_config_selectorILb1ElEEZNS1_24adjacent_difference_implIS3_Lb1ELb0EPlS7_N6thrust23THRUST_200600_302600_NS5minusIlEEEE10hipError_tPvRmT2_T3_mT4_P12ihipStream_tbEUlT_E_NS1_11comp_targetILNS1_3genE8ELNS1_11target_archE1030ELNS1_3gpuE2ELNS1_3repE0EEENS1_30default_config_static_selectorELNS0_4arch9wavefront6targetE1EEEvT1_
	.p2align	8
	.type	_ZN7rocprim17ROCPRIM_400000_NS6detail17trampoline_kernelINS0_14default_configENS1_35adjacent_difference_config_selectorILb1ElEEZNS1_24adjacent_difference_implIS3_Lb1ELb0EPlS7_N6thrust23THRUST_200600_302600_NS5minusIlEEEE10hipError_tPvRmT2_T3_mT4_P12ihipStream_tbEUlT_E_NS1_11comp_targetILNS1_3genE8ELNS1_11target_archE1030ELNS1_3gpuE2ELNS1_3repE0EEENS1_30default_config_static_selectorELNS0_4arch9wavefront6targetE1EEEvT1_,@function
_ZN7rocprim17ROCPRIM_400000_NS6detail17trampoline_kernelINS0_14default_configENS1_35adjacent_difference_config_selectorILb1ElEEZNS1_24adjacent_difference_implIS3_Lb1ELb0EPlS7_N6thrust23THRUST_200600_302600_NS5minusIlEEEE10hipError_tPvRmT2_T3_mT4_P12ihipStream_tbEUlT_E_NS1_11comp_targetILNS1_3genE8ELNS1_11target_archE1030ELNS1_3gpuE2ELNS1_3repE0EEENS1_30default_config_static_selectorELNS0_4arch9wavefront6targetE1EEEvT1_: ; @_ZN7rocprim17ROCPRIM_400000_NS6detail17trampoline_kernelINS0_14default_configENS1_35adjacent_difference_config_selectorILb1ElEEZNS1_24adjacent_difference_implIS3_Lb1ELb0EPlS7_N6thrust23THRUST_200600_302600_NS5minusIlEEEE10hipError_tPvRmT2_T3_mT4_P12ihipStream_tbEUlT_E_NS1_11comp_targetILNS1_3genE8ELNS1_11target_archE1030ELNS1_3gpuE2ELNS1_3repE0EEENS1_30default_config_static_selectorELNS0_4arch9wavefront6targetE1EEEvT1_
; %bb.0:
	.section	.rodata,"a",@progbits
	.p2align	6, 0x0
	.amdhsa_kernel _ZN7rocprim17ROCPRIM_400000_NS6detail17trampoline_kernelINS0_14default_configENS1_35adjacent_difference_config_selectorILb1ElEEZNS1_24adjacent_difference_implIS3_Lb1ELb0EPlS7_N6thrust23THRUST_200600_302600_NS5minusIlEEEE10hipError_tPvRmT2_T3_mT4_P12ihipStream_tbEUlT_E_NS1_11comp_targetILNS1_3genE8ELNS1_11target_archE1030ELNS1_3gpuE2ELNS1_3repE0EEENS1_30default_config_static_selectorELNS0_4arch9wavefront6targetE1EEEvT1_
		.amdhsa_group_segment_fixed_size 0
		.amdhsa_private_segment_fixed_size 0
		.amdhsa_kernarg_size 56
		.amdhsa_user_sgpr_count 2
		.amdhsa_user_sgpr_dispatch_ptr 0
		.amdhsa_user_sgpr_queue_ptr 0
		.amdhsa_user_sgpr_kernarg_segment_ptr 1
		.amdhsa_user_sgpr_dispatch_id 0
		.amdhsa_user_sgpr_kernarg_preload_length 0
		.amdhsa_user_sgpr_kernarg_preload_offset 0
		.amdhsa_user_sgpr_private_segment_size 0
		.amdhsa_uses_dynamic_stack 0
		.amdhsa_enable_private_segment 0
		.amdhsa_system_sgpr_workgroup_id_x 1
		.amdhsa_system_sgpr_workgroup_id_y 0
		.amdhsa_system_sgpr_workgroup_id_z 0
		.amdhsa_system_sgpr_workgroup_info 0
		.amdhsa_system_vgpr_workitem_id 0
		.amdhsa_next_free_vgpr 1
		.amdhsa_next_free_sgpr 0
		.amdhsa_accum_offset 4
		.amdhsa_reserve_vcc 0
		.amdhsa_float_round_mode_32 0
		.amdhsa_float_round_mode_16_64 0
		.amdhsa_float_denorm_mode_32 3
		.amdhsa_float_denorm_mode_16_64 3
		.amdhsa_dx10_clamp 1
		.amdhsa_ieee_mode 1
		.amdhsa_fp16_overflow 0
		.amdhsa_tg_split 0
		.amdhsa_exception_fp_ieee_invalid_op 0
		.amdhsa_exception_fp_denorm_src 0
		.amdhsa_exception_fp_ieee_div_zero 0
		.amdhsa_exception_fp_ieee_overflow 0
		.amdhsa_exception_fp_ieee_underflow 0
		.amdhsa_exception_fp_ieee_inexact 0
		.amdhsa_exception_int_div_zero 0
	.end_amdhsa_kernel
	.section	.text._ZN7rocprim17ROCPRIM_400000_NS6detail17trampoline_kernelINS0_14default_configENS1_35adjacent_difference_config_selectorILb1ElEEZNS1_24adjacent_difference_implIS3_Lb1ELb0EPlS7_N6thrust23THRUST_200600_302600_NS5minusIlEEEE10hipError_tPvRmT2_T3_mT4_P12ihipStream_tbEUlT_E_NS1_11comp_targetILNS1_3genE8ELNS1_11target_archE1030ELNS1_3gpuE2ELNS1_3repE0EEENS1_30default_config_static_selectorELNS0_4arch9wavefront6targetE1EEEvT1_,"axG",@progbits,_ZN7rocprim17ROCPRIM_400000_NS6detail17trampoline_kernelINS0_14default_configENS1_35adjacent_difference_config_selectorILb1ElEEZNS1_24adjacent_difference_implIS3_Lb1ELb0EPlS7_N6thrust23THRUST_200600_302600_NS5minusIlEEEE10hipError_tPvRmT2_T3_mT4_P12ihipStream_tbEUlT_E_NS1_11comp_targetILNS1_3genE8ELNS1_11target_archE1030ELNS1_3gpuE2ELNS1_3repE0EEENS1_30default_config_static_selectorELNS0_4arch9wavefront6targetE1EEEvT1_,comdat
.Lfunc_end260:
	.size	_ZN7rocprim17ROCPRIM_400000_NS6detail17trampoline_kernelINS0_14default_configENS1_35adjacent_difference_config_selectorILb1ElEEZNS1_24adjacent_difference_implIS3_Lb1ELb0EPlS7_N6thrust23THRUST_200600_302600_NS5minusIlEEEE10hipError_tPvRmT2_T3_mT4_P12ihipStream_tbEUlT_E_NS1_11comp_targetILNS1_3genE8ELNS1_11target_archE1030ELNS1_3gpuE2ELNS1_3repE0EEENS1_30default_config_static_selectorELNS0_4arch9wavefront6targetE1EEEvT1_, .Lfunc_end260-_ZN7rocprim17ROCPRIM_400000_NS6detail17trampoline_kernelINS0_14default_configENS1_35adjacent_difference_config_selectorILb1ElEEZNS1_24adjacent_difference_implIS3_Lb1ELb0EPlS7_N6thrust23THRUST_200600_302600_NS5minusIlEEEE10hipError_tPvRmT2_T3_mT4_P12ihipStream_tbEUlT_E_NS1_11comp_targetILNS1_3genE8ELNS1_11target_archE1030ELNS1_3gpuE2ELNS1_3repE0EEENS1_30default_config_static_selectorELNS0_4arch9wavefront6targetE1EEEvT1_
                                        ; -- End function
	.set _ZN7rocprim17ROCPRIM_400000_NS6detail17trampoline_kernelINS0_14default_configENS1_35adjacent_difference_config_selectorILb1ElEEZNS1_24adjacent_difference_implIS3_Lb1ELb0EPlS7_N6thrust23THRUST_200600_302600_NS5minusIlEEEE10hipError_tPvRmT2_T3_mT4_P12ihipStream_tbEUlT_E_NS1_11comp_targetILNS1_3genE8ELNS1_11target_archE1030ELNS1_3gpuE2ELNS1_3repE0EEENS1_30default_config_static_selectorELNS0_4arch9wavefront6targetE1EEEvT1_.num_vgpr, 0
	.set _ZN7rocprim17ROCPRIM_400000_NS6detail17trampoline_kernelINS0_14default_configENS1_35adjacent_difference_config_selectorILb1ElEEZNS1_24adjacent_difference_implIS3_Lb1ELb0EPlS7_N6thrust23THRUST_200600_302600_NS5minusIlEEEE10hipError_tPvRmT2_T3_mT4_P12ihipStream_tbEUlT_E_NS1_11comp_targetILNS1_3genE8ELNS1_11target_archE1030ELNS1_3gpuE2ELNS1_3repE0EEENS1_30default_config_static_selectorELNS0_4arch9wavefront6targetE1EEEvT1_.num_agpr, 0
	.set _ZN7rocprim17ROCPRIM_400000_NS6detail17trampoline_kernelINS0_14default_configENS1_35adjacent_difference_config_selectorILb1ElEEZNS1_24adjacent_difference_implIS3_Lb1ELb0EPlS7_N6thrust23THRUST_200600_302600_NS5minusIlEEEE10hipError_tPvRmT2_T3_mT4_P12ihipStream_tbEUlT_E_NS1_11comp_targetILNS1_3genE8ELNS1_11target_archE1030ELNS1_3gpuE2ELNS1_3repE0EEENS1_30default_config_static_selectorELNS0_4arch9wavefront6targetE1EEEvT1_.numbered_sgpr, 0
	.set _ZN7rocprim17ROCPRIM_400000_NS6detail17trampoline_kernelINS0_14default_configENS1_35adjacent_difference_config_selectorILb1ElEEZNS1_24adjacent_difference_implIS3_Lb1ELb0EPlS7_N6thrust23THRUST_200600_302600_NS5minusIlEEEE10hipError_tPvRmT2_T3_mT4_P12ihipStream_tbEUlT_E_NS1_11comp_targetILNS1_3genE8ELNS1_11target_archE1030ELNS1_3gpuE2ELNS1_3repE0EEENS1_30default_config_static_selectorELNS0_4arch9wavefront6targetE1EEEvT1_.num_named_barrier, 0
	.set _ZN7rocprim17ROCPRIM_400000_NS6detail17trampoline_kernelINS0_14default_configENS1_35adjacent_difference_config_selectorILb1ElEEZNS1_24adjacent_difference_implIS3_Lb1ELb0EPlS7_N6thrust23THRUST_200600_302600_NS5minusIlEEEE10hipError_tPvRmT2_T3_mT4_P12ihipStream_tbEUlT_E_NS1_11comp_targetILNS1_3genE8ELNS1_11target_archE1030ELNS1_3gpuE2ELNS1_3repE0EEENS1_30default_config_static_selectorELNS0_4arch9wavefront6targetE1EEEvT1_.private_seg_size, 0
	.set _ZN7rocprim17ROCPRIM_400000_NS6detail17trampoline_kernelINS0_14default_configENS1_35adjacent_difference_config_selectorILb1ElEEZNS1_24adjacent_difference_implIS3_Lb1ELb0EPlS7_N6thrust23THRUST_200600_302600_NS5minusIlEEEE10hipError_tPvRmT2_T3_mT4_P12ihipStream_tbEUlT_E_NS1_11comp_targetILNS1_3genE8ELNS1_11target_archE1030ELNS1_3gpuE2ELNS1_3repE0EEENS1_30default_config_static_selectorELNS0_4arch9wavefront6targetE1EEEvT1_.uses_vcc, 0
	.set _ZN7rocprim17ROCPRIM_400000_NS6detail17trampoline_kernelINS0_14default_configENS1_35adjacent_difference_config_selectorILb1ElEEZNS1_24adjacent_difference_implIS3_Lb1ELb0EPlS7_N6thrust23THRUST_200600_302600_NS5minusIlEEEE10hipError_tPvRmT2_T3_mT4_P12ihipStream_tbEUlT_E_NS1_11comp_targetILNS1_3genE8ELNS1_11target_archE1030ELNS1_3gpuE2ELNS1_3repE0EEENS1_30default_config_static_selectorELNS0_4arch9wavefront6targetE1EEEvT1_.uses_flat_scratch, 0
	.set _ZN7rocprim17ROCPRIM_400000_NS6detail17trampoline_kernelINS0_14default_configENS1_35adjacent_difference_config_selectorILb1ElEEZNS1_24adjacent_difference_implIS3_Lb1ELb0EPlS7_N6thrust23THRUST_200600_302600_NS5minusIlEEEE10hipError_tPvRmT2_T3_mT4_P12ihipStream_tbEUlT_E_NS1_11comp_targetILNS1_3genE8ELNS1_11target_archE1030ELNS1_3gpuE2ELNS1_3repE0EEENS1_30default_config_static_selectorELNS0_4arch9wavefront6targetE1EEEvT1_.has_dyn_sized_stack, 0
	.set _ZN7rocprim17ROCPRIM_400000_NS6detail17trampoline_kernelINS0_14default_configENS1_35adjacent_difference_config_selectorILb1ElEEZNS1_24adjacent_difference_implIS3_Lb1ELb0EPlS7_N6thrust23THRUST_200600_302600_NS5minusIlEEEE10hipError_tPvRmT2_T3_mT4_P12ihipStream_tbEUlT_E_NS1_11comp_targetILNS1_3genE8ELNS1_11target_archE1030ELNS1_3gpuE2ELNS1_3repE0EEENS1_30default_config_static_selectorELNS0_4arch9wavefront6targetE1EEEvT1_.has_recursion, 0
	.set _ZN7rocprim17ROCPRIM_400000_NS6detail17trampoline_kernelINS0_14default_configENS1_35adjacent_difference_config_selectorILb1ElEEZNS1_24adjacent_difference_implIS3_Lb1ELb0EPlS7_N6thrust23THRUST_200600_302600_NS5minusIlEEEE10hipError_tPvRmT2_T3_mT4_P12ihipStream_tbEUlT_E_NS1_11comp_targetILNS1_3genE8ELNS1_11target_archE1030ELNS1_3gpuE2ELNS1_3repE0EEENS1_30default_config_static_selectorELNS0_4arch9wavefront6targetE1EEEvT1_.has_indirect_call, 0
	.section	.AMDGPU.csdata,"",@progbits
; Kernel info:
; codeLenInByte = 0
; TotalNumSgprs: 6
; NumVgprs: 0
; NumAgprs: 0
; TotalNumVgprs: 0
; ScratchSize: 0
; MemoryBound: 0
; FloatMode: 240
; IeeeMode: 1
; LDSByteSize: 0 bytes/workgroup (compile time only)
; SGPRBlocks: 0
; VGPRBlocks: 0
; NumSGPRsForWavesPerEU: 6
; NumVGPRsForWavesPerEU: 1
; AccumOffset: 4
; Occupancy: 8
; WaveLimiterHint : 0
; COMPUTE_PGM_RSRC2:SCRATCH_EN: 0
; COMPUTE_PGM_RSRC2:USER_SGPR: 2
; COMPUTE_PGM_RSRC2:TRAP_HANDLER: 0
; COMPUTE_PGM_RSRC2:TGID_X_EN: 1
; COMPUTE_PGM_RSRC2:TGID_Y_EN: 0
; COMPUTE_PGM_RSRC2:TGID_Z_EN: 0
; COMPUTE_PGM_RSRC2:TIDIG_COMP_CNT: 0
; COMPUTE_PGM_RSRC3_GFX90A:ACCUM_OFFSET: 0
; COMPUTE_PGM_RSRC3_GFX90A:TG_SPLIT: 0
	.section	.text._ZN7rocprim17ROCPRIM_400000_NS6detail17trampoline_kernelINS0_14default_configENS1_37merge_sort_block_sort_config_selectorIlNS0_10empty_typeEEEZNS1_21merge_sort_block_sortIS3_PlS8_PS5_S9_ZN2at6native12_GLOBAL__N_124unique_dim_cuda_templateIaEESt5tupleIJNSA_6TensorESF_SF_EERKSF_lbbbEUlllE_EE10hipError_tT0_T1_T2_T3_mRjT4_P12ihipStream_tbNS1_7vsmem_tEEUlT_E_NS1_11comp_targetILNS1_3genE0ELNS1_11target_archE4294967295ELNS1_3gpuE0ELNS1_3repE0EEENS1_30default_config_static_selectorELNS0_4arch9wavefront6targetE1EEEvSM_,"axG",@progbits,_ZN7rocprim17ROCPRIM_400000_NS6detail17trampoline_kernelINS0_14default_configENS1_37merge_sort_block_sort_config_selectorIlNS0_10empty_typeEEEZNS1_21merge_sort_block_sortIS3_PlS8_PS5_S9_ZN2at6native12_GLOBAL__N_124unique_dim_cuda_templateIaEESt5tupleIJNSA_6TensorESF_SF_EERKSF_lbbbEUlllE_EE10hipError_tT0_T1_T2_T3_mRjT4_P12ihipStream_tbNS1_7vsmem_tEEUlT_E_NS1_11comp_targetILNS1_3genE0ELNS1_11target_archE4294967295ELNS1_3gpuE0ELNS1_3repE0EEENS1_30default_config_static_selectorELNS0_4arch9wavefront6targetE1EEEvSM_,comdat
	.globl	_ZN7rocprim17ROCPRIM_400000_NS6detail17trampoline_kernelINS0_14default_configENS1_37merge_sort_block_sort_config_selectorIlNS0_10empty_typeEEEZNS1_21merge_sort_block_sortIS3_PlS8_PS5_S9_ZN2at6native12_GLOBAL__N_124unique_dim_cuda_templateIaEESt5tupleIJNSA_6TensorESF_SF_EERKSF_lbbbEUlllE_EE10hipError_tT0_T1_T2_T3_mRjT4_P12ihipStream_tbNS1_7vsmem_tEEUlT_E_NS1_11comp_targetILNS1_3genE0ELNS1_11target_archE4294967295ELNS1_3gpuE0ELNS1_3repE0EEENS1_30default_config_static_selectorELNS0_4arch9wavefront6targetE1EEEvSM_ ; -- Begin function _ZN7rocprim17ROCPRIM_400000_NS6detail17trampoline_kernelINS0_14default_configENS1_37merge_sort_block_sort_config_selectorIlNS0_10empty_typeEEEZNS1_21merge_sort_block_sortIS3_PlS8_PS5_S9_ZN2at6native12_GLOBAL__N_124unique_dim_cuda_templateIaEESt5tupleIJNSA_6TensorESF_SF_EERKSF_lbbbEUlllE_EE10hipError_tT0_T1_T2_T3_mRjT4_P12ihipStream_tbNS1_7vsmem_tEEUlT_E_NS1_11comp_targetILNS1_3genE0ELNS1_11target_archE4294967295ELNS1_3gpuE0ELNS1_3repE0EEENS1_30default_config_static_selectorELNS0_4arch9wavefront6targetE1EEEvSM_
	.p2align	8
	.type	_ZN7rocprim17ROCPRIM_400000_NS6detail17trampoline_kernelINS0_14default_configENS1_37merge_sort_block_sort_config_selectorIlNS0_10empty_typeEEEZNS1_21merge_sort_block_sortIS3_PlS8_PS5_S9_ZN2at6native12_GLOBAL__N_124unique_dim_cuda_templateIaEESt5tupleIJNSA_6TensorESF_SF_EERKSF_lbbbEUlllE_EE10hipError_tT0_T1_T2_T3_mRjT4_P12ihipStream_tbNS1_7vsmem_tEEUlT_E_NS1_11comp_targetILNS1_3genE0ELNS1_11target_archE4294967295ELNS1_3gpuE0ELNS1_3repE0EEENS1_30default_config_static_selectorELNS0_4arch9wavefront6targetE1EEEvSM_,@function
_ZN7rocprim17ROCPRIM_400000_NS6detail17trampoline_kernelINS0_14default_configENS1_37merge_sort_block_sort_config_selectorIlNS0_10empty_typeEEEZNS1_21merge_sort_block_sortIS3_PlS8_PS5_S9_ZN2at6native12_GLOBAL__N_124unique_dim_cuda_templateIaEESt5tupleIJNSA_6TensorESF_SF_EERKSF_lbbbEUlllE_EE10hipError_tT0_T1_T2_T3_mRjT4_P12ihipStream_tbNS1_7vsmem_tEEUlT_E_NS1_11comp_targetILNS1_3genE0ELNS1_11target_archE4294967295ELNS1_3gpuE0ELNS1_3repE0EEENS1_30default_config_static_selectorELNS0_4arch9wavefront6targetE1EEEvSM_: ; @_ZN7rocprim17ROCPRIM_400000_NS6detail17trampoline_kernelINS0_14default_configENS1_37merge_sort_block_sort_config_selectorIlNS0_10empty_typeEEEZNS1_21merge_sort_block_sortIS3_PlS8_PS5_S9_ZN2at6native12_GLOBAL__N_124unique_dim_cuda_templateIaEESt5tupleIJNSA_6TensorESF_SF_EERKSF_lbbbEUlllE_EE10hipError_tT0_T1_T2_T3_mRjT4_P12ihipStream_tbNS1_7vsmem_tEEUlT_E_NS1_11comp_targetILNS1_3genE0ELNS1_11target_archE4294967295ELNS1_3gpuE0ELNS1_3repE0EEENS1_30default_config_static_selectorELNS0_4arch9wavefront6targetE1EEEvSM_
; %bb.0:
	s_load_dwordx2 s[16:17], s[0:1], 0x48
	s_load_dword s5, s[0:1], 0x0
	s_add_u32 s14, s0, 0x48
	s_addc_u32 s15, s1, 0
	s_waitcnt lgkmcnt(0)
	s_mul_i32 s4, s17, s4
	s_add_i32 s3, s4, s3
	s_mul_i32 s3, s3, s16
	s_add_i32 s6, s3, s2
	s_cmp_ge_u32 s6, s5
	s_cbranch_scc1 .LBB261_1484
; %bb.1:
	s_load_dwordx2 s[8:9], s[0:1], 0x8
	s_load_dwordx4 s[20:23], s[0:1], 0x18
	s_load_dwordx4 s[36:39], s[0:1], 0x38
	s_mov_b32 s7, 0
	s_lshl_b64 s[4:5], s[6:7], 14
	s_waitcnt lgkmcnt(0)
	s_lshr_b64 s[0:1], s[8:9], 11
	s_add_u32 s18, s20, s4
	s_addc_u32 s19, s21, s5
	s_add_u32 s30, s22, s4
	s_addc_u32 s31, s23, s5
	s_cmp_lg_u64 s[0:1], s[6:7]
	v_and_b32_e32 v18, 0x3ff, v0
	s_cbranch_scc0 .LBB261_8
; %bb.2:
	v_mov_b32_e32 v19, 0
	v_lshlrev_b32_e32 v20, 3, v18
	v_mov_b32_e32 v21, v19
	v_lshl_add_u64 v[2:3], s[18:19], 0, v[20:21]
	v_add_co_u32_e32 v8, vcc, 0x1000, v2
	global_load_dwordx2 v[4:5], v20, s[18:19]
	global_load_dwordx2 v[6:7], v20, s[18:19] offset:2048
	v_addc_co_u32_e32 v9, vcc, 0, v3, vcc
	v_add_co_u32_e32 v10, vcc, 0x2000, v2
	v_lshrrev_b32_e32 v1, 2, v18
	s_nop 0
	v_addc_co_u32_e32 v11, vcc, 0, v3, vcc
	v_add_co_u32_e32 v2, vcc, 0x3000, v2
	global_load_dwordx2 v[12:13], v[8:9], off
	global_load_dwordx2 v[14:15], v[8:9], off offset:2048
	global_load_dwordx2 v[16:17], v[10:11], off
	global_load_dwordx2 v[22:23], v[10:11], off offset:2048
	v_addc_co_u32_e32 v3, vcc, 0, v3, vcc
	global_load_dwordx2 v[8:9], v[2:3], off
	global_load_dwordx2 v[10:11], v[2:3], off offset:2048
	v_add_u32_e32 v2, 0x100, v18
	v_add_u32_e32 v3, 0x200, v18
	;; [unrolled: 1-line block ×3, first 2 shown]
	v_or_b32_e32 v24, 0x400, v18
	v_add_u32_e32 v25, 0x500, v18
	v_add_u32_e32 v26, 0x600, v18
	v_add_u32_e32 v27, 0x700, v18
	v_lshlrev_b32_e32 v28, 1, v18
	v_and_b32_e32 v1, 0xf8, v1
	v_lshrrev_b32_e32 v2, 2, v2
	v_lshrrev_b32_e32 v3, 2, v3
	;; [unrolled: 1-line block ×7, first 2 shown]
	v_and_b32_e32 v28, 0x7f8, v28
	v_add_u32_e32 v1, v1, v20
	v_and_b32_e32 v2, 0x1f8, v2
	v_and_b32_e32 v3, 0x1f8, v3
	;; [unrolled: 1-line block ×7, first 2 shown]
	v_lshl_add_u32 v34, v18, 6, v28
	v_add_u32_e32 v21, v2, v20
	v_add_u32_e32 v28, v3, v20
	;; [unrolled: 1-line block ×7, first 2 shown]
	v_bfe_u32 v24, v0, 20, 10
	v_cmp_gt_i64_e64 s[10:11], s[36:37], 0
	s_waitcnt vmcnt(7)
	ds_write_b64 v1, v[4:5]
	s_waitcnt vmcnt(6)
	ds_write_b64 v21, v[6:7] offset:2048
	s_waitcnt vmcnt(5)
	ds_write_b64 v28, v[12:13] offset:4096
	;; [unrolled: 2-line block ×7, first 2 shown]
	s_waitcnt lgkmcnt(0)
	s_barrier
	ds_read2_b64 v[14:17], v34 offset1:1
	ds_read2_b64 v[10:13], v34 offset0:2 offset1:3
	ds_read2_b64 v[6:9], v34 offset0:4 offset1:5
	;; [unrolled: 1-line block ×3, first 2 shown]
	s_waitcnt lgkmcnt(0)
	s_barrier
	s_load_dword s0, s[14:15], 0xc
	v_bfe_u32 v23, v0, 10, 10
	v_cndmask_b32_e64 v25, 0, 1, s[10:11]
	s_waitcnt lgkmcnt(0)
	s_lshr_b32 s3, s0, 16
	s_cmp_lt_u32 s2, s16
	s_cselect_b32 s0, 12, 18
	s_add_u32 s0, s14, s0
	s_addc_u32 s1, s15, 0
	global_load_ushort v22, v19, s[0:1]
	v_mad_u32_u24 v23, v24, s3, v23
	s_movk_i32 s0, 0x800
	s_waitcnt vmcnt(0)
	v_mul_lo_u32 v22, v23, v22
	v_add_lshl_u32 v26, v22, v18, 3
	v_cmp_gt_u32_e32 vcc, s0, v26
	v_cmp_ne_u32_e64 s[0:1], 1, v25
	s_and_saveexec_b64 s[4:5], vcc
	s_cbranch_execz .LBB261_188
; %bb.3:
	s_and_b64 vcc, exec, s[0:1]
	s_cbranch_vccnz .LBB261_18
; %bb.4:
	v_mov_b64_e32 v[24:25], s[38:39]
	v_mad_u64_u32 v[22:23], s[12:13], v16, s36, v[24:25]
	v_mul_lo_u32 v27, v16, s37
	v_mul_lo_u32 v35, v17, s36
	v_add3_u32 v23, v35, v23, v27
	v_mad_u64_u32 v[24:25], s[12:13], v14, s36, v[24:25]
	v_mul_lo_u32 v27, v14, s37
	v_mul_lo_u32 v35, v15, s36
	v_add3_u32 v25, v35, v25, v27
	s_mov_b64 s[20:21], 0
	s_mov_b64 s[34:35], s[36:37]
                                        ; implicit-def: $sgpr12_sgpr13
                                        ; implicit-def: $sgpr22_sgpr23
                                        ; implicit-def: $sgpr26_sgpr27
                                        ; implicit-def: $sgpr24_sgpr25
                                        ; implicit-def: $sgpr28_sgpr29
	s_branch .LBB261_6
.LBB261_5:                              ;   in Loop: Header=BB261_6 Depth=1
	s_or_b64 exec, exec, s[44:45]
	s_and_b64 s[42:43], s[42:43], s[28:29]
	s_or_b64 s[40:41], s[40:41], s[42:43]
	s_and_b64 s[42:43], exec, s[26:27]
	s_or_b64 s[20:21], s[42:43], s[20:21]
	s_andn2_b64 s[28:29], s[28:29], exec
	s_and_b64 s[40:41], s[40:41], exec
	s_andn2_b64 s[22:23], s[22:23], exec
	s_and_b64 s[42:43], s[24:25], exec
	s_andn2_b64 s[12:13], s[12:13], exec
	s_or_b64 s[28:29], s[28:29], s[40:41]
	s_or_b64 s[22:23], s[22:23], s[42:43]
	s_or_b64 s[12:13], s[12:13], s[40:41]
	s_andn2_b64 exec, exec, s[20:21]
	s_cbranch_execz .LBB261_9
.LBB261_6:                              ; =>This Inner Loop Header: Depth=1
	global_load_ubyte v27, v[22:23], off
	global_load_ubyte v35, v[24:25], off
	s_or_b64 s[24:25], s[24:25], exec
	s_or_b64 s[26:27], s[26:27], exec
	s_waitcnt vmcnt(0)
	v_cmp_lt_i16_sdwa s[40:41], sext(v27), sext(v35) src0_sel:BYTE_0 src1_sel:BYTE_0
	v_cmp_le_i16_sdwa s[42:43], sext(v27), sext(v35) src0_sel:BYTE_0 src1_sel:BYTE_0
	v_cmp_eq_u16_sdwa s[46:47], v27, v35 src0_sel:BYTE_0 src1_sel:BYTE_0
	s_and_saveexec_b64 s[44:45], s[46:47]
	s_cbranch_execz .LBB261_5
; %bb.7:                                ;   in Loop: Header=BB261_6 Depth=1
	s_add_u32 s34, s34, -1
	s_addc_u32 s35, s35, -1
	s_cmp_eq_u64 s[34:35], 0
	s_cselect_b64 s[46:47], -1, 0
	s_andn2_b64 s[26:27], s[26:27], exec
	s_and_b64 s[46:47], s[46:47], exec
	v_lshl_add_u64 v[22:23], v[22:23], 0, 1
	v_lshl_add_u64 v[24:25], v[24:25], 0, 1
	s_andn2_b64 s[24:25], s[24:25], exec
	s_or_b64 s[26:27], s[26:27], s[46:47]
	s_branch .LBB261_5
.LBB261_8:
	s_mov_b64 s[34:35], 0
                                        ; implicit-def: $vgpr14_vgpr15
	s_cbranch_execnz .LBB261_697
	s_branch .LBB261_1482
.LBB261_9:
	s_or_b64 exec, exec, s[20:21]
	s_and_saveexec_b64 s[20:21], s[22:23]
	s_xor_b64 s[20:21], exec, s[20:21]
; %bb.10:
	v_cndmask_b32_e64 v23, v17, v15, s[12:13]
	v_cndmask_b32_e64 v22, v16, v14, s[12:13]
	;; [unrolled: 1-line block ×4, first 2 shown]
	v_mov_b64_e32 v[16:17], v[22:23]
; %bb.11:
	s_or_b64 exec, exec, s[20:21]
	v_mov_b64_e32 v[24:25], s[38:39]
	v_mad_u64_u32 v[22:23], s[12:13], v12, s36, v[24:25]
	v_mul_lo_u32 v27, v12, s37
	v_mul_lo_u32 v35, v13, s36
	v_add3_u32 v23, v35, v23, v27
	v_mad_u64_u32 v[24:25], s[12:13], v10, s36, v[24:25]
	v_mul_lo_u32 v27, v10, s37
	v_mul_lo_u32 v35, v11, s36
	v_add3_u32 v25, v35, v25, v27
	s_mov_b64 s[22:23], 0
	s_mov_b64 s[34:35], s[36:37]
                                        ; implicit-def: $sgpr12_sgpr13
                                        ; implicit-def: $sgpr20_sgpr21
                                        ; implicit-def: $sgpr26_sgpr27
                                        ; implicit-def: $sgpr24_sgpr25
                                        ; implicit-def: $sgpr28_sgpr29
	s_branch .LBB261_13
.LBB261_12:                             ;   in Loop: Header=BB261_13 Depth=1
	s_or_b64 exec, exec, s[44:45]
	s_and_b64 s[42:43], s[42:43], s[28:29]
	s_or_b64 s[40:41], s[40:41], s[42:43]
	s_and_b64 s[42:43], exec, s[26:27]
	s_or_b64 s[22:23], s[42:43], s[22:23]
	s_andn2_b64 s[28:29], s[28:29], exec
	s_and_b64 s[40:41], s[40:41], exec
	s_andn2_b64 s[20:21], s[20:21], exec
	s_and_b64 s[42:43], s[24:25], exec
	s_andn2_b64 s[12:13], s[12:13], exec
	s_or_b64 s[28:29], s[28:29], s[40:41]
	s_or_b64 s[20:21], s[20:21], s[42:43]
	;; [unrolled: 1-line block ×3, first 2 shown]
	s_andn2_b64 exec, exec, s[22:23]
	s_cbranch_execz .LBB261_15
.LBB261_13:                             ; =>This Inner Loop Header: Depth=1
	global_load_ubyte v27, v[22:23], off
	global_load_ubyte v35, v[24:25], off
	s_or_b64 s[24:25], s[24:25], exec
	s_or_b64 s[26:27], s[26:27], exec
	s_waitcnt vmcnt(0)
	v_cmp_lt_i16_sdwa s[40:41], sext(v27), sext(v35) src0_sel:BYTE_0 src1_sel:BYTE_0
	v_cmp_le_i16_sdwa s[42:43], sext(v27), sext(v35) src0_sel:BYTE_0 src1_sel:BYTE_0
	v_cmp_eq_u16_sdwa s[46:47], v27, v35 src0_sel:BYTE_0 src1_sel:BYTE_0
	s_and_saveexec_b64 s[44:45], s[46:47]
	s_cbranch_execz .LBB261_12
; %bb.14:                               ;   in Loop: Header=BB261_13 Depth=1
	s_add_u32 s34, s34, -1
	s_addc_u32 s35, s35, -1
	s_cmp_eq_u64 s[34:35], 0
	s_cselect_b64 s[46:47], -1, 0
	s_andn2_b64 s[26:27], s[26:27], exec
	s_and_b64 s[46:47], s[46:47], exec
	v_lshl_add_u64 v[22:23], v[22:23], 0, 1
	v_lshl_add_u64 v[24:25], v[24:25], 0, 1
	s_andn2_b64 s[24:25], s[24:25], exec
	s_or_b64 s[26:27], s[26:27], s[46:47]
	s_branch .LBB261_12
.LBB261_15:
	s_or_b64 exec, exec, s[22:23]
	s_and_saveexec_b64 s[22:23], s[20:21]
	s_xor_b64 s[20:21], exec, s[22:23]
; %bb.16:
	v_cndmask_b32_e64 v23, v11, v13, s[12:13]
	v_cndmask_b32_e64 v22, v10, v12, s[12:13]
	;; [unrolled: 1-line block ×4, first 2 shown]
	v_mov_b64_e32 v[10:11], v[22:23]
; %bb.17:
	s_or_b64 exec, exec, s[20:21]
.LBB261_18:
	s_and_b64 vcc, exec, s[0:1]
	s_cbranch_vccnz .LBB261_32
; %bb.19:
	v_mov_b64_e32 v[24:25], s[38:39]
	v_mad_u64_u32 v[22:23], s[12:13], v8, s36, v[24:25]
	v_mul_lo_u32 v27, v8, s37
	v_mul_lo_u32 v35, v9, s36
	v_add3_u32 v23, v35, v23, v27
	v_mad_u64_u32 v[24:25], s[12:13], v6, s36, v[24:25]
	v_mul_lo_u32 v27, v6, s37
	v_mul_lo_u32 v35, v7, s36
	v_add3_u32 v25, v35, v25, v27
	s_mov_b64 s[20:21], 0
	s_mov_b64 s[34:35], s[36:37]
                                        ; implicit-def: $sgpr12_sgpr13
                                        ; implicit-def: $sgpr22_sgpr23
                                        ; implicit-def: $sgpr26_sgpr27
                                        ; implicit-def: $sgpr24_sgpr25
                                        ; implicit-def: $sgpr28_sgpr29
	s_branch .LBB261_21
.LBB261_20:                             ;   in Loop: Header=BB261_21 Depth=1
	s_or_b64 exec, exec, s[44:45]
	s_and_b64 s[42:43], s[42:43], s[28:29]
	s_or_b64 s[40:41], s[40:41], s[42:43]
	s_and_b64 s[42:43], exec, s[26:27]
	s_or_b64 s[20:21], s[42:43], s[20:21]
	s_andn2_b64 s[28:29], s[28:29], exec
	s_and_b64 s[40:41], s[40:41], exec
	s_andn2_b64 s[22:23], s[22:23], exec
	s_and_b64 s[42:43], s[24:25], exec
	s_andn2_b64 s[12:13], s[12:13], exec
	s_or_b64 s[28:29], s[28:29], s[40:41]
	s_or_b64 s[22:23], s[22:23], s[42:43]
	;; [unrolled: 1-line block ×3, first 2 shown]
	s_andn2_b64 exec, exec, s[20:21]
	s_cbranch_execz .LBB261_23
.LBB261_21:                             ; =>This Inner Loop Header: Depth=1
	global_load_ubyte v27, v[22:23], off
	global_load_ubyte v35, v[24:25], off
	s_or_b64 s[24:25], s[24:25], exec
	s_or_b64 s[26:27], s[26:27], exec
	s_waitcnt vmcnt(0)
	v_cmp_lt_i16_sdwa s[40:41], sext(v27), sext(v35) src0_sel:BYTE_0 src1_sel:BYTE_0
	v_cmp_le_i16_sdwa s[42:43], sext(v27), sext(v35) src0_sel:BYTE_0 src1_sel:BYTE_0
	v_cmp_eq_u16_sdwa s[46:47], v27, v35 src0_sel:BYTE_0 src1_sel:BYTE_0
	s_and_saveexec_b64 s[44:45], s[46:47]
	s_cbranch_execz .LBB261_20
; %bb.22:                               ;   in Loop: Header=BB261_21 Depth=1
	s_add_u32 s34, s34, -1
	s_addc_u32 s35, s35, -1
	s_cmp_eq_u64 s[34:35], 0
	s_cselect_b64 s[46:47], -1, 0
	s_andn2_b64 s[26:27], s[26:27], exec
	s_and_b64 s[46:47], s[46:47], exec
	v_lshl_add_u64 v[22:23], v[22:23], 0, 1
	v_lshl_add_u64 v[24:25], v[24:25], 0, 1
	s_andn2_b64 s[24:25], s[24:25], exec
	s_or_b64 s[26:27], s[26:27], s[46:47]
	s_branch .LBB261_20
.LBB261_23:
	s_or_b64 exec, exec, s[20:21]
	s_and_saveexec_b64 s[20:21], s[22:23]
	s_xor_b64 s[20:21], exec, s[20:21]
; %bb.24:
	v_cndmask_b32_e64 v23, v7, v9, s[12:13]
	v_cndmask_b32_e64 v22, v6, v8, s[12:13]
	;; [unrolled: 1-line block ×4, first 2 shown]
	v_mov_b64_e32 v[6:7], v[22:23]
; %bb.25:
	s_or_b64 exec, exec, s[20:21]
	v_mov_b64_e32 v[24:25], s[38:39]
	v_mad_u64_u32 v[22:23], s[12:13], v4, s36, v[24:25]
	v_mul_lo_u32 v27, v4, s37
	v_mul_lo_u32 v35, v5, s36
	v_add3_u32 v23, v35, v23, v27
	v_mad_u64_u32 v[24:25], s[12:13], v2, s36, v[24:25]
	v_mul_lo_u32 v27, v2, s37
	v_mul_lo_u32 v35, v3, s36
	v_add3_u32 v25, v35, v25, v27
	s_mov_b64 s[22:23], 0
	s_mov_b64 s[34:35], s[36:37]
                                        ; implicit-def: $sgpr12_sgpr13
                                        ; implicit-def: $sgpr20_sgpr21
                                        ; implicit-def: $sgpr26_sgpr27
                                        ; implicit-def: $sgpr24_sgpr25
                                        ; implicit-def: $sgpr28_sgpr29
	s_branch .LBB261_27
.LBB261_26:                             ;   in Loop: Header=BB261_27 Depth=1
	s_or_b64 exec, exec, s[44:45]
	s_and_b64 s[42:43], s[42:43], s[28:29]
	s_or_b64 s[40:41], s[40:41], s[42:43]
	s_and_b64 s[42:43], exec, s[26:27]
	s_or_b64 s[22:23], s[42:43], s[22:23]
	s_andn2_b64 s[28:29], s[28:29], exec
	s_and_b64 s[40:41], s[40:41], exec
	s_andn2_b64 s[20:21], s[20:21], exec
	s_and_b64 s[42:43], s[24:25], exec
	s_andn2_b64 s[12:13], s[12:13], exec
	s_or_b64 s[28:29], s[28:29], s[40:41]
	s_or_b64 s[20:21], s[20:21], s[42:43]
	;; [unrolled: 1-line block ×3, first 2 shown]
	s_andn2_b64 exec, exec, s[22:23]
	s_cbranch_execz .LBB261_29
.LBB261_27:                             ; =>This Inner Loop Header: Depth=1
	global_load_ubyte v27, v[22:23], off
	global_load_ubyte v35, v[24:25], off
	s_or_b64 s[24:25], s[24:25], exec
	s_or_b64 s[26:27], s[26:27], exec
	s_waitcnt vmcnt(0)
	v_cmp_lt_i16_sdwa s[40:41], sext(v27), sext(v35) src0_sel:BYTE_0 src1_sel:BYTE_0
	v_cmp_le_i16_sdwa s[42:43], sext(v27), sext(v35) src0_sel:BYTE_0 src1_sel:BYTE_0
	v_cmp_eq_u16_sdwa s[46:47], v27, v35 src0_sel:BYTE_0 src1_sel:BYTE_0
	s_and_saveexec_b64 s[44:45], s[46:47]
	s_cbranch_execz .LBB261_26
; %bb.28:                               ;   in Loop: Header=BB261_27 Depth=1
	s_add_u32 s34, s34, -1
	s_addc_u32 s35, s35, -1
	s_cmp_eq_u64 s[34:35], 0
	s_cselect_b64 s[46:47], -1, 0
	s_andn2_b64 s[26:27], s[26:27], exec
	s_and_b64 s[46:47], s[46:47], exec
	v_lshl_add_u64 v[22:23], v[22:23], 0, 1
	v_lshl_add_u64 v[24:25], v[24:25], 0, 1
	s_andn2_b64 s[24:25], s[24:25], exec
	s_or_b64 s[26:27], s[26:27], s[46:47]
	s_branch .LBB261_26
.LBB261_29:
	s_or_b64 exec, exec, s[22:23]
	s_and_saveexec_b64 s[22:23], s[20:21]
	s_xor_b64 s[20:21], exec, s[22:23]
; %bb.30:
	v_cndmask_b32_e64 v23, v3, v5, s[12:13]
	v_cndmask_b32_e64 v22, v2, v4, s[12:13]
	;; [unrolled: 1-line block ×4, first 2 shown]
	v_mov_b64_e32 v[2:3], v[22:23]
; %bb.31:
	s_or_b64 exec, exec, s[20:21]
.LBB261_32:
	s_and_b64 vcc, exec, s[10:11]
	s_cbranch_vccz .LBB261_46
; %bb.33:
	v_mov_b64_e32 v[24:25], s[38:39]
	v_mad_u64_u32 v[22:23], s[10:11], v10, s36, v[24:25]
	v_mul_lo_u32 v27, v10, s37
	v_mul_lo_u32 v35, v11, s36
	v_add3_u32 v23, v35, v23, v27
	v_mad_u64_u32 v[24:25], s[10:11], v16, s36, v[24:25]
	v_mul_lo_u32 v27, v16, s37
	v_mul_lo_u32 v35, v17, s36
	v_add3_u32 v25, v35, v25, v27
	s_mov_b64 s[12:13], 0
	s_mov_b64 s[28:29], s[36:37]
                                        ; implicit-def: $sgpr10_sgpr11
                                        ; implicit-def: $sgpr20_sgpr21
                                        ; implicit-def: $sgpr24_sgpr25
                                        ; implicit-def: $sgpr22_sgpr23
                                        ; implicit-def: $sgpr26_sgpr27
	s_branch .LBB261_35
.LBB261_34:                             ;   in Loop: Header=BB261_35 Depth=1
	s_or_b64 exec, exec, s[42:43]
	s_and_b64 s[40:41], s[40:41], s[26:27]
	s_or_b64 s[34:35], s[34:35], s[40:41]
	s_and_b64 s[40:41], exec, s[24:25]
	s_or_b64 s[12:13], s[40:41], s[12:13]
	s_andn2_b64 s[26:27], s[26:27], exec
	s_and_b64 s[34:35], s[34:35], exec
	s_andn2_b64 s[20:21], s[20:21], exec
	s_and_b64 s[40:41], s[22:23], exec
	s_andn2_b64 s[10:11], s[10:11], exec
	s_or_b64 s[26:27], s[26:27], s[34:35]
	s_or_b64 s[20:21], s[20:21], s[40:41]
	;; [unrolled: 1-line block ×3, first 2 shown]
	s_andn2_b64 exec, exec, s[12:13]
	s_cbranch_execz .LBB261_37
.LBB261_35:                             ; =>This Inner Loop Header: Depth=1
	global_load_ubyte v27, v[22:23], off
	global_load_ubyte v35, v[24:25], off
	s_or_b64 s[22:23], s[22:23], exec
	s_or_b64 s[24:25], s[24:25], exec
	s_waitcnt vmcnt(0)
	v_cmp_lt_i16_sdwa s[34:35], sext(v27), sext(v35) src0_sel:BYTE_0 src1_sel:BYTE_0
	v_cmp_le_i16_sdwa s[40:41], sext(v27), sext(v35) src0_sel:BYTE_0 src1_sel:BYTE_0
	v_cmp_eq_u16_sdwa s[44:45], v27, v35 src0_sel:BYTE_0 src1_sel:BYTE_0
	s_and_saveexec_b64 s[42:43], s[44:45]
	s_cbranch_execz .LBB261_34
; %bb.36:                               ;   in Loop: Header=BB261_35 Depth=1
	s_add_u32 s28, s28, -1
	s_addc_u32 s29, s29, -1
	s_cmp_eq_u64 s[28:29], 0
	s_cselect_b64 s[44:45], -1, 0
	s_andn2_b64 s[24:25], s[24:25], exec
	s_and_b64 s[44:45], s[44:45], exec
	v_lshl_add_u64 v[22:23], v[22:23], 0, 1
	v_lshl_add_u64 v[24:25], v[24:25], 0, 1
	s_andn2_b64 s[22:23], s[22:23], exec
	s_or_b64 s[24:25], s[24:25], s[44:45]
	s_branch .LBB261_34
.LBB261_37:
	s_or_b64 exec, exec, s[12:13]
	s_and_saveexec_b64 s[12:13], s[20:21]
	s_xor_b64 s[12:13], exec, s[12:13]
; %bb.38:
	v_cndmask_b32_e64 v23, v17, v11, s[10:11]
	v_cndmask_b32_e64 v22, v16, v10, s[10:11]
	;; [unrolled: 1-line block ×4, first 2 shown]
	v_mov_b64_e32 v[16:17], v[22:23]
; %bb.39:
	s_or_b64 exec, exec, s[12:13]
	v_mov_b64_e32 v[24:25], s[38:39]
	v_mad_u64_u32 v[22:23], s[10:11], v6, s36, v[24:25]
	v_mul_lo_u32 v27, v6, s37
	v_mul_lo_u32 v35, v7, s36
	v_add3_u32 v23, v35, v23, v27
	v_mad_u64_u32 v[24:25], s[10:11], v12, s36, v[24:25]
	v_mul_lo_u32 v27, v12, s37
	v_mul_lo_u32 v35, v13, s36
	v_add3_u32 v25, v35, v25, v27
	s_mov_b64 s[20:21], 0
	s_mov_b64 s[28:29], s[36:37]
                                        ; implicit-def: $sgpr10_sgpr11
                                        ; implicit-def: $sgpr12_sgpr13
                                        ; implicit-def: $sgpr24_sgpr25
                                        ; implicit-def: $sgpr22_sgpr23
                                        ; implicit-def: $sgpr26_sgpr27
	s_branch .LBB261_41
.LBB261_40:                             ;   in Loop: Header=BB261_41 Depth=1
	s_or_b64 exec, exec, s[42:43]
	s_and_b64 s[40:41], s[40:41], s[26:27]
	s_or_b64 s[34:35], s[34:35], s[40:41]
	s_and_b64 s[40:41], exec, s[24:25]
	s_or_b64 s[20:21], s[40:41], s[20:21]
	s_andn2_b64 s[26:27], s[26:27], exec
	s_and_b64 s[34:35], s[34:35], exec
	s_andn2_b64 s[12:13], s[12:13], exec
	s_and_b64 s[40:41], s[22:23], exec
	s_andn2_b64 s[10:11], s[10:11], exec
	s_or_b64 s[26:27], s[26:27], s[34:35]
	s_or_b64 s[12:13], s[12:13], s[40:41]
	;; [unrolled: 1-line block ×3, first 2 shown]
	s_andn2_b64 exec, exec, s[20:21]
	s_cbranch_execz .LBB261_43
.LBB261_41:                             ; =>This Inner Loop Header: Depth=1
	global_load_ubyte v27, v[22:23], off
	global_load_ubyte v35, v[24:25], off
	s_or_b64 s[22:23], s[22:23], exec
	s_or_b64 s[24:25], s[24:25], exec
	s_waitcnt vmcnt(0)
	v_cmp_lt_i16_sdwa s[34:35], sext(v27), sext(v35) src0_sel:BYTE_0 src1_sel:BYTE_0
	v_cmp_le_i16_sdwa s[40:41], sext(v27), sext(v35) src0_sel:BYTE_0 src1_sel:BYTE_0
	v_cmp_eq_u16_sdwa s[44:45], v27, v35 src0_sel:BYTE_0 src1_sel:BYTE_0
	s_and_saveexec_b64 s[42:43], s[44:45]
	s_cbranch_execz .LBB261_40
; %bb.42:                               ;   in Loop: Header=BB261_41 Depth=1
	s_add_u32 s28, s28, -1
	s_addc_u32 s29, s29, -1
	s_cmp_eq_u64 s[28:29], 0
	s_cselect_b64 s[44:45], -1, 0
	s_andn2_b64 s[24:25], s[24:25], exec
	s_and_b64 s[44:45], s[44:45], exec
	v_lshl_add_u64 v[22:23], v[22:23], 0, 1
	v_lshl_add_u64 v[24:25], v[24:25], 0, 1
	s_andn2_b64 s[22:23], s[22:23], exec
	s_or_b64 s[24:25], s[24:25], s[44:45]
	s_branch .LBB261_40
.LBB261_43:
	s_or_b64 exec, exec, s[20:21]
	s_and_saveexec_b64 s[20:21], s[12:13]
	s_xor_b64 s[12:13], exec, s[20:21]
; %bb.44:
	v_cndmask_b32_e64 v23, v13, v7, s[10:11]
	v_cndmask_b32_e64 v22, v12, v6, s[10:11]
	;; [unrolled: 1-line block ×4, first 2 shown]
	v_mov_b64_e32 v[12:13], v[22:23]
; %bb.45:
	s_or_b64 exec, exec, s[12:13]
.LBB261_46:
	s_and_b64 vcc, exec, s[0:1]
	s_cbranch_vccnz .LBB261_72
; %bb.47:
	v_mov_b64_e32 v[24:25], s[38:39]
	v_mad_u64_u32 v[22:23], s[10:11], v2, s36, v[24:25]
	v_mul_lo_u32 v27, v2, s37
	v_mul_lo_u32 v35, v3, s36
	v_add3_u32 v23, v35, v23, v27
	v_mad_u64_u32 v[24:25], s[10:11], v8, s36, v[24:25]
	v_mul_lo_u32 v27, v8, s37
	v_mul_lo_u32 v35, v9, s36
	v_add3_u32 v25, v35, v25, v27
	s_mov_b64 s[12:13], 0
	s_mov_b64 s[28:29], s[36:37]
                                        ; implicit-def: $sgpr10_sgpr11
                                        ; implicit-def: $sgpr20_sgpr21
                                        ; implicit-def: $sgpr24_sgpr25
                                        ; implicit-def: $sgpr22_sgpr23
                                        ; implicit-def: $sgpr26_sgpr27
	s_branch .LBB261_49
.LBB261_48:                             ;   in Loop: Header=BB261_49 Depth=1
	s_or_b64 exec, exec, s[42:43]
	s_and_b64 s[40:41], s[40:41], s[26:27]
	s_or_b64 s[34:35], s[34:35], s[40:41]
	s_and_b64 s[40:41], exec, s[24:25]
	s_or_b64 s[12:13], s[40:41], s[12:13]
	s_andn2_b64 s[26:27], s[26:27], exec
	s_and_b64 s[34:35], s[34:35], exec
	s_andn2_b64 s[20:21], s[20:21], exec
	s_and_b64 s[40:41], s[22:23], exec
	s_andn2_b64 s[10:11], s[10:11], exec
	s_or_b64 s[26:27], s[26:27], s[34:35]
	s_or_b64 s[20:21], s[20:21], s[40:41]
	;; [unrolled: 1-line block ×3, first 2 shown]
	s_andn2_b64 exec, exec, s[12:13]
	s_cbranch_execz .LBB261_51
.LBB261_49:                             ; =>This Inner Loop Header: Depth=1
	global_load_ubyte v27, v[22:23], off
	global_load_ubyte v35, v[24:25], off
	s_or_b64 s[22:23], s[22:23], exec
	s_or_b64 s[24:25], s[24:25], exec
	s_waitcnt vmcnt(0)
	v_cmp_lt_i16_sdwa s[34:35], sext(v27), sext(v35) src0_sel:BYTE_0 src1_sel:BYTE_0
	v_cmp_le_i16_sdwa s[40:41], sext(v27), sext(v35) src0_sel:BYTE_0 src1_sel:BYTE_0
	v_cmp_eq_u16_sdwa s[44:45], v27, v35 src0_sel:BYTE_0 src1_sel:BYTE_0
	s_and_saveexec_b64 s[42:43], s[44:45]
	s_cbranch_execz .LBB261_48
; %bb.50:                               ;   in Loop: Header=BB261_49 Depth=1
	s_add_u32 s28, s28, -1
	s_addc_u32 s29, s29, -1
	s_cmp_eq_u64 s[28:29], 0
	s_cselect_b64 s[44:45], -1, 0
	s_andn2_b64 s[24:25], s[24:25], exec
	s_and_b64 s[44:45], s[44:45], exec
	v_lshl_add_u64 v[22:23], v[22:23], 0, 1
	v_lshl_add_u64 v[24:25], v[24:25], 0, 1
	s_andn2_b64 s[22:23], s[22:23], exec
	s_or_b64 s[24:25], s[24:25], s[44:45]
	s_branch .LBB261_48
.LBB261_51:
	s_or_b64 exec, exec, s[12:13]
	s_and_saveexec_b64 s[12:13], s[20:21]
	s_xor_b64 s[12:13], exec, s[12:13]
; %bb.52:
	v_cndmask_b32_e64 v23, v9, v3, s[10:11]
	v_cndmask_b32_e64 v22, v8, v2, s[10:11]
	;; [unrolled: 1-line block ×4, first 2 shown]
	v_mov_b64_e32 v[8:9], v[22:23]
; %bb.53:
	s_or_b64 exec, exec, s[12:13]
	v_mov_b64_e32 v[24:25], s[38:39]
	v_mad_u64_u32 v[22:23], s[10:11], v16, s36, v[24:25]
	v_mul_lo_u32 v27, v16, s37
	v_mul_lo_u32 v35, v17, s36
	v_add3_u32 v23, v35, v23, v27
	v_mad_u64_u32 v[24:25], s[10:11], v14, s36, v[24:25]
	v_mul_lo_u32 v27, v14, s37
	v_mul_lo_u32 v35, v15, s36
	v_add3_u32 v25, v35, v25, v27
	s_mov_b64 s[12:13], 0
	s_mov_b64 s[28:29], s[36:37]
                                        ; implicit-def: $sgpr10_sgpr11
                                        ; implicit-def: $sgpr20_sgpr21
                                        ; implicit-def: $sgpr24_sgpr25
                                        ; implicit-def: $sgpr22_sgpr23
                                        ; implicit-def: $sgpr26_sgpr27
	s_branch .LBB261_55
.LBB261_54:                             ;   in Loop: Header=BB261_55 Depth=1
	s_or_b64 exec, exec, s[42:43]
	s_and_b64 s[40:41], s[40:41], s[26:27]
	s_or_b64 s[34:35], s[34:35], s[40:41]
	s_and_b64 s[40:41], exec, s[24:25]
	s_or_b64 s[12:13], s[40:41], s[12:13]
	s_andn2_b64 s[26:27], s[26:27], exec
	s_and_b64 s[34:35], s[34:35], exec
	s_andn2_b64 s[20:21], s[20:21], exec
	s_and_b64 s[40:41], s[22:23], exec
	s_andn2_b64 s[10:11], s[10:11], exec
	s_or_b64 s[26:27], s[26:27], s[34:35]
	s_or_b64 s[20:21], s[20:21], s[40:41]
	;; [unrolled: 1-line block ×3, first 2 shown]
	s_andn2_b64 exec, exec, s[12:13]
	s_cbranch_execz .LBB261_57
.LBB261_55:                             ; =>This Inner Loop Header: Depth=1
	global_load_ubyte v27, v[22:23], off
	global_load_ubyte v35, v[24:25], off
	s_or_b64 s[22:23], s[22:23], exec
	s_or_b64 s[24:25], s[24:25], exec
	s_waitcnt vmcnt(0)
	v_cmp_lt_i16_sdwa s[34:35], sext(v27), sext(v35) src0_sel:BYTE_0 src1_sel:BYTE_0
	v_cmp_le_i16_sdwa s[40:41], sext(v27), sext(v35) src0_sel:BYTE_0 src1_sel:BYTE_0
	v_cmp_eq_u16_sdwa s[44:45], v27, v35 src0_sel:BYTE_0 src1_sel:BYTE_0
	s_and_saveexec_b64 s[42:43], s[44:45]
	s_cbranch_execz .LBB261_54
; %bb.56:                               ;   in Loop: Header=BB261_55 Depth=1
	s_add_u32 s28, s28, -1
	s_addc_u32 s29, s29, -1
	s_cmp_eq_u64 s[28:29], 0
	s_cselect_b64 s[44:45], -1, 0
	s_andn2_b64 s[24:25], s[24:25], exec
	s_and_b64 s[44:45], s[44:45], exec
	v_lshl_add_u64 v[22:23], v[22:23], 0, 1
	v_lshl_add_u64 v[24:25], v[24:25], 0, 1
	s_andn2_b64 s[22:23], s[22:23], exec
	s_or_b64 s[24:25], s[24:25], s[44:45]
	s_branch .LBB261_54
.LBB261_57:
	s_or_b64 exec, exec, s[12:13]
	s_and_saveexec_b64 s[12:13], s[20:21]
	s_xor_b64 s[12:13], exec, s[12:13]
; %bb.58:
	v_cndmask_b32_e64 v23, v17, v15, s[10:11]
	v_cndmask_b32_e64 v22, v16, v14, s[10:11]
	;; [unrolled: 1-line block ×4, first 2 shown]
	v_mov_b64_e32 v[16:17], v[22:23]
; %bb.59:
	s_or_b64 exec, exec, s[12:13]
	v_mov_b64_e32 v[24:25], s[38:39]
	v_mad_u64_u32 v[22:23], s[10:11], v12, s36, v[24:25]
	v_mul_lo_u32 v27, v12, s37
	v_mul_lo_u32 v35, v13, s36
	v_add3_u32 v23, v35, v23, v27
	v_mad_u64_u32 v[24:25], s[10:11], v10, s36, v[24:25]
	v_mul_lo_u32 v27, v10, s37
	v_mul_lo_u32 v35, v11, s36
	v_add3_u32 v25, v35, v25, v27
	s_mov_b64 s[12:13], 0
	s_mov_b64 s[28:29], s[36:37]
                                        ; implicit-def: $sgpr10_sgpr11
                                        ; implicit-def: $sgpr20_sgpr21
                                        ; implicit-def: $sgpr24_sgpr25
                                        ; implicit-def: $sgpr22_sgpr23
                                        ; implicit-def: $sgpr26_sgpr27
	s_branch .LBB261_61
.LBB261_60:                             ;   in Loop: Header=BB261_61 Depth=1
	s_or_b64 exec, exec, s[42:43]
	s_and_b64 s[40:41], s[40:41], s[26:27]
	s_or_b64 s[34:35], s[34:35], s[40:41]
	s_and_b64 s[40:41], exec, s[24:25]
	s_or_b64 s[12:13], s[40:41], s[12:13]
	s_andn2_b64 s[26:27], s[26:27], exec
	s_and_b64 s[34:35], s[34:35], exec
	s_andn2_b64 s[20:21], s[20:21], exec
	s_and_b64 s[40:41], s[22:23], exec
	s_andn2_b64 s[10:11], s[10:11], exec
	s_or_b64 s[26:27], s[26:27], s[34:35]
	s_or_b64 s[20:21], s[20:21], s[40:41]
	;; [unrolled: 1-line block ×3, first 2 shown]
	s_andn2_b64 exec, exec, s[12:13]
	s_cbranch_execz .LBB261_63
.LBB261_61:                             ; =>This Inner Loop Header: Depth=1
	global_load_ubyte v27, v[22:23], off
	global_load_ubyte v35, v[24:25], off
	s_or_b64 s[22:23], s[22:23], exec
	s_or_b64 s[24:25], s[24:25], exec
	s_waitcnt vmcnt(0)
	v_cmp_lt_i16_sdwa s[34:35], sext(v27), sext(v35) src0_sel:BYTE_0 src1_sel:BYTE_0
	v_cmp_le_i16_sdwa s[40:41], sext(v27), sext(v35) src0_sel:BYTE_0 src1_sel:BYTE_0
	v_cmp_eq_u16_sdwa s[44:45], v27, v35 src0_sel:BYTE_0 src1_sel:BYTE_0
	s_and_saveexec_b64 s[42:43], s[44:45]
	s_cbranch_execz .LBB261_60
; %bb.62:                               ;   in Loop: Header=BB261_61 Depth=1
	s_add_u32 s28, s28, -1
	s_addc_u32 s29, s29, -1
	s_cmp_eq_u64 s[28:29], 0
	s_cselect_b64 s[44:45], -1, 0
	s_andn2_b64 s[24:25], s[24:25], exec
	s_and_b64 s[44:45], s[44:45], exec
	v_lshl_add_u64 v[22:23], v[22:23], 0, 1
	v_lshl_add_u64 v[24:25], v[24:25], 0, 1
	s_andn2_b64 s[22:23], s[22:23], exec
	s_or_b64 s[24:25], s[24:25], s[44:45]
	s_branch .LBB261_60
.LBB261_63:
	s_or_b64 exec, exec, s[12:13]
	s_and_saveexec_b64 s[12:13], s[20:21]
	s_xor_b64 s[12:13], exec, s[12:13]
; %bb.64:
	v_cndmask_b32_e64 v23, v11, v13, s[10:11]
	v_cndmask_b32_e64 v22, v10, v12, s[10:11]
	;; [unrolled: 1-line block ×4, first 2 shown]
	v_mov_b64_e32 v[10:11], v[22:23]
; %bb.65:
	s_or_b64 exec, exec, s[12:13]
	v_mov_b64_e32 v[24:25], s[38:39]
	v_mad_u64_u32 v[22:23], s[10:11], v8, s36, v[24:25]
	v_mul_lo_u32 v27, v8, s37
	v_mul_lo_u32 v35, v9, s36
	v_add3_u32 v23, v35, v23, v27
	v_mad_u64_u32 v[24:25], s[10:11], v6, s36, v[24:25]
	v_mul_lo_u32 v27, v6, s37
	v_mul_lo_u32 v35, v7, s36
	v_add3_u32 v25, v35, v25, v27
	s_mov_b64 s[20:21], 0
	s_mov_b64 s[28:29], s[36:37]
                                        ; implicit-def: $sgpr10_sgpr11
                                        ; implicit-def: $sgpr12_sgpr13
                                        ; implicit-def: $sgpr24_sgpr25
                                        ; implicit-def: $sgpr22_sgpr23
                                        ; implicit-def: $sgpr26_sgpr27
	s_branch .LBB261_67
.LBB261_66:                             ;   in Loop: Header=BB261_67 Depth=1
	s_or_b64 exec, exec, s[42:43]
	s_and_b64 s[40:41], s[40:41], s[26:27]
	s_or_b64 s[34:35], s[34:35], s[40:41]
	s_and_b64 s[40:41], exec, s[24:25]
	s_or_b64 s[20:21], s[40:41], s[20:21]
	s_andn2_b64 s[26:27], s[26:27], exec
	s_and_b64 s[34:35], s[34:35], exec
	s_andn2_b64 s[12:13], s[12:13], exec
	s_and_b64 s[40:41], s[22:23], exec
	s_andn2_b64 s[10:11], s[10:11], exec
	s_or_b64 s[26:27], s[26:27], s[34:35]
	s_or_b64 s[12:13], s[12:13], s[40:41]
	;; [unrolled: 1-line block ×3, first 2 shown]
	s_andn2_b64 exec, exec, s[20:21]
	s_cbranch_execz .LBB261_69
.LBB261_67:                             ; =>This Inner Loop Header: Depth=1
	global_load_ubyte v27, v[22:23], off
	global_load_ubyte v35, v[24:25], off
	s_or_b64 s[22:23], s[22:23], exec
	s_or_b64 s[24:25], s[24:25], exec
	s_waitcnt vmcnt(0)
	v_cmp_lt_i16_sdwa s[34:35], sext(v27), sext(v35) src0_sel:BYTE_0 src1_sel:BYTE_0
	v_cmp_le_i16_sdwa s[40:41], sext(v27), sext(v35) src0_sel:BYTE_0 src1_sel:BYTE_0
	v_cmp_eq_u16_sdwa s[44:45], v27, v35 src0_sel:BYTE_0 src1_sel:BYTE_0
	s_and_saveexec_b64 s[42:43], s[44:45]
	s_cbranch_execz .LBB261_66
; %bb.68:                               ;   in Loop: Header=BB261_67 Depth=1
	s_add_u32 s28, s28, -1
	s_addc_u32 s29, s29, -1
	s_cmp_eq_u64 s[28:29], 0
	s_cselect_b64 s[44:45], -1, 0
	s_andn2_b64 s[24:25], s[24:25], exec
	s_and_b64 s[44:45], s[44:45], exec
	v_lshl_add_u64 v[22:23], v[22:23], 0, 1
	v_lshl_add_u64 v[24:25], v[24:25], 0, 1
	s_andn2_b64 s[22:23], s[22:23], exec
	s_or_b64 s[24:25], s[24:25], s[44:45]
	s_branch .LBB261_66
.LBB261_69:
	s_or_b64 exec, exec, s[20:21]
	s_and_saveexec_b64 s[20:21], s[12:13]
	s_xor_b64 s[12:13], exec, s[20:21]
; %bb.70:
	v_cndmask_b32_e64 v23, v7, v9, s[10:11]
	v_cndmask_b32_e64 v22, v6, v8, s[10:11]
	;; [unrolled: 1-line block ×4, first 2 shown]
	v_mov_b64_e32 v[6:7], v[22:23]
; %bb.71:
	s_or_b64 exec, exec, s[12:13]
.LBB261_72:
	s_and_b64 vcc, exec, s[0:1]
	s_cbranch_vccnz .LBB261_86
; %bb.73:
	v_mov_b64_e32 v[24:25], s[38:39]
	v_mad_u64_u32 v[22:23], s[10:11], v4, s36, v[24:25]
	v_mul_lo_u32 v27, v4, s37
	v_mul_lo_u32 v35, v5, s36
	v_add3_u32 v23, v35, v23, v27
	v_mad_u64_u32 v[24:25], s[10:11], v2, s36, v[24:25]
	v_mul_lo_u32 v27, v2, s37
	v_mul_lo_u32 v35, v3, s36
	v_add3_u32 v25, v35, v25, v27
	s_mov_b64 s[12:13], 0
	s_mov_b64 s[28:29], s[36:37]
                                        ; implicit-def: $sgpr10_sgpr11
                                        ; implicit-def: $sgpr20_sgpr21
                                        ; implicit-def: $sgpr24_sgpr25
                                        ; implicit-def: $sgpr22_sgpr23
                                        ; implicit-def: $sgpr26_sgpr27
	s_branch .LBB261_75
.LBB261_74:                             ;   in Loop: Header=BB261_75 Depth=1
	s_or_b64 exec, exec, s[42:43]
	s_and_b64 s[40:41], s[40:41], s[26:27]
	s_or_b64 s[34:35], s[34:35], s[40:41]
	s_and_b64 s[40:41], exec, s[24:25]
	s_or_b64 s[12:13], s[40:41], s[12:13]
	s_andn2_b64 s[26:27], s[26:27], exec
	s_and_b64 s[34:35], s[34:35], exec
	s_andn2_b64 s[20:21], s[20:21], exec
	s_and_b64 s[40:41], s[22:23], exec
	s_andn2_b64 s[10:11], s[10:11], exec
	s_or_b64 s[26:27], s[26:27], s[34:35]
	s_or_b64 s[20:21], s[20:21], s[40:41]
	;; [unrolled: 1-line block ×3, first 2 shown]
	s_andn2_b64 exec, exec, s[12:13]
	s_cbranch_execz .LBB261_77
.LBB261_75:                             ; =>This Inner Loop Header: Depth=1
	global_load_ubyte v27, v[22:23], off
	global_load_ubyte v35, v[24:25], off
	s_or_b64 s[22:23], s[22:23], exec
	s_or_b64 s[24:25], s[24:25], exec
	s_waitcnt vmcnt(0)
	v_cmp_lt_i16_sdwa s[34:35], sext(v27), sext(v35) src0_sel:BYTE_0 src1_sel:BYTE_0
	v_cmp_le_i16_sdwa s[40:41], sext(v27), sext(v35) src0_sel:BYTE_0 src1_sel:BYTE_0
	v_cmp_eq_u16_sdwa s[44:45], v27, v35 src0_sel:BYTE_0 src1_sel:BYTE_0
	s_and_saveexec_b64 s[42:43], s[44:45]
	s_cbranch_execz .LBB261_74
; %bb.76:                               ;   in Loop: Header=BB261_75 Depth=1
	s_add_u32 s28, s28, -1
	s_addc_u32 s29, s29, -1
	s_cmp_eq_u64 s[28:29], 0
	s_cselect_b64 s[44:45], -1, 0
	s_andn2_b64 s[24:25], s[24:25], exec
	s_and_b64 s[44:45], s[44:45], exec
	v_lshl_add_u64 v[22:23], v[22:23], 0, 1
	v_lshl_add_u64 v[24:25], v[24:25], 0, 1
	s_andn2_b64 s[22:23], s[22:23], exec
	s_or_b64 s[24:25], s[24:25], s[44:45]
	s_branch .LBB261_74
.LBB261_77:
	s_or_b64 exec, exec, s[12:13]
	s_and_saveexec_b64 s[12:13], s[20:21]
	s_xor_b64 s[12:13], exec, s[12:13]
; %bb.78:
	v_cndmask_b32_e64 v23, v3, v5, s[10:11]
	v_cndmask_b32_e64 v22, v2, v4, s[10:11]
	;; [unrolled: 1-line block ×4, first 2 shown]
	v_mov_b64_e32 v[2:3], v[22:23]
; %bb.79:
	s_or_b64 exec, exec, s[12:13]
	v_mov_b64_e32 v[24:25], s[38:39]
	v_mad_u64_u32 v[22:23], s[10:11], v10, s36, v[24:25]
	v_mul_lo_u32 v27, v10, s37
	v_mul_lo_u32 v35, v11, s36
	v_add3_u32 v23, v35, v23, v27
	v_mad_u64_u32 v[24:25], s[10:11], v16, s36, v[24:25]
	v_mul_lo_u32 v27, v16, s37
	v_mul_lo_u32 v35, v17, s36
	v_add3_u32 v25, v35, v25, v27
	s_mov_b64 s[20:21], 0
	s_mov_b64 s[28:29], s[36:37]
                                        ; implicit-def: $sgpr10_sgpr11
                                        ; implicit-def: $sgpr12_sgpr13
                                        ; implicit-def: $sgpr24_sgpr25
                                        ; implicit-def: $sgpr22_sgpr23
                                        ; implicit-def: $sgpr26_sgpr27
	s_branch .LBB261_81
.LBB261_80:                             ;   in Loop: Header=BB261_81 Depth=1
	s_or_b64 exec, exec, s[42:43]
	s_and_b64 s[40:41], s[40:41], s[26:27]
	s_or_b64 s[34:35], s[34:35], s[40:41]
	s_and_b64 s[40:41], exec, s[24:25]
	s_or_b64 s[20:21], s[40:41], s[20:21]
	s_andn2_b64 s[26:27], s[26:27], exec
	s_and_b64 s[34:35], s[34:35], exec
	s_andn2_b64 s[12:13], s[12:13], exec
	s_and_b64 s[40:41], s[22:23], exec
	s_andn2_b64 s[10:11], s[10:11], exec
	s_or_b64 s[26:27], s[26:27], s[34:35]
	s_or_b64 s[12:13], s[12:13], s[40:41]
	;; [unrolled: 1-line block ×3, first 2 shown]
	s_andn2_b64 exec, exec, s[20:21]
	s_cbranch_execz .LBB261_83
.LBB261_81:                             ; =>This Inner Loop Header: Depth=1
	global_load_ubyte v27, v[22:23], off
	global_load_ubyte v35, v[24:25], off
	s_or_b64 s[22:23], s[22:23], exec
	s_or_b64 s[24:25], s[24:25], exec
	s_waitcnt vmcnt(0)
	v_cmp_lt_i16_sdwa s[34:35], sext(v27), sext(v35) src0_sel:BYTE_0 src1_sel:BYTE_0
	v_cmp_le_i16_sdwa s[40:41], sext(v27), sext(v35) src0_sel:BYTE_0 src1_sel:BYTE_0
	v_cmp_eq_u16_sdwa s[44:45], v27, v35 src0_sel:BYTE_0 src1_sel:BYTE_0
	s_and_saveexec_b64 s[42:43], s[44:45]
	s_cbranch_execz .LBB261_80
; %bb.82:                               ;   in Loop: Header=BB261_81 Depth=1
	s_add_u32 s28, s28, -1
	s_addc_u32 s29, s29, -1
	s_cmp_eq_u64 s[28:29], 0
	s_cselect_b64 s[44:45], -1, 0
	s_andn2_b64 s[24:25], s[24:25], exec
	s_and_b64 s[44:45], s[44:45], exec
	v_lshl_add_u64 v[22:23], v[22:23], 0, 1
	v_lshl_add_u64 v[24:25], v[24:25], 0, 1
	s_andn2_b64 s[22:23], s[22:23], exec
	s_or_b64 s[24:25], s[24:25], s[44:45]
	s_branch .LBB261_80
.LBB261_83:
	s_or_b64 exec, exec, s[20:21]
	s_and_saveexec_b64 s[20:21], s[12:13]
	s_xor_b64 s[12:13], exec, s[20:21]
; %bb.84:
	v_cndmask_b32_e64 v23, v17, v11, s[10:11]
	v_cndmask_b32_e64 v22, v16, v10, s[10:11]
	;; [unrolled: 1-line block ×4, first 2 shown]
	v_mov_b64_e32 v[16:17], v[22:23]
; %bb.85:
	s_or_b64 exec, exec, s[12:13]
.LBB261_86:
	s_and_b64 vcc, exec, s[0:1]
	s_cbranch_vccnz .LBB261_100
; %bb.87:
	v_mov_b64_e32 v[24:25], s[38:39]
	v_mad_u64_u32 v[22:23], s[10:11], v6, s36, v[24:25]
	v_mul_lo_u32 v27, v6, s37
	v_mul_lo_u32 v35, v7, s36
	v_add3_u32 v23, v35, v23, v27
	v_mad_u64_u32 v[24:25], s[10:11], v12, s36, v[24:25]
	v_mul_lo_u32 v27, v12, s37
	v_mul_lo_u32 v35, v13, s36
	v_add3_u32 v25, v35, v25, v27
	s_mov_b64 s[12:13], 0
	s_mov_b64 s[28:29], s[36:37]
                                        ; implicit-def: $sgpr10_sgpr11
                                        ; implicit-def: $sgpr20_sgpr21
                                        ; implicit-def: $sgpr24_sgpr25
                                        ; implicit-def: $sgpr22_sgpr23
                                        ; implicit-def: $sgpr26_sgpr27
	s_branch .LBB261_89
.LBB261_88:                             ;   in Loop: Header=BB261_89 Depth=1
	s_or_b64 exec, exec, s[42:43]
	s_and_b64 s[40:41], s[40:41], s[26:27]
	s_or_b64 s[34:35], s[34:35], s[40:41]
	s_and_b64 s[40:41], exec, s[24:25]
	s_or_b64 s[12:13], s[40:41], s[12:13]
	s_andn2_b64 s[26:27], s[26:27], exec
	s_and_b64 s[34:35], s[34:35], exec
	s_andn2_b64 s[20:21], s[20:21], exec
	s_and_b64 s[40:41], s[22:23], exec
	s_andn2_b64 s[10:11], s[10:11], exec
	s_or_b64 s[26:27], s[26:27], s[34:35]
	s_or_b64 s[20:21], s[20:21], s[40:41]
	;; [unrolled: 1-line block ×3, first 2 shown]
	s_andn2_b64 exec, exec, s[12:13]
	s_cbranch_execz .LBB261_91
.LBB261_89:                             ; =>This Inner Loop Header: Depth=1
	global_load_ubyte v27, v[22:23], off
	global_load_ubyte v35, v[24:25], off
	s_or_b64 s[22:23], s[22:23], exec
	s_or_b64 s[24:25], s[24:25], exec
	s_waitcnt vmcnt(0)
	v_cmp_lt_i16_sdwa s[34:35], sext(v27), sext(v35) src0_sel:BYTE_0 src1_sel:BYTE_0
	v_cmp_le_i16_sdwa s[40:41], sext(v27), sext(v35) src0_sel:BYTE_0 src1_sel:BYTE_0
	v_cmp_eq_u16_sdwa s[44:45], v27, v35 src0_sel:BYTE_0 src1_sel:BYTE_0
	s_and_saveexec_b64 s[42:43], s[44:45]
	s_cbranch_execz .LBB261_88
; %bb.90:                               ;   in Loop: Header=BB261_89 Depth=1
	s_add_u32 s28, s28, -1
	s_addc_u32 s29, s29, -1
	s_cmp_eq_u64 s[28:29], 0
	s_cselect_b64 s[44:45], -1, 0
	s_andn2_b64 s[24:25], s[24:25], exec
	s_and_b64 s[44:45], s[44:45], exec
	v_lshl_add_u64 v[22:23], v[22:23], 0, 1
	v_lshl_add_u64 v[24:25], v[24:25], 0, 1
	s_andn2_b64 s[22:23], s[22:23], exec
	s_or_b64 s[24:25], s[24:25], s[44:45]
	s_branch .LBB261_88
.LBB261_91:
	s_or_b64 exec, exec, s[12:13]
	s_and_saveexec_b64 s[12:13], s[20:21]
	s_xor_b64 s[12:13], exec, s[12:13]
; %bb.92:
	v_cndmask_b32_e64 v23, v13, v7, s[10:11]
	v_cndmask_b32_e64 v22, v12, v6, s[10:11]
	;; [unrolled: 1-line block ×4, first 2 shown]
	v_mov_b64_e32 v[12:13], v[22:23]
; %bb.93:
	s_or_b64 exec, exec, s[12:13]
	v_mov_b64_e32 v[24:25], s[38:39]
	v_mad_u64_u32 v[22:23], s[10:11], v2, s36, v[24:25]
	v_mul_lo_u32 v27, v2, s37
	v_mul_lo_u32 v35, v3, s36
	v_add3_u32 v23, v35, v23, v27
	v_mad_u64_u32 v[24:25], s[10:11], v8, s36, v[24:25]
	v_mul_lo_u32 v27, v8, s37
	v_mul_lo_u32 v35, v9, s36
	v_add3_u32 v25, v35, v25, v27
	s_mov_b64 s[20:21], 0
	s_mov_b64 s[28:29], s[36:37]
                                        ; implicit-def: $sgpr10_sgpr11
                                        ; implicit-def: $sgpr12_sgpr13
                                        ; implicit-def: $sgpr24_sgpr25
                                        ; implicit-def: $sgpr22_sgpr23
                                        ; implicit-def: $sgpr26_sgpr27
	s_branch .LBB261_95
.LBB261_94:                             ;   in Loop: Header=BB261_95 Depth=1
	s_or_b64 exec, exec, s[42:43]
	s_and_b64 s[40:41], s[40:41], s[26:27]
	s_or_b64 s[34:35], s[34:35], s[40:41]
	s_and_b64 s[40:41], exec, s[24:25]
	s_or_b64 s[20:21], s[40:41], s[20:21]
	s_andn2_b64 s[26:27], s[26:27], exec
	s_and_b64 s[34:35], s[34:35], exec
	s_andn2_b64 s[12:13], s[12:13], exec
	s_and_b64 s[40:41], s[22:23], exec
	s_andn2_b64 s[10:11], s[10:11], exec
	s_or_b64 s[26:27], s[26:27], s[34:35]
	s_or_b64 s[12:13], s[12:13], s[40:41]
	;; [unrolled: 1-line block ×3, first 2 shown]
	s_andn2_b64 exec, exec, s[20:21]
	s_cbranch_execz .LBB261_97
.LBB261_95:                             ; =>This Inner Loop Header: Depth=1
	global_load_ubyte v27, v[22:23], off
	global_load_ubyte v35, v[24:25], off
	s_or_b64 s[22:23], s[22:23], exec
	s_or_b64 s[24:25], s[24:25], exec
	s_waitcnt vmcnt(0)
	v_cmp_lt_i16_sdwa s[34:35], sext(v27), sext(v35) src0_sel:BYTE_0 src1_sel:BYTE_0
	v_cmp_le_i16_sdwa s[40:41], sext(v27), sext(v35) src0_sel:BYTE_0 src1_sel:BYTE_0
	v_cmp_eq_u16_sdwa s[44:45], v27, v35 src0_sel:BYTE_0 src1_sel:BYTE_0
	s_and_saveexec_b64 s[42:43], s[44:45]
	s_cbranch_execz .LBB261_94
; %bb.96:                               ;   in Loop: Header=BB261_95 Depth=1
	s_add_u32 s28, s28, -1
	s_addc_u32 s29, s29, -1
	s_cmp_eq_u64 s[28:29], 0
	s_cselect_b64 s[44:45], -1, 0
	s_andn2_b64 s[24:25], s[24:25], exec
	s_and_b64 s[44:45], s[44:45], exec
	v_lshl_add_u64 v[22:23], v[22:23], 0, 1
	v_lshl_add_u64 v[24:25], v[24:25], 0, 1
	s_andn2_b64 s[22:23], s[22:23], exec
	s_or_b64 s[24:25], s[24:25], s[44:45]
	s_branch .LBB261_94
.LBB261_97:
	s_or_b64 exec, exec, s[20:21]
	s_and_saveexec_b64 s[20:21], s[12:13]
	s_xor_b64 s[12:13], exec, s[20:21]
; %bb.98:
	v_cndmask_b32_e64 v23, v9, v3, s[10:11]
	v_cndmask_b32_e64 v22, v8, v2, s[10:11]
	;; [unrolled: 1-line block ×4, first 2 shown]
	v_mov_b64_e32 v[8:9], v[22:23]
; %bb.99:
	s_or_b64 exec, exec, s[12:13]
.LBB261_100:
	s_and_b64 vcc, exec, s[0:1]
	s_cbranch_vccnz .LBB261_114
; %bb.101:
	v_mov_b64_e32 v[24:25], s[38:39]
	v_mad_u64_u32 v[22:23], s[10:11], v16, s36, v[24:25]
	v_mul_lo_u32 v27, v16, s37
	v_mul_lo_u32 v35, v17, s36
	v_add3_u32 v23, v35, v23, v27
	v_mad_u64_u32 v[24:25], s[10:11], v14, s36, v[24:25]
	v_mul_lo_u32 v27, v14, s37
	v_mul_lo_u32 v35, v15, s36
	v_add3_u32 v25, v35, v25, v27
	s_mov_b64 s[12:13], 0
	s_mov_b64 s[28:29], s[36:37]
                                        ; implicit-def: $sgpr10_sgpr11
                                        ; implicit-def: $sgpr20_sgpr21
                                        ; implicit-def: $sgpr24_sgpr25
                                        ; implicit-def: $sgpr22_sgpr23
                                        ; implicit-def: $sgpr26_sgpr27
	s_branch .LBB261_103
.LBB261_102:                            ;   in Loop: Header=BB261_103 Depth=1
	s_or_b64 exec, exec, s[42:43]
	s_and_b64 s[40:41], s[40:41], s[26:27]
	s_or_b64 s[34:35], s[34:35], s[40:41]
	s_and_b64 s[40:41], exec, s[24:25]
	s_or_b64 s[12:13], s[40:41], s[12:13]
	s_andn2_b64 s[26:27], s[26:27], exec
	s_and_b64 s[34:35], s[34:35], exec
	s_andn2_b64 s[20:21], s[20:21], exec
	s_and_b64 s[40:41], s[22:23], exec
	s_andn2_b64 s[10:11], s[10:11], exec
	s_or_b64 s[26:27], s[26:27], s[34:35]
	s_or_b64 s[20:21], s[20:21], s[40:41]
	;; [unrolled: 1-line block ×3, first 2 shown]
	s_andn2_b64 exec, exec, s[12:13]
	s_cbranch_execz .LBB261_105
.LBB261_103:                            ; =>This Inner Loop Header: Depth=1
	global_load_ubyte v27, v[22:23], off
	global_load_ubyte v35, v[24:25], off
	s_or_b64 s[22:23], s[22:23], exec
	s_or_b64 s[24:25], s[24:25], exec
	s_waitcnt vmcnt(0)
	v_cmp_lt_i16_sdwa s[34:35], sext(v27), sext(v35) src0_sel:BYTE_0 src1_sel:BYTE_0
	v_cmp_le_i16_sdwa s[40:41], sext(v27), sext(v35) src0_sel:BYTE_0 src1_sel:BYTE_0
	v_cmp_eq_u16_sdwa s[44:45], v27, v35 src0_sel:BYTE_0 src1_sel:BYTE_0
	s_and_saveexec_b64 s[42:43], s[44:45]
	s_cbranch_execz .LBB261_102
; %bb.104:                              ;   in Loop: Header=BB261_103 Depth=1
	s_add_u32 s28, s28, -1
	s_addc_u32 s29, s29, -1
	s_cmp_eq_u64 s[28:29], 0
	s_cselect_b64 s[44:45], -1, 0
	s_andn2_b64 s[24:25], s[24:25], exec
	s_and_b64 s[44:45], s[44:45], exec
	v_lshl_add_u64 v[22:23], v[22:23], 0, 1
	v_lshl_add_u64 v[24:25], v[24:25], 0, 1
	s_andn2_b64 s[22:23], s[22:23], exec
	s_or_b64 s[24:25], s[24:25], s[44:45]
	s_branch .LBB261_102
.LBB261_105:
	s_or_b64 exec, exec, s[12:13]
	s_and_saveexec_b64 s[12:13], s[20:21]
	s_xor_b64 s[12:13], exec, s[12:13]
; %bb.106:
	v_cndmask_b32_e64 v23, v17, v15, s[10:11]
	v_cndmask_b32_e64 v22, v16, v14, s[10:11]
	;; [unrolled: 1-line block ×4, first 2 shown]
	v_mov_b64_e32 v[16:17], v[22:23]
; %bb.107:
	s_or_b64 exec, exec, s[12:13]
	v_mov_b64_e32 v[24:25], s[38:39]
	v_mad_u64_u32 v[22:23], s[10:11], v12, s36, v[24:25]
	v_mul_lo_u32 v27, v12, s37
	v_mul_lo_u32 v35, v13, s36
	v_add3_u32 v23, v35, v23, v27
	v_mad_u64_u32 v[24:25], s[10:11], v10, s36, v[24:25]
	v_mul_lo_u32 v27, v10, s37
	v_mul_lo_u32 v35, v11, s36
	v_add3_u32 v25, v35, v25, v27
	s_mov_b64 s[20:21], 0
	s_mov_b64 s[28:29], s[36:37]
                                        ; implicit-def: $sgpr10_sgpr11
                                        ; implicit-def: $sgpr12_sgpr13
                                        ; implicit-def: $sgpr24_sgpr25
                                        ; implicit-def: $sgpr22_sgpr23
                                        ; implicit-def: $sgpr26_sgpr27
	s_branch .LBB261_109
.LBB261_108:                            ;   in Loop: Header=BB261_109 Depth=1
	s_or_b64 exec, exec, s[42:43]
	s_and_b64 s[40:41], s[40:41], s[26:27]
	s_or_b64 s[34:35], s[34:35], s[40:41]
	s_and_b64 s[40:41], exec, s[24:25]
	s_or_b64 s[20:21], s[40:41], s[20:21]
	s_andn2_b64 s[26:27], s[26:27], exec
	s_and_b64 s[34:35], s[34:35], exec
	s_andn2_b64 s[12:13], s[12:13], exec
	s_and_b64 s[40:41], s[22:23], exec
	s_andn2_b64 s[10:11], s[10:11], exec
	s_or_b64 s[26:27], s[26:27], s[34:35]
	s_or_b64 s[12:13], s[12:13], s[40:41]
	;; [unrolled: 1-line block ×3, first 2 shown]
	s_andn2_b64 exec, exec, s[20:21]
	s_cbranch_execz .LBB261_111
.LBB261_109:                            ; =>This Inner Loop Header: Depth=1
	global_load_ubyte v27, v[22:23], off
	global_load_ubyte v35, v[24:25], off
	s_or_b64 s[22:23], s[22:23], exec
	s_or_b64 s[24:25], s[24:25], exec
	s_waitcnt vmcnt(0)
	v_cmp_lt_i16_sdwa s[34:35], sext(v27), sext(v35) src0_sel:BYTE_0 src1_sel:BYTE_0
	v_cmp_le_i16_sdwa s[40:41], sext(v27), sext(v35) src0_sel:BYTE_0 src1_sel:BYTE_0
	v_cmp_eq_u16_sdwa s[44:45], v27, v35 src0_sel:BYTE_0 src1_sel:BYTE_0
	s_and_saveexec_b64 s[42:43], s[44:45]
	s_cbranch_execz .LBB261_108
; %bb.110:                              ;   in Loop: Header=BB261_109 Depth=1
	s_add_u32 s28, s28, -1
	s_addc_u32 s29, s29, -1
	s_cmp_eq_u64 s[28:29], 0
	s_cselect_b64 s[44:45], -1, 0
	s_andn2_b64 s[24:25], s[24:25], exec
	s_and_b64 s[44:45], s[44:45], exec
	v_lshl_add_u64 v[22:23], v[22:23], 0, 1
	v_lshl_add_u64 v[24:25], v[24:25], 0, 1
	s_andn2_b64 s[22:23], s[22:23], exec
	s_or_b64 s[24:25], s[24:25], s[44:45]
	s_branch .LBB261_108
.LBB261_111:
	s_or_b64 exec, exec, s[20:21]
	s_and_saveexec_b64 s[20:21], s[12:13]
	s_xor_b64 s[12:13], exec, s[20:21]
; %bb.112:
	v_cndmask_b32_e64 v23, v11, v13, s[10:11]
	v_cndmask_b32_e64 v22, v10, v12, s[10:11]
	;; [unrolled: 1-line block ×4, first 2 shown]
	v_mov_b64_e32 v[10:11], v[22:23]
; %bb.113:
	s_or_b64 exec, exec, s[12:13]
.LBB261_114:
	s_and_b64 vcc, exec, s[0:1]
	s_cbranch_vccnz .LBB261_188
; %bb.115:
	v_mov_b64_e32 v[24:25], s[38:39]
	v_mad_u64_u32 v[22:23], s[10:11], v8, s36, v[24:25]
	v_mul_lo_u32 v27, v8, s37
	v_mul_lo_u32 v35, v9, s36
	v_add3_u32 v23, v35, v23, v27
	v_mad_u64_u32 v[24:25], s[10:11], v6, s36, v[24:25]
	v_mul_lo_u32 v27, v6, s37
	v_mul_lo_u32 v35, v7, s36
	v_add3_u32 v25, v35, v25, v27
	s_mov_b64 s[12:13], 0
	s_mov_b64 s[28:29], s[36:37]
                                        ; implicit-def: $sgpr10_sgpr11
                                        ; implicit-def: $sgpr20_sgpr21
                                        ; implicit-def: $sgpr24_sgpr25
                                        ; implicit-def: $sgpr22_sgpr23
                                        ; implicit-def: $sgpr26_sgpr27
	s_branch .LBB261_117
.LBB261_116:                            ;   in Loop: Header=BB261_117 Depth=1
	s_or_b64 exec, exec, s[42:43]
	s_and_b64 s[40:41], s[40:41], s[26:27]
	s_or_b64 s[34:35], s[34:35], s[40:41]
	s_and_b64 s[40:41], exec, s[24:25]
	s_or_b64 s[12:13], s[40:41], s[12:13]
	s_andn2_b64 s[26:27], s[26:27], exec
	s_and_b64 s[34:35], s[34:35], exec
	s_andn2_b64 s[20:21], s[20:21], exec
	s_and_b64 s[40:41], s[22:23], exec
	s_andn2_b64 s[10:11], s[10:11], exec
	s_or_b64 s[26:27], s[26:27], s[34:35]
	s_or_b64 s[20:21], s[20:21], s[40:41]
	;; [unrolled: 1-line block ×3, first 2 shown]
	s_andn2_b64 exec, exec, s[12:13]
	s_cbranch_execz .LBB261_119
.LBB261_117:                            ; =>This Inner Loop Header: Depth=1
	global_load_ubyte v27, v[22:23], off
	global_load_ubyte v35, v[24:25], off
	s_or_b64 s[22:23], s[22:23], exec
	s_or_b64 s[24:25], s[24:25], exec
	s_waitcnt vmcnt(0)
	v_cmp_lt_i16_sdwa s[34:35], sext(v27), sext(v35) src0_sel:BYTE_0 src1_sel:BYTE_0
	v_cmp_le_i16_sdwa s[40:41], sext(v27), sext(v35) src0_sel:BYTE_0 src1_sel:BYTE_0
	v_cmp_eq_u16_sdwa s[44:45], v27, v35 src0_sel:BYTE_0 src1_sel:BYTE_0
	s_and_saveexec_b64 s[42:43], s[44:45]
	s_cbranch_execz .LBB261_116
; %bb.118:                              ;   in Loop: Header=BB261_117 Depth=1
	s_add_u32 s28, s28, -1
	s_addc_u32 s29, s29, -1
	s_cmp_eq_u64 s[28:29], 0
	s_cselect_b64 s[44:45], -1, 0
	s_andn2_b64 s[24:25], s[24:25], exec
	s_and_b64 s[44:45], s[44:45], exec
	v_lshl_add_u64 v[22:23], v[22:23], 0, 1
	v_lshl_add_u64 v[24:25], v[24:25], 0, 1
	s_andn2_b64 s[22:23], s[22:23], exec
	s_or_b64 s[24:25], s[24:25], s[44:45]
	s_branch .LBB261_116
.LBB261_119:
	s_or_b64 exec, exec, s[12:13]
	s_and_saveexec_b64 s[12:13], s[20:21]
	s_xor_b64 s[12:13], exec, s[12:13]
; %bb.120:
	v_cndmask_b32_e64 v23, v7, v9, s[10:11]
	v_cndmask_b32_e64 v22, v6, v8, s[10:11]
	;; [unrolled: 1-line block ×4, first 2 shown]
	v_mov_b64_e32 v[6:7], v[22:23]
; %bb.121:
	s_or_b64 exec, exec, s[12:13]
	v_mov_b64_e32 v[24:25], s[38:39]
	v_mad_u64_u32 v[22:23], s[10:11], v4, s36, v[24:25]
	v_mul_lo_u32 v27, v4, s37
	v_mul_lo_u32 v35, v5, s36
	v_add3_u32 v23, v35, v23, v27
	v_mad_u64_u32 v[24:25], s[10:11], v2, s36, v[24:25]
	v_mul_lo_u32 v27, v2, s37
	v_mul_lo_u32 v35, v3, s36
	v_add3_u32 v25, v35, v25, v27
	s_mov_b64 s[12:13], 0
	s_mov_b64 s[28:29], s[36:37]
                                        ; implicit-def: $sgpr10_sgpr11
                                        ; implicit-def: $sgpr20_sgpr21
                                        ; implicit-def: $sgpr24_sgpr25
                                        ; implicit-def: $sgpr22_sgpr23
                                        ; implicit-def: $sgpr26_sgpr27
	s_branch .LBB261_123
.LBB261_122:                            ;   in Loop: Header=BB261_123 Depth=1
	s_or_b64 exec, exec, s[42:43]
	s_and_b64 s[40:41], s[40:41], s[26:27]
	s_or_b64 s[34:35], s[34:35], s[40:41]
	s_and_b64 s[40:41], exec, s[24:25]
	s_or_b64 s[12:13], s[40:41], s[12:13]
	s_andn2_b64 s[26:27], s[26:27], exec
	s_and_b64 s[34:35], s[34:35], exec
	s_andn2_b64 s[20:21], s[20:21], exec
	s_and_b64 s[40:41], s[22:23], exec
	s_andn2_b64 s[10:11], s[10:11], exec
	s_or_b64 s[26:27], s[26:27], s[34:35]
	s_or_b64 s[20:21], s[20:21], s[40:41]
	s_or_b64 s[10:11], s[10:11], s[34:35]
	s_andn2_b64 exec, exec, s[12:13]
	s_cbranch_execz .LBB261_125
.LBB261_123:                            ; =>This Inner Loop Header: Depth=1
	global_load_ubyte v27, v[22:23], off
	global_load_ubyte v35, v[24:25], off
	s_or_b64 s[22:23], s[22:23], exec
	s_or_b64 s[24:25], s[24:25], exec
	s_waitcnt vmcnt(0)
	v_cmp_lt_i16_sdwa s[34:35], sext(v27), sext(v35) src0_sel:BYTE_0 src1_sel:BYTE_0
	v_cmp_le_i16_sdwa s[40:41], sext(v27), sext(v35) src0_sel:BYTE_0 src1_sel:BYTE_0
	v_cmp_eq_u16_sdwa s[44:45], v27, v35 src0_sel:BYTE_0 src1_sel:BYTE_0
	s_and_saveexec_b64 s[42:43], s[44:45]
	s_cbranch_execz .LBB261_122
; %bb.124:                              ;   in Loop: Header=BB261_123 Depth=1
	s_add_u32 s28, s28, -1
	s_addc_u32 s29, s29, -1
	s_cmp_eq_u64 s[28:29], 0
	s_cselect_b64 s[44:45], -1, 0
	s_andn2_b64 s[24:25], s[24:25], exec
	s_and_b64 s[44:45], s[44:45], exec
	v_lshl_add_u64 v[22:23], v[22:23], 0, 1
	v_lshl_add_u64 v[24:25], v[24:25], 0, 1
	s_andn2_b64 s[22:23], s[22:23], exec
	s_or_b64 s[24:25], s[24:25], s[44:45]
	s_branch .LBB261_122
.LBB261_125:
	s_or_b64 exec, exec, s[12:13]
	s_and_saveexec_b64 s[12:13], s[20:21]
	s_xor_b64 s[12:13], exec, s[12:13]
; %bb.126:
	v_cndmask_b32_e64 v23, v3, v5, s[10:11]
	v_cndmask_b32_e64 v22, v2, v4, s[10:11]
	;; [unrolled: 1-line block ×4, first 2 shown]
	v_mov_b64_e32 v[2:3], v[22:23]
; %bb.127:
	s_or_b64 exec, exec, s[12:13]
	v_mov_b64_e32 v[24:25], s[38:39]
	v_mad_u64_u32 v[22:23], s[10:11], v10, s36, v[24:25]
	v_mul_lo_u32 v27, v10, s37
	v_mul_lo_u32 v35, v11, s36
	v_add3_u32 v23, v35, v23, v27
	v_mad_u64_u32 v[24:25], s[10:11], v16, s36, v[24:25]
	v_mul_lo_u32 v27, v16, s37
	v_mul_lo_u32 v35, v17, s36
	v_add3_u32 v25, v35, v25, v27
	s_mov_b64 s[12:13], 0
	s_mov_b64 s[28:29], s[36:37]
                                        ; implicit-def: $sgpr10_sgpr11
                                        ; implicit-def: $sgpr20_sgpr21
                                        ; implicit-def: $sgpr24_sgpr25
                                        ; implicit-def: $sgpr22_sgpr23
                                        ; implicit-def: $sgpr26_sgpr27
	s_branch .LBB261_129
.LBB261_128:                            ;   in Loop: Header=BB261_129 Depth=1
	s_or_b64 exec, exec, s[42:43]
	s_and_b64 s[40:41], s[40:41], s[26:27]
	s_or_b64 s[34:35], s[34:35], s[40:41]
	s_and_b64 s[40:41], exec, s[24:25]
	s_or_b64 s[12:13], s[40:41], s[12:13]
	s_andn2_b64 s[26:27], s[26:27], exec
	s_and_b64 s[34:35], s[34:35], exec
	s_andn2_b64 s[20:21], s[20:21], exec
	s_and_b64 s[40:41], s[22:23], exec
	s_andn2_b64 s[10:11], s[10:11], exec
	s_or_b64 s[26:27], s[26:27], s[34:35]
	s_or_b64 s[20:21], s[20:21], s[40:41]
	;; [unrolled: 1-line block ×3, first 2 shown]
	s_andn2_b64 exec, exec, s[12:13]
	s_cbranch_execz .LBB261_131
.LBB261_129:                            ; =>This Inner Loop Header: Depth=1
	global_load_ubyte v27, v[22:23], off
	global_load_ubyte v35, v[24:25], off
	s_or_b64 s[22:23], s[22:23], exec
	s_or_b64 s[24:25], s[24:25], exec
	s_waitcnt vmcnt(0)
	v_cmp_lt_i16_sdwa s[34:35], sext(v27), sext(v35) src0_sel:BYTE_0 src1_sel:BYTE_0
	v_cmp_le_i16_sdwa s[40:41], sext(v27), sext(v35) src0_sel:BYTE_0 src1_sel:BYTE_0
	v_cmp_eq_u16_sdwa s[44:45], v27, v35 src0_sel:BYTE_0 src1_sel:BYTE_0
	s_and_saveexec_b64 s[42:43], s[44:45]
	s_cbranch_execz .LBB261_128
; %bb.130:                              ;   in Loop: Header=BB261_129 Depth=1
	s_add_u32 s28, s28, -1
	s_addc_u32 s29, s29, -1
	s_cmp_eq_u64 s[28:29], 0
	s_cselect_b64 s[44:45], -1, 0
	s_andn2_b64 s[24:25], s[24:25], exec
	s_and_b64 s[44:45], s[44:45], exec
	v_lshl_add_u64 v[22:23], v[22:23], 0, 1
	v_lshl_add_u64 v[24:25], v[24:25], 0, 1
	s_andn2_b64 s[22:23], s[22:23], exec
	s_or_b64 s[24:25], s[24:25], s[44:45]
	s_branch .LBB261_128
.LBB261_131:
	s_or_b64 exec, exec, s[12:13]
	s_and_saveexec_b64 s[12:13], s[20:21]
	s_xor_b64 s[12:13], exec, s[12:13]
; %bb.132:
	v_cndmask_b32_e64 v23, v17, v11, s[10:11]
	v_cndmask_b32_e64 v22, v16, v10, s[10:11]
	;; [unrolled: 1-line block ×4, first 2 shown]
	v_mov_b64_e32 v[16:17], v[22:23]
; %bb.133:
	s_or_b64 exec, exec, s[12:13]
	v_mov_b64_e32 v[24:25], s[38:39]
	v_mad_u64_u32 v[22:23], s[10:11], v6, s36, v[24:25]
	v_mul_lo_u32 v27, v6, s37
	v_mul_lo_u32 v35, v7, s36
	v_add3_u32 v23, v35, v23, v27
	v_mad_u64_u32 v[24:25], s[10:11], v12, s36, v[24:25]
	v_mul_lo_u32 v27, v12, s37
	v_mul_lo_u32 v35, v13, s36
	v_add3_u32 v25, v35, v25, v27
	s_mov_b64 s[12:13], 0
	s_mov_b64 s[28:29], s[36:37]
                                        ; implicit-def: $sgpr10_sgpr11
                                        ; implicit-def: $sgpr20_sgpr21
                                        ; implicit-def: $sgpr24_sgpr25
                                        ; implicit-def: $sgpr22_sgpr23
                                        ; implicit-def: $sgpr26_sgpr27
	s_branch .LBB261_135
.LBB261_134:                            ;   in Loop: Header=BB261_135 Depth=1
	s_or_b64 exec, exec, s[42:43]
	s_and_b64 s[40:41], s[40:41], s[26:27]
	s_or_b64 s[34:35], s[34:35], s[40:41]
	s_and_b64 s[40:41], exec, s[24:25]
	s_or_b64 s[12:13], s[40:41], s[12:13]
	s_andn2_b64 s[26:27], s[26:27], exec
	s_and_b64 s[34:35], s[34:35], exec
	s_andn2_b64 s[20:21], s[20:21], exec
	s_and_b64 s[40:41], s[22:23], exec
	s_andn2_b64 s[10:11], s[10:11], exec
	s_or_b64 s[26:27], s[26:27], s[34:35]
	s_or_b64 s[20:21], s[20:21], s[40:41]
	;; [unrolled: 1-line block ×3, first 2 shown]
	s_andn2_b64 exec, exec, s[12:13]
	s_cbranch_execz .LBB261_137
.LBB261_135:                            ; =>This Inner Loop Header: Depth=1
	global_load_ubyte v27, v[22:23], off
	global_load_ubyte v35, v[24:25], off
	s_or_b64 s[22:23], s[22:23], exec
	s_or_b64 s[24:25], s[24:25], exec
	s_waitcnt vmcnt(0)
	v_cmp_lt_i16_sdwa s[34:35], sext(v27), sext(v35) src0_sel:BYTE_0 src1_sel:BYTE_0
	v_cmp_le_i16_sdwa s[40:41], sext(v27), sext(v35) src0_sel:BYTE_0 src1_sel:BYTE_0
	v_cmp_eq_u16_sdwa s[44:45], v27, v35 src0_sel:BYTE_0 src1_sel:BYTE_0
	s_and_saveexec_b64 s[42:43], s[44:45]
	s_cbranch_execz .LBB261_134
; %bb.136:                              ;   in Loop: Header=BB261_135 Depth=1
	s_add_u32 s28, s28, -1
	s_addc_u32 s29, s29, -1
	s_cmp_eq_u64 s[28:29], 0
	s_cselect_b64 s[44:45], -1, 0
	s_andn2_b64 s[24:25], s[24:25], exec
	s_and_b64 s[44:45], s[44:45], exec
	v_lshl_add_u64 v[22:23], v[22:23], 0, 1
	v_lshl_add_u64 v[24:25], v[24:25], 0, 1
	s_andn2_b64 s[22:23], s[22:23], exec
	s_or_b64 s[24:25], s[24:25], s[44:45]
	s_branch .LBB261_134
.LBB261_137:
	s_or_b64 exec, exec, s[12:13]
	s_and_saveexec_b64 s[12:13], s[20:21]
	s_xor_b64 s[12:13], exec, s[12:13]
; %bb.138:
	v_cndmask_b32_e64 v23, v13, v7, s[10:11]
	v_cndmask_b32_e64 v22, v12, v6, s[10:11]
	v_cndmask_b32_e64 v7, v7, v13, s[10:11]
	v_cndmask_b32_e64 v6, v6, v12, s[10:11]
	v_mov_b64_e32 v[12:13], v[22:23]
; %bb.139:
	s_or_b64 exec, exec, s[12:13]
	v_mov_b64_e32 v[24:25], s[38:39]
	v_mad_u64_u32 v[22:23], s[10:11], v2, s36, v[24:25]
	v_mul_lo_u32 v27, v2, s37
	v_mul_lo_u32 v35, v3, s36
	v_add3_u32 v23, v35, v23, v27
	v_mad_u64_u32 v[24:25], s[10:11], v8, s36, v[24:25]
	v_mul_lo_u32 v27, v8, s37
	v_mul_lo_u32 v35, v9, s36
	v_add3_u32 v25, v35, v25, v27
	s_mov_b64 s[12:13], 0
	s_mov_b64 s[28:29], s[36:37]
                                        ; implicit-def: $sgpr10_sgpr11
                                        ; implicit-def: $sgpr20_sgpr21
                                        ; implicit-def: $sgpr24_sgpr25
                                        ; implicit-def: $sgpr22_sgpr23
                                        ; implicit-def: $sgpr26_sgpr27
	s_branch .LBB261_141
.LBB261_140:                            ;   in Loop: Header=BB261_141 Depth=1
	s_or_b64 exec, exec, s[42:43]
	s_and_b64 s[40:41], s[40:41], s[26:27]
	s_or_b64 s[34:35], s[34:35], s[40:41]
	s_and_b64 s[40:41], exec, s[24:25]
	s_or_b64 s[12:13], s[40:41], s[12:13]
	s_andn2_b64 s[26:27], s[26:27], exec
	s_and_b64 s[34:35], s[34:35], exec
	s_andn2_b64 s[20:21], s[20:21], exec
	s_and_b64 s[40:41], s[22:23], exec
	s_andn2_b64 s[10:11], s[10:11], exec
	s_or_b64 s[26:27], s[26:27], s[34:35]
	s_or_b64 s[20:21], s[20:21], s[40:41]
	s_or_b64 s[10:11], s[10:11], s[34:35]
	s_andn2_b64 exec, exec, s[12:13]
	s_cbranch_execz .LBB261_143
.LBB261_141:                            ; =>This Inner Loop Header: Depth=1
	global_load_ubyte v27, v[22:23], off
	global_load_ubyte v35, v[24:25], off
	s_or_b64 s[22:23], s[22:23], exec
	s_or_b64 s[24:25], s[24:25], exec
	s_waitcnt vmcnt(0)
	v_cmp_lt_i16_sdwa s[34:35], sext(v27), sext(v35) src0_sel:BYTE_0 src1_sel:BYTE_0
	v_cmp_le_i16_sdwa s[40:41], sext(v27), sext(v35) src0_sel:BYTE_0 src1_sel:BYTE_0
	v_cmp_eq_u16_sdwa s[44:45], v27, v35 src0_sel:BYTE_0 src1_sel:BYTE_0
	s_and_saveexec_b64 s[42:43], s[44:45]
	s_cbranch_execz .LBB261_140
; %bb.142:                              ;   in Loop: Header=BB261_141 Depth=1
	s_add_u32 s28, s28, -1
	s_addc_u32 s29, s29, -1
	s_cmp_eq_u64 s[28:29], 0
	s_cselect_b64 s[44:45], -1, 0
	s_andn2_b64 s[24:25], s[24:25], exec
	s_and_b64 s[44:45], s[44:45], exec
	v_lshl_add_u64 v[22:23], v[22:23], 0, 1
	v_lshl_add_u64 v[24:25], v[24:25], 0, 1
	s_andn2_b64 s[22:23], s[22:23], exec
	s_or_b64 s[24:25], s[24:25], s[44:45]
	s_branch .LBB261_140
.LBB261_143:
	s_or_b64 exec, exec, s[12:13]
	s_and_saveexec_b64 s[12:13], s[20:21]
	s_xor_b64 s[12:13], exec, s[12:13]
; %bb.144:
	v_cndmask_b32_e64 v23, v9, v3, s[10:11]
	v_cndmask_b32_e64 v22, v8, v2, s[10:11]
	;; [unrolled: 1-line block ×4, first 2 shown]
	v_mov_b64_e32 v[8:9], v[22:23]
; %bb.145:
	s_or_b64 exec, exec, s[12:13]
	v_mov_b64_e32 v[24:25], s[38:39]
	v_mad_u64_u32 v[22:23], s[10:11], v16, s36, v[24:25]
	v_mul_lo_u32 v27, v16, s37
	v_mul_lo_u32 v35, v17, s36
	v_add3_u32 v23, v35, v23, v27
	v_mad_u64_u32 v[24:25], s[10:11], v14, s36, v[24:25]
	v_mul_lo_u32 v27, v14, s37
	v_mul_lo_u32 v35, v15, s36
	v_add3_u32 v25, v35, v25, v27
	s_mov_b64 s[12:13], 0
	s_mov_b64 s[28:29], s[36:37]
                                        ; implicit-def: $sgpr10_sgpr11
                                        ; implicit-def: $sgpr20_sgpr21
                                        ; implicit-def: $sgpr24_sgpr25
                                        ; implicit-def: $sgpr22_sgpr23
                                        ; implicit-def: $sgpr26_sgpr27
	s_branch .LBB261_147
.LBB261_146:                            ;   in Loop: Header=BB261_147 Depth=1
	s_or_b64 exec, exec, s[42:43]
	s_and_b64 s[40:41], s[40:41], s[26:27]
	s_or_b64 s[34:35], s[34:35], s[40:41]
	s_and_b64 s[40:41], exec, s[24:25]
	s_or_b64 s[12:13], s[40:41], s[12:13]
	s_andn2_b64 s[26:27], s[26:27], exec
	s_and_b64 s[34:35], s[34:35], exec
	s_andn2_b64 s[20:21], s[20:21], exec
	s_and_b64 s[40:41], s[22:23], exec
	s_andn2_b64 s[10:11], s[10:11], exec
	s_or_b64 s[26:27], s[26:27], s[34:35]
	s_or_b64 s[20:21], s[20:21], s[40:41]
	;; [unrolled: 1-line block ×3, first 2 shown]
	s_andn2_b64 exec, exec, s[12:13]
	s_cbranch_execz .LBB261_149
.LBB261_147:                            ; =>This Inner Loop Header: Depth=1
	global_load_ubyte v27, v[22:23], off
	global_load_ubyte v35, v[24:25], off
	s_or_b64 s[22:23], s[22:23], exec
	s_or_b64 s[24:25], s[24:25], exec
	s_waitcnt vmcnt(0)
	v_cmp_lt_i16_sdwa s[34:35], sext(v27), sext(v35) src0_sel:BYTE_0 src1_sel:BYTE_0
	v_cmp_le_i16_sdwa s[40:41], sext(v27), sext(v35) src0_sel:BYTE_0 src1_sel:BYTE_0
	v_cmp_eq_u16_sdwa s[44:45], v27, v35 src0_sel:BYTE_0 src1_sel:BYTE_0
	s_and_saveexec_b64 s[42:43], s[44:45]
	s_cbranch_execz .LBB261_146
; %bb.148:                              ;   in Loop: Header=BB261_147 Depth=1
	s_add_u32 s28, s28, -1
	s_addc_u32 s29, s29, -1
	s_cmp_eq_u64 s[28:29], 0
	s_cselect_b64 s[44:45], -1, 0
	s_andn2_b64 s[24:25], s[24:25], exec
	s_and_b64 s[44:45], s[44:45], exec
	v_lshl_add_u64 v[22:23], v[22:23], 0, 1
	v_lshl_add_u64 v[24:25], v[24:25], 0, 1
	s_andn2_b64 s[22:23], s[22:23], exec
	s_or_b64 s[24:25], s[24:25], s[44:45]
	s_branch .LBB261_146
.LBB261_149:
	s_or_b64 exec, exec, s[12:13]
	s_and_saveexec_b64 s[12:13], s[20:21]
	s_xor_b64 s[12:13], exec, s[12:13]
; %bb.150:
	v_cndmask_b32_e64 v23, v17, v15, s[10:11]
	v_cndmask_b32_e64 v22, v16, v14, s[10:11]
	v_cndmask_b32_e64 v15, v15, v17, s[10:11]
	v_cndmask_b32_e64 v14, v14, v16, s[10:11]
	v_mov_b64_e32 v[16:17], v[22:23]
; %bb.151:
	s_or_b64 exec, exec, s[12:13]
	v_mov_b64_e32 v[24:25], s[38:39]
	v_mad_u64_u32 v[22:23], s[10:11], v12, s36, v[24:25]
	v_mul_lo_u32 v27, v12, s37
	v_mul_lo_u32 v35, v13, s36
	v_add3_u32 v23, v35, v23, v27
	v_mad_u64_u32 v[24:25], s[10:11], v10, s36, v[24:25]
	v_mul_lo_u32 v27, v10, s37
	v_mul_lo_u32 v35, v11, s36
	v_add3_u32 v25, v35, v25, v27
	s_mov_b64 s[12:13], 0
	s_mov_b64 s[28:29], s[36:37]
                                        ; implicit-def: $sgpr10_sgpr11
                                        ; implicit-def: $sgpr20_sgpr21
                                        ; implicit-def: $sgpr24_sgpr25
                                        ; implicit-def: $sgpr22_sgpr23
                                        ; implicit-def: $sgpr26_sgpr27
	s_branch .LBB261_153
.LBB261_152:                            ;   in Loop: Header=BB261_153 Depth=1
	s_or_b64 exec, exec, s[42:43]
	s_and_b64 s[40:41], s[40:41], s[26:27]
	s_or_b64 s[34:35], s[34:35], s[40:41]
	s_and_b64 s[40:41], exec, s[24:25]
	s_or_b64 s[12:13], s[40:41], s[12:13]
	s_andn2_b64 s[26:27], s[26:27], exec
	s_and_b64 s[34:35], s[34:35], exec
	s_andn2_b64 s[20:21], s[20:21], exec
	s_and_b64 s[40:41], s[22:23], exec
	s_andn2_b64 s[10:11], s[10:11], exec
	s_or_b64 s[26:27], s[26:27], s[34:35]
	s_or_b64 s[20:21], s[20:21], s[40:41]
	;; [unrolled: 1-line block ×3, first 2 shown]
	s_andn2_b64 exec, exec, s[12:13]
	s_cbranch_execz .LBB261_155
.LBB261_153:                            ; =>This Inner Loop Header: Depth=1
	global_load_ubyte v27, v[22:23], off
	global_load_ubyte v35, v[24:25], off
	s_or_b64 s[22:23], s[22:23], exec
	s_or_b64 s[24:25], s[24:25], exec
	s_waitcnt vmcnt(0)
	v_cmp_lt_i16_sdwa s[34:35], sext(v27), sext(v35) src0_sel:BYTE_0 src1_sel:BYTE_0
	v_cmp_le_i16_sdwa s[40:41], sext(v27), sext(v35) src0_sel:BYTE_0 src1_sel:BYTE_0
	v_cmp_eq_u16_sdwa s[44:45], v27, v35 src0_sel:BYTE_0 src1_sel:BYTE_0
	s_and_saveexec_b64 s[42:43], s[44:45]
	s_cbranch_execz .LBB261_152
; %bb.154:                              ;   in Loop: Header=BB261_153 Depth=1
	s_add_u32 s28, s28, -1
	s_addc_u32 s29, s29, -1
	s_cmp_eq_u64 s[28:29], 0
	s_cselect_b64 s[44:45], -1, 0
	s_andn2_b64 s[24:25], s[24:25], exec
	s_and_b64 s[44:45], s[44:45], exec
	v_lshl_add_u64 v[22:23], v[22:23], 0, 1
	v_lshl_add_u64 v[24:25], v[24:25], 0, 1
	s_andn2_b64 s[22:23], s[22:23], exec
	s_or_b64 s[24:25], s[24:25], s[44:45]
	s_branch .LBB261_152
.LBB261_155:
	s_or_b64 exec, exec, s[12:13]
	s_and_saveexec_b64 s[12:13], s[20:21]
	s_xor_b64 s[12:13], exec, s[12:13]
; %bb.156:
	v_cndmask_b32_e64 v23, v11, v13, s[10:11]
	v_cndmask_b32_e64 v22, v10, v12, s[10:11]
	;; [unrolled: 1-line block ×4, first 2 shown]
	v_mov_b64_e32 v[10:11], v[22:23]
; %bb.157:
	s_or_b64 exec, exec, s[12:13]
	v_mov_b64_e32 v[24:25], s[38:39]
	v_mad_u64_u32 v[22:23], s[10:11], v8, s36, v[24:25]
	v_mul_lo_u32 v27, v8, s37
	v_mul_lo_u32 v35, v9, s36
	v_add3_u32 v23, v35, v23, v27
	v_mad_u64_u32 v[24:25], s[10:11], v6, s36, v[24:25]
	v_mul_lo_u32 v27, v6, s37
	v_mul_lo_u32 v35, v7, s36
	v_add3_u32 v25, v35, v25, v27
	s_mov_b64 s[12:13], 0
	s_mov_b64 s[28:29], s[36:37]
                                        ; implicit-def: $sgpr10_sgpr11
                                        ; implicit-def: $sgpr20_sgpr21
                                        ; implicit-def: $sgpr24_sgpr25
                                        ; implicit-def: $sgpr22_sgpr23
                                        ; implicit-def: $sgpr26_sgpr27
	s_branch .LBB261_159
.LBB261_158:                            ;   in Loop: Header=BB261_159 Depth=1
	s_or_b64 exec, exec, s[42:43]
	s_and_b64 s[40:41], s[40:41], s[26:27]
	s_or_b64 s[34:35], s[34:35], s[40:41]
	s_and_b64 s[40:41], exec, s[24:25]
	s_or_b64 s[12:13], s[40:41], s[12:13]
	s_andn2_b64 s[26:27], s[26:27], exec
	s_and_b64 s[34:35], s[34:35], exec
	s_andn2_b64 s[20:21], s[20:21], exec
	s_and_b64 s[40:41], s[22:23], exec
	s_andn2_b64 s[10:11], s[10:11], exec
	s_or_b64 s[26:27], s[26:27], s[34:35]
	s_or_b64 s[20:21], s[20:21], s[40:41]
	s_or_b64 s[10:11], s[10:11], s[34:35]
	s_andn2_b64 exec, exec, s[12:13]
	s_cbranch_execz .LBB261_161
.LBB261_159:                            ; =>This Inner Loop Header: Depth=1
	global_load_ubyte v27, v[22:23], off
	global_load_ubyte v35, v[24:25], off
	s_or_b64 s[22:23], s[22:23], exec
	s_or_b64 s[24:25], s[24:25], exec
	s_waitcnt vmcnt(0)
	v_cmp_lt_i16_sdwa s[34:35], sext(v27), sext(v35) src0_sel:BYTE_0 src1_sel:BYTE_0
	v_cmp_le_i16_sdwa s[40:41], sext(v27), sext(v35) src0_sel:BYTE_0 src1_sel:BYTE_0
	v_cmp_eq_u16_sdwa s[44:45], v27, v35 src0_sel:BYTE_0 src1_sel:BYTE_0
	s_and_saveexec_b64 s[42:43], s[44:45]
	s_cbranch_execz .LBB261_158
; %bb.160:                              ;   in Loop: Header=BB261_159 Depth=1
	s_add_u32 s28, s28, -1
	s_addc_u32 s29, s29, -1
	s_cmp_eq_u64 s[28:29], 0
	s_cselect_b64 s[44:45], -1, 0
	s_andn2_b64 s[24:25], s[24:25], exec
	s_and_b64 s[44:45], s[44:45], exec
	v_lshl_add_u64 v[22:23], v[22:23], 0, 1
	v_lshl_add_u64 v[24:25], v[24:25], 0, 1
	s_andn2_b64 s[22:23], s[22:23], exec
	s_or_b64 s[24:25], s[24:25], s[44:45]
	s_branch .LBB261_158
.LBB261_161:
	s_or_b64 exec, exec, s[12:13]
	s_and_saveexec_b64 s[12:13], s[20:21]
	s_xor_b64 s[12:13], exec, s[12:13]
; %bb.162:
	v_cndmask_b32_e64 v23, v7, v9, s[10:11]
	v_cndmask_b32_e64 v22, v6, v8, s[10:11]
	;; [unrolled: 1-line block ×4, first 2 shown]
	v_mov_b64_e32 v[6:7], v[22:23]
; %bb.163:
	s_or_b64 exec, exec, s[12:13]
	v_mov_b64_e32 v[24:25], s[38:39]
	v_mad_u64_u32 v[22:23], s[10:11], v4, s36, v[24:25]
	v_mul_lo_u32 v27, v4, s37
	v_mul_lo_u32 v35, v5, s36
	v_add3_u32 v23, v35, v23, v27
	v_mad_u64_u32 v[24:25], s[10:11], v2, s36, v[24:25]
	v_mul_lo_u32 v27, v2, s37
	v_mul_lo_u32 v35, v3, s36
	v_add3_u32 v25, v35, v25, v27
	s_mov_b64 s[12:13], 0
	s_mov_b64 s[28:29], s[36:37]
                                        ; implicit-def: $sgpr10_sgpr11
                                        ; implicit-def: $sgpr20_sgpr21
                                        ; implicit-def: $sgpr24_sgpr25
                                        ; implicit-def: $sgpr22_sgpr23
                                        ; implicit-def: $sgpr26_sgpr27
	s_branch .LBB261_165
.LBB261_164:                            ;   in Loop: Header=BB261_165 Depth=1
	s_or_b64 exec, exec, s[42:43]
	s_and_b64 s[40:41], s[40:41], s[26:27]
	s_or_b64 s[34:35], s[34:35], s[40:41]
	s_and_b64 s[40:41], exec, s[24:25]
	s_or_b64 s[12:13], s[40:41], s[12:13]
	s_andn2_b64 s[26:27], s[26:27], exec
	s_and_b64 s[34:35], s[34:35], exec
	s_andn2_b64 s[20:21], s[20:21], exec
	s_and_b64 s[40:41], s[22:23], exec
	s_andn2_b64 s[10:11], s[10:11], exec
	s_or_b64 s[26:27], s[26:27], s[34:35]
	s_or_b64 s[20:21], s[20:21], s[40:41]
	;; [unrolled: 1-line block ×3, first 2 shown]
	s_andn2_b64 exec, exec, s[12:13]
	s_cbranch_execz .LBB261_167
.LBB261_165:                            ; =>This Inner Loop Header: Depth=1
	global_load_ubyte v27, v[22:23], off
	global_load_ubyte v35, v[24:25], off
	s_or_b64 s[22:23], s[22:23], exec
	s_or_b64 s[24:25], s[24:25], exec
	s_waitcnt vmcnt(0)
	v_cmp_lt_i16_sdwa s[34:35], sext(v27), sext(v35) src0_sel:BYTE_0 src1_sel:BYTE_0
	v_cmp_le_i16_sdwa s[40:41], sext(v27), sext(v35) src0_sel:BYTE_0 src1_sel:BYTE_0
	v_cmp_eq_u16_sdwa s[44:45], v27, v35 src0_sel:BYTE_0 src1_sel:BYTE_0
	s_and_saveexec_b64 s[42:43], s[44:45]
	s_cbranch_execz .LBB261_164
; %bb.166:                              ;   in Loop: Header=BB261_165 Depth=1
	s_add_u32 s28, s28, -1
	s_addc_u32 s29, s29, -1
	s_cmp_eq_u64 s[28:29], 0
	s_cselect_b64 s[44:45], -1, 0
	s_andn2_b64 s[24:25], s[24:25], exec
	s_and_b64 s[44:45], s[44:45], exec
	v_lshl_add_u64 v[22:23], v[22:23], 0, 1
	v_lshl_add_u64 v[24:25], v[24:25], 0, 1
	s_andn2_b64 s[22:23], s[22:23], exec
	s_or_b64 s[24:25], s[24:25], s[44:45]
	s_branch .LBB261_164
.LBB261_167:
	s_or_b64 exec, exec, s[12:13]
	s_and_saveexec_b64 s[12:13], s[20:21]
	s_xor_b64 s[12:13], exec, s[12:13]
; %bb.168:
	v_cndmask_b32_e64 v23, v3, v5, s[10:11]
	v_cndmask_b32_e64 v22, v2, v4, s[10:11]
	;; [unrolled: 1-line block ×4, first 2 shown]
	v_mov_b64_e32 v[2:3], v[22:23]
; %bb.169:
	s_or_b64 exec, exec, s[12:13]
	v_mov_b64_e32 v[24:25], s[38:39]
	v_mad_u64_u32 v[22:23], s[10:11], v10, s36, v[24:25]
	v_mul_lo_u32 v27, v10, s37
	v_mul_lo_u32 v35, v11, s36
	v_add3_u32 v23, v35, v23, v27
	v_mad_u64_u32 v[24:25], s[10:11], v16, s36, v[24:25]
	v_mul_lo_u32 v27, v16, s37
	v_mul_lo_u32 v35, v17, s36
	v_add3_u32 v25, v35, v25, v27
	s_mov_b64 s[12:13], 0
	s_mov_b64 s[28:29], s[36:37]
                                        ; implicit-def: $sgpr10_sgpr11
                                        ; implicit-def: $sgpr20_sgpr21
                                        ; implicit-def: $sgpr24_sgpr25
                                        ; implicit-def: $sgpr22_sgpr23
                                        ; implicit-def: $sgpr26_sgpr27
	s_branch .LBB261_171
.LBB261_170:                            ;   in Loop: Header=BB261_171 Depth=1
	s_or_b64 exec, exec, s[42:43]
	s_and_b64 s[40:41], s[40:41], s[26:27]
	s_or_b64 s[34:35], s[34:35], s[40:41]
	s_and_b64 s[40:41], exec, s[24:25]
	s_or_b64 s[12:13], s[40:41], s[12:13]
	s_andn2_b64 s[26:27], s[26:27], exec
	s_and_b64 s[34:35], s[34:35], exec
	s_andn2_b64 s[20:21], s[20:21], exec
	s_and_b64 s[40:41], s[22:23], exec
	s_andn2_b64 s[10:11], s[10:11], exec
	s_or_b64 s[26:27], s[26:27], s[34:35]
	s_or_b64 s[20:21], s[20:21], s[40:41]
	;; [unrolled: 1-line block ×3, first 2 shown]
	s_andn2_b64 exec, exec, s[12:13]
	s_cbranch_execz .LBB261_173
.LBB261_171:                            ; =>This Inner Loop Header: Depth=1
	global_load_ubyte v27, v[22:23], off
	global_load_ubyte v35, v[24:25], off
	s_or_b64 s[22:23], s[22:23], exec
	s_or_b64 s[24:25], s[24:25], exec
	s_waitcnt vmcnt(0)
	v_cmp_lt_i16_sdwa s[34:35], sext(v27), sext(v35) src0_sel:BYTE_0 src1_sel:BYTE_0
	v_cmp_le_i16_sdwa s[40:41], sext(v27), sext(v35) src0_sel:BYTE_0 src1_sel:BYTE_0
	v_cmp_eq_u16_sdwa s[44:45], v27, v35 src0_sel:BYTE_0 src1_sel:BYTE_0
	s_and_saveexec_b64 s[42:43], s[44:45]
	s_cbranch_execz .LBB261_170
; %bb.172:                              ;   in Loop: Header=BB261_171 Depth=1
	s_add_u32 s28, s28, -1
	s_addc_u32 s29, s29, -1
	s_cmp_eq_u64 s[28:29], 0
	s_cselect_b64 s[44:45], -1, 0
	s_andn2_b64 s[24:25], s[24:25], exec
	s_and_b64 s[44:45], s[44:45], exec
	v_lshl_add_u64 v[22:23], v[22:23], 0, 1
	v_lshl_add_u64 v[24:25], v[24:25], 0, 1
	s_andn2_b64 s[22:23], s[22:23], exec
	s_or_b64 s[24:25], s[24:25], s[44:45]
	s_branch .LBB261_170
.LBB261_173:
	s_or_b64 exec, exec, s[12:13]
	s_and_saveexec_b64 s[12:13], s[20:21]
	s_xor_b64 s[12:13], exec, s[12:13]
; %bb.174:
	v_cndmask_b32_e64 v23, v17, v11, s[10:11]
	v_cndmask_b32_e64 v22, v16, v10, s[10:11]
	;; [unrolled: 1-line block ×4, first 2 shown]
	v_mov_b64_e32 v[16:17], v[22:23]
; %bb.175:
	s_or_b64 exec, exec, s[12:13]
	v_mov_b64_e32 v[24:25], s[38:39]
	v_mad_u64_u32 v[22:23], s[10:11], v6, s36, v[24:25]
	v_mul_lo_u32 v27, v6, s37
	v_mul_lo_u32 v35, v7, s36
	v_add3_u32 v23, v35, v23, v27
	v_mad_u64_u32 v[24:25], s[10:11], v12, s36, v[24:25]
	v_mul_lo_u32 v27, v12, s37
	v_mul_lo_u32 v35, v13, s36
	v_add3_u32 v25, v35, v25, v27
	s_mov_b64 s[12:13], 0
	s_mov_b64 s[28:29], s[36:37]
                                        ; implicit-def: $sgpr10_sgpr11
                                        ; implicit-def: $sgpr20_sgpr21
                                        ; implicit-def: $sgpr24_sgpr25
                                        ; implicit-def: $sgpr22_sgpr23
                                        ; implicit-def: $sgpr26_sgpr27
	s_branch .LBB261_177
.LBB261_176:                            ;   in Loop: Header=BB261_177 Depth=1
	s_or_b64 exec, exec, s[42:43]
	s_and_b64 s[40:41], s[40:41], s[26:27]
	s_or_b64 s[34:35], s[34:35], s[40:41]
	s_and_b64 s[40:41], exec, s[24:25]
	s_or_b64 s[12:13], s[40:41], s[12:13]
	s_andn2_b64 s[26:27], s[26:27], exec
	s_and_b64 s[34:35], s[34:35], exec
	s_andn2_b64 s[20:21], s[20:21], exec
	s_and_b64 s[40:41], s[22:23], exec
	s_andn2_b64 s[10:11], s[10:11], exec
	s_or_b64 s[26:27], s[26:27], s[34:35]
	s_or_b64 s[20:21], s[20:21], s[40:41]
	;; [unrolled: 1-line block ×3, first 2 shown]
	s_andn2_b64 exec, exec, s[12:13]
	s_cbranch_execz .LBB261_179
.LBB261_177:                            ; =>This Inner Loop Header: Depth=1
	global_load_ubyte v27, v[22:23], off
	global_load_ubyte v35, v[24:25], off
	s_or_b64 s[22:23], s[22:23], exec
	s_or_b64 s[24:25], s[24:25], exec
	s_waitcnt vmcnt(0)
	v_cmp_lt_i16_sdwa s[34:35], sext(v27), sext(v35) src0_sel:BYTE_0 src1_sel:BYTE_0
	v_cmp_le_i16_sdwa s[40:41], sext(v27), sext(v35) src0_sel:BYTE_0 src1_sel:BYTE_0
	v_cmp_eq_u16_sdwa s[44:45], v27, v35 src0_sel:BYTE_0 src1_sel:BYTE_0
	s_and_saveexec_b64 s[42:43], s[44:45]
	s_cbranch_execz .LBB261_176
; %bb.178:                              ;   in Loop: Header=BB261_177 Depth=1
	s_add_u32 s28, s28, -1
	s_addc_u32 s29, s29, -1
	s_cmp_eq_u64 s[28:29], 0
	s_cselect_b64 s[44:45], -1, 0
	s_andn2_b64 s[24:25], s[24:25], exec
	s_and_b64 s[44:45], s[44:45], exec
	v_lshl_add_u64 v[22:23], v[22:23], 0, 1
	v_lshl_add_u64 v[24:25], v[24:25], 0, 1
	s_andn2_b64 s[22:23], s[22:23], exec
	s_or_b64 s[24:25], s[24:25], s[44:45]
	s_branch .LBB261_176
.LBB261_179:
	s_or_b64 exec, exec, s[12:13]
	s_and_saveexec_b64 s[12:13], s[20:21]
	s_xor_b64 s[12:13], exec, s[12:13]
; %bb.180:
	v_cndmask_b32_e64 v23, v13, v7, s[10:11]
	v_cndmask_b32_e64 v22, v12, v6, s[10:11]
	;; [unrolled: 1-line block ×4, first 2 shown]
	v_mov_b64_e32 v[12:13], v[22:23]
; %bb.181:
	s_or_b64 exec, exec, s[12:13]
	v_mov_b64_e32 v[24:25], s[38:39]
	v_mad_u64_u32 v[22:23], s[10:11], v2, s36, v[24:25]
	v_mul_lo_u32 v27, v2, s37
	v_mul_lo_u32 v35, v3, s36
	v_add3_u32 v23, v35, v23, v27
	v_mad_u64_u32 v[24:25], s[10:11], v8, s36, v[24:25]
	v_mul_lo_u32 v27, v8, s37
	v_mul_lo_u32 v35, v9, s36
	v_add3_u32 v25, v35, v25, v27
	s_mov_b64 s[20:21], 0
	s_mov_b64 s[28:29], s[36:37]
                                        ; implicit-def: $sgpr10_sgpr11
                                        ; implicit-def: $sgpr12_sgpr13
                                        ; implicit-def: $sgpr24_sgpr25
                                        ; implicit-def: $sgpr22_sgpr23
                                        ; implicit-def: $sgpr26_sgpr27
	s_branch .LBB261_183
.LBB261_182:                            ;   in Loop: Header=BB261_183 Depth=1
	s_or_b64 exec, exec, s[42:43]
	s_and_b64 s[40:41], s[40:41], s[26:27]
	s_or_b64 s[34:35], s[34:35], s[40:41]
	s_and_b64 s[40:41], exec, s[24:25]
	s_or_b64 s[20:21], s[40:41], s[20:21]
	s_andn2_b64 s[26:27], s[26:27], exec
	s_and_b64 s[34:35], s[34:35], exec
	s_andn2_b64 s[12:13], s[12:13], exec
	s_and_b64 s[40:41], s[22:23], exec
	s_andn2_b64 s[10:11], s[10:11], exec
	s_or_b64 s[26:27], s[26:27], s[34:35]
	s_or_b64 s[12:13], s[12:13], s[40:41]
	;; [unrolled: 1-line block ×3, first 2 shown]
	s_andn2_b64 exec, exec, s[20:21]
	s_cbranch_execz .LBB261_185
.LBB261_183:                            ; =>This Inner Loop Header: Depth=1
	global_load_ubyte v27, v[22:23], off
	global_load_ubyte v35, v[24:25], off
	s_or_b64 s[22:23], s[22:23], exec
	s_or_b64 s[24:25], s[24:25], exec
	s_waitcnt vmcnt(0)
	v_cmp_lt_i16_sdwa s[34:35], sext(v27), sext(v35) src0_sel:BYTE_0 src1_sel:BYTE_0
	v_cmp_le_i16_sdwa s[40:41], sext(v27), sext(v35) src0_sel:BYTE_0 src1_sel:BYTE_0
	v_cmp_eq_u16_sdwa s[44:45], v27, v35 src0_sel:BYTE_0 src1_sel:BYTE_0
	s_and_saveexec_b64 s[42:43], s[44:45]
	s_cbranch_execz .LBB261_182
; %bb.184:                              ;   in Loop: Header=BB261_183 Depth=1
	s_add_u32 s28, s28, -1
	s_addc_u32 s29, s29, -1
	s_cmp_eq_u64 s[28:29], 0
	s_cselect_b64 s[44:45], -1, 0
	s_andn2_b64 s[24:25], s[24:25], exec
	s_and_b64 s[44:45], s[44:45], exec
	v_lshl_add_u64 v[22:23], v[22:23], 0, 1
	v_lshl_add_u64 v[24:25], v[24:25], 0, 1
	s_andn2_b64 s[22:23], s[22:23], exec
	s_or_b64 s[24:25], s[24:25], s[44:45]
	s_branch .LBB261_182
.LBB261_185:
	s_or_b64 exec, exec, s[20:21]
	s_and_saveexec_b64 s[20:21], s[12:13]
	s_xor_b64 s[12:13], exec, s[20:21]
; %bb.186:
	v_cndmask_b32_e64 v23, v9, v3, s[10:11]
	v_cndmask_b32_e64 v22, v8, v2, s[10:11]
	;; [unrolled: 1-line block ×4, first 2 shown]
	v_mov_b64_e32 v[8:9], v[22:23]
; %bb.187:
	s_or_b64 exec, exec, s[12:13]
.LBB261_188:
	s_or_b64 exec, exec, s[4:5]
	v_mbcnt_lo_u32_b32 v22, -1, 0
	v_mbcnt_hi_u32_b32 v22, -1, v22
	v_and_b32_e32 v23, 0xfffffe00, v26
	s_movk_i32 s3, 0x800
	v_lshlrev_b32_e32 v35, 3, v23
	v_lshlrev_b32_e32 v37, 3, v22
	v_sub_u32_e64 v36, s3, v23 clamp
	v_lshl_add_u32 v38, v22, 6, v35
	v_or_b32_e32 v22, 8, v37
	v_min_u32_e32 v26, v36, v22
	v_add_u32_e32 v22, 8, v26
	v_and_b32_e32 v41, 0x3f0, v37
	v_min_u32_e32 v27, v36, v22
	v_and_b32_e32 v22, 8, v37
	v_min_u32_e32 v42, v36, v22
	v_sub_u32_e32 v22, v26, v41
	v_sub_u32_e32 v23, v27, v26
	v_sub_u32_e64 v40, v42, v23 clamp
	v_min_u32_e32 v43, v42, v22
	v_lshl_add_u32 v39, v41, 3, v35
	v_cmp_lt_u32_e32 vcc, v40, v43
	ds_write_b128 v38, v[14:17]
	ds_write_b128 v38, v[10:13] offset:16
	ds_write_b128 v38, v[6:9] offset:32
	;; [unrolled: 1-line block ×3, first 2 shown]
	; wave barrier
	s_and_saveexec_b64 s[4:5], vcc
	s_cbranch_execz .LBB261_198
; %bb.189:
	v_lshlrev_b32_e32 v22, 3, v26
	v_lshlrev_b32_e32 v23, 3, v42
	v_add3_u32 v44, v35, v22, v23
	s_mov_b64 s[10:11], 0
	s_branch .LBB261_192
.LBB261_190:                            ;   in Loop: Header=BB261_192 Depth=1
	s_or_b64 exec, exec, s[20:21]
.LBB261_191:                            ;   in Loop: Header=BB261_192 Depth=1
	v_add_u32_e32 v22, 1, v45
	v_cndmask_b32_e64 v43, v43, v45, s[12:13]
	v_cndmask_b32_e64 v40, v22, v40, s[12:13]
	v_cmp_ge_u32_e32 vcc, v40, v43
	s_or_b64 s[10:11], vcc, s[10:11]
	s_andn2_b64 exec, exec, s[10:11]
	s_cbranch_execz .LBB261_197
.LBB261_192:                            ; =>This Loop Header: Depth=1
                                        ;     Child Loop BB261_195 Depth 2
	v_add_u32_e32 v22, v43, v40
	v_lshrrev_b32_e32 v45, 1, v22
	s_and_b64 vcc, exec, s[0:1]
	s_mov_b64 s[12:13], 0
	s_cbranch_vccnz .LBB261_191
; %bb.193:                              ;   in Loop: Header=BB261_192 Depth=1
	v_not_b32_e32 v22, v45
	v_lshl_add_u32 v22, v22, 3, v44
	ds_read_b64 v[22:23], v22
	v_lshl_add_u32 v46, v45, 3, v39
	ds_read_b64 v[46:47], v46
	v_mov_b64_e32 v[24:25], s[38:39]
	s_mov_b64 s[20:21], 0
	s_waitcnt lgkmcnt(1)
	v_mul_lo_u32 v48, v22, s37
	v_mul_lo_u32 v49, v23, s36
	v_mad_u64_u32 v[22:23], s[12:13], v22, s36, v[24:25]
	v_add3_u32 v23, v49, v23, v48
	s_waitcnt lgkmcnt(0)
	v_mul_lo_u32 v48, v46, s37
	v_mul_lo_u32 v47, v47, s36
	v_mad_u64_u32 v[24:25], s[12:13], v46, s36, v[24:25]
	v_add3_u32 v25, v47, v25, v48
	s_mov_b64 s[24:25], s[36:37]
                                        ; implicit-def: $sgpr12_sgpr13
                                        ; implicit-def: $sgpr22_sgpr23
                                        ; implicit-def: $sgpr26_sgpr27
                                        ; implicit-def: $sgpr28_sgpr29
	s_branch .LBB261_195
.LBB261_194:                            ;   in Loop: Header=BB261_195 Depth=2
	s_or_b64 exec, exec, s[40:41]
	s_and_b64 s[40:41], exec, s[22:23]
	s_or_b64 s[20:21], s[40:41], s[20:21]
	s_andn2_b64 s[28:29], s[28:29], exec
	s_and_b64 s[34:35], s[34:35], exec
	s_or_b64 s[28:29], s[28:29], s[34:35]
	s_andn2_b64 s[12:13], s[12:13], exec
	s_and_b64 s[34:35], s[26:27], exec
	s_or_b64 s[12:13], s[12:13], s[34:35]
	s_andn2_b64 exec, exec, s[20:21]
	s_cbranch_execz .LBB261_190
.LBB261_195:                            ;   Parent Loop BB261_192 Depth=1
                                        ; =>  This Inner Loop Header: Depth=2
	global_load_ubyte v46, v[22:23], off
	global_load_ubyte v47, v[24:25], off
	s_andn2_b64 s[26:27], s[26:27], exec
	s_or_b64 s[22:23], s[22:23], exec
	s_waitcnt vmcnt(0)
	v_cmp_le_i16_sdwa s[40:41], sext(v46), sext(v47) src0_sel:BYTE_0 src1_sel:BYTE_0
	v_cmp_lt_i16_sdwa s[34:35], sext(v46), sext(v47) src0_sel:BYTE_0 src1_sel:BYTE_0
	s_and_b64 s[40:41], s[40:41], s[28:29]
	s_or_b64 s[34:35], s[34:35], s[40:41]
	s_and_b64 s[40:41], s[34:35], exec
	v_cmp_eq_u16_sdwa s[42:43], v46, v47 src0_sel:BYTE_0 src1_sel:BYTE_0
	s_or_b64 s[26:27], s[26:27], s[40:41]
	s_and_saveexec_b64 s[40:41], s[42:43]
	s_cbranch_execz .LBB261_194
; %bb.196:                              ;   in Loop: Header=BB261_195 Depth=2
	s_add_u32 s24, s24, -1
	s_addc_u32 s25, s25, -1
	s_cmp_eq_u64 s[24:25], 0
	s_cselect_b64 s[28:29], -1, 0
	s_andn2_b64 s[22:23], s[22:23], exec
	s_and_b64 s[28:29], s[28:29], exec
	v_lshl_add_u64 v[22:23], v[22:23], 0, 1
	v_lshl_add_u64 v[24:25], v[24:25], 0, 1
	s_andn2_b64 s[26:27], s[26:27], exec
	s_or_b64 s[22:23], s[22:23], s[28:29]
                                        ; implicit-def: $sgpr28_sgpr29
	s_branch .LBB261_194
.LBB261_197:
	s_or_b64 exec, exec, s[10:11]
.LBB261_198:
	s_or_b64 exec, exec, s[4:5]
	v_add_u32_e32 v22, v26, v42
	v_add_u32_e32 v23, v40, v41
	v_sub_u32_e32 v24, v22, v40
	v_cmp_le_u32_e32 vcc, v23, v26
	v_cmp_le_u32_e64 s[4:5], v24, v27
	s_or_b64 s[4:5], vcc, s[4:5]
	s_and_saveexec_b64 s[10:11], s[4:5]
	s_cbranch_execz .LBB261_289
; %bb.199:
	v_cmp_ge_u32_e32 vcc, v23, v26
	v_cmp_lt_u32_e64 s[4:5], v23, v26
                                        ; implicit-def: $vgpr2_vgpr3
	s_and_saveexec_b64 s[12:13], s[4:5]
; %bb.200:
	v_lshl_add_u32 v2, v40, 3, v39
	ds_read_b64 v[2:3], v2
; %bb.201:
	s_or_b64 exec, exec, s[12:13]
	v_cmp_ge_u32_e64 s[12:13], v24, v27
	v_cmp_lt_u32_e64 s[4:5], v24, v27
                                        ; implicit-def: $vgpr4_vgpr5
	s_and_saveexec_b64 s[20:21], s[4:5]
; %bb.202:
	v_lshl_add_u32 v4, v24, 3, v35
	ds_read_b64 v[4:5], v4
; %bb.203:
	s_or_b64 exec, exec, s[20:21]
	s_nor_b64 s[20:21], vcc, s[12:13]
	s_and_saveexec_b64 s[4:5], s[20:21]
	s_cbranch_execz .LBB261_212
; %bb.204:
	s_and_b64 vcc, exec, s[0:1]
	s_cbranch_vccnz .LBB261_210
; %bb.205:
	v_mov_b64_e32 v[8:9], s[38:39]
	s_waitcnt lgkmcnt(0)
	v_mad_u64_u32 v[6:7], s[20:21], v4, s36, v[8:9]
	v_mul_lo_u32 v10, v4, s37
	v_mul_lo_u32 v11, v5, s36
	v_add3_u32 v7, v11, v7, v10
	v_mad_u64_u32 v[8:9], s[20:21], v2, s36, v[8:9]
	v_mul_lo_u32 v10, v2, s37
	v_mul_lo_u32 v11, v3, s36
	v_add3_u32 v9, v11, v9, v10
	s_mov_b64 s[20:21], 0
	s_mov_b64 s[26:27], s[36:37]
                                        ; implicit-def: $sgpr22_sgpr23
                                        ; implicit-def: $sgpr24_sgpr25
                                        ; implicit-def: $sgpr28_sgpr29
                                        ; implicit-def: $sgpr34_sgpr35
	s_branch .LBB261_207
.LBB261_206:                            ;   in Loop: Header=BB261_207 Depth=1
	s_or_b64 exec, exec, s[42:43]
	s_and_b64 s[42:43], exec, s[24:25]
	s_or_b64 s[20:21], s[42:43], s[20:21]
	s_andn2_b64 s[34:35], s[34:35], exec
	s_and_b64 s[40:41], s[40:41], exec
	s_or_b64 s[34:35], s[34:35], s[40:41]
	s_andn2_b64 s[22:23], s[22:23], exec
	s_and_b64 s[40:41], s[28:29], exec
	s_or_b64 s[22:23], s[22:23], s[40:41]
	s_andn2_b64 exec, exec, s[20:21]
	s_cbranch_execz .LBB261_209
.LBB261_207:                            ; =>This Inner Loop Header: Depth=1
	global_load_ubyte v10, v[6:7], off
	global_load_ubyte v11, v[8:9], off
	s_andn2_b64 s[28:29], s[28:29], exec
	s_or_b64 s[24:25], s[24:25], exec
	s_waitcnt vmcnt(0)
	v_cmp_le_i16_sdwa s[42:43], sext(v10), sext(v11) src0_sel:BYTE_0 src1_sel:BYTE_0
	v_cmp_lt_i16_sdwa s[40:41], sext(v10), sext(v11) src0_sel:BYTE_0 src1_sel:BYTE_0
	s_and_b64 s[42:43], s[42:43], s[34:35]
	s_or_b64 s[40:41], s[40:41], s[42:43]
	s_and_b64 s[42:43], s[40:41], exec
	v_cmp_eq_u16_sdwa s[44:45], v10, v11 src0_sel:BYTE_0 src1_sel:BYTE_0
	s_or_b64 s[28:29], s[28:29], s[42:43]
	s_and_saveexec_b64 s[42:43], s[44:45]
	s_cbranch_execz .LBB261_206
; %bb.208:                              ;   in Loop: Header=BB261_207 Depth=1
	s_add_u32 s26, s26, -1
	s_addc_u32 s27, s27, -1
	s_cmp_eq_u64 s[26:27], 0
	s_cselect_b64 s[34:35], -1, 0
	s_andn2_b64 s[24:25], s[24:25], exec
	s_and_b64 s[34:35], s[34:35], exec
	v_lshl_add_u64 v[6:7], v[6:7], 0, 1
	v_lshl_add_u64 v[8:9], v[8:9], 0, 1
	s_andn2_b64 s[28:29], s[28:29], exec
	s_or_b64 s[24:25], s[24:25], s[34:35]
                                        ; implicit-def: $sgpr34_sgpr35
	s_branch .LBB261_206
.LBB261_209:
	s_or_b64 exec, exec, s[20:21]
	s_xor_b64 s[20:21], s[22:23], -1
	s_branch .LBB261_211
.LBB261_210:
	s_mov_b64 s[20:21], -1
.LBB261_211:
	s_andn2_b64 s[12:13], s[12:13], exec
	s_and_b64 s[20:21], s[20:21], exec
	s_or_b64 s[12:13], s[12:13], s[20:21]
.LBB261_212:
	s_or_b64 exec, exec, s[4:5]
	v_cndmask_b32_e64 v6, v24, v23, s[12:13]
	v_cndmask_b32_e64 v7, v27, v26, s[12:13]
	v_add_u32_e32 v8, 1, v6
	v_add_u32_e32 v6, -1, v7
	v_min_u32_e32 v6, v8, v6
	v_lshl_add_u32 v6, v6, 3, v35
	ds_read_b64 v[6:7], v6
	v_cndmask_b32_e64 v12, v8, v24, s[12:13]
	v_cndmask_b32_e64 v13, v23, v8, s[12:13]
	v_cmp_lt_u32_e32 vcc, v12, v27
	s_mov_b64 s[20:21], -1
	s_waitcnt lgkmcnt(0)
	v_cndmask_b32_e64 v14, v7, v5, s[12:13]
	v_cndmask_b32_e64 v15, v6, v4, s[12:13]
	;; [unrolled: 1-line block ×4, first 2 shown]
	s_mov_b64 s[4:5], -1
	s_and_saveexec_b64 s[22:23], vcc
	s_cbranch_execz .LBB261_223
; %bb.213:
	v_cmp_lt_u32_e32 vcc, v13, v26
	s_mov_b64 s[24:25], 0
	s_and_saveexec_b64 s[4:5], vcc
	s_cbranch_execz .LBB261_222
; %bb.214:
	s_and_b64 vcc, exec, s[0:1]
	s_cbranch_vccnz .LBB261_220
; %bb.215:
	v_mov_b64_e32 v[8:9], s[38:39]
	v_mad_u64_u32 v[6:7], s[24:25], v15, s36, v[8:9]
	v_mul_lo_u32 v10, v15, s37
	v_mul_lo_u32 v11, v14, s36
	v_add3_u32 v7, v11, v7, v10
	v_mad_u64_u32 v[8:9], s[24:25], v22, s36, v[8:9]
	v_mul_lo_u32 v10, v22, s37
	v_mul_lo_u32 v11, v16, s36
	v_add3_u32 v9, v11, v9, v10
	s_mov_b64 s[24:25], 0
	s_mov_b64 s[34:35], s[36:37]
                                        ; implicit-def: $sgpr26_sgpr27
                                        ; implicit-def: $sgpr28_sgpr29
                                        ; implicit-def: $sgpr40_sgpr41
                                        ; implicit-def: $sgpr42_sgpr43
	s_branch .LBB261_217
.LBB261_216:                            ;   in Loop: Header=BB261_217 Depth=1
	s_or_b64 exec, exec, s[46:47]
	s_and_b64 s[46:47], exec, s[28:29]
	s_or_b64 s[24:25], s[46:47], s[24:25]
	s_andn2_b64 s[42:43], s[42:43], exec
	s_and_b64 s[44:45], s[44:45], exec
	s_or_b64 s[42:43], s[42:43], s[44:45]
	s_andn2_b64 s[26:27], s[26:27], exec
	s_and_b64 s[44:45], s[40:41], exec
	s_or_b64 s[26:27], s[26:27], s[44:45]
	s_andn2_b64 exec, exec, s[24:25]
	s_cbranch_execz .LBB261_219
.LBB261_217:                            ; =>This Inner Loop Header: Depth=1
	global_load_ubyte v10, v[6:7], off
	global_load_ubyte v11, v[8:9], off
	s_andn2_b64 s[40:41], s[40:41], exec
	s_or_b64 s[28:29], s[28:29], exec
	s_waitcnt vmcnt(0)
	v_cmp_le_i16_sdwa s[46:47], sext(v10), sext(v11) src0_sel:BYTE_0 src1_sel:BYTE_0
	v_cmp_lt_i16_sdwa s[44:45], sext(v10), sext(v11) src0_sel:BYTE_0 src1_sel:BYTE_0
	s_and_b64 s[46:47], s[46:47], s[42:43]
	s_or_b64 s[44:45], s[44:45], s[46:47]
	s_and_b64 s[46:47], s[44:45], exec
	v_cmp_eq_u16_sdwa s[48:49], v10, v11 src0_sel:BYTE_0 src1_sel:BYTE_0
	s_or_b64 s[40:41], s[40:41], s[46:47]
	s_and_saveexec_b64 s[46:47], s[48:49]
	s_cbranch_execz .LBB261_216
; %bb.218:                              ;   in Loop: Header=BB261_217 Depth=1
	s_add_u32 s34, s34, -1
	s_addc_u32 s35, s35, -1
	s_cmp_eq_u64 s[34:35], 0
	s_cselect_b64 s[42:43], -1, 0
	s_andn2_b64 s[28:29], s[28:29], exec
	s_and_b64 s[42:43], s[42:43], exec
	v_lshl_add_u64 v[6:7], v[6:7], 0, 1
	v_lshl_add_u64 v[8:9], v[8:9], 0, 1
	s_andn2_b64 s[40:41], s[40:41], exec
	s_or_b64 s[28:29], s[28:29], s[42:43]
                                        ; implicit-def: $sgpr42_sgpr43
	s_branch .LBB261_216
.LBB261_219:
	s_or_b64 exec, exec, s[24:25]
	s_xor_b64 s[24:25], s[26:27], -1
	s_branch .LBB261_221
.LBB261_220:
	s_mov_b64 s[24:25], -1
.LBB261_221:
	s_and_b64 s[24:25], s[24:25], exec
.LBB261_222:
	s_or_b64 exec, exec, s[4:5]
	s_orn2_b64 s[4:5], s[24:25], exec
.LBB261_223:
	s_or_b64 exec, exec, s[22:23]
	v_cndmask_b32_e64 v6, v12, v13, s[4:5]
	v_cndmask_b32_e64 v7, v27, v26, s[4:5]
	v_add_u32_e32 v8, 1, v6
	v_add_u32_e32 v6, -1, v7
	v_min_u32_e32 v6, v8, v6
	v_lshl_add_u32 v6, v6, 3, v35
	ds_read_b64 v[6:7], v6
	v_cndmask_b32_e64 v39, v8, v12, s[4:5]
	v_cndmask_b32_e64 v40, v13, v8, s[4:5]
	v_cmp_lt_u32_e32 vcc, v39, v27
	s_waitcnt lgkmcnt(0)
	v_cndmask_b32_e64 v10, v7, v14, s[4:5]
	v_cndmask_b32_e64 v17, v6, v15, s[4:5]
	v_cndmask_b32_e64 v11, v16, v7, s[4:5]
	v_cndmask_b32_e64 v23, v22, v6, s[4:5]
	s_and_saveexec_b64 s[22:23], vcc
	s_cbranch_execz .LBB261_234
; %bb.224:
	v_cmp_lt_u32_e32 vcc, v40, v26
	s_mov_b64 s[24:25], 0
	s_and_saveexec_b64 s[20:21], vcc
	s_cbranch_execz .LBB261_233
; %bb.225:
	s_and_b64 vcc, exec, s[0:1]
	s_cbranch_vccnz .LBB261_231
; %bb.226:
	v_mov_b64_e32 v[8:9], s[38:39]
	v_mad_u64_u32 v[6:7], s[24:25], v17, s36, v[8:9]
	v_mul_lo_u32 v12, v17, s37
	v_mul_lo_u32 v13, v10, s36
	v_add3_u32 v7, v13, v7, v12
	v_mad_u64_u32 v[8:9], s[24:25], v23, s36, v[8:9]
	v_mul_lo_u32 v12, v23, s37
	v_mul_lo_u32 v13, v11, s36
	v_add3_u32 v9, v13, v9, v12
	s_mov_b64 s[24:25], 0
	s_mov_b64 s[34:35], s[36:37]
                                        ; implicit-def: $sgpr26_sgpr27
                                        ; implicit-def: $sgpr28_sgpr29
                                        ; implicit-def: $sgpr40_sgpr41
                                        ; implicit-def: $sgpr42_sgpr43
	s_branch .LBB261_228
.LBB261_227:                            ;   in Loop: Header=BB261_228 Depth=1
	s_or_b64 exec, exec, s[46:47]
	s_and_b64 s[46:47], exec, s[28:29]
	s_or_b64 s[24:25], s[46:47], s[24:25]
	s_andn2_b64 s[42:43], s[42:43], exec
	s_and_b64 s[44:45], s[44:45], exec
	s_or_b64 s[42:43], s[42:43], s[44:45]
	s_andn2_b64 s[26:27], s[26:27], exec
	s_and_b64 s[44:45], s[40:41], exec
	s_or_b64 s[26:27], s[26:27], s[44:45]
	s_andn2_b64 exec, exec, s[24:25]
	s_cbranch_execz .LBB261_230
.LBB261_228:                            ; =>This Inner Loop Header: Depth=1
	global_load_ubyte v12, v[6:7], off
	global_load_ubyte v13, v[8:9], off
	s_andn2_b64 s[40:41], s[40:41], exec
	s_or_b64 s[28:29], s[28:29], exec
	s_waitcnt vmcnt(0)
	v_cmp_le_i16_sdwa s[46:47], sext(v12), sext(v13) src0_sel:BYTE_0 src1_sel:BYTE_0
	v_cmp_lt_i16_sdwa s[44:45], sext(v12), sext(v13) src0_sel:BYTE_0 src1_sel:BYTE_0
	s_and_b64 s[46:47], s[46:47], s[42:43]
	s_or_b64 s[44:45], s[44:45], s[46:47]
	s_and_b64 s[46:47], s[44:45], exec
	v_cmp_eq_u16_sdwa s[48:49], v12, v13 src0_sel:BYTE_0 src1_sel:BYTE_0
	s_or_b64 s[40:41], s[40:41], s[46:47]
	s_and_saveexec_b64 s[46:47], s[48:49]
	s_cbranch_execz .LBB261_227
; %bb.229:                              ;   in Loop: Header=BB261_228 Depth=1
	s_add_u32 s34, s34, -1
	s_addc_u32 s35, s35, -1
	s_cmp_eq_u64 s[34:35], 0
	s_cselect_b64 s[42:43], -1, 0
	s_andn2_b64 s[28:29], s[28:29], exec
	s_and_b64 s[42:43], s[42:43], exec
	v_lshl_add_u64 v[6:7], v[6:7], 0, 1
	v_lshl_add_u64 v[8:9], v[8:9], 0, 1
	s_andn2_b64 s[40:41], s[40:41], exec
	s_or_b64 s[28:29], s[28:29], s[42:43]
                                        ; implicit-def: $sgpr42_sgpr43
	s_branch .LBB261_227
.LBB261_230:
	s_or_b64 exec, exec, s[24:25]
	s_xor_b64 s[24:25], s[26:27], -1
	s_branch .LBB261_232
.LBB261_231:
	s_mov_b64 s[24:25], -1
.LBB261_232:
	s_and_b64 s[24:25], s[24:25], exec
.LBB261_233:
	s_or_b64 exec, exec, s[20:21]
	s_orn2_b64 s[20:21], s[24:25], exec
.LBB261_234:
	s_or_b64 exec, exec, s[22:23]
	v_cndmask_b32_e64 v6, v39, v40, s[20:21]
	v_cndmask_b32_e64 v7, v27, v26, s[20:21]
	v_add_u32_e32 v8, 1, v6
	v_add_u32_e32 v6, -1, v7
	v_min_u32_e32 v6, v8, v6
	v_lshl_add_u32 v6, v6, 3, v35
	ds_read_b64 v[6:7], v6
	v_cndmask_b32_e64 v43, v8, v39, s[20:21]
	v_cndmask_b32_e64 v44, v40, v8, s[20:21]
	v_cmp_lt_u32_e32 vcc, v43, v27
	s_mov_b64 s[24:25], -1
	s_waitcnt lgkmcnt(0)
	v_cndmask_b32_e64 v12, v7, v10, s[20:21]
	v_cndmask_b32_e64 v24, v6, v17, s[20:21]
	;; [unrolled: 1-line block ×4, first 2 shown]
	s_mov_b64 s[22:23], -1
	s_and_saveexec_b64 s[26:27], vcc
	s_cbranch_execz .LBB261_245
; %bb.235:
	v_cmp_lt_u32_e32 vcc, v44, v26
	s_mov_b64 s[28:29], 0
	s_and_saveexec_b64 s[22:23], vcc
	s_cbranch_execz .LBB261_244
; %bb.236:
	s_and_b64 vcc, exec, s[0:1]
	s_cbranch_vccnz .LBB261_242
; %bb.237:
	v_mov_b64_e32 v[8:9], s[38:39]
	v_mad_u64_u32 v[6:7], s[28:29], v24, s36, v[8:9]
	v_mul_lo_u32 v39, v24, s37
	v_mul_lo_u32 v40, v12, s36
	v_add3_u32 v7, v40, v7, v39
	v_mad_u64_u32 v[8:9], s[28:29], v25, s36, v[8:9]
	v_mul_lo_u32 v39, v25, s37
	v_mul_lo_u32 v40, v13, s36
	v_add3_u32 v9, v40, v9, v39
	s_mov_b64 s[28:29], 0
	s_mov_b64 s[42:43], s[36:37]
                                        ; implicit-def: $sgpr34_sgpr35
                                        ; implicit-def: $sgpr40_sgpr41
                                        ; implicit-def: $sgpr44_sgpr45
                                        ; implicit-def: $sgpr46_sgpr47
	s_branch .LBB261_239
.LBB261_238:                            ;   in Loop: Header=BB261_239 Depth=1
	s_or_b64 exec, exec, s[50:51]
	s_and_b64 s[50:51], exec, s[40:41]
	s_or_b64 s[28:29], s[50:51], s[28:29]
	s_andn2_b64 s[46:47], s[46:47], exec
	s_and_b64 s[48:49], s[48:49], exec
	s_or_b64 s[46:47], s[46:47], s[48:49]
	s_andn2_b64 s[34:35], s[34:35], exec
	s_and_b64 s[48:49], s[44:45], exec
	s_or_b64 s[34:35], s[34:35], s[48:49]
	s_andn2_b64 exec, exec, s[28:29]
	s_cbranch_execz .LBB261_241
.LBB261_239:                            ; =>This Inner Loop Header: Depth=1
	global_load_ubyte v39, v[6:7], off
	global_load_ubyte v40, v[8:9], off
	s_andn2_b64 s[44:45], s[44:45], exec
	s_or_b64 s[40:41], s[40:41], exec
	s_waitcnt vmcnt(0)
	v_cmp_le_i16_sdwa s[50:51], sext(v39), sext(v40) src0_sel:BYTE_0 src1_sel:BYTE_0
	v_cmp_lt_i16_sdwa s[48:49], sext(v39), sext(v40) src0_sel:BYTE_0 src1_sel:BYTE_0
	s_and_b64 s[50:51], s[50:51], s[46:47]
	s_or_b64 s[48:49], s[48:49], s[50:51]
	s_and_b64 s[50:51], s[48:49], exec
	v_cmp_eq_u16_sdwa s[52:53], v39, v40 src0_sel:BYTE_0 src1_sel:BYTE_0
	s_or_b64 s[44:45], s[44:45], s[50:51]
	s_and_saveexec_b64 s[50:51], s[52:53]
	s_cbranch_execz .LBB261_238
; %bb.240:                              ;   in Loop: Header=BB261_239 Depth=1
	s_add_u32 s42, s42, -1
	s_addc_u32 s43, s43, -1
	s_cmp_eq_u64 s[42:43], 0
	s_cselect_b64 s[46:47], -1, 0
	s_andn2_b64 s[40:41], s[40:41], exec
	s_and_b64 s[46:47], s[46:47], exec
	v_lshl_add_u64 v[6:7], v[6:7], 0, 1
	v_lshl_add_u64 v[8:9], v[8:9], 0, 1
	s_andn2_b64 s[44:45], s[44:45], exec
	s_or_b64 s[40:41], s[40:41], s[46:47]
                                        ; implicit-def: $sgpr46_sgpr47
	s_branch .LBB261_238
.LBB261_241:
	s_or_b64 exec, exec, s[28:29]
	s_xor_b64 s[28:29], s[34:35], -1
	s_branch .LBB261_243
.LBB261_242:
	s_mov_b64 s[28:29], -1
.LBB261_243:
	s_and_b64 s[28:29], s[28:29], exec
.LBB261_244:
	s_or_b64 exec, exec, s[22:23]
	s_orn2_b64 s[22:23], s[28:29], exec
.LBB261_245:
	s_or_b64 exec, exec, s[26:27]
	v_cndmask_b32_e64 v6, v43, v44, s[22:23]
	v_cndmask_b32_e64 v7, v27, v26, s[22:23]
	v_add_u32_e32 v8, 1, v6
	v_add_u32_e32 v6, -1, v7
	v_min_u32_e32 v6, v8, v6
	v_lshl_add_u32 v6, v6, 3, v35
	ds_read_b64 v[6:7], v6
	v_cndmask_b32_e64 v47, v8, v43, s[22:23]
	v_cndmask_b32_e64 v48, v44, v8, s[22:23]
	v_cmp_lt_u32_e32 vcc, v47, v27
	s_waitcnt lgkmcnt(0)
	v_cndmask_b32_e64 v39, v7, v12, s[22:23]
	v_cndmask_b32_e64 v40, v6, v24, s[22:23]
	;; [unrolled: 1-line block ×4, first 2 shown]
	s_and_saveexec_b64 s[26:27], vcc
	s_cbranch_execz .LBB261_256
; %bb.246:
	v_cmp_lt_u32_e32 vcc, v48, v26
	s_mov_b64 s[28:29], 0
	s_and_saveexec_b64 s[24:25], vcc
	s_cbranch_execz .LBB261_255
; %bb.247:
	s_and_b64 vcc, exec, s[0:1]
	s_cbranch_vccnz .LBB261_253
; %bb.248:
	v_mov_b64_e32 v[8:9], s[38:39]
	v_mad_u64_u32 v[6:7], s[28:29], v40, s36, v[8:9]
	v_mul_lo_u32 v43, v40, s37
	v_mul_lo_u32 v44, v39, s36
	v_add3_u32 v7, v44, v7, v43
	v_mad_u64_u32 v[8:9], s[28:29], v42, s36, v[8:9]
	v_mul_lo_u32 v43, v42, s37
	v_mul_lo_u32 v44, v41, s36
	v_add3_u32 v9, v44, v9, v43
	s_mov_b64 s[28:29], 0
	s_mov_b64 s[42:43], s[36:37]
                                        ; implicit-def: $sgpr34_sgpr35
                                        ; implicit-def: $sgpr40_sgpr41
                                        ; implicit-def: $sgpr44_sgpr45
                                        ; implicit-def: $sgpr46_sgpr47
	s_branch .LBB261_250
.LBB261_249:                            ;   in Loop: Header=BB261_250 Depth=1
	s_or_b64 exec, exec, s[50:51]
	s_and_b64 s[50:51], exec, s[40:41]
	s_or_b64 s[28:29], s[50:51], s[28:29]
	s_andn2_b64 s[46:47], s[46:47], exec
	s_and_b64 s[48:49], s[48:49], exec
	s_or_b64 s[46:47], s[46:47], s[48:49]
	s_andn2_b64 s[34:35], s[34:35], exec
	s_and_b64 s[48:49], s[44:45], exec
	s_or_b64 s[34:35], s[34:35], s[48:49]
	s_andn2_b64 exec, exec, s[28:29]
	s_cbranch_execz .LBB261_252
.LBB261_250:                            ; =>This Inner Loop Header: Depth=1
	global_load_ubyte v43, v[6:7], off
	global_load_ubyte v44, v[8:9], off
	s_andn2_b64 s[44:45], s[44:45], exec
	s_or_b64 s[40:41], s[40:41], exec
	s_waitcnt vmcnt(0)
	v_cmp_le_i16_sdwa s[50:51], sext(v43), sext(v44) src0_sel:BYTE_0 src1_sel:BYTE_0
	v_cmp_lt_i16_sdwa s[48:49], sext(v43), sext(v44) src0_sel:BYTE_0 src1_sel:BYTE_0
	s_and_b64 s[50:51], s[50:51], s[46:47]
	s_or_b64 s[48:49], s[48:49], s[50:51]
	s_and_b64 s[50:51], s[48:49], exec
	v_cmp_eq_u16_sdwa s[52:53], v43, v44 src0_sel:BYTE_0 src1_sel:BYTE_0
	s_or_b64 s[44:45], s[44:45], s[50:51]
	s_and_saveexec_b64 s[50:51], s[52:53]
	s_cbranch_execz .LBB261_249
; %bb.251:                              ;   in Loop: Header=BB261_250 Depth=1
	s_add_u32 s42, s42, -1
	s_addc_u32 s43, s43, -1
	s_cmp_eq_u64 s[42:43], 0
	s_cselect_b64 s[46:47], -1, 0
	s_andn2_b64 s[40:41], s[40:41], exec
	s_and_b64 s[46:47], s[46:47], exec
	v_lshl_add_u64 v[6:7], v[6:7], 0, 1
	v_lshl_add_u64 v[8:9], v[8:9], 0, 1
	s_andn2_b64 s[44:45], s[44:45], exec
	s_or_b64 s[40:41], s[40:41], s[46:47]
                                        ; implicit-def: $sgpr46_sgpr47
	s_branch .LBB261_249
.LBB261_252:
	s_or_b64 exec, exec, s[28:29]
	s_xor_b64 s[28:29], s[34:35], -1
	s_branch .LBB261_254
.LBB261_253:
	s_mov_b64 s[28:29], -1
.LBB261_254:
	s_and_b64 s[28:29], s[28:29], exec
.LBB261_255:
	s_or_b64 exec, exec, s[24:25]
	s_orn2_b64 s[24:25], s[28:29], exec
.LBB261_256:
	s_or_b64 exec, exec, s[26:27]
	v_cndmask_b32_e64 v6, v47, v48, s[24:25]
	v_cndmask_b32_e64 v7, v27, v26, s[24:25]
	v_add_u32_e32 v8, 1, v6
	v_add_u32_e32 v6, -1, v7
	v_min_u32_e32 v6, v8, v6
	v_lshl_add_u32 v6, v6, 3, v35
	ds_read_b64 v[6:7], v6
	v_cndmask_b32_e64 v49, v8, v47, s[24:25]
	v_cndmask_b32_e64 v53, v48, v8, s[24:25]
	v_cmp_lt_u32_e32 vcc, v49, v27
	s_mov_b64 s[26:27], -1
	s_waitcnt lgkmcnt(0)
	v_cndmask_b32_e64 v43, v7, v39, s[24:25]
	v_cndmask_b32_e64 v44, v6, v40, s[24:25]
	;; [unrolled: 1-line block ×4, first 2 shown]
	s_mov_b64 s[28:29], -1
	s_and_saveexec_b64 s[34:35], vcc
	s_cbranch_execz .LBB261_267
; %bb.257:
	v_cmp_lt_u32_e32 vcc, v53, v26
	s_mov_b64 s[40:41], 0
	s_and_saveexec_b64 s[28:29], vcc
	s_cbranch_execz .LBB261_266
; %bb.258:
	s_and_b64 vcc, exec, s[0:1]
	s_cbranch_vccnz .LBB261_264
; %bb.259:
	v_mov_b64_e32 v[8:9], s[38:39]
	v_mad_u64_u32 v[6:7], s[40:41], v44, s36, v[8:9]
	v_mul_lo_u32 v47, v44, s37
	v_mul_lo_u32 v48, v43, s36
	v_add3_u32 v7, v48, v7, v47
	v_mad_u64_u32 v[8:9], s[40:41], v46, s36, v[8:9]
	v_mul_lo_u32 v47, v46, s37
	v_mul_lo_u32 v48, v45, s36
	v_add3_u32 v9, v48, v9, v47
	s_mov_b64 s[40:41], 0
	s_mov_b64 s[46:47], s[36:37]
                                        ; implicit-def: $sgpr42_sgpr43
                                        ; implicit-def: $sgpr44_sgpr45
                                        ; implicit-def: $sgpr48_sgpr49
                                        ; implicit-def: $sgpr50_sgpr51
	s_branch .LBB261_261
.LBB261_260:                            ;   in Loop: Header=BB261_261 Depth=1
	s_or_b64 exec, exec, s[54:55]
	s_and_b64 s[54:55], exec, s[44:45]
	s_or_b64 s[40:41], s[54:55], s[40:41]
	s_andn2_b64 s[50:51], s[50:51], exec
	s_and_b64 s[52:53], s[52:53], exec
	s_or_b64 s[50:51], s[50:51], s[52:53]
	s_andn2_b64 s[42:43], s[42:43], exec
	s_and_b64 s[52:53], s[48:49], exec
	s_or_b64 s[42:43], s[42:43], s[52:53]
	s_andn2_b64 exec, exec, s[40:41]
	s_cbranch_execz .LBB261_263
.LBB261_261:                            ; =>This Inner Loop Header: Depth=1
	global_load_ubyte v47, v[6:7], off
	global_load_ubyte v48, v[8:9], off
	s_andn2_b64 s[48:49], s[48:49], exec
	s_or_b64 s[44:45], s[44:45], exec
	s_waitcnt vmcnt(0)
	v_cmp_le_i16_sdwa s[54:55], sext(v47), sext(v48) src0_sel:BYTE_0 src1_sel:BYTE_0
	v_cmp_lt_i16_sdwa s[52:53], sext(v47), sext(v48) src0_sel:BYTE_0 src1_sel:BYTE_0
	s_and_b64 s[54:55], s[54:55], s[50:51]
	s_or_b64 s[52:53], s[52:53], s[54:55]
	s_and_b64 s[54:55], s[52:53], exec
	v_cmp_eq_u16_sdwa s[56:57], v47, v48 src0_sel:BYTE_0 src1_sel:BYTE_0
	s_or_b64 s[48:49], s[48:49], s[54:55]
	s_and_saveexec_b64 s[54:55], s[56:57]
	s_cbranch_execz .LBB261_260
; %bb.262:                              ;   in Loop: Header=BB261_261 Depth=1
	s_add_u32 s46, s46, -1
	s_addc_u32 s47, s47, -1
	s_cmp_eq_u64 s[46:47], 0
	s_cselect_b64 s[50:51], -1, 0
	s_andn2_b64 s[44:45], s[44:45], exec
	s_and_b64 s[50:51], s[50:51], exec
	v_lshl_add_u64 v[6:7], v[6:7], 0, 1
	v_lshl_add_u64 v[8:9], v[8:9], 0, 1
	s_andn2_b64 s[48:49], s[48:49], exec
	s_or_b64 s[44:45], s[44:45], s[50:51]
                                        ; implicit-def: $sgpr50_sgpr51
	s_branch .LBB261_260
.LBB261_263:
	s_or_b64 exec, exec, s[40:41]
	s_xor_b64 s[40:41], s[42:43], -1
	s_branch .LBB261_265
.LBB261_264:
	s_mov_b64 s[40:41], -1
.LBB261_265:
	s_and_b64 s[40:41], s[40:41], exec
.LBB261_266:
	s_or_b64 exec, exec, s[28:29]
	s_orn2_b64 s[28:29], s[40:41], exec
.LBB261_267:
	s_or_b64 exec, exec, s[34:35]
	v_cndmask_b32_e64 v6, v49, v53, s[28:29]
	v_cndmask_b32_e64 v7, v27, v26, s[28:29]
	v_add_u32_e32 v8, 1, v6
	v_add_u32_e32 v6, -1, v7
	v_min_u32_e32 v6, v8, v6
	v_lshl_add_u32 v6, v6, 3, v35
	ds_read_b64 v[6:7], v6
	v_cndmask_b32_e64 v50, v8, v49, s[28:29]
	v_cndmask_b32_e64 v49, v53, v8, s[28:29]
	v_cmp_lt_u32_e32 vcc, v50, v27
	s_waitcnt lgkmcnt(0)
	v_cndmask_b32_e64 v47, v7, v43, s[28:29]
	v_cndmask_b32_e64 v48, v6, v44, s[28:29]
	;; [unrolled: 1-line block ×4, first 2 shown]
	s_and_saveexec_b64 s[34:35], vcc
	s_cbranch_execz .LBB261_278
; %bb.268:
	v_cmp_lt_u32_e32 vcc, v49, v26
	s_mov_b64 s[40:41], 0
	s_and_saveexec_b64 s[26:27], vcc
	s_cbranch_execz .LBB261_277
; %bb.269:
	s_and_b64 vcc, exec, s[0:1]
	s_cbranch_vccnz .LBB261_275
; %bb.270:
	v_mov_b64_e32 v[8:9], s[38:39]
	v_mad_u64_u32 v[6:7], s[40:41], v48, s36, v[8:9]
	v_mul_lo_u32 v53, v48, s37
	v_mul_lo_u32 v54, v47, s36
	v_add3_u32 v7, v54, v7, v53
	v_mad_u64_u32 v[8:9], s[40:41], v52, s36, v[8:9]
	v_mul_lo_u32 v53, v52, s37
	v_mul_lo_u32 v54, v51, s36
	v_add3_u32 v9, v54, v9, v53
	s_mov_b64 s[40:41], 0
	s_mov_b64 s[46:47], s[36:37]
                                        ; implicit-def: $sgpr42_sgpr43
                                        ; implicit-def: $sgpr44_sgpr45
                                        ; implicit-def: $sgpr48_sgpr49
                                        ; implicit-def: $sgpr50_sgpr51
	s_branch .LBB261_272
.LBB261_271:                            ;   in Loop: Header=BB261_272 Depth=1
	s_or_b64 exec, exec, s[54:55]
	s_and_b64 s[54:55], exec, s[44:45]
	s_or_b64 s[40:41], s[54:55], s[40:41]
	s_andn2_b64 s[50:51], s[50:51], exec
	s_and_b64 s[52:53], s[52:53], exec
	s_or_b64 s[50:51], s[50:51], s[52:53]
	s_andn2_b64 s[42:43], s[42:43], exec
	s_and_b64 s[52:53], s[48:49], exec
	s_or_b64 s[42:43], s[42:43], s[52:53]
	s_andn2_b64 exec, exec, s[40:41]
	s_cbranch_execz .LBB261_274
.LBB261_272:                            ; =>This Inner Loop Header: Depth=1
	global_load_ubyte v53, v[6:7], off
	global_load_ubyte v54, v[8:9], off
	s_andn2_b64 s[48:49], s[48:49], exec
	s_or_b64 s[44:45], s[44:45], exec
	s_waitcnt vmcnt(0)
	v_cmp_le_i16_sdwa s[54:55], sext(v53), sext(v54) src0_sel:BYTE_0 src1_sel:BYTE_0
	v_cmp_lt_i16_sdwa s[52:53], sext(v53), sext(v54) src0_sel:BYTE_0 src1_sel:BYTE_0
	s_and_b64 s[54:55], s[54:55], s[50:51]
	s_or_b64 s[52:53], s[52:53], s[54:55]
	s_and_b64 s[54:55], s[52:53], exec
	v_cmp_eq_u16_sdwa s[56:57], v53, v54 src0_sel:BYTE_0 src1_sel:BYTE_0
	s_or_b64 s[48:49], s[48:49], s[54:55]
	s_and_saveexec_b64 s[54:55], s[56:57]
	s_cbranch_execz .LBB261_271
; %bb.273:                              ;   in Loop: Header=BB261_272 Depth=1
	s_add_u32 s46, s46, -1
	s_addc_u32 s47, s47, -1
	s_cmp_eq_u64 s[46:47], 0
	s_cselect_b64 s[50:51], -1, 0
	s_andn2_b64 s[44:45], s[44:45], exec
	s_and_b64 s[50:51], s[50:51], exec
	v_lshl_add_u64 v[6:7], v[6:7], 0, 1
	v_lshl_add_u64 v[8:9], v[8:9], 0, 1
	s_andn2_b64 s[48:49], s[48:49], exec
	s_or_b64 s[44:45], s[44:45], s[50:51]
                                        ; implicit-def: $sgpr50_sgpr51
	s_branch .LBB261_271
.LBB261_274:
	s_or_b64 exec, exec, s[40:41]
	s_xor_b64 s[40:41], s[42:43], -1
	s_branch .LBB261_276
.LBB261_275:
	s_mov_b64 s[40:41], -1
.LBB261_276:
	s_and_b64 s[40:41], s[40:41], exec
.LBB261_277:
	s_or_b64 exec, exec, s[26:27]
	s_orn2_b64 s[26:27], s[40:41], exec
.LBB261_278:
	s_or_b64 exec, exec, s[34:35]
	v_cndmask_b32_e64 v11, v10, v11, s[20:21]
	v_cndmask_b32_e64 v10, v17, v23, s[20:21]
	;; [unrolled: 1-line block ×8, first 2 shown]
	v_add_u32_e32 v24, 1, v14
	v_add_u32_e32 v14, -1, v15
	v_min_u32_e32 v14, v24, v14
	v_lshl_add_u32 v14, v14, 3, v35
	ds_read_b64 v[22:23], v14
	v_cndmask_b32_e64 v25, v24, v50, s[26:27]
	v_cndmask_b32_e64 v9, v43, v45, s[28:29]
	;; [unrolled: 1-line block ×9, first 2 shown]
	s_waitcnt lgkmcnt(0)
	v_cndmask_b32_e64 v5, v51, v23, s[26:27]
	v_cndmask_b32_e64 v4, v52, v22, s[26:27]
	v_cmp_lt_u32_e32 vcc, v25, v27
	s_and_saveexec_b64 s[4:5], vcc
	s_cbranch_execz .LBB261_288
; %bb.279:
	v_cndmask_b32_e64 v24, v49, v24, s[26:27]
	v_cndmask_b32_e64 v23, v23, v47, s[26:27]
	;; [unrolled: 1-line block ×3, first 2 shown]
	v_cmp_lt_u32_e32 vcc, v24, v26
	s_and_saveexec_b64 s[12:13], vcc
	s_cbranch_execz .LBB261_287
; %bb.280:
	s_and_b64 vcc, exec, s[0:1]
	s_cbranch_vccnz .LBB261_286
; %bb.281:
	v_mov_b64_e32 v[26:27], s[38:39]
	v_mad_u64_u32 v[24:25], s[20:21], v22, s36, v[26:27]
	v_mul_lo_u32 v39, v22, s37
	v_mul_lo_u32 v40, v23, s36
	v_add3_u32 v25, v40, v25, v39
	v_mad_u64_u32 v[26:27], s[20:21], v4, s36, v[26:27]
	v_mul_lo_u32 v39, v4, s37
	v_mul_lo_u32 v40, v5, s36
	v_add3_u32 v27, v40, v27, v39
	s_mov_b64 s[20:21], 0
	s_mov_b64 s[26:27], s[36:37]
                                        ; implicit-def: $sgpr22_sgpr23
                                        ; implicit-def: $sgpr24_sgpr25
                                        ; implicit-def: $sgpr28_sgpr29
                                        ; implicit-def: $sgpr34_sgpr35
	s_branch .LBB261_283
.LBB261_282:                            ;   in Loop: Header=BB261_283 Depth=1
	s_or_b64 exec, exec, s[42:43]
	s_and_b64 s[42:43], exec, s[24:25]
	s_or_b64 s[20:21], s[42:43], s[20:21]
	s_andn2_b64 s[34:35], s[34:35], exec
	s_and_b64 s[40:41], s[40:41], exec
	s_or_b64 s[34:35], s[34:35], s[40:41]
	s_andn2_b64 s[22:23], s[22:23], exec
	s_and_b64 s[40:41], s[28:29], exec
	s_or_b64 s[22:23], s[22:23], s[40:41]
	s_andn2_b64 exec, exec, s[20:21]
	s_cbranch_execz .LBB261_285
.LBB261_283:                            ; =>This Inner Loop Header: Depth=1
	global_load_ubyte v39, v[24:25], off
	global_load_ubyte v40, v[26:27], off
	s_andn2_b64 s[28:29], s[28:29], exec
	s_or_b64 s[24:25], s[24:25], exec
	s_waitcnt vmcnt(0)
	v_cmp_le_i16_sdwa s[42:43], sext(v39), sext(v40) src0_sel:BYTE_0 src1_sel:BYTE_0
	v_cmp_lt_i16_sdwa s[40:41], sext(v39), sext(v40) src0_sel:BYTE_0 src1_sel:BYTE_0
	s_and_b64 s[42:43], s[42:43], s[34:35]
	s_or_b64 s[40:41], s[40:41], s[42:43]
	s_and_b64 s[42:43], s[40:41], exec
	v_cmp_eq_u16_sdwa s[44:45], v39, v40 src0_sel:BYTE_0 src1_sel:BYTE_0
	s_or_b64 s[28:29], s[28:29], s[42:43]
	s_and_saveexec_b64 s[42:43], s[44:45]
	s_cbranch_execz .LBB261_282
; %bb.284:                              ;   in Loop: Header=BB261_283 Depth=1
	s_add_u32 s26, s26, -1
	s_addc_u32 s27, s27, -1
	s_cmp_eq_u64 s[26:27], 0
	s_cselect_b64 s[34:35], -1, 0
	s_andn2_b64 s[24:25], s[24:25], exec
	s_and_b64 s[34:35], s[34:35], exec
	v_lshl_add_u64 v[24:25], v[24:25], 0, 1
	v_lshl_add_u64 v[26:27], v[26:27], 0, 1
	s_andn2_b64 s[28:29], s[28:29], exec
	s_or_b64 s[24:25], s[24:25], s[34:35]
                                        ; implicit-def: $sgpr34_sgpr35
	s_branch .LBB261_282
.LBB261_285:
	s_or_b64 exec, exec, s[20:21]
	v_cndmask_b32_e64 v5, v5, v23, s[22:23]
	v_cndmask_b32_e64 v4, v4, v22, s[22:23]
.LBB261_286:
	v_mov_b64_e32 v[22:23], v[4:5]
.LBB261_287:
	s_or_b64 exec, exec, s[12:13]
	v_mov_b64_e32 v[4:5], v[22:23]
.LBB261_288:
	s_or_b64 exec, exec, s[4:5]
.LBB261_289:
	s_or_b64 exec, exec, s[10:11]
	v_and_b32_e32 v41, 0x3e0, v37
	v_or_b32_e32 v22, 16, v41
	v_min_u32_e32 v26, v36, v22
	v_add_u32_e32 v22, 16, v26
	v_min_u32_e32 v27, v36, v22
	v_and_b32_e32 v22, 24, v37
	v_min_u32_e32 v42, v36, v22
	v_sub_u32_e32 v22, v26, v41
	v_sub_u32_e32 v23, v27, v26
	v_sub_u32_e64 v40, v42, v23 clamp
	v_min_u32_e32 v43, v42, v22
	v_lshl_add_u32 v39, v41, 3, v35
	v_cmp_lt_u32_e32 vcc, v40, v43
	; wave barrier
	ds_write_b128 v38, v[14:17]
	ds_write_b128 v38, v[10:13] offset:16
	ds_write_b128 v38, v[6:9] offset:32
	;; [unrolled: 1-line block ×3, first 2 shown]
	; wave barrier
	s_and_saveexec_b64 s[4:5], vcc
	s_cbranch_execz .LBB261_299
; %bb.290:
	v_lshlrev_b32_e32 v22, 3, v26
	v_lshlrev_b32_e32 v23, 3, v42
	v_add3_u32 v44, v35, v22, v23
	s_mov_b64 s[10:11], 0
	s_branch .LBB261_293
.LBB261_291:                            ;   in Loop: Header=BB261_293 Depth=1
	s_or_b64 exec, exec, s[20:21]
.LBB261_292:                            ;   in Loop: Header=BB261_293 Depth=1
	v_add_u32_e32 v22, 1, v45
	v_cndmask_b32_e64 v43, v43, v45, s[12:13]
	v_cndmask_b32_e64 v40, v22, v40, s[12:13]
	v_cmp_ge_u32_e32 vcc, v40, v43
	s_or_b64 s[10:11], vcc, s[10:11]
	s_andn2_b64 exec, exec, s[10:11]
	s_cbranch_execz .LBB261_298
.LBB261_293:                            ; =>This Loop Header: Depth=1
                                        ;     Child Loop BB261_296 Depth 2
	v_add_u32_e32 v22, v43, v40
	v_lshrrev_b32_e32 v45, 1, v22
	s_and_b64 vcc, exec, s[0:1]
	s_mov_b64 s[12:13], 0
	s_cbranch_vccnz .LBB261_292
; %bb.294:                              ;   in Loop: Header=BB261_293 Depth=1
	v_not_b32_e32 v22, v45
	v_lshl_add_u32 v22, v22, 3, v44
	ds_read_b64 v[22:23], v22
	v_lshl_add_u32 v46, v45, 3, v39
	ds_read_b64 v[46:47], v46
	v_mov_b64_e32 v[24:25], s[38:39]
	s_mov_b64 s[20:21], 0
	s_waitcnt lgkmcnt(1)
	v_mul_lo_u32 v48, v22, s37
	v_mul_lo_u32 v49, v23, s36
	v_mad_u64_u32 v[22:23], s[12:13], v22, s36, v[24:25]
	v_add3_u32 v23, v49, v23, v48
	s_waitcnt lgkmcnt(0)
	v_mul_lo_u32 v48, v46, s37
	v_mul_lo_u32 v47, v47, s36
	v_mad_u64_u32 v[24:25], s[12:13], v46, s36, v[24:25]
	v_add3_u32 v25, v47, v25, v48
	s_mov_b64 s[24:25], s[36:37]
                                        ; implicit-def: $sgpr12_sgpr13
                                        ; implicit-def: $sgpr22_sgpr23
                                        ; implicit-def: $sgpr26_sgpr27
                                        ; implicit-def: $sgpr28_sgpr29
	s_branch .LBB261_296
.LBB261_295:                            ;   in Loop: Header=BB261_296 Depth=2
	s_or_b64 exec, exec, s[40:41]
	s_and_b64 s[40:41], exec, s[22:23]
	s_or_b64 s[20:21], s[40:41], s[20:21]
	s_andn2_b64 s[28:29], s[28:29], exec
	s_and_b64 s[34:35], s[34:35], exec
	s_or_b64 s[28:29], s[28:29], s[34:35]
	s_andn2_b64 s[12:13], s[12:13], exec
	s_and_b64 s[34:35], s[26:27], exec
	s_or_b64 s[12:13], s[12:13], s[34:35]
	s_andn2_b64 exec, exec, s[20:21]
	s_cbranch_execz .LBB261_291
.LBB261_296:                            ;   Parent Loop BB261_293 Depth=1
                                        ; =>  This Inner Loop Header: Depth=2
	global_load_ubyte v46, v[22:23], off
	global_load_ubyte v47, v[24:25], off
	s_andn2_b64 s[26:27], s[26:27], exec
	s_or_b64 s[22:23], s[22:23], exec
	s_waitcnt vmcnt(0)
	v_cmp_le_i16_sdwa s[40:41], sext(v46), sext(v47) src0_sel:BYTE_0 src1_sel:BYTE_0
	v_cmp_lt_i16_sdwa s[34:35], sext(v46), sext(v47) src0_sel:BYTE_0 src1_sel:BYTE_0
	s_and_b64 s[40:41], s[40:41], s[28:29]
	s_or_b64 s[34:35], s[34:35], s[40:41]
	s_and_b64 s[40:41], s[34:35], exec
	v_cmp_eq_u16_sdwa s[42:43], v46, v47 src0_sel:BYTE_0 src1_sel:BYTE_0
	s_or_b64 s[26:27], s[26:27], s[40:41]
	s_and_saveexec_b64 s[40:41], s[42:43]
	s_cbranch_execz .LBB261_295
; %bb.297:                              ;   in Loop: Header=BB261_296 Depth=2
	s_add_u32 s24, s24, -1
	s_addc_u32 s25, s25, -1
	s_cmp_eq_u64 s[24:25], 0
	s_cselect_b64 s[28:29], -1, 0
	s_andn2_b64 s[22:23], s[22:23], exec
	s_and_b64 s[28:29], s[28:29], exec
	v_lshl_add_u64 v[22:23], v[22:23], 0, 1
	v_lshl_add_u64 v[24:25], v[24:25], 0, 1
	s_andn2_b64 s[26:27], s[26:27], exec
	s_or_b64 s[22:23], s[22:23], s[28:29]
                                        ; implicit-def: $sgpr28_sgpr29
	s_branch .LBB261_295
.LBB261_298:
	s_or_b64 exec, exec, s[10:11]
.LBB261_299:
	s_or_b64 exec, exec, s[4:5]
	v_add_u32_e32 v22, v26, v42
	v_add_u32_e32 v23, v40, v41
	v_sub_u32_e32 v24, v22, v40
	v_cmp_le_u32_e32 vcc, v23, v26
	v_cmp_le_u32_e64 s[4:5], v24, v27
	s_or_b64 s[4:5], vcc, s[4:5]
	s_and_saveexec_b64 s[10:11], s[4:5]
	s_cbranch_execz .LBB261_390
; %bb.300:
	v_cmp_ge_u32_e32 vcc, v23, v26
	v_cmp_lt_u32_e64 s[4:5], v23, v26
                                        ; implicit-def: $vgpr2_vgpr3
	s_and_saveexec_b64 s[12:13], s[4:5]
; %bb.301:
	v_lshl_add_u32 v2, v40, 3, v39
	ds_read_b64 v[2:3], v2
; %bb.302:
	s_or_b64 exec, exec, s[12:13]
	v_cmp_ge_u32_e64 s[12:13], v24, v27
	v_cmp_lt_u32_e64 s[4:5], v24, v27
                                        ; implicit-def: $vgpr4_vgpr5
	s_and_saveexec_b64 s[20:21], s[4:5]
; %bb.303:
	v_lshl_add_u32 v4, v24, 3, v35
	ds_read_b64 v[4:5], v4
; %bb.304:
	s_or_b64 exec, exec, s[20:21]
	s_nor_b64 s[20:21], vcc, s[12:13]
	s_and_saveexec_b64 s[4:5], s[20:21]
	s_cbranch_execz .LBB261_313
; %bb.305:
	s_and_b64 vcc, exec, s[0:1]
	s_cbranch_vccnz .LBB261_311
; %bb.306:
	v_mov_b64_e32 v[8:9], s[38:39]
	s_waitcnt lgkmcnt(0)
	v_mad_u64_u32 v[6:7], s[20:21], v4, s36, v[8:9]
	v_mul_lo_u32 v10, v4, s37
	v_mul_lo_u32 v11, v5, s36
	v_add3_u32 v7, v11, v7, v10
	v_mad_u64_u32 v[8:9], s[20:21], v2, s36, v[8:9]
	v_mul_lo_u32 v10, v2, s37
	v_mul_lo_u32 v11, v3, s36
	v_add3_u32 v9, v11, v9, v10
	s_mov_b64 s[20:21], 0
	s_mov_b64 s[26:27], s[36:37]
                                        ; implicit-def: $sgpr22_sgpr23
                                        ; implicit-def: $sgpr24_sgpr25
                                        ; implicit-def: $sgpr28_sgpr29
                                        ; implicit-def: $sgpr34_sgpr35
	s_branch .LBB261_308
.LBB261_307:                            ;   in Loop: Header=BB261_308 Depth=1
	s_or_b64 exec, exec, s[42:43]
	s_and_b64 s[42:43], exec, s[24:25]
	s_or_b64 s[20:21], s[42:43], s[20:21]
	s_andn2_b64 s[34:35], s[34:35], exec
	s_and_b64 s[40:41], s[40:41], exec
	s_or_b64 s[34:35], s[34:35], s[40:41]
	s_andn2_b64 s[22:23], s[22:23], exec
	s_and_b64 s[40:41], s[28:29], exec
	s_or_b64 s[22:23], s[22:23], s[40:41]
	s_andn2_b64 exec, exec, s[20:21]
	s_cbranch_execz .LBB261_310
.LBB261_308:                            ; =>This Inner Loop Header: Depth=1
	global_load_ubyte v10, v[6:7], off
	global_load_ubyte v11, v[8:9], off
	s_andn2_b64 s[28:29], s[28:29], exec
	s_or_b64 s[24:25], s[24:25], exec
	s_waitcnt vmcnt(0)
	v_cmp_le_i16_sdwa s[42:43], sext(v10), sext(v11) src0_sel:BYTE_0 src1_sel:BYTE_0
	v_cmp_lt_i16_sdwa s[40:41], sext(v10), sext(v11) src0_sel:BYTE_0 src1_sel:BYTE_0
	s_and_b64 s[42:43], s[42:43], s[34:35]
	s_or_b64 s[40:41], s[40:41], s[42:43]
	s_and_b64 s[42:43], s[40:41], exec
	v_cmp_eq_u16_sdwa s[44:45], v10, v11 src0_sel:BYTE_0 src1_sel:BYTE_0
	s_or_b64 s[28:29], s[28:29], s[42:43]
	s_and_saveexec_b64 s[42:43], s[44:45]
	s_cbranch_execz .LBB261_307
; %bb.309:                              ;   in Loop: Header=BB261_308 Depth=1
	s_add_u32 s26, s26, -1
	s_addc_u32 s27, s27, -1
	s_cmp_eq_u64 s[26:27], 0
	s_cselect_b64 s[34:35], -1, 0
	s_andn2_b64 s[24:25], s[24:25], exec
	s_and_b64 s[34:35], s[34:35], exec
	v_lshl_add_u64 v[6:7], v[6:7], 0, 1
	v_lshl_add_u64 v[8:9], v[8:9], 0, 1
	s_andn2_b64 s[28:29], s[28:29], exec
	s_or_b64 s[24:25], s[24:25], s[34:35]
                                        ; implicit-def: $sgpr34_sgpr35
	s_branch .LBB261_307
.LBB261_310:
	s_or_b64 exec, exec, s[20:21]
	s_xor_b64 s[20:21], s[22:23], -1
	s_branch .LBB261_312
.LBB261_311:
	s_mov_b64 s[20:21], -1
.LBB261_312:
	s_andn2_b64 s[12:13], s[12:13], exec
	s_and_b64 s[20:21], s[20:21], exec
	s_or_b64 s[12:13], s[12:13], s[20:21]
.LBB261_313:
	s_or_b64 exec, exec, s[4:5]
	v_cndmask_b32_e64 v6, v24, v23, s[12:13]
	v_cndmask_b32_e64 v7, v27, v26, s[12:13]
	v_add_u32_e32 v8, 1, v6
	v_add_u32_e32 v6, -1, v7
	v_min_u32_e32 v6, v8, v6
	v_lshl_add_u32 v6, v6, 3, v35
	ds_read_b64 v[6:7], v6
	v_cndmask_b32_e64 v12, v8, v24, s[12:13]
	v_cndmask_b32_e64 v13, v23, v8, s[12:13]
	v_cmp_lt_u32_e32 vcc, v12, v27
	s_mov_b64 s[20:21], -1
	s_waitcnt lgkmcnt(0)
	v_cndmask_b32_e64 v14, v7, v5, s[12:13]
	v_cndmask_b32_e64 v15, v6, v4, s[12:13]
	;; [unrolled: 1-line block ×4, first 2 shown]
	s_mov_b64 s[4:5], -1
	s_and_saveexec_b64 s[22:23], vcc
	s_cbranch_execz .LBB261_324
; %bb.314:
	v_cmp_lt_u32_e32 vcc, v13, v26
	s_mov_b64 s[24:25], 0
	s_and_saveexec_b64 s[4:5], vcc
	s_cbranch_execz .LBB261_323
; %bb.315:
	s_and_b64 vcc, exec, s[0:1]
	s_cbranch_vccnz .LBB261_321
; %bb.316:
	v_mov_b64_e32 v[8:9], s[38:39]
	v_mad_u64_u32 v[6:7], s[24:25], v15, s36, v[8:9]
	v_mul_lo_u32 v10, v15, s37
	v_mul_lo_u32 v11, v14, s36
	v_add3_u32 v7, v11, v7, v10
	v_mad_u64_u32 v[8:9], s[24:25], v22, s36, v[8:9]
	v_mul_lo_u32 v10, v22, s37
	v_mul_lo_u32 v11, v16, s36
	v_add3_u32 v9, v11, v9, v10
	s_mov_b64 s[24:25], 0
	s_mov_b64 s[34:35], s[36:37]
                                        ; implicit-def: $sgpr26_sgpr27
                                        ; implicit-def: $sgpr28_sgpr29
                                        ; implicit-def: $sgpr40_sgpr41
                                        ; implicit-def: $sgpr42_sgpr43
	s_branch .LBB261_318
.LBB261_317:                            ;   in Loop: Header=BB261_318 Depth=1
	s_or_b64 exec, exec, s[46:47]
	s_and_b64 s[46:47], exec, s[28:29]
	s_or_b64 s[24:25], s[46:47], s[24:25]
	s_andn2_b64 s[42:43], s[42:43], exec
	s_and_b64 s[44:45], s[44:45], exec
	s_or_b64 s[42:43], s[42:43], s[44:45]
	s_andn2_b64 s[26:27], s[26:27], exec
	s_and_b64 s[44:45], s[40:41], exec
	s_or_b64 s[26:27], s[26:27], s[44:45]
	s_andn2_b64 exec, exec, s[24:25]
	s_cbranch_execz .LBB261_320
.LBB261_318:                            ; =>This Inner Loop Header: Depth=1
	global_load_ubyte v10, v[6:7], off
	global_load_ubyte v11, v[8:9], off
	s_andn2_b64 s[40:41], s[40:41], exec
	s_or_b64 s[28:29], s[28:29], exec
	s_waitcnt vmcnt(0)
	v_cmp_le_i16_sdwa s[46:47], sext(v10), sext(v11) src0_sel:BYTE_0 src1_sel:BYTE_0
	v_cmp_lt_i16_sdwa s[44:45], sext(v10), sext(v11) src0_sel:BYTE_0 src1_sel:BYTE_0
	s_and_b64 s[46:47], s[46:47], s[42:43]
	s_or_b64 s[44:45], s[44:45], s[46:47]
	s_and_b64 s[46:47], s[44:45], exec
	v_cmp_eq_u16_sdwa s[48:49], v10, v11 src0_sel:BYTE_0 src1_sel:BYTE_0
	s_or_b64 s[40:41], s[40:41], s[46:47]
	s_and_saveexec_b64 s[46:47], s[48:49]
	s_cbranch_execz .LBB261_317
; %bb.319:                              ;   in Loop: Header=BB261_318 Depth=1
	s_add_u32 s34, s34, -1
	s_addc_u32 s35, s35, -1
	s_cmp_eq_u64 s[34:35], 0
	s_cselect_b64 s[42:43], -1, 0
	s_andn2_b64 s[28:29], s[28:29], exec
	s_and_b64 s[42:43], s[42:43], exec
	v_lshl_add_u64 v[6:7], v[6:7], 0, 1
	v_lshl_add_u64 v[8:9], v[8:9], 0, 1
	s_andn2_b64 s[40:41], s[40:41], exec
	s_or_b64 s[28:29], s[28:29], s[42:43]
                                        ; implicit-def: $sgpr42_sgpr43
	s_branch .LBB261_317
.LBB261_320:
	s_or_b64 exec, exec, s[24:25]
	s_xor_b64 s[24:25], s[26:27], -1
	s_branch .LBB261_322
.LBB261_321:
	s_mov_b64 s[24:25], -1
.LBB261_322:
	s_and_b64 s[24:25], s[24:25], exec
.LBB261_323:
	s_or_b64 exec, exec, s[4:5]
	s_orn2_b64 s[4:5], s[24:25], exec
.LBB261_324:
	s_or_b64 exec, exec, s[22:23]
	v_cndmask_b32_e64 v6, v12, v13, s[4:5]
	v_cndmask_b32_e64 v7, v27, v26, s[4:5]
	v_add_u32_e32 v8, 1, v6
	v_add_u32_e32 v6, -1, v7
	v_min_u32_e32 v6, v8, v6
	v_lshl_add_u32 v6, v6, 3, v35
	ds_read_b64 v[6:7], v6
	v_cndmask_b32_e64 v39, v8, v12, s[4:5]
	v_cndmask_b32_e64 v40, v13, v8, s[4:5]
	v_cmp_lt_u32_e32 vcc, v39, v27
	s_waitcnt lgkmcnt(0)
	v_cndmask_b32_e64 v10, v7, v14, s[4:5]
	v_cndmask_b32_e64 v17, v6, v15, s[4:5]
	;; [unrolled: 1-line block ×4, first 2 shown]
	s_and_saveexec_b64 s[22:23], vcc
	s_cbranch_execz .LBB261_335
; %bb.325:
	v_cmp_lt_u32_e32 vcc, v40, v26
	s_mov_b64 s[24:25], 0
	s_and_saveexec_b64 s[20:21], vcc
	s_cbranch_execz .LBB261_334
; %bb.326:
	s_and_b64 vcc, exec, s[0:1]
	s_cbranch_vccnz .LBB261_332
; %bb.327:
	v_mov_b64_e32 v[8:9], s[38:39]
	v_mad_u64_u32 v[6:7], s[24:25], v17, s36, v[8:9]
	v_mul_lo_u32 v12, v17, s37
	v_mul_lo_u32 v13, v10, s36
	v_add3_u32 v7, v13, v7, v12
	v_mad_u64_u32 v[8:9], s[24:25], v23, s36, v[8:9]
	v_mul_lo_u32 v12, v23, s37
	v_mul_lo_u32 v13, v11, s36
	v_add3_u32 v9, v13, v9, v12
	s_mov_b64 s[24:25], 0
	s_mov_b64 s[34:35], s[36:37]
                                        ; implicit-def: $sgpr26_sgpr27
                                        ; implicit-def: $sgpr28_sgpr29
                                        ; implicit-def: $sgpr40_sgpr41
                                        ; implicit-def: $sgpr42_sgpr43
	s_branch .LBB261_329
.LBB261_328:                            ;   in Loop: Header=BB261_329 Depth=1
	s_or_b64 exec, exec, s[46:47]
	s_and_b64 s[46:47], exec, s[28:29]
	s_or_b64 s[24:25], s[46:47], s[24:25]
	s_andn2_b64 s[42:43], s[42:43], exec
	s_and_b64 s[44:45], s[44:45], exec
	s_or_b64 s[42:43], s[42:43], s[44:45]
	s_andn2_b64 s[26:27], s[26:27], exec
	s_and_b64 s[44:45], s[40:41], exec
	s_or_b64 s[26:27], s[26:27], s[44:45]
	s_andn2_b64 exec, exec, s[24:25]
	s_cbranch_execz .LBB261_331
.LBB261_329:                            ; =>This Inner Loop Header: Depth=1
	global_load_ubyte v12, v[6:7], off
	global_load_ubyte v13, v[8:9], off
	s_andn2_b64 s[40:41], s[40:41], exec
	s_or_b64 s[28:29], s[28:29], exec
	s_waitcnt vmcnt(0)
	v_cmp_le_i16_sdwa s[46:47], sext(v12), sext(v13) src0_sel:BYTE_0 src1_sel:BYTE_0
	v_cmp_lt_i16_sdwa s[44:45], sext(v12), sext(v13) src0_sel:BYTE_0 src1_sel:BYTE_0
	s_and_b64 s[46:47], s[46:47], s[42:43]
	s_or_b64 s[44:45], s[44:45], s[46:47]
	s_and_b64 s[46:47], s[44:45], exec
	v_cmp_eq_u16_sdwa s[48:49], v12, v13 src0_sel:BYTE_0 src1_sel:BYTE_0
	s_or_b64 s[40:41], s[40:41], s[46:47]
	s_and_saveexec_b64 s[46:47], s[48:49]
	s_cbranch_execz .LBB261_328
; %bb.330:                              ;   in Loop: Header=BB261_329 Depth=1
	s_add_u32 s34, s34, -1
	s_addc_u32 s35, s35, -1
	s_cmp_eq_u64 s[34:35], 0
	s_cselect_b64 s[42:43], -1, 0
	s_andn2_b64 s[28:29], s[28:29], exec
	s_and_b64 s[42:43], s[42:43], exec
	v_lshl_add_u64 v[6:7], v[6:7], 0, 1
	v_lshl_add_u64 v[8:9], v[8:9], 0, 1
	s_andn2_b64 s[40:41], s[40:41], exec
	s_or_b64 s[28:29], s[28:29], s[42:43]
                                        ; implicit-def: $sgpr42_sgpr43
	s_branch .LBB261_328
.LBB261_331:
	s_or_b64 exec, exec, s[24:25]
	s_xor_b64 s[24:25], s[26:27], -1
	s_branch .LBB261_333
.LBB261_332:
	s_mov_b64 s[24:25], -1
.LBB261_333:
	s_and_b64 s[24:25], s[24:25], exec
.LBB261_334:
	s_or_b64 exec, exec, s[20:21]
	s_orn2_b64 s[20:21], s[24:25], exec
.LBB261_335:
	s_or_b64 exec, exec, s[22:23]
	v_cndmask_b32_e64 v6, v39, v40, s[20:21]
	v_cndmask_b32_e64 v7, v27, v26, s[20:21]
	v_add_u32_e32 v8, 1, v6
	v_add_u32_e32 v6, -1, v7
	v_min_u32_e32 v6, v8, v6
	v_lshl_add_u32 v6, v6, 3, v35
	ds_read_b64 v[6:7], v6
	v_cndmask_b32_e64 v43, v8, v39, s[20:21]
	v_cndmask_b32_e64 v44, v40, v8, s[20:21]
	v_cmp_lt_u32_e32 vcc, v43, v27
	s_mov_b64 s[24:25], -1
	s_waitcnt lgkmcnt(0)
	v_cndmask_b32_e64 v12, v7, v10, s[20:21]
	v_cndmask_b32_e64 v24, v6, v17, s[20:21]
	;; [unrolled: 1-line block ×4, first 2 shown]
	s_mov_b64 s[22:23], -1
	s_and_saveexec_b64 s[26:27], vcc
	s_cbranch_execz .LBB261_346
; %bb.336:
	v_cmp_lt_u32_e32 vcc, v44, v26
	s_mov_b64 s[28:29], 0
	s_and_saveexec_b64 s[22:23], vcc
	s_cbranch_execz .LBB261_345
; %bb.337:
	s_and_b64 vcc, exec, s[0:1]
	s_cbranch_vccnz .LBB261_343
; %bb.338:
	v_mov_b64_e32 v[8:9], s[38:39]
	v_mad_u64_u32 v[6:7], s[28:29], v24, s36, v[8:9]
	v_mul_lo_u32 v39, v24, s37
	v_mul_lo_u32 v40, v12, s36
	v_add3_u32 v7, v40, v7, v39
	v_mad_u64_u32 v[8:9], s[28:29], v25, s36, v[8:9]
	v_mul_lo_u32 v39, v25, s37
	v_mul_lo_u32 v40, v13, s36
	v_add3_u32 v9, v40, v9, v39
	s_mov_b64 s[28:29], 0
	s_mov_b64 s[42:43], s[36:37]
                                        ; implicit-def: $sgpr34_sgpr35
                                        ; implicit-def: $sgpr40_sgpr41
                                        ; implicit-def: $sgpr44_sgpr45
                                        ; implicit-def: $sgpr46_sgpr47
	s_branch .LBB261_340
.LBB261_339:                            ;   in Loop: Header=BB261_340 Depth=1
	s_or_b64 exec, exec, s[50:51]
	s_and_b64 s[50:51], exec, s[40:41]
	s_or_b64 s[28:29], s[50:51], s[28:29]
	s_andn2_b64 s[46:47], s[46:47], exec
	s_and_b64 s[48:49], s[48:49], exec
	s_or_b64 s[46:47], s[46:47], s[48:49]
	s_andn2_b64 s[34:35], s[34:35], exec
	s_and_b64 s[48:49], s[44:45], exec
	s_or_b64 s[34:35], s[34:35], s[48:49]
	s_andn2_b64 exec, exec, s[28:29]
	s_cbranch_execz .LBB261_342
.LBB261_340:                            ; =>This Inner Loop Header: Depth=1
	global_load_ubyte v39, v[6:7], off
	global_load_ubyte v40, v[8:9], off
	s_andn2_b64 s[44:45], s[44:45], exec
	s_or_b64 s[40:41], s[40:41], exec
	s_waitcnt vmcnt(0)
	v_cmp_le_i16_sdwa s[50:51], sext(v39), sext(v40) src0_sel:BYTE_0 src1_sel:BYTE_0
	v_cmp_lt_i16_sdwa s[48:49], sext(v39), sext(v40) src0_sel:BYTE_0 src1_sel:BYTE_0
	s_and_b64 s[50:51], s[50:51], s[46:47]
	s_or_b64 s[48:49], s[48:49], s[50:51]
	s_and_b64 s[50:51], s[48:49], exec
	v_cmp_eq_u16_sdwa s[52:53], v39, v40 src0_sel:BYTE_0 src1_sel:BYTE_0
	s_or_b64 s[44:45], s[44:45], s[50:51]
	s_and_saveexec_b64 s[50:51], s[52:53]
	s_cbranch_execz .LBB261_339
; %bb.341:                              ;   in Loop: Header=BB261_340 Depth=1
	s_add_u32 s42, s42, -1
	s_addc_u32 s43, s43, -1
	s_cmp_eq_u64 s[42:43], 0
	s_cselect_b64 s[46:47], -1, 0
	s_andn2_b64 s[40:41], s[40:41], exec
	s_and_b64 s[46:47], s[46:47], exec
	v_lshl_add_u64 v[6:7], v[6:7], 0, 1
	v_lshl_add_u64 v[8:9], v[8:9], 0, 1
	s_andn2_b64 s[44:45], s[44:45], exec
	s_or_b64 s[40:41], s[40:41], s[46:47]
                                        ; implicit-def: $sgpr46_sgpr47
	s_branch .LBB261_339
.LBB261_342:
	s_or_b64 exec, exec, s[28:29]
	s_xor_b64 s[28:29], s[34:35], -1
	s_branch .LBB261_344
.LBB261_343:
	s_mov_b64 s[28:29], -1
.LBB261_344:
	s_and_b64 s[28:29], s[28:29], exec
.LBB261_345:
	s_or_b64 exec, exec, s[22:23]
	s_orn2_b64 s[22:23], s[28:29], exec
.LBB261_346:
	s_or_b64 exec, exec, s[26:27]
	v_cndmask_b32_e64 v6, v43, v44, s[22:23]
	v_cndmask_b32_e64 v7, v27, v26, s[22:23]
	v_add_u32_e32 v8, 1, v6
	v_add_u32_e32 v6, -1, v7
	v_min_u32_e32 v6, v8, v6
	v_lshl_add_u32 v6, v6, 3, v35
	ds_read_b64 v[6:7], v6
	v_cndmask_b32_e64 v47, v8, v43, s[22:23]
	v_cndmask_b32_e64 v48, v44, v8, s[22:23]
	v_cmp_lt_u32_e32 vcc, v47, v27
	s_waitcnt lgkmcnt(0)
	v_cndmask_b32_e64 v39, v7, v12, s[22:23]
	v_cndmask_b32_e64 v40, v6, v24, s[22:23]
	;; [unrolled: 1-line block ×4, first 2 shown]
	s_and_saveexec_b64 s[26:27], vcc
	s_cbranch_execz .LBB261_357
; %bb.347:
	v_cmp_lt_u32_e32 vcc, v48, v26
	s_mov_b64 s[28:29], 0
	s_and_saveexec_b64 s[24:25], vcc
	s_cbranch_execz .LBB261_356
; %bb.348:
	s_and_b64 vcc, exec, s[0:1]
	s_cbranch_vccnz .LBB261_354
; %bb.349:
	v_mov_b64_e32 v[8:9], s[38:39]
	v_mad_u64_u32 v[6:7], s[28:29], v40, s36, v[8:9]
	v_mul_lo_u32 v43, v40, s37
	v_mul_lo_u32 v44, v39, s36
	v_add3_u32 v7, v44, v7, v43
	v_mad_u64_u32 v[8:9], s[28:29], v42, s36, v[8:9]
	v_mul_lo_u32 v43, v42, s37
	v_mul_lo_u32 v44, v41, s36
	v_add3_u32 v9, v44, v9, v43
	s_mov_b64 s[28:29], 0
	s_mov_b64 s[42:43], s[36:37]
                                        ; implicit-def: $sgpr34_sgpr35
                                        ; implicit-def: $sgpr40_sgpr41
                                        ; implicit-def: $sgpr44_sgpr45
                                        ; implicit-def: $sgpr46_sgpr47
	s_branch .LBB261_351
.LBB261_350:                            ;   in Loop: Header=BB261_351 Depth=1
	s_or_b64 exec, exec, s[50:51]
	s_and_b64 s[50:51], exec, s[40:41]
	s_or_b64 s[28:29], s[50:51], s[28:29]
	s_andn2_b64 s[46:47], s[46:47], exec
	s_and_b64 s[48:49], s[48:49], exec
	s_or_b64 s[46:47], s[46:47], s[48:49]
	s_andn2_b64 s[34:35], s[34:35], exec
	s_and_b64 s[48:49], s[44:45], exec
	s_or_b64 s[34:35], s[34:35], s[48:49]
	s_andn2_b64 exec, exec, s[28:29]
	s_cbranch_execz .LBB261_353
.LBB261_351:                            ; =>This Inner Loop Header: Depth=1
	global_load_ubyte v43, v[6:7], off
	global_load_ubyte v44, v[8:9], off
	s_andn2_b64 s[44:45], s[44:45], exec
	s_or_b64 s[40:41], s[40:41], exec
	s_waitcnt vmcnt(0)
	v_cmp_le_i16_sdwa s[50:51], sext(v43), sext(v44) src0_sel:BYTE_0 src1_sel:BYTE_0
	v_cmp_lt_i16_sdwa s[48:49], sext(v43), sext(v44) src0_sel:BYTE_0 src1_sel:BYTE_0
	s_and_b64 s[50:51], s[50:51], s[46:47]
	s_or_b64 s[48:49], s[48:49], s[50:51]
	s_and_b64 s[50:51], s[48:49], exec
	v_cmp_eq_u16_sdwa s[52:53], v43, v44 src0_sel:BYTE_0 src1_sel:BYTE_0
	s_or_b64 s[44:45], s[44:45], s[50:51]
	s_and_saveexec_b64 s[50:51], s[52:53]
	s_cbranch_execz .LBB261_350
; %bb.352:                              ;   in Loop: Header=BB261_351 Depth=1
	s_add_u32 s42, s42, -1
	s_addc_u32 s43, s43, -1
	s_cmp_eq_u64 s[42:43], 0
	s_cselect_b64 s[46:47], -1, 0
	s_andn2_b64 s[40:41], s[40:41], exec
	s_and_b64 s[46:47], s[46:47], exec
	v_lshl_add_u64 v[6:7], v[6:7], 0, 1
	v_lshl_add_u64 v[8:9], v[8:9], 0, 1
	s_andn2_b64 s[44:45], s[44:45], exec
	s_or_b64 s[40:41], s[40:41], s[46:47]
                                        ; implicit-def: $sgpr46_sgpr47
	s_branch .LBB261_350
.LBB261_353:
	s_or_b64 exec, exec, s[28:29]
	s_xor_b64 s[28:29], s[34:35], -1
	s_branch .LBB261_355
.LBB261_354:
	s_mov_b64 s[28:29], -1
.LBB261_355:
	s_and_b64 s[28:29], s[28:29], exec
.LBB261_356:
	s_or_b64 exec, exec, s[24:25]
	s_orn2_b64 s[24:25], s[28:29], exec
.LBB261_357:
	s_or_b64 exec, exec, s[26:27]
	v_cndmask_b32_e64 v6, v47, v48, s[24:25]
	v_cndmask_b32_e64 v7, v27, v26, s[24:25]
	v_add_u32_e32 v8, 1, v6
	v_add_u32_e32 v6, -1, v7
	v_min_u32_e32 v6, v8, v6
	v_lshl_add_u32 v6, v6, 3, v35
	ds_read_b64 v[6:7], v6
	v_cndmask_b32_e64 v49, v8, v47, s[24:25]
	v_cndmask_b32_e64 v53, v48, v8, s[24:25]
	v_cmp_lt_u32_e32 vcc, v49, v27
	s_mov_b64 s[26:27], -1
	s_waitcnt lgkmcnt(0)
	v_cndmask_b32_e64 v43, v7, v39, s[24:25]
	v_cndmask_b32_e64 v44, v6, v40, s[24:25]
	;; [unrolled: 1-line block ×4, first 2 shown]
	s_mov_b64 s[28:29], -1
	s_and_saveexec_b64 s[34:35], vcc
	s_cbranch_execz .LBB261_368
; %bb.358:
	v_cmp_lt_u32_e32 vcc, v53, v26
	s_mov_b64 s[40:41], 0
	s_and_saveexec_b64 s[28:29], vcc
	s_cbranch_execz .LBB261_367
; %bb.359:
	s_and_b64 vcc, exec, s[0:1]
	s_cbranch_vccnz .LBB261_365
; %bb.360:
	v_mov_b64_e32 v[8:9], s[38:39]
	v_mad_u64_u32 v[6:7], s[40:41], v44, s36, v[8:9]
	v_mul_lo_u32 v47, v44, s37
	v_mul_lo_u32 v48, v43, s36
	v_add3_u32 v7, v48, v7, v47
	v_mad_u64_u32 v[8:9], s[40:41], v46, s36, v[8:9]
	v_mul_lo_u32 v47, v46, s37
	v_mul_lo_u32 v48, v45, s36
	v_add3_u32 v9, v48, v9, v47
	s_mov_b64 s[40:41], 0
	s_mov_b64 s[46:47], s[36:37]
                                        ; implicit-def: $sgpr42_sgpr43
                                        ; implicit-def: $sgpr44_sgpr45
                                        ; implicit-def: $sgpr48_sgpr49
                                        ; implicit-def: $sgpr50_sgpr51
	s_branch .LBB261_362
.LBB261_361:                            ;   in Loop: Header=BB261_362 Depth=1
	s_or_b64 exec, exec, s[54:55]
	s_and_b64 s[54:55], exec, s[44:45]
	s_or_b64 s[40:41], s[54:55], s[40:41]
	s_andn2_b64 s[50:51], s[50:51], exec
	s_and_b64 s[52:53], s[52:53], exec
	s_or_b64 s[50:51], s[50:51], s[52:53]
	s_andn2_b64 s[42:43], s[42:43], exec
	s_and_b64 s[52:53], s[48:49], exec
	s_or_b64 s[42:43], s[42:43], s[52:53]
	s_andn2_b64 exec, exec, s[40:41]
	s_cbranch_execz .LBB261_364
.LBB261_362:                            ; =>This Inner Loop Header: Depth=1
	global_load_ubyte v47, v[6:7], off
	global_load_ubyte v48, v[8:9], off
	s_andn2_b64 s[48:49], s[48:49], exec
	s_or_b64 s[44:45], s[44:45], exec
	s_waitcnt vmcnt(0)
	v_cmp_le_i16_sdwa s[54:55], sext(v47), sext(v48) src0_sel:BYTE_0 src1_sel:BYTE_0
	v_cmp_lt_i16_sdwa s[52:53], sext(v47), sext(v48) src0_sel:BYTE_0 src1_sel:BYTE_0
	s_and_b64 s[54:55], s[54:55], s[50:51]
	s_or_b64 s[52:53], s[52:53], s[54:55]
	s_and_b64 s[54:55], s[52:53], exec
	v_cmp_eq_u16_sdwa s[56:57], v47, v48 src0_sel:BYTE_0 src1_sel:BYTE_0
	s_or_b64 s[48:49], s[48:49], s[54:55]
	s_and_saveexec_b64 s[54:55], s[56:57]
	s_cbranch_execz .LBB261_361
; %bb.363:                              ;   in Loop: Header=BB261_362 Depth=1
	s_add_u32 s46, s46, -1
	s_addc_u32 s47, s47, -1
	s_cmp_eq_u64 s[46:47], 0
	s_cselect_b64 s[50:51], -1, 0
	s_andn2_b64 s[44:45], s[44:45], exec
	s_and_b64 s[50:51], s[50:51], exec
	v_lshl_add_u64 v[6:7], v[6:7], 0, 1
	v_lshl_add_u64 v[8:9], v[8:9], 0, 1
	s_andn2_b64 s[48:49], s[48:49], exec
	s_or_b64 s[44:45], s[44:45], s[50:51]
                                        ; implicit-def: $sgpr50_sgpr51
	s_branch .LBB261_361
.LBB261_364:
	s_or_b64 exec, exec, s[40:41]
	s_xor_b64 s[40:41], s[42:43], -1
	s_branch .LBB261_366
.LBB261_365:
	s_mov_b64 s[40:41], -1
.LBB261_366:
	s_and_b64 s[40:41], s[40:41], exec
.LBB261_367:
	s_or_b64 exec, exec, s[28:29]
	s_orn2_b64 s[28:29], s[40:41], exec
.LBB261_368:
	s_or_b64 exec, exec, s[34:35]
	v_cndmask_b32_e64 v6, v49, v53, s[28:29]
	v_cndmask_b32_e64 v7, v27, v26, s[28:29]
	v_add_u32_e32 v8, 1, v6
	v_add_u32_e32 v6, -1, v7
	v_min_u32_e32 v6, v8, v6
	v_lshl_add_u32 v6, v6, 3, v35
	ds_read_b64 v[6:7], v6
	v_cndmask_b32_e64 v50, v8, v49, s[28:29]
	v_cndmask_b32_e64 v49, v53, v8, s[28:29]
	v_cmp_lt_u32_e32 vcc, v50, v27
	s_waitcnt lgkmcnt(0)
	v_cndmask_b32_e64 v47, v7, v43, s[28:29]
	v_cndmask_b32_e64 v48, v6, v44, s[28:29]
	;; [unrolled: 1-line block ×4, first 2 shown]
	s_and_saveexec_b64 s[34:35], vcc
	s_cbranch_execz .LBB261_379
; %bb.369:
	v_cmp_lt_u32_e32 vcc, v49, v26
	s_mov_b64 s[40:41], 0
	s_and_saveexec_b64 s[26:27], vcc
	s_cbranch_execz .LBB261_378
; %bb.370:
	s_and_b64 vcc, exec, s[0:1]
	s_cbranch_vccnz .LBB261_376
; %bb.371:
	v_mov_b64_e32 v[8:9], s[38:39]
	v_mad_u64_u32 v[6:7], s[40:41], v48, s36, v[8:9]
	v_mul_lo_u32 v53, v48, s37
	v_mul_lo_u32 v54, v47, s36
	v_add3_u32 v7, v54, v7, v53
	v_mad_u64_u32 v[8:9], s[40:41], v52, s36, v[8:9]
	v_mul_lo_u32 v53, v52, s37
	v_mul_lo_u32 v54, v51, s36
	v_add3_u32 v9, v54, v9, v53
	s_mov_b64 s[40:41], 0
	s_mov_b64 s[46:47], s[36:37]
                                        ; implicit-def: $sgpr42_sgpr43
                                        ; implicit-def: $sgpr44_sgpr45
                                        ; implicit-def: $sgpr48_sgpr49
                                        ; implicit-def: $sgpr50_sgpr51
	s_branch .LBB261_373
.LBB261_372:                            ;   in Loop: Header=BB261_373 Depth=1
	s_or_b64 exec, exec, s[54:55]
	s_and_b64 s[54:55], exec, s[44:45]
	s_or_b64 s[40:41], s[54:55], s[40:41]
	s_andn2_b64 s[50:51], s[50:51], exec
	s_and_b64 s[52:53], s[52:53], exec
	s_or_b64 s[50:51], s[50:51], s[52:53]
	s_andn2_b64 s[42:43], s[42:43], exec
	s_and_b64 s[52:53], s[48:49], exec
	s_or_b64 s[42:43], s[42:43], s[52:53]
	s_andn2_b64 exec, exec, s[40:41]
	s_cbranch_execz .LBB261_375
.LBB261_373:                            ; =>This Inner Loop Header: Depth=1
	global_load_ubyte v53, v[6:7], off
	global_load_ubyte v54, v[8:9], off
	s_andn2_b64 s[48:49], s[48:49], exec
	s_or_b64 s[44:45], s[44:45], exec
	s_waitcnt vmcnt(0)
	v_cmp_le_i16_sdwa s[54:55], sext(v53), sext(v54) src0_sel:BYTE_0 src1_sel:BYTE_0
	v_cmp_lt_i16_sdwa s[52:53], sext(v53), sext(v54) src0_sel:BYTE_0 src1_sel:BYTE_0
	s_and_b64 s[54:55], s[54:55], s[50:51]
	s_or_b64 s[52:53], s[52:53], s[54:55]
	s_and_b64 s[54:55], s[52:53], exec
	v_cmp_eq_u16_sdwa s[56:57], v53, v54 src0_sel:BYTE_0 src1_sel:BYTE_0
	s_or_b64 s[48:49], s[48:49], s[54:55]
	s_and_saveexec_b64 s[54:55], s[56:57]
	s_cbranch_execz .LBB261_372
; %bb.374:                              ;   in Loop: Header=BB261_373 Depth=1
	s_add_u32 s46, s46, -1
	s_addc_u32 s47, s47, -1
	s_cmp_eq_u64 s[46:47], 0
	s_cselect_b64 s[50:51], -1, 0
	s_andn2_b64 s[44:45], s[44:45], exec
	s_and_b64 s[50:51], s[50:51], exec
	v_lshl_add_u64 v[6:7], v[6:7], 0, 1
	v_lshl_add_u64 v[8:9], v[8:9], 0, 1
	s_andn2_b64 s[48:49], s[48:49], exec
	s_or_b64 s[44:45], s[44:45], s[50:51]
                                        ; implicit-def: $sgpr50_sgpr51
	s_branch .LBB261_372
.LBB261_375:
	s_or_b64 exec, exec, s[40:41]
	s_xor_b64 s[40:41], s[42:43], -1
	s_branch .LBB261_377
.LBB261_376:
	s_mov_b64 s[40:41], -1
.LBB261_377:
	s_and_b64 s[40:41], s[40:41], exec
.LBB261_378:
	s_or_b64 exec, exec, s[26:27]
	s_orn2_b64 s[26:27], s[40:41], exec
.LBB261_379:
	s_or_b64 exec, exec, s[34:35]
	v_cndmask_b32_e64 v11, v10, v11, s[20:21]
	v_cndmask_b32_e64 v10, v17, v23, s[20:21]
	;; [unrolled: 1-line block ×8, first 2 shown]
	v_add_u32_e32 v24, 1, v14
	v_add_u32_e32 v14, -1, v15
	v_min_u32_e32 v14, v24, v14
	v_lshl_add_u32 v14, v14, 3, v35
	ds_read_b64 v[22:23], v14
	v_cndmask_b32_e64 v25, v24, v50, s[26:27]
	v_cndmask_b32_e64 v9, v43, v45, s[28:29]
	;; [unrolled: 1-line block ×9, first 2 shown]
	s_waitcnt lgkmcnt(0)
	v_cndmask_b32_e64 v5, v51, v23, s[26:27]
	v_cndmask_b32_e64 v4, v52, v22, s[26:27]
	v_cmp_lt_u32_e32 vcc, v25, v27
	s_and_saveexec_b64 s[4:5], vcc
	s_cbranch_execz .LBB261_389
; %bb.380:
	v_cndmask_b32_e64 v24, v49, v24, s[26:27]
	v_cndmask_b32_e64 v23, v23, v47, s[26:27]
	;; [unrolled: 1-line block ×3, first 2 shown]
	v_cmp_lt_u32_e32 vcc, v24, v26
	s_and_saveexec_b64 s[12:13], vcc
	s_cbranch_execz .LBB261_388
; %bb.381:
	s_and_b64 vcc, exec, s[0:1]
	s_cbranch_vccnz .LBB261_387
; %bb.382:
	v_mov_b64_e32 v[26:27], s[38:39]
	v_mad_u64_u32 v[24:25], s[20:21], v22, s36, v[26:27]
	v_mul_lo_u32 v39, v22, s37
	v_mul_lo_u32 v40, v23, s36
	v_add3_u32 v25, v40, v25, v39
	v_mad_u64_u32 v[26:27], s[20:21], v4, s36, v[26:27]
	v_mul_lo_u32 v39, v4, s37
	v_mul_lo_u32 v40, v5, s36
	v_add3_u32 v27, v40, v27, v39
	s_mov_b64 s[20:21], 0
	s_mov_b64 s[26:27], s[36:37]
                                        ; implicit-def: $sgpr22_sgpr23
                                        ; implicit-def: $sgpr24_sgpr25
                                        ; implicit-def: $sgpr28_sgpr29
                                        ; implicit-def: $sgpr34_sgpr35
	s_branch .LBB261_384
.LBB261_383:                            ;   in Loop: Header=BB261_384 Depth=1
	s_or_b64 exec, exec, s[42:43]
	s_and_b64 s[42:43], exec, s[24:25]
	s_or_b64 s[20:21], s[42:43], s[20:21]
	s_andn2_b64 s[34:35], s[34:35], exec
	s_and_b64 s[40:41], s[40:41], exec
	s_or_b64 s[34:35], s[34:35], s[40:41]
	s_andn2_b64 s[22:23], s[22:23], exec
	s_and_b64 s[40:41], s[28:29], exec
	s_or_b64 s[22:23], s[22:23], s[40:41]
	s_andn2_b64 exec, exec, s[20:21]
	s_cbranch_execz .LBB261_386
.LBB261_384:                            ; =>This Inner Loop Header: Depth=1
	global_load_ubyte v39, v[24:25], off
	global_load_ubyte v40, v[26:27], off
	s_andn2_b64 s[28:29], s[28:29], exec
	s_or_b64 s[24:25], s[24:25], exec
	s_waitcnt vmcnt(0)
	v_cmp_le_i16_sdwa s[42:43], sext(v39), sext(v40) src0_sel:BYTE_0 src1_sel:BYTE_0
	v_cmp_lt_i16_sdwa s[40:41], sext(v39), sext(v40) src0_sel:BYTE_0 src1_sel:BYTE_0
	s_and_b64 s[42:43], s[42:43], s[34:35]
	s_or_b64 s[40:41], s[40:41], s[42:43]
	s_and_b64 s[42:43], s[40:41], exec
	v_cmp_eq_u16_sdwa s[44:45], v39, v40 src0_sel:BYTE_0 src1_sel:BYTE_0
	s_or_b64 s[28:29], s[28:29], s[42:43]
	s_and_saveexec_b64 s[42:43], s[44:45]
	s_cbranch_execz .LBB261_383
; %bb.385:                              ;   in Loop: Header=BB261_384 Depth=1
	s_add_u32 s26, s26, -1
	s_addc_u32 s27, s27, -1
	s_cmp_eq_u64 s[26:27], 0
	s_cselect_b64 s[34:35], -1, 0
	s_andn2_b64 s[24:25], s[24:25], exec
	s_and_b64 s[34:35], s[34:35], exec
	v_lshl_add_u64 v[24:25], v[24:25], 0, 1
	v_lshl_add_u64 v[26:27], v[26:27], 0, 1
	s_andn2_b64 s[28:29], s[28:29], exec
	s_or_b64 s[24:25], s[24:25], s[34:35]
                                        ; implicit-def: $sgpr34_sgpr35
	s_branch .LBB261_383
.LBB261_386:
	s_or_b64 exec, exec, s[20:21]
	v_cndmask_b32_e64 v5, v5, v23, s[22:23]
	v_cndmask_b32_e64 v4, v4, v22, s[22:23]
.LBB261_387:
	v_mov_b64_e32 v[22:23], v[4:5]
.LBB261_388:
	s_or_b64 exec, exec, s[12:13]
	v_mov_b64_e32 v[4:5], v[22:23]
.LBB261_389:
	s_or_b64 exec, exec, s[4:5]
.LBB261_390:
	s_or_b64 exec, exec, s[10:11]
	v_and_b32_e32 v41, 0x3c0, v37
	v_or_b32_e32 v22, 32, v41
	v_min_u32_e32 v26, v36, v22
	v_add_u32_e32 v22, 32, v26
	v_min_u32_e32 v27, v36, v22
	v_and_b32_e32 v22, 56, v37
	v_min_u32_e32 v42, v36, v22
	v_sub_u32_e32 v22, v26, v41
	v_sub_u32_e32 v23, v27, v26
	v_sub_u32_e64 v40, v42, v23 clamp
	v_min_u32_e32 v43, v42, v22
	v_lshl_add_u32 v39, v41, 3, v35
	v_cmp_lt_u32_e32 vcc, v40, v43
	; wave barrier
	ds_write_b128 v38, v[14:17]
	ds_write_b128 v38, v[10:13] offset:16
	ds_write_b128 v38, v[6:9] offset:32
	;; [unrolled: 1-line block ×3, first 2 shown]
	; wave barrier
	s_and_saveexec_b64 s[4:5], vcc
	s_cbranch_execz .LBB261_400
; %bb.391:
	v_lshlrev_b32_e32 v22, 3, v26
	v_lshlrev_b32_e32 v23, 3, v42
	v_add3_u32 v44, v35, v22, v23
	s_mov_b64 s[10:11], 0
	s_branch .LBB261_394
.LBB261_392:                            ;   in Loop: Header=BB261_394 Depth=1
	s_or_b64 exec, exec, s[20:21]
.LBB261_393:                            ;   in Loop: Header=BB261_394 Depth=1
	v_add_u32_e32 v22, 1, v45
	v_cndmask_b32_e64 v43, v43, v45, s[12:13]
	v_cndmask_b32_e64 v40, v22, v40, s[12:13]
	v_cmp_ge_u32_e32 vcc, v40, v43
	s_or_b64 s[10:11], vcc, s[10:11]
	s_andn2_b64 exec, exec, s[10:11]
	s_cbranch_execz .LBB261_399
.LBB261_394:                            ; =>This Loop Header: Depth=1
                                        ;     Child Loop BB261_397 Depth 2
	v_add_u32_e32 v22, v43, v40
	v_lshrrev_b32_e32 v45, 1, v22
	s_and_b64 vcc, exec, s[0:1]
	s_mov_b64 s[12:13], 0
	s_cbranch_vccnz .LBB261_393
; %bb.395:                              ;   in Loop: Header=BB261_394 Depth=1
	v_not_b32_e32 v22, v45
	v_lshl_add_u32 v22, v22, 3, v44
	ds_read_b64 v[22:23], v22
	v_lshl_add_u32 v46, v45, 3, v39
	ds_read_b64 v[46:47], v46
	v_mov_b64_e32 v[24:25], s[38:39]
	s_mov_b64 s[20:21], 0
	s_waitcnt lgkmcnt(1)
	v_mul_lo_u32 v48, v22, s37
	v_mul_lo_u32 v49, v23, s36
	v_mad_u64_u32 v[22:23], s[12:13], v22, s36, v[24:25]
	v_add3_u32 v23, v49, v23, v48
	s_waitcnt lgkmcnt(0)
	v_mul_lo_u32 v48, v46, s37
	v_mul_lo_u32 v47, v47, s36
	v_mad_u64_u32 v[24:25], s[12:13], v46, s36, v[24:25]
	v_add3_u32 v25, v47, v25, v48
	s_mov_b64 s[24:25], s[36:37]
                                        ; implicit-def: $sgpr12_sgpr13
                                        ; implicit-def: $sgpr22_sgpr23
                                        ; implicit-def: $sgpr26_sgpr27
                                        ; implicit-def: $sgpr28_sgpr29
	s_branch .LBB261_397
.LBB261_396:                            ;   in Loop: Header=BB261_397 Depth=2
	s_or_b64 exec, exec, s[40:41]
	s_and_b64 s[40:41], exec, s[22:23]
	s_or_b64 s[20:21], s[40:41], s[20:21]
	s_andn2_b64 s[28:29], s[28:29], exec
	s_and_b64 s[34:35], s[34:35], exec
	s_or_b64 s[28:29], s[28:29], s[34:35]
	s_andn2_b64 s[12:13], s[12:13], exec
	s_and_b64 s[34:35], s[26:27], exec
	s_or_b64 s[12:13], s[12:13], s[34:35]
	s_andn2_b64 exec, exec, s[20:21]
	s_cbranch_execz .LBB261_392
.LBB261_397:                            ;   Parent Loop BB261_394 Depth=1
                                        ; =>  This Inner Loop Header: Depth=2
	global_load_ubyte v46, v[22:23], off
	global_load_ubyte v47, v[24:25], off
	s_andn2_b64 s[26:27], s[26:27], exec
	s_or_b64 s[22:23], s[22:23], exec
	s_waitcnt vmcnt(0)
	v_cmp_le_i16_sdwa s[40:41], sext(v46), sext(v47) src0_sel:BYTE_0 src1_sel:BYTE_0
	v_cmp_lt_i16_sdwa s[34:35], sext(v46), sext(v47) src0_sel:BYTE_0 src1_sel:BYTE_0
	s_and_b64 s[40:41], s[40:41], s[28:29]
	s_or_b64 s[34:35], s[34:35], s[40:41]
	s_and_b64 s[40:41], s[34:35], exec
	v_cmp_eq_u16_sdwa s[42:43], v46, v47 src0_sel:BYTE_0 src1_sel:BYTE_0
	s_or_b64 s[26:27], s[26:27], s[40:41]
	s_and_saveexec_b64 s[40:41], s[42:43]
	s_cbranch_execz .LBB261_396
; %bb.398:                              ;   in Loop: Header=BB261_397 Depth=2
	s_add_u32 s24, s24, -1
	s_addc_u32 s25, s25, -1
	s_cmp_eq_u64 s[24:25], 0
	s_cselect_b64 s[28:29], -1, 0
	s_andn2_b64 s[22:23], s[22:23], exec
	s_and_b64 s[28:29], s[28:29], exec
	v_lshl_add_u64 v[22:23], v[22:23], 0, 1
	v_lshl_add_u64 v[24:25], v[24:25], 0, 1
	s_andn2_b64 s[26:27], s[26:27], exec
	s_or_b64 s[22:23], s[22:23], s[28:29]
                                        ; implicit-def: $sgpr28_sgpr29
	s_branch .LBB261_396
.LBB261_399:
	s_or_b64 exec, exec, s[10:11]
.LBB261_400:
	s_or_b64 exec, exec, s[4:5]
	v_add_u32_e32 v22, v26, v42
	v_add_u32_e32 v23, v40, v41
	v_sub_u32_e32 v24, v22, v40
	v_cmp_le_u32_e32 vcc, v23, v26
	v_cmp_le_u32_e64 s[4:5], v24, v27
	s_or_b64 s[4:5], vcc, s[4:5]
	s_and_saveexec_b64 s[10:11], s[4:5]
	s_cbranch_execz .LBB261_491
; %bb.401:
	v_cmp_ge_u32_e32 vcc, v23, v26
	v_cmp_lt_u32_e64 s[4:5], v23, v26
                                        ; implicit-def: $vgpr2_vgpr3
	s_and_saveexec_b64 s[12:13], s[4:5]
; %bb.402:
	v_lshl_add_u32 v2, v40, 3, v39
	ds_read_b64 v[2:3], v2
; %bb.403:
	s_or_b64 exec, exec, s[12:13]
	v_cmp_ge_u32_e64 s[12:13], v24, v27
	v_cmp_lt_u32_e64 s[4:5], v24, v27
                                        ; implicit-def: $vgpr4_vgpr5
	s_and_saveexec_b64 s[20:21], s[4:5]
; %bb.404:
	v_lshl_add_u32 v4, v24, 3, v35
	ds_read_b64 v[4:5], v4
; %bb.405:
	s_or_b64 exec, exec, s[20:21]
	s_nor_b64 s[20:21], vcc, s[12:13]
	s_and_saveexec_b64 s[4:5], s[20:21]
	s_cbranch_execz .LBB261_414
; %bb.406:
	s_and_b64 vcc, exec, s[0:1]
	s_cbranch_vccnz .LBB261_412
; %bb.407:
	v_mov_b64_e32 v[8:9], s[38:39]
	s_waitcnt lgkmcnt(0)
	v_mad_u64_u32 v[6:7], s[20:21], v4, s36, v[8:9]
	v_mul_lo_u32 v10, v4, s37
	v_mul_lo_u32 v11, v5, s36
	v_add3_u32 v7, v11, v7, v10
	v_mad_u64_u32 v[8:9], s[20:21], v2, s36, v[8:9]
	v_mul_lo_u32 v10, v2, s37
	v_mul_lo_u32 v11, v3, s36
	v_add3_u32 v9, v11, v9, v10
	s_mov_b64 s[20:21], 0
	s_mov_b64 s[26:27], s[36:37]
                                        ; implicit-def: $sgpr22_sgpr23
                                        ; implicit-def: $sgpr24_sgpr25
                                        ; implicit-def: $sgpr28_sgpr29
                                        ; implicit-def: $sgpr34_sgpr35
	s_branch .LBB261_409
.LBB261_408:                            ;   in Loop: Header=BB261_409 Depth=1
	s_or_b64 exec, exec, s[42:43]
	s_and_b64 s[42:43], exec, s[24:25]
	s_or_b64 s[20:21], s[42:43], s[20:21]
	s_andn2_b64 s[34:35], s[34:35], exec
	s_and_b64 s[40:41], s[40:41], exec
	s_or_b64 s[34:35], s[34:35], s[40:41]
	s_andn2_b64 s[22:23], s[22:23], exec
	s_and_b64 s[40:41], s[28:29], exec
	s_or_b64 s[22:23], s[22:23], s[40:41]
	s_andn2_b64 exec, exec, s[20:21]
	s_cbranch_execz .LBB261_411
.LBB261_409:                            ; =>This Inner Loop Header: Depth=1
	global_load_ubyte v10, v[6:7], off
	global_load_ubyte v11, v[8:9], off
	s_andn2_b64 s[28:29], s[28:29], exec
	s_or_b64 s[24:25], s[24:25], exec
	s_waitcnt vmcnt(0)
	v_cmp_le_i16_sdwa s[42:43], sext(v10), sext(v11) src0_sel:BYTE_0 src1_sel:BYTE_0
	v_cmp_lt_i16_sdwa s[40:41], sext(v10), sext(v11) src0_sel:BYTE_0 src1_sel:BYTE_0
	s_and_b64 s[42:43], s[42:43], s[34:35]
	s_or_b64 s[40:41], s[40:41], s[42:43]
	s_and_b64 s[42:43], s[40:41], exec
	v_cmp_eq_u16_sdwa s[44:45], v10, v11 src0_sel:BYTE_0 src1_sel:BYTE_0
	s_or_b64 s[28:29], s[28:29], s[42:43]
	s_and_saveexec_b64 s[42:43], s[44:45]
	s_cbranch_execz .LBB261_408
; %bb.410:                              ;   in Loop: Header=BB261_409 Depth=1
	s_add_u32 s26, s26, -1
	s_addc_u32 s27, s27, -1
	s_cmp_eq_u64 s[26:27], 0
	s_cselect_b64 s[34:35], -1, 0
	s_andn2_b64 s[24:25], s[24:25], exec
	s_and_b64 s[34:35], s[34:35], exec
	v_lshl_add_u64 v[6:7], v[6:7], 0, 1
	v_lshl_add_u64 v[8:9], v[8:9], 0, 1
	s_andn2_b64 s[28:29], s[28:29], exec
	s_or_b64 s[24:25], s[24:25], s[34:35]
                                        ; implicit-def: $sgpr34_sgpr35
	s_branch .LBB261_408
.LBB261_411:
	s_or_b64 exec, exec, s[20:21]
	s_xor_b64 s[20:21], s[22:23], -1
	s_branch .LBB261_413
.LBB261_412:
	s_mov_b64 s[20:21], -1
.LBB261_413:
	s_andn2_b64 s[12:13], s[12:13], exec
	s_and_b64 s[20:21], s[20:21], exec
	s_or_b64 s[12:13], s[12:13], s[20:21]
.LBB261_414:
	s_or_b64 exec, exec, s[4:5]
	v_cndmask_b32_e64 v6, v24, v23, s[12:13]
	v_cndmask_b32_e64 v7, v27, v26, s[12:13]
	v_add_u32_e32 v8, 1, v6
	v_add_u32_e32 v6, -1, v7
	v_min_u32_e32 v6, v8, v6
	v_lshl_add_u32 v6, v6, 3, v35
	ds_read_b64 v[6:7], v6
	v_cndmask_b32_e64 v12, v8, v24, s[12:13]
	v_cndmask_b32_e64 v13, v23, v8, s[12:13]
	v_cmp_lt_u32_e32 vcc, v12, v27
	s_mov_b64 s[20:21], -1
	s_waitcnt lgkmcnt(0)
	v_cndmask_b32_e64 v14, v7, v5, s[12:13]
	v_cndmask_b32_e64 v15, v6, v4, s[12:13]
	;; [unrolled: 1-line block ×4, first 2 shown]
	s_mov_b64 s[4:5], -1
	s_and_saveexec_b64 s[22:23], vcc
	s_cbranch_execz .LBB261_425
; %bb.415:
	v_cmp_lt_u32_e32 vcc, v13, v26
	s_mov_b64 s[24:25], 0
	s_and_saveexec_b64 s[4:5], vcc
	s_cbranch_execz .LBB261_424
; %bb.416:
	s_and_b64 vcc, exec, s[0:1]
	s_cbranch_vccnz .LBB261_422
; %bb.417:
	v_mov_b64_e32 v[8:9], s[38:39]
	v_mad_u64_u32 v[6:7], s[24:25], v15, s36, v[8:9]
	v_mul_lo_u32 v10, v15, s37
	v_mul_lo_u32 v11, v14, s36
	v_add3_u32 v7, v11, v7, v10
	v_mad_u64_u32 v[8:9], s[24:25], v22, s36, v[8:9]
	v_mul_lo_u32 v10, v22, s37
	v_mul_lo_u32 v11, v16, s36
	v_add3_u32 v9, v11, v9, v10
	s_mov_b64 s[24:25], 0
	s_mov_b64 s[34:35], s[36:37]
                                        ; implicit-def: $sgpr26_sgpr27
                                        ; implicit-def: $sgpr28_sgpr29
                                        ; implicit-def: $sgpr40_sgpr41
                                        ; implicit-def: $sgpr42_sgpr43
	s_branch .LBB261_419
.LBB261_418:                            ;   in Loop: Header=BB261_419 Depth=1
	s_or_b64 exec, exec, s[46:47]
	s_and_b64 s[46:47], exec, s[28:29]
	s_or_b64 s[24:25], s[46:47], s[24:25]
	s_andn2_b64 s[42:43], s[42:43], exec
	s_and_b64 s[44:45], s[44:45], exec
	s_or_b64 s[42:43], s[42:43], s[44:45]
	s_andn2_b64 s[26:27], s[26:27], exec
	s_and_b64 s[44:45], s[40:41], exec
	s_or_b64 s[26:27], s[26:27], s[44:45]
	s_andn2_b64 exec, exec, s[24:25]
	s_cbranch_execz .LBB261_421
.LBB261_419:                            ; =>This Inner Loop Header: Depth=1
	global_load_ubyte v10, v[6:7], off
	global_load_ubyte v11, v[8:9], off
	s_andn2_b64 s[40:41], s[40:41], exec
	s_or_b64 s[28:29], s[28:29], exec
	s_waitcnt vmcnt(0)
	v_cmp_le_i16_sdwa s[46:47], sext(v10), sext(v11) src0_sel:BYTE_0 src1_sel:BYTE_0
	v_cmp_lt_i16_sdwa s[44:45], sext(v10), sext(v11) src0_sel:BYTE_0 src1_sel:BYTE_0
	s_and_b64 s[46:47], s[46:47], s[42:43]
	s_or_b64 s[44:45], s[44:45], s[46:47]
	s_and_b64 s[46:47], s[44:45], exec
	v_cmp_eq_u16_sdwa s[48:49], v10, v11 src0_sel:BYTE_0 src1_sel:BYTE_0
	s_or_b64 s[40:41], s[40:41], s[46:47]
	s_and_saveexec_b64 s[46:47], s[48:49]
	s_cbranch_execz .LBB261_418
; %bb.420:                              ;   in Loop: Header=BB261_419 Depth=1
	s_add_u32 s34, s34, -1
	s_addc_u32 s35, s35, -1
	s_cmp_eq_u64 s[34:35], 0
	s_cselect_b64 s[42:43], -1, 0
	s_andn2_b64 s[28:29], s[28:29], exec
	s_and_b64 s[42:43], s[42:43], exec
	v_lshl_add_u64 v[6:7], v[6:7], 0, 1
	v_lshl_add_u64 v[8:9], v[8:9], 0, 1
	s_andn2_b64 s[40:41], s[40:41], exec
	s_or_b64 s[28:29], s[28:29], s[42:43]
                                        ; implicit-def: $sgpr42_sgpr43
	s_branch .LBB261_418
.LBB261_421:
	s_or_b64 exec, exec, s[24:25]
	s_xor_b64 s[24:25], s[26:27], -1
	s_branch .LBB261_423
.LBB261_422:
	s_mov_b64 s[24:25], -1
.LBB261_423:
	s_and_b64 s[24:25], s[24:25], exec
.LBB261_424:
	s_or_b64 exec, exec, s[4:5]
	s_orn2_b64 s[4:5], s[24:25], exec
.LBB261_425:
	s_or_b64 exec, exec, s[22:23]
	v_cndmask_b32_e64 v6, v12, v13, s[4:5]
	v_cndmask_b32_e64 v7, v27, v26, s[4:5]
	v_add_u32_e32 v8, 1, v6
	v_add_u32_e32 v6, -1, v7
	v_min_u32_e32 v6, v8, v6
	v_lshl_add_u32 v6, v6, 3, v35
	ds_read_b64 v[6:7], v6
	v_cndmask_b32_e64 v39, v8, v12, s[4:5]
	v_cndmask_b32_e64 v40, v13, v8, s[4:5]
	v_cmp_lt_u32_e32 vcc, v39, v27
	s_waitcnt lgkmcnt(0)
	v_cndmask_b32_e64 v10, v7, v14, s[4:5]
	v_cndmask_b32_e64 v17, v6, v15, s[4:5]
	;; [unrolled: 1-line block ×4, first 2 shown]
	s_and_saveexec_b64 s[22:23], vcc
	s_cbranch_execz .LBB261_436
; %bb.426:
	v_cmp_lt_u32_e32 vcc, v40, v26
	s_mov_b64 s[24:25], 0
	s_and_saveexec_b64 s[20:21], vcc
	s_cbranch_execz .LBB261_435
; %bb.427:
	s_and_b64 vcc, exec, s[0:1]
	s_cbranch_vccnz .LBB261_433
; %bb.428:
	v_mov_b64_e32 v[8:9], s[38:39]
	v_mad_u64_u32 v[6:7], s[24:25], v17, s36, v[8:9]
	v_mul_lo_u32 v12, v17, s37
	v_mul_lo_u32 v13, v10, s36
	v_add3_u32 v7, v13, v7, v12
	v_mad_u64_u32 v[8:9], s[24:25], v23, s36, v[8:9]
	v_mul_lo_u32 v12, v23, s37
	v_mul_lo_u32 v13, v11, s36
	v_add3_u32 v9, v13, v9, v12
	s_mov_b64 s[24:25], 0
	s_mov_b64 s[34:35], s[36:37]
                                        ; implicit-def: $sgpr26_sgpr27
                                        ; implicit-def: $sgpr28_sgpr29
                                        ; implicit-def: $sgpr40_sgpr41
                                        ; implicit-def: $sgpr42_sgpr43
	s_branch .LBB261_430
.LBB261_429:                            ;   in Loop: Header=BB261_430 Depth=1
	s_or_b64 exec, exec, s[46:47]
	s_and_b64 s[46:47], exec, s[28:29]
	s_or_b64 s[24:25], s[46:47], s[24:25]
	s_andn2_b64 s[42:43], s[42:43], exec
	s_and_b64 s[44:45], s[44:45], exec
	s_or_b64 s[42:43], s[42:43], s[44:45]
	s_andn2_b64 s[26:27], s[26:27], exec
	s_and_b64 s[44:45], s[40:41], exec
	s_or_b64 s[26:27], s[26:27], s[44:45]
	s_andn2_b64 exec, exec, s[24:25]
	s_cbranch_execz .LBB261_432
.LBB261_430:                            ; =>This Inner Loop Header: Depth=1
	global_load_ubyte v12, v[6:7], off
	global_load_ubyte v13, v[8:9], off
	s_andn2_b64 s[40:41], s[40:41], exec
	s_or_b64 s[28:29], s[28:29], exec
	s_waitcnt vmcnt(0)
	v_cmp_le_i16_sdwa s[46:47], sext(v12), sext(v13) src0_sel:BYTE_0 src1_sel:BYTE_0
	v_cmp_lt_i16_sdwa s[44:45], sext(v12), sext(v13) src0_sel:BYTE_0 src1_sel:BYTE_0
	s_and_b64 s[46:47], s[46:47], s[42:43]
	s_or_b64 s[44:45], s[44:45], s[46:47]
	s_and_b64 s[46:47], s[44:45], exec
	v_cmp_eq_u16_sdwa s[48:49], v12, v13 src0_sel:BYTE_0 src1_sel:BYTE_0
	s_or_b64 s[40:41], s[40:41], s[46:47]
	s_and_saveexec_b64 s[46:47], s[48:49]
	s_cbranch_execz .LBB261_429
; %bb.431:                              ;   in Loop: Header=BB261_430 Depth=1
	s_add_u32 s34, s34, -1
	s_addc_u32 s35, s35, -1
	s_cmp_eq_u64 s[34:35], 0
	s_cselect_b64 s[42:43], -1, 0
	s_andn2_b64 s[28:29], s[28:29], exec
	s_and_b64 s[42:43], s[42:43], exec
	v_lshl_add_u64 v[6:7], v[6:7], 0, 1
	v_lshl_add_u64 v[8:9], v[8:9], 0, 1
	s_andn2_b64 s[40:41], s[40:41], exec
	s_or_b64 s[28:29], s[28:29], s[42:43]
                                        ; implicit-def: $sgpr42_sgpr43
	s_branch .LBB261_429
.LBB261_432:
	s_or_b64 exec, exec, s[24:25]
	s_xor_b64 s[24:25], s[26:27], -1
	s_branch .LBB261_434
.LBB261_433:
	s_mov_b64 s[24:25], -1
.LBB261_434:
	s_and_b64 s[24:25], s[24:25], exec
.LBB261_435:
	s_or_b64 exec, exec, s[20:21]
	s_orn2_b64 s[20:21], s[24:25], exec
.LBB261_436:
	s_or_b64 exec, exec, s[22:23]
	v_cndmask_b32_e64 v6, v39, v40, s[20:21]
	v_cndmask_b32_e64 v7, v27, v26, s[20:21]
	v_add_u32_e32 v8, 1, v6
	v_add_u32_e32 v6, -1, v7
	v_min_u32_e32 v6, v8, v6
	v_lshl_add_u32 v6, v6, 3, v35
	ds_read_b64 v[6:7], v6
	v_cndmask_b32_e64 v43, v8, v39, s[20:21]
	v_cndmask_b32_e64 v44, v40, v8, s[20:21]
	v_cmp_lt_u32_e32 vcc, v43, v27
	s_mov_b64 s[24:25], -1
	s_waitcnt lgkmcnt(0)
	v_cndmask_b32_e64 v12, v7, v10, s[20:21]
	v_cndmask_b32_e64 v24, v6, v17, s[20:21]
	;; [unrolled: 1-line block ×4, first 2 shown]
	s_mov_b64 s[22:23], -1
	s_and_saveexec_b64 s[26:27], vcc
	s_cbranch_execz .LBB261_447
; %bb.437:
	v_cmp_lt_u32_e32 vcc, v44, v26
	s_mov_b64 s[28:29], 0
	s_and_saveexec_b64 s[22:23], vcc
	s_cbranch_execz .LBB261_446
; %bb.438:
	s_and_b64 vcc, exec, s[0:1]
	s_cbranch_vccnz .LBB261_444
; %bb.439:
	v_mov_b64_e32 v[8:9], s[38:39]
	v_mad_u64_u32 v[6:7], s[28:29], v24, s36, v[8:9]
	v_mul_lo_u32 v39, v24, s37
	v_mul_lo_u32 v40, v12, s36
	v_add3_u32 v7, v40, v7, v39
	v_mad_u64_u32 v[8:9], s[28:29], v25, s36, v[8:9]
	v_mul_lo_u32 v39, v25, s37
	v_mul_lo_u32 v40, v13, s36
	v_add3_u32 v9, v40, v9, v39
	s_mov_b64 s[28:29], 0
	s_mov_b64 s[42:43], s[36:37]
                                        ; implicit-def: $sgpr34_sgpr35
                                        ; implicit-def: $sgpr40_sgpr41
                                        ; implicit-def: $sgpr44_sgpr45
                                        ; implicit-def: $sgpr46_sgpr47
	s_branch .LBB261_441
.LBB261_440:                            ;   in Loop: Header=BB261_441 Depth=1
	s_or_b64 exec, exec, s[50:51]
	s_and_b64 s[50:51], exec, s[40:41]
	s_or_b64 s[28:29], s[50:51], s[28:29]
	s_andn2_b64 s[46:47], s[46:47], exec
	s_and_b64 s[48:49], s[48:49], exec
	s_or_b64 s[46:47], s[46:47], s[48:49]
	s_andn2_b64 s[34:35], s[34:35], exec
	s_and_b64 s[48:49], s[44:45], exec
	s_or_b64 s[34:35], s[34:35], s[48:49]
	s_andn2_b64 exec, exec, s[28:29]
	s_cbranch_execz .LBB261_443
.LBB261_441:                            ; =>This Inner Loop Header: Depth=1
	global_load_ubyte v39, v[6:7], off
	global_load_ubyte v40, v[8:9], off
	s_andn2_b64 s[44:45], s[44:45], exec
	s_or_b64 s[40:41], s[40:41], exec
	s_waitcnt vmcnt(0)
	v_cmp_le_i16_sdwa s[50:51], sext(v39), sext(v40) src0_sel:BYTE_0 src1_sel:BYTE_0
	v_cmp_lt_i16_sdwa s[48:49], sext(v39), sext(v40) src0_sel:BYTE_0 src1_sel:BYTE_0
	s_and_b64 s[50:51], s[50:51], s[46:47]
	s_or_b64 s[48:49], s[48:49], s[50:51]
	s_and_b64 s[50:51], s[48:49], exec
	v_cmp_eq_u16_sdwa s[52:53], v39, v40 src0_sel:BYTE_0 src1_sel:BYTE_0
	s_or_b64 s[44:45], s[44:45], s[50:51]
	s_and_saveexec_b64 s[50:51], s[52:53]
	s_cbranch_execz .LBB261_440
; %bb.442:                              ;   in Loop: Header=BB261_441 Depth=1
	s_add_u32 s42, s42, -1
	s_addc_u32 s43, s43, -1
	s_cmp_eq_u64 s[42:43], 0
	s_cselect_b64 s[46:47], -1, 0
	s_andn2_b64 s[40:41], s[40:41], exec
	s_and_b64 s[46:47], s[46:47], exec
	v_lshl_add_u64 v[6:7], v[6:7], 0, 1
	v_lshl_add_u64 v[8:9], v[8:9], 0, 1
	s_andn2_b64 s[44:45], s[44:45], exec
	s_or_b64 s[40:41], s[40:41], s[46:47]
                                        ; implicit-def: $sgpr46_sgpr47
	s_branch .LBB261_440
.LBB261_443:
	s_or_b64 exec, exec, s[28:29]
	s_xor_b64 s[28:29], s[34:35], -1
	s_branch .LBB261_445
.LBB261_444:
	s_mov_b64 s[28:29], -1
.LBB261_445:
	s_and_b64 s[28:29], s[28:29], exec
.LBB261_446:
	s_or_b64 exec, exec, s[22:23]
	s_orn2_b64 s[22:23], s[28:29], exec
.LBB261_447:
	s_or_b64 exec, exec, s[26:27]
	v_cndmask_b32_e64 v6, v43, v44, s[22:23]
	v_cndmask_b32_e64 v7, v27, v26, s[22:23]
	v_add_u32_e32 v8, 1, v6
	v_add_u32_e32 v6, -1, v7
	v_min_u32_e32 v6, v8, v6
	v_lshl_add_u32 v6, v6, 3, v35
	ds_read_b64 v[6:7], v6
	v_cndmask_b32_e64 v47, v8, v43, s[22:23]
	v_cndmask_b32_e64 v48, v44, v8, s[22:23]
	v_cmp_lt_u32_e32 vcc, v47, v27
	s_waitcnt lgkmcnt(0)
	v_cndmask_b32_e64 v39, v7, v12, s[22:23]
	v_cndmask_b32_e64 v40, v6, v24, s[22:23]
	;; [unrolled: 1-line block ×4, first 2 shown]
	s_and_saveexec_b64 s[26:27], vcc
	s_cbranch_execz .LBB261_458
; %bb.448:
	v_cmp_lt_u32_e32 vcc, v48, v26
	s_mov_b64 s[28:29], 0
	s_and_saveexec_b64 s[24:25], vcc
	s_cbranch_execz .LBB261_457
; %bb.449:
	s_and_b64 vcc, exec, s[0:1]
	s_cbranch_vccnz .LBB261_455
; %bb.450:
	v_mov_b64_e32 v[8:9], s[38:39]
	v_mad_u64_u32 v[6:7], s[28:29], v40, s36, v[8:9]
	v_mul_lo_u32 v43, v40, s37
	v_mul_lo_u32 v44, v39, s36
	v_add3_u32 v7, v44, v7, v43
	v_mad_u64_u32 v[8:9], s[28:29], v42, s36, v[8:9]
	v_mul_lo_u32 v43, v42, s37
	v_mul_lo_u32 v44, v41, s36
	v_add3_u32 v9, v44, v9, v43
	s_mov_b64 s[28:29], 0
	s_mov_b64 s[42:43], s[36:37]
                                        ; implicit-def: $sgpr34_sgpr35
                                        ; implicit-def: $sgpr40_sgpr41
                                        ; implicit-def: $sgpr44_sgpr45
                                        ; implicit-def: $sgpr46_sgpr47
	s_branch .LBB261_452
.LBB261_451:                            ;   in Loop: Header=BB261_452 Depth=1
	s_or_b64 exec, exec, s[50:51]
	s_and_b64 s[50:51], exec, s[40:41]
	s_or_b64 s[28:29], s[50:51], s[28:29]
	s_andn2_b64 s[46:47], s[46:47], exec
	s_and_b64 s[48:49], s[48:49], exec
	s_or_b64 s[46:47], s[46:47], s[48:49]
	s_andn2_b64 s[34:35], s[34:35], exec
	s_and_b64 s[48:49], s[44:45], exec
	s_or_b64 s[34:35], s[34:35], s[48:49]
	s_andn2_b64 exec, exec, s[28:29]
	s_cbranch_execz .LBB261_454
.LBB261_452:                            ; =>This Inner Loop Header: Depth=1
	global_load_ubyte v43, v[6:7], off
	global_load_ubyte v44, v[8:9], off
	s_andn2_b64 s[44:45], s[44:45], exec
	s_or_b64 s[40:41], s[40:41], exec
	s_waitcnt vmcnt(0)
	v_cmp_le_i16_sdwa s[50:51], sext(v43), sext(v44) src0_sel:BYTE_0 src1_sel:BYTE_0
	v_cmp_lt_i16_sdwa s[48:49], sext(v43), sext(v44) src0_sel:BYTE_0 src1_sel:BYTE_0
	s_and_b64 s[50:51], s[50:51], s[46:47]
	s_or_b64 s[48:49], s[48:49], s[50:51]
	s_and_b64 s[50:51], s[48:49], exec
	v_cmp_eq_u16_sdwa s[52:53], v43, v44 src0_sel:BYTE_0 src1_sel:BYTE_0
	s_or_b64 s[44:45], s[44:45], s[50:51]
	s_and_saveexec_b64 s[50:51], s[52:53]
	s_cbranch_execz .LBB261_451
; %bb.453:                              ;   in Loop: Header=BB261_452 Depth=1
	s_add_u32 s42, s42, -1
	s_addc_u32 s43, s43, -1
	s_cmp_eq_u64 s[42:43], 0
	s_cselect_b64 s[46:47], -1, 0
	s_andn2_b64 s[40:41], s[40:41], exec
	s_and_b64 s[46:47], s[46:47], exec
	v_lshl_add_u64 v[6:7], v[6:7], 0, 1
	v_lshl_add_u64 v[8:9], v[8:9], 0, 1
	s_andn2_b64 s[44:45], s[44:45], exec
	s_or_b64 s[40:41], s[40:41], s[46:47]
                                        ; implicit-def: $sgpr46_sgpr47
	s_branch .LBB261_451
.LBB261_454:
	s_or_b64 exec, exec, s[28:29]
	s_xor_b64 s[28:29], s[34:35], -1
	s_branch .LBB261_456
.LBB261_455:
	s_mov_b64 s[28:29], -1
.LBB261_456:
	s_and_b64 s[28:29], s[28:29], exec
.LBB261_457:
	s_or_b64 exec, exec, s[24:25]
	s_orn2_b64 s[24:25], s[28:29], exec
.LBB261_458:
	s_or_b64 exec, exec, s[26:27]
	v_cndmask_b32_e64 v6, v47, v48, s[24:25]
	v_cndmask_b32_e64 v7, v27, v26, s[24:25]
	v_add_u32_e32 v8, 1, v6
	v_add_u32_e32 v6, -1, v7
	v_min_u32_e32 v6, v8, v6
	v_lshl_add_u32 v6, v6, 3, v35
	ds_read_b64 v[6:7], v6
	v_cndmask_b32_e64 v49, v8, v47, s[24:25]
	v_cndmask_b32_e64 v53, v48, v8, s[24:25]
	v_cmp_lt_u32_e32 vcc, v49, v27
	s_mov_b64 s[26:27], -1
	s_waitcnt lgkmcnt(0)
	v_cndmask_b32_e64 v43, v7, v39, s[24:25]
	v_cndmask_b32_e64 v44, v6, v40, s[24:25]
	;; [unrolled: 1-line block ×4, first 2 shown]
	s_mov_b64 s[28:29], -1
	s_and_saveexec_b64 s[34:35], vcc
	s_cbranch_execz .LBB261_469
; %bb.459:
	v_cmp_lt_u32_e32 vcc, v53, v26
	s_mov_b64 s[40:41], 0
	s_and_saveexec_b64 s[28:29], vcc
	s_cbranch_execz .LBB261_468
; %bb.460:
	s_and_b64 vcc, exec, s[0:1]
	s_cbranch_vccnz .LBB261_466
; %bb.461:
	v_mov_b64_e32 v[8:9], s[38:39]
	v_mad_u64_u32 v[6:7], s[40:41], v44, s36, v[8:9]
	v_mul_lo_u32 v47, v44, s37
	v_mul_lo_u32 v48, v43, s36
	v_add3_u32 v7, v48, v7, v47
	v_mad_u64_u32 v[8:9], s[40:41], v46, s36, v[8:9]
	v_mul_lo_u32 v47, v46, s37
	v_mul_lo_u32 v48, v45, s36
	v_add3_u32 v9, v48, v9, v47
	s_mov_b64 s[40:41], 0
	s_mov_b64 s[46:47], s[36:37]
                                        ; implicit-def: $sgpr42_sgpr43
                                        ; implicit-def: $sgpr44_sgpr45
                                        ; implicit-def: $sgpr48_sgpr49
                                        ; implicit-def: $sgpr50_sgpr51
	s_branch .LBB261_463
.LBB261_462:                            ;   in Loop: Header=BB261_463 Depth=1
	s_or_b64 exec, exec, s[54:55]
	s_and_b64 s[54:55], exec, s[44:45]
	s_or_b64 s[40:41], s[54:55], s[40:41]
	s_andn2_b64 s[50:51], s[50:51], exec
	s_and_b64 s[52:53], s[52:53], exec
	s_or_b64 s[50:51], s[50:51], s[52:53]
	s_andn2_b64 s[42:43], s[42:43], exec
	s_and_b64 s[52:53], s[48:49], exec
	s_or_b64 s[42:43], s[42:43], s[52:53]
	s_andn2_b64 exec, exec, s[40:41]
	s_cbranch_execz .LBB261_465
.LBB261_463:                            ; =>This Inner Loop Header: Depth=1
	global_load_ubyte v47, v[6:7], off
	global_load_ubyte v48, v[8:9], off
	s_andn2_b64 s[48:49], s[48:49], exec
	s_or_b64 s[44:45], s[44:45], exec
	s_waitcnt vmcnt(0)
	v_cmp_le_i16_sdwa s[54:55], sext(v47), sext(v48) src0_sel:BYTE_0 src1_sel:BYTE_0
	v_cmp_lt_i16_sdwa s[52:53], sext(v47), sext(v48) src0_sel:BYTE_0 src1_sel:BYTE_0
	s_and_b64 s[54:55], s[54:55], s[50:51]
	s_or_b64 s[52:53], s[52:53], s[54:55]
	s_and_b64 s[54:55], s[52:53], exec
	v_cmp_eq_u16_sdwa s[56:57], v47, v48 src0_sel:BYTE_0 src1_sel:BYTE_0
	s_or_b64 s[48:49], s[48:49], s[54:55]
	s_and_saveexec_b64 s[54:55], s[56:57]
	s_cbranch_execz .LBB261_462
; %bb.464:                              ;   in Loop: Header=BB261_463 Depth=1
	s_add_u32 s46, s46, -1
	s_addc_u32 s47, s47, -1
	s_cmp_eq_u64 s[46:47], 0
	s_cselect_b64 s[50:51], -1, 0
	s_andn2_b64 s[44:45], s[44:45], exec
	s_and_b64 s[50:51], s[50:51], exec
	v_lshl_add_u64 v[6:7], v[6:7], 0, 1
	v_lshl_add_u64 v[8:9], v[8:9], 0, 1
	s_andn2_b64 s[48:49], s[48:49], exec
	s_or_b64 s[44:45], s[44:45], s[50:51]
                                        ; implicit-def: $sgpr50_sgpr51
	s_branch .LBB261_462
.LBB261_465:
	s_or_b64 exec, exec, s[40:41]
	s_xor_b64 s[40:41], s[42:43], -1
	s_branch .LBB261_467
.LBB261_466:
	s_mov_b64 s[40:41], -1
.LBB261_467:
	s_and_b64 s[40:41], s[40:41], exec
.LBB261_468:
	s_or_b64 exec, exec, s[28:29]
	s_orn2_b64 s[28:29], s[40:41], exec
.LBB261_469:
	s_or_b64 exec, exec, s[34:35]
	v_cndmask_b32_e64 v6, v49, v53, s[28:29]
	v_cndmask_b32_e64 v7, v27, v26, s[28:29]
	v_add_u32_e32 v8, 1, v6
	v_add_u32_e32 v6, -1, v7
	v_min_u32_e32 v6, v8, v6
	v_lshl_add_u32 v6, v6, 3, v35
	ds_read_b64 v[6:7], v6
	v_cndmask_b32_e64 v50, v8, v49, s[28:29]
	v_cndmask_b32_e64 v49, v53, v8, s[28:29]
	v_cmp_lt_u32_e32 vcc, v50, v27
	s_waitcnt lgkmcnt(0)
	v_cndmask_b32_e64 v47, v7, v43, s[28:29]
	v_cndmask_b32_e64 v48, v6, v44, s[28:29]
	;; [unrolled: 1-line block ×4, first 2 shown]
	s_and_saveexec_b64 s[34:35], vcc
	s_cbranch_execz .LBB261_480
; %bb.470:
	v_cmp_lt_u32_e32 vcc, v49, v26
	s_mov_b64 s[40:41], 0
	s_and_saveexec_b64 s[26:27], vcc
	s_cbranch_execz .LBB261_479
; %bb.471:
	s_and_b64 vcc, exec, s[0:1]
	s_cbranch_vccnz .LBB261_477
; %bb.472:
	v_mov_b64_e32 v[8:9], s[38:39]
	v_mad_u64_u32 v[6:7], s[40:41], v48, s36, v[8:9]
	v_mul_lo_u32 v53, v48, s37
	v_mul_lo_u32 v54, v47, s36
	v_add3_u32 v7, v54, v7, v53
	v_mad_u64_u32 v[8:9], s[40:41], v52, s36, v[8:9]
	v_mul_lo_u32 v53, v52, s37
	v_mul_lo_u32 v54, v51, s36
	v_add3_u32 v9, v54, v9, v53
	s_mov_b64 s[40:41], 0
	s_mov_b64 s[46:47], s[36:37]
                                        ; implicit-def: $sgpr42_sgpr43
                                        ; implicit-def: $sgpr44_sgpr45
                                        ; implicit-def: $sgpr48_sgpr49
                                        ; implicit-def: $sgpr50_sgpr51
	s_branch .LBB261_474
.LBB261_473:                            ;   in Loop: Header=BB261_474 Depth=1
	s_or_b64 exec, exec, s[54:55]
	s_and_b64 s[54:55], exec, s[44:45]
	s_or_b64 s[40:41], s[54:55], s[40:41]
	s_andn2_b64 s[50:51], s[50:51], exec
	s_and_b64 s[52:53], s[52:53], exec
	s_or_b64 s[50:51], s[50:51], s[52:53]
	s_andn2_b64 s[42:43], s[42:43], exec
	s_and_b64 s[52:53], s[48:49], exec
	s_or_b64 s[42:43], s[42:43], s[52:53]
	s_andn2_b64 exec, exec, s[40:41]
	s_cbranch_execz .LBB261_476
.LBB261_474:                            ; =>This Inner Loop Header: Depth=1
	global_load_ubyte v53, v[6:7], off
	global_load_ubyte v54, v[8:9], off
	s_andn2_b64 s[48:49], s[48:49], exec
	s_or_b64 s[44:45], s[44:45], exec
	s_waitcnt vmcnt(0)
	v_cmp_le_i16_sdwa s[54:55], sext(v53), sext(v54) src0_sel:BYTE_0 src1_sel:BYTE_0
	v_cmp_lt_i16_sdwa s[52:53], sext(v53), sext(v54) src0_sel:BYTE_0 src1_sel:BYTE_0
	s_and_b64 s[54:55], s[54:55], s[50:51]
	s_or_b64 s[52:53], s[52:53], s[54:55]
	s_and_b64 s[54:55], s[52:53], exec
	v_cmp_eq_u16_sdwa s[56:57], v53, v54 src0_sel:BYTE_0 src1_sel:BYTE_0
	s_or_b64 s[48:49], s[48:49], s[54:55]
	s_and_saveexec_b64 s[54:55], s[56:57]
	s_cbranch_execz .LBB261_473
; %bb.475:                              ;   in Loop: Header=BB261_474 Depth=1
	s_add_u32 s46, s46, -1
	s_addc_u32 s47, s47, -1
	s_cmp_eq_u64 s[46:47], 0
	s_cselect_b64 s[50:51], -1, 0
	s_andn2_b64 s[44:45], s[44:45], exec
	s_and_b64 s[50:51], s[50:51], exec
	v_lshl_add_u64 v[6:7], v[6:7], 0, 1
	v_lshl_add_u64 v[8:9], v[8:9], 0, 1
	s_andn2_b64 s[48:49], s[48:49], exec
	s_or_b64 s[44:45], s[44:45], s[50:51]
                                        ; implicit-def: $sgpr50_sgpr51
	s_branch .LBB261_473
.LBB261_476:
	s_or_b64 exec, exec, s[40:41]
	s_xor_b64 s[40:41], s[42:43], -1
	s_branch .LBB261_478
.LBB261_477:
	s_mov_b64 s[40:41], -1
.LBB261_478:
	s_and_b64 s[40:41], s[40:41], exec
.LBB261_479:
	s_or_b64 exec, exec, s[26:27]
	s_orn2_b64 s[26:27], s[40:41], exec
.LBB261_480:
	s_or_b64 exec, exec, s[34:35]
	v_cndmask_b32_e64 v11, v10, v11, s[20:21]
	v_cndmask_b32_e64 v10, v17, v23, s[20:21]
	;; [unrolled: 1-line block ×8, first 2 shown]
	v_add_u32_e32 v24, 1, v14
	v_add_u32_e32 v14, -1, v15
	v_min_u32_e32 v14, v24, v14
	v_lshl_add_u32 v14, v14, 3, v35
	ds_read_b64 v[22:23], v14
	v_cndmask_b32_e64 v25, v24, v50, s[26:27]
	v_cndmask_b32_e64 v9, v43, v45, s[28:29]
	;; [unrolled: 1-line block ×9, first 2 shown]
	s_waitcnt lgkmcnt(0)
	v_cndmask_b32_e64 v5, v51, v23, s[26:27]
	v_cndmask_b32_e64 v4, v52, v22, s[26:27]
	v_cmp_lt_u32_e32 vcc, v25, v27
	s_and_saveexec_b64 s[4:5], vcc
	s_cbranch_execz .LBB261_490
; %bb.481:
	v_cndmask_b32_e64 v24, v49, v24, s[26:27]
	v_cndmask_b32_e64 v23, v23, v47, s[26:27]
	;; [unrolled: 1-line block ×3, first 2 shown]
	v_cmp_lt_u32_e32 vcc, v24, v26
	s_and_saveexec_b64 s[12:13], vcc
	s_cbranch_execz .LBB261_489
; %bb.482:
	s_and_b64 vcc, exec, s[0:1]
	s_cbranch_vccnz .LBB261_488
; %bb.483:
	v_mov_b64_e32 v[26:27], s[38:39]
	v_mad_u64_u32 v[24:25], s[20:21], v22, s36, v[26:27]
	v_mul_lo_u32 v39, v22, s37
	v_mul_lo_u32 v40, v23, s36
	v_add3_u32 v25, v40, v25, v39
	v_mad_u64_u32 v[26:27], s[20:21], v4, s36, v[26:27]
	v_mul_lo_u32 v39, v4, s37
	v_mul_lo_u32 v40, v5, s36
	v_add3_u32 v27, v40, v27, v39
	s_mov_b64 s[20:21], 0
	s_mov_b64 s[26:27], s[36:37]
                                        ; implicit-def: $sgpr22_sgpr23
                                        ; implicit-def: $sgpr24_sgpr25
                                        ; implicit-def: $sgpr28_sgpr29
                                        ; implicit-def: $sgpr34_sgpr35
	s_branch .LBB261_485
.LBB261_484:                            ;   in Loop: Header=BB261_485 Depth=1
	s_or_b64 exec, exec, s[42:43]
	s_and_b64 s[42:43], exec, s[24:25]
	s_or_b64 s[20:21], s[42:43], s[20:21]
	s_andn2_b64 s[34:35], s[34:35], exec
	s_and_b64 s[40:41], s[40:41], exec
	s_or_b64 s[34:35], s[34:35], s[40:41]
	s_andn2_b64 s[22:23], s[22:23], exec
	s_and_b64 s[40:41], s[28:29], exec
	s_or_b64 s[22:23], s[22:23], s[40:41]
	s_andn2_b64 exec, exec, s[20:21]
	s_cbranch_execz .LBB261_487
.LBB261_485:                            ; =>This Inner Loop Header: Depth=1
	global_load_ubyte v39, v[24:25], off
	global_load_ubyte v40, v[26:27], off
	s_andn2_b64 s[28:29], s[28:29], exec
	s_or_b64 s[24:25], s[24:25], exec
	s_waitcnt vmcnt(0)
	v_cmp_le_i16_sdwa s[42:43], sext(v39), sext(v40) src0_sel:BYTE_0 src1_sel:BYTE_0
	v_cmp_lt_i16_sdwa s[40:41], sext(v39), sext(v40) src0_sel:BYTE_0 src1_sel:BYTE_0
	s_and_b64 s[42:43], s[42:43], s[34:35]
	s_or_b64 s[40:41], s[40:41], s[42:43]
	s_and_b64 s[42:43], s[40:41], exec
	v_cmp_eq_u16_sdwa s[44:45], v39, v40 src0_sel:BYTE_0 src1_sel:BYTE_0
	s_or_b64 s[28:29], s[28:29], s[42:43]
	s_and_saveexec_b64 s[42:43], s[44:45]
	s_cbranch_execz .LBB261_484
; %bb.486:                              ;   in Loop: Header=BB261_485 Depth=1
	s_add_u32 s26, s26, -1
	s_addc_u32 s27, s27, -1
	s_cmp_eq_u64 s[26:27], 0
	s_cselect_b64 s[34:35], -1, 0
	s_andn2_b64 s[24:25], s[24:25], exec
	s_and_b64 s[34:35], s[34:35], exec
	v_lshl_add_u64 v[24:25], v[24:25], 0, 1
	v_lshl_add_u64 v[26:27], v[26:27], 0, 1
	s_andn2_b64 s[28:29], s[28:29], exec
	s_or_b64 s[24:25], s[24:25], s[34:35]
                                        ; implicit-def: $sgpr34_sgpr35
	s_branch .LBB261_484
.LBB261_487:
	s_or_b64 exec, exec, s[20:21]
	v_cndmask_b32_e64 v5, v5, v23, s[22:23]
	v_cndmask_b32_e64 v4, v4, v22, s[22:23]
.LBB261_488:
	v_mov_b64_e32 v[22:23], v[4:5]
.LBB261_489:
	s_or_b64 exec, exec, s[12:13]
	v_mov_b64_e32 v[4:5], v[22:23]
.LBB261_490:
	s_or_b64 exec, exec, s[4:5]
.LBB261_491:
	s_or_b64 exec, exec, s[10:11]
	; wave barrier
	ds_write_b128 v38, v[14:17]
	ds_write_b128 v38, v[10:13] offset:16
	ds_write_b128 v38, v[6:9] offset:32
	;; [unrolled: 1-line block ×3, first 2 shown]
	v_and_b32_e32 v38, 0x380, v37
	v_or_b32_e32 v22, 64, v38
	v_min_u32_e32 v26, v36, v22
	v_add_u32_e32 v22, 64, v26
	v_min_u32_e32 v27, v36, v22
	v_and_b32_e32 v22, 0x78, v37
	v_min_u32_e32 v39, v36, v22
	v_sub_u32_e32 v22, v26, v38
	v_sub_u32_e32 v23, v27, v26
	v_sub_u32_e64 v37, v39, v23 clamp
	v_min_u32_e32 v40, v39, v22
	v_lshl_add_u32 v36, v38, 3, v35
	v_cmp_lt_u32_e32 vcc, v37, v40
	; wave barrier
	s_and_saveexec_b64 s[4:5], vcc
	s_cbranch_execz .LBB261_501
; %bb.492:
	v_lshlrev_b32_e32 v22, 3, v26
	v_lshlrev_b32_e32 v23, 3, v39
	v_add3_u32 v41, v35, v22, v23
	s_mov_b64 s[10:11], 0
	s_branch .LBB261_495
.LBB261_493:                            ;   in Loop: Header=BB261_495 Depth=1
	s_or_b64 exec, exec, s[20:21]
.LBB261_494:                            ;   in Loop: Header=BB261_495 Depth=1
	v_add_u32_e32 v22, 1, v42
	v_cndmask_b32_e64 v40, v40, v42, s[12:13]
	v_cndmask_b32_e64 v37, v22, v37, s[12:13]
	v_cmp_ge_u32_e32 vcc, v37, v40
	s_or_b64 s[10:11], vcc, s[10:11]
	s_andn2_b64 exec, exec, s[10:11]
	s_cbranch_execz .LBB261_500
.LBB261_495:                            ; =>This Loop Header: Depth=1
                                        ;     Child Loop BB261_498 Depth 2
	v_add_u32_e32 v22, v40, v37
	v_lshrrev_b32_e32 v42, 1, v22
	s_and_b64 vcc, exec, s[0:1]
	s_mov_b64 s[12:13], 0
	s_cbranch_vccnz .LBB261_494
; %bb.496:                              ;   in Loop: Header=BB261_495 Depth=1
	v_not_b32_e32 v22, v42
	v_lshl_add_u32 v22, v22, 3, v41
	ds_read_b64 v[22:23], v22
	v_lshl_add_u32 v43, v42, 3, v36
	ds_read_b64 v[44:45], v43
	v_mov_b64_e32 v[24:25], s[38:39]
	s_mov_b64 s[20:21], 0
	s_waitcnt lgkmcnt(1)
	v_mul_lo_u32 v43, v22, s37
	v_mul_lo_u32 v46, v23, s36
	v_mad_u64_u32 v[22:23], s[12:13], v22, s36, v[24:25]
	v_add3_u32 v23, v46, v23, v43
	s_waitcnt lgkmcnt(0)
	v_mul_lo_u32 v43, v44, s37
	v_mul_lo_u32 v45, v45, s36
	v_mad_u64_u32 v[24:25], s[12:13], v44, s36, v[24:25]
	v_add3_u32 v25, v45, v25, v43
	s_mov_b64 s[24:25], s[36:37]
                                        ; implicit-def: $sgpr12_sgpr13
                                        ; implicit-def: $sgpr22_sgpr23
                                        ; implicit-def: $sgpr26_sgpr27
                                        ; implicit-def: $sgpr28_sgpr29
	s_branch .LBB261_498
.LBB261_497:                            ;   in Loop: Header=BB261_498 Depth=2
	s_or_b64 exec, exec, s[40:41]
	s_and_b64 s[40:41], exec, s[22:23]
	s_or_b64 s[20:21], s[40:41], s[20:21]
	s_andn2_b64 s[28:29], s[28:29], exec
	s_and_b64 s[34:35], s[34:35], exec
	s_or_b64 s[28:29], s[28:29], s[34:35]
	s_andn2_b64 s[12:13], s[12:13], exec
	s_and_b64 s[34:35], s[26:27], exec
	s_or_b64 s[12:13], s[12:13], s[34:35]
	s_andn2_b64 exec, exec, s[20:21]
	s_cbranch_execz .LBB261_493
.LBB261_498:                            ;   Parent Loop BB261_495 Depth=1
                                        ; =>  This Inner Loop Header: Depth=2
	global_load_ubyte v43, v[22:23], off
	global_load_ubyte v44, v[24:25], off
	s_andn2_b64 s[26:27], s[26:27], exec
	s_or_b64 s[22:23], s[22:23], exec
	s_waitcnt vmcnt(0)
	v_cmp_le_i16_sdwa s[40:41], sext(v43), sext(v44) src0_sel:BYTE_0 src1_sel:BYTE_0
	v_cmp_lt_i16_sdwa s[34:35], sext(v43), sext(v44) src0_sel:BYTE_0 src1_sel:BYTE_0
	s_and_b64 s[40:41], s[40:41], s[28:29]
	s_or_b64 s[34:35], s[34:35], s[40:41]
	s_and_b64 s[40:41], s[34:35], exec
	v_cmp_eq_u16_sdwa s[42:43], v43, v44 src0_sel:BYTE_0 src1_sel:BYTE_0
	s_or_b64 s[26:27], s[26:27], s[40:41]
	s_and_saveexec_b64 s[40:41], s[42:43]
	s_cbranch_execz .LBB261_497
; %bb.499:                              ;   in Loop: Header=BB261_498 Depth=2
	s_add_u32 s24, s24, -1
	s_addc_u32 s25, s25, -1
	s_cmp_eq_u64 s[24:25], 0
	s_cselect_b64 s[28:29], -1, 0
	s_andn2_b64 s[22:23], s[22:23], exec
	s_and_b64 s[28:29], s[28:29], exec
	v_lshl_add_u64 v[22:23], v[22:23], 0, 1
	v_lshl_add_u64 v[24:25], v[24:25], 0, 1
	s_andn2_b64 s[26:27], s[26:27], exec
	s_or_b64 s[22:23], s[22:23], s[28:29]
                                        ; implicit-def: $sgpr28_sgpr29
	s_branch .LBB261_497
.LBB261_500:
	s_or_b64 exec, exec, s[10:11]
.LBB261_501:
	s_or_b64 exec, exec, s[4:5]
	v_add_u32_e32 v22, v26, v39
	v_add_u32_e32 v23, v37, v38
	v_sub_u32_e32 v24, v22, v37
	v_cmp_le_u32_e32 vcc, v23, v26
	v_cmp_le_u32_e64 s[4:5], v24, v27
	s_or_b64 s[4:5], vcc, s[4:5]
	s_and_saveexec_b64 s[10:11], s[4:5]
	s_cbranch_execz .LBB261_592
; %bb.502:
	v_cmp_ge_u32_e32 vcc, v23, v26
	v_cmp_lt_u32_e64 s[4:5], v23, v26
                                        ; implicit-def: $vgpr2_vgpr3
	s_and_saveexec_b64 s[12:13], s[4:5]
; %bb.503:
	v_lshl_add_u32 v2, v37, 3, v36
	ds_read_b64 v[2:3], v2
; %bb.504:
	s_or_b64 exec, exec, s[12:13]
	v_cmp_ge_u32_e64 s[12:13], v24, v27
	v_cmp_lt_u32_e64 s[4:5], v24, v27
                                        ; implicit-def: $vgpr4_vgpr5
	s_and_saveexec_b64 s[20:21], s[4:5]
; %bb.505:
	v_lshl_add_u32 v4, v24, 3, v35
	ds_read_b64 v[4:5], v4
; %bb.506:
	s_or_b64 exec, exec, s[20:21]
	s_nor_b64 s[20:21], vcc, s[12:13]
	s_and_saveexec_b64 s[4:5], s[20:21]
	s_cbranch_execz .LBB261_515
; %bb.507:
	s_and_b64 vcc, exec, s[0:1]
	s_cbranch_vccnz .LBB261_513
; %bb.508:
	v_mov_b64_e32 v[8:9], s[38:39]
	s_waitcnt lgkmcnt(0)
	v_mad_u64_u32 v[6:7], s[20:21], v4, s36, v[8:9]
	v_mul_lo_u32 v10, v4, s37
	v_mul_lo_u32 v11, v5, s36
	v_add3_u32 v7, v11, v7, v10
	v_mad_u64_u32 v[8:9], s[20:21], v2, s36, v[8:9]
	v_mul_lo_u32 v10, v2, s37
	v_mul_lo_u32 v11, v3, s36
	v_add3_u32 v9, v11, v9, v10
	s_mov_b64 s[20:21], 0
	s_mov_b64 s[26:27], s[36:37]
                                        ; implicit-def: $sgpr22_sgpr23
                                        ; implicit-def: $sgpr24_sgpr25
                                        ; implicit-def: $sgpr28_sgpr29
                                        ; implicit-def: $sgpr34_sgpr35
	s_branch .LBB261_510
.LBB261_509:                            ;   in Loop: Header=BB261_510 Depth=1
	s_or_b64 exec, exec, s[42:43]
	s_and_b64 s[42:43], exec, s[24:25]
	s_or_b64 s[20:21], s[42:43], s[20:21]
	s_andn2_b64 s[34:35], s[34:35], exec
	s_and_b64 s[40:41], s[40:41], exec
	s_or_b64 s[34:35], s[34:35], s[40:41]
	s_andn2_b64 s[22:23], s[22:23], exec
	s_and_b64 s[40:41], s[28:29], exec
	s_or_b64 s[22:23], s[22:23], s[40:41]
	s_andn2_b64 exec, exec, s[20:21]
	s_cbranch_execz .LBB261_512
.LBB261_510:                            ; =>This Inner Loop Header: Depth=1
	global_load_ubyte v10, v[6:7], off
	global_load_ubyte v11, v[8:9], off
	s_andn2_b64 s[28:29], s[28:29], exec
	s_or_b64 s[24:25], s[24:25], exec
	s_waitcnt vmcnt(0)
	v_cmp_le_i16_sdwa s[42:43], sext(v10), sext(v11) src0_sel:BYTE_0 src1_sel:BYTE_0
	v_cmp_lt_i16_sdwa s[40:41], sext(v10), sext(v11) src0_sel:BYTE_0 src1_sel:BYTE_0
	s_and_b64 s[42:43], s[42:43], s[34:35]
	s_or_b64 s[40:41], s[40:41], s[42:43]
	s_and_b64 s[42:43], s[40:41], exec
	v_cmp_eq_u16_sdwa s[44:45], v10, v11 src0_sel:BYTE_0 src1_sel:BYTE_0
	s_or_b64 s[28:29], s[28:29], s[42:43]
	s_and_saveexec_b64 s[42:43], s[44:45]
	s_cbranch_execz .LBB261_509
; %bb.511:                              ;   in Loop: Header=BB261_510 Depth=1
	s_add_u32 s26, s26, -1
	s_addc_u32 s27, s27, -1
	s_cmp_eq_u64 s[26:27], 0
	s_cselect_b64 s[34:35], -1, 0
	s_andn2_b64 s[24:25], s[24:25], exec
	s_and_b64 s[34:35], s[34:35], exec
	v_lshl_add_u64 v[6:7], v[6:7], 0, 1
	v_lshl_add_u64 v[8:9], v[8:9], 0, 1
	s_andn2_b64 s[28:29], s[28:29], exec
	s_or_b64 s[24:25], s[24:25], s[34:35]
                                        ; implicit-def: $sgpr34_sgpr35
	s_branch .LBB261_509
.LBB261_512:
	s_or_b64 exec, exec, s[20:21]
	s_xor_b64 s[20:21], s[22:23], -1
	s_branch .LBB261_514
.LBB261_513:
	s_mov_b64 s[20:21], -1
.LBB261_514:
	s_andn2_b64 s[12:13], s[12:13], exec
	s_and_b64 s[20:21], s[20:21], exec
	s_or_b64 s[12:13], s[12:13], s[20:21]
.LBB261_515:
	s_or_b64 exec, exec, s[4:5]
	v_cndmask_b32_e64 v6, v24, v23, s[12:13]
	v_cndmask_b32_e64 v7, v27, v26, s[12:13]
	v_add_u32_e32 v8, 1, v6
	v_add_u32_e32 v6, -1, v7
	v_min_u32_e32 v6, v8, v6
	v_lshl_add_u32 v6, v6, 3, v35
	ds_read_b64 v[6:7], v6
	v_cndmask_b32_e64 v12, v8, v24, s[12:13]
	v_cndmask_b32_e64 v13, v23, v8, s[12:13]
	v_cmp_lt_u32_e32 vcc, v12, v27
	s_mov_b64 s[20:21], -1
	s_waitcnt lgkmcnt(0)
	v_cndmask_b32_e64 v14, v7, v5, s[12:13]
	v_cndmask_b32_e64 v15, v6, v4, s[12:13]
	;; [unrolled: 1-line block ×4, first 2 shown]
	s_mov_b64 s[4:5], -1
	s_and_saveexec_b64 s[22:23], vcc
	s_cbranch_execz .LBB261_526
; %bb.516:
	v_cmp_lt_u32_e32 vcc, v13, v26
	s_mov_b64 s[24:25], 0
	s_and_saveexec_b64 s[4:5], vcc
	s_cbranch_execz .LBB261_525
; %bb.517:
	s_and_b64 vcc, exec, s[0:1]
	s_cbranch_vccnz .LBB261_523
; %bb.518:
	v_mov_b64_e32 v[8:9], s[38:39]
	v_mad_u64_u32 v[6:7], s[24:25], v15, s36, v[8:9]
	v_mul_lo_u32 v10, v15, s37
	v_mul_lo_u32 v11, v14, s36
	v_add3_u32 v7, v11, v7, v10
	v_mad_u64_u32 v[8:9], s[24:25], v22, s36, v[8:9]
	v_mul_lo_u32 v10, v22, s37
	v_mul_lo_u32 v11, v16, s36
	v_add3_u32 v9, v11, v9, v10
	s_mov_b64 s[24:25], 0
	s_mov_b64 s[34:35], s[36:37]
                                        ; implicit-def: $sgpr26_sgpr27
                                        ; implicit-def: $sgpr28_sgpr29
                                        ; implicit-def: $sgpr40_sgpr41
                                        ; implicit-def: $sgpr42_sgpr43
	s_branch .LBB261_520
.LBB261_519:                            ;   in Loop: Header=BB261_520 Depth=1
	s_or_b64 exec, exec, s[46:47]
	s_and_b64 s[46:47], exec, s[28:29]
	s_or_b64 s[24:25], s[46:47], s[24:25]
	s_andn2_b64 s[42:43], s[42:43], exec
	s_and_b64 s[44:45], s[44:45], exec
	s_or_b64 s[42:43], s[42:43], s[44:45]
	s_andn2_b64 s[26:27], s[26:27], exec
	s_and_b64 s[44:45], s[40:41], exec
	s_or_b64 s[26:27], s[26:27], s[44:45]
	s_andn2_b64 exec, exec, s[24:25]
	s_cbranch_execz .LBB261_522
.LBB261_520:                            ; =>This Inner Loop Header: Depth=1
	global_load_ubyte v10, v[6:7], off
	global_load_ubyte v11, v[8:9], off
	s_andn2_b64 s[40:41], s[40:41], exec
	s_or_b64 s[28:29], s[28:29], exec
	s_waitcnt vmcnt(0)
	v_cmp_le_i16_sdwa s[46:47], sext(v10), sext(v11) src0_sel:BYTE_0 src1_sel:BYTE_0
	v_cmp_lt_i16_sdwa s[44:45], sext(v10), sext(v11) src0_sel:BYTE_0 src1_sel:BYTE_0
	s_and_b64 s[46:47], s[46:47], s[42:43]
	s_or_b64 s[44:45], s[44:45], s[46:47]
	s_and_b64 s[46:47], s[44:45], exec
	v_cmp_eq_u16_sdwa s[48:49], v10, v11 src0_sel:BYTE_0 src1_sel:BYTE_0
	s_or_b64 s[40:41], s[40:41], s[46:47]
	s_and_saveexec_b64 s[46:47], s[48:49]
	s_cbranch_execz .LBB261_519
; %bb.521:                              ;   in Loop: Header=BB261_520 Depth=1
	s_add_u32 s34, s34, -1
	s_addc_u32 s35, s35, -1
	s_cmp_eq_u64 s[34:35], 0
	s_cselect_b64 s[42:43], -1, 0
	s_andn2_b64 s[28:29], s[28:29], exec
	s_and_b64 s[42:43], s[42:43], exec
	v_lshl_add_u64 v[6:7], v[6:7], 0, 1
	v_lshl_add_u64 v[8:9], v[8:9], 0, 1
	s_andn2_b64 s[40:41], s[40:41], exec
	s_or_b64 s[28:29], s[28:29], s[42:43]
                                        ; implicit-def: $sgpr42_sgpr43
	s_branch .LBB261_519
.LBB261_522:
	s_or_b64 exec, exec, s[24:25]
	s_xor_b64 s[24:25], s[26:27], -1
	s_branch .LBB261_524
.LBB261_523:
	s_mov_b64 s[24:25], -1
.LBB261_524:
	s_and_b64 s[24:25], s[24:25], exec
.LBB261_525:
	s_or_b64 exec, exec, s[4:5]
	s_orn2_b64 s[4:5], s[24:25], exec
.LBB261_526:
	s_or_b64 exec, exec, s[22:23]
	v_cndmask_b32_e64 v6, v12, v13, s[4:5]
	v_cndmask_b32_e64 v7, v27, v26, s[4:5]
	v_add_u32_e32 v8, 1, v6
	v_add_u32_e32 v6, -1, v7
	v_min_u32_e32 v6, v8, v6
	v_lshl_add_u32 v6, v6, 3, v35
	ds_read_b64 v[6:7], v6
	v_cndmask_b32_e64 v36, v8, v12, s[4:5]
	v_cndmask_b32_e64 v37, v13, v8, s[4:5]
	v_cmp_lt_u32_e32 vcc, v36, v27
	s_waitcnt lgkmcnt(0)
	v_cndmask_b32_e64 v10, v7, v14, s[4:5]
	v_cndmask_b32_e64 v17, v6, v15, s[4:5]
	v_cndmask_b32_e64 v11, v16, v7, s[4:5]
	v_cndmask_b32_e64 v23, v22, v6, s[4:5]
	s_and_saveexec_b64 s[22:23], vcc
	s_cbranch_execz .LBB261_537
; %bb.527:
	v_cmp_lt_u32_e32 vcc, v37, v26
	s_mov_b64 s[24:25], 0
	s_and_saveexec_b64 s[20:21], vcc
	s_cbranch_execz .LBB261_536
; %bb.528:
	s_and_b64 vcc, exec, s[0:1]
	s_cbranch_vccnz .LBB261_534
; %bb.529:
	v_mov_b64_e32 v[8:9], s[38:39]
	v_mad_u64_u32 v[6:7], s[24:25], v17, s36, v[8:9]
	v_mul_lo_u32 v12, v17, s37
	v_mul_lo_u32 v13, v10, s36
	v_add3_u32 v7, v13, v7, v12
	v_mad_u64_u32 v[8:9], s[24:25], v23, s36, v[8:9]
	v_mul_lo_u32 v12, v23, s37
	v_mul_lo_u32 v13, v11, s36
	v_add3_u32 v9, v13, v9, v12
	s_mov_b64 s[24:25], 0
	s_mov_b64 s[34:35], s[36:37]
                                        ; implicit-def: $sgpr26_sgpr27
                                        ; implicit-def: $sgpr28_sgpr29
                                        ; implicit-def: $sgpr40_sgpr41
                                        ; implicit-def: $sgpr42_sgpr43
	s_branch .LBB261_531
.LBB261_530:                            ;   in Loop: Header=BB261_531 Depth=1
	s_or_b64 exec, exec, s[46:47]
	s_and_b64 s[46:47], exec, s[28:29]
	s_or_b64 s[24:25], s[46:47], s[24:25]
	s_andn2_b64 s[42:43], s[42:43], exec
	s_and_b64 s[44:45], s[44:45], exec
	s_or_b64 s[42:43], s[42:43], s[44:45]
	s_andn2_b64 s[26:27], s[26:27], exec
	s_and_b64 s[44:45], s[40:41], exec
	s_or_b64 s[26:27], s[26:27], s[44:45]
	s_andn2_b64 exec, exec, s[24:25]
	s_cbranch_execz .LBB261_533
.LBB261_531:                            ; =>This Inner Loop Header: Depth=1
	global_load_ubyte v12, v[6:7], off
	global_load_ubyte v13, v[8:9], off
	s_andn2_b64 s[40:41], s[40:41], exec
	s_or_b64 s[28:29], s[28:29], exec
	s_waitcnt vmcnt(0)
	v_cmp_le_i16_sdwa s[46:47], sext(v12), sext(v13) src0_sel:BYTE_0 src1_sel:BYTE_0
	v_cmp_lt_i16_sdwa s[44:45], sext(v12), sext(v13) src0_sel:BYTE_0 src1_sel:BYTE_0
	s_and_b64 s[46:47], s[46:47], s[42:43]
	s_or_b64 s[44:45], s[44:45], s[46:47]
	s_and_b64 s[46:47], s[44:45], exec
	v_cmp_eq_u16_sdwa s[48:49], v12, v13 src0_sel:BYTE_0 src1_sel:BYTE_0
	s_or_b64 s[40:41], s[40:41], s[46:47]
	s_and_saveexec_b64 s[46:47], s[48:49]
	s_cbranch_execz .LBB261_530
; %bb.532:                              ;   in Loop: Header=BB261_531 Depth=1
	s_add_u32 s34, s34, -1
	s_addc_u32 s35, s35, -1
	s_cmp_eq_u64 s[34:35], 0
	s_cselect_b64 s[42:43], -1, 0
	s_andn2_b64 s[28:29], s[28:29], exec
	s_and_b64 s[42:43], s[42:43], exec
	v_lshl_add_u64 v[6:7], v[6:7], 0, 1
	v_lshl_add_u64 v[8:9], v[8:9], 0, 1
	s_andn2_b64 s[40:41], s[40:41], exec
	s_or_b64 s[28:29], s[28:29], s[42:43]
                                        ; implicit-def: $sgpr42_sgpr43
	s_branch .LBB261_530
.LBB261_533:
	s_or_b64 exec, exec, s[24:25]
	s_xor_b64 s[24:25], s[26:27], -1
	s_branch .LBB261_535
.LBB261_534:
	s_mov_b64 s[24:25], -1
.LBB261_535:
	s_and_b64 s[24:25], s[24:25], exec
.LBB261_536:
	s_or_b64 exec, exec, s[20:21]
	s_orn2_b64 s[20:21], s[24:25], exec
.LBB261_537:
	s_or_b64 exec, exec, s[22:23]
	v_cndmask_b32_e64 v6, v36, v37, s[20:21]
	v_cndmask_b32_e64 v7, v27, v26, s[20:21]
	v_add_u32_e32 v8, 1, v6
	v_add_u32_e32 v6, -1, v7
	v_min_u32_e32 v6, v8, v6
	v_lshl_add_u32 v6, v6, 3, v35
	ds_read_b64 v[6:7], v6
	v_cndmask_b32_e64 v40, v8, v36, s[20:21]
	v_cndmask_b32_e64 v41, v37, v8, s[20:21]
	v_cmp_lt_u32_e32 vcc, v40, v27
	s_mov_b64 s[24:25], -1
	s_waitcnt lgkmcnt(0)
	v_cndmask_b32_e64 v12, v7, v10, s[20:21]
	v_cndmask_b32_e64 v24, v6, v17, s[20:21]
	;; [unrolled: 1-line block ×4, first 2 shown]
	s_mov_b64 s[22:23], -1
	s_and_saveexec_b64 s[26:27], vcc
	s_cbranch_execz .LBB261_548
; %bb.538:
	v_cmp_lt_u32_e32 vcc, v41, v26
	s_mov_b64 s[28:29], 0
	s_and_saveexec_b64 s[22:23], vcc
	s_cbranch_execz .LBB261_547
; %bb.539:
	s_and_b64 vcc, exec, s[0:1]
	s_cbranch_vccnz .LBB261_545
; %bb.540:
	v_mov_b64_e32 v[8:9], s[38:39]
	v_mad_u64_u32 v[6:7], s[28:29], v24, s36, v[8:9]
	v_mul_lo_u32 v36, v24, s37
	v_mul_lo_u32 v37, v12, s36
	v_add3_u32 v7, v37, v7, v36
	v_mad_u64_u32 v[8:9], s[28:29], v25, s36, v[8:9]
	v_mul_lo_u32 v36, v25, s37
	v_mul_lo_u32 v37, v13, s36
	v_add3_u32 v9, v37, v9, v36
	s_mov_b64 s[28:29], 0
	s_mov_b64 s[42:43], s[36:37]
                                        ; implicit-def: $sgpr34_sgpr35
                                        ; implicit-def: $sgpr40_sgpr41
                                        ; implicit-def: $sgpr44_sgpr45
                                        ; implicit-def: $sgpr46_sgpr47
	s_branch .LBB261_542
.LBB261_541:                            ;   in Loop: Header=BB261_542 Depth=1
	s_or_b64 exec, exec, s[50:51]
	s_and_b64 s[50:51], exec, s[40:41]
	s_or_b64 s[28:29], s[50:51], s[28:29]
	s_andn2_b64 s[46:47], s[46:47], exec
	s_and_b64 s[48:49], s[48:49], exec
	s_or_b64 s[46:47], s[46:47], s[48:49]
	s_andn2_b64 s[34:35], s[34:35], exec
	s_and_b64 s[48:49], s[44:45], exec
	s_or_b64 s[34:35], s[34:35], s[48:49]
	s_andn2_b64 exec, exec, s[28:29]
	s_cbranch_execz .LBB261_544
.LBB261_542:                            ; =>This Inner Loop Header: Depth=1
	global_load_ubyte v36, v[6:7], off
	global_load_ubyte v37, v[8:9], off
	s_andn2_b64 s[44:45], s[44:45], exec
	s_or_b64 s[40:41], s[40:41], exec
	s_waitcnt vmcnt(0)
	v_cmp_le_i16_sdwa s[50:51], sext(v36), sext(v37) src0_sel:BYTE_0 src1_sel:BYTE_0
	v_cmp_lt_i16_sdwa s[48:49], sext(v36), sext(v37) src0_sel:BYTE_0 src1_sel:BYTE_0
	s_and_b64 s[50:51], s[50:51], s[46:47]
	s_or_b64 s[48:49], s[48:49], s[50:51]
	s_and_b64 s[50:51], s[48:49], exec
	v_cmp_eq_u16_sdwa s[52:53], v36, v37 src0_sel:BYTE_0 src1_sel:BYTE_0
	s_or_b64 s[44:45], s[44:45], s[50:51]
	s_and_saveexec_b64 s[50:51], s[52:53]
	s_cbranch_execz .LBB261_541
; %bb.543:                              ;   in Loop: Header=BB261_542 Depth=1
	s_add_u32 s42, s42, -1
	s_addc_u32 s43, s43, -1
	s_cmp_eq_u64 s[42:43], 0
	s_cselect_b64 s[46:47], -1, 0
	s_andn2_b64 s[40:41], s[40:41], exec
	s_and_b64 s[46:47], s[46:47], exec
	v_lshl_add_u64 v[6:7], v[6:7], 0, 1
	v_lshl_add_u64 v[8:9], v[8:9], 0, 1
	s_andn2_b64 s[44:45], s[44:45], exec
	s_or_b64 s[40:41], s[40:41], s[46:47]
                                        ; implicit-def: $sgpr46_sgpr47
	s_branch .LBB261_541
.LBB261_544:
	s_or_b64 exec, exec, s[28:29]
	s_xor_b64 s[28:29], s[34:35], -1
	s_branch .LBB261_546
.LBB261_545:
	s_mov_b64 s[28:29], -1
.LBB261_546:
	s_and_b64 s[28:29], s[28:29], exec
.LBB261_547:
	s_or_b64 exec, exec, s[22:23]
	s_orn2_b64 s[22:23], s[28:29], exec
.LBB261_548:
	s_or_b64 exec, exec, s[26:27]
	v_cndmask_b32_e64 v6, v40, v41, s[22:23]
	v_cndmask_b32_e64 v7, v27, v26, s[22:23]
	v_add_u32_e32 v8, 1, v6
	v_add_u32_e32 v6, -1, v7
	v_min_u32_e32 v6, v8, v6
	v_lshl_add_u32 v6, v6, 3, v35
	ds_read_b64 v[6:7], v6
	v_cndmask_b32_e64 v44, v8, v40, s[22:23]
	v_cndmask_b32_e64 v45, v41, v8, s[22:23]
	v_cmp_lt_u32_e32 vcc, v44, v27
	s_waitcnt lgkmcnt(0)
	v_cndmask_b32_e64 v36, v7, v12, s[22:23]
	v_cndmask_b32_e64 v37, v6, v24, s[22:23]
	;; [unrolled: 1-line block ×4, first 2 shown]
	s_and_saveexec_b64 s[26:27], vcc
	s_cbranch_execz .LBB261_559
; %bb.549:
	v_cmp_lt_u32_e32 vcc, v45, v26
	s_mov_b64 s[28:29], 0
	s_and_saveexec_b64 s[24:25], vcc
	s_cbranch_execz .LBB261_558
; %bb.550:
	s_and_b64 vcc, exec, s[0:1]
	s_cbranch_vccnz .LBB261_556
; %bb.551:
	v_mov_b64_e32 v[8:9], s[38:39]
	v_mad_u64_u32 v[6:7], s[28:29], v37, s36, v[8:9]
	v_mul_lo_u32 v40, v37, s37
	v_mul_lo_u32 v41, v36, s36
	v_add3_u32 v7, v41, v7, v40
	v_mad_u64_u32 v[8:9], s[28:29], v39, s36, v[8:9]
	v_mul_lo_u32 v40, v39, s37
	v_mul_lo_u32 v41, v38, s36
	v_add3_u32 v9, v41, v9, v40
	s_mov_b64 s[28:29], 0
	s_mov_b64 s[42:43], s[36:37]
                                        ; implicit-def: $sgpr34_sgpr35
                                        ; implicit-def: $sgpr40_sgpr41
                                        ; implicit-def: $sgpr44_sgpr45
                                        ; implicit-def: $sgpr46_sgpr47
	s_branch .LBB261_553
.LBB261_552:                            ;   in Loop: Header=BB261_553 Depth=1
	s_or_b64 exec, exec, s[50:51]
	s_and_b64 s[50:51], exec, s[40:41]
	s_or_b64 s[28:29], s[50:51], s[28:29]
	s_andn2_b64 s[46:47], s[46:47], exec
	s_and_b64 s[48:49], s[48:49], exec
	s_or_b64 s[46:47], s[46:47], s[48:49]
	s_andn2_b64 s[34:35], s[34:35], exec
	s_and_b64 s[48:49], s[44:45], exec
	s_or_b64 s[34:35], s[34:35], s[48:49]
	s_andn2_b64 exec, exec, s[28:29]
	s_cbranch_execz .LBB261_555
.LBB261_553:                            ; =>This Inner Loop Header: Depth=1
	global_load_ubyte v40, v[6:7], off
	global_load_ubyte v41, v[8:9], off
	s_andn2_b64 s[44:45], s[44:45], exec
	s_or_b64 s[40:41], s[40:41], exec
	s_waitcnt vmcnt(0)
	v_cmp_le_i16_sdwa s[50:51], sext(v40), sext(v41) src0_sel:BYTE_0 src1_sel:BYTE_0
	v_cmp_lt_i16_sdwa s[48:49], sext(v40), sext(v41) src0_sel:BYTE_0 src1_sel:BYTE_0
	s_and_b64 s[50:51], s[50:51], s[46:47]
	s_or_b64 s[48:49], s[48:49], s[50:51]
	s_and_b64 s[50:51], s[48:49], exec
	v_cmp_eq_u16_sdwa s[52:53], v40, v41 src0_sel:BYTE_0 src1_sel:BYTE_0
	s_or_b64 s[44:45], s[44:45], s[50:51]
	s_and_saveexec_b64 s[50:51], s[52:53]
	s_cbranch_execz .LBB261_552
; %bb.554:                              ;   in Loop: Header=BB261_553 Depth=1
	s_add_u32 s42, s42, -1
	s_addc_u32 s43, s43, -1
	s_cmp_eq_u64 s[42:43], 0
	s_cselect_b64 s[46:47], -1, 0
	s_andn2_b64 s[40:41], s[40:41], exec
	s_and_b64 s[46:47], s[46:47], exec
	v_lshl_add_u64 v[6:7], v[6:7], 0, 1
	v_lshl_add_u64 v[8:9], v[8:9], 0, 1
	s_andn2_b64 s[44:45], s[44:45], exec
	s_or_b64 s[40:41], s[40:41], s[46:47]
                                        ; implicit-def: $sgpr46_sgpr47
	s_branch .LBB261_552
.LBB261_555:
	s_or_b64 exec, exec, s[28:29]
	s_xor_b64 s[28:29], s[34:35], -1
	s_branch .LBB261_557
.LBB261_556:
	s_mov_b64 s[28:29], -1
.LBB261_557:
	s_and_b64 s[28:29], s[28:29], exec
.LBB261_558:
	s_or_b64 exec, exec, s[24:25]
	s_orn2_b64 s[24:25], s[28:29], exec
.LBB261_559:
	s_or_b64 exec, exec, s[26:27]
	v_cndmask_b32_e64 v6, v44, v45, s[24:25]
	v_cndmask_b32_e64 v7, v27, v26, s[24:25]
	v_add_u32_e32 v8, 1, v6
	v_add_u32_e32 v6, -1, v7
	v_min_u32_e32 v6, v8, v6
	v_lshl_add_u32 v6, v6, 3, v35
	ds_read_b64 v[6:7], v6
	v_cndmask_b32_e64 v46, v8, v44, s[24:25]
	v_cndmask_b32_e64 v50, v45, v8, s[24:25]
	v_cmp_lt_u32_e32 vcc, v46, v27
	s_mov_b64 s[26:27], -1
	s_waitcnt lgkmcnt(0)
	v_cndmask_b32_e64 v40, v7, v36, s[24:25]
	v_cndmask_b32_e64 v41, v6, v37, s[24:25]
	;; [unrolled: 1-line block ×4, first 2 shown]
	s_mov_b64 s[28:29], -1
	s_and_saveexec_b64 s[34:35], vcc
	s_cbranch_execz .LBB261_570
; %bb.560:
	v_cmp_lt_u32_e32 vcc, v50, v26
	s_mov_b64 s[40:41], 0
	s_and_saveexec_b64 s[28:29], vcc
	s_cbranch_execz .LBB261_569
; %bb.561:
	s_and_b64 vcc, exec, s[0:1]
	s_cbranch_vccnz .LBB261_567
; %bb.562:
	v_mov_b64_e32 v[8:9], s[38:39]
	v_mad_u64_u32 v[6:7], s[40:41], v41, s36, v[8:9]
	v_mul_lo_u32 v44, v41, s37
	v_mul_lo_u32 v45, v40, s36
	v_add3_u32 v7, v45, v7, v44
	v_mad_u64_u32 v[8:9], s[40:41], v43, s36, v[8:9]
	v_mul_lo_u32 v44, v43, s37
	v_mul_lo_u32 v45, v42, s36
	v_add3_u32 v9, v45, v9, v44
	s_mov_b64 s[40:41], 0
	s_mov_b64 s[46:47], s[36:37]
                                        ; implicit-def: $sgpr42_sgpr43
                                        ; implicit-def: $sgpr44_sgpr45
                                        ; implicit-def: $sgpr48_sgpr49
                                        ; implicit-def: $sgpr50_sgpr51
	s_branch .LBB261_564
.LBB261_563:                            ;   in Loop: Header=BB261_564 Depth=1
	s_or_b64 exec, exec, s[54:55]
	s_and_b64 s[54:55], exec, s[44:45]
	s_or_b64 s[40:41], s[54:55], s[40:41]
	s_andn2_b64 s[50:51], s[50:51], exec
	s_and_b64 s[52:53], s[52:53], exec
	s_or_b64 s[50:51], s[50:51], s[52:53]
	s_andn2_b64 s[42:43], s[42:43], exec
	s_and_b64 s[52:53], s[48:49], exec
	s_or_b64 s[42:43], s[42:43], s[52:53]
	s_andn2_b64 exec, exec, s[40:41]
	s_cbranch_execz .LBB261_566
.LBB261_564:                            ; =>This Inner Loop Header: Depth=1
	global_load_ubyte v44, v[6:7], off
	global_load_ubyte v45, v[8:9], off
	s_andn2_b64 s[48:49], s[48:49], exec
	s_or_b64 s[44:45], s[44:45], exec
	s_waitcnt vmcnt(0)
	v_cmp_le_i16_sdwa s[54:55], sext(v44), sext(v45) src0_sel:BYTE_0 src1_sel:BYTE_0
	v_cmp_lt_i16_sdwa s[52:53], sext(v44), sext(v45) src0_sel:BYTE_0 src1_sel:BYTE_0
	s_and_b64 s[54:55], s[54:55], s[50:51]
	s_or_b64 s[52:53], s[52:53], s[54:55]
	s_and_b64 s[54:55], s[52:53], exec
	v_cmp_eq_u16_sdwa s[56:57], v44, v45 src0_sel:BYTE_0 src1_sel:BYTE_0
	s_or_b64 s[48:49], s[48:49], s[54:55]
	s_and_saveexec_b64 s[54:55], s[56:57]
	s_cbranch_execz .LBB261_563
; %bb.565:                              ;   in Loop: Header=BB261_564 Depth=1
	s_add_u32 s46, s46, -1
	s_addc_u32 s47, s47, -1
	s_cmp_eq_u64 s[46:47], 0
	s_cselect_b64 s[50:51], -1, 0
	s_andn2_b64 s[44:45], s[44:45], exec
	s_and_b64 s[50:51], s[50:51], exec
	v_lshl_add_u64 v[6:7], v[6:7], 0, 1
	v_lshl_add_u64 v[8:9], v[8:9], 0, 1
	s_andn2_b64 s[48:49], s[48:49], exec
	s_or_b64 s[44:45], s[44:45], s[50:51]
                                        ; implicit-def: $sgpr50_sgpr51
	s_branch .LBB261_563
.LBB261_566:
	s_or_b64 exec, exec, s[40:41]
	s_xor_b64 s[40:41], s[42:43], -1
	s_branch .LBB261_568
.LBB261_567:
	s_mov_b64 s[40:41], -1
.LBB261_568:
	s_and_b64 s[40:41], s[40:41], exec
.LBB261_569:
	s_or_b64 exec, exec, s[28:29]
	s_orn2_b64 s[28:29], s[40:41], exec
.LBB261_570:
	s_or_b64 exec, exec, s[34:35]
	v_cndmask_b32_e64 v6, v46, v50, s[28:29]
	v_cndmask_b32_e64 v7, v27, v26, s[28:29]
	v_add_u32_e32 v8, 1, v6
	v_add_u32_e32 v6, -1, v7
	v_min_u32_e32 v6, v8, v6
	v_lshl_add_u32 v6, v6, 3, v35
	ds_read_b64 v[6:7], v6
	v_cndmask_b32_e64 v47, v8, v46, s[28:29]
	v_cndmask_b32_e64 v46, v50, v8, s[28:29]
	v_cmp_lt_u32_e32 vcc, v47, v27
	s_waitcnt lgkmcnt(0)
	v_cndmask_b32_e64 v44, v7, v40, s[28:29]
	v_cndmask_b32_e64 v45, v6, v41, s[28:29]
	;; [unrolled: 1-line block ×4, first 2 shown]
	s_and_saveexec_b64 s[34:35], vcc
	s_cbranch_execz .LBB261_581
; %bb.571:
	v_cmp_lt_u32_e32 vcc, v46, v26
	s_mov_b64 s[40:41], 0
	s_and_saveexec_b64 s[26:27], vcc
	s_cbranch_execz .LBB261_580
; %bb.572:
	s_and_b64 vcc, exec, s[0:1]
	s_cbranch_vccnz .LBB261_578
; %bb.573:
	v_mov_b64_e32 v[8:9], s[38:39]
	v_mad_u64_u32 v[6:7], s[40:41], v45, s36, v[8:9]
	v_mul_lo_u32 v50, v45, s37
	v_mul_lo_u32 v51, v44, s36
	v_add3_u32 v7, v51, v7, v50
	v_mad_u64_u32 v[8:9], s[40:41], v49, s36, v[8:9]
	v_mul_lo_u32 v50, v49, s37
	v_mul_lo_u32 v51, v48, s36
	v_add3_u32 v9, v51, v9, v50
	s_mov_b64 s[40:41], 0
	s_mov_b64 s[46:47], s[36:37]
                                        ; implicit-def: $sgpr42_sgpr43
                                        ; implicit-def: $sgpr44_sgpr45
                                        ; implicit-def: $sgpr48_sgpr49
                                        ; implicit-def: $sgpr50_sgpr51
	s_branch .LBB261_575
.LBB261_574:                            ;   in Loop: Header=BB261_575 Depth=1
	s_or_b64 exec, exec, s[54:55]
	s_and_b64 s[54:55], exec, s[44:45]
	s_or_b64 s[40:41], s[54:55], s[40:41]
	s_andn2_b64 s[50:51], s[50:51], exec
	s_and_b64 s[52:53], s[52:53], exec
	s_or_b64 s[50:51], s[50:51], s[52:53]
	s_andn2_b64 s[42:43], s[42:43], exec
	s_and_b64 s[52:53], s[48:49], exec
	s_or_b64 s[42:43], s[42:43], s[52:53]
	s_andn2_b64 exec, exec, s[40:41]
	s_cbranch_execz .LBB261_577
.LBB261_575:                            ; =>This Inner Loop Header: Depth=1
	global_load_ubyte v50, v[6:7], off
	global_load_ubyte v51, v[8:9], off
	s_andn2_b64 s[48:49], s[48:49], exec
	s_or_b64 s[44:45], s[44:45], exec
	s_waitcnt vmcnt(0)
	v_cmp_le_i16_sdwa s[54:55], sext(v50), sext(v51) src0_sel:BYTE_0 src1_sel:BYTE_0
	v_cmp_lt_i16_sdwa s[52:53], sext(v50), sext(v51) src0_sel:BYTE_0 src1_sel:BYTE_0
	s_and_b64 s[54:55], s[54:55], s[50:51]
	s_or_b64 s[52:53], s[52:53], s[54:55]
	s_and_b64 s[54:55], s[52:53], exec
	v_cmp_eq_u16_sdwa s[56:57], v50, v51 src0_sel:BYTE_0 src1_sel:BYTE_0
	s_or_b64 s[48:49], s[48:49], s[54:55]
	s_and_saveexec_b64 s[54:55], s[56:57]
	s_cbranch_execz .LBB261_574
; %bb.576:                              ;   in Loop: Header=BB261_575 Depth=1
	s_add_u32 s46, s46, -1
	s_addc_u32 s47, s47, -1
	s_cmp_eq_u64 s[46:47], 0
	s_cselect_b64 s[50:51], -1, 0
	s_andn2_b64 s[44:45], s[44:45], exec
	s_and_b64 s[50:51], s[50:51], exec
	v_lshl_add_u64 v[6:7], v[6:7], 0, 1
	v_lshl_add_u64 v[8:9], v[8:9], 0, 1
	s_andn2_b64 s[48:49], s[48:49], exec
	s_or_b64 s[44:45], s[44:45], s[50:51]
                                        ; implicit-def: $sgpr50_sgpr51
	s_branch .LBB261_574
.LBB261_577:
	s_or_b64 exec, exec, s[40:41]
	s_xor_b64 s[40:41], s[42:43], -1
	s_branch .LBB261_579
.LBB261_578:
	s_mov_b64 s[40:41], -1
.LBB261_579:
	s_and_b64 s[40:41], s[40:41], exec
.LBB261_580:
	s_or_b64 exec, exec, s[26:27]
	s_orn2_b64 s[26:27], s[40:41], exec
.LBB261_581:
	s_or_b64 exec, exec, s[34:35]
	v_cndmask_b32_e64 v11, v10, v11, s[20:21]
	v_cndmask_b32_e64 v10, v17, v23, s[20:21]
	;; [unrolled: 1-line block ×8, first 2 shown]
	v_add_u32_e32 v24, 1, v14
	v_add_u32_e32 v14, -1, v15
	v_min_u32_e32 v14, v24, v14
	v_lshl_add_u32 v14, v14, 3, v35
	ds_read_b64 v[22:23], v14
	v_cndmask_b32_e64 v25, v24, v47, s[26:27]
	v_cndmask_b32_e64 v9, v40, v42, s[28:29]
	;; [unrolled: 1-line block ×9, first 2 shown]
	s_waitcnt lgkmcnt(0)
	v_cndmask_b32_e64 v5, v48, v23, s[26:27]
	v_cndmask_b32_e64 v4, v49, v22, s[26:27]
	v_cmp_lt_u32_e32 vcc, v25, v27
	s_and_saveexec_b64 s[4:5], vcc
	s_cbranch_execz .LBB261_591
; %bb.582:
	v_cndmask_b32_e64 v24, v46, v24, s[26:27]
	v_cndmask_b32_e64 v23, v23, v44, s[26:27]
	;; [unrolled: 1-line block ×3, first 2 shown]
	v_cmp_lt_u32_e32 vcc, v24, v26
	s_and_saveexec_b64 s[12:13], vcc
	s_cbranch_execz .LBB261_590
; %bb.583:
	s_and_b64 vcc, exec, s[0:1]
	s_cbranch_vccnz .LBB261_589
; %bb.584:
	v_mov_b64_e32 v[26:27], s[38:39]
	v_mad_u64_u32 v[24:25], s[20:21], v22, s36, v[26:27]
	v_mul_lo_u32 v35, v22, s37
	v_mul_lo_u32 v36, v23, s36
	v_add3_u32 v25, v36, v25, v35
	v_mad_u64_u32 v[26:27], s[20:21], v4, s36, v[26:27]
	v_mul_lo_u32 v35, v4, s37
	v_mul_lo_u32 v36, v5, s36
	v_add3_u32 v27, v36, v27, v35
	s_mov_b64 s[20:21], 0
	s_mov_b64 s[26:27], s[36:37]
                                        ; implicit-def: $sgpr22_sgpr23
                                        ; implicit-def: $sgpr24_sgpr25
                                        ; implicit-def: $sgpr28_sgpr29
                                        ; implicit-def: $sgpr34_sgpr35
	s_branch .LBB261_586
.LBB261_585:                            ;   in Loop: Header=BB261_586 Depth=1
	s_or_b64 exec, exec, s[42:43]
	s_and_b64 s[42:43], exec, s[24:25]
	s_or_b64 s[20:21], s[42:43], s[20:21]
	s_andn2_b64 s[34:35], s[34:35], exec
	s_and_b64 s[40:41], s[40:41], exec
	s_or_b64 s[34:35], s[34:35], s[40:41]
	s_andn2_b64 s[22:23], s[22:23], exec
	s_and_b64 s[40:41], s[28:29], exec
	s_or_b64 s[22:23], s[22:23], s[40:41]
	s_andn2_b64 exec, exec, s[20:21]
	s_cbranch_execz .LBB261_588
.LBB261_586:                            ; =>This Inner Loop Header: Depth=1
	global_load_ubyte v35, v[24:25], off
	global_load_ubyte v36, v[26:27], off
	s_andn2_b64 s[28:29], s[28:29], exec
	s_or_b64 s[24:25], s[24:25], exec
	s_waitcnt vmcnt(0)
	v_cmp_le_i16_sdwa s[42:43], sext(v35), sext(v36) src0_sel:BYTE_0 src1_sel:BYTE_0
	v_cmp_lt_i16_sdwa s[40:41], sext(v35), sext(v36) src0_sel:BYTE_0 src1_sel:BYTE_0
	s_and_b64 s[42:43], s[42:43], s[34:35]
	s_or_b64 s[40:41], s[40:41], s[42:43]
	s_and_b64 s[42:43], s[40:41], exec
	v_cmp_eq_u16_sdwa s[44:45], v35, v36 src0_sel:BYTE_0 src1_sel:BYTE_0
	s_or_b64 s[28:29], s[28:29], s[42:43]
	s_and_saveexec_b64 s[42:43], s[44:45]
	s_cbranch_execz .LBB261_585
; %bb.587:                              ;   in Loop: Header=BB261_586 Depth=1
	s_add_u32 s26, s26, -1
	s_addc_u32 s27, s27, -1
	s_cmp_eq_u64 s[26:27], 0
	s_cselect_b64 s[34:35], -1, 0
	s_andn2_b64 s[24:25], s[24:25], exec
	s_and_b64 s[34:35], s[34:35], exec
	v_lshl_add_u64 v[24:25], v[24:25], 0, 1
	v_lshl_add_u64 v[26:27], v[26:27], 0, 1
	s_andn2_b64 s[28:29], s[28:29], exec
	s_or_b64 s[24:25], s[24:25], s[34:35]
                                        ; implicit-def: $sgpr34_sgpr35
	s_branch .LBB261_585
.LBB261_588:
	s_or_b64 exec, exec, s[20:21]
	v_cndmask_b32_e64 v5, v5, v23, s[22:23]
	v_cndmask_b32_e64 v4, v4, v22, s[22:23]
.LBB261_589:
	v_mov_b64_e32 v[22:23], v[4:5]
.LBB261_590:
	s_or_b64 exec, exec, s[12:13]
	v_mov_b64_e32 v[4:5], v[22:23]
.LBB261_591:
	s_or_b64 exec, exec, s[4:5]
.LBB261_592:
	s_or_b64 exec, exec, s[10:11]
	v_lshlrev_b32_e32 v26, 3, v20
	s_movk_i32 s3, 0x80
	; wave barrier
	s_waitcnt lgkmcnt(0)
	s_barrier
.LBB261_593:                            ; =>This Loop Header: Depth=1
                                        ;     Child Loop BB261_597 Depth 2
                                        ;       Child Loop BB261_600 Depth 3
                                        ;     Child Loop BB261_612 Depth 2
                                        ;     Child Loop BB261_622 Depth 2
                                        ;     Child Loop BB261_633 Depth 2
                                        ;     Child Loop BB261_644 Depth 2
                                        ;     Child Loop BB261_655 Depth 2
                                        ;     Child Loop BB261_666 Depth 2
                                        ;     Child Loop BB261_677 Depth 2
                                        ;     Child Loop BB261_688 Depth 2
	s_lshl_b32 s9, s3, 1
	s_sub_i32 s5, 0, s9
	v_and_b32_e32 v38, s5, v20
	v_add_u32_e32 v22, s3, v38
	v_min_u32_e32 v27, 0x800, v22
	s_add_i32 s4, s9, -1
	v_add_u32_e32 v22, s3, v27
	v_min_u32_e32 v35, 0x800, v22
	v_and_b32_e32 v22, s4, v20
	v_min_u32_e32 v39, 0x800, v22
	v_sub_u32_e32 v22, v27, v38
	v_sub_u32_e32 v23, v35, v27
	v_sub_u32_e64 v37, v39, v23 clamp
	v_min_u32_e32 v40, v39, v22
	v_lshlrev_b32_e32 v36, 3, v38
	v_cmp_lt_u32_e32 vcc, v37, v40
	ds_write_b128 v26, v[14:17]
	ds_write_b128 v26, v[10:13] offset:16
	ds_write_b128 v26, v[6:9] offset:32
	;; [unrolled: 1-line block ×3, first 2 shown]
	s_waitcnt lgkmcnt(0)
	s_barrier
	s_and_saveexec_b64 s[4:5], vcc
	s_cbranch_execz .LBB261_603
; %bb.594:                              ;   in Loop: Header=BB261_593 Depth=1
	v_lshlrev_b32_e32 v22, 3, v39
	v_lshl_add_u32 v41, v27, 3, v22
	s_mov_b64 s[10:11], 0
	s_branch .LBB261_597
.LBB261_595:                            ;   in Loop: Header=BB261_597 Depth=2
	s_or_b64 exec, exec, s[20:21]
.LBB261_596:                            ;   in Loop: Header=BB261_597 Depth=2
	v_add_u32_e32 v22, 1, v42
	v_cndmask_b32_e64 v40, v40, v42, s[12:13]
	v_cndmask_b32_e64 v37, v22, v37, s[12:13]
	v_cmp_ge_u32_e32 vcc, v37, v40
	s_or_b64 s[10:11], vcc, s[10:11]
	s_andn2_b64 exec, exec, s[10:11]
	s_cbranch_execz .LBB261_602
.LBB261_597:                            ;   Parent Loop BB261_593 Depth=1
                                        ; =>  This Loop Header: Depth=2
                                        ;       Child Loop BB261_600 Depth 3
	v_add_u32_e32 v22, v40, v37
	v_lshrrev_b32_e32 v42, 1, v22
	s_and_b64 vcc, exec, s[0:1]
	s_mov_b64 s[12:13], 0
	s_cbranch_vccnz .LBB261_596
; %bb.598:                              ;   in Loop: Header=BB261_597 Depth=2
	v_not_b32_e32 v22, v42
	v_lshl_add_u32 v22, v22, 3, v41
	ds_read_b64 v[22:23], v22
	v_lshl_add_u32 v43, v42, 3, v36
	ds_read_b64 v[44:45], v43
	v_mov_b64_e32 v[24:25], s[38:39]
	s_mov_b64 s[20:21], 0
	s_waitcnt lgkmcnt(1)
	v_mul_lo_u32 v43, v22, s37
	v_mul_lo_u32 v46, v23, s36
	v_mad_u64_u32 v[22:23], s[12:13], v22, s36, v[24:25]
	v_add3_u32 v23, v46, v23, v43
	s_waitcnt lgkmcnt(0)
	v_mul_lo_u32 v43, v44, s37
	v_mul_lo_u32 v45, v45, s36
	v_mad_u64_u32 v[24:25], s[12:13], v44, s36, v[24:25]
	v_add3_u32 v25, v45, v25, v43
	s_mov_b64 s[24:25], s[36:37]
                                        ; implicit-def: $sgpr12_sgpr13
                                        ; implicit-def: $sgpr22_sgpr23
                                        ; implicit-def: $sgpr26_sgpr27
                                        ; implicit-def: $sgpr28_sgpr29
	s_branch .LBB261_600
.LBB261_599:                            ;   in Loop: Header=BB261_600 Depth=3
	s_or_b64 exec, exec, s[40:41]
	s_and_b64 s[40:41], exec, s[22:23]
	s_or_b64 s[20:21], s[40:41], s[20:21]
	s_andn2_b64 s[28:29], s[28:29], exec
	s_and_b64 s[34:35], s[34:35], exec
	s_or_b64 s[28:29], s[28:29], s[34:35]
	s_andn2_b64 s[12:13], s[12:13], exec
	s_and_b64 s[34:35], s[26:27], exec
	s_or_b64 s[12:13], s[12:13], s[34:35]
	s_andn2_b64 exec, exec, s[20:21]
	s_cbranch_execz .LBB261_595
.LBB261_600:                            ;   Parent Loop BB261_593 Depth=1
                                        ;     Parent Loop BB261_597 Depth=2
                                        ; =>    This Inner Loop Header: Depth=3
	global_load_ubyte v43, v[22:23], off
	global_load_ubyte v44, v[24:25], off
	s_andn2_b64 s[26:27], s[26:27], exec
	s_or_b64 s[22:23], s[22:23], exec
	s_waitcnt vmcnt(0)
	v_cmp_le_i16_sdwa s[40:41], sext(v43), sext(v44) src0_sel:BYTE_0 src1_sel:BYTE_0
	v_cmp_lt_i16_sdwa s[34:35], sext(v43), sext(v44) src0_sel:BYTE_0 src1_sel:BYTE_0
	s_and_b64 s[40:41], s[40:41], s[28:29]
	s_or_b64 s[34:35], s[34:35], s[40:41]
	s_and_b64 s[40:41], s[34:35], exec
	v_cmp_eq_u16_sdwa s[42:43], v43, v44 src0_sel:BYTE_0 src1_sel:BYTE_0
	s_or_b64 s[26:27], s[26:27], s[40:41]
	s_and_saveexec_b64 s[40:41], s[42:43]
	s_cbranch_execz .LBB261_599
; %bb.601:                              ;   in Loop: Header=BB261_600 Depth=3
	s_add_u32 s24, s24, -1
	s_addc_u32 s25, s25, -1
	s_cmp_eq_u64 s[24:25], 0
	s_cselect_b64 s[28:29], -1, 0
	s_andn2_b64 s[22:23], s[22:23], exec
	s_and_b64 s[28:29], s[28:29], exec
	v_lshl_add_u64 v[22:23], v[22:23], 0, 1
	v_lshl_add_u64 v[24:25], v[24:25], 0, 1
	s_andn2_b64 s[26:27], s[26:27], exec
	s_or_b64 s[22:23], s[22:23], s[28:29]
                                        ; implicit-def: $sgpr28_sgpr29
	s_branch .LBB261_599
.LBB261_602:                            ;   in Loop: Header=BB261_593 Depth=1
	s_or_b64 exec, exec, s[10:11]
.LBB261_603:                            ;   in Loop: Header=BB261_593 Depth=1
	s_or_b64 exec, exec, s[4:5]
	v_sub_u32_e32 v22, v39, v37
	v_add_u32_e32 v24, v37, v38
	v_add_u32_e32 v25, v22, v27
	v_cmp_le_u32_e32 vcc, v24, v27
	v_cmp_le_u32_e64 s[4:5], v25, v35
	s_or_b64 s[4:5], vcc, s[4:5]
	s_and_saveexec_b64 s[10:11], s[4:5]
	s_cbranch_execz .LBB261_694
; %bb.604:                              ;   in Loop: Header=BB261_593 Depth=1
	v_cmp_ge_u32_e32 vcc, v24, v27
	v_cmp_lt_u32_e64 s[4:5], v24, v27
                                        ; implicit-def: $vgpr2_vgpr3
	s_and_saveexec_b64 s[12:13], s[4:5]
; %bb.605:                              ;   in Loop: Header=BB261_593 Depth=1
	v_lshl_add_u32 v2, v37, 3, v36
	ds_read_b64 v[2:3], v2
; %bb.606:                              ;   in Loop: Header=BB261_593 Depth=1
	s_or_b64 exec, exec, s[12:13]
	v_cmp_ge_u32_e64 s[12:13], v25, v35
	v_cmp_lt_u32_e64 s[4:5], v25, v35
                                        ; implicit-def: $vgpr14_vgpr15
	s_and_saveexec_b64 s[20:21], s[4:5]
; %bb.607:                              ;   in Loop: Header=BB261_593 Depth=1
	v_lshlrev_b32_e32 v4, 3, v25
	ds_read_b64 v[14:15], v4
; %bb.608:                              ;   in Loop: Header=BB261_593 Depth=1
	s_or_b64 exec, exec, s[20:21]
	s_nor_b64 s[20:21], vcc, s[12:13]
	s_and_saveexec_b64 s[4:5], s[20:21]
	s_cbranch_execz .LBB261_617
; %bb.609:                              ;   in Loop: Header=BB261_593 Depth=1
	s_and_b64 vcc, exec, s[0:1]
	s_cbranch_vccnz .LBB261_615
; %bb.610:                              ;   in Loop: Header=BB261_593 Depth=1
	v_mov_b64_e32 v[6:7], s[38:39]
	s_waitcnt lgkmcnt(0)
	v_mad_u64_u32 v[4:5], s[20:21], v14, s36, v[6:7]
	v_mul_lo_u32 v8, v14, s37
	v_mul_lo_u32 v9, v15, s36
	v_add3_u32 v5, v9, v5, v8
	v_mad_u64_u32 v[6:7], s[20:21], v2, s36, v[6:7]
	v_mul_lo_u32 v8, v2, s37
	v_mul_lo_u32 v9, v3, s36
	v_add3_u32 v7, v9, v7, v8
	s_mov_b64 s[20:21], 0
	s_mov_b64 s[26:27], s[36:37]
                                        ; implicit-def: $sgpr22_sgpr23
                                        ; implicit-def: $sgpr24_sgpr25
                                        ; implicit-def: $sgpr28_sgpr29
                                        ; implicit-def: $sgpr34_sgpr35
	s_branch .LBB261_612
.LBB261_611:                            ;   in Loop: Header=BB261_612 Depth=2
	s_or_b64 exec, exec, s[42:43]
	s_and_b64 s[42:43], exec, s[24:25]
	s_or_b64 s[20:21], s[42:43], s[20:21]
	s_andn2_b64 s[34:35], s[34:35], exec
	s_and_b64 s[40:41], s[40:41], exec
	s_or_b64 s[34:35], s[34:35], s[40:41]
	s_andn2_b64 s[22:23], s[22:23], exec
	s_and_b64 s[40:41], s[28:29], exec
	s_or_b64 s[22:23], s[22:23], s[40:41]
	s_andn2_b64 exec, exec, s[20:21]
	s_cbranch_execz .LBB261_614
.LBB261_612:                            ;   Parent Loop BB261_593 Depth=1
                                        ; =>  This Inner Loop Header: Depth=2
	global_load_ubyte v8, v[4:5], off
	global_load_ubyte v9, v[6:7], off
	s_andn2_b64 s[28:29], s[28:29], exec
	s_or_b64 s[24:25], s[24:25], exec
	s_waitcnt vmcnt(0)
	v_cmp_le_i16_sdwa s[42:43], sext(v8), sext(v9) src0_sel:BYTE_0 src1_sel:BYTE_0
	v_cmp_lt_i16_sdwa s[40:41], sext(v8), sext(v9) src0_sel:BYTE_0 src1_sel:BYTE_0
	s_and_b64 s[42:43], s[42:43], s[34:35]
	s_or_b64 s[40:41], s[40:41], s[42:43]
	s_and_b64 s[42:43], s[40:41], exec
	v_cmp_eq_u16_sdwa s[44:45], v8, v9 src0_sel:BYTE_0 src1_sel:BYTE_0
	s_or_b64 s[28:29], s[28:29], s[42:43]
	s_and_saveexec_b64 s[42:43], s[44:45]
	s_cbranch_execz .LBB261_611
; %bb.613:                              ;   in Loop: Header=BB261_612 Depth=2
	s_add_u32 s26, s26, -1
	s_addc_u32 s27, s27, -1
	s_cmp_eq_u64 s[26:27], 0
	s_cselect_b64 s[34:35], -1, 0
	s_andn2_b64 s[24:25], s[24:25], exec
	s_and_b64 s[34:35], s[34:35], exec
	v_lshl_add_u64 v[4:5], v[4:5], 0, 1
	v_lshl_add_u64 v[6:7], v[6:7], 0, 1
	s_andn2_b64 s[28:29], s[28:29], exec
	s_or_b64 s[24:25], s[24:25], s[34:35]
                                        ; implicit-def: $sgpr34_sgpr35
	s_branch .LBB261_611
.LBB261_614:                            ;   in Loop: Header=BB261_593 Depth=1
	s_or_b64 exec, exec, s[20:21]
	s_xor_b64 s[20:21], s[22:23], -1
	s_branch .LBB261_616
.LBB261_615:                            ;   in Loop: Header=BB261_593 Depth=1
	s_mov_b64 s[20:21], -1
.LBB261_616:                            ;   in Loop: Header=BB261_593 Depth=1
	s_andn2_b64 s[12:13], s[12:13], exec
	s_and_b64 s[20:21], s[20:21], exec
	s_or_b64 s[12:13], s[12:13], s[20:21]
.LBB261_617:                            ;   in Loop: Header=BB261_593 Depth=1
	s_or_b64 exec, exec, s[4:5]
	v_cndmask_b32_e64 v4, v25, v24, s[12:13]
	v_cndmask_b32_e64 v5, v35, v27, s[12:13]
	v_add_u32_e32 v6, 1, v4
	v_add_u32_e32 v4, -1, v5
	v_min_u32_e32 v4, v6, v4
	v_lshlrev_b32_e32 v4, 3, v4
	ds_read_b64 v[4:5], v4
	v_cndmask_b32_e64 v8, v6, v25, s[12:13]
	v_cndmask_b32_e64 v9, v24, v6, s[12:13]
	v_cmp_lt_u32_e32 vcc, v8, v35
	s_mov_b64 s[20:21], -1
	s_waitcnt lgkmcnt(0)
	v_cndmask_b32_e64 v16, v5, v15, s[12:13]
	v_cndmask_b32_e64 v22, v4, v14, s[12:13]
	;; [unrolled: 1-line block ×4, first 2 shown]
	s_mov_b64 s[4:5], -1
	s_and_saveexec_b64 s[22:23], vcc
	s_cbranch_execz .LBB261_628
; %bb.618:                              ;   in Loop: Header=BB261_593 Depth=1
	v_cmp_lt_u32_e32 vcc, v9, v27
	s_mov_b64 s[24:25], 0
	s_and_saveexec_b64 s[4:5], vcc
	s_cbranch_execz .LBB261_627
; %bb.619:                              ;   in Loop: Header=BB261_593 Depth=1
	s_and_b64 vcc, exec, s[0:1]
	s_cbranch_vccnz .LBB261_625
; %bb.620:                              ;   in Loop: Header=BB261_593 Depth=1
	v_mov_b64_e32 v[6:7], s[38:39]
	v_mad_u64_u32 v[4:5], s[24:25], v22, s36, v[6:7]
	v_mul_lo_u32 v10, v22, s37
	v_mul_lo_u32 v11, v16, s36
	v_add3_u32 v5, v11, v5, v10
	v_mad_u64_u32 v[6:7], s[24:25], v23, s36, v[6:7]
	v_mul_lo_u32 v10, v23, s37
	v_mul_lo_u32 v11, v17, s36
	v_add3_u32 v7, v11, v7, v10
	s_mov_b64 s[24:25], 0
	s_mov_b64 s[34:35], s[36:37]
                                        ; implicit-def: $sgpr26_sgpr27
                                        ; implicit-def: $sgpr28_sgpr29
                                        ; implicit-def: $sgpr40_sgpr41
                                        ; implicit-def: $sgpr42_sgpr43
	s_branch .LBB261_622
.LBB261_621:                            ;   in Loop: Header=BB261_622 Depth=2
	s_or_b64 exec, exec, s[46:47]
	s_and_b64 s[46:47], exec, s[28:29]
	s_or_b64 s[24:25], s[46:47], s[24:25]
	s_andn2_b64 s[42:43], s[42:43], exec
	s_and_b64 s[44:45], s[44:45], exec
	s_or_b64 s[42:43], s[42:43], s[44:45]
	s_andn2_b64 s[26:27], s[26:27], exec
	s_and_b64 s[44:45], s[40:41], exec
	s_or_b64 s[26:27], s[26:27], s[44:45]
	s_andn2_b64 exec, exec, s[24:25]
	s_cbranch_execz .LBB261_624
.LBB261_622:                            ;   Parent Loop BB261_593 Depth=1
                                        ; =>  This Inner Loop Header: Depth=2
	global_load_ubyte v10, v[4:5], off
	global_load_ubyte v11, v[6:7], off
	s_andn2_b64 s[40:41], s[40:41], exec
	s_or_b64 s[28:29], s[28:29], exec
	s_waitcnt vmcnt(0)
	v_cmp_le_i16_sdwa s[46:47], sext(v10), sext(v11) src0_sel:BYTE_0 src1_sel:BYTE_0
	v_cmp_lt_i16_sdwa s[44:45], sext(v10), sext(v11) src0_sel:BYTE_0 src1_sel:BYTE_0
	s_and_b64 s[46:47], s[46:47], s[42:43]
	s_or_b64 s[44:45], s[44:45], s[46:47]
	s_and_b64 s[46:47], s[44:45], exec
	v_cmp_eq_u16_sdwa s[48:49], v10, v11 src0_sel:BYTE_0 src1_sel:BYTE_0
	s_or_b64 s[40:41], s[40:41], s[46:47]
	s_and_saveexec_b64 s[46:47], s[48:49]
	s_cbranch_execz .LBB261_621
; %bb.623:                              ;   in Loop: Header=BB261_622 Depth=2
	s_add_u32 s34, s34, -1
	s_addc_u32 s35, s35, -1
	s_cmp_eq_u64 s[34:35], 0
	s_cselect_b64 s[42:43], -1, 0
	s_andn2_b64 s[28:29], s[28:29], exec
	s_and_b64 s[42:43], s[42:43], exec
	v_lshl_add_u64 v[4:5], v[4:5], 0, 1
	v_lshl_add_u64 v[6:7], v[6:7], 0, 1
	s_andn2_b64 s[40:41], s[40:41], exec
	s_or_b64 s[28:29], s[28:29], s[42:43]
                                        ; implicit-def: $sgpr42_sgpr43
	s_branch .LBB261_621
.LBB261_624:                            ;   in Loop: Header=BB261_593 Depth=1
	s_or_b64 exec, exec, s[24:25]
	s_xor_b64 s[24:25], s[26:27], -1
	s_branch .LBB261_626
.LBB261_625:                            ;   in Loop: Header=BB261_593 Depth=1
	s_mov_b64 s[24:25], -1
.LBB261_626:                            ;   in Loop: Header=BB261_593 Depth=1
	s_and_b64 s[24:25], s[24:25], exec
.LBB261_627:                            ;   in Loop: Header=BB261_593 Depth=1
	s_or_b64 exec, exec, s[4:5]
	s_orn2_b64 s[4:5], s[24:25], exec
.LBB261_628:                            ;   in Loop: Header=BB261_593 Depth=1
	s_or_b64 exec, exec, s[22:23]
	v_cndmask_b32_e64 v4, v8, v9, s[4:5]
	v_cndmask_b32_e64 v5, v35, v27, s[4:5]
	v_add_u32_e32 v6, 1, v4
	v_add_u32_e32 v4, -1, v5
	v_min_u32_e32 v4, v6, v4
	v_lshlrev_b32_e32 v4, 3, v4
	ds_read_b64 v[4:5], v4
	v_cndmask_b32_e64 v8, v6, v8, s[4:5]
	v_cndmask_b32_e64 v9, v9, v6, s[4:5]
	v_cmp_lt_u32_e32 vcc, v8, v35
	s_waitcnt lgkmcnt(0)
	v_cndmask_b32_e64 v24, v5, v16, s[4:5]
	v_cndmask_b32_e64 v25, v4, v22, s[4:5]
	;; [unrolled: 1-line block ×4, first 2 shown]
	s_and_saveexec_b64 s[22:23], vcc
	s_cbranch_execz .LBB261_639
; %bb.629:                              ;   in Loop: Header=BB261_593 Depth=1
	v_cmp_lt_u32_e32 vcc, v9, v27
	s_mov_b64 s[24:25], 0
	s_and_saveexec_b64 s[20:21], vcc
	s_cbranch_execz .LBB261_638
; %bb.630:                              ;   in Loop: Header=BB261_593 Depth=1
	s_and_b64 vcc, exec, s[0:1]
	s_cbranch_vccnz .LBB261_636
; %bb.631:                              ;   in Loop: Header=BB261_593 Depth=1
	v_mov_b64_e32 v[6:7], s[38:39]
	v_mad_u64_u32 v[4:5], s[24:25], v25, s36, v[6:7]
	v_mul_lo_u32 v10, v25, s37
	v_mul_lo_u32 v11, v24, s36
	v_add3_u32 v5, v11, v5, v10
	v_mad_u64_u32 v[6:7], s[24:25], v37, s36, v[6:7]
	v_mul_lo_u32 v10, v37, s37
	v_mul_lo_u32 v11, v36, s36
	v_add3_u32 v7, v11, v7, v10
	s_mov_b64 s[24:25], 0
	s_mov_b64 s[34:35], s[36:37]
                                        ; implicit-def: $sgpr26_sgpr27
                                        ; implicit-def: $sgpr28_sgpr29
                                        ; implicit-def: $sgpr40_sgpr41
                                        ; implicit-def: $sgpr42_sgpr43
	s_branch .LBB261_633
.LBB261_632:                            ;   in Loop: Header=BB261_633 Depth=2
	s_or_b64 exec, exec, s[46:47]
	s_and_b64 s[46:47], exec, s[28:29]
	s_or_b64 s[24:25], s[46:47], s[24:25]
	s_andn2_b64 s[42:43], s[42:43], exec
	s_and_b64 s[44:45], s[44:45], exec
	s_or_b64 s[42:43], s[42:43], s[44:45]
	s_andn2_b64 s[26:27], s[26:27], exec
	s_and_b64 s[44:45], s[40:41], exec
	s_or_b64 s[26:27], s[26:27], s[44:45]
	s_andn2_b64 exec, exec, s[24:25]
	s_cbranch_execz .LBB261_635
.LBB261_633:                            ;   Parent Loop BB261_593 Depth=1
                                        ; =>  This Inner Loop Header: Depth=2
	global_load_ubyte v10, v[4:5], off
	global_load_ubyte v11, v[6:7], off
	s_andn2_b64 s[40:41], s[40:41], exec
	s_or_b64 s[28:29], s[28:29], exec
	s_waitcnt vmcnt(0)
	v_cmp_le_i16_sdwa s[46:47], sext(v10), sext(v11) src0_sel:BYTE_0 src1_sel:BYTE_0
	v_cmp_lt_i16_sdwa s[44:45], sext(v10), sext(v11) src0_sel:BYTE_0 src1_sel:BYTE_0
	s_and_b64 s[46:47], s[46:47], s[42:43]
	s_or_b64 s[44:45], s[44:45], s[46:47]
	s_and_b64 s[46:47], s[44:45], exec
	v_cmp_eq_u16_sdwa s[48:49], v10, v11 src0_sel:BYTE_0 src1_sel:BYTE_0
	s_or_b64 s[40:41], s[40:41], s[46:47]
	s_and_saveexec_b64 s[46:47], s[48:49]
	s_cbranch_execz .LBB261_632
; %bb.634:                              ;   in Loop: Header=BB261_633 Depth=2
	s_add_u32 s34, s34, -1
	s_addc_u32 s35, s35, -1
	s_cmp_eq_u64 s[34:35], 0
	s_cselect_b64 s[42:43], -1, 0
	s_andn2_b64 s[28:29], s[28:29], exec
	s_and_b64 s[42:43], s[42:43], exec
	v_lshl_add_u64 v[4:5], v[4:5], 0, 1
	v_lshl_add_u64 v[6:7], v[6:7], 0, 1
	s_andn2_b64 s[40:41], s[40:41], exec
	s_or_b64 s[28:29], s[28:29], s[42:43]
                                        ; implicit-def: $sgpr42_sgpr43
	s_branch .LBB261_632
.LBB261_635:                            ;   in Loop: Header=BB261_593 Depth=1
	s_or_b64 exec, exec, s[24:25]
	s_xor_b64 s[24:25], s[26:27], -1
	s_branch .LBB261_637
.LBB261_636:                            ;   in Loop: Header=BB261_593 Depth=1
	s_mov_b64 s[24:25], -1
.LBB261_637:                            ;   in Loop: Header=BB261_593 Depth=1
	s_and_b64 s[24:25], s[24:25], exec
.LBB261_638:                            ;   in Loop: Header=BB261_593 Depth=1
	s_or_b64 exec, exec, s[20:21]
	s_orn2_b64 s[20:21], s[24:25], exec
.LBB261_639:                            ;   in Loop: Header=BB261_593 Depth=1
	s_or_b64 exec, exec, s[22:23]
	v_cndmask_b32_e64 v4, v8, v9, s[20:21]
	v_cndmask_b32_e64 v5, v35, v27, s[20:21]
	v_add_u32_e32 v6, 1, v4
	v_add_u32_e32 v4, -1, v5
	v_min_u32_e32 v4, v6, v4
	v_lshlrev_b32_e32 v4, 3, v4
	ds_read_b64 v[4:5], v4
	v_cndmask_b32_e64 v8, v6, v8, s[20:21]
	v_cndmask_b32_e64 v9, v9, v6, s[20:21]
	v_cmp_lt_u32_e32 vcc, v8, v35
	s_mov_b64 s[24:25], -1
	s_waitcnt lgkmcnt(0)
	v_cndmask_b32_e64 v12, v5, v24, s[20:21]
	v_cndmask_b32_e64 v38, v4, v25, s[20:21]
	;; [unrolled: 1-line block ×4, first 2 shown]
	s_mov_b64 s[22:23], -1
	s_and_saveexec_b64 s[26:27], vcc
	s_cbranch_execz .LBB261_650
; %bb.640:                              ;   in Loop: Header=BB261_593 Depth=1
	v_cmp_lt_u32_e32 vcc, v9, v27
	s_mov_b64 s[28:29], 0
	s_and_saveexec_b64 s[22:23], vcc
	s_cbranch_execz .LBB261_649
; %bb.641:                              ;   in Loop: Header=BB261_593 Depth=1
	s_and_b64 vcc, exec, s[0:1]
	s_cbranch_vccnz .LBB261_647
; %bb.642:                              ;   in Loop: Header=BB261_593 Depth=1
	v_mov_b64_e32 v[6:7], s[38:39]
	v_mad_u64_u32 v[4:5], s[28:29], v38, s36, v[6:7]
	v_mul_lo_u32 v10, v38, s37
	v_mul_lo_u32 v11, v12, s36
	v_add3_u32 v5, v11, v5, v10
	v_mad_u64_u32 v[6:7], s[28:29], v39, s36, v[6:7]
	v_mul_lo_u32 v10, v39, s37
	v_mul_lo_u32 v11, v13, s36
	v_add3_u32 v7, v11, v7, v10
	s_mov_b64 s[28:29], 0
	s_mov_b64 s[42:43], s[36:37]
                                        ; implicit-def: $sgpr34_sgpr35
                                        ; implicit-def: $sgpr40_sgpr41
                                        ; implicit-def: $sgpr44_sgpr45
                                        ; implicit-def: $sgpr46_sgpr47
	s_branch .LBB261_644
.LBB261_643:                            ;   in Loop: Header=BB261_644 Depth=2
	s_or_b64 exec, exec, s[50:51]
	s_and_b64 s[50:51], exec, s[40:41]
	s_or_b64 s[28:29], s[50:51], s[28:29]
	s_andn2_b64 s[46:47], s[46:47], exec
	s_and_b64 s[48:49], s[48:49], exec
	s_or_b64 s[46:47], s[46:47], s[48:49]
	s_andn2_b64 s[34:35], s[34:35], exec
	s_and_b64 s[48:49], s[44:45], exec
	s_or_b64 s[34:35], s[34:35], s[48:49]
	s_andn2_b64 exec, exec, s[28:29]
	s_cbranch_execz .LBB261_646
.LBB261_644:                            ;   Parent Loop BB261_593 Depth=1
                                        ; =>  This Inner Loop Header: Depth=2
	global_load_ubyte v10, v[4:5], off
	global_load_ubyte v11, v[6:7], off
	s_andn2_b64 s[44:45], s[44:45], exec
	s_or_b64 s[40:41], s[40:41], exec
	s_waitcnt vmcnt(0)
	v_cmp_le_i16_sdwa s[50:51], sext(v10), sext(v11) src0_sel:BYTE_0 src1_sel:BYTE_0
	v_cmp_lt_i16_sdwa s[48:49], sext(v10), sext(v11) src0_sel:BYTE_0 src1_sel:BYTE_0
	s_and_b64 s[50:51], s[50:51], s[46:47]
	s_or_b64 s[48:49], s[48:49], s[50:51]
	s_and_b64 s[50:51], s[48:49], exec
	v_cmp_eq_u16_sdwa s[52:53], v10, v11 src0_sel:BYTE_0 src1_sel:BYTE_0
	s_or_b64 s[44:45], s[44:45], s[50:51]
	s_and_saveexec_b64 s[50:51], s[52:53]
	s_cbranch_execz .LBB261_643
; %bb.645:                              ;   in Loop: Header=BB261_644 Depth=2
	s_add_u32 s42, s42, -1
	s_addc_u32 s43, s43, -1
	s_cmp_eq_u64 s[42:43], 0
	s_cselect_b64 s[46:47], -1, 0
	s_andn2_b64 s[40:41], s[40:41], exec
	s_and_b64 s[46:47], s[46:47], exec
	v_lshl_add_u64 v[4:5], v[4:5], 0, 1
	v_lshl_add_u64 v[6:7], v[6:7], 0, 1
	s_andn2_b64 s[44:45], s[44:45], exec
	s_or_b64 s[40:41], s[40:41], s[46:47]
                                        ; implicit-def: $sgpr46_sgpr47
	s_branch .LBB261_643
.LBB261_646:                            ;   in Loop: Header=BB261_593 Depth=1
	s_or_b64 exec, exec, s[28:29]
	s_xor_b64 s[28:29], s[34:35], -1
	s_branch .LBB261_648
.LBB261_647:                            ;   in Loop: Header=BB261_593 Depth=1
	s_mov_b64 s[28:29], -1
.LBB261_648:                            ;   in Loop: Header=BB261_593 Depth=1
	s_and_b64 s[28:29], s[28:29], exec
.LBB261_649:                            ;   in Loop: Header=BB261_593 Depth=1
	s_or_b64 exec, exec, s[22:23]
	s_orn2_b64 s[22:23], s[28:29], exec
.LBB261_650:                            ;   in Loop: Header=BB261_593 Depth=1
	s_or_b64 exec, exec, s[26:27]
	v_cndmask_b32_e64 v4, v8, v9, s[22:23]
	v_cndmask_b32_e64 v5, v35, v27, s[22:23]
	v_add_u32_e32 v6, 1, v4
	v_add_u32_e32 v4, -1, v5
	v_min_u32_e32 v4, v6, v4
	v_lshlrev_b32_e32 v4, 3, v4
	ds_read_b64 v[4:5], v4
	v_cndmask_b32_e64 v8, v6, v8, s[22:23]
	v_cndmask_b32_e64 v9, v9, v6, s[22:23]
	v_cmp_lt_u32_e32 vcc, v8, v35
	s_waitcnt lgkmcnt(0)
	v_cndmask_b32_e64 v40, v5, v12, s[22:23]
	v_cndmask_b32_e64 v41, v4, v38, s[22:23]
	v_cndmask_b32_e64 v42, v13, v5, s[22:23]
	v_cndmask_b32_e64 v43, v39, v4, s[22:23]
	s_and_saveexec_b64 s[26:27], vcc
	s_cbranch_execz .LBB261_661
; %bb.651:                              ;   in Loop: Header=BB261_593 Depth=1
	v_cmp_lt_u32_e32 vcc, v9, v27
	s_mov_b64 s[28:29], 0
	s_and_saveexec_b64 s[24:25], vcc
	s_cbranch_execz .LBB261_660
; %bb.652:                              ;   in Loop: Header=BB261_593 Depth=1
	s_and_b64 vcc, exec, s[0:1]
	s_cbranch_vccnz .LBB261_658
; %bb.653:                              ;   in Loop: Header=BB261_593 Depth=1
	v_mov_b64_e32 v[6:7], s[38:39]
	v_mad_u64_u32 v[4:5], s[28:29], v41, s36, v[6:7]
	v_mul_lo_u32 v10, v41, s37
	v_mul_lo_u32 v11, v40, s36
	v_add3_u32 v5, v11, v5, v10
	v_mad_u64_u32 v[6:7], s[28:29], v43, s36, v[6:7]
	v_mul_lo_u32 v10, v43, s37
	v_mul_lo_u32 v11, v42, s36
	v_add3_u32 v7, v11, v7, v10
	s_mov_b64 s[28:29], 0
	s_mov_b64 s[42:43], s[36:37]
                                        ; implicit-def: $sgpr34_sgpr35
                                        ; implicit-def: $sgpr40_sgpr41
                                        ; implicit-def: $sgpr44_sgpr45
                                        ; implicit-def: $sgpr46_sgpr47
	s_branch .LBB261_655
.LBB261_654:                            ;   in Loop: Header=BB261_655 Depth=2
	s_or_b64 exec, exec, s[50:51]
	s_and_b64 s[50:51], exec, s[40:41]
	s_or_b64 s[28:29], s[50:51], s[28:29]
	s_andn2_b64 s[46:47], s[46:47], exec
	s_and_b64 s[48:49], s[48:49], exec
	s_or_b64 s[46:47], s[46:47], s[48:49]
	s_andn2_b64 s[34:35], s[34:35], exec
	s_and_b64 s[48:49], s[44:45], exec
	s_or_b64 s[34:35], s[34:35], s[48:49]
	s_andn2_b64 exec, exec, s[28:29]
	s_cbranch_execz .LBB261_657
.LBB261_655:                            ;   Parent Loop BB261_593 Depth=1
                                        ; =>  This Inner Loop Header: Depth=2
	global_load_ubyte v10, v[4:5], off
	global_load_ubyte v11, v[6:7], off
	s_andn2_b64 s[44:45], s[44:45], exec
	s_or_b64 s[40:41], s[40:41], exec
	s_waitcnt vmcnt(0)
	v_cmp_le_i16_sdwa s[50:51], sext(v10), sext(v11) src0_sel:BYTE_0 src1_sel:BYTE_0
	v_cmp_lt_i16_sdwa s[48:49], sext(v10), sext(v11) src0_sel:BYTE_0 src1_sel:BYTE_0
	s_and_b64 s[50:51], s[50:51], s[46:47]
	s_or_b64 s[48:49], s[48:49], s[50:51]
	s_and_b64 s[50:51], s[48:49], exec
	v_cmp_eq_u16_sdwa s[52:53], v10, v11 src0_sel:BYTE_0 src1_sel:BYTE_0
	s_or_b64 s[44:45], s[44:45], s[50:51]
	s_and_saveexec_b64 s[50:51], s[52:53]
	s_cbranch_execz .LBB261_654
; %bb.656:                              ;   in Loop: Header=BB261_655 Depth=2
	s_add_u32 s42, s42, -1
	s_addc_u32 s43, s43, -1
	s_cmp_eq_u64 s[42:43], 0
	s_cselect_b64 s[46:47], -1, 0
	s_andn2_b64 s[40:41], s[40:41], exec
	s_and_b64 s[46:47], s[46:47], exec
	v_lshl_add_u64 v[4:5], v[4:5], 0, 1
	v_lshl_add_u64 v[6:7], v[6:7], 0, 1
	s_andn2_b64 s[44:45], s[44:45], exec
	s_or_b64 s[40:41], s[40:41], s[46:47]
                                        ; implicit-def: $sgpr46_sgpr47
	s_branch .LBB261_654
.LBB261_657:                            ;   in Loop: Header=BB261_593 Depth=1
	s_or_b64 exec, exec, s[28:29]
	s_xor_b64 s[28:29], s[34:35], -1
	s_branch .LBB261_659
.LBB261_658:                            ;   in Loop: Header=BB261_593 Depth=1
	s_mov_b64 s[28:29], -1
.LBB261_659:                            ;   in Loop: Header=BB261_593 Depth=1
	s_and_b64 s[28:29], s[28:29], exec
.LBB261_660:                            ;   in Loop: Header=BB261_593 Depth=1
	s_or_b64 exec, exec, s[24:25]
	s_orn2_b64 s[24:25], s[28:29], exec
.LBB261_661:                            ;   in Loop: Header=BB261_593 Depth=1
	s_or_b64 exec, exec, s[26:27]
	v_cndmask_b32_e64 v4, v8, v9, s[24:25]
	v_cndmask_b32_e64 v5, v35, v27, s[24:25]
	v_add_u32_e32 v6, 1, v4
	v_add_u32_e32 v4, -1, v5
	v_min_u32_e32 v4, v6, v4
	v_lshlrev_b32_e32 v4, 3, v4
	ds_read_b64 v[4:5], v4
	v_cndmask_b32_e64 v8, v6, v8, s[24:25]
	v_cndmask_b32_e64 v9, v9, v6, s[24:25]
	v_cmp_lt_u32_e32 vcc, v8, v35
	s_mov_b64 s[26:27], -1
	s_waitcnt lgkmcnt(0)
	v_cndmask_b32_e64 v44, v5, v40, s[24:25]
	v_cndmask_b32_e64 v45, v4, v41, s[24:25]
	;; [unrolled: 1-line block ×4, first 2 shown]
	s_mov_b64 s[28:29], -1
	s_and_saveexec_b64 s[34:35], vcc
	s_cbranch_execz .LBB261_672
; %bb.662:                              ;   in Loop: Header=BB261_593 Depth=1
	v_cmp_lt_u32_e32 vcc, v9, v27
	s_mov_b64 s[40:41], 0
	s_and_saveexec_b64 s[28:29], vcc
	s_cbranch_execz .LBB261_671
; %bb.663:                              ;   in Loop: Header=BB261_593 Depth=1
	s_and_b64 vcc, exec, s[0:1]
	s_cbranch_vccnz .LBB261_669
; %bb.664:                              ;   in Loop: Header=BB261_593 Depth=1
	v_mov_b64_e32 v[6:7], s[38:39]
	v_mad_u64_u32 v[4:5], s[40:41], v45, s36, v[6:7]
	v_mul_lo_u32 v10, v45, s37
	v_mul_lo_u32 v11, v44, s36
	v_add3_u32 v5, v11, v5, v10
	v_mad_u64_u32 v[6:7], s[40:41], v47, s36, v[6:7]
	v_mul_lo_u32 v10, v47, s37
	v_mul_lo_u32 v11, v46, s36
	v_add3_u32 v7, v11, v7, v10
	s_mov_b64 s[40:41], 0
	s_mov_b64 s[46:47], s[36:37]
                                        ; implicit-def: $sgpr42_sgpr43
                                        ; implicit-def: $sgpr44_sgpr45
                                        ; implicit-def: $sgpr48_sgpr49
                                        ; implicit-def: $sgpr50_sgpr51
	s_branch .LBB261_666
.LBB261_665:                            ;   in Loop: Header=BB261_666 Depth=2
	s_or_b64 exec, exec, s[54:55]
	s_and_b64 s[54:55], exec, s[44:45]
	s_or_b64 s[40:41], s[54:55], s[40:41]
	s_andn2_b64 s[50:51], s[50:51], exec
	s_and_b64 s[52:53], s[52:53], exec
	s_or_b64 s[50:51], s[50:51], s[52:53]
	s_andn2_b64 s[42:43], s[42:43], exec
	s_and_b64 s[52:53], s[48:49], exec
	s_or_b64 s[42:43], s[42:43], s[52:53]
	s_andn2_b64 exec, exec, s[40:41]
	s_cbranch_execz .LBB261_668
.LBB261_666:                            ;   Parent Loop BB261_593 Depth=1
                                        ; =>  This Inner Loop Header: Depth=2
	global_load_ubyte v10, v[4:5], off
	global_load_ubyte v11, v[6:7], off
	s_andn2_b64 s[48:49], s[48:49], exec
	s_or_b64 s[44:45], s[44:45], exec
	s_waitcnt vmcnt(0)
	v_cmp_le_i16_sdwa s[54:55], sext(v10), sext(v11) src0_sel:BYTE_0 src1_sel:BYTE_0
	v_cmp_lt_i16_sdwa s[52:53], sext(v10), sext(v11) src0_sel:BYTE_0 src1_sel:BYTE_0
	s_and_b64 s[54:55], s[54:55], s[50:51]
	s_or_b64 s[52:53], s[52:53], s[54:55]
	s_and_b64 s[54:55], s[52:53], exec
	v_cmp_eq_u16_sdwa s[56:57], v10, v11 src0_sel:BYTE_0 src1_sel:BYTE_0
	s_or_b64 s[48:49], s[48:49], s[54:55]
	s_and_saveexec_b64 s[54:55], s[56:57]
	s_cbranch_execz .LBB261_665
; %bb.667:                              ;   in Loop: Header=BB261_666 Depth=2
	s_add_u32 s46, s46, -1
	s_addc_u32 s47, s47, -1
	s_cmp_eq_u64 s[46:47], 0
	s_cselect_b64 s[50:51], -1, 0
	s_andn2_b64 s[44:45], s[44:45], exec
	s_and_b64 s[50:51], s[50:51], exec
	v_lshl_add_u64 v[4:5], v[4:5], 0, 1
	v_lshl_add_u64 v[6:7], v[6:7], 0, 1
	s_andn2_b64 s[48:49], s[48:49], exec
	s_or_b64 s[44:45], s[44:45], s[50:51]
                                        ; implicit-def: $sgpr50_sgpr51
	s_branch .LBB261_665
.LBB261_668:                            ;   in Loop: Header=BB261_593 Depth=1
	s_or_b64 exec, exec, s[40:41]
	s_xor_b64 s[40:41], s[42:43], -1
	s_branch .LBB261_670
.LBB261_669:                            ;   in Loop: Header=BB261_593 Depth=1
	s_mov_b64 s[40:41], -1
.LBB261_670:                            ;   in Loop: Header=BB261_593 Depth=1
	s_and_b64 s[40:41], s[40:41], exec
.LBB261_671:                            ;   in Loop: Header=BB261_593 Depth=1
	s_or_b64 exec, exec, s[28:29]
	s_orn2_b64 s[28:29], s[40:41], exec
.LBB261_672:                            ;   in Loop: Header=BB261_593 Depth=1
	s_or_b64 exec, exec, s[34:35]
	v_cndmask_b32_e64 v4, v8, v9, s[28:29]
	v_cndmask_b32_e64 v5, v35, v27, s[28:29]
	v_add_u32_e32 v6, 1, v4
	v_add_u32_e32 v4, -1, v5
	v_min_u32_e32 v4, v6, v4
	v_lshlrev_b32_e32 v4, 3, v4
	ds_read_b64 v[4:5], v4
	v_cndmask_b32_e64 v10, v6, v8, s[28:29]
	v_cndmask_b32_e64 v8, v9, v6, s[28:29]
	v_cmp_lt_u32_e32 vcc, v10, v35
	s_waitcnt lgkmcnt(0)
	v_cndmask_b32_e64 v48, v5, v44, s[28:29]
	v_cndmask_b32_e64 v49, v4, v45, s[28:29]
	;; [unrolled: 1-line block ×4, first 2 shown]
	s_and_saveexec_b64 s[34:35], vcc
	s_cbranch_execz .LBB261_683
; %bb.673:                              ;   in Loop: Header=BB261_593 Depth=1
	v_cmp_lt_u32_e32 vcc, v8, v27
	s_mov_b64 s[40:41], 0
	s_and_saveexec_b64 s[26:27], vcc
	s_cbranch_execz .LBB261_682
; %bb.674:                              ;   in Loop: Header=BB261_593 Depth=1
	s_and_b64 vcc, exec, s[0:1]
	s_cbranch_vccnz .LBB261_680
; %bb.675:                              ;   in Loop: Header=BB261_593 Depth=1
	v_mov_b64_e32 v[6:7], s[38:39]
	v_mad_u64_u32 v[4:5], s[40:41], v49, s36, v[6:7]
	v_mul_lo_u32 v9, v49, s37
	v_mul_lo_u32 v11, v48, s36
	v_add3_u32 v5, v11, v5, v9
	v_mad_u64_u32 v[6:7], s[40:41], v51, s36, v[6:7]
	v_mul_lo_u32 v9, v51, s37
	v_mul_lo_u32 v11, v50, s36
	v_add3_u32 v7, v11, v7, v9
	s_mov_b64 s[40:41], 0
	s_mov_b64 s[46:47], s[36:37]
                                        ; implicit-def: $sgpr42_sgpr43
                                        ; implicit-def: $sgpr44_sgpr45
                                        ; implicit-def: $sgpr48_sgpr49
                                        ; implicit-def: $sgpr50_sgpr51
	s_branch .LBB261_677
.LBB261_676:                            ;   in Loop: Header=BB261_677 Depth=2
	s_or_b64 exec, exec, s[54:55]
	s_and_b64 s[54:55], exec, s[44:45]
	s_or_b64 s[40:41], s[54:55], s[40:41]
	s_andn2_b64 s[50:51], s[50:51], exec
	s_and_b64 s[52:53], s[52:53], exec
	s_or_b64 s[50:51], s[50:51], s[52:53]
	s_andn2_b64 s[42:43], s[42:43], exec
	s_and_b64 s[52:53], s[48:49], exec
	s_or_b64 s[42:43], s[42:43], s[52:53]
	s_andn2_b64 exec, exec, s[40:41]
	s_cbranch_execz .LBB261_679
.LBB261_677:                            ;   Parent Loop BB261_593 Depth=1
                                        ; =>  This Inner Loop Header: Depth=2
	global_load_ubyte v9, v[4:5], off
	global_load_ubyte v11, v[6:7], off
	s_andn2_b64 s[48:49], s[48:49], exec
	s_or_b64 s[44:45], s[44:45], exec
	s_waitcnt vmcnt(0)
	v_cmp_le_i16_sdwa s[54:55], sext(v9), sext(v11) src0_sel:BYTE_0 src1_sel:BYTE_0
	v_cmp_lt_i16_sdwa s[52:53], sext(v9), sext(v11) src0_sel:BYTE_0 src1_sel:BYTE_0
	s_and_b64 s[54:55], s[54:55], s[50:51]
	s_or_b64 s[52:53], s[52:53], s[54:55]
	s_and_b64 s[54:55], s[52:53], exec
	v_cmp_eq_u16_sdwa s[56:57], v9, v11 src0_sel:BYTE_0 src1_sel:BYTE_0
	s_or_b64 s[48:49], s[48:49], s[54:55]
	s_and_saveexec_b64 s[54:55], s[56:57]
	s_cbranch_execz .LBB261_676
; %bb.678:                              ;   in Loop: Header=BB261_677 Depth=2
	s_add_u32 s46, s46, -1
	s_addc_u32 s47, s47, -1
	s_cmp_eq_u64 s[46:47], 0
	s_cselect_b64 s[50:51], -1, 0
	s_andn2_b64 s[44:45], s[44:45], exec
	s_and_b64 s[50:51], s[50:51], exec
	v_lshl_add_u64 v[4:5], v[4:5], 0, 1
	v_lshl_add_u64 v[6:7], v[6:7], 0, 1
	s_andn2_b64 s[48:49], s[48:49], exec
	s_or_b64 s[44:45], s[44:45], s[50:51]
                                        ; implicit-def: $sgpr50_sgpr51
	s_branch .LBB261_676
.LBB261_679:                            ;   in Loop: Header=BB261_593 Depth=1
	s_or_b64 exec, exec, s[40:41]
	s_xor_b64 s[40:41], s[42:43], -1
	s_branch .LBB261_681
.LBB261_680:                            ;   in Loop: Header=BB261_593 Depth=1
	s_mov_b64 s[40:41], -1
.LBB261_681:                            ;   in Loop: Header=BB261_593 Depth=1
	s_and_b64 s[40:41], s[40:41], exec
.LBB261_682:                            ;   in Loop: Header=BB261_593 Depth=1
	s_or_b64 exec, exec, s[26:27]
	s_orn2_b64 s[26:27], s[40:41], exec
.LBB261_683:                            ;   in Loop: Header=BB261_593 Depth=1
	s_or_b64 exec, exec, s[34:35]
	v_cndmask_b32_e64 v4, v10, v8, s[26:27]
	v_cndmask_b32_e64 v5, v35, v27, s[26:27]
	v_add_u32_e32 v9, 1, v4
	v_add_u32_e32 v4, -1, v5
	v_min_u32_e32 v4, v9, v4
	v_lshlrev_b32_e32 v4, 3, v4
	ds_read_b64 v[6:7], v4
	v_cndmask_b32_e64 v10, v9, v10, s[26:27]
	v_cmp_lt_u32_e32 vcc, v10, v35
	s_waitcnt lgkmcnt(0)
	v_cndmask_b32_e64 v5, v50, v7, s[26:27]
	v_cndmask_b32_e64 v4, v51, v6, s[26:27]
	s_and_saveexec_b64 s[34:35], vcc
	s_cbranch_execz .LBB261_693
; %bb.684:                              ;   in Loop: Header=BB261_593 Depth=1
	v_cndmask_b32_e64 v8, v8, v9, s[26:27]
	v_cndmask_b32_e64 v7, v7, v48, s[26:27]
	;; [unrolled: 1-line block ×3, first 2 shown]
	v_cmp_lt_u32_e32 vcc, v8, v27
	s_and_saveexec_b64 s[40:41], vcc
	s_cbranch_execz .LBB261_692
; %bb.685:                              ;   in Loop: Header=BB261_593 Depth=1
	s_and_b64 vcc, exec, s[0:1]
	s_cbranch_vccnz .LBB261_691
; %bb.686:                              ;   in Loop: Header=BB261_593 Depth=1
	v_mov_b64_e32 v[10:11], s[38:39]
	v_mad_u64_u32 v[8:9], s[42:43], v6, s36, v[10:11]
	v_mul_lo_u32 v27, v6, s37
	v_mul_lo_u32 v35, v7, s36
	v_add3_u32 v9, v35, v9, v27
	v_mad_u64_u32 v[10:11], s[42:43], v4, s36, v[10:11]
	v_mul_lo_u32 v27, v4, s37
	v_mul_lo_u32 v35, v5, s36
	v_add3_u32 v11, v35, v11, v27
	s_mov_b64 s[42:43], 0
	s_mov_b64 s[48:49], s[36:37]
                                        ; implicit-def: $sgpr44_sgpr45
                                        ; implicit-def: $sgpr46_sgpr47
                                        ; implicit-def: $sgpr50_sgpr51
                                        ; implicit-def: $sgpr52_sgpr53
	s_branch .LBB261_688
.LBB261_687:                            ;   in Loop: Header=BB261_688 Depth=2
	s_or_b64 exec, exec, s[56:57]
	s_and_b64 s[56:57], exec, s[46:47]
	s_or_b64 s[42:43], s[56:57], s[42:43]
	s_andn2_b64 s[52:53], s[52:53], exec
	s_and_b64 s[54:55], s[54:55], exec
	s_or_b64 s[52:53], s[52:53], s[54:55]
	s_andn2_b64 s[44:45], s[44:45], exec
	s_and_b64 s[54:55], s[50:51], exec
	s_or_b64 s[44:45], s[44:45], s[54:55]
	s_andn2_b64 exec, exec, s[42:43]
	s_cbranch_execz .LBB261_690
.LBB261_688:                            ;   Parent Loop BB261_593 Depth=1
                                        ; =>  This Inner Loop Header: Depth=2
	global_load_ubyte v27, v[8:9], off
	global_load_ubyte v35, v[10:11], off
	s_andn2_b64 s[50:51], s[50:51], exec
	s_or_b64 s[46:47], s[46:47], exec
	s_waitcnt vmcnt(0)
	v_cmp_le_i16_sdwa s[56:57], sext(v27), sext(v35) src0_sel:BYTE_0 src1_sel:BYTE_0
	v_cmp_lt_i16_sdwa s[54:55], sext(v27), sext(v35) src0_sel:BYTE_0 src1_sel:BYTE_0
	s_and_b64 s[56:57], s[56:57], s[52:53]
	s_or_b64 s[54:55], s[54:55], s[56:57]
	s_and_b64 s[56:57], s[54:55], exec
	v_cmp_eq_u16_sdwa s[58:59], v27, v35 src0_sel:BYTE_0 src1_sel:BYTE_0
	s_or_b64 s[50:51], s[50:51], s[56:57]
	s_and_saveexec_b64 s[56:57], s[58:59]
	s_cbranch_execz .LBB261_687
; %bb.689:                              ;   in Loop: Header=BB261_688 Depth=2
	s_add_u32 s48, s48, -1
	s_addc_u32 s49, s49, -1
	s_cmp_eq_u64 s[48:49], 0
	s_cselect_b64 s[52:53], -1, 0
	s_andn2_b64 s[46:47], s[46:47], exec
	s_and_b64 s[52:53], s[52:53], exec
	v_lshl_add_u64 v[8:9], v[8:9], 0, 1
	v_lshl_add_u64 v[10:11], v[10:11], 0, 1
	s_andn2_b64 s[50:51], s[50:51], exec
	s_or_b64 s[46:47], s[46:47], s[52:53]
                                        ; implicit-def: $sgpr52_sgpr53
	s_branch .LBB261_687
.LBB261_690:                            ;   in Loop: Header=BB261_593 Depth=1
	s_or_b64 exec, exec, s[42:43]
	v_cndmask_b32_e64 v5, v5, v7, s[44:45]
	v_cndmask_b32_e64 v4, v4, v6, s[44:45]
.LBB261_691:                            ;   in Loop: Header=BB261_593 Depth=1
	v_mov_b64_e32 v[6:7], v[4:5]
.LBB261_692:                            ;   in Loop: Header=BB261_593 Depth=1
	s_or_b64 exec, exec, s[40:41]
	v_mov_b64_e32 v[4:5], v[6:7]
.LBB261_693:                            ;   in Loop: Header=BB261_593 Depth=1
	s_or_b64 exec, exec, s[34:35]
	v_cndmask_b32_e64 v9, v44, v46, s[28:29]
	v_cndmask_b32_e64 v8, v45, v47, s[28:29]
	;; [unrolled: 1-line block ×14, first 2 shown]
.LBB261_694:                            ;   in Loop: Header=BB261_593 Depth=1
	s_or_b64 exec, exec, s[10:11]
	s_cmpk_lt_u32 s3, 0x400
	s_barrier
	s_cbranch_scc0 .LBB261_696
; %bb.695:                              ;   in Loop: Header=BB261_593 Depth=1
	s_mov_b32 s3, s9
	s_branch .LBB261_593
.LBB261_696:
	s_barrier
	ds_write2_b64 v34, v[14:15], v[16:17] offset1:1
	ds_write2_b64 v34, v[10:11], v[12:13] offset0:2 offset1:3
	ds_write2_b64 v34, v[6:7], v[8:9] offset0:4 offset1:5
	ds_write2_b64 v34, v[2:3], v[4:5] offset0:6 offset1:7
	s_waitcnt lgkmcnt(0)
	s_barrier
	ds_read_b64 v[2:3], v1
	ds_read_b64 v[4:5], v21 offset:2048
	ds_read_b64 v[6:7], v28 offset:4096
	ds_read_b64 v[8:9], v29 offset:6144
	ds_read_b64 v[10:11], v30 offset:8192
	ds_read_b64 v[12:13], v31 offset:10240
	ds_read_b64 v[16:17], v32 offset:12288
	ds_read_b64 v[14:15], v33 offset:14336
	v_mov_b32_e32 v21, 0
	v_lshl_add_u64 v[22:23], s[30:31], 0, v[20:21]
	s_movk_i32 s0, 0x1000
	s_waitcnt lgkmcnt(7)
	global_store_dwordx2 v20, v[2:3], s[30:31]
	s_waitcnt lgkmcnt(6)
	global_store_dwordx2 v20, v[4:5], s[30:31] offset:2048
	v_add_co_u32_e32 v2, vcc, s0, v22
	s_nop 1
	v_addc_co_u32_e32 v3, vcc, 0, v23, vcc
	s_waitcnt lgkmcnt(5)
	global_store_dwordx2 v[2:3], v[6:7], off
	s_waitcnt lgkmcnt(4)
	global_store_dwordx2 v[2:3], v[8:9], off offset:2048
	v_add_co_u32_e32 v2, vcc, 0x2000, v22
	s_mov_b64 s[34:35], -1
	s_nop 0
	v_addc_co_u32_e32 v3, vcc, 0, v23, vcc
	s_waitcnt lgkmcnt(3)
	global_store_dwordx2 v[2:3], v[10:11], off
	s_waitcnt lgkmcnt(2)
	global_store_dwordx2 v[2:3], v[12:13], off offset:2048
	v_add_co_u32_e32 v2, vcc, 0x3000, v22
	s_nop 1
	v_addc_co_u32_e32 v3, vcc, 0, v23, vcc
	s_waitcnt lgkmcnt(1)
	global_store_dwordx2 v[2:3], v[16:17], off
	s_branch .LBB261_1482
.LBB261_697:
	s_lshl_b64 s[0:1], s[6:7], 11
	s_sub_i32 s33, s8, s0
	v_cmp_gt_u32_e64 s[0:1], s33, v18
	v_lshlrev_b32_e32 v20, 3, v18
                                        ; implicit-def: $vgpr8_vgpr9
	s_and_saveexec_b64 s[4:5], s[0:1]
	s_cbranch_execz .LBB261_699
; %bb.698:
	global_load_dwordx2 v[8:9], v20, s[18:19]
.LBB261_699:
	s_or_b64 exec, exec, s[4:5]
	v_add_u32_e32 v1, 0x100, v18
	v_cmp_gt_u32_e64 s[28:29], s33, v1
                                        ; implicit-def: $vgpr10_vgpr11
	s_and_saveexec_b64 s[4:5], s[28:29]
	s_cbranch_execz .LBB261_701
; %bb.700:
	global_load_dwordx2 v[10:11], v20, s[18:19] offset:2048
.LBB261_701:
	s_or_b64 exec, exec, s[4:5]
	v_add_u32_e32 v2, 0x200, v18
	v_cmp_gt_u32_e64 s[4:5], s33, v2
                                        ; implicit-def: $vgpr12_vgpr13
	s_and_saveexec_b64 s[6:7], s[4:5]
	s_cbranch_execz .LBB261_703
; %bb.702:
	v_lshlrev_b32_e32 v3, 3, v2
	global_load_dwordx2 v[12:13], v3, s[18:19]
.LBB261_703:
	s_or_b64 exec, exec, s[6:7]
	v_add_u32_e32 v3, 0x300, v18
	v_cmp_gt_u32_e64 s[6:7], s33, v3
                                        ; implicit-def: $vgpr14_vgpr15
	s_and_saveexec_b64 s[8:9], s[6:7]
	s_cbranch_execz .LBB261_705
; %bb.704:
	v_lshlrev_b32_e32 v4, 3, v3
	s_waitcnt lgkmcnt(0)
	global_load_dwordx2 v[14:15], v4, s[18:19]
.LBB261_705:
	s_or_b64 exec, exec, s[8:9]
	v_or_b32_e32 v4, 0x400, v18
	v_cmp_gt_u32_e64 s[8:9], s33, v4
                                        ; implicit-def: $vgpr16_vgpr17
	s_and_saveexec_b64 s[10:11], s[8:9]
	s_cbranch_execz .LBB261_707
; %bb.706:
	v_lshlrev_b32_e32 v5, 3, v4
	global_load_dwordx2 v[16:17], v5, s[18:19]
.LBB261_707:
	s_or_b64 exec, exec, s[10:11]
	v_add_u32_e32 v5, 0x500, v18
	v_cmp_gt_u32_e64 s[10:11], s33, v5
                                        ; implicit-def: $vgpr22_vgpr23
	s_and_saveexec_b64 s[12:13], s[10:11]
	s_cbranch_execz .LBB261_709
; %bb.708:
	v_lshlrev_b32_e32 v6, 3, v5
	global_load_dwordx2 v[22:23], v6, s[18:19]
.LBB261_709:
	s_or_b64 exec, exec, s[12:13]
	v_add_u32_e32 v6, 0x600, v18
	v_cmp_gt_u32_e64 s[12:13], s33, v6
                                        ; implicit-def: $vgpr24_vgpr25
	s_and_saveexec_b64 s[20:21], s[12:13]
	s_cbranch_execz .LBB261_711
; %bb.710:
	v_lshlrev_b32_e32 v7, 3, v6
	global_load_dwordx2 v[24:25], v7, s[18:19]
.LBB261_711:
	s_or_b64 exec, exec, s[20:21]
	v_add_u32_e32 v7, 0x700, v18
	v_cmp_gt_u32_e64 s[34:35], s33, v7
                                        ; implicit-def: $vgpr32_vgpr33
	s_and_saveexec_b64 s[20:21], s[34:35]
	s_cbranch_execz .LBB261_713
; %bb.712:
	v_lshlrev_b32_e32 v19, 3, v7
	global_load_dwordx2 v[32:33], v19, s[18:19]
.LBB261_713:
	s_or_b64 exec, exec, s[20:21]
	v_lshrrev_b32_e32 v1, 2, v1
	v_and_b32_e32 v1, 0x1f8, v1
	v_add_u32_e32 v21, v1, v20
	v_lshrrev_b32_e32 v1, 2, v2
	v_and_b32_e32 v1, 0x1f8, v1
	v_add_u32_e32 v26, v1, v20
	;; [unrolled: 3-line block ×6, first 2 shown]
	v_lshrrev_b32_e32 v1, 2, v7
	v_and_b32_e32 v1, 0x3f8, v1
	v_lshrrev_b32_e32 v19, 2, v18
	v_add_u32_e32 v31, v1, v20
	v_lshlrev_b32_e32 v1, 1, v18
	v_and_b32_e32 v19, 0xf8, v19
	v_and_b32_e32 v1, 0x7f8, v1
	v_add_u32_e32 v19, v19, v20
	s_waitcnt vmcnt(0)
	ds_write_b64 v31, v[32:33] offset:14336
	v_lshl_add_u32 v32, v18, 6, v1
	ds_write_b64 v19, v[8:9]
	ds_write_b64 v21, v[10:11] offset:2048
	ds_write_b64 v26, v[12:13] offset:4096
	s_waitcnt lgkmcnt(4)
	ds_write_b64 v27, v[14:15] offset:6144
	ds_write_b64 v28, v[16:17] offset:8192
	ds_write_b64 v29, v[22:23] offset:10240
	ds_write_b64 v30, v[24:25] offset:12288
	s_waitcnt lgkmcnt(0)
	s_barrier
	ds_read2_b64 v[14:17], v32 offset1:1
	ds_read2_b64 v[10:13], v32 offset0:2 offset1:3
	ds_read2_b64 v[6:9], v32 offset0:4 offset1:5
	;; [unrolled: 1-line block ×3, first 2 shown]
	s_waitcnt lgkmcnt(0)
	s_barrier
	s_load_dword s3, s[14:15], 0xc
	v_mov_b32_e32 v1, 0
	v_bfe_u32 v22, v0, 10, 10
	v_bfe_u32 v0, v0, 20, 10
	v_cmp_gt_i64_e64 s[40:41], s[36:37], 0
	s_waitcnt lgkmcnt(0)
	s_lshr_b32 s17, s3, 16
	s_cmp_lt_u32 s2, s16
	s_cselect_b32 s2, 12, 18
	s_add_u32 s2, s14, s2
	s_addc_u32 s3, s15, 0
	global_load_ushort v1, v1, s[2:3]
	v_mad_u32_u24 v0, v0, s17, v22
	s_waitcnt vmcnt(0)
	v_mul_lo_u32 v0, v0, v1
	v_add_lshl_u32 v24, v0, v18, 3
	v_sub_u32_e64 v25, s33, v24 clamp
	v_cmp_lt_u32_e64 s[14:15], 1, v25
	s_and_saveexec_b64 s[2:3], s[14:15]
	s_cbranch_execz .LBB261_722
; %bb.714:
	s_andn2_b64 vcc, exec, s[40:41]
	s_cbranch_vccnz .LBB261_722
; %bb.715:
	v_mov_b64_e32 v[22:23], s[38:39]
	v_mad_u64_u32 v[0:1], s[16:17], v16, s36, v[22:23]
	v_mul_lo_u32 v33, v16, s37
	v_mul_lo_u32 v34, v17, s36
	v_add3_u32 v1, v34, v1, v33
	v_mad_u64_u32 v[22:23], s[16:17], v14, s36, v[22:23]
	v_mul_lo_u32 v33, v14, s37
	v_mul_lo_u32 v34, v15, s36
	v_add3_u32 v23, v34, v23, v33
	s_mov_b64 s[18:19], 0
	s_mov_b64 s[42:43], s[36:37]
                                        ; implicit-def: $sgpr16_sgpr17
                                        ; implicit-def: $sgpr20_sgpr21
                                        ; implicit-def: $sgpr24_sgpr25
                                        ; implicit-def: $sgpr22_sgpr23
                                        ; implicit-def: $sgpr26_sgpr27
	s_branch .LBB261_717
.LBB261_716:                            ;   in Loop: Header=BB261_717 Depth=1
	s_or_b64 exec, exec, s[48:49]
	s_and_b64 s[46:47], s[46:47], s[26:27]
	s_or_b64 s[44:45], s[44:45], s[46:47]
	s_and_b64 s[46:47], exec, s[24:25]
	s_or_b64 s[18:19], s[46:47], s[18:19]
	s_andn2_b64 s[26:27], s[26:27], exec
	s_and_b64 s[44:45], s[44:45], exec
	s_andn2_b64 s[20:21], s[20:21], exec
	s_and_b64 s[46:47], s[22:23], exec
	s_andn2_b64 s[16:17], s[16:17], exec
	s_or_b64 s[26:27], s[26:27], s[44:45]
	s_or_b64 s[20:21], s[20:21], s[46:47]
	;; [unrolled: 1-line block ×3, first 2 shown]
	s_andn2_b64 exec, exec, s[18:19]
	s_cbranch_execz .LBB261_719
.LBB261_717:                            ; =>This Inner Loop Header: Depth=1
	global_load_ubyte v33, v[0:1], off
	global_load_ubyte v34, v[22:23], off
	s_or_b64 s[22:23], s[22:23], exec
	s_or_b64 s[24:25], s[24:25], exec
	s_waitcnt vmcnt(0)
	v_cmp_lt_i16_sdwa s[44:45], sext(v33), sext(v34) src0_sel:BYTE_0 src1_sel:BYTE_0
	v_cmp_le_i16_sdwa s[46:47], sext(v33), sext(v34) src0_sel:BYTE_0 src1_sel:BYTE_0
	v_cmp_eq_u16_sdwa s[50:51], v33, v34 src0_sel:BYTE_0 src1_sel:BYTE_0
	s_and_saveexec_b64 s[48:49], s[50:51]
	s_cbranch_execz .LBB261_716
; %bb.718:                              ;   in Loop: Header=BB261_717 Depth=1
	s_add_u32 s42, s42, -1
	s_addc_u32 s43, s43, -1
	s_cmp_eq_u64 s[42:43], 0
	s_cselect_b64 s[50:51], -1, 0
	s_andn2_b64 s[24:25], s[24:25], exec
	s_and_b64 s[50:51], s[50:51], exec
	v_lshl_add_u64 v[0:1], v[0:1], 0, 1
	v_lshl_add_u64 v[22:23], v[22:23], 0, 1
	s_andn2_b64 s[22:23], s[22:23], exec
	s_or_b64 s[24:25], s[24:25], s[50:51]
	s_branch .LBB261_716
.LBB261_719:
	s_or_b64 exec, exec, s[18:19]
	s_and_saveexec_b64 s[18:19], s[20:21]
	s_xor_b64 s[18:19], exec, s[18:19]
; %bb.720:
	v_cndmask_b32_e64 v1, v17, v15, s[16:17]
	v_cndmask_b32_e64 v0, v16, v14, s[16:17]
	;; [unrolled: 1-line block ×4, first 2 shown]
	v_mov_b64_e32 v[16:17], v[0:1]
; %bb.721:
	s_or_b64 exec, exec, s[18:19]
.LBB261_722:
	s_or_b64 exec, exec, s[2:3]
	v_cmp_lt_u32_e64 s[16:17], 3, v25
	s_and_saveexec_b64 s[2:3], s[16:17]
	s_cbranch_execz .LBB261_731
; %bb.723:
	s_andn2_b64 vcc, exec, s[40:41]
	s_cbranch_vccnz .LBB261_731
; %bb.724:
	v_mov_b64_e32 v[22:23], s[38:39]
	v_mad_u64_u32 v[0:1], s[18:19], v12, s36, v[22:23]
	v_mul_lo_u32 v33, v12, s37
	v_mul_lo_u32 v34, v13, s36
	v_add3_u32 v1, v34, v1, v33
	v_mad_u64_u32 v[22:23], s[18:19], v10, s36, v[22:23]
	v_mul_lo_u32 v33, v10, s37
	v_mul_lo_u32 v34, v11, s36
	v_add3_u32 v23, v34, v23, v33
	s_mov_b64 s[20:21], 0
	s_mov_b64 s[44:45], s[36:37]
                                        ; implicit-def: $sgpr18_sgpr19
                                        ; implicit-def: $sgpr22_sgpr23
                                        ; implicit-def: $sgpr26_sgpr27
                                        ; implicit-def: $sgpr24_sgpr25
                                        ; implicit-def: $sgpr42_sgpr43
	s_branch .LBB261_726
.LBB261_725:                            ;   in Loop: Header=BB261_726 Depth=1
	s_or_b64 exec, exec, s[50:51]
	s_and_b64 s[48:49], s[48:49], s[42:43]
	s_or_b64 s[46:47], s[46:47], s[48:49]
	s_and_b64 s[48:49], exec, s[26:27]
	s_or_b64 s[20:21], s[48:49], s[20:21]
	s_andn2_b64 s[42:43], s[42:43], exec
	s_and_b64 s[46:47], s[46:47], exec
	s_andn2_b64 s[22:23], s[22:23], exec
	s_and_b64 s[48:49], s[24:25], exec
	s_andn2_b64 s[18:19], s[18:19], exec
	s_or_b64 s[42:43], s[42:43], s[46:47]
	s_or_b64 s[22:23], s[22:23], s[48:49]
	s_or_b64 s[18:19], s[18:19], s[46:47]
	s_andn2_b64 exec, exec, s[20:21]
	s_cbranch_execz .LBB261_728
.LBB261_726:                            ; =>This Inner Loop Header: Depth=1
	global_load_ubyte v33, v[0:1], off
	global_load_ubyte v34, v[22:23], off
	s_or_b64 s[24:25], s[24:25], exec
	s_or_b64 s[26:27], s[26:27], exec
	s_waitcnt vmcnt(0)
	v_cmp_lt_i16_sdwa s[46:47], sext(v33), sext(v34) src0_sel:BYTE_0 src1_sel:BYTE_0
	v_cmp_le_i16_sdwa s[48:49], sext(v33), sext(v34) src0_sel:BYTE_0 src1_sel:BYTE_0
	v_cmp_eq_u16_sdwa s[52:53], v33, v34 src0_sel:BYTE_0 src1_sel:BYTE_0
	s_and_saveexec_b64 s[50:51], s[52:53]
	s_cbranch_execz .LBB261_725
; %bb.727:                              ;   in Loop: Header=BB261_726 Depth=1
	s_add_u32 s44, s44, -1
	s_addc_u32 s45, s45, -1
	s_cmp_eq_u64 s[44:45], 0
	s_cselect_b64 s[52:53], -1, 0
	s_andn2_b64 s[26:27], s[26:27], exec
	s_and_b64 s[52:53], s[52:53], exec
	v_lshl_add_u64 v[0:1], v[0:1], 0, 1
	v_lshl_add_u64 v[22:23], v[22:23], 0, 1
	s_andn2_b64 s[24:25], s[24:25], exec
	s_or_b64 s[26:27], s[26:27], s[52:53]
	s_branch .LBB261_725
.LBB261_728:
	s_or_b64 exec, exec, s[20:21]
	s_and_saveexec_b64 s[20:21], s[22:23]
	s_xor_b64 s[20:21], exec, s[20:21]
; %bb.729:
	v_cndmask_b32_e64 v1, v11, v13, s[18:19]
	v_cndmask_b32_e64 v0, v10, v12, s[18:19]
	;; [unrolled: 1-line block ×4, first 2 shown]
	v_mov_b64_e32 v[10:11], v[0:1]
; %bb.730:
	s_or_b64 exec, exec, s[20:21]
.LBB261_731:
	s_or_b64 exec, exec, s[2:3]
	v_cmp_lt_u32_e64 s[18:19], 5, v25
	s_and_saveexec_b64 s[2:3], s[18:19]
	s_cbranch_execz .LBB261_740
; %bb.732:
	s_andn2_b64 vcc, exec, s[40:41]
	s_cbranch_vccnz .LBB261_740
; %bb.733:
	v_mov_b64_e32 v[22:23], s[38:39]
	v_mad_u64_u32 v[0:1], s[20:21], v8, s36, v[22:23]
	v_mul_lo_u32 v33, v8, s37
	v_mul_lo_u32 v34, v9, s36
	v_add3_u32 v1, v34, v1, v33
	v_mad_u64_u32 v[22:23], s[20:21], v6, s36, v[22:23]
	v_mul_lo_u32 v33, v6, s37
	v_mul_lo_u32 v34, v7, s36
	v_add3_u32 v23, v34, v23, v33
	s_mov_b64 s[22:23], 0
	s_mov_b64 s[46:47], s[36:37]
                                        ; implicit-def: $sgpr20_sgpr21
                                        ; implicit-def: $sgpr24_sgpr25
                                        ; implicit-def: $sgpr42_sgpr43
                                        ; implicit-def: $sgpr26_sgpr27
                                        ; implicit-def: $sgpr44_sgpr45
	s_branch .LBB261_735
.LBB261_734:                            ;   in Loop: Header=BB261_735 Depth=1
	s_or_b64 exec, exec, s[52:53]
	s_and_b64 s[50:51], s[50:51], s[44:45]
	s_or_b64 s[48:49], s[48:49], s[50:51]
	s_and_b64 s[50:51], exec, s[42:43]
	s_or_b64 s[22:23], s[50:51], s[22:23]
	s_andn2_b64 s[44:45], s[44:45], exec
	s_and_b64 s[48:49], s[48:49], exec
	s_andn2_b64 s[24:25], s[24:25], exec
	s_and_b64 s[50:51], s[26:27], exec
	s_andn2_b64 s[20:21], s[20:21], exec
	s_or_b64 s[44:45], s[44:45], s[48:49]
	s_or_b64 s[24:25], s[24:25], s[50:51]
	;; [unrolled: 1-line block ×3, first 2 shown]
	s_andn2_b64 exec, exec, s[22:23]
	s_cbranch_execz .LBB261_737
.LBB261_735:                            ; =>This Inner Loop Header: Depth=1
	global_load_ubyte v33, v[0:1], off
	global_load_ubyte v34, v[22:23], off
	s_or_b64 s[26:27], s[26:27], exec
	s_or_b64 s[42:43], s[42:43], exec
	s_waitcnt vmcnt(0)
	v_cmp_lt_i16_sdwa s[48:49], sext(v33), sext(v34) src0_sel:BYTE_0 src1_sel:BYTE_0
	v_cmp_le_i16_sdwa s[50:51], sext(v33), sext(v34) src0_sel:BYTE_0 src1_sel:BYTE_0
	v_cmp_eq_u16_sdwa s[54:55], v33, v34 src0_sel:BYTE_0 src1_sel:BYTE_0
	s_and_saveexec_b64 s[52:53], s[54:55]
	s_cbranch_execz .LBB261_734
; %bb.736:                              ;   in Loop: Header=BB261_735 Depth=1
	s_add_u32 s46, s46, -1
	s_addc_u32 s47, s47, -1
	s_cmp_eq_u64 s[46:47], 0
	s_cselect_b64 s[54:55], -1, 0
	s_andn2_b64 s[42:43], s[42:43], exec
	s_and_b64 s[54:55], s[54:55], exec
	v_lshl_add_u64 v[0:1], v[0:1], 0, 1
	v_lshl_add_u64 v[22:23], v[22:23], 0, 1
	s_andn2_b64 s[26:27], s[26:27], exec
	s_or_b64 s[42:43], s[42:43], s[54:55]
	s_branch .LBB261_734
.LBB261_737:
	s_or_b64 exec, exec, s[22:23]
	s_and_saveexec_b64 s[22:23], s[24:25]
	s_xor_b64 s[22:23], exec, s[22:23]
; %bb.738:
	v_cndmask_b32_e64 v1, v7, v9, s[20:21]
	v_cndmask_b32_e64 v0, v6, v8, s[20:21]
	v_cndmask_b32_e64 v9, v9, v7, s[20:21]
	v_cndmask_b32_e64 v8, v8, v6, s[20:21]
	v_mov_b64_e32 v[6:7], v[0:1]
; %bb.739:
	s_or_b64 exec, exec, s[22:23]
.LBB261_740:
	s_or_b64 exec, exec, s[2:3]
	v_cmp_lt_u32_e64 s[20:21], 7, v25
	s_and_saveexec_b64 s[2:3], s[20:21]
	s_cbranch_execz .LBB261_749
; %bb.741:
	s_andn2_b64 vcc, exec, s[40:41]
	s_cbranch_vccnz .LBB261_749
; %bb.742:
	v_mov_b64_e32 v[22:23], s[38:39]
	v_mad_u64_u32 v[0:1], s[22:23], v4, s36, v[22:23]
	v_mul_lo_u32 v33, v4, s37
	v_mul_lo_u32 v34, v5, s36
	v_add3_u32 v1, v34, v1, v33
	v_mad_u64_u32 v[22:23], s[22:23], v2, s36, v[22:23]
	v_mul_lo_u32 v33, v2, s37
	v_mul_lo_u32 v34, v3, s36
	v_add3_u32 v23, v34, v23, v33
	s_mov_b64 s[24:25], 0
	s_mov_b64 s[48:49], s[36:37]
                                        ; implicit-def: $sgpr22_sgpr23
                                        ; implicit-def: $sgpr26_sgpr27
                                        ; implicit-def: $sgpr44_sgpr45
                                        ; implicit-def: $sgpr42_sgpr43
                                        ; implicit-def: $sgpr46_sgpr47
	s_branch .LBB261_744
.LBB261_743:                            ;   in Loop: Header=BB261_744 Depth=1
	s_or_b64 exec, exec, s[54:55]
	s_and_b64 s[52:53], s[52:53], s[46:47]
	s_or_b64 s[50:51], s[50:51], s[52:53]
	s_and_b64 s[52:53], exec, s[44:45]
	s_or_b64 s[24:25], s[52:53], s[24:25]
	s_andn2_b64 s[46:47], s[46:47], exec
	s_and_b64 s[50:51], s[50:51], exec
	s_andn2_b64 s[26:27], s[26:27], exec
	s_and_b64 s[52:53], s[42:43], exec
	s_andn2_b64 s[22:23], s[22:23], exec
	s_or_b64 s[46:47], s[46:47], s[50:51]
	s_or_b64 s[26:27], s[26:27], s[52:53]
	;; [unrolled: 1-line block ×3, first 2 shown]
	s_andn2_b64 exec, exec, s[24:25]
	s_cbranch_execz .LBB261_746
.LBB261_744:                            ; =>This Inner Loop Header: Depth=1
	global_load_ubyte v33, v[0:1], off
	global_load_ubyte v34, v[22:23], off
	s_or_b64 s[42:43], s[42:43], exec
	s_or_b64 s[44:45], s[44:45], exec
	s_waitcnt vmcnt(0)
	v_cmp_lt_i16_sdwa s[50:51], sext(v33), sext(v34) src0_sel:BYTE_0 src1_sel:BYTE_0
	v_cmp_le_i16_sdwa s[52:53], sext(v33), sext(v34) src0_sel:BYTE_0 src1_sel:BYTE_0
	v_cmp_eq_u16_sdwa s[56:57], v33, v34 src0_sel:BYTE_0 src1_sel:BYTE_0
	s_and_saveexec_b64 s[54:55], s[56:57]
	s_cbranch_execz .LBB261_743
; %bb.745:                              ;   in Loop: Header=BB261_744 Depth=1
	s_add_u32 s48, s48, -1
	s_addc_u32 s49, s49, -1
	s_cmp_eq_u64 s[48:49], 0
	s_cselect_b64 s[56:57], -1, 0
	s_andn2_b64 s[44:45], s[44:45], exec
	s_and_b64 s[56:57], s[56:57], exec
	v_lshl_add_u64 v[0:1], v[0:1], 0, 1
	v_lshl_add_u64 v[22:23], v[22:23], 0, 1
	s_andn2_b64 s[42:43], s[42:43], exec
	s_or_b64 s[44:45], s[44:45], s[56:57]
	s_branch .LBB261_743
.LBB261_746:
	s_or_b64 exec, exec, s[24:25]
	s_and_saveexec_b64 s[24:25], s[26:27]
	s_xor_b64 s[24:25], exec, s[24:25]
; %bb.747:
	v_cndmask_b32_e64 v1, v3, v5, s[22:23]
	v_cndmask_b32_e64 v0, v2, v4, s[22:23]
	;; [unrolled: 1-line block ×4, first 2 shown]
	v_mov_b64_e32 v[2:3], v[0:1]
; %bb.748:
	s_or_b64 exec, exec, s[24:25]
.LBB261_749:
	s_or_b64 exec, exec, s[2:3]
	v_cmp_lt_u32_e64 s[22:23], 2, v25
	s_and_saveexec_b64 s[2:3], s[22:23]
	s_xor_b64 s[2:3], exec, s[2:3]
	s_cbranch_execz .LBB261_758
; %bb.750:
	s_andn2_b64 vcc, exec, s[40:41]
	s_cbranch_vccnz .LBB261_758
; %bb.751:
	v_mov_b64_e32 v[22:23], s[38:39]
	v_mad_u64_u32 v[0:1], s[24:25], v10, s36, v[22:23]
	v_mul_lo_u32 v33, v10, s37
	v_mul_lo_u32 v34, v11, s36
	v_add3_u32 v1, v34, v1, v33
	v_mad_u64_u32 v[22:23], s[24:25], v16, s36, v[22:23]
	v_mul_lo_u32 v33, v16, s37
	v_mul_lo_u32 v34, v17, s36
	v_add3_u32 v23, v34, v23, v33
	s_mov_b64 s[26:27], 0
	s_mov_b64 s[50:51], s[36:37]
                                        ; implicit-def: $sgpr24_sgpr25
                                        ; implicit-def: $sgpr42_sgpr43
                                        ; implicit-def: $sgpr46_sgpr47
                                        ; implicit-def: $sgpr44_sgpr45
                                        ; implicit-def: $sgpr48_sgpr49
	s_branch .LBB261_753
.LBB261_752:                            ;   in Loop: Header=BB261_753 Depth=1
	s_or_b64 exec, exec, s[56:57]
	s_and_b64 s[54:55], s[54:55], s[48:49]
	s_or_b64 s[52:53], s[52:53], s[54:55]
	s_and_b64 s[54:55], exec, s[46:47]
	s_or_b64 s[26:27], s[54:55], s[26:27]
	s_andn2_b64 s[48:49], s[48:49], exec
	s_and_b64 s[52:53], s[52:53], exec
	s_andn2_b64 s[42:43], s[42:43], exec
	s_and_b64 s[54:55], s[44:45], exec
	s_andn2_b64 s[24:25], s[24:25], exec
	s_or_b64 s[48:49], s[48:49], s[52:53]
	s_or_b64 s[42:43], s[42:43], s[54:55]
	;; [unrolled: 1-line block ×3, first 2 shown]
	s_andn2_b64 exec, exec, s[26:27]
	s_cbranch_execz .LBB261_755
.LBB261_753:                            ; =>This Inner Loop Header: Depth=1
	global_load_ubyte v33, v[0:1], off
	global_load_ubyte v34, v[22:23], off
	s_or_b64 s[44:45], s[44:45], exec
	s_or_b64 s[46:47], s[46:47], exec
	s_waitcnt vmcnt(0)
	v_cmp_lt_i16_sdwa s[52:53], sext(v33), sext(v34) src0_sel:BYTE_0 src1_sel:BYTE_0
	v_cmp_le_i16_sdwa s[54:55], sext(v33), sext(v34) src0_sel:BYTE_0 src1_sel:BYTE_0
	v_cmp_eq_u16_sdwa s[58:59], v33, v34 src0_sel:BYTE_0 src1_sel:BYTE_0
	s_and_saveexec_b64 s[56:57], s[58:59]
	s_cbranch_execz .LBB261_752
; %bb.754:                              ;   in Loop: Header=BB261_753 Depth=1
	s_add_u32 s50, s50, -1
	s_addc_u32 s51, s51, -1
	s_cmp_eq_u64 s[50:51], 0
	s_cselect_b64 s[58:59], -1, 0
	s_andn2_b64 s[46:47], s[46:47], exec
	s_and_b64 s[58:59], s[58:59], exec
	v_lshl_add_u64 v[0:1], v[0:1], 0, 1
	v_lshl_add_u64 v[22:23], v[22:23], 0, 1
	s_andn2_b64 s[44:45], s[44:45], exec
	s_or_b64 s[46:47], s[46:47], s[58:59]
	s_branch .LBB261_752
.LBB261_755:
	s_or_b64 exec, exec, s[26:27]
	s_and_saveexec_b64 s[26:27], s[42:43]
	s_xor_b64 s[26:27], exec, s[26:27]
; %bb.756:
	v_cndmask_b32_e64 v1, v17, v11, s[24:25]
	v_cndmask_b32_e64 v0, v16, v10, s[24:25]
	;; [unrolled: 1-line block ×4, first 2 shown]
	v_mov_b64_e32 v[16:17], v[0:1]
; %bb.757:
	s_or_b64 exec, exec, s[26:27]
.LBB261_758:
	s_or_b64 exec, exec, s[2:3]
	v_cmp_lt_u32_e64 s[24:25], 4, v25
	s_and_saveexec_b64 s[2:3], s[24:25]
	s_cbranch_execz .LBB261_767
; %bb.759:
	s_andn2_b64 vcc, exec, s[40:41]
	s_cbranch_vccnz .LBB261_767
; %bb.760:
	v_mov_b64_e32 v[22:23], s[38:39]
	v_mad_u64_u32 v[0:1], s[26:27], v6, s36, v[22:23]
	v_mul_lo_u32 v33, v6, s37
	v_mul_lo_u32 v34, v7, s36
	v_add3_u32 v1, v34, v1, v33
	v_mad_u64_u32 v[22:23], s[26:27], v12, s36, v[22:23]
	v_mul_lo_u32 v33, v12, s37
	v_mul_lo_u32 v34, v13, s36
	v_add3_u32 v23, v34, v23, v33
	s_mov_b64 s[42:43], 0
	s_mov_b64 s[52:53], s[36:37]
                                        ; implicit-def: $sgpr26_sgpr27
                                        ; implicit-def: $sgpr44_sgpr45
                                        ; implicit-def: $sgpr48_sgpr49
                                        ; implicit-def: $sgpr46_sgpr47
                                        ; implicit-def: $sgpr50_sgpr51
	s_branch .LBB261_762
.LBB261_761:                            ;   in Loop: Header=BB261_762 Depth=1
	s_or_b64 exec, exec, s[58:59]
	s_and_b64 s[56:57], s[56:57], s[50:51]
	s_or_b64 s[54:55], s[54:55], s[56:57]
	s_and_b64 s[56:57], exec, s[48:49]
	s_or_b64 s[42:43], s[56:57], s[42:43]
	s_andn2_b64 s[50:51], s[50:51], exec
	s_and_b64 s[54:55], s[54:55], exec
	s_andn2_b64 s[44:45], s[44:45], exec
	s_and_b64 s[56:57], s[46:47], exec
	s_andn2_b64 s[26:27], s[26:27], exec
	s_or_b64 s[50:51], s[50:51], s[54:55]
	s_or_b64 s[44:45], s[44:45], s[56:57]
	;; [unrolled: 1-line block ×3, first 2 shown]
	s_andn2_b64 exec, exec, s[42:43]
	s_cbranch_execz .LBB261_764
.LBB261_762:                            ; =>This Inner Loop Header: Depth=1
	global_load_ubyte v33, v[0:1], off
	global_load_ubyte v34, v[22:23], off
	s_or_b64 s[46:47], s[46:47], exec
	s_or_b64 s[48:49], s[48:49], exec
	s_waitcnt vmcnt(0)
	v_cmp_lt_i16_sdwa s[54:55], sext(v33), sext(v34) src0_sel:BYTE_0 src1_sel:BYTE_0
	v_cmp_le_i16_sdwa s[56:57], sext(v33), sext(v34) src0_sel:BYTE_0 src1_sel:BYTE_0
	v_cmp_eq_u16_sdwa s[60:61], v33, v34 src0_sel:BYTE_0 src1_sel:BYTE_0
	s_and_saveexec_b64 s[58:59], s[60:61]
	s_cbranch_execz .LBB261_761
; %bb.763:                              ;   in Loop: Header=BB261_762 Depth=1
	s_add_u32 s52, s52, -1
	s_addc_u32 s53, s53, -1
	s_cmp_eq_u64 s[52:53], 0
	s_cselect_b64 s[60:61], -1, 0
	s_andn2_b64 s[48:49], s[48:49], exec
	s_and_b64 s[60:61], s[60:61], exec
	v_lshl_add_u64 v[0:1], v[0:1], 0, 1
	v_lshl_add_u64 v[22:23], v[22:23], 0, 1
	s_andn2_b64 s[46:47], s[46:47], exec
	s_or_b64 s[48:49], s[48:49], s[60:61]
	s_branch .LBB261_761
.LBB261_764:
	s_or_b64 exec, exec, s[42:43]
	s_and_saveexec_b64 s[42:43], s[44:45]
	s_xor_b64 s[42:43], exec, s[42:43]
; %bb.765:
	v_cndmask_b32_e64 v1, v13, v7, s[26:27]
	v_cndmask_b32_e64 v0, v12, v6, s[26:27]
	;; [unrolled: 1-line block ×4, first 2 shown]
	v_mov_b64_e32 v[12:13], v[0:1]
; %bb.766:
	s_or_b64 exec, exec, s[42:43]
.LBB261_767:
	s_or_b64 exec, exec, s[2:3]
	v_cmp_lt_u32_e64 s[26:27], 6, v25
	s_and_saveexec_b64 s[2:3], s[26:27]
	s_cbranch_execz .LBB261_776
; %bb.768:
	s_andn2_b64 vcc, exec, s[40:41]
	s_cbranch_vccnz .LBB261_776
; %bb.769:
	v_mov_b64_e32 v[22:23], s[38:39]
	v_mad_u64_u32 v[0:1], s[42:43], v2, s36, v[22:23]
	v_mul_lo_u32 v25, v2, s37
	v_mul_lo_u32 v33, v3, s36
	v_add3_u32 v1, v33, v1, v25
	v_mad_u64_u32 v[22:23], s[42:43], v8, s36, v[22:23]
	v_mul_lo_u32 v25, v8, s37
	v_mul_lo_u32 v33, v9, s36
	v_add3_u32 v23, v33, v23, v25
	s_mov_b64 s[44:45], 0
	s_mov_b64 s[54:55], s[36:37]
                                        ; implicit-def: $sgpr42_sgpr43
                                        ; implicit-def: $sgpr46_sgpr47
                                        ; implicit-def: $sgpr50_sgpr51
                                        ; implicit-def: $sgpr48_sgpr49
                                        ; implicit-def: $sgpr52_sgpr53
	s_branch .LBB261_771
.LBB261_770:                            ;   in Loop: Header=BB261_771 Depth=1
	s_or_b64 exec, exec, s[60:61]
	s_and_b64 s[58:59], s[58:59], s[52:53]
	s_or_b64 s[56:57], s[56:57], s[58:59]
	s_and_b64 s[58:59], exec, s[50:51]
	s_or_b64 s[44:45], s[58:59], s[44:45]
	s_andn2_b64 s[52:53], s[52:53], exec
	s_and_b64 s[56:57], s[56:57], exec
	s_andn2_b64 s[46:47], s[46:47], exec
	s_and_b64 s[58:59], s[48:49], exec
	s_andn2_b64 s[42:43], s[42:43], exec
	s_or_b64 s[52:53], s[52:53], s[56:57]
	s_or_b64 s[46:47], s[46:47], s[58:59]
	;; [unrolled: 1-line block ×3, first 2 shown]
	s_andn2_b64 exec, exec, s[44:45]
	s_cbranch_execz .LBB261_773
.LBB261_771:                            ; =>This Inner Loop Header: Depth=1
	global_load_ubyte v25, v[0:1], off
	global_load_ubyte v33, v[22:23], off
	s_or_b64 s[48:49], s[48:49], exec
	s_or_b64 s[50:51], s[50:51], exec
	s_waitcnt vmcnt(0)
	v_cmp_lt_i16_sdwa s[56:57], sext(v25), sext(v33) src0_sel:BYTE_0 src1_sel:BYTE_0
	v_cmp_le_i16_sdwa s[58:59], sext(v25), sext(v33) src0_sel:BYTE_0 src1_sel:BYTE_0
	v_cmp_eq_u16_sdwa s[62:63], v25, v33 src0_sel:BYTE_0 src1_sel:BYTE_0
	s_and_saveexec_b64 s[60:61], s[62:63]
	s_cbranch_execz .LBB261_770
; %bb.772:                              ;   in Loop: Header=BB261_771 Depth=1
	s_add_u32 s54, s54, -1
	s_addc_u32 s55, s55, -1
	s_cmp_eq_u64 s[54:55], 0
	s_cselect_b64 s[62:63], -1, 0
	s_andn2_b64 s[50:51], s[50:51], exec
	s_and_b64 s[62:63], s[62:63], exec
	v_lshl_add_u64 v[0:1], v[0:1], 0, 1
	v_lshl_add_u64 v[22:23], v[22:23], 0, 1
	s_andn2_b64 s[48:49], s[48:49], exec
	s_or_b64 s[50:51], s[50:51], s[62:63]
	s_branch .LBB261_770
.LBB261_773:
	s_or_b64 exec, exec, s[44:45]
	s_and_saveexec_b64 s[44:45], s[46:47]
	s_xor_b64 s[44:45], exec, s[44:45]
; %bb.774:
	v_cndmask_b32_e64 v1, v9, v3, s[42:43]
	v_cndmask_b32_e64 v0, v8, v2, s[42:43]
	;; [unrolled: 1-line block ×4, first 2 shown]
	v_mov_b64_e32 v[8:9], v[0:1]
; %bb.775:
	s_or_b64 exec, exec, s[44:45]
.LBB261_776:
	s_or_b64 exec, exec, s[2:3]
	s_and_saveexec_b64 s[2:3], s[14:15]
	s_cbranch_execz .LBB261_785
; %bb.777:
	s_andn2_b64 vcc, exec, s[40:41]
	s_cbranch_vccnz .LBB261_785
; %bb.778:
	v_mov_b64_e32 v[22:23], s[38:39]
	v_mad_u64_u32 v[0:1], s[42:43], v16, s36, v[22:23]
	v_mul_lo_u32 v25, v16, s37
	v_mul_lo_u32 v33, v17, s36
	v_add3_u32 v1, v33, v1, v25
	v_mad_u64_u32 v[22:23], s[42:43], v14, s36, v[22:23]
	v_mul_lo_u32 v25, v14, s37
	v_mul_lo_u32 v33, v15, s36
	v_add3_u32 v23, v33, v23, v25
	s_mov_b64 s[44:45], 0
	s_mov_b64 s[54:55], s[36:37]
                                        ; implicit-def: $sgpr42_sgpr43
                                        ; implicit-def: $sgpr46_sgpr47
                                        ; implicit-def: $sgpr50_sgpr51
                                        ; implicit-def: $sgpr48_sgpr49
                                        ; implicit-def: $sgpr52_sgpr53
	s_branch .LBB261_780
.LBB261_779:                            ;   in Loop: Header=BB261_780 Depth=1
	s_or_b64 exec, exec, s[60:61]
	s_and_b64 s[58:59], s[58:59], s[52:53]
	s_or_b64 s[56:57], s[56:57], s[58:59]
	s_and_b64 s[58:59], exec, s[50:51]
	s_or_b64 s[44:45], s[58:59], s[44:45]
	s_andn2_b64 s[52:53], s[52:53], exec
	s_and_b64 s[56:57], s[56:57], exec
	s_andn2_b64 s[46:47], s[46:47], exec
	s_and_b64 s[58:59], s[48:49], exec
	s_andn2_b64 s[42:43], s[42:43], exec
	s_or_b64 s[52:53], s[52:53], s[56:57]
	s_or_b64 s[46:47], s[46:47], s[58:59]
	s_or_b64 s[42:43], s[42:43], s[56:57]
	s_andn2_b64 exec, exec, s[44:45]
	s_cbranch_execz .LBB261_782
.LBB261_780:                            ; =>This Inner Loop Header: Depth=1
	global_load_ubyte v25, v[0:1], off
	global_load_ubyte v33, v[22:23], off
	s_or_b64 s[48:49], s[48:49], exec
	s_or_b64 s[50:51], s[50:51], exec
	s_waitcnt vmcnt(0)
	v_cmp_lt_i16_sdwa s[56:57], sext(v25), sext(v33) src0_sel:BYTE_0 src1_sel:BYTE_0
	v_cmp_le_i16_sdwa s[58:59], sext(v25), sext(v33) src0_sel:BYTE_0 src1_sel:BYTE_0
	v_cmp_eq_u16_sdwa s[62:63], v25, v33 src0_sel:BYTE_0 src1_sel:BYTE_0
	s_and_saveexec_b64 s[60:61], s[62:63]
	s_cbranch_execz .LBB261_779
; %bb.781:                              ;   in Loop: Header=BB261_780 Depth=1
	s_add_u32 s54, s54, -1
	s_addc_u32 s55, s55, -1
	s_cmp_eq_u64 s[54:55], 0
	s_cselect_b64 s[62:63], -1, 0
	s_andn2_b64 s[50:51], s[50:51], exec
	s_and_b64 s[62:63], s[62:63], exec
	v_lshl_add_u64 v[0:1], v[0:1], 0, 1
	v_lshl_add_u64 v[22:23], v[22:23], 0, 1
	s_andn2_b64 s[48:49], s[48:49], exec
	s_or_b64 s[50:51], s[50:51], s[62:63]
	s_branch .LBB261_779
.LBB261_782:
	s_or_b64 exec, exec, s[44:45]
	s_and_saveexec_b64 s[44:45], s[46:47]
	s_xor_b64 s[44:45], exec, s[44:45]
; %bb.783:
	v_cndmask_b32_e64 v1, v17, v15, s[42:43]
	v_cndmask_b32_e64 v0, v16, v14, s[42:43]
	;; [unrolled: 1-line block ×4, first 2 shown]
	v_mov_b64_e32 v[16:17], v[0:1]
; %bb.784:
	s_or_b64 exec, exec, s[44:45]
.LBB261_785:
	s_or_b64 exec, exec, s[2:3]
	s_and_saveexec_b64 s[2:3], s[16:17]
	s_cbranch_execz .LBB261_794
; %bb.786:
	s_andn2_b64 vcc, exec, s[40:41]
	s_cbranch_vccnz .LBB261_794
; %bb.787:
	v_mov_b64_e32 v[22:23], s[38:39]
	v_mad_u64_u32 v[0:1], s[42:43], v12, s36, v[22:23]
	v_mul_lo_u32 v25, v12, s37
	v_mul_lo_u32 v33, v13, s36
	v_add3_u32 v1, v33, v1, v25
	v_mad_u64_u32 v[22:23], s[42:43], v10, s36, v[22:23]
	v_mul_lo_u32 v25, v10, s37
	v_mul_lo_u32 v33, v11, s36
	v_add3_u32 v23, v33, v23, v25
	s_mov_b64 s[44:45], 0
	s_mov_b64 s[54:55], s[36:37]
                                        ; implicit-def: $sgpr42_sgpr43
                                        ; implicit-def: $sgpr46_sgpr47
                                        ; implicit-def: $sgpr50_sgpr51
                                        ; implicit-def: $sgpr48_sgpr49
                                        ; implicit-def: $sgpr52_sgpr53
	s_branch .LBB261_789
.LBB261_788:                            ;   in Loop: Header=BB261_789 Depth=1
	s_or_b64 exec, exec, s[60:61]
	s_and_b64 s[58:59], s[58:59], s[52:53]
	s_or_b64 s[56:57], s[56:57], s[58:59]
	s_and_b64 s[58:59], exec, s[50:51]
	s_or_b64 s[44:45], s[58:59], s[44:45]
	s_andn2_b64 s[52:53], s[52:53], exec
	s_and_b64 s[56:57], s[56:57], exec
	s_andn2_b64 s[46:47], s[46:47], exec
	s_and_b64 s[58:59], s[48:49], exec
	s_andn2_b64 s[42:43], s[42:43], exec
	s_or_b64 s[52:53], s[52:53], s[56:57]
	s_or_b64 s[46:47], s[46:47], s[58:59]
	;; [unrolled: 1-line block ×3, first 2 shown]
	s_andn2_b64 exec, exec, s[44:45]
	s_cbranch_execz .LBB261_791
.LBB261_789:                            ; =>This Inner Loop Header: Depth=1
	global_load_ubyte v25, v[0:1], off
	global_load_ubyte v33, v[22:23], off
	s_or_b64 s[48:49], s[48:49], exec
	s_or_b64 s[50:51], s[50:51], exec
	s_waitcnt vmcnt(0)
	v_cmp_lt_i16_sdwa s[56:57], sext(v25), sext(v33) src0_sel:BYTE_0 src1_sel:BYTE_0
	v_cmp_le_i16_sdwa s[58:59], sext(v25), sext(v33) src0_sel:BYTE_0 src1_sel:BYTE_0
	v_cmp_eq_u16_sdwa s[62:63], v25, v33 src0_sel:BYTE_0 src1_sel:BYTE_0
	s_and_saveexec_b64 s[60:61], s[62:63]
	s_cbranch_execz .LBB261_788
; %bb.790:                              ;   in Loop: Header=BB261_789 Depth=1
	s_add_u32 s54, s54, -1
	s_addc_u32 s55, s55, -1
	s_cmp_eq_u64 s[54:55], 0
	s_cselect_b64 s[62:63], -1, 0
	s_andn2_b64 s[50:51], s[50:51], exec
	s_and_b64 s[62:63], s[62:63], exec
	v_lshl_add_u64 v[0:1], v[0:1], 0, 1
	v_lshl_add_u64 v[22:23], v[22:23], 0, 1
	s_andn2_b64 s[48:49], s[48:49], exec
	s_or_b64 s[50:51], s[50:51], s[62:63]
	s_branch .LBB261_788
.LBB261_791:
	s_or_b64 exec, exec, s[44:45]
	s_and_saveexec_b64 s[44:45], s[46:47]
	s_xor_b64 s[44:45], exec, s[44:45]
; %bb.792:
	v_cndmask_b32_e64 v1, v11, v13, s[42:43]
	v_cndmask_b32_e64 v0, v10, v12, s[42:43]
	;; [unrolled: 1-line block ×4, first 2 shown]
	v_mov_b64_e32 v[10:11], v[0:1]
; %bb.793:
	s_or_b64 exec, exec, s[44:45]
.LBB261_794:
	s_or_b64 exec, exec, s[2:3]
	s_and_saveexec_b64 s[2:3], s[18:19]
	s_cbranch_execz .LBB261_803
; %bb.795:
	s_andn2_b64 vcc, exec, s[40:41]
	s_cbranch_vccnz .LBB261_803
; %bb.796:
	v_mov_b64_e32 v[22:23], s[38:39]
	v_mad_u64_u32 v[0:1], s[42:43], v8, s36, v[22:23]
	v_mul_lo_u32 v25, v8, s37
	v_mul_lo_u32 v33, v9, s36
	v_add3_u32 v1, v33, v1, v25
	v_mad_u64_u32 v[22:23], s[42:43], v6, s36, v[22:23]
	v_mul_lo_u32 v25, v6, s37
	v_mul_lo_u32 v33, v7, s36
	v_add3_u32 v23, v33, v23, v25
	s_mov_b64 s[44:45], 0
	s_mov_b64 s[54:55], s[36:37]
                                        ; implicit-def: $sgpr42_sgpr43
                                        ; implicit-def: $sgpr46_sgpr47
                                        ; implicit-def: $sgpr50_sgpr51
                                        ; implicit-def: $sgpr48_sgpr49
                                        ; implicit-def: $sgpr52_sgpr53
	s_branch .LBB261_798
.LBB261_797:                            ;   in Loop: Header=BB261_798 Depth=1
	s_or_b64 exec, exec, s[60:61]
	s_and_b64 s[58:59], s[58:59], s[52:53]
	s_or_b64 s[56:57], s[56:57], s[58:59]
	s_and_b64 s[58:59], exec, s[50:51]
	s_or_b64 s[44:45], s[58:59], s[44:45]
	s_andn2_b64 s[52:53], s[52:53], exec
	s_and_b64 s[56:57], s[56:57], exec
	s_andn2_b64 s[46:47], s[46:47], exec
	s_and_b64 s[58:59], s[48:49], exec
	s_andn2_b64 s[42:43], s[42:43], exec
	s_or_b64 s[52:53], s[52:53], s[56:57]
	s_or_b64 s[46:47], s[46:47], s[58:59]
	;; [unrolled: 1-line block ×3, first 2 shown]
	s_andn2_b64 exec, exec, s[44:45]
	s_cbranch_execz .LBB261_800
.LBB261_798:                            ; =>This Inner Loop Header: Depth=1
	global_load_ubyte v25, v[0:1], off
	global_load_ubyte v33, v[22:23], off
	s_or_b64 s[48:49], s[48:49], exec
	s_or_b64 s[50:51], s[50:51], exec
	s_waitcnt vmcnt(0)
	v_cmp_lt_i16_sdwa s[56:57], sext(v25), sext(v33) src0_sel:BYTE_0 src1_sel:BYTE_0
	v_cmp_le_i16_sdwa s[58:59], sext(v25), sext(v33) src0_sel:BYTE_0 src1_sel:BYTE_0
	v_cmp_eq_u16_sdwa s[62:63], v25, v33 src0_sel:BYTE_0 src1_sel:BYTE_0
	s_and_saveexec_b64 s[60:61], s[62:63]
	s_cbranch_execz .LBB261_797
; %bb.799:                              ;   in Loop: Header=BB261_798 Depth=1
	s_add_u32 s54, s54, -1
	s_addc_u32 s55, s55, -1
	s_cmp_eq_u64 s[54:55], 0
	s_cselect_b64 s[62:63], -1, 0
	s_andn2_b64 s[50:51], s[50:51], exec
	s_and_b64 s[62:63], s[62:63], exec
	v_lshl_add_u64 v[0:1], v[0:1], 0, 1
	v_lshl_add_u64 v[22:23], v[22:23], 0, 1
	s_andn2_b64 s[48:49], s[48:49], exec
	s_or_b64 s[50:51], s[50:51], s[62:63]
	s_branch .LBB261_797
.LBB261_800:
	s_or_b64 exec, exec, s[44:45]
	s_and_saveexec_b64 s[44:45], s[46:47]
	s_xor_b64 s[44:45], exec, s[44:45]
; %bb.801:
	v_cndmask_b32_e64 v1, v7, v9, s[42:43]
	v_cndmask_b32_e64 v0, v6, v8, s[42:43]
	;; [unrolled: 1-line block ×4, first 2 shown]
	v_mov_b64_e32 v[6:7], v[0:1]
; %bb.802:
	s_or_b64 exec, exec, s[44:45]
.LBB261_803:
	s_or_b64 exec, exec, s[2:3]
	s_and_saveexec_b64 s[2:3], s[20:21]
	s_cbranch_execz .LBB261_812
; %bb.804:
	s_andn2_b64 vcc, exec, s[40:41]
	s_cbranch_vccnz .LBB261_812
; %bb.805:
	v_mov_b64_e32 v[22:23], s[38:39]
	v_mad_u64_u32 v[0:1], s[42:43], v4, s36, v[22:23]
	v_mul_lo_u32 v25, v4, s37
	v_mul_lo_u32 v33, v5, s36
	v_add3_u32 v1, v33, v1, v25
	v_mad_u64_u32 v[22:23], s[42:43], v2, s36, v[22:23]
	v_mul_lo_u32 v25, v2, s37
	v_mul_lo_u32 v33, v3, s36
	v_add3_u32 v23, v33, v23, v25
	s_mov_b64 s[44:45], 0
	s_mov_b64 s[54:55], s[36:37]
                                        ; implicit-def: $sgpr42_sgpr43
                                        ; implicit-def: $sgpr46_sgpr47
                                        ; implicit-def: $sgpr50_sgpr51
                                        ; implicit-def: $sgpr48_sgpr49
                                        ; implicit-def: $sgpr52_sgpr53
	s_branch .LBB261_807
.LBB261_806:                            ;   in Loop: Header=BB261_807 Depth=1
	s_or_b64 exec, exec, s[60:61]
	s_and_b64 s[58:59], s[58:59], s[52:53]
	s_or_b64 s[56:57], s[56:57], s[58:59]
	s_and_b64 s[58:59], exec, s[50:51]
	s_or_b64 s[44:45], s[58:59], s[44:45]
	s_andn2_b64 s[52:53], s[52:53], exec
	s_and_b64 s[56:57], s[56:57], exec
	s_andn2_b64 s[46:47], s[46:47], exec
	s_and_b64 s[58:59], s[48:49], exec
	s_andn2_b64 s[42:43], s[42:43], exec
	s_or_b64 s[52:53], s[52:53], s[56:57]
	s_or_b64 s[46:47], s[46:47], s[58:59]
	;; [unrolled: 1-line block ×3, first 2 shown]
	s_andn2_b64 exec, exec, s[44:45]
	s_cbranch_execz .LBB261_809
.LBB261_807:                            ; =>This Inner Loop Header: Depth=1
	global_load_ubyte v25, v[0:1], off
	global_load_ubyte v33, v[22:23], off
	s_or_b64 s[48:49], s[48:49], exec
	s_or_b64 s[50:51], s[50:51], exec
	s_waitcnt vmcnt(0)
	v_cmp_lt_i16_sdwa s[56:57], sext(v25), sext(v33) src0_sel:BYTE_0 src1_sel:BYTE_0
	v_cmp_le_i16_sdwa s[58:59], sext(v25), sext(v33) src0_sel:BYTE_0 src1_sel:BYTE_0
	v_cmp_eq_u16_sdwa s[62:63], v25, v33 src0_sel:BYTE_0 src1_sel:BYTE_0
	s_and_saveexec_b64 s[60:61], s[62:63]
	s_cbranch_execz .LBB261_806
; %bb.808:                              ;   in Loop: Header=BB261_807 Depth=1
	s_add_u32 s54, s54, -1
	s_addc_u32 s55, s55, -1
	s_cmp_eq_u64 s[54:55], 0
	s_cselect_b64 s[62:63], -1, 0
	s_andn2_b64 s[50:51], s[50:51], exec
	s_and_b64 s[62:63], s[62:63], exec
	v_lshl_add_u64 v[0:1], v[0:1], 0, 1
	v_lshl_add_u64 v[22:23], v[22:23], 0, 1
	s_andn2_b64 s[48:49], s[48:49], exec
	s_or_b64 s[50:51], s[50:51], s[62:63]
	s_branch .LBB261_806
.LBB261_809:
	s_or_b64 exec, exec, s[44:45]
	s_and_saveexec_b64 s[44:45], s[46:47]
	s_xor_b64 s[44:45], exec, s[44:45]
; %bb.810:
	v_cndmask_b32_e64 v1, v3, v5, s[42:43]
	v_cndmask_b32_e64 v0, v2, v4, s[42:43]
	;; [unrolled: 1-line block ×4, first 2 shown]
	v_mov_b64_e32 v[2:3], v[0:1]
; %bb.811:
	s_or_b64 exec, exec, s[44:45]
.LBB261_812:
	s_or_b64 exec, exec, s[2:3]
	s_and_saveexec_b64 s[2:3], s[22:23]
	s_cbranch_execz .LBB261_821
; %bb.813:
	s_andn2_b64 vcc, exec, s[40:41]
	s_cbranch_vccnz .LBB261_821
; %bb.814:
	v_mov_b64_e32 v[22:23], s[38:39]
	v_mad_u64_u32 v[0:1], s[42:43], v10, s36, v[22:23]
	v_mul_lo_u32 v25, v10, s37
	v_mul_lo_u32 v33, v11, s36
	v_add3_u32 v1, v33, v1, v25
	v_mad_u64_u32 v[22:23], s[42:43], v16, s36, v[22:23]
	v_mul_lo_u32 v25, v16, s37
	v_mul_lo_u32 v33, v17, s36
	v_add3_u32 v23, v33, v23, v25
	s_mov_b64 s[44:45], 0
	s_mov_b64 s[54:55], s[36:37]
                                        ; implicit-def: $sgpr42_sgpr43
                                        ; implicit-def: $sgpr46_sgpr47
                                        ; implicit-def: $sgpr50_sgpr51
                                        ; implicit-def: $sgpr48_sgpr49
                                        ; implicit-def: $sgpr52_sgpr53
	s_branch .LBB261_816
.LBB261_815:                            ;   in Loop: Header=BB261_816 Depth=1
	s_or_b64 exec, exec, s[60:61]
	s_and_b64 s[58:59], s[58:59], s[52:53]
	s_or_b64 s[56:57], s[56:57], s[58:59]
	s_and_b64 s[58:59], exec, s[50:51]
	s_or_b64 s[44:45], s[58:59], s[44:45]
	s_andn2_b64 s[52:53], s[52:53], exec
	s_and_b64 s[56:57], s[56:57], exec
	s_andn2_b64 s[46:47], s[46:47], exec
	s_and_b64 s[58:59], s[48:49], exec
	s_andn2_b64 s[42:43], s[42:43], exec
	s_or_b64 s[52:53], s[52:53], s[56:57]
	s_or_b64 s[46:47], s[46:47], s[58:59]
	;; [unrolled: 1-line block ×3, first 2 shown]
	s_andn2_b64 exec, exec, s[44:45]
	s_cbranch_execz .LBB261_818
.LBB261_816:                            ; =>This Inner Loop Header: Depth=1
	global_load_ubyte v25, v[0:1], off
	global_load_ubyte v33, v[22:23], off
	s_or_b64 s[48:49], s[48:49], exec
	s_or_b64 s[50:51], s[50:51], exec
	s_waitcnt vmcnt(0)
	v_cmp_lt_i16_sdwa s[56:57], sext(v25), sext(v33) src0_sel:BYTE_0 src1_sel:BYTE_0
	v_cmp_le_i16_sdwa s[58:59], sext(v25), sext(v33) src0_sel:BYTE_0 src1_sel:BYTE_0
	v_cmp_eq_u16_sdwa s[62:63], v25, v33 src0_sel:BYTE_0 src1_sel:BYTE_0
	s_and_saveexec_b64 s[60:61], s[62:63]
	s_cbranch_execz .LBB261_815
; %bb.817:                              ;   in Loop: Header=BB261_816 Depth=1
	s_add_u32 s54, s54, -1
	s_addc_u32 s55, s55, -1
	s_cmp_eq_u64 s[54:55], 0
	s_cselect_b64 s[62:63], -1, 0
	s_andn2_b64 s[50:51], s[50:51], exec
	s_and_b64 s[62:63], s[62:63], exec
	v_lshl_add_u64 v[0:1], v[0:1], 0, 1
	v_lshl_add_u64 v[22:23], v[22:23], 0, 1
	s_andn2_b64 s[48:49], s[48:49], exec
	s_or_b64 s[50:51], s[50:51], s[62:63]
	s_branch .LBB261_815
.LBB261_818:
	s_or_b64 exec, exec, s[44:45]
	s_and_saveexec_b64 s[44:45], s[46:47]
	s_xor_b64 s[44:45], exec, s[44:45]
; %bb.819:
	v_cndmask_b32_e64 v1, v17, v11, s[42:43]
	v_cndmask_b32_e64 v0, v16, v10, s[42:43]
	;; [unrolled: 1-line block ×4, first 2 shown]
	v_mov_b64_e32 v[16:17], v[0:1]
; %bb.820:
	s_or_b64 exec, exec, s[44:45]
.LBB261_821:
	s_or_b64 exec, exec, s[2:3]
	s_and_saveexec_b64 s[2:3], s[24:25]
	s_cbranch_execz .LBB261_830
; %bb.822:
	s_andn2_b64 vcc, exec, s[40:41]
	s_cbranch_vccnz .LBB261_830
; %bb.823:
	v_mov_b64_e32 v[22:23], s[38:39]
	v_mad_u64_u32 v[0:1], s[42:43], v6, s36, v[22:23]
	v_mul_lo_u32 v25, v6, s37
	v_mul_lo_u32 v33, v7, s36
	v_add3_u32 v1, v33, v1, v25
	v_mad_u64_u32 v[22:23], s[42:43], v12, s36, v[22:23]
	v_mul_lo_u32 v25, v12, s37
	v_mul_lo_u32 v33, v13, s36
	v_add3_u32 v23, v33, v23, v25
	s_mov_b64 s[44:45], 0
	s_mov_b64 s[54:55], s[36:37]
                                        ; implicit-def: $sgpr42_sgpr43
                                        ; implicit-def: $sgpr46_sgpr47
                                        ; implicit-def: $sgpr50_sgpr51
                                        ; implicit-def: $sgpr48_sgpr49
                                        ; implicit-def: $sgpr52_sgpr53
	s_branch .LBB261_825
.LBB261_824:                            ;   in Loop: Header=BB261_825 Depth=1
	s_or_b64 exec, exec, s[60:61]
	s_and_b64 s[58:59], s[58:59], s[52:53]
	s_or_b64 s[56:57], s[56:57], s[58:59]
	s_and_b64 s[58:59], exec, s[50:51]
	s_or_b64 s[44:45], s[58:59], s[44:45]
	s_andn2_b64 s[52:53], s[52:53], exec
	s_and_b64 s[56:57], s[56:57], exec
	s_andn2_b64 s[46:47], s[46:47], exec
	s_and_b64 s[58:59], s[48:49], exec
	s_andn2_b64 s[42:43], s[42:43], exec
	s_or_b64 s[52:53], s[52:53], s[56:57]
	s_or_b64 s[46:47], s[46:47], s[58:59]
	;; [unrolled: 1-line block ×3, first 2 shown]
	s_andn2_b64 exec, exec, s[44:45]
	s_cbranch_execz .LBB261_827
.LBB261_825:                            ; =>This Inner Loop Header: Depth=1
	global_load_ubyte v25, v[0:1], off
	global_load_ubyte v33, v[22:23], off
	s_or_b64 s[48:49], s[48:49], exec
	s_or_b64 s[50:51], s[50:51], exec
	s_waitcnt vmcnt(0)
	v_cmp_lt_i16_sdwa s[56:57], sext(v25), sext(v33) src0_sel:BYTE_0 src1_sel:BYTE_0
	v_cmp_le_i16_sdwa s[58:59], sext(v25), sext(v33) src0_sel:BYTE_0 src1_sel:BYTE_0
	v_cmp_eq_u16_sdwa s[62:63], v25, v33 src0_sel:BYTE_0 src1_sel:BYTE_0
	s_and_saveexec_b64 s[60:61], s[62:63]
	s_cbranch_execz .LBB261_824
; %bb.826:                              ;   in Loop: Header=BB261_825 Depth=1
	s_add_u32 s54, s54, -1
	s_addc_u32 s55, s55, -1
	s_cmp_eq_u64 s[54:55], 0
	s_cselect_b64 s[62:63], -1, 0
	s_andn2_b64 s[50:51], s[50:51], exec
	s_and_b64 s[62:63], s[62:63], exec
	v_lshl_add_u64 v[0:1], v[0:1], 0, 1
	v_lshl_add_u64 v[22:23], v[22:23], 0, 1
	s_andn2_b64 s[48:49], s[48:49], exec
	s_or_b64 s[50:51], s[50:51], s[62:63]
	s_branch .LBB261_824
.LBB261_827:
	s_or_b64 exec, exec, s[44:45]
	s_and_saveexec_b64 s[44:45], s[46:47]
	s_xor_b64 s[44:45], exec, s[44:45]
; %bb.828:
	v_cndmask_b32_e64 v1, v13, v7, s[42:43]
	v_cndmask_b32_e64 v0, v12, v6, s[42:43]
	;; [unrolled: 1-line block ×4, first 2 shown]
	v_mov_b64_e32 v[12:13], v[0:1]
; %bb.829:
	s_or_b64 exec, exec, s[44:45]
.LBB261_830:
	s_or_b64 exec, exec, s[2:3]
	s_and_saveexec_b64 s[2:3], s[26:27]
	s_cbranch_execz .LBB261_839
; %bb.831:
	s_andn2_b64 vcc, exec, s[40:41]
	s_cbranch_vccnz .LBB261_839
; %bb.832:
	v_mov_b64_e32 v[22:23], s[38:39]
	v_mad_u64_u32 v[0:1], s[42:43], v2, s36, v[22:23]
	v_mul_lo_u32 v25, v2, s37
	v_mul_lo_u32 v33, v3, s36
	v_add3_u32 v1, v33, v1, v25
	v_mad_u64_u32 v[22:23], s[42:43], v8, s36, v[22:23]
	v_mul_lo_u32 v25, v8, s37
	v_mul_lo_u32 v33, v9, s36
	v_add3_u32 v23, v33, v23, v25
	s_mov_b64 s[44:45], 0
	s_mov_b64 s[54:55], s[36:37]
                                        ; implicit-def: $sgpr42_sgpr43
                                        ; implicit-def: $sgpr46_sgpr47
                                        ; implicit-def: $sgpr50_sgpr51
                                        ; implicit-def: $sgpr48_sgpr49
                                        ; implicit-def: $sgpr52_sgpr53
	s_branch .LBB261_834
.LBB261_833:                            ;   in Loop: Header=BB261_834 Depth=1
	s_or_b64 exec, exec, s[60:61]
	s_and_b64 s[58:59], s[58:59], s[52:53]
	s_or_b64 s[56:57], s[56:57], s[58:59]
	s_and_b64 s[58:59], exec, s[50:51]
	s_or_b64 s[44:45], s[58:59], s[44:45]
	s_andn2_b64 s[52:53], s[52:53], exec
	s_and_b64 s[56:57], s[56:57], exec
	s_andn2_b64 s[46:47], s[46:47], exec
	s_and_b64 s[58:59], s[48:49], exec
	s_andn2_b64 s[42:43], s[42:43], exec
	s_or_b64 s[52:53], s[52:53], s[56:57]
	s_or_b64 s[46:47], s[46:47], s[58:59]
	s_or_b64 s[42:43], s[42:43], s[56:57]
	s_andn2_b64 exec, exec, s[44:45]
	s_cbranch_execz .LBB261_836
.LBB261_834:                            ; =>This Inner Loop Header: Depth=1
	global_load_ubyte v25, v[0:1], off
	global_load_ubyte v33, v[22:23], off
	s_or_b64 s[48:49], s[48:49], exec
	s_or_b64 s[50:51], s[50:51], exec
	s_waitcnt vmcnt(0)
	v_cmp_lt_i16_sdwa s[56:57], sext(v25), sext(v33) src0_sel:BYTE_0 src1_sel:BYTE_0
	v_cmp_le_i16_sdwa s[58:59], sext(v25), sext(v33) src0_sel:BYTE_0 src1_sel:BYTE_0
	v_cmp_eq_u16_sdwa s[62:63], v25, v33 src0_sel:BYTE_0 src1_sel:BYTE_0
	s_and_saveexec_b64 s[60:61], s[62:63]
	s_cbranch_execz .LBB261_833
; %bb.835:                              ;   in Loop: Header=BB261_834 Depth=1
	s_add_u32 s54, s54, -1
	s_addc_u32 s55, s55, -1
	s_cmp_eq_u64 s[54:55], 0
	s_cselect_b64 s[62:63], -1, 0
	s_andn2_b64 s[50:51], s[50:51], exec
	s_and_b64 s[62:63], s[62:63], exec
	v_lshl_add_u64 v[0:1], v[0:1], 0, 1
	v_lshl_add_u64 v[22:23], v[22:23], 0, 1
	s_andn2_b64 s[48:49], s[48:49], exec
	s_or_b64 s[50:51], s[50:51], s[62:63]
	s_branch .LBB261_833
.LBB261_836:
	s_or_b64 exec, exec, s[44:45]
	s_and_saveexec_b64 s[44:45], s[46:47]
	s_xor_b64 s[44:45], exec, s[44:45]
; %bb.837:
	v_cndmask_b32_e64 v1, v9, v3, s[42:43]
	v_cndmask_b32_e64 v0, v8, v2, s[42:43]
	;; [unrolled: 1-line block ×4, first 2 shown]
	v_mov_b64_e32 v[8:9], v[0:1]
; %bb.838:
	s_or_b64 exec, exec, s[44:45]
.LBB261_839:
	s_or_b64 exec, exec, s[2:3]
	s_and_saveexec_b64 s[2:3], s[14:15]
	s_cbranch_execz .LBB261_848
; %bb.840:
	s_andn2_b64 vcc, exec, s[40:41]
	s_cbranch_vccnz .LBB261_848
; %bb.841:
	v_mov_b64_e32 v[22:23], s[38:39]
	v_mad_u64_u32 v[0:1], s[42:43], v16, s36, v[22:23]
	v_mul_lo_u32 v25, v16, s37
	v_mul_lo_u32 v33, v17, s36
	v_add3_u32 v1, v33, v1, v25
	v_mad_u64_u32 v[22:23], s[42:43], v14, s36, v[22:23]
	v_mul_lo_u32 v25, v14, s37
	v_mul_lo_u32 v33, v15, s36
	v_add3_u32 v23, v33, v23, v25
	s_mov_b64 s[44:45], 0
	s_mov_b64 s[54:55], s[36:37]
                                        ; implicit-def: $sgpr42_sgpr43
                                        ; implicit-def: $sgpr46_sgpr47
                                        ; implicit-def: $sgpr50_sgpr51
                                        ; implicit-def: $sgpr48_sgpr49
                                        ; implicit-def: $sgpr52_sgpr53
	s_branch .LBB261_843
.LBB261_842:                            ;   in Loop: Header=BB261_843 Depth=1
	s_or_b64 exec, exec, s[60:61]
	s_and_b64 s[58:59], s[58:59], s[52:53]
	s_or_b64 s[56:57], s[56:57], s[58:59]
	s_and_b64 s[58:59], exec, s[50:51]
	s_or_b64 s[44:45], s[58:59], s[44:45]
	s_andn2_b64 s[52:53], s[52:53], exec
	s_and_b64 s[56:57], s[56:57], exec
	s_andn2_b64 s[46:47], s[46:47], exec
	s_and_b64 s[58:59], s[48:49], exec
	s_andn2_b64 s[42:43], s[42:43], exec
	s_or_b64 s[52:53], s[52:53], s[56:57]
	s_or_b64 s[46:47], s[46:47], s[58:59]
	s_or_b64 s[42:43], s[42:43], s[56:57]
	s_andn2_b64 exec, exec, s[44:45]
	s_cbranch_execz .LBB261_845
.LBB261_843:                            ; =>This Inner Loop Header: Depth=1
	global_load_ubyte v25, v[0:1], off
	global_load_ubyte v33, v[22:23], off
	s_or_b64 s[48:49], s[48:49], exec
	s_or_b64 s[50:51], s[50:51], exec
	s_waitcnt vmcnt(0)
	v_cmp_lt_i16_sdwa s[56:57], sext(v25), sext(v33) src0_sel:BYTE_0 src1_sel:BYTE_0
	v_cmp_le_i16_sdwa s[58:59], sext(v25), sext(v33) src0_sel:BYTE_0 src1_sel:BYTE_0
	v_cmp_eq_u16_sdwa s[62:63], v25, v33 src0_sel:BYTE_0 src1_sel:BYTE_0
	s_and_saveexec_b64 s[60:61], s[62:63]
	s_cbranch_execz .LBB261_842
; %bb.844:                              ;   in Loop: Header=BB261_843 Depth=1
	s_add_u32 s54, s54, -1
	s_addc_u32 s55, s55, -1
	s_cmp_eq_u64 s[54:55], 0
	s_cselect_b64 s[62:63], -1, 0
	s_andn2_b64 s[50:51], s[50:51], exec
	s_and_b64 s[62:63], s[62:63], exec
	v_lshl_add_u64 v[0:1], v[0:1], 0, 1
	v_lshl_add_u64 v[22:23], v[22:23], 0, 1
	s_andn2_b64 s[48:49], s[48:49], exec
	s_or_b64 s[50:51], s[50:51], s[62:63]
	s_branch .LBB261_842
.LBB261_845:
	s_or_b64 exec, exec, s[44:45]
	s_and_saveexec_b64 s[44:45], s[46:47]
	s_xor_b64 s[44:45], exec, s[44:45]
; %bb.846:
	v_cndmask_b32_e64 v1, v17, v15, s[42:43]
	v_cndmask_b32_e64 v0, v16, v14, s[42:43]
	;; [unrolled: 1-line block ×4, first 2 shown]
	v_mov_b64_e32 v[16:17], v[0:1]
; %bb.847:
	s_or_b64 exec, exec, s[44:45]
.LBB261_848:
	s_or_b64 exec, exec, s[2:3]
	s_and_saveexec_b64 s[2:3], s[16:17]
	s_cbranch_execz .LBB261_857
; %bb.849:
	s_andn2_b64 vcc, exec, s[40:41]
	s_cbranch_vccnz .LBB261_857
; %bb.850:
	v_mov_b64_e32 v[22:23], s[38:39]
	v_mad_u64_u32 v[0:1], s[42:43], v12, s36, v[22:23]
	v_mul_lo_u32 v25, v12, s37
	v_mul_lo_u32 v33, v13, s36
	v_add3_u32 v1, v33, v1, v25
	v_mad_u64_u32 v[22:23], s[42:43], v10, s36, v[22:23]
	v_mul_lo_u32 v25, v10, s37
	v_mul_lo_u32 v33, v11, s36
	v_add3_u32 v23, v33, v23, v25
	s_mov_b64 s[44:45], 0
	s_mov_b64 s[54:55], s[36:37]
                                        ; implicit-def: $sgpr42_sgpr43
                                        ; implicit-def: $sgpr46_sgpr47
                                        ; implicit-def: $sgpr50_sgpr51
                                        ; implicit-def: $sgpr48_sgpr49
                                        ; implicit-def: $sgpr52_sgpr53
	s_branch .LBB261_852
.LBB261_851:                            ;   in Loop: Header=BB261_852 Depth=1
	s_or_b64 exec, exec, s[60:61]
	s_and_b64 s[58:59], s[58:59], s[52:53]
	s_or_b64 s[56:57], s[56:57], s[58:59]
	s_and_b64 s[58:59], exec, s[50:51]
	s_or_b64 s[44:45], s[58:59], s[44:45]
	s_andn2_b64 s[52:53], s[52:53], exec
	s_and_b64 s[56:57], s[56:57], exec
	s_andn2_b64 s[46:47], s[46:47], exec
	s_and_b64 s[58:59], s[48:49], exec
	s_andn2_b64 s[42:43], s[42:43], exec
	s_or_b64 s[52:53], s[52:53], s[56:57]
	s_or_b64 s[46:47], s[46:47], s[58:59]
	;; [unrolled: 1-line block ×3, first 2 shown]
	s_andn2_b64 exec, exec, s[44:45]
	s_cbranch_execz .LBB261_854
.LBB261_852:                            ; =>This Inner Loop Header: Depth=1
	global_load_ubyte v25, v[0:1], off
	global_load_ubyte v33, v[22:23], off
	s_or_b64 s[48:49], s[48:49], exec
	s_or_b64 s[50:51], s[50:51], exec
	s_waitcnt vmcnt(0)
	v_cmp_lt_i16_sdwa s[56:57], sext(v25), sext(v33) src0_sel:BYTE_0 src1_sel:BYTE_0
	v_cmp_le_i16_sdwa s[58:59], sext(v25), sext(v33) src0_sel:BYTE_0 src1_sel:BYTE_0
	v_cmp_eq_u16_sdwa s[62:63], v25, v33 src0_sel:BYTE_0 src1_sel:BYTE_0
	s_and_saveexec_b64 s[60:61], s[62:63]
	s_cbranch_execz .LBB261_851
; %bb.853:                              ;   in Loop: Header=BB261_852 Depth=1
	s_add_u32 s54, s54, -1
	s_addc_u32 s55, s55, -1
	s_cmp_eq_u64 s[54:55], 0
	s_cselect_b64 s[62:63], -1, 0
	s_andn2_b64 s[50:51], s[50:51], exec
	s_and_b64 s[62:63], s[62:63], exec
	v_lshl_add_u64 v[0:1], v[0:1], 0, 1
	v_lshl_add_u64 v[22:23], v[22:23], 0, 1
	s_andn2_b64 s[48:49], s[48:49], exec
	s_or_b64 s[50:51], s[50:51], s[62:63]
	s_branch .LBB261_851
.LBB261_854:
	s_or_b64 exec, exec, s[44:45]
	s_and_saveexec_b64 s[44:45], s[46:47]
	s_xor_b64 s[44:45], exec, s[44:45]
; %bb.855:
	v_cndmask_b32_e64 v1, v11, v13, s[42:43]
	v_cndmask_b32_e64 v0, v10, v12, s[42:43]
	;; [unrolled: 1-line block ×4, first 2 shown]
	v_mov_b64_e32 v[10:11], v[0:1]
; %bb.856:
	s_or_b64 exec, exec, s[44:45]
.LBB261_857:
	s_or_b64 exec, exec, s[2:3]
	s_and_saveexec_b64 s[2:3], s[18:19]
	s_cbranch_execz .LBB261_866
; %bb.858:
	s_andn2_b64 vcc, exec, s[40:41]
	s_cbranch_vccnz .LBB261_866
; %bb.859:
	v_mov_b64_e32 v[22:23], s[38:39]
	v_mad_u64_u32 v[0:1], s[42:43], v8, s36, v[22:23]
	v_mul_lo_u32 v25, v8, s37
	v_mul_lo_u32 v33, v9, s36
	v_add3_u32 v1, v33, v1, v25
	v_mad_u64_u32 v[22:23], s[42:43], v6, s36, v[22:23]
	v_mul_lo_u32 v25, v6, s37
	v_mul_lo_u32 v33, v7, s36
	v_add3_u32 v23, v33, v23, v25
	s_mov_b64 s[44:45], 0
	s_mov_b64 s[54:55], s[36:37]
                                        ; implicit-def: $sgpr42_sgpr43
                                        ; implicit-def: $sgpr46_sgpr47
                                        ; implicit-def: $sgpr50_sgpr51
                                        ; implicit-def: $sgpr48_sgpr49
                                        ; implicit-def: $sgpr52_sgpr53
	s_branch .LBB261_861
.LBB261_860:                            ;   in Loop: Header=BB261_861 Depth=1
	s_or_b64 exec, exec, s[60:61]
	s_and_b64 s[58:59], s[58:59], s[52:53]
	s_or_b64 s[56:57], s[56:57], s[58:59]
	s_and_b64 s[58:59], exec, s[50:51]
	s_or_b64 s[44:45], s[58:59], s[44:45]
	s_andn2_b64 s[52:53], s[52:53], exec
	s_and_b64 s[56:57], s[56:57], exec
	s_andn2_b64 s[46:47], s[46:47], exec
	s_and_b64 s[58:59], s[48:49], exec
	s_andn2_b64 s[42:43], s[42:43], exec
	s_or_b64 s[52:53], s[52:53], s[56:57]
	s_or_b64 s[46:47], s[46:47], s[58:59]
	;; [unrolled: 1-line block ×3, first 2 shown]
	s_andn2_b64 exec, exec, s[44:45]
	s_cbranch_execz .LBB261_863
.LBB261_861:                            ; =>This Inner Loop Header: Depth=1
	global_load_ubyte v25, v[0:1], off
	global_load_ubyte v33, v[22:23], off
	s_or_b64 s[48:49], s[48:49], exec
	s_or_b64 s[50:51], s[50:51], exec
	s_waitcnt vmcnt(0)
	v_cmp_lt_i16_sdwa s[56:57], sext(v25), sext(v33) src0_sel:BYTE_0 src1_sel:BYTE_0
	v_cmp_le_i16_sdwa s[58:59], sext(v25), sext(v33) src0_sel:BYTE_0 src1_sel:BYTE_0
	v_cmp_eq_u16_sdwa s[62:63], v25, v33 src0_sel:BYTE_0 src1_sel:BYTE_0
	s_and_saveexec_b64 s[60:61], s[62:63]
	s_cbranch_execz .LBB261_860
; %bb.862:                              ;   in Loop: Header=BB261_861 Depth=1
	s_add_u32 s54, s54, -1
	s_addc_u32 s55, s55, -1
	s_cmp_eq_u64 s[54:55], 0
	s_cselect_b64 s[62:63], -1, 0
	s_andn2_b64 s[50:51], s[50:51], exec
	s_and_b64 s[62:63], s[62:63], exec
	v_lshl_add_u64 v[0:1], v[0:1], 0, 1
	v_lshl_add_u64 v[22:23], v[22:23], 0, 1
	s_andn2_b64 s[48:49], s[48:49], exec
	s_or_b64 s[50:51], s[50:51], s[62:63]
	s_branch .LBB261_860
.LBB261_863:
	s_or_b64 exec, exec, s[44:45]
	s_and_saveexec_b64 s[44:45], s[46:47]
	s_xor_b64 s[44:45], exec, s[44:45]
; %bb.864:
	v_cndmask_b32_e64 v1, v7, v9, s[42:43]
	v_cndmask_b32_e64 v0, v6, v8, s[42:43]
	;; [unrolled: 1-line block ×4, first 2 shown]
	v_mov_b64_e32 v[6:7], v[0:1]
; %bb.865:
	s_or_b64 exec, exec, s[44:45]
.LBB261_866:
	s_or_b64 exec, exec, s[2:3]
	s_and_saveexec_b64 s[2:3], s[20:21]
	s_cbranch_execz .LBB261_875
; %bb.867:
	s_andn2_b64 vcc, exec, s[40:41]
	s_cbranch_vccnz .LBB261_875
; %bb.868:
	v_mov_b64_e32 v[22:23], s[38:39]
	v_mad_u64_u32 v[0:1], s[42:43], v4, s36, v[22:23]
	v_mul_lo_u32 v25, v4, s37
	v_mul_lo_u32 v33, v5, s36
	v_add3_u32 v1, v33, v1, v25
	v_mad_u64_u32 v[22:23], s[42:43], v2, s36, v[22:23]
	v_mul_lo_u32 v25, v2, s37
	v_mul_lo_u32 v33, v3, s36
	v_add3_u32 v23, v33, v23, v25
	s_mov_b64 s[44:45], 0
	s_mov_b64 s[54:55], s[36:37]
                                        ; implicit-def: $sgpr42_sgpr43
                                        ; implicit-def: $sgpr46_sgpr47
                                        ; implicit-def: $sgpr50_sgpr51
                                        ; implicit-def: $sgpr48_sgpr49
                                        ; implicit-def: $sgpr52_sgpr53
	s_branch .LBB261_870
.LBB261_869:                            ;   in Loop: Header=BB261_870 Depth=1
	s_or_b64 exec, exec, s[60:61]
	s_and_b64 s[58:59], s[58:59], s[52:53]
	s_or_b64 s[56:57], s[56:57], s[58:59]
	s_and_b64 s[58:59], exec, s[50:51]
	s_or_b64 s[44:45], s[58:59], s[44:45]
	s_andn2_b64 s[52:53], s[52:53], exec
	s_and_b64 s[56:57], s[56:57], exec
	s_andn2_b64 s[46:47], s[46:47], exec
	s_and_b64 s[58:59], s[48:49], exec
	s_andn2_b64 s[42:43], s[42:43], exec
	s_or_b64 s[52:53], s[52:53], s[56:57]
	s_or_b64 s[46:47], s[46:47], s[58:59]
	;; [unrolled: 1-line block ×3, first 2 shown]
	s_andn2_b64 exec, exec, s[44:45]
	s_cbranch_execz .LBB261_872
.LBB261_870:                            ; =>This Inner Loop Header: Depth=1
	global_load_ubyte v25, v[0:1], off
	global_load_ubyte v33, v[22:23], off
	s_or_b64 s[48:49], s[48:49], exec
	s_or_b64 s[50:51], s[50:51], exec
	s_waitcnt vmcnt(0)
	v_cmp_lt_i16_sdwa s[56:57], sext(v25), sext(v33) src0_sel:BYTE_0 src1_sel:BYTE_0
	v_cmp_le_i16_sdwa s[58:59], sext(v25), sext(v33) src0_sel:BYTE_0 src1_sel:BYTE_0
	v_cmp_eq_u16_sdwa s[62:63], v25, v33 src0_sel:BYTE_0 src1_sel:BYTE_0
	s_and_saveexec_b64 s[60:61], s[62:63]
	s_cbranch_execz .LBB261_869
; %bb.871:                              ;   in Loop: Header=BB261_870 Depth=1
	s_add_u32 s54, s54, -1
	s_addc_u32 s55, s55, -1
	s_cmp_eq_u64 s[54:55], 0
	s_cselect_b64 s[62:63], -1, 0
	s_andn2_b64 s[50:51], s[50:51], exec
	s_and_b64 s[62:63], s[62:63], exec
	v_lshl_add_u64 v[0:1], v[0:1], 0, 1
	v_lshl_add_u64 v[22:23], v[22:23], 0, 1
	s_andn2_b64 s[48:49], s[48:49], exec
	s_or_b64 s[50:51], s[50:51], s[62:63]
	s_branch .LBB261_869
.LBB261_872:
	s_or_b64 exec, exec, s[44:45]
	s_and_saveexec_b64 s[44:45], s[46:47]
	s_xor_b64 s[44:45], exec, s[44:45]
; %bb.873:
	v_cndmask_b32_e64 v1, v3, v5, s[42:43]
	v_cndmask_b32_e64 v0, v2, v4, s[42:43]
	;; [unrolled: 1-line block ×4, first 2 shown]
	v_mov_b64_e32 v[2:3], v[0:1]
; %bb.874:
	s_or_b64 exec, exec, s[44:45]
.LBB261_875:
	s_or_b64 exec, exec, s[2:3]
	s_and_saveexec_b64 s[2:3], s[22:23]
	s_cbranch_execz .LBB261_884
; %bb.876:
	s_andn2_b64 vcc, exec, s[40:41]
	s_cbranch_vccnz .LBB261_884
; %bb.877:
	v_mov_b64_e32 v[22:23], s[38:39]
	v_mad_u64_u32 v[0:1], s[42:43], v10, s36, v[22:23]
	v_mul_lo_u32 v25, v10, s37
	v_mul_lo_u32 v33, v11, s36
	v_add3_u32 v1, v33, v1, v25
	v_mad_u64_u32 v[22:23], s[42:43], v16, s36, v[22:23]
	v_mul_lo_u32 v25, v16, s37
	v_mul_lo_u32 v33, v17, s36
	v_add3_u32 v23, v33, v23, v25
	s_mov_b64 s[44:45], 0
	s_mov_b64 s[54:55], s[36:37]
                                        ; implicit-def: $sgpr42_sgpr43
                                        ; implicit-def: $sgpr46_sgpr47
                                        ; implicit-def: $sgpr50_sgpr51
                                        ; implicit-def: $sgpr48_sgpr49
                                        ; implicit-def: $sgpr52_sgpr53
	s_branch .LBB261_879
.LBB261_878:                            ;   in Loop: Header=BB261_879 Depth=1
	s_or_b64 exec, exec, s[60:61]
	s_and_b64 s[58:59], s[58:59], s[52:53]
	s_or_b64 s[56:57], s[56:57], s[58:59]
	s_and_b64 s[58:59], exec, s[50:51]
	s_or_b64 s[44:45], s[58:59], s[44:45]
	s_andn2_b64 s[52:53], s[52:53], exec
	s_and_b64 s[56:57], s[56:57], exec
	s_andn2_b64 s[46:47], s[46:47], exec
	s_and_b64 s[58:59], s[48:49], exec
	s_andn2_b64 s[42:43], s[42:43], exec
	s_or_b64 s[52:53], s[52:53], s[56:57]
	s_or_b64 s[46:47], s[46:47], s[58:59]
	;; [unrolled: 1-line block ×3, first 2 shown]
	s_andn2_b64 exec, exec, s[44:45]
	s_cbranch_execz .LBB261_881
.LBB261_879:                            ; =>This Inner Loop Header: Depth=1
	global_load_ubyte v25, v[0:1], off
	global_load_ubyte v33, v[22:23], off
	s_or_b64 s[48:49], s[48:49], exec
	s_or_b64 s[50:51], s[50:51], exec
	s_waitcnt vmcnt(0)
	v_cmp_lt_i16_sdwa s[56:57], sext(v25), sext(v33) src0_sel:BYTE_0 src1_sel:BYTE_0
	v_cmp_le_i16_sdwa s[58:59], sext(v25), sext(v33) src0_sel:BYTE_0 src1_sel:BYTE_0
	v_cmp_eq_u16_sdwa s[62:63], v25, v33 src0_sel:BYTE_0 src1_sel:BYTE_0
	s_and_saveexec_b64 s[60:61], s[62:63]
	s_cbranch_execz .LBB261_878
; %bb.880:                              ;   in Loop: Header=BB261_879 Depth=1
	s_add_u32 s54, s54, -1
	s_addc_u32 s55, s55, -1
	s_cmp_eq_u64 s[54:55], 0
	s_cselect_b64 s[62:63], -1, 0
	s_andn2_b64 s[50:51], s[50:51], exec
	s_and_b64 s[62:63], s[62:63], exec
	v_lshl_add_u64 v[0:1], v[0:1], 0, 1
	v_lshl_add_u64 v[22:23], v[22:23], 0, 1
	s_andn2_b64 s[48:49], s[48:49], exec
	s_or_b64 s[50:51], s[50:51], s[62:63]
	s_branch .LBB261_878
.LBB261_881:
	s_or_b64 exec, exec, s[44:45]
	s_and_saveexec_b64 s[44:45], s[46:47]
	s_xor_b64 s[44:45], exec, s[44:45]
; %bb.882:
	v_cndmask_b32_e64 v1, v17, v11, s[42:43]
	v_cndmask_b32_e64 v0, v16, v10, s[42:43]
	;; [unrolled: 1-line block ×4, first 2 shown]
	v_mov_b64_e32 v[16:17], v[0:1]
; %bb.883:
	s_or_b64 exec, exec, s[44:45]
.LBB261_884:
	s_or_b64 exec, exec, s[2:3]
	s_and_saveexec_b64 s[2:3], s[24:25]
	s_cbranch_execz .LBB261_893
; %bb.885:
	s_andn2_b64 vcc, exec, s[40:41]
	s_cbranch_vccnz .LBB261_893
; %bb.886:
	v_mov_b64_e32 v[22:23], s[38:39]
	v_mad_u64_u32 v[0:1], s[42:43], v6, s36, v[22:23]
	v_mul_lo_u32 v25, v6, s37
	v_mul_lo_u32 v33, v7, s36
	v_add3_u32 v1, v33, v1, v25
	v_mad_u64_u32 v[22:23], s[42:43], v12, s36, v[22:23]
	v_mul_lo_u32 v25, v12, s37
	v_mul_lo_u32 v33, v13, s36
	v_add3_u32 v23, v33, v23, v25
	s_mov_b64 s[44:45], 0
	s_mov_b64 s[54:55], s[36:37]
                                        ; implicit-def: $sgpr42_sgpr43
                                        ; implicit-def: $sgpr46_sgpr47
                                        ; implicit-def: $sgpr50_sgpr51
                                        ; implicit-def: $sgpr48_sgpr49
                                        ; implicit-def: $sgpr52_sgpr53
	s_branch .LBB261_888
.LBB261_887:                            ;   in Loop: Header=BB261_888 Depth=1
	s_or_b64 exec, exec, s[60:61]
	s_and_b64 s[58:59], s[58:59], s[52:53]
	s_or_b64 s[56:57], s[56:57], s[58:59]
	s_and_b64 s[58:59], exec, s[50:51]
	s_or_b64 s[44:45], s[58:59], s[44:45]
	s_andn2_b64 s[52:53], s[52:53], exec
	s_and_b64 s[56:57], s[56:57], exec
	s_andn2_b64 s[46:47], s[46:47], exec
	s_and_b64 s[58:59], s[48:49], exec
	s_andn2_b64 s[42:43], s[42:43], exec
	s_or_b64 s[52:53], s[52:53], s[56:57]
	s_or_b64 s[46:47], s[46:47], s[58:59]
	;; [unrolled: 1-line block ×3, first 2 shown]
	s_andn2_b64 exec, exec, s[44:45]
	s_cbranch_execz .LBB261_890
.LBB261_888:                            ; =>This Inner Loop Header: Depth=1
	global_load_ubyte v25, v[0:1], off
	global_load_ubyte v33, v[22:23], off
	s_or_b64 s[48:49], s[48:49], exec
	s_or_b64 s[50:51], s[50:51], exec
	s_waitcnt vmcnt(0)
	v_cmp_lt_i16_sdwa s[56:57], sext(v25), sext(v33) src0_sel:BYTE_0 src1_sel:BYTE_0
	v_cmp_le_i16_sdwa s[58:59], sext(v25), sext(v33) src0_sel:BYTE_0 src1_sel:BYTE_0
	v_cmp_eq_u16_sdwa s[62:63], v25, v33 src0_sel:BYTE_0 src1_sel:BYTE_0
	s_and_saveexec_b64 s[60:61], s[62:63]
	s_cbranch_execz .LBB261_887
; %bb.889:                              ;   in Loop: Header=BB261_888 Depth=1
	s_add_u32 s54, s54, -1
	s_addc_u32 s55, s55, -1
	s_cmp_eq_u64 s[54:55], 0
	s_cselect_b64 s[62:63], -1, 0
	s_andn2_b64 s[50:51], s[50:51], exec
	s_and_b64 s[62:63], s[62:63], exec
	v_lshl_add_u64 v[0:1], v[0:1], 0, 1
	v_lshl_add_u64 v[22:23], v[22:23], 0, 1
	s_andn2_b64 s[48:49], s[48:49], exec
	s_or_b64 s[50:51], s[50:51], s[62:63]
	s_branch .LBB261_887
.LBB261_890:
	s_or_b64 exec, exec, s[44:45]
	s_and_saveexec_b64 s[44:45], s[46:47]
	s_xor_b64 s[44:45], exec, s[44:45]
; %bb.891:
	v_cndmask_b32_e64 v1, v13, v7, s[42:43]
	v_cndmask_b32_e64 v0, v12, v6, s[42:43]
	;; [unrolled: 1-line block ×4, first 2 shown]
	v_mov_b64_e32 v[12:13], v[0:1]
; %bb.892:
	s_or_b64 exec, exec, s[44:45]
.LBB261_893:
	s_or_b64 exec, exec, s[2:3]
	s_and_saveexec_b64 s[2:3], s[26:27]
	s_cbranch_execz .LBB261_902
; %bb.894:
	s_andn2_b64 vcc, exec, s[40:41]
	s_cbranch_vccnz .LBB261_902
; %bb.895:
	v_mov_b64_e32 v[22:23], s[38:39]
	v_mad_u64_u32 v[0:1], s[42:43], v2, s36, v[22:23]
	v_mul_lo_u32 v25, v2, s37
	v_mul_lo_u32 v33, v3, s36
	v_add3_u32 v1, v33, v1, v25
	v_mad_u64_u32 v[22:23], s[42:43], v8, s36, v[22:23]
	v_mul_lo_u32 v25, v8, s37
	v_mul_lo_u32 v33, v9, s36
	v_add3_u32 v23, v33, v23, v25
	s_mov_b64 s[44:45], 0
	s_mov_b64 s[54:55], s[36:37]
                                        ; implicit-def: $sgpr42_sgpr43
                                        ; implicit-def: $sgpr46_sgpr47
                                        ; implicit-def: $sgpr50_sgpr51
                                        ; implicit-def: $sgpr48_sgpr49
                                        ; implicit-def: $sgpr52_sgpr53
	s_branch .LBB261_897
.LBB261_896:                            ;   in Loop: Header=BB261_897 Depth=1
	s_or_b64 exec, exec, s[60:61]
	s_and_b64 s[58:59], s[58:59], s[52:53]
	s_or_b64 s[56:57], s[56:57], s[58:59]
	s_and_b64 s[58:59], exec, s[50:51]
	s_or_b64 s[44:45], s[58:59], s[44:45]
	s_andn2_b64 s[52:53], s[52:53], exec
	s_and_b64 s[56:57], s[56:57], exec
	s_andn2_b64 s[46:47], s[46:47], exec
	s_and_b64 s[58:59], s[48:49], exec
	s_andn2_b64 s[42:43], s[42:43], exec
	s_or_b64 s[52:53], s[52:53], s[56:57]
	s_or_b64 s[46:47], s[46:47], s[58:59]
	;; [unrolled: 1-line block ×3, first 2 shown]
	s_andn2_b64 exec, exec, s[44:45]
	s_cbranch_execz .LBB261_899
.LBB261_897:                            ; =>This Inner Loop Header: Depth=1
	global_load_ubyte v25, v[0:1], off
	global_load_ubyte v33, v[22:23], off
	s_or_b64 s[48:49], s[48:49], exec
	s_or_b64 s[50:51], s[50:51], exec
	s_waitcnt vmcnt(0)
	v_cmp_lt_i16_sdwa s[56:57], sext(v25), sext(v33) src0_sel:BYTE_0 src1_sel:BYTE_0
	v_cmp_le_i16_sdwa s[58:59], sext(v25), sext(v33) src0_sel:BYTE_0 src1_sel:BYTE_0
	v_cmp_eq_u16_sdwa s[62:63], v25, v33 src0_sel:BYTE_0 src1_sel:BYTE_0
	s_and_saveexec_b64 s[60:61], s[62:63]
	s_cbranch_execz .LBB261_896
; %bb.898:                              ;   in Loop: Header=BB261_897 Depth=1
	s_add_u32 s54, s54, -1
	s_addc_u32 s55, s55, -1
	s_cmp_eq_u64 s[54:55], 0
	s_cselect_b64 s[62:63], -1, 0
	s_andn2_b64 s[50:51], s[50:51], exec
	s_and_b64 s[62:63], s[62:63], exec
	v_lshl_add_u64 v[0:1], v[0:1], 0, 1
	v_lshl_add_u64 v[22:23], v[22:23], 0, 1
	s_andn2_b64 s[48:49], s[48:49], exec
	s_or_b64 s[50:51], s[50:51], s[62:63]
	s_branch .LBB261_896
.LBB261_899:
	s_or_b64 exec, exec, s[44:45]
	s_and_saveexec_b64 s[44:45], s[46:47]
	s_xor_b64 s[44:45], exec, s[44:45]
; %bb.900:
	v_cndmask_b32_e64 v1, v9, v3, s[42:43]
	v_cndmask_b32_e64 v0, v8, v2, s[42:43]
	;; [unrolled: 1-line block ×4, first 2 shown]
	v_mov_b64_e32 v[8:9], v[0:1]
; %bb.901:
	s_or_b64 exec, exec, s[44:45]
.LBB261_902:
	s_or_b64 exec, exec, s[2:3]
	s_and_saveexec_b64 s[2:3], s[14:15]
	s_cbranch_execz .LBB261_911
; %bb.903:
	s_andn2_b64 vcc, exec, s[40:41]
	s_cbranch_vccnz .LBB261_911
; %bb.904:
	v_mov_b64_e32 v[22:23], s[38:39]
	v_mad_u64_u32 v[0:1], s[14:15], v16, s36, v[22:23]
	v_mul_lo_u32 v25, v16, s37
	v_mul_lo_u32 v33, v17, s36
	v_add3_u32 v1, v33, v1, v25
	v_mad_u64_u32 v[22:23], s[14:15], v14, s36, v[22:23]
	v_mul_lo_u32 v25, v14, s37
	v_mul_lo_u32 v33, v15, s36
	v_add3_u32 v23, v33, v23, v25
	s_mov_b64 s[42:43], 0
	s_mov_b64 s[52:53], s[36:37]
                                        ; implicit-def: $sgpr14_sgpr15
                                        ; implicit-def: $sgpr44_sgpr45
                                        ; implicit-def: $sgpr48_sgpr49
                                        ; implicit-def: $sgpr46_sgpr47
                                        ; implicit-def: $sgpr50_sgpr51
	s_branch .LBB261_906
.LBB261_905:                            ;   in Loop: Header=BB261_906 Depth=1
	s_or_b64 exec, exec, s[58:59]
	s_and_b64 s[56:57], s[56:57], s[50:51]
	s_or_b64 s[54:55], s[54:55], s[56:57]
	s_and_b64 s[56:57], exec, s[48:49]
	s_or_b64 s[42:43], s[56:57], s[42:43]
	s_andn2_b64 s[50:51], s[50:51], exec
	s_and_b64 s[54:55], s[54:55], exec
	s_andn2_b64 s[44:45], s[44:45], exec
	s_and_b64 s[56:57], s[46:47], exec
	s_andn2_b64 s[14:15], s[14:15], exec
	s_or_b64 s[50:51], s[50:51], s[54:55]
	s_or_b64 s[44:45], s[44:45], s[56:57]
	;; [unrolled: 1-line block ×3, first 2 shown]
	s_andn2_b64 exec, exec, s[42:43]
	s_cbranch_execz .LBB261_908
.LBB261_906:                            ; =>This Inner Loop Header: Depth=1
	global_load_ubyte v25, v[0:1], off
	global_load_ubyte v33, v[22:23], off
	s_or_b64 s[46:47], s[46:47], exec
	s_or_b64 s[48:49], s[48:49], exec
	s_waitcnt vmcnt(0)
	v_cmp_lt_i16_sdwa s[54:55], sext(v25), sext(v33) src0_sel:BYTE_0 src1_sel:BYTE_0
	v_cmp_le_i16_sdwa s[56:57], sext(v25), sext(v33) src0_sel:BYTE_0 src1_sel:BYTE_0
	v_cmp_eq_u16_sdwa s[60:61], v25, v33 src0_sel:BYTE_0 src1_sel:BYTE_0
	s_and_saveexec_b64 s[58:59], s[60:61]
	s_cbranch_execz .LBB261_905
; %bb.907:                              ;   in Loop: Header=BB261_906 Depth=1
	s_add_u32 s52, s52, -1
	s_addc_u32 s53, s53, -1
	s_cmp_eq_u64 s[52:53], 0
	s_cselect_b64 s[60:61], -1, 0
	s_andn2_b64 s[48:49], s[48:49], exec
	s_and_b64 s[60:61], s[60:61], exec
	v_lshl_add_u64 v[0:1], v[0:1], 0, 1
	v_lshl_add_u64 v[22:23], v[22:23], 0, 1
	s_andn2_b64 s[46:47], s[46:47], exec
	s_or_b64 s[48:49], s[48:49], s[60:61]
	s_branch .LBB261_905
.LBB261_908:
	s_or_b64 exec, exec, s[42:43]
	s_and_saveexec_b64 s[42:43], s[44:45]
	s_xor_b64 s[42:43], exec, s[42:43]
; %bb.909:
	v_cndmask_b32_e64 v1, v17, v15, s[14:15]
	v_cndmask_b32_e64 v0, v16, v14, s[14:15]
	;; [unrolled: 1-line block ×4, first 2 shown]
	v_mov_b64_e32 v[16:17], v[0:1]
; %bb.910:
	s_or_b64 exec, exec, s[42:43]
.LBB261_911:
	s_or_b64 exec, exec, s[2:3]
	s_and_saveexec_b64 s[2:3], s[16:17]
	s_cbranch_execz .LBB261_920
; %bb.912:
	s_andn2_b64 vcc, exec, s[40:41]
	s_cbranch_vccnz .LBB261_920
; %bb.913:
	v_mov_b64_e32 v[22:23], s[38:39]
	v_mad_u64_u32 v[0:1], s[14:15], v12, s36, v[22:23]
	v_mul_lo_u32 v25, v12, s37
	v_mul_lo_u32 v33, v13, s36
	v_add3_u32 v1, v33, v1, v25
	v_mad_u64_u32 v[22:23], s[14:15], v10, s36, v[22:23]
	v_mul_lo_u32 v25, v10, s37
	v_mul_lo_u32 v33, v11, s36
	v_add3_u32 v23, v33, v23, v25
	s_mov_b64 s[16:17], 0
	s_mov_b64 s[50:51], s[36:37]
                                        ; implicit-def: $sgpr14_sgpr15
                                        ; implicit-def: $sgpr42_sgpr43
                                        ; implicit-def: $sgpr46_sgpr47
                                        ; implicit-def: $sgpr44_sgpr45
                                        ; implicit-def: $sgpr48_sgpr49
	s_branch .LBB261_915
.LBB261_914:                            ;   in Loop: Header=BB261_915 Depth=1
	s_or_b64 exec, exec, s[56:57]
	s_and_b64 s[54:55], s[54:55], s[48:49]
	s_or_b64 s[52:53], s[52:53], s[54:55]
	s_and_b64 s[54:55], exec, s[46:47]
	s_or_b64 s[16:17], s[54:55], s[16:17]
	s_andn2_b64 s[48:49], s[48:49], exec
	s_and_b64 s[52:53], s[52:53], exec
	s_andn2_b64 s[42:43], s[42:43], exec
	s_and_b64 s[54:55], s[44:45], exec
	s_andn2_b64 s[14:15], s[14:15], exec
	s_or_b64 s[48:49], s[48:49], s[52:53]
	s_or_b64 s[42:43], s[42:43], s[54:55]
	;; [unrolled: 1-line block ×3, first 2 shown]
	s_andn2_b64 exec, exec, s[16:17]
	s_cbranch_execz .LBB261_917
.LBB261_915:                            ; =>This Inner Loop Header: Depth=1
	global_load_ubyte v25, v[0:1], off
	global_load_ubyte v33, v[22:23], off
	s_or_b64 s[44:45], s[44:45], exec
	s_or_b64 s[46:47], s[46:47], exec
	s_waitcnt vmcnt(0)
	v_cmp_lt_i16_sdwa s[52:53], sext(v25), sext(v33) src0_sel:BYTE_0 src1_sel:BYTE_0
	v_cmp_le_i16_sdwa s[54:55], sext(v25), sext(v33) src0_sel:BYTE_0 src1_sel:BYTE_0
	v_cmp_eq_u16_sdwa s[58:59], v25, v33 src0_sel:BYTE_0 src1_sel:BYTE_0
	s_and_saveexec_b64 s[56:57], s[58:59]
	s_cbranch_execz .LBB261_914
; %bb.916:                              ;   in Loop: Header=BB261_915 Depth=1
	s_add_u32 s50, s50, -1
	s_addc_u32 s51, s51, -1
	s_cmp_eq_u64 s[50:51], 0
	s_cselect_b64 s[58:59], -1, 0
	s_andn2_b64 s[46:47], s[46:47], exec
	s_and_b64 s[58:59], s[58:59], exec
	v_lshl_add_u64 v[0:1], v[0:1], 0, 1
	v_lshl_add_u64 v[22:23], v[22:23], 0, 1
	s_andn2_b64 s[44:45], s[44:45], exec
	s_or_b64 s[46:47], s[46:47], s[58:59]
	s_branch .LBB261_914
.LBB261_917:
	s_or_b64 exec, exec, s[16:17]
	s_and_saveexec_b64 s[16:17], s[42:43]
	s_xor_b64 s[16:17], exec, s[16:17]
; %bb.918:
	v_cndmask_b32_e64 v1, v11, v13, s[14:15]
	v_cndmask_b32_e64 v0, v10, v12, s[14:15]
	;; [unrolled: 1-line block ×4, first 2 shown]
	v_mov_b64_e32 v[10:11], v[0:1]
; %bb.919:
	s_or_b64 exec, exec, s[16:17]
.LBB261_920:
	s_or_b64 exec, exec, s[2:3]
	s_and_saveexec_b64 s[2:3], s[18:19]
	s_cbranch_execz .LBB261_929
; %bb.921:
	s_andn2_b64 vcc, exec, s[40:41]
	s_cbranch_vccnz .LBB261_929
; %bb.922:
	v_mov_b64_e32 v[22:23], s[38:39]
	v_mad_u64_u32 v[0:1], s[14:15], v8, s36, v[22:23]
	v_mul_lo_u32 v25, v8, s37
	v_mul_lo_u32 v33, v9, s36
	v_add3_u32 v1, v33, v1, v25
	v_mad_u64_u32 v[22:23], s[14:15], v6, s36, v[22:23]
	v_mul_lo_u32 v25, v6, s37
	v_mul_lo_u32 v33, v7, s36
	v_add3_u32 v23, v33, v23, v25
	s_mov_b64 s[16:17], 0
	s_mov_b64 s[48:49], s[36:37]
                                        ; implicit-def: $sgpr14_sgpr15
                                        ; implicit-def: $sgpr18_sgpr19
                                        ; implicit-def: $sgpr44_sgpr45
                                        ; implicit-def: $sgpr42_sgpr43
                                        ; implicit-def: $sgpr46_sgpr47
	s_branch .LBB261_924
.LBB261_923:                            ;   in Loop: Header=BB261_924 Depth=1
	s_or_b64 exec, exec, s[54:55]
	s_and_b64 s[52:53], s[52:53], s[46:47]
	s_or_b64 s[50:51], s[50:51], s[52:53]
	s_and_b64 s[52:53], exec, s[44:45]
	s_or_b64 s[16:17], s[52:53], s[16:17]
	s_andn2_b64 s[46:47], s[46:47], exec
	s_and_b64 s[50:51], s[50:51], exec
	s_andn2_b64 s[18:19], s[18:19], exec
	s_and_b64 s[52:53], s[42:43], exec
	s_andn2_b64 s[14:15], s[14:15], exec
	s_or_b64 s[46:47], s[46:47], s[50:51]
	s_or_b64 s[18:19], s[18:19], s[52:53]
	;; [unrolled: 1-line block ×3, first 2 shown]
	s_andn2_b64 exec, exec, s[16:17]
	s_cbranch_execz .LBB261_926
.LBB261_924:                            ; =>This Inner Loop Header: Depth=1
	global_load_ubyte v25, v[0:1], off
	global_load_ubyte v33, v[22:23], off
	s_or_b64 s[42:43], s[42:43], exec
	s_or_b64 s[44:45], s[44:45], exec
	s_waitcnt vmcnt(0)
	v_cmp_lt_i16_sdwa s[50:51], sext(v25), sext(v33) src0_sel:BYTE_0 src1_sel:BYTE_0
	v_cmp_le_i16_sdwa s[52:53], sext(v25), sext(v33) src0_sel:BYTE_0 src1_sel:BYTE_0
	v_cmp_eq_u16_sdwa s[56:57], v25, v33 src0_sel:BYTE_0 src1_sel:BYTE_0
	s_and_saveexec_b64 s[54:55], s[56:57]
	s_cbranch_execz .LBB261_923
; %bb.925:                              ;   in Loop: Header=BB261_924 Depth=1
	s_add_u32 s48, s48, -1
	s_addc_u32 s49, s49, -1
	s_cmp_eq_u64 s[48:49], 0
	s_cselect_b64 s[56:57], -1, 0
	s_andn2_b64 s[44:45], s[44:45], exec
	s_and_b64 s[56:57], s[56:57], exec
	v_lshl_add_u64 v[0:1], v[0:1], 0, 1
	v_lshl_add_u64 v[22:23], v[22:23], 0, 1
	s_andn2_b64 s[42:43], s[42:43], exec
	s_or_b64 s[44:45], s[44:45], s[56:57]
	s_branch .LBB261_923
.LBB261_926:
	s_or_b64 exec, exec, s[16:17]
	s_and_saveexec_b64 s[16:17], s[18:19]
	s_xor_b64 s[16:17], exec, s[16:17]
; %bb.927:
	v_cndmask_b32_e64 v1, v7, v9, s[14:15]
	v_cndmask_b32_e64 v0, v6, v8, s[14:15]
	v_cndmask_b32_e64 v9, v9, v7, s[14:15]
	v_cndmask_b32_e64 v8, v8, v6, s[14:15]
	v_mov_b64_e32 v[6:7], v[0:1]
; %bb.928:
	s_or_b64 exec, exec, s[16:17]
.LBB261_929:
	s_or_b64 exec, exec, s[2:3]
	s_and_saveexec_b64 s[2:3], s[20:21]
	s_cbranch_execz .LBB261_938
; %bb.930:
	s_andn2_b64 vcc, exec, s[40:41]
	s_cbranch_vccnz .LBB261_938
; %bb.931:
	v_mov_b64_e32 v[22:23], s[38:39]
	v_mad_u64_u32 v[0:1], s[14:15], v4, s36, v[22:23]
	v_mul_lo_u32 v25, v4, s37
	v_mul_lo_u32 v33, v5, s36
	v_add3_u32 v1, v33, v1, v25
	v_mad_u64_u32 v[22:23], s[14:15], v2, s36, v[22:23]
	v_mul_lo_u32 v25, v2, s37
	v_mul_lo_u32 v33, v3, s36
	v_add3_u32 v23, v33, v23, v25
	s_mov_b64 s[16:17], 0
	s_mov_b64 s[46:47], s[36:37]
                                        ; implicit-def: $sgpr14_sgpr15
                                        ; implicit-def: $sgpr18_sgpr19
                                        ; implicit-def: $sgpr42_sgpr43
                                        ; implicit-def: $sgpr20_sgpr21
                                        ; implicit-def: $sgpr44_sgpr45
	s_branch .LBB261_933
.LBB261_932:                            ;   in Loop: Header=BB261_933 Depth=1
	s_or_b64 exec, exec, s[52:53]
	s_and_b64 s[50:51], s[50:51], s[44:45]
	s_or_b64 s[48:49], s[48:49], s[50:51]
	s_and_b64 s[50:51], exec, s[42:43]
	s_or_b64 s[16:17], s[50:51], s[16:17]
	s_andn2_b64 s[44:45], s[44:45], exec
	s_and_b64 s[48:49], s[48:49], exec
	s_andn2_b64 s[18:19], s[18:19], exec
	s_and_b64 s[50:51], s[20:21], exec
	s_andn2_b64 s[14:15], s[14:15], exec
	s_or_b64 s[44:45], s[44:45], s[48:49]
	s_or_b64 s[18:19], s[18:19], s[50:51]
	;; [unrolled: 1-line block ×3, first 2 shown]
	s_andn2_b64 exec, exec, s[16:17]
	s_cbranch_execz .LBB261_935
.LBB261_933:                            ; =>This Inner Loop Header: Depth=1
	global_load_ubyte v25, v[0:1], off
	global_load_ubyte v33, v[22:23], off
	s_or_b64 s[20:21], s[20:21], exec
	s_or_b64 s[42:43], s[42:43], exec
	s_waitcnt vmcnt(0)
	v_cmp_lt_i16_sdwa s[48:49], sext(v25), sext(v33) src0_sel:BYTE_0 src1_sel:BYTE_0
	v_cmp_le_i16_sdwa s[50:51], sext(v25), sext(v33) src0_sel:BYTE_0 src1_sel:BYTE_0
	v_cmp_eq_u16_sdwa s[54:55], v25, v33 src0_sel:BYTE_0 src1_sel:BYTE_0
	s_and_saveexec_b64 s[52:53], s[54:55]
	s_cbranch_execz .LBB261_932
; %bb.934:                              ;   in Loop: Header=BB261_933 Depth=1
	s_add_u32 s46, s46, -1
	s_addc_u32 s47, s47, -1
	s_cmp_eq_u64 s[46:47], 0
	s_cselect_b64 s[54:55], -1, 0
	s_andn2_b64 s[42:43], s[42:43], exec
	s_and_b64 s[54:55], s[54:55], exec
	v_lshl_add_u64 v[0:1], v[0:1], 0, 1
	v_lshl_add_u64 v[22:23], v[22:23], 0, 1
	s_andn2_b64 s[20:21], s[20:21], exec
	s_or_b64 s[42:43], s[42:43], s[54:55]
	s_branch .LBB261_932
.LBB261_935:
	s_or_b64 exec, exec, s[16:17]
	s_and_saveexec_b64 s[16:17], s[18:19]
	s_xor_b64 s[16:17], exec, s[16:17]
; %bb.936:
	v_cndmask_b32_e64 v1, v3, v5, s[14:15]
	v_cndmask_b32_e64 v0, v2, v4, s[14:15]
	;; [unrolled: 1-line block ×4, first 2 shown]
	v_mov_b64_e32 v[2:3], v[0:1]
; %bb.937:
	s_or_b64 exec, exec, s[16:17]
.LBB261_938:
	s_or_b64 exec, exec, s[2:3]
	s_and_saveexec_b64 s[2:3], s[22:23]
	s_cbranch_execz .LBB261_947
; %bb.939:
	s_andn2_b64 vcc, exec, s[40:41]
	s_cbranch_vccnz .LBB261_947
; %bb.940:
	v_mov_b64_e32 v[22:23], s[38:39]
	v_mad_u64_u32 v[0:1], s[14:15], v10, s36, v[22:23]
	v_mul_lo_u32 v25, v10, s37
	v_mul_lo_u32 v33, v11, s36
	v_add3_u32 v1, v33, v1, v25
	v_mad_u64_u32 v[22:23], s[14:15], v16, s36, v[22:23]
	v_mul_lo_u32 v25, v16, s37
	v_mul_lo_u32 v33, v17, s36
	v_add3_u32 v23, v33, v23, v25
	s_mov_b64 s[16:17], 0
	s_mov_b64 s[44:45], s[36:37]
                                        ; implicit-def: $sgpr14_sgpr15
                                        ; implicit-def: $sgpr18_sgpr19
                                        ; implicit-def: $sgpr22_sgpr23
                                        ; implicit-def: $sgpr20_sgpr21
                                        ; implicit-def: $sgpr42_sgpr43
	s_branch .LBB261_942
.LBB261_941:                            ;   in Loop: Header=BB261_942 Depth=1
	s_or_b64 exec, exec, s[50:51]
	s_and_b64 s[48:49], s[48:49], s[42:43]
	s_or_b64 s[46:47], s[46:47], s[48:49]
	s_and_b64 s[48:49], exec, s[22:23]
	s_or_b64 s[16:17], s[48:49], s[16:17]
	s_andn2_b64 s[42:43], s[42:43], exec
	s_and_b64 s[46:47], s[46:47], exec
	s_andn2_b64 s[18:19], s[18:19], exec
	s_and_b64 s[48:49], s[20:21], exec
	s_andn2_b64 s[14:15], s[14:15], exec
	s_or_b64 s[42:43], s[42:43], s[46:47]
	s_or_b64 s[18:19], s[18:19], s[48:49]
	;; [unrolled: 1-line block ×3, first 2 shown]
	s_andn2_b64 exec, exec, s[16:17]
	s_cbranch_execz .LBB261_944
.LBB261_942:                            ; =>This Inner Loop Header: Depth=1
	global_load_ubyte v25, v[0:1], off
	global_load_ubyte v33, v[22:23], off
	s_or_b64 s[20:21], s[20:21], exec
	s_or_b64 s[22:23], s[22:23], exec
	s_waitcnt vmcnt(0)
	v_cmp_lt_i16_sdwa s[46:47], sext(v25), sext(v33) src0_sel:BYTE_0 src1_sel:BYTE_0
	v_cmp_le_i16_sdwa s[48:49], sext(v25), sext(v33) src0_sel:BYTE_0 src1_sel:BYTE_0
	v_cmp_eq_u16_sdwa s[52:53], v25, v33 src0_sel:BYTE_0 src1_sel:BYTE_0
	s_and_saveexec_b64 s[50:51], s[52:53]
	s_cbranch_execz .LBB261_941
; %bb.943:                              ;   in Loop: Header=BB261_942 Depth=1
	s_add_u32 s44, s44, -1
	s_addc_u32 s45, s45, -1
	s_cmp_eq_u64 s[44:45], 0
	s_cselect_b64 s[52:53], -1, 0
	s_andn2_b64 s[22:23], s[22:23], exec
	s_and_b64 s[52:53], s[52:53], exec
	v_lshl_add_u64 v[0:1], v[0:1], 0, 1
	v_lshl_add_u64 v[22:23], v[22:23], 0, 1
	s_andn2_b64 s[20:21], s[20:21], exec
	s_or_b64 s[22:23], s[22:23], s[52:53]
	s_branch .LBB261_941
.LBB261_944:
	s_or_b64 exec, exec, s[16:17]
	s_and_saveexec_b64 s[16:17], s[18:19]
	s_xor_b64 s[16:17], exec, s[16:17]
; %bb.945:
	v_cndmask_b32_e64 v1, v17, v11, s[14:15]
	v_cndmask_b32_e64 v0, v16, v10, s[14:15]
	;; [unrolled: 1-line block ×4, first 2 shown]
	v_mov_b64_e32 v[16:17], v[0:1]
; %bb.946:
	s_or_b64 exec, exec, s[16:17]
.LBB261_947:
	s_or_b64 exec, exec, s[2:3]
	s_and_saveexec_b64 s[2:3], s[24:25]
	s_cbranch_execz .LBB261_956
; %bb.948:
	s_andn2_b64 vcc, exec, s[40:41]
	s_cbranch_vccnz .LBB261_956
; %bb.949:
	v_mov_b64_e32 v[22:23], s[38:39]
	v_mad_u64_u32 v[0:1], s[14:15], v6, s36, v[22:23]
	v_mul_lo_u32 v25, v6, s37
	v_mul_lo_u32 v33, v7, s36
	v_add3_u32 v1, v33, v1, v25
	v_mad_u64_u32 v[22:23], s[14:15], v12, s36, v[22:23]
	v_mul_lo_u32 v25, v12, s37
	v_mul_lo_u32 v33, v13, s36
	v_add3_u32 v23, v33, v23, v25
	s_mov_b64 s[16:17], 0
	s_mov_b64 s[42:43], s[36:37]
                                        ; implicit-def: $sgpr14_sgpr15
                                        ; implicit-def: $sgpr18_sgpr19
                                        ; implicit-def: $sgpr22_sgpr23
                                        ; implicit-def: $sgpr20_sgpr21
                                        ; implicit-def: $sgpr24_sgpr25
	s_branch .LBB261_951
.LBB261_950:                            ;   in Loop: Header=BB261_951 Depth=1
	s_or_b64 exec, exec, s[48:49]
	s_and_b64 s[46:47], s[46:47], s[24:25]
	s_or_b64 s[44:45], s[44:45], s[46:47]
	s_and_b64 s[46:47], exec, s[22:23]
	s_or_b64 s[16:17], s[46:47], s[16:17]
	s_andn2_b64 s[24:25], s[24:25], exec
	s_and_b64 s[44:45], s[44:45], exec
	s_andn2_b64 s[18:19], s[18:19], exec
	s_and_b64 s[46:47], s[20:21], exec
	s_andn2_b64 s[14:15], s[14:15], exec
	s_or_b64 s[24:25], s[24:25], s[44:45]
	s_or_b64 s[18:19], s[18:19], s[46:47]
	;; [unrolled: 1-line block ×3, first 2 shown]
	s_andn2_b64 exec, exec, s[16:17]
	s_cbranch_execz .LBB261_953
.LBB261_951:                            ; =>This Inner Loop Header: Depth=1
	global_load_ubyte v25, v[0:1], off
	global_load_ubyte v33, v[22:23], off
	s_or_b64 s[20:21], s[20:21], exec
	s_or_b64 s[22:23], s[22:23], exec
	s_waitcnt vmcnt(0)
	v_cmp_lt_i16_sdwa s[44:45], sext(v25), sext(v33) src0_sel:BYTE_0 src1_sel:BYTE_0
	v_cmp_le_i16_sdwa s[46:47], sext(v25), sext(v33) src0_sel:BYTE_0 src1_sel:BYTE_0
	v_cmp_eq_u16_sdwa s[50:51], v25, v33 src0_sel:BYTE_0 src1_sel:BYTE_0
	s_and_saveexec_b64 s[48:49], s[50:51]
	s_cbranch_execz .LBB261_950
; %bb.952:                              ;   in Loop: Header=BB261_951 Depth=1
	s_add_u32 s42, s42, -1
	s_addc_u32 s43, s43, -1
	s_cmp_eq_u64 s[42:43], 0
	s_cselect_b64 s[50:51], -1, 0
	s_andn2_b64 s[22:23], s[22:23], exec
	s_and_b64 s[50:51], s[50:51], exec
	v_lshl_add_u64 v[0:1], v[0:1], 0, 1
	v_lshl_add_u64 v[22:23], v[22:23], 0, 1
	s_andn2_b64 s[20:21], s[20:21], exec
	s_or_b64 s[22:23], s[22:23], s[50:51]
	s_branch .LBB261_950
.LBB261_953:
	s_or_b64 exec, exec, s[16:17]
	s_and_saveexec_b64 s[16:17], s[18:19]
	s_xor_b64 s[16:17], exec, s[16:17]
; %bb.954:
	v_cndmask_b32_e64 v1, v13, v7, s[14:15]
	v_cndmask_b32_e64 v0, v12, v6, s[14:15]
	;; [unrolled: 1-line block ×4, first 2 shown]
	v_mov_b64_e32 v[12:13], v[0:1]
; %bb.955:
	s_or_b64 exec, exec, s[16:17]
.LBB261_956:
	s_or_b64 exec, exec, s[2:3]
	s_and_saveexec_b64 s[2:3], s[26:27]
	s_cbranch_execz .LBB261_965
; %bb.957:
	s_andn2_b64 vcc, exec, s[40:41]
	s_cbranch_vccnz .LBB261_965
; %bb.958:
	v_mov_b64_e32 v[22:23], s[38:39]
	v_mad_u64_u32 v[0:1], s[14:15], v2, s36, v[22:23]
	v_mul_lo_u32 v25, v2, s37
	v_mul_lo_u32 v33, v3, s36
	v_add3_u32 v1, v33, v1, v25
	v_mad_u64_u32 v[22:23], s[14:15], v8, s36, v[22:23]
	v_mul_lo_u32 v25, v8, s37
	v_mul_lo_u32 v33, v9, s36
	v_add3_u32 v23, v33, v23, v25
	s_mov_b64 s[16:17], 0
	s_mov_b64 s[26:27], s[36:37]
                                        ; implicit-def: $sgpr14_sgpr15
                                        ; implicit-def: $sgpr18_sgpr19
                                        ; implicit-def: $sgpr22_sgpr23
                                        ; implicit-def: $sgpr20_sgpr21
                                        ; implicit-def: $sgpr24_sgpr25
	s_branch .LBB261_960
.LBB261_959:                            ;   in Loop: Header=BB261_960 Depth=1
	s_or_b64 exec, exec, s[46:47]
	s_and_b64 s[44:45], s[44:45], s[24:25]
	s_or_b64 s[42:43], s[42:43], s[44:45]
	s_and_b64 s[44:45], exec, s[22:23]
	s_or_b64 s[16:17], s[44:45], s[16:17]
	s_andn2_b64 s[24:25], s[24:25], exec
	s_and_b64 s[42:43], s[42:43], exec
	s_andn2_b64 s[18:19], s[18:19], exec
	s_and_b64 s[44:45], s[20:21], exec
	s_andn2_b64 s[14:15], s[14:15], exec
	s_or_b64 s[24:25], s[24:25], s[42:43]
	s_or_b64 s[18:19], s[18:19], s[44:45]
	;; [unrolled: 1-line block ×3, first 2 shown]
	s_andn2_b64 exec, exec, s[16:17]
	s_cbranch_execz .LBB261_962
.LBB261_960:                            ; =>This Inner Loop Header: Depth=1
	global_load_ubyte v25, v[0:1], off
	global_load_ubyte v33, v[22:23], off
	s_or_b64 s[20:21], s[20:21], exec
	s_or_b64 s[22:23], s[22:23], exec
	s_waitcnt vmcnt(0)
	v_cmp_lt_i16_sdwa s[42:43], sext(v25), sext(v33) src0_sel:BYTE_0 src1_sel:BYTE_0
	v_cmp_le_i16_sdwa s[44:45], sext(v25), sext(v33) src0_sel:BYTE_0 src1_sel:BYTE_0
	v_cmp_eq_u16_sdwa s[48:49], v25, v33 src0_sel:BYTE_0 src1_sel:BYTE_0
	s_and_saveexec_b64 s[46:47], s[48:49]
	s_cbranch_execz .LBB261_959
; %bb.961:                              ;   in Loop: Header=BB261_960 Depth=1
	s_add_u32 s26, s26, -1
	s_addc_u32 s27, s27, -1
	s_cmp_eq_u64 s[26:27], 0
	s_cselect_b64 s[48:49], -1, 0
	s_andn2_b64 s[22:23], s[22:23], exec
	s_and_b64 s[48:49], s[48:49], exec
	v_lshl_add_u64 v[0:1], v[0:1], 0, 1
	v_lshl_add_u64 v[22:23], v[22:23], 0, 1
	s_andn2_b64 s[20:21], s[20:21], exec
	s_or_b64 s[22:23], s[22:23], s[48:49]
	s_branch .LBB261_959
.LBB261_962:
	s_or_b64 exec, exec, s[16:17]
	s_and_saveexec_b64 s[16:17], s[18:19]
	s_xor_b64 s[16:17], exec, s[16:17]
; %bb.963:
	v_cndmask_b32_e64 v1, v9, v3, s[14:15]
	v_cndmask_b32_e64 v0, v8, v2, s[14:15]
	;; [unrolled: 1-line block ×4, first 2 shown]
	v_mov_b64_e32 v[8:9], v[0:1]
; %bb.964:
	s_or_b64 exec, exec, s[16:17]
.LBB261_965:
	s_or_b64 exec, exec, s[2:3]
	v_mbcnt_lo_u32_b32 v0, -1, 0
	v_mbcnt_hi_u32_b32 v0, -1, v0
	v_and_b32_e32 v1, 0xfffffe00, v24
	v_lshlrev_b32_e32 v33, 3, v1
	v_lshlrev_b32_e32 v35, 3, v0
	v_sub_u32_e64 v34, s33, v1 clamp
	v_lshl_add_u32 v36, v0, 6, v33
	v_or_b32_e32 v0, 8, v35
	v_min_u32_e32 v24, v34, v0
	v_add_u32_e32 v0, 8, v24
	v_and_b32_e32 v39, 0x3f0, v35
	v_min_u32_e32 v25, v34, v0
	v_and_b32_e32 v0, 8, v35
	v_min_u32_e32 v40, v34, v0
	v_sub_u32_e32 v0, v24, v39
	v_sub_u32_e32 v1, v25, v24
	v_sub_u32_e64 v38, v40, v1 clamp
	v_min_u32_e32 v41, v40, v0
	v_lshl_add_u32 v37, v39, 3, v33
	v_cmp_lt_u32_e32 vcc, v38, v41
	ds_write_b128 v36, v[14:17]
	ds_write_b128 v36, v[10:13] offset:16
	ds_write_b128 v36, v[6:9] offset:32
	;; [unrolled: 1-line block ×3, first 2 shown]
	; wave barrier
	s_and_saveexec_b64 s[2:3], vcc
	s_cbranch_execz .LBB261_975
; %bb.966:
	v_lshlrev_b32_e32 v0, 3, v24
	v_lshlrev_b32_e32 v1, 3, v40
	v_add3_u32 v42, v33, v0, v1
	v_cndmask_b32_e64 v0, 0, 1, s[40:41]
	s_mov_b64 s[16:17], 0
	v_cmp_ne_u32_e64 s[14:15], 1, v0
	s_branch .LBB261_969
.LBB261_967:                            ;   in Loop: Header=BB261_969 Depth=1
	s_or_b64 exec, exec, s[20:21]
.LBB261_968:                            ;   in Loop: Header=BB261_969 Depth=1
	v_add_u32_e32 v0, 1, v43
	v_cndmask_b32_e64 v41, v41, v43, s[18:19]
	v_cndmask_b32_e64 v38, v0, v38, s[18:19]
	v_cmp_ge_u32_e32 vcc, v38, v41
	s_or_b64 s[16:17], vcc, s[16:17]
	s_andn2_b64 exec, exec, s[16:17]
	s_cbranch_execz .LBB261_974
.LBB261_969:                            ; =>This Loop Header: Depth=1
                                        ;     Child Loop BB261_972 Depth 2
	v_add_u32_e32 v0, v41, v38
	v_lshrrev_b32_e32 v43, 1, v0
	s_and_b64 vcc, exec, s[14:15]
	s_mov_b64 s[18:19], 0
	s_cbranch_vccnz .LBB261_968
; %bb.970:                              ;   in Loop: Header=BB261_969 Depth=1
	v_not_b32_e32 v0, v43
	v_lshl_add_u32 v0, v0, 3, v42
	ds_read_b64 v[0:1], v0
	v_lshl_add_u32 v44, v43, 3, v37
	ds_read_b64 v[44:45], v44
	v_mov_b64_e32 v[22:23], s[38:39]
	s_mov_b64 s[20:21], 0
	s_waitcnt lgkmcnt(1)
	v_mul_lo_u32 v46, v0, s37
	v_mul_lo_u32 v47, v1, s36
	v_mad_u64_u32 v[0:1], s[18:19], v0, s36, v[22:23]
	v_add3_u32 v1, v47, v1, v46
	s_waitcnt lgkmcnt(0)
	v_mul_lo_u32 v46, v44, s37
	v_mul_lo_u32 v45, v45, s36
	v_mad_u64_u32 v[22:23], s[18:19], v44, s36, v[22:23]
	v_add3_u32 v23, v45, v23, v46
	s_mov_b64 s[24:25], s[36:37]
                                        ; implicit-def: $sgpr18_sgpr19
                                        ; implicit-def: $sgpr22_sgpr23
                                        ; implicit-def: $sgpr26_sgpr27
                                        ; implicit-def: $sgpr42_sgpr43
	s_branch .LBB261_972
.LBB261_971:                            ;   in Loop: Header=BB261_972 Depth=2
	s_or_b64 exec, exec, s[46:47]
	s_and_b64 s[46:47], exec, s[22:23]
	s_or_b64 s[20:21], s[46:47], s[20:21]
	s_andn2_b64 s[42:43], s[42:43], exec
	s_and_b64 s[44:45], s[44:45], exec
	s_or_b64 s[42:43], s[42:43], s[44:45]
	s_andn2_b64 s[18:19], s[18:19], exec
	s_and_b64 s[44:45], s[26:27], exec
	s_or_b64 s[18:19], s[18:19], s[44:45]
	s_andn2_b64 exec, exec, s[20:21]
	s_cbranch_execz .LBB261_967
.LBB261_972:                            ;   Parent Loop BB261_969 Depth=1
                                        ; =>  This Inner Loop Header: Depth=2
	global_load_ubyte v44, v[0:1], off
	global_load_ubyte v45, v[22:23], off
	s_andn2_b64 s[26:27], s[26:27], exec
	s_or_b64 s[22:23], s[22:23], exec
	s_waitcnt vmcnt(0)
	v_cmp_le_i16_sdwa s[46:47], sext(v44), sext(v45) src0_sel:BYTE_0 src1_sel:BYTE_0
	v_cmp_lt_i16_sdwa s[44:45], sext(v44), sext(v45) src0_sel:BYTE_0 src1_sel:BYTE_0
	s_and_b64 s[46:47], s[46:47], s[42:43]
	s_or_b64 s[44:45], s[44:45], s[46:47]
	s_and_b64 s[46:47], s[44:45], exec
	v_cmp_eq_u16_sdwa s[48:49], v44, v45 src0_sel:BYTE_0 src1_sel:BYTE_0
	s_or_b64 s[26:27], s[26:27], s[46:47]
	s_and_saveexec_b64 s[46:47], s[48:49]
	s_cbranch_execz .LBB261_971
; %bb.973:                              ;   in Loop: Header=BB261_972 Depth=2
	s_add_u32 s24, s24, -1
	s_addc_u32 s25, s25, -1
	s_cmp_eq_u64 s[24:25], 0
	s_cselect_b64 s[42:43], -1, 0
	s_andn2_b64 s[22:23], s[22:23], exec
	s_and_b64 s[42:43], s[42:43], exec
	v_lshl_add_u64 v[0:1], v[0:1], 0, 1
	v_lshl_add_u64 v[22:23], v[22:23], 0, 1
	s_andn2_b64 s[26:27], s[26:27], exec
	s_or_b64 s[22:23], s[22:23], s[42:43]
                                        ; implicit-def: $sgpr42_sgpr43
	s_branch .LBB261_971
.LBB261_974:
	s_or_b64 exec, exec, s[16:17]
.LBB261_975:
	s_or_b64 exec, exec, s[2:3]
	v_add_u32_e32 v0, v24, v40
	v_add_u32_e32 v23, v38, v39
	v_sub_u32_e32 v39, v0, v38
	v_cmp_le_u32_e32 vcc, v23, v24
	v_cmp_le_u32_e64 s[2:3], v39, v25
	s_or_b64 s[2:3], vcc, s[2:3]
	s_and_saveexec_b64 s[14:15], s[2:3]
	s_cbranch_execz .LBB261_1066
; %bb.976:
	v_cmp_ge_u32_e32 vcc, v23, v24
	v_cmp_lt_u32_e64 s[2:3], v23, v24
                                        ; implicit-def: $vgpr0_vgpr1
	s_and_saveexec_b64 s[16:17], s[2:3]
; %bb.977:
	v_lshl_add_u32 v0, v38, 3, v37
	ds_read_b64 v[0:1], v0
; %bb.978:
	s_or_b64 exec, exec, s[16:17]
	v_cmp_ge_u32_e64 s[16:17], v39, v25
	v_cmp_lt_u32_e64 s[2:3], v39, v25
                                        ; implicit-def: $vgpr2_vgpr3
	s_and_saveexec_b64 s[18:19], s[2:3]
; %bb.979:
	v_lshl_add_u32 v2, v39, 3, v33
	ds_read_b64 v[2:3], v2
; %bb.980:
	s_or_b64 exec, exec, s[18:19]
	s_nor_b64 s[18:19], vcc, s[16:17]
	s_and_saveexec_b64 s[2:3], s[18:19]
	s_cbranch_execz .LBB261_989
; %bb.981:
	s_andn2_b64 vcc, exec, s[40:41]
	s_cbranch_vccnz .LBB261_987
; %bb.982:
	v_mov_b64_e32 v[6:7], s[38:39]
	s_waitcnt lgkmcnt(0)
	v_mad_u64_u32 v[4:5], s[18:19], v2, s36, v[6:7]
	v_mul_lo_u32 v8, v2, s37
	v_mul_lo_u32 v9, v3, s36
	v_add3_u32 v5, v9, v5, v8
	v_mad_u64_u32 v[6:7], s[18:19], v0, s36, v[6:7]
	v_mul_lo_u32 v8, v0, s37
	v_mul_lo_u32 v9, v1, s36
	v_add3_u32 v7, v9, v7, v8
	s_mov_b64 s[18:19], 0
	s_mov_b64 s[24:25], s[36:37]
                                        ; implicit-def: $sgpr20_sgpr21
                                        ; implicit-def: $sgpr22_sgpr23
                                        ; implicit-def: $sgpr26_sgpr27
                                        ; implicit-def: $sgpr42_sgpr43
	s_branch .LBB261_984
.LBB261_983:                            ;   in Loop: Header=BB261_984 Depth=1
	s_or_b64 exec, exec, s[46:47]
	s_and_b64 s[46:47], exec, s[22:23]
	s_or_b64 s[18:19], s[46:47], s[18:19]
	s_andn2_b64 s[42:43], s[42:43], exec
	s_and_b64 s[44:45], s[44:45], exec
	s_or_b64 s[42:43], s[42:43], s[44:45]
	s_andn2_b64 s[20:21], s[20:21], exec
	s_and_b64 s[44:45], s[26:27], exec
	s_or_b64 s[20:21], s[20:21], s[44:45]
	s_andn2_b64 exec, exec, s[18:19]
	s_cbranch_execz .LBB261_986
.LBB261_984:                            ; =>This Inner Loop Header: Depth=1
	global_load_ubyte v8, v[4:5], off
	global_load_ubyte v9, v[6:7], off
	s_andn2_b64 s[26:27], s[26:27], exec
	s_or_b64 s[22:23], s[22:23], exec
	s_waitcnt vmcnt(0)
	v_cmp_le_i16_sdwa s[46:47], sext(v8), sext(v9) src0_sel:BYTE_0 src1_sel:BYTE_0
	v_cmp_lt_i16_sdwa s[44:45], sext(v8), sext(v9) src0_sel:BYTE_0 src1_sel:BYTE_0
	s_and_b64 s[46:47], s[46:47], s[42:43]
	s_or_b64 s[44:45], s[44:45], s[46:47]
	s_and_b64 s[46:47], s[44:45], exec
	v_cmp_eq_u16_sdwa s[48:49], v8, v9 src0_sel:BYTE_0 src1_sel:BYTE_0
	s_or_b64 s[26:27], s[26:27], s[46:47]
	s_and_saveexec_b64 s[46:47], s[48:49]
	s_cbranch_execz .LBB261_983
; %bb.985:                              ;   in Loop: Header=BB261_984 Depth=1
	s_add_u32 s24, s24, -1
	s_addc_u32 s25, s25, -1
	s_cmp_eq_u64 s[24:25], 0
	s_cselect_b64 s[42:43], -1, 0
	s_andn2_b64 s[22:23], s[22:23], exec
	s_and_b64 s[42:43], s[42:43], exec
	v_lshl_add_u64 v[4:5], v[4:5], 0, 1
	v_lshl_add_u64 v[6:7], v[6:7], 0, 1
	s_andn2_b64 s[26:27], s[26:27], exec
	s_or_b64 s[22:23], s[22:23], s[42:43]
                                        ; implicit-def: $sgpr42_sgpr43
	s_branch .LBB261_983
.LBB261_986:
	s_or_b64 exec, exec, s[18:19]
	s_xor_b64 s[18:19], s[20:21], -1
	s_branch .LBB261_988
.LBB261_987:
	s_mov_b64 s[18:19], -1
.LBB261_988:
	s_andn2_b64 s[16:17], s[16:17], exec
	s_and_b64 s[18:19], s[18:19], exec
	s_or_b64 s[16:17], s[16:17], s[18:19]
.LBB261_989:
	s_or_b64 exec, exec, s[2:3]
	v_cndmask_b32_e64 v4, v39, v23, s[16:17]
	v_cndmask_b32_e64 v5, v25, v24, s[16:17]
	v_add_u32_e32 v6, 1, v4
	v_add_u32_e32 v4, -1, v5
	v_min_u32_e32 v4, v6, v4
	v_lshl_add_u32 v4, v4, 3, v33
	ds_read_b64 v[4:5], v4
	v_cndmask_b32_e64 v8, v6, v39, s[16:17]
	v_cndmask_b32_e64 v9, v23, v6, s[16:17]
	v_cmp_lt_u32_e32 vcc, v8, v25
	s_mov_b64 s[18:19], -1
	s_waitcnt lgkmcnt(0)
	v_cndmask_b32_e64 v14, v5, v3, s[16:17]
	v_cndmask_b32_e64 v15, v4, v2, s[16:17]
	v_cndmask_b32_e64 v16, v1, v5, s[16:17]
	v_cndmask_b32_e64 v22, v0, v4, s[16:17]
	s_mov_b64 s[2:3], -1
	s_and_saveexec_b64 s[20:21], vcc
	s_cbranch_execz .LBB261_1000
; %bb.990:
	v_cmp_lt_u32_e32 vcc, v9, v24
	s_mov_b64 s[22:23], 0
	s_and_saveexec_b64 s[2:3], vcc
	s_cbranch_execz .LBB261_999
; %bb.991:
	s_andn2_b64 vcc, exec, s[40:41]
	s_cbranch_vccnz .LBB261_997
; %bb.992:
	v_mov_b64_e32 v[6:7], s[38:39]
	v_mad_u64_u32 v[4:5], s[22:23], v15, s36, v[6:7]
	v_mul_lo_u32 v10, v15, s37
	v_mul_lo_u32 v11, v14, s36
	v_add3_u32 v5, v11, v5, v10
	v_mad_u64_u32 v[6:7], s[22:23], v22, s36, v[6:7]
	v_mul_lo_u32 v10, v22, s37
	v_mul_lo_u32 v11, v16, s36
	v_add3_u32 v7, v11, v7, v10
	s_mov_b64 s[22:23], 0
	s_mov_b64 s[42:43], s[36:37]
                                        ; implicit-def: $sgpr24_sgpr25
                                        ; implicit-def: $sgpr26_sgpr27
                                        ; implicit-def: $sgpr44_sgpr45
                                        ; implicit-def: $sgpr46_sgpr47
	s_branch .LBB261_994
.LBB261_993:                            ;   in Loop: Header=BB261_994 Depth=1
	s_or_b64 exec, exec, s[50:51]
	s_and_b64 s[50:51], exec, s[26:27]
	s_or_b64 s[22:23], s[50:51], s[22:23]
	s_andn2_b64 s[46:47], s[46:47], exec
	s_and_b64 s[48:49], s[48:49], exec
	s_or_b64 s[46:47], s[46:47], s[48:49]
	s_andn2_b64 s[24:25], s[24:25], exec
	s_and_b64 s[48:49], s[44:45], exec
	s_or_b64 s[24:25], s[24:25], s[48:49]
	s_andn2_b64 exec, exec, s[22:23]
	s_cbranch_execz .LBB261_996
.LBB261_994:                            ; =>This Inner Loop Header: Depth=1
	global_load_ubyte v10, v[4:5], off
	global_load_ubyte v11, v[6:7], off
	s_andn2_b64 s[44:45], s[44:45], exec
	s_or_b64 s[26:27], s[26:27], exec
	s_waitcnt vmcnt(0)
	v_cmp_le_i16_sdwa s[50:51], sext(v10), sext(v11) src0_sel:BYTE_0 src1_sel:BYTE_0
	v_cmp_lt_i16_sdwa s[48:49], sext(v10), sext(v11) src0_sel:BYTE_0 src1_sel:BYTE_0
	s_and_b64 s[50:51], s[50:51], s[46:47]
	s_or_b64 s[48:49], s[48:49], s[50:51]
	s_and_b64 s[50:51], s[48:49], exec
	v_cmp_eq_u16_sdwa s[52:53], v10, v11 src0_sel:BYTE_0 src1_sel:BYTE_0
	s_or_b64 s[44:45], s[44:45], s[50:51]
	s_and_saveexec_b64 s[50:51], s[52:53]
	s_cbranch_execz .LBB261_993
; %bb.995:                              ;   in Loop: Header=BB261_994 Depth=1
	s_add_u32 s42, s42, -1
	s_addc_u32 s43, s43, -1
	s_cmp_eq_u64 s[42:43], 0
	s_cselect_b64 s[46:47], -1, 0
	s_andn2_b64 s[26:27], s[26:27], exec
	s_and_b64 s[46:47], s[46:47], exec
	v_lshl_add_u64 v[4:5], v[4:5], 0, 1
	v_lshl_add_u64 v[6:7], v[6:7], 0, 1
	s_andn2_b64 s[44:45], s[44:45], exec
	s_or_b64 s[26:27], s[26:27], s[46:47]
                                        ; implicit-def: $sgpr46_sgpr47
	s_branch .LBB261_993
.LBB261_996:
	s_or_b64 exec, exec, s[22:23]
	s_xor_b64 s[22:23], s[24:25], -1
	s_branch .LBB261_998
.LBB261_997:
	s_mov_b64 s[22:23], -1
.LBB261_998:
	s_and_b64 s[22:23], s[22:23], exec
.LBB261_999:
	s_or_b64 exec, exec, s[2:3]
	s_orn2_b64 s[2:3], s[22:23], exec
.LBB261_1000:
	s_or_b64 exec, exec, s[20:21]
	v_cndmask_b32_e64 v4, v8, v9, s[2:3]
	v_cndmask_b32_e64 v5, v25, v24, s[2:3]
	v_add_u32_e32 v6, 1, v4
	v_add_u32_e32 v4, -1, v5
	v_min_u32_e32 v4, v6, v4
	v_lshl_add_u32 v4, v4, 3, v33
	ds_read_b64 v[4:5], v4
	v_cndmask_b32_e64 v8, v6, v8, s[2:3]
	v_cndmask_b32_e64 v9, v9, v6, s[2:3]
	v_cmp_lt_u32_e32 vcc, v8, v25
	s_waitcnt lgkmcnt(0)
	v_cndmask_b32_e64 v10, v5, v14, s[2:3]
	v_cndmask_b32_e64 v17, v4, v15, s[2:3]
	;; [unrolled: 1-line block ×4, first 2 shown]
	s_and_saveexec_b64 s[20:21], vcc
	s_cbranch_execz .LBB261_1011
; %bb.1001:
	v_cmp_lt_u32_e32 vcc, v9, v24
	s_mov_b64 s[22:23], 0
	s_and_saveexec_b64 s[18:19], vcc
	s_cbranch_execz .LBB261_1010
; %bb.1002:
	s_andn2_b64 vcc, exec, s[40:41]
	s_cbranch_vccnz .LBB261_1008
; %bb.1003:
	v_mov_b64_e32 v[6:7], s[38:39]
	v_mad_u64_u32 v[4:5], s[22:23], v17, s36, v[6:7]
	v_mul_lo_u32 v12, v17, s37
	v_mul_lo_u32 v13, v10, s36
	v_add3_u32 v5, v13, v5, v12
	v_mad_u64_u32 v[6:7], s[22:23], v23, s36, v[6:7]
	v_mul_lo_u32 v12, v23, s37
	v_mul_lo_u32 v13, v11, s36
	v_add3_u32 v7, v13, v7, v12
	s_mov_b64 s[22:23], 0
	s_mov_b64 s[42:43], s[36:37]
                                        ; implicit-def: $sgpr24_sgpr25
                                        ; implicit-def: $sgpr26_sgpr27
                                        ; implicit-def: $sgpr44_sgpr45
                                        ; implicit-def: $sgpr46_sgpr47
	s_branch .LBB261_1005
.LBB261_1004:                           ;   in Loop: Header=BB261_1005 Depth=1
	s_or_b64 exec, exec, s[50:51]
	s_and_b64 s[50:51], exec, s[26:27]
	s_or_b64 s[22:23], s[50:51], s[22:23]
	s_andn2_b64 s[46:47], s[46:47], exec
	s_and_b64 s[48:49], s[48:49], exec
	s_or_b64 s[46:47], s[46:47], s[48:49]
	s_andn2_b64 s[24:25], s[24:25], exec
	s_and_b64 s[48:49], s[44:45], exec
	s_or_b64 s[24:25], s[24:25], s[48:49]
	s_andn2_b64 exec, exec, s[22:23]
	s_cbranch_execz .LBB261_1007
.LBB261_1005:                           ; =>This Inner Loop Header: Depth=1
	global_load_ubyte v12, v[4:5], off
	global_load_ubyte v13, v[6:7], off
	s_andn2_b64 s[44:45], s[44:45], exec
	s_or_b64 s[26:27], s[26:27], exec
	s_waitcnt vmcnt(0)
	v_cmp_le_i16_sdwa s[50:51], sext(v12), sext(v13) src0_sel:BYTE_0 src1_sel:BYTE_0
	v_cmp_lt_i16_sdwa s[48:49], sext(v12), sext(v13) src0_sel:BYTE_0 src1_sel:BYTE_0
	s_and_b64 s[50:51], s[50:51], s[46:47]
	s_or_b64 s[48:49], s[48:49], s[50:51]
	s_and_b64 s[50:51], s[48:49], exec
	v_cmp_eq_u16_sdwa s[52:53], v12, v13 src0_sel:BYTE_0 src1_sel:BYTE_0
	s_or_b64 s[44:45], s[44:45], s[50:51]
	s_and_saveexec_b64 s[50:51], s[52:53]
	s_cbranch_execz .LBB261_1004
; %bb.1006:                             ;   in Loop: Header=BB261_1005 Depth=1
	s_add_u32 s42, s42, -1
	s_addc_u32 s43, s43, -1
	s_cmp_eq_u64 s[42:43], 0
	s_cselect_b64 s[46:47], -1, 0
	s_andn2_b64 s[26:27], s[26:27], exec
	s_and_b64 s[46:47], s[46:47], exec
	v_lshl_add_u64 v[4:5], v[4:5], 0, 1
	v_lshl_add_u64 v[6:7], v[6:7], 0, 1
	s_andn2_b64 s[44:45], s[44:45], exec
	s_or_b64 s[26:27], s[26:27], s[46:47]
                                        ; implicit-def: $sgpr46_sgpr47
	s_branch .LBB261_1004
.LBB261_1007:
	s_or_b64 exec, exec, s[22:23]
	s_xor_b64 s[22:23], s[24:25], -1
	s_branch .LBB261_1009
.LBB261_1008:
	s_mov_b64 s[22:23], -1
.LBB261_1009:
	s_and_b64 s[22:23], s[22:23], exec
.LBB261_1010:
	s_or_b64 exec, exec, s[18:19]
	s_orn2_b64 s[18:19], s[22:23], exec
.LBB261_1011:
	s_or_b64 exec, exec, s[20:21]
	v_cndmask_b32_e64 v4, v8, v9, s[18:19]
	v_cndmask_b32_e64 v5, v25, v24, s[18:19]
	v_add_u32_e32 v6, 1, v4
	v_add_u32_e32 v4, -1, v5
	v_min_u32_e32 v4, v6, v4
	v_lshl_add_u32 v4, v4, 3, v33
	ds_read_b64 v[4:5], v4
	v_cndmask_b32_e64 v8, v6, v8, s[18:19]
	v_cndmask_b32_e64 v9, v9, v6, s[18:19]
	v_cmp_lt_u32_e32 vcc, v8, v25
	s_mov_b64 s[22:23], -1
	s_waitcnt lgkmcnt(0)
	v_cndmask_b32_e64 v12, v5, v10, s[18:19]
	v_cndmask_b32_e64 v37, v4, v17, s[18:19]
	;; [unrolled: 1-line block ×4, first 2 shown]
	s_mov_b64 s[20:21], -1
	s_and_saveexec_b64 s[24:25], vcc
	s_cbranch_execz .LBB261_1022
; %bb.1012:
	v_cmp_lt_u32_e32 vcc, v9, v24
	s_mov_b64 s[26:27], 0
	s_and_saveexec_b64 s[20:21], vcc
	s_cbranch_execz .LBB261_1021
; %bb.1013:
	s_andn2_b64 vcc, exec, s[40:41]
	s_cbranch_vccnz .LBB261_1019
; %bb.1014:
	v_mov_b64_e32 v[6:7], s[38:39]
	v_mad_u64_u32 v[4:5], s[26:27], v37, s36, v[6:7]
	v_mul_lo_u32 v39, v37, s37
	v_mul_lo_u32 v40, v12, s36
	v_add3_u32 v5, v40, v5, v39
	v_mad_u64_u32 v[6:7], s[26:27], v38, s36, v[6:7]
	v_mul_lo_u32 v39, v38, s37
	v_mul_lo_u32 v40, v13, s36
	v_add3_u32 v7, v40, v7, v39
	s_mov_b64 s[26:27], 0
	s_mov_b64 s[46:47], s[36:37]
                                        ; implicit-def: $sgpr42_sgpr43
                                        ; implicit-def: $sgpr44_sgpr45
                                        ; implicit-def: $sgpr48_sgpr49
                                        ; implicit-def: $sgpr50_sgpr51
	s_branch .LBB261_1016
.LBB261_1015:                           ;   in Loop: Header=BB261_1016 Depth=1
	s_or_b64 exec, exec, s[54:55]
	s_and_b64 s[54:55], exec, s[44:45]
	s_or_b64 s[26:27], s[54:55], s[26:27]
	s_andn2_b64 s[50:51], s[50:51], exec
	s_and_b64 s[52:53], s[52:53], exec
	s_or_b64 s[50:51], s[50:51], s[52:53]
	s_andn2_b64 s[42:43], s[42:43], exec
	s_and_b64 s[52:53], s[48:49], exec
	s_or_b64 s[42:43], s[42:43], s[52:53]
	s_andn2_b64 exec, exec, s[26:27]
	s_cbranch_execz .LBB261_1018
.LBB261_1016:                           ; =>This Inner Loop Header: Depth=1
	global_load_ubyte v39, v[4:5], off
	global_load_ubyte v40, v[6:7], off
	s_andn2_b64 s[48:49], s[48:49], exec
	s_or_b64 s[44:45], s[44:45], exec
	s_waitcnt vmcnt(0)
	v_cmp_le_i16_sdwa s[54:55], sext(v39), sext(v40) src0_sel:BYTE_0 src1_sel:BYTE_0
	v_cmp_lt_i16_sdwa s[52:53], sext(v39), sext(v40) src0_sel:BYTE_0 src1_sel:BYTE_0
	s_and_b64 s[54:55], s[54:55], s[50:51]
	s_or_b64 s[52:53], s[52:53], s[54:55]
	s_and_b64 s[54:55], s[52:53], exec
	v_cmp_eq_u16_sdwa s[56:57], v39, v40 src0_sel:BYTE_0 src1_sel:BYTE_0
	s_or_b64 s[48:49], s[48:49], s[54:55]
	s_and_saveexec_b64 s[54:55], s[56:57]
	s_cbranch_execz .LBB261_1015
; %bb.1017:                             ;   in Loop: Header=BB261_1016 Depth=1
	s_add_u32 s46, s46, -1
	s_addc_u32 s47, s47, -1
	s_cmp_eq_u64 s[46:47], 0
	s_cselect_b64 s[50:51], -1, 0
	s_andn2_b64 s[44:45], s[44:45], exec
	s_and_b64 s[50:51], s[50:51], exec
	v_lshl_add_u64 v[4:5], v[4:5], 0, 1
	v_lshl_add_u64 v[6:7], v[6:7], 0, 1
	s_andn2_b64 s[48:49], s[48:49], exec
	s_or_b64 s[44:45], s[44:45], s[50:51]
                                        ; implicit-def: $sgpr50_sgpr51
	s_branch .LBB261_1015
.LBB261_1018:
	s_or_b64 exec, exec, s[26:27]
	s_xor_b64 s[26:27], s[42:43], -1
	s_branch .LBB261_1020
.LBB261_1019:
	s_mov_b64 s[26:27], -1
.LBB261_1020:
	s_and_b64 s[26:27], s[26:27], exec
.LBB261_1021:
	s_or_b64 exec, exec, s[20:21]
	s_orn2_b64 s[20:21], s[26:27], exec
.LBB261_1022:
	s_or_b64 exec, exec, s[24:25]
	v_cndmask_b32_e64 v4, v8, v9, s[20:21]
	v_cndmask_b32_e64 v5, v25, v24, s[20:21]
	v_add_u32_e32 v6, 1, v4
	v_add_u32_e32 v4, -1, v5
	v_min_u32_e32 v4, v6, v4
	v_lshl_add_u32 v4, v4, 3, v33
	ds_read_b64 v[4:5], v4
	v_cndmask_b32_e64 v45, v6, v8, s[20:21]
	v_cndmask_b32_e64 v46, v9, v6, s[20:21]
	v_cmp_lt_u32_e32 vcc, v45, v25
	s_waitcnt lgkmcnt(0)
	v_cndmask_b32_e64 v39, v5, v12, s[20:21]
	v_cndmask_b32_e64 v40, v4, v37, s[20:21]
	;; [unrolled: 1-line block ×4, first 2 shown]
	s_and_saveexec_b64 s[24:25], vcc
	s_cbranch_execz .LBB261_1033
; %bb.1023:
	v_cmp_lt_u32_e32 vcc, v46, v24
	s_mov_b64 s[26:27], 0
	s_and_saveexec_b64 s[22:23], vcc
	s_cbranch_execz .LBB261_1032
; %bb.1024:
	s_andn2_b64 vcc, exec, s[40:41]
	s_cbranch_vccnz .LBB261_1030
; %bb.1025:
	v_mov_b64_e32 v[6:7], s[38:39]
	v_mad_u64_u32 v[4:5], s[26:27], v40, s36, v[6:7]
	v_mul_lo_u32 v8, v40, s37
	v_mul_lo_u32 v9, v39, s36
	v_add3_u32 v5, v9, v5, v8
	v_mad_u64_u32 v[6:7], s[26:27], v42, s36, v[6:7]
	v_mul_lo_u32 v8, v42, s37
	v_mul_lo_u32 v9, v41, s36
	v_add3_u32 v7, v9, v7, v8
	s_mov_b64 s[26:27], 0
	s_mov_b64 s[46:47], s[36:37]
                                        ; implicit-def: $sgpr42_sgpr43
                                        ; implicit-def: $sgpr44_sgpr45
                                        ; implicit-def: $sgpr48_sgpr49
                                        ; implicit-def: $sgpr50_sgpr51
	s_branch .LBB261_1027
.LBB261_1026:                           ;   in Loop: Header=BB261_1027 Depth=1
	s_or_b64 exec, exec, s[54:55]
	s_and_b64 s[54:55], exec, s[44:45]
	s_or_b64 s[26:27], s[54:55], s[26:27]
	s_andn2_b64 s[50:51], s[50:51], exec
	s_and_b64 s[52:53], s[52:53], exec
	s_or_b64 s[50:51], s[50:51], s[52:53]
	s_andn2_b64 s[42:43], s[42:43], exec
	s_and_b64 s[52:53], s[48:49], exec
	s_or_b64 s[42:43], s[42:43], s[52:53]
	s_andn2_b64 exec, exec, s[26:27]
	s_cbranch_execz .LBB261_1029
.LBB261_1027:                           ; =>This Inner Loop Header: Depth=1
	global_load_ubyte v8, v[4:5], off
	global_load_ubyte v9, v[6:7], off
	s_andn2_b64 s[48:49], s[48:49], exec
	s_or_b64 s[44:45], s[44:45], exec
	s_waitcnt vmcnt(0)
	v_cmp_le_i16_sdwa s[54:55], sext(v8), sext(v9) src0_sel:BYTE_0 src1_sel:BYTE_0
	v_cmp_lt_i16_sdwa s[52:53], sext(v8), sext(v9) src0_sel:BYTE_0 src1_sel:BYTE_0
	s_and_b64 s[54:55], s[54:55], s[50:51]
	s_or_b64 s[52:53], s[52:53], s[54:55]
	s_and_b64 s[54:55], s[52:53], exec
	v_cmp_eq_u16_sdwa s[56:57], v8, v9 src0_sel:BYTE_0 src1_sel:BYTE_0
	s_or_b64 s[48:49], s[48:49], s[54:55]
	s_and_saveexec_b64 s[54:55], s[56:57]
	s_cbranch_execz .LBB261_1026
; %bb.1028:                             ;   in Loop: Header=BB261_1027 Depth=1
	s_add_u32 s46, s46, -1
	s_addc_u32 s47, s47, -1
	s_cmp_eq_u64 s[46:47], 0
	s_cselect_b64 s[50:51], -1, 0
	s_andn2_b64 s[44:45], s[44:45], exec
	s_and_b64 s[50:51], s[50:51], exec
	v_lshl_add_u64 v[4:5], v[4:5], 0, 1
	v_lshl_add_u64 v[6:7], v[6:7], 0, 1
	s_andn2_b64 s[48:49], s[48:49], exec
	s_or_b64 s[44:45], s[44:45], s[50:51]
                                        ; implicit-def: $sgpr50_sgpr51
	s_branch .LBB261_1026
.LBB261_1029:
	s_or_b64 exec, exec, s[26:27]
	s_xor_b64 s[26:27], s[42:43], -1
	s_branch .LBB261_1031
.LBB261_1030:
	s_mov_b64 s[26:27], -1
.LBB261_1031:
	s_and_b64 s[26:27], s[26:27], exec
.LBB261_1032:
	s_or_b64 exec, exec, s[22:23]
	s_orn2_b64 s[22:23], s[26:27], exec
.LBB261_1033:
	s_or_b64 exec, exec, s[24:25]
	v_cndmask_b32_e64 v4, v45, v46, s[22:23]
	v_cndmask_b32_e64 v5, v25, v24, s[22:23]
	v_add_u32_e32 v6, 1, v4
	v_add_u32_e32 v4, -1, v5
	v_min_u32_e32 v4, v6, v4
	v_lshl_add_u32 v4, v4, 3, v33
	ds_read_b64 v[4:5], v4
	v_cndmask_b32_e64 v47, v6, v45, s[22:23]
	v_cndmask_b32_e64 v51, v46, v6, s[22:23]
	v_cmp_lt_u32_e32 vcc, v47, v25
	s_mov_b64 s[24:25], -1
	s_waitcnt lgkmcnt(0)
	v_cndmask_b32_e64 v8, v5, v39, s[22:23]
	v_cndmask_b32_e64 v43, v4, v40, s[22:23]
	;; [unrolled: 1-line block ×4, first 2 shown]
	s_mov_b64 s[26:27], -1
	s_and_saveexec_b64 s[42:43], vcc
	s_cbranch_execz .LBB261_1044
; %bb.1034:
	v_cmp_lt_u32_e32 vcc, v51, v24
	s_mov_b64 s[44:45], 0
	s_and_saveexec_b64 s[26:27], vcc
	s_cbranch_execz .LBB261_1043
; %bb.1035:
	s_andn2_b64 vcc, exec, s[40:41]
	s_cbranch_vccnz .LBB261_1041
; %bb.1036:
	v_mov_b64_e32 v[6:7], s[38:39]
	v_mad_u64_u32 v[4:5], s[44:45], v43, s36, v[6:7]
	v_mul_lo_u32 v45, v43, s37
	v_mul_lo_u32 v46, v8, s36
	v_add3_u32 v5, v46, v5, v45
	v_mad_u64_u32 v[6:7], s[44:45], v44, s36, v[6:7]
	v_mul_lo_u32 v45, v44, s37
	v_mul_lo_u32 v46, v9, s36
	v_add3_u32 v7, v46, v7, v45
	s_mov_b64 s[44:45], 0
	s_mov_b64 s[50:51], s[36:37]
                                        ; implicit-def: $sgpr46_sgpr47
                                        ; implicit-def: $sgpr48_sgpr49
                                        ; implicit-def: $sgpr52_sgpr53
                                        ; implicit-def: $sgpr54_sgpr55
	s_branch .LBB261_1038
.LBB261_1037:                           ;   in Loop: Header=BB261_1038 Depth=1
	s_or_b64 exec, exec, s[58:59]
	s_and_b64 s[58:59], exec, s[48:49]
	s_or_b64 s[44:45], s[58:59], s[44:45]
	s_andn2_b64 s[54:55], s[54:55], exec
	s_and_b64 s[56:57], s[56:57], exec
	s_or_b64 s[54:55], s[54:55], s[56:57]
	s_andn2_b64 s[46:47], s[46:47], exec
	s_and_b64 s[56:57], s[52:53], exec
	s_or_b64 s[46:47], s[46:47], s[56:57]
	s_andn2_b64 exec, exec, s[44:45]
	s_cbranch_execz .LBB261_1040
.LBB261_1038:                           ; =>This Inner Loop Header: Depth=1
	global_load_ubyte v45, v[4:5], off
	global_load_ubyte v46, v[6:7], off
	s_andn2_b64 s[52:53], s[52:53], exec
	s_or_b64 s[48:49], s[48:49], exec
	s_waitcnt vmcnt(0)
	v_cmp_le_i16_sdwa s[58:59], sext(v45), sext(v46) src0_sel:BYTE_0 src1_sel:BYTE_0
	v_cmp_lt_i16_sdwa s[56:57], sext(v45), sext(v46) src0_sel:BYTE_0 src1_sel:BYTE_0
	s_and_b64 s[58:59], s[58:59], s[54:55]
	s_or_b64 s[56:57], s[56:57], s[58:59]
	s_and_b64 s[58:59], s[56:57], exec
	v_cmp_eq_u16_sdwa s[60:61], v45, v46 src0_sel:BYTE_0 src1_sel:BYTE_0
	s_or_b64 s[52:53], s[52:53], s[58:59]
	s_and_saveexec_b64 s[58:59], s[60:61]
	s_cbranch_execz .LBB261_1037
; %bb.1039:                             ;   in Loop: Header=BB261_1038 Depth=1
	s_add_u32 s50, s50, -1
	s_addc_u32 s51, s51, -1
	s_cmp_eq_u64 s[50:51], 0
	s_cselect_b64 s[54:55], -1, 0
	s_andn2_b64 s[48:49], s[48:49], exec
	s_and_b64 s[54:55], s[54:55], exec
	v_lshl_add_u64 v[4:5], v[4:5], 0, 1
	v_lshl_add_u64 v[6:7], v[6:7], 0, 1
	s_andn2_b64 s[52:53], s[52:53], exec
	s_or_b64 s[48:49], s[48:49], s[54:55]
                                        ; implicit-def: $sgpr54_sgpr55
	s_branch .LBB261_1037
.LBB261_1040:
	s_or_b64 exec, exec, s[44:45]
	s_xor_b64 s[44:45], s[46:47], -1
	s_branch .LBB261_1042
.LBB261_1041:
	s_mov_b64 s[44:45], -1
.LBB261_1042:
	s_and_b64 s[44:45], s[44:45], exec
.LBB261_1043:
	s_or_b64 exec, exec, s[26:27]
	s_orn2_b64 s[26:27], s[44:45], exec
.LBB261_1044:
	s_or_b64 exec, exec, s[42:43]
	v_cndmask_b32_e64 v4, v47, v51, s[26:27]
	v_cndmask_b32_e64 v5, v25, v24, s[26:27]
	v_add_u32_e32 v6, 1, v4
	v_add_u32_e32 v4, -1, v5
	v_min_u32_e32 v4, v6, v4
	v_lshl_add_u32 v4, v4, 3, v33
	ds_read_b64 v[4:5], v4
	v_cndmask_b32_e64 v48, v6, v47, s[26:27]
	v_cndmask_b32_e64 v47, v51, v6, s[26:27]
	v_cmp_lt_u32_e32 vcc, v48, v25
	s_waitcnt lgkmcnt(0)
	v_cndmask_b32_e64 v45, v5, v8, s[26:27]
	v_cndmask_b32_e64 v46, v4, v43, s[26:27]
	v_cndmask_b32_e64 v49, v9, v5, s[26:27]
	v_cndmask_b32_e64 v50, v44, v4, s[26:27]
	s_and_saveexec_b64 s[42:43], vcc
	s_cbranch_execz .LBB261_1055
; %bb.1045:
	v_cmp_lt_u32_e32 vcc, v47, v24
	s_mov_b64 s[44:45], 0
	s_and_saveexec_b64 s[24:25], vcc
	s_cbranch_execz .LBB261_1054
; %bb.1046:
	s_andn2_b64 vcc, exec, s[40:41]
	s_cbranch_vccnz .LBB261_1052
; %bb.1047:
	v_mov_b64_e32 v[6:7], s[38:39]
	v_mad_u64_u32 v[4:5], s[44:45], v46, s36, v[6:7]
	v_mul_lo_u32 v51, v46, s37
	v_mul_lo_u32 v52, v45, s36
	v_add3_u32 v5, v52, v5, v51
	v_mad_u64_u32 v[6:7], s[44:45], v50, s36, v[6:7]
	v_mul_lo_u32 v51, v50, s37
	v_mul_lo_u32 v52, v49, s36
	v_add3_u32 v7, v52, v7, v51
	s_mov_b64 s[44:45], 0
	s_mov_b64 s[50:51], s[36:37]
                                        ; implicit-def: $sgpr46_sgpr47
                                        ; implicit-def: $sgpr48_sgpr49
                                        ; implicit-def: $sgpr52_sgpr53
                                        ; implicit-def: $sgpr54_sgpr55
	s_branch .LBB261_1049
.LBB261_1048:                           ;   in Loop: Header=BB261_1049 Depth=1
	s_or_b64 exec, exec, s[58:59]
	s_and_b64 s[58:59], exec, s[48:49]
	s_or_b64 s[44:45], s[58:59], s[44:45]
	s_andn2_b64 s[54:55], s[54:55], exec
	s_and_b64 s[56:57], s[56:57], exec
	s_or_b64 s[54:55], s[54:55], s[56:57]
	s_andn2_b64 s[46:47], s[46:47], exec
	s_and_b64 s[56:57], s[52:53], exec
	s_or_b64 s[46:47], s[46:47], s[56:57]
	s_andn2_b64 exec, exec, s[44:45]
	s_cbranch_execz .LBB261_1051
.LBB261_1049:                           ; =>This Inner Loop Header: Depth=1
	global_load_ubyte v51, v[4:5], off
	global_load_ubyte v52, v[6:7], off
	s_andn2_b64 s[52:53], s[52:53], exec
	s_or_b64 s[48:49], s[48:49], exec
	s_waitcnt vmcnt(0)
	v_cmp_le_i16_sdwa s[58:59], sext(v51), sext(v52) src0_sel:BYTE_0 src1_sel:BYTE_0
	v_cmp_lt_i16_sdwa s[56:57], sext(v51), sext(v52) src0_sel:BYTE_0 src1_sel:BYTE_0
	s_and_b64 s[58:59], s[58:59], s[54:55]
	s_or_b64 s[56:57], s[56:57], s[58:59]
	s_and_b64 s[58:59], s[56:57], exec
	v_cmp_eq_u16_sdwa s[60:61], v51, v52 src0_sel:BYTE_0 src1_sel:BYTE_0
	s_or_b64 s[52:53], s[52:53], s[58:59]
	s_and_saveexec_b64 s[58:59], s[60:61]
	s_cbranch_execz .LBB261_1048
; %bb.1050:                             ;   in Loop: Header=BB261_1049 Depth=1
	s_add_u32 s50, s50, -1
	s_addc_u32 s51, s51, -1
	s_cmp_eq_u64 s[50:51], 0
	s_cselect_b64 s[54:55], -1, 0
	s_andn2_b64 s[48:49], s[48:49], exec
	s_and_b64 s[54:55], s[54:55], exec
	v_lshl_add_u64 v[4:5], v[4:5], 0, 1
	v_lshl_add_u64 v[6:7], v[6:7], 0, 1
	s_andn2_b64 s[52:53], s[52:53], exec
	s_or_b64 s[48:49], s[48:49], s[54:55]
                                        ; implicit-def: $sgpr54_sgpr55
	s_branch .LBB261_1048
.LBB261_1051:
	s_or_b64 exec, exec, s[44:45]
	s_xor_b64 s[44:45], s[46:47], -1
	s_branch .LBB261_1053
.LBB261_1052:
	s_mov_b64 s[44:45], -1
.LBB261_1053:
	s_and_b64 s[44:45], s[44:45], exec
.LBB261_1054:
	s_or_b64 exec, exec, s[24:25]
	s_orn2_b64 s[24:25], s[44:45], exec
.LBB261_1055:
	s_or_b64 exec, exec, s[42:43]
	v_cndmask_b32_e64 v4, v48, v47, s[24:25]
	v_cndmask_b32_e64 v5, v25, v24, s[24:25]
	;; [unrolled: 1-line block ×4, first 2 shown]
	v_add_u32_e32 v37, 1, v4
	v_add_u32_e32 v4, -1, v5
	v_min_u32_e32 v4, v37, v4
	v_lshl_add_u32 v4, v4, 3, v33
	v_cndmask_b32_e64 v11, v10, v11, s[18:19]
	v_cndmask_b32_e64 v10, v17, v23, s[18:19]
	v_cndmask_b32_e64 v17, v14, v16, s[2:3]
	v_cndmask_b32_e64 v16, v15, v22, s[2:3]
	ds_read_b64 v[22:23], v4
	v_cndmask_b32_e64 v14, v2, v0, s[16:17]
	v_cndmask_b32_e64 v0, v37, v48, s[24:25]
	;; [unrolled: 1-line block ×9, first 2 shown]
	s_waitcnt lgkmcnt(0)
	v_cndmask_b32_e64 v5, v49, v23, s[24:25]
	v_cndmask_b32_e64 v4, v50, v22, s[24:25]
	v_cmp_lt_u32_e32 vcc, v0, v25
	s_and_saveexec_b64 s[2:3], vcc
	s_cbranch_execz .LBB261_1065
; %bb.1056:
	v_cndmask_b32_e64 v0, v22, v46, s[24:25]
	v_cndmask_b32_e64 v22, v47, v37, s[24:25]
	;; [unrolled: 1-line block ×3, first 2 shown]
	v_cmp_lt_u32_e32 vcc, v22, v24
	s_and_saveexec_b64 s[16:17], vcc
	s_cbranch_execz .LBB261_1064
; %bb.1057:
	s_andn2_b64 vcc, exec, s[40:41]
	s_cbranch_vccnz .LBB261_1063
; %bb.1058:
	v_mov_b64_e32 v[24:25], s[38:39]
	v_mad_u64_u32 v[22:23], s[18:19], v0, s36, v[24:25]
	v_mul_lo_u32 v37, v0, s37
	v_mul_lo_u32 v38, v1, s36
	v_add3_u32 v23, v38, v23, v37
	v_mad_u64_u32 v[24:25], s[18:19], v4, s36, v[24:25]
	v_mul_lo_u32 v37, v4, s37
	v_mul_lo_u32 v38, v5, s36
	v_add3_u32 v25, v38, v25, v37
	s_mov_b64 s[18:19], 0
	s_mov_b64 s[24:25], s[36:37]
                                        ; implicit-def: $sgpr20_sgpr21
                                        ; implicit-def: $sgpr22_sgpr23
                                        ; implicit-def: $sgpr26_sgpr27
                                        ; implicit-def: $sgpr42_sgpr43
	s_branch .LBB261_1060
.LBB261_1059:                           ;   in Loop: Header=BB261_1060 Depth=1
	s_or_b64 exec, exec, s[46:47]
	s_and_b64 s[46:47], exec, s[22:23]
	s_or_b64 s[18:19], s[46:47], s[18:19]
	s_andn2_b64 s[42:43], s[42:43], exec
	s_and_b64 s[44:45], s[44:45], exec
	s_or_b64 s[42:43], s[42:43], s[44:45]
	s_andn2_b64 s[20:21], s[20:21], exec
	s_and_b64 s[44:45], s[26:27], exec
	s_or_b64 s[20:21], s[20:21], s[44:45]
	s_andn2_b64 exec, exec, s[18:19]
	s_cbranch_execz .LBB261_1062
.LBB261_1060:                           ; =>This Inner Loop Header: Depth=1
	global_load_ubyte v37, v[22:23], off
	global_load_ubyte v38, v[24:25], off
	s_andn2_b64 s[26:27], s[26:27], exec
	s_or_b64 s[22:23], s[22:23], exec
	s_waitcnt vmcnt(0)
	v_cmp_le_i16_sdwa s[46:47], sext(v37), sext(v38) src0_sel:BYTE_0 src1_sel:BYTE_0
	v_cmp_lt_i16_sdwa s[44:45], sext(v37), sext(v38) src0_sel:BYTE_0 src1_sel:BYTE_0
	s_and_b64 s[46:47], s[46:47], s[42:43]
	s_or_b64 s[44:45], s[44:45], s[46:47]
	s_and_b64 s[46:47], s[44:45], exec
	v_cmp_eq_u16_sdwa s[48:49], v37, v38 src0_sel:BYTE_0 src1_sel:BYTE_0
	s_or_b64 s[26:27], s[26:27], s[46:47]
	s_and_saveexec_b64 s[46:47], s[48:49]
	s_cbranch_execz .LBB261_1059
; %bb.1061:                             ;   in Loop: Header=BB261_1060 Depth=1
	s_add_u32 s24, s24, -1
	s_addc_u32 s25, s25, -1
	s_cmp_eq_u64 s[24:25], 0
	s_cselect_b64 s[42:43], -1, 0
	s_andn2_b64 s[22:23], s[22:23], exec
	s_and_b64 s[42:43], s[42:43], exec
	v_lshl_add_u64 v[22:23], v[22:23], 0, 1
	v_lshl_add_u64 v[24:25], v[24:25], 0, 1
	s_andn2_b64 s[26:27], s[26:27], exec
	s_or_b64 s[22:23], s[22:23], s[42:43]
                                        ; implicit-def: $sgpr42_sgpr43
	s_branch .LBB261_1059
.LBB261_1062:
	s_or_b64 exec, exec, s[18:19]
	v_cndmask_b32_e64 v5, v5, v1, s[20:21]
	v_cndmask_b32_e64 v4, v4, v0, s[20:21]
.LBB261_1063:
	v_mov_b64_e32 v[0:1], v[4:5]
.LBB261_1064:
	s_or_b64 exec, exec, s[16:17]
	v_mov_b64_e32 v[4:5], v[0:1]
.LBB261_1065:
	s_or_b64 exec, exec, s[2:3]
.LBB261_1066:
	s_or_b64 exec, exec, s[14:15]
	v_and_b32_e32 v39, 0x3e0, v35
	v_or_b32_e32 v0, 16, v39
	v_min_u32_e32 v24, v34, v0
	v_add_u32_e32 v0, 16, v24
	v_min_u32_e32 v25, v34, v0
	v_and_b32_e32 v0, 24, v35
	v_min_u32_e32 v40, v34, v0
	v_sub_u32_e32 v0, v24, v39
	v_sub_u32_e32 v1, v25, v24
	v_sub_u32_e64 v38, v40, v1 clamp
	v_min_u32_e32 v41, v40, v0
	v_lshl_add_u32 v37, v39, 3, v33
	v_cmp_lt_u32_e32 vcc, v38, v41
	; wave barrier
	ds_write_b128 v36, v[14:17]
	ds_write_b128 v36, v[10:13] offset:16
	ds_write_b128 v36, v[6:9] offset:32
	;; [unrolled: 1-line block ×3, first 2 shown]
	; wave barrier
	s_and_saveexec_b64 s[2:3], vcc
	s_cbranch_execz .LBB261_1076
; %bb.1067:
	v_lshlrev_b32_e32 v0, 3, v24
	v_lshlrev_b32_e32 v1, 3, v40
	v_add3_u32 v42, v33, v0, v1
	v_cndmask_b32_e64 v0, 0, 1, s[40:41]
	s_mov_b64 s[16:17], 0
	v_cmp_ne_u32_e64 s[14:15], 1, v0
	s_branch .LBB261_1070
.LBB261_1068:                           ;   in Loop: Header=BB261_1070 Depth=1
	s_or_b64 exec, exec, s[20:21]
.LBB261_1069:                           ;   in Loop: Header=BB261_1070 Depth=1
	v_add_u32_e32 v0, 1, v43
	v_cndmask_b32_e64 v41, v41, v43, s[18:19]
	v_cndmask_b32_e64 v38, v0, v38, s[18:19]
	v_cmp_ge_u32_e32 vcc, v38, v41
	s_or_b64 s[16:17], vcc, s[16:17]
	s_andn2_b64 exec, exec, s[16:17]
	s_cbranch_execz .LBB261_1075
.LBB261_1070:                           ; =>This Loop Header: Depth=1
                                        ;     Child Loop BB261_1073 Depth 2
	v_add_u32_e32 v0, v41, v38
	v_lshrrev_b32_e32 v43, 1, v0
	s_and_b64 vcc, exec, s[14:15]
	s_mov_b64 s[18:19], 0
	s_cbranch_vccnz .LBB261_1069
; %bb.1071:                             ;   in Loop: Header=BB261_1070 Depth=1
	v_not_b32_e32 v0, v43
	v_lshl_add_u32 v0, v0, 3, v42
	ds_read_b64 v[0:1], v0
	v_lshl_add_u32 v44, v43, 3, v37
	ds_read_b64 v[44:45], v44
	v_mov_b64_e32 v[22:23], s[38:39]
	s_mov_b64 s[20:21], 0
	s_waitcnt lgkmcnt(1)
	v_mul_lo_u32 v46, v0, s37
	v_mul_lo_u32 v47, v1, s36
	v_mad_u64_u32 v[0:1], s[18:19], v0, s36, v[22:23]
	v_add3_u32 v1, v47, v1, v46
	s_waitcnt lgkmcnt(0)
	v_mul_lo_u32 v46, v44, s37
	v_mul_lo_u32 v45, v45, s36
	v_mad_u64_u32 v[22:23], s[18:19], v44, s36, v[22:23]
	v_add3_u32 v23, v45, v23, v46
	s_mov_b64 s[24:25], s[36:37]
                                        ; implicit-def: $sgpr18_sgpr19
                                        ; implicit-def: $sgpr22_sgpr23
                                        ; implicit-def: $sgpr26_sgpr27
                                        ; implicit-def: $sgpr42_sgpr43
	s_branch .LBB261_1073
.LBB261_1072:                           ;   in Loop: Header=BB261_1073 Depth=2
	s_or_b64 exec, exec, s[46:47]
	s_and_b64 s[46:47], exec, s[22:23]
	s_or_b64 s[20:21], s[46:47], s[20:21]
	s_andn2_b64 s[42:43], s[42:43], exec
	s_and_b64 s[44:45], s[44:45], exec
	s_or_b64 s[42:43], s[42:43], s[44:45]
	s_andn2_b64 s[18:19], s[18:19], exec
	s_and_b64 s[44:45], s[26:27], exec
	s_or_b64 s[18:19], s[18:19], s[44:45]
	s_andn2_b64 exec, exec, s[20:21]
	s_cbranch_execz .LBB261_1068
.LBB261_1073:                           ;   Parent Loop BB261_1070 Depth=1
                                        ; =>  This Inner Loop Header: Depth=2
	global_load_ubyte v44, v[0:1], off
	global_load_ubyte v45, v[22:23], off
	s_andn2_b64 s[26:27], s[26:27], exec
	s_or_b64 s[22:23], s[22:23], exec
	s_waitcnt vmcnt(0)
	v_cmp_le_i16_sdwa s[46:47], sext(v44), sext(v45) src0_sel:BYTE_0 src1_sel:BYTE_0
	v_cmp_lt_i16_sdwa s[44:45], sext(v44), sext(v45) src0_sel:BYTE_0 src1_sel:BYTE_0
	s_and_b64 s[46:47], s[46:47], s[42:43]
	s_or_b64 s[44:45], s[44:45], s[46:47]
	s_and_b64 s[46:47], s[44:45], exec
	v_cmp_eq_u16_sdwa s[48:49], v44, v45 src0_sel:BYTE_0 src1_sel:BYTE_0
	s_or_b64 s[26:27], s[26:27], s[46:47]
	s_and_saveexec_b64 s[46:47], s[48:49]
	s_cbranch_execz .LBB261_1072
; %bb.1074:                             ;   in Loop: Header=BB261_1073 Depth=2
	s_add_u32 s24, s24, -1
	s_addc_u32 s25, s25, -1
	s_cmp_eq_u64 s[24:25], 0
	s_cselect_b64 s[42:43], -1, 0
	s_andn2_b64 s[22:23], s[22:23], exec
	s_and_b64 s[42:43], s[42:43], exec
	v_lshl_add_u64 v[0:1], v[0:1], 0, 1
	v_lshl_add_u64 v[22:23], v[22:23], 0, 1
	s_andn2_b64 s[26:27], s[26:27], exec
	s_or_b64 s[22:23], s[22:23], s[42:43]
                                        ; implicit-def: $sgpr42_sgpr43
	s_branch .LBB261_1072
.LBB261_1075:
	s_or_b64 exec, exec, s[16:17]
.LBB261_1076:
	s_or_b64 exec, exec, s[2:3]
	v_add_u32_e32 v0, v24, v40
	v_add_u32_e32 v23, v38, v39
	v_sub_u32_e32 v39, v0, v38
	v_cmp_le_u32_e32 vcc, v23, v24
	v_cmp_le_u32_e64 s[2:3], v39, v25
	s_or_b64 s[2:3], vcc, s[2:3]
	s_and_saveexec_b64 s[14:15], s[2:3]
	s_cbranch_execz .LBB261_1167
; %bb.1077:
	v_cmp_ge_u32_e32 vcc, v23, v24
	v_cmp_lt_u32_e64 s[2:3], v23, v24
                                        ; implicit-def: $vgpr0_vgpr1
	s_and_saveexec_b64 s[16:17], s[2:3]
; %bb.1078:
	v_lshl_add_u32 v0, v38, 3, v37
	ds_read_b64 v[0:1], v0
; %bb.1079:
	s_or_b64 exec, exec, s[16:17]
	v_cmp_ge_u32_e64 s[16:17], v39, v25
	v_cmp_lt_u32_e64 s[2:3], v39, v25
                                        ; implicit-def: $vgpr2_vgpr3
	s_and_saveexec_b64 s[18:19], s[2:3]
; %bb.1080:
	v_lshl_add_u32 v2, v39, 3, v33
	ds_read_b64 v[2:3], v2
; %bb.1081:
	s_or_b64 exec, exec, s[18:19]
	s_nor_b64 s[18:19], vcc, s[16:17]
	s_and_saveexec_b64 s[2:3], s[18:19]
	s_cbranch_execz .LBB261_1090
; %bb.1082:
	s_andn2_b64 vcc, exec, s[40:41]
	s_cbranch_vccnz .LBB261_1088
; %bb.1083:
	v_mov_b64_e32 v[6:7], s[38:39]
	s_waitcnt lgkmcnt(0)
	v_mad_u64_u32 v[4:5], s[18:19], v2, s36, v[6:7]
	v_mul_lo_u32 v8, v2, s37
	v_mul_lo_u32 v9, v3, s36
	v_add3_u32 v5, v9, v5, v8
	v_mad_u64_u32 v[6:7], s[18:19], v0, s36, v[6:7]
	v_mul_lo_u32 v8, v0, s37
	v_mul_lo_u32 v9, v1, s36
	v_add3_u32 v7, v9, v7, v8
	s_mov_b64 s[18:19], 0
	s_mov_b64 s[24:25], s[36:37]
                                        ; implicit-def: $sgpr20_sgpr21
                                        ; implicit-def: $sgpr22_sgpr23
                                        ; implicit-def: $sgpr26_sgpr27
                                        ; implicit-def: $sgpr42_sgpr43
	s_branch .LBB261_1085
.LBB261_1084:                           ;   in Loop: Header=BB261_1085 Depth=1
	s_or_b64 exec, exec, s[46:47]
	s_and_b64 s[46:47], exec, s[22:23]
	s_or_b64 s[18:19], s[46:47], s[18:19]
	s_andn2_b64 s[42:43], s[42:43], exec
	s_and_b64 s[44:45], s[44:45], exec
	s_or_b64 s[42:43], s[42:43], s[44:45]
	s_andn2_b64 s[20:21], s[20:21], exec
	s_and_b64 s[44:45], s[26:27], exec
	s_or_b64 s[20:21], s[20:21], s[44:45]
	s_andn2_b64 exec, exec, s[18:19]
	s_cbranch_execz .LBB261_1087
.LBB261_1085:                           ; =>This Inner Loop Header: Depth=1
	global_load_ubyte v8, v[4:5], off
	global_load_ubyte v9, v[6:7], off
	s_andn2_b64 s[26:27], s[26:27], exec
	s_or_b64 s[22:23], s[22:23], exec
	s_waitcnt vmcnt(0)
	v_cmp_le_i16_sdwa s[46:47], sext(v8), sext(v9) src0_sel:BYTE_0 src1_sel:BYTE_0
	v_cmp_lt_i16_sdwa s[44:45], sext(v8), sext(v9) src0_sel:BYTE_0 src1_sel:BYTE_0
	s_and_b64 s[46:47], s[46:47], s[42:43]
	s_or_b64 s[44:45], s[44:45], s[46:47]
	s_and_b64 s[46:47], s[44:45], exec
	v_cmp_eq_u16_sdwa s[48:49], v8, v9 src0_sel:BYTE_0 src1_sel:BYTE_0
	s_or_b64 s[26:27], s[26:27], s[46:47]
	s_and_saveexec_b64 s[46:47], s[48:49]
	s_cbranch_execz .LBB261_1084
; %bb.1086:                             ;   in Loop: Header=BB261_1085 Depth=1
	s_add_u32 s24, s24, -1
	s_addc_u32 s25, s25, -1
	s_cmp_eq_u64 s[24:25], 0
	s_cselect_b64 s[42:43], -1, 0
	s_andn2_b64 s[22:23], s[22:23], exec
	s_and_b64 s[42:43], s[42:43], exec
	v_lshl_add_u64 v[4:5], v[4:5], 0, 1
	v_lshl_add_u64 v[6:7], v[6:7], 0, 1
	s_andn2_b64 s[26:27], s[26:27], exec
	s_or_b64 s[22:23], s[22:23], s[42:43]
                                        ; implicit-def: $sgpr42_sgpr43
	s_branch .LBB261_1084
.LBB261_1087:
	s_or_b64 exec, exec, s[18:19]
	s_xor_b64 s[18:19], s[20:21], -1
	s_branch .LBB261_1089
.LBB261_1088:
	s_mov_b64 s[18:19], -1
.LBB261_1089:
	s_andn2_b64 s[16:17], s[16:17], exec
	s_and_b64 s[18:19], s[18:19], exec
	s_or_b64 s[16:17], s[16:17], s[18:19]
.LBB261_1090:
	s_or_b64 exec, exec, s[2:3]
	v_cndmask_b32_e64 v4, v39, v23, s[16:17]
	v_cndmask_b32_e64 v5, v25, v24, s[16:17]
	v_add_u32_e32 v6, 1, v4
	v_add_u32_e32 v4, -1, v5
	v_min_u32_e32 v4, v6, v4
	v_lshl_add_u32 v4, v4, 3, v33
	ds_read_b64 v[4:5], v4
	v_cndmask_b32_e64 v8, v6, v39, s[16:17]
	v_cndmask_b32_e64 v9, v23, v6, s[16:17]
	v_cmp_lt_u32_e32 vcc, v8, v25
	s_mov_b64 s[18:19], -1
	s_waitcnt lgkmcnt(0)
	v_cndmask_b32_e64 v14, v5, v3, s[16:17]
	v_cndmask_b32_e64 v15, v4, v2, s[16:17]
	;; [unrolled: 1-line block ×4, first 2 shown]
	s_mov_b64 s[2:3], -1
	s_and_saveexec_b64 s[20:21], vcc
	s_cbranch_execz .LBB261_1101
; %bb.1091:
	v_cmp_lt_u32_e32 vcc, v9, v24
	s_mov_b64 s[22:23], 0
	s_and_saveexec_b64 s[2:3], vcc
	s_cbranch_execz .LBB261_1100
; %bb.1092:
	s_andn2_b64 vcc, exec, s[40:41]
	s_cbranch_vccnz .LBB261_1098
; %bb.1093:
	v_mov_b64_e32 v[6:7], s[38:39]
	v_mad_u64_u32 v[4:5], s[22:23], v15, s36, v[6:7]
	v_mul_lo_u32 v10, v15, s37
	v_mul_lo_u32 v11, v14, s36
	v_add3_u32 v5, v11, v5, v10
	v_mad_u64_u32 v[6:7], s[22:23], v22, s36, v[6:7]
	v_mul_lo_u32 v10, v22, s37
	v_mul_lo_u32 v11, v16, s36
	v_add3_u32 v7, v11, v7, v10
	s_mov_b64 s[22:23], 0
	s_mov_b64 s[42:43], s[36:37]
                                        ; implicit-def: $sgpr24_sgpr25
                                        ; implicit-def: $sgpr26_sgpr27
                                        ; implicit-def: $sgpr44_sgpr45
                                        ; implicit-def: $sgpr46_sgpr47
	s_branch .LBB261_1095
.LBB261_1094:                           ;   in Loop: Header=BB261_1095 Depth=1
	s_or_b64 exec, exec, s[50:51]
	s_and_b64 s[50:51], exec, s[26:27]
	s_or_b64 s[22:23], s[50:51], s[22:23]
	s_andn2_b64 s[46:47], s[46:47], exec
	s_and_b64 s[48:49], s[48:49], exec
	s_or_b64 s[46:47], s[46:47], s[48:49]
	s_andn2_b64 s[24:25], s[24:25], exec
	s_and_b64 s[48:49], s[44:45], exec
	s_or_b64 s[24:25], s[24:25], s[48:49]
	s_andn2_b64 exec, exec, s[22:23]
	s_cbranch_execz .LBB261_1097
.LBB261_1095:                           ; =>This Inner Loop Header: Depth=1
	global_load_ubyte v10, v[4:5], off
	global_load_ubyte v11, v[6:7], off
	s_andn2_b64 s[44:45], s[44:45], exec
	s_or_b64 s[26:27], s[26:27], exec
	s_waitcnt vmcnt(0)
	v_cmp_le_i16_sdwa s[50:51], sext(v10), sext(v11) src0_sel:BYTE_0 src1_sel:BYTE_0
	v_cmp_lt_i16_sdwa s[48:49], sext(v10), sext(v11) src0_sel:BYTE_0 src1_sel:BYTE_0
	s_and_b64 s[50:51], s[50:51], s[46:47]
	s_or_b64 s[48:49], s[48:49], s[50:51]
	s_and_b64 s[50:51], s[48:49], exec
	v_cmp_eq_u16_sdwa s[52:53], v10, v11 src0_sel:BYTE_0 src1_sel:BYTE_0
	s_or_b64 s[44:45], s[44:45], s[50:51]
	s_and_saveexec_b64 s[50:51], s[52:53]
	s_cbranch_execz .LBB261_1094
; %bb.1096:                             ;   in Loop: Header=BB261_1095 Depth=1
	s_add_u32 s42, s42, -1
	s_addc_u32 s43, s43, -1
	s_cmp_eq_u64 s[42:43], 0
	s_cselect_b64 s[46:47], -1, 0
	s_andn2_b64 s[26:27], s[26:27], exec
	s_and_b64 s[46:47], s[46:47], exec
	v_lshl_add_u64 v[4:5], v[4:5], 0, 1
	v_lshl_add_u64 v[6:7], v[6:7], 0, 1
	s_andn2_b64 s[44:45], s[44:45], exec
	s_or_b64 s[26:27], s[26:27], s[46:47]
                                        ; implicit-def: $sgpr46_sgpr47
	s_branch .LBB261_1094
.LBB261_1097:
	s_or_b64 exec, exec, s[22:23]
	s_xor_b64 s[22:23], s[24:25], -1
	s_branch .LBB261_1099
.LBB261_1098:
	s_mov_b64 s[22:23], -1
.LBB261_1099:
	s_and_b64 s[22:23], s[22:23], exec
.LBB261_1100:
	s_or_b64 exec, exec, s[2:3]
	s_orn2_b64 s[2:3], s[22:23], exec
.LBB261_1101:
	s_or_b64 exec, exec, s[20:21]
	v_cndmask_b32_e64 v4, v8, v9, s[2:3]
	v_cndmask_b32_e64 v5, v25, v24, s[2:3]
	v_add_u32_e32 v6, 1, v4
	v_add_u32_e32 v4, -1, v5
	v_min_u32_e32 v4, v6, v4
	v_lshl_add_u32 v4, v4, 3, v33
	ds_read_b64 v[4:5], v4
	v_cndmask_b32_e64 v8, v6, v8, s[2:3]
	v_cndmask_b32_e64 v9, v9, v6, s[2:3]
	v_cmp_lt_u32_e32 vcc, v8, v25
	s_waitcnt lgkmcnt(0)
	v_cndmask_b32_e64 v10, v5, v14, s[2:3]
	v_cndmask_b32_e64 v17, v4, v15, s[2:3]
	;; [unrolled: 1-line block ×4, first 2 shown]
	s_and_saveexec_b64 s[20:21], vcc
	s_cbranch_execz .LBB261_1112
; %bb.1102:
	v_cmp_lt_u32_e32 vcc, v9, v24
	s_mov_b64 s[22:23], 0
	s_and_saveexec_b64 s[18:19], vcc
	s_cbranch_execz .LBB261_1111
; %bb.1103:
	s_andn2_b64 vcc, exec, s[40:41]
	s_cbranch_vccnz .LBB261_1109
; %bb.1104:
	v_mov_b64_e32 v[6:7], s[38:39]
	v_mad_u64_u32 v[4:5], s[22:23], v17, s36, v[6:7]
	v_mul_lo_u32 v12, v17, s37
	v_mul_lo_u32 v13, v10, s36
	v_add3_u32 v5, v13, v5, v12
	v_mad_u64_u32 v[6:7], s[22:23], v23, s36, v[6:7]
	v_mul_lo_u32 v12, v23, s37
	v_mul_lo_u32 v13, v11, s36
	v_add3_u32 v7, v13, v7, v12
	s_mov_b64 s[22:23], 0
	s_mov_b64 s[42:43], s[36:37]
                                        ; implicit-def: $sgpr24_sgpr25
                                        ; implicit-def: $sgpr26_sgpr27
                                        ; implicit-def: $sgpr44_sgpr45
                                        ; implicit-def: $sgpr46_sgpr47
	s_branch .LBB261_1106
.LBB261_1105:                           ;   in Loop: Header=BB261_1106 Depth=1
	s_or_b64 exec, exec, s[50:51]
	s_and_b64 s[50:51], exec, s[26:27]
	s_or_b64 s[22:23], s[50:51], s[22:23]
	s_andn2_b64 s[46:47], s[46:47], exec
	s_and_b64 s[48:49], s[48:49], exec
	s_or_b64 s[46:47], s[46:47], s[48:49]
	s_andn2_b64 s[24:25], s[24:25], exec
	s_and_b64 s[48:49], s[44:45], exec
	s_or_b64 s[24:25], s[24:25], s[48:49]
	s_andn2_b64 exec, exec, s[22:23]
	s_cbranch_execz .LBB261_1108
.LBB261_1106:                           ; =>This Inner Loop Header: Depth=1
	global_load_ubyte v12, v[4:5], off
	global_load_ubyte v13, v[6:7], off
	s_andn2_b64 s[44:45], s[44:45], exec
	s_or_b64 s[26:27], s[26:27], exec
	s_waitcnt vmcnt(0)
	v_cmp_le_i16_sdwa s[50:51], sext(v12), sext(v13) src0_sel:BYTE_0 src1_sel:BYTE_0
	v_cmp_lt_i16_sdwa s[48:49], sext(v12), sext(v13) src0_sel:BYTE_0 src1_sel:BYTE_0
	s_and_b64 s[50:51], s[50:51], s[46:47]
	s_or_b64 s[48:49], s[48:49], s[50:51]
	s_and_b64 s[50:51], s[48:49], exec
	v_cmp_eq_u16_sdwa s[52:53], v12, v13 src0_sel:BYTE_0 src1_sel:BYTE_0
	s_or_b64 s[44:45], s[44:45], s[50:51]
	s_and_saveexec_b64 s[50:51], s[52:53]
	s_cbranch_execz .LBB261_1105
; %bb.1107:                             ;   in Loop: Header=BB261_1106 Depth=1
	s_add_u32 s42, s42, -1
	s_addc_u32 s43, s43, -1
	s_cmp_eq_u64 s[42:43], 0
	s_cselect_b64 s[46:47], -1, 0
	s_andn2_b64 s[26:27], s[26:27], exec
	s_and_b64 s[46:47], s[46:47], exec
	v_lshl_add_u64 v[4:5], v[4:5], 0, 1
	v_lshl_add_u64 v[6:7], v[6:7], 0, 1
	s_andn2_b64 s[44:45], s[44:45], exec
	s_or_b64 s[26:27], s[26:27], s[46:47]
                                        ; implicit-def: $sgpr46_sgpr47
	s_branch .LBB261_1105
.LBB261_1108:
	s_or_b64 exec, exec, s[22:23]
	s_xor_b64 s[22:23], s[24:25], -1
	s_branch .LBB261_1110
.LBB261_1109:
	s_mov_b64 s[22:23], -1
.LBB261_1110:
	s_and_b64 s[22:23], s[22:23], exec
.LBB261_1111:
	s_or_b64 exec, exec, s[18:19]
	s_orn2_b64 s[18:19], s[22:23], exec
.LBB261_1112:
	s_or_b64 exec, exec, s[20:21]
	v_cndmask_b32_e64 v4, v8, v9, s[18:19]
	v_cndmask_b32_e64 v5, v25, v24, s[18:19]
	v_add_u32_e32 v6, 1, v4
	v_add_u32_e32 v4, -1, v5
	v_min_u32_e32 v4, v6, v4
	v_lshl_add_u32 v4, v4, 3, v33
	ds_read_b64 v[4:5], v4
	v_cndmask_b32_e64 v8, v6, v8, s[18:19]
	v_cndmask_b32_e64 v9, v9, v6, s[18:19]
	v_cmp_lt_u32_e32 vcc, v8, v25
	s_mov_b64 s[22:23], -1
	s_waitcnt lgkmcnt(0)
	v_cndmask_b32_e64 v12, v5, v10, s[18:19]
	v_cndmask_b32_e64 v37, v4, v17, s[18:19]
	;; [unrolled: 1-line block ×4, first 2 shown]
	s_mov_b64 s[20:21], -1
	s_and_saveexec_b64 s[24:25], vcc
	s_cbranch_execz .LBB261_1123
; %bb.1113:
	v_cmp_lt_u32_e32 vcc, v9, v24
	s_mov_b64 s[26:27], 0
	s_and_saveexec_b64 s[20:21], vcc
	s_cbranch_execz .LBB261_1122
; %bb.1114:
	s_andn2_b64 vcc, exec, s[40:41]
	s_cbranch_vccnz .LBB261_1120
; %bb.1115:
	v_mov_b64_e32 v[6:7], s[38:39]
	v_mad_u64_u32 v[4:5], s[26:27], v37, s36, v[6:7]
	v_mul_lo_u32 v39, v37, s37
	v_mul_lo_u32 v40, v12, s36
	v_add3_u32 v5, v40, v5, v39
	v_mad_u64_u32 v[6:7], s[26:27], v38, s36, v[6:7]
	v_mul_lo_u32 v39, v38, s37
	v_mul_lo_u32 v40, v13, s36
	v_add3_u32 v7, v40, v7, v39
	s_mov_b64 s[26:27], 0
	s_mov_b64 s[46:47], s[36:37]
                                        ; implicit-def: $sgpr42_sgpr43
                                        ; implicit-def: $sgpr44_sgpr45
                                        ; implicit-def: $sgpr48_sgpr49
                                        ; implicit-def: $sgpr50_sgpr51
	s_branch .LBB261_1117
.LBB261_1116:                           ;   in Loop: Header=BB261_1117 Depth=1
	s_or_b64 exec, exec, s[54:55]
	s_and_b64 s[54:55], exec, s[44:45]
	s_or_b64 s[26:27], s[54:55], s[26:27]
	s_andn2_b64 s[50:51], s[50:51], exec
	s_and_b64 s[52:53], s[52:53], exec
	s_or_b64 s[50:51], s[50:51], s[52:53]
	s_andn2_b64 s[42:43], s[42:43], exec
	s_and_b64 s[52:53], s[48:49], exec
	s_or_b64 s[42:43], s[42:43], s[52:53]
	s_andn2_b64 exec, exec, s[26:27]
	s_cbranch_execz .LBB261_1119
.LBB261_1117:                           ; =>This Inner Loop Header: Depth=1
	global_load_ubyte v39, v[4:5], off
	global_load_ubyte v40, v[6:7], off
	s_andn2_b64 s[48:49], s[48:49], exec
	s_or_b64 s[44:45], s[44:45], exec
	s_waitcnt vmcnt(0)
	v_cmp_le_i16_sdwa s[54:55], sext(v39), sext(v40) src0_sel:BYTE_0 src1_sel:BYTE_0
	v_cmp_lt_i16_sdwa s[52:53], sext(v39), sext(v40) src0_sel:BYTE_0 src1_sel:BYTE_0
	s_and_b64 s[54:55], s[54:55], s[50:51]
	s_or_b64 s[52:53], s[52:53], s[54:55]
	s_and_b64 s[54:55], s[52:53], exec
	v_cmp_eq_u16_sdwa s[56:57], v39, v40 src0_sel:BYTE_0 src1_sel:BYTE_0
	s_or_b64 s[48:49], s[48:49], s[54:55]
	s_and_saveexec_b64 s[54:55], s[56:57]
	s_cbranch_execz .LBB261_1116
; %bb.1118:                             ;   in Loop: Header=BB261_1117 Depth=1
	s_add_u32 s46, s46, -1
	s_addc_u32 s47, s47, -1
	s_cmp_eq_u64 s[46:47], 0
	s_cselect_b64 s[50:51], -1, 0
	s_andn2_b64 s[44:45], s[44:45], exec
	s_and_b64 s[50:51], s[50:51], exec
	v_lshl_add_u64 v[4:5], v[4:5], 0, 1
	v_lshl_add_u64 v[6:7], v[6:7], 0, 1
	s_andn2_b64 s[48:49], s[48:49], exec
	s_or_b64 s[44:45], s[44:45], s[50:51]
                                        ; implicit-def: $sgpr50_sgpr51
	s_branch .LBB261_1116
.LBB261_1119:
	s_or_b64 exec, exec, s[26:27]
	s_xor_b64 s[26:27], s[42:43], -1
	s_branch .LBB261_1121
.LBB261_1120:
	s_mov_b64 s[26:27], -1
.LBB261_1121:
	s_and_b64 s[26:27], s[26:27], exec
.LBB261_1122:
	s_or_b64 exec, exec, s[20:21]
	s_orn2_b64 s[20:21], s[26:27], exec
.LBB261_1123:
	s_or_b64 exec, exec, s[24:25]
	v_cndmask_b32_e64 v4, v8, v9, s[20:21]
	v_cndmask_b32_e64 v5, v25, v24, s[20:21]
	v_add_u32_e32 v6, 1, v4
	v_add_u32_e32 v4, -1, v5
	v_min_u32_e32 v4, v6, v4
	v_lshl_add_u32 v4, v4, 3, v33
	ds_read_b64 v[4:5], v4
	v_cndmask_b32_e64 v45, v6, v8, s[20:21]
	v_cndmask_b32_e64 v46, v9, v6, s[20:21]
	v_cmp_lt_u32_e32 vcc, v45, v25
	s_waitcnt lgkmcnt(0)
	v_cndmask_b32_e64 v39, v5, v12, s[20:21]
	v_cndmask_b32_e64 v40, v4, v37, s[20:21]
	;; [unrolled: 1-line block ×4, first 2 shown]
	s_and_saveexec_b64 s[24:25], vcc
	s_cbranch_execz .LBB261_1134
; %bb.1124:
	v_cmp_lt_u32_e32 vcc, v46, v24
	s_mov_b64 s[26:27], 0
	s_and_saveexec_b64 s[22:23], vcc
	s_cbranch_execz .LBB261_1133
; %bb.1125:
	s_andn2_b64 vcc, exec, s[40:41]
	s_cbranch_vccnz .LBB261_1131
; %bb.1126:
	v_mov_b64_e32 v[6:7], s[38:39]
	v_mad_u64_u32 v[4:5], s[26:27], v40, s36, v[6:7]
	v_mul_lo_u32 v8, v40, s37
	v_mul_lo_u32 v9, v39, s36
	v_add3_u32 v5, v9, v5, v8
	v_mad_u64_u32 v[6:7], s[26:27], v42, s36, v[6:7]
	v_mul_lo_u32 v8, v42, s37
	v_mul_lo_u32 v9, v41, s36
	v_add3_u32 v7, v9, v7, v8
	s_mov_b64 s[26:27], 0
	s_mov_b64 s[46:47], s[36:37]
                                        ; implicit-def: $sgpr42_sgpr43
                                        ; implicit-def: $sgpr44_sgpr45
                                        ; implicit-def: $sgpr48_sgpr49
                                        ; implicit-def: $sgpr50_sgpr51
	s_branch .LBB261_1128
.LBB261_1127:                           ;   in Loop: Header=BB261_1128 Depth=1
	s_or_b64 exec, exec, s[54:55]
	s_and_b64 s[54:55], exec, s[44:45]
	s_or_b64 s[26:27], s[54:55], s[26:27]
	s_andn2_b64 s[50:51], s[50:51], exec
	s_and_b64 s[52:53], s[52:53], exec
	s_or_b64 s[50:51], s[50:51], s[52:53]
	s_andn2_b64 s[42:43], s[42:43], exec
	s_and_b64 s[52:53], s[48:49], exec
	s_or_b64 s[42:43], s[42:43], s[52:53]
	s_andn2_b64 exec, exec, s[26:27]
	s_cbranch_execz .LBB261_1130
.LBB261_1128:                           ; =>This Inner Loop Header: Depth=1
	global_load_ubyte v8, v[4:5], off
	global_load_ubyte v9, v[6:7], off
	s_andn2_b64 s[48:49], s[48:49], exec
	s_or_b64 s[44:45], s[44:45], exec
	s_waitcnt vmcnt(0)
	v_cmp_le_i16_sdwa s[54:55], sext(v8), sext(v9) src0_sel:BYTE_0 src1_sel:BYTE_0
	v_cmp_lt_i16_sdwa s[52:53], sext(v8), sext(v9) src0_sel:BYTE_0 src1_sel:BYTE_0
	s_and_b64 s[54:55], s[54:55], s[50:51]
	s_or_b64 s[52:53], s[52:53], s[54:55]
	s_and_b64 s[54:55], s[52:53], exec
	v_cmp_eq_u16_sdwa s[56:57], v8, v9 src0_sel:BYTE_0 src1_sel:BYTE_0
	s_or_b64 s[48:49], s[48:49], s[54:55]
	s_and_saveexec_b64 s[54:55], s[56:57]
	s_cbranch_execz .LBB261_1127
; %bb.1129:                             ;   in Loop: Header=BB261_1128 Depth=1
	s_add_u32 s46, s46, -1
	s_addc_u32 s47, s47, -1
	s_cmp_eq_u64 s[46:47], 0
	s_cselect_b64 s[50:51], -1, 0
	s_andn2_b64 s[44:45], s[44:45], exec
	s_and_b64 s[50:51], s[50:51], exec
	v_lshl_add_u64 v[4:5], v[4:5], 0, 1
	v_lshl_add_u64 v[6:7], v[6:7], 0, 1
	s_andn2_b64 s[48:49], s[48:49], exec
	s_or_b64 s[44:45], s[44:45], s[50:51]
                                        ; implicit-def: $sgpr50_sgpr51
	s_branch .LBB261_1127
.LBB261_1130:
	s_or_b64 exec, exec, s[26:27]
	s_xor_b64 s[26:27], s[42:43], -1
	s_branch .LBB261_1132
.LBB261_1131:
	s_mov_b64 s[26:27], -1
.LBB261_1132:
	s_and_b64 s[26:27], s[26:27], exec
.LBB261_1133:
	s_or_b64 exec, exec, s[22:23]
	s_orn2_b64 s[22:23], s[26:27], exec
.LBB261_1134:
	s_or_b64 exec, exec, s[24:25]
	v_cndmask_b32_e64 v4, v45, v46, s[22:23]
	v_cndmask_b32_e64 v5, v25, v24, s[22:23]
	v_add_u32_e32 v6, 1, v4
	v_add_u32_e32 v4, -1, v5
	v_min_u32_e32 v4, v6, v4
	v_lshl_add_u32 v4, v4, 3, v33
	ds_read_b64 v[4:5], v4
	v_cndmask_b32_e64 v47, v6, v45, s[22:23]
	v_cndmask_b32_e64 v51, v46, v6, s[22:23]
	v_cmp_lt_u32_e32 vcc, v47, v25
	s_mov_b64 s[24:25], -1
	s_waitcnt lgkmcnt(0)
	v_cndmask_b32_e64 v8, v5, v39, s[22:23]
	v_cndmask_b32_e64 v43, v4, v40, s[22:23]
	;; [unrolled: 1-line block ×4, first 2 shown]
	s_mov_b64 s[26:27], -1
	s_and_saveexec_b64 s[42:43], vcc
	s_cbranch_execz .LBB261_1145
; %bb.1135:
	v_cmp_lt_u32_e32 vcc, v51, v24
	s_mov_b64 s[44:45], 0
	s_and_saveexec_b64 s[26:27], vcc
	s_cbranch_execz .LBB261_1144
; %bb.1136:
	s_andn2_b64 vcc, exec, s[40:41]
	s_cbranch_vccnz .LBB261_1142
; %bb.1137:
	v_mov_b64_e32 v[6:7], s[38:39]
	v_mad_u64_u32 v[4:5], s[44:45], v43, s36, v[6:7]
	v_mul_lo_u32 v45, v43, s37
	v_mul_lo_u32 v46, v8, s36
	v_add3_u32 v5, v46, v5, v45
	v_mad_u64_u32 v[6:7], s[44:45], v44, s36, v[6:7]
	v_mul_lo_u32 v45, v44, s37
	v_mul_lo_u32 v46, v9, s36
	v_add3_u32 v7, v46, v7, v45
	s_mov_b64 s[44:45], 0
	s_mov_b64 s[50:51], s[36:37]
                                        ; implicit-def: $sgpr46_sgpr47
                                        ; implicit-def: $sgpr48_sgpr49
                                        ; implicit-def: $sgpr52_sgpr53
                                        ; implicit-def: $sgpr54_sgpr55
	s_branch .LBB261_1139
.LBB261_1138:                           ;   in Loop: Header=BB261_1139 Depth=1
	s_or_b64 exec, exec, s[58:59]
	s_and_b64 s[58:59], exec, s[48:49]
	s_or_b64 s[44:45], s[58:59], s[44:45]
	s_andn2_b64 s[54:55], s[54:55], exec
	s_and_b64 s[56:57], s[56:57], exec
	s_or_b64 s[54:55], s[54:55], s[56:57]
	s_andn2_b64 s[46:47], s[46:47], exec
	s_and_b64 s[56:57], s[52:53], exec
	s_or_b64 s[46:47], s[46:47], s[56:57]
	s_andn2_b64 exec, exec, s[44:45]
	s_cbranch_execz .LBB261_1141
.LBB261_1139:                           ; =>This Inner Loop Header: Depth=1
	global_load_ubyte v45, v[4:5], off
	global_load_ubyte v46, v[6:7], off
	s_andn2_b64 s[52:53], s[52:53], exec
	s_or_b64 s[48:49], s[48:49], exec
	s_waitcnt vmcnt(0)
	v_cmp_le_i16_sdwa s[58:59], sext(v45), sext(v46) src0_sel:BYTE_0 src1_sel:BYTE_0
	v_cmp_lt_i16_sdwa s[56:57], sext(v45), sext(v46) src0_sel:BYTE_0 src1_sel:BYTE_0
	s_and_b64 s[58:59], s[58:59], s[54:55]
	s_or_b64 s[56:57], s[56:57], s[58:59]
	s_and_b64 s[58:59], s[56:57], exec
	v_cmp_eq_u16_sdwa s[60:61], v45, v46 src0_sel:BYTE_0 src1_sel:BYTE_0
	s_or_b64 s[52:53], s[52:53], s[58:59]
	s_and_saveexec_b64 s[58:59], s[60:61]
	s_cbranch_execz .LBB261_1138
; %bb.1140:                             ;   in Loop: Header=BB261_1139 Depth=1
	s_add_u32 s50, s50, -1
	s_addc_u32 s51, s51, -1
	s_cmp_eq_u64 s[50:51], 0
	s_cselect_b64 s[54:55], -1, 0
	s_andn2_b64 s[48:49], s[48:49], exec
	s_and_b64 s[54:55], s[54:55], exec
	v_lshl_add_u64 v[4:5], v[4:5], 0, 1
	v_lshl_add_u64 v[6:7], v[6:7], 0, 1
	s_andn2_b64 s[52:53], s[52:53], exec
	s_or_b64 s[48:49], s[48:49], s[54:55]
                                        ; implicit-def: $sgpr54_sgpr55
	s_branch .LBB261_1138
.LBB261_1141:
	s_or_b64 exec, exec, s[44:45]
	s_xor_b64 s[44:45], s[46:47], -1
	s_branch .LBB261_1143
.LBB261_1142:
	s_mov_b64 s[44:45], -1
.LBB261_1143:
	s_and_b64 s[44:45], s[44:45], exec
.LBB261_1144:
	s_or_b64 exec, exec, s[26:27]
	s_orn2_b64 s[26:27], s[44:45], exec
.LBB261_1145:
	s_or_b64 exec, exec, s[42:43]
	v_cndmask_b32_e64 v4, v47, v51, s[26:27]
	v_cndmask_b32_e64 v5, v25, v24, s[26:27]
	v_add_u32_e32 v6, 1, v4
	v_add_u32_e32 v4, -1, v5
	v_min_u32_e32 v4, v6, v4
	v_lshl_add_u32 v4, v4, 3, v33
	ds_read_b64 v[4:5], v4
	v_cndmask_b32_e64 v48, v6, v47, s[26:27]
	v_cndmask_b32_e64 v47, v51, v6, s[26:27]
	v_cmp_lt_u32_e32 vcc, v48, v25
	s_waitcnt lgkmcnt(0)
	v_cndmask_b32_e64 v45, v5, v8, s[26:27]
	v_cndmask_b32_e64 v46, v4, v43, s[26:27]
	;; [unrolled: 1-line block ×4, first 2 shown]
	s_and_saveexec_b64 s[42:43], vcc
	s_cbranch_execz .LBB261_1156
; %bb.1146:
	v_cmp_lt_u32_e32 vcc, v47, v24
	s_mov_b64 s[44:45], 0
	s_and_saveexec_b64 s[24:25], vcc
	s_cbranch_execz .LBB261_1155
; %bb.1147:
	s_andn2_b64 vcc, exec, s[40:41]
	s_cbranch_vccnz .LBB261_1153
; %bb.1148:
	v_mov_b64_e32 v[6:7], s[38:39]
	v_mad_u64_u32 v[4:5], s[44:45], v46, s36, v[6:7]
	v_mul_lo_u32 v51, v46, s37
	v_mul_lo_u32 v52, v45, s36
	v_add3_u32 v5, v52, v5, v51
	v_mad_u64_u32 v[6:7], s[44:45], v50, s36, v[6:7]
	v_mul_lo_u32 v51, v50, s37
	v_mul_lo_u32 v52, v49, s36
	v_add3_u32 v7, v52, v7, v51
	s_mov_b64 s[44:45], 0
	s_mov_b64 s[50:51], s[36:37]
                                        ; implicit-def: $sgpr46_sgpr47
                                        ; implicit-def: $sgpr48_sgpr49
                                        ; implicit-def: $sgpr52_sgpr53
                                        ; implicit-def: $sgpr54_sgpr55
	s_branch .LBB261_1150
.LBB261_1149:                           ;   in Loop: Header=BB261_1150 Depth=1
	s_or_b64 exec, exec, s[58:59]
	s_and_b64 s[58:59], exec, s[48:49]
	s_or_b64 s[44:45], s[58:59], s[44:45]
	s_andn2_b64 s[54:55], s[54:55], exec
	s_and_b64 s[56:57], s[56:57], exec
	s_or_b64 s[54:55], s[54:55], s[56:57]
	s_andn2_b64 s[46:47], s[46:47], exec
	s_and_b64 s[56:57], s[52:53], exec
	s_or_b64 s[46:47], s[46:47], s[56:57]
	s_andn2_b64 exec, exec, s[44:45]
	s_cbranch_execz .LBB261_1152
.LBB261_1150:                           ; =>This Inner Loop Header: Depth=1
	global_load_ubyte v51, v[4:5], off
	global_load_ubyte v52, v[6:7], off
	s_andn2_b64 s[52:53], s[52:53], exec
	s_or_b64 s[48:49], s[48:49], exec
	s_waitcnt vmcnt(0)
	v_cmp_le_i16_sdwa s[58:59], sext(v51), sext(v52) src0_sel:BYTE_0 src1_sel:BYTE_0
	v_cmp_lt_i16_sdwa s[56:57], sext(v51), sext(v52) src0_sel:BYTE_0 src1_sel:BYTE_0
	s_and_b64 s[58:59], s[58:59], s[54:55]
	s_or_b64 s[56:57], s[56:57], s[58:59]
	s_and_b64 s[58:59], s[56:57], exec
	v_cmp_eq_u16_sdwa s[60:61], v51, v52 src0_sel:BYTE_0 src1_sel:BYTE_0
	s_or_b64 s[52:53], s[52:53], s[58:59]
	s_and_saveexec_b64 s[58:59], s[60:61]
	s_cbranch_execz .LBB261_1149
; %bb.1151:                             ;   in Loop: Header=BB261_1150 Depth=1
	s_add_u32 s50, s50, -1
	s_addc_u32 s51, s51, -1
	s_cmp_eq_u64 s[50:51], 0
	s_cselect_b64 s[54:55], -1, 0
	s_andn2_b64 s[48:49], s[48:49], exec
	s_and_b64 s[54:55], s[54:55], exec
	v_lshl_add_u64 v[4:5], v[4:5], 0, 1
	v_lshl_add_u64 v[6:7], v[6:7], 0, 1
	s_andn2_b64 s[52:53], s[52:53], exec
	s_or_b64 s[48:49], s[48:49], s[54:55]
                                        ; implicit-def: $sgpr54_sgpr55
	s_branch .LBB261_1149
.LBB261_1152:
	s_or_b64 exec, exec, s[44:45]
	s_xor_b64 s[44:45], s[46:47], -1
	s_branch .LBB261_1154
.LBB261_1153:
	s_mov_b64 s[44:45], -1
.LBB261_1154:
	s_and_b64 s[44:45], s[44:45], exec
.LBB261_1155:
	s_or_b64 exec, exec, s[24:25]
	s_orn2_b64 s[24:25], s[44:45], exec
.LBB261_1156:
	s_or_b64 exec, exec, s[42:43]
	v_cndmask_b32_e64 v4, v48, v47, s[24:25]
	v_cndmask_b32_e64 v5, v25, v24, s[24:25]
	;; [unrolled: 1-line block ×4, first 2 shown]
	v_add_u32_e32 v37, 1, v4
	v_add_u32_e32 v4, -1, v5
	v_min_u32_e32 v4, v37, v4
	v_lshl_add_u32 v4, v4, 3, v33
	v_cndmask_b32_e64 v11, v10, v11, s[18:19]
	v_cndmask_b32_e64 v10, v17, v23, s[18:19]
	;; [unrolled: 1-line block ×4, first 2 shown]
	ds_read_b64 v[22:23], v4
	v_cndmask_b32_e64 v14, v2, v0, s[16:17]
	v_cndmask_b32_e64 v0, v37, v48, s[24:25]
	;; [unrolled: 1-line block ×9, first 2 shown]
	s_waitcnt lgkmcnt(0)
	v_cndmask_b32_e64 v5, v49, v23, s[24:25]
	v_cndmask_b32_e64 v4, v50, v22, s[24:25]
	v_cmp_lt_u32_e32 vcc, v0, v25
	s_and_saveexec_b64 s[2:3], vcc
	s_cbranch_execz .LBB261_1166
; %bb.1157:
	v_cndmask_b32_e64 v0, v22, v46, s[24:25]
	v_cndmask_b32_e64 v22, v47, v37, s[24:25]
	;; [unrolled: 1-line block ×3, first 2 shown]
	v_cmp_lt_u32_e32 vcc, v22, v24
	s_and_saveexec_b64 s[16:17], vcc
	s_cbranch_execz .LBB261_1165
; %bb.1158:
	s_andn2_b64 vcc, exec, s[40:41]
	s_cbranch_vccnz .LBB261_1164
; %bb.1159:
	v_mov_b64_e32 v[24:25], s[38:39]
	v_mad_u64_u32 v[22:23], s[18:19], v0, s36, v[24:25]
	v_mul_lo_u32 v37, v0, s37
	v_mul_lo_u32 v38, v1, s36
	v_add3_u32 v23, v38, v23, v37
	v_mad_u64_u32 v[24:25], s[18:19], v4, s36, v[24:25]
	v_mul_lo_u32 v37, v4, s37
	v_mul_lo_u32 v38, v5, s36
	v_add3_u32 v25, v38, v25, v37
	s_mov_b64 s[18:19], 0
	s_mov_b64 s[24:25], s[36:37]
                                        ; implicit-def: $sgpr20_sgpr21
                                        ; implicit-def: $sgpr22_sgpr23
                                        ; implicit-def: $sgpr26_sgpr27
                                        ; implicit-def: $sgpr42_sgpr43
	s_branch .LBB261_1161
.LBB261_1160:                           ;   in Loop: Header=BB261_1161 Depth=1
	s_or_b64 exec, exec, s[46:47]
	s_and_b64 s[46:47], exec, s[22:23]
	s_or_b64 s[18:19], s[46:47], s[18:19]
	s_andn2_b64 s[42:43], s[42:43], exec
	s_and_b64 s[44:45], s[44:45], exec
	s_or_b64 s[42:43], s[42:43], s[44:45]
	s_andn2_b64 s[20:21], s[20:21], exec
	s_and_b64 s[44:45], s[26:27], exec
	s_or_b64 s[20:21], s[20:21], s[44:45]
	s_andn2_b64 exec, exec, s[18:19]
	s_cbranch_execz .LBB261_1163
.LBB261_1161:                           ; =>This Inner Loop Header: Depth=1
	global_load_ubyte v37, v[22:23], off
	global_load_ubyte v38, v[24:25], off
	s_andn2_b64 s[26:27], s[26:27], exec
	s_or_b64 s[22:23], s[22:23], exec
	s_waitcnt vmcnt(0)
	v_cmp_le_i16_sdwa s[46:47], sext(v37), sext(v38) src0_sel:BYTE_0 src1_sel:BYTE_0
	v_cmp_lt_i16_sdwa s[44:45], sext(v37), sext(v38) src0_sel:BYTE_0 src1_sel:BYTE_0
	s_and_b64 s[46:47], s[46:47], s[42:43]
	s_or_b64 s[44:45], s[44:45], s[46:47]
	s_and_b64 s[46:47], s[44:45], exec
	v_cmp_eq_u16_sdwa s[48:49], v37, v38 src0_sel:BYTE_0 src1_sel:BYTE_0
	s_or_b64 s[26:27], s[26:27], s[46:47]
	s_and_saveexec_b64 s[46:47], s[48:49]
	s_cbranch_execz .LBB261_1160
; %bb.1162:                             ;   in Loop: Header=BB261_1161 Depth=1
	s_add_u32 s24, s24, -1
	s_addc_u32 s25, s25, -1
	s_cmp_eq_u64 s[24:25], 0
	s_cselect_b64 s[42:43], -1, 0
	s_andn2_b64 s[22:23], s[22:23], exec
	s_and_b64 s[42:43], s[42:43], exec
	v_lshl_add_u64 v[22:23], v[22:23], 0, 1
	v_lshl_add_u64 v[24:25], v[24:25], 0, 1
	s_andn2_b64 s[26:27], s[26:27], exec
	s_or_b64 s[22:23], s[22:23], s[42:43]
                                        ; implicit-def: $sgpr42_sgpr43
	s_branch .LBB261_1160
.LBB261_1163:
	s_or_b64 exec, exec, s[18:19]
	v_cndmask_b32_e64 v5, v5, v1, s[20:21]
	v_cndmask_b32_e64 v4, v4, v0, s[20:21]
.LBB261_1164:
	v_mov_b64_e32 v[0:1], v[4:5]
.LBB261_1165:
	s_or_b64 exec, exec, s[16:17]
	v_mov_b64_e32 v[4:5], v[0:1]
.LBB261_1166:
	s_or_b64 exec, exec, s[2:3]
.LBB261_1167:
	s_or_b64 exec, exec, s[14:15]
	v_and_b32_e32 v39, 0x3c0, v35
	v_or_b32_e32 v0, 32, v39
	v_min_u32_e32 v24, v34, v0
	v_add_u32_e32 v0, 32, v24
	v_min_u32_e32 v25, v34, v0
	v_and_b32_e32 v0, 56, v35
	v_min_u32_e32 v40, v34, v0
	v_sub_u32_e32 v0, v24, v39
	v_sub_u32_e32 v1, v25, v24
	v_sub_u32_e64 v38, v40, v1 clamp
	v_min_u32_e32 v41, v40, v0
	v_lshl_add_u32 v37, v39, 3, v33
	v_cmp_lt_u32_e32 vcc, v38, v41
	; wave barrier
	ds_write_b128 v36, v[14:17]
	ds_write_b128 v36, v[10:13] offset:16
	ds_write_b128 v36, v[6:9] offset:32
	;; [unrolled: 1-line block ×3, first 2 shown]
	; wave barrier
	s_and_saveexec_b64 s[2:3], vcc
	s_cbranch_execz .LBB261_1177
; %bb.1168:
	v_lshlrev_b32_e32 v0, 3, v24
	v_lshlrev_b32_e32 v1, 3, v40
	v_add3_u32 v42, v33, v0, v1
	v_cndmask_b32_e64 v0, 0, 1, s[40:41]
	s_mov_b64 s[16:17], 0
	v_cmp_ne_u32_e64 s[14:15], 1, v0
	s_branch .LBB261_1171
.LBB261_1169:                           ;   in Loop: Header=BB261_1171 Depth=1
	s_or_b64 exec, exec, s[20:21]
.LBB261_1170:                           ;   in Loop: Header=BB261_1171 Depth=1
	v_add_u32_e32 v0, 1, v43
	v_cndmask_b32_e64 v41, v41, v43, s[18:19]
	v_cndmask_b32_e64 v38, v0, v38, s[18:19]
	v_cmp_ge_u32_e32 vcc, v38, v41
	s_or_b64 s[16:17], vcc, s[16:17]
	s_andn2_b64 exec, exec, s[16:17]
	s_cbranch_execz .LBB261_1176
.LBB261_1171:                           ; =>This Loop Header: Depth=1
                                        ;     Child Loop BB261_1174 Depth 2
	v_add_u32_e32 v0, v41, v38
	v_lshrrev_b32_e32 v43, 1, v0
	s_and_b64 vcc, exec, s[14:15]
	s_mov_b64 s[18:19], 0
	s_cbranch_vccnz .LBB261_1170
; %bb.1172:                             ;   in Loop: Header=BB261_1171 Depth=1
	v_not_b32_e32 v0, v43
	v_lshl_add_u32 v0, v0, 3, v42
	ds_read_b64 v[0:1], v0
	v_lshl_add_u32 v44, v43, 3, v37
	ds_read_b64 v[44:45], v44
	v_mov_b64_e32 v[22:23], s[38:39]
	s_mov_b64 s[20:21], 0
	s_waitcnt lgkmcnt(1)
	v_mul_lo_u32 v46, v0, s37
	v_mul_lo_u32 v47, v1, s36
	v_mad_u64_u32 v[0:1], s[18:19], v0, s36, v[22:23]
	v_add3_u32 v1, v47, v1, v46
	s_waitcnt lgkmcnt(0)
	v_mul_lo_u32 v46, v44, s37
	v_mul_lo_u32 v45, v45, s36
	v_mad_u64_u32 v[22:23], s[18:19], v44, s36, v[22:23]
	v_add3_u32 v23, v45, v23, v46
	s_mov_b64 s[24:25], s[36:37]
                                        ; implicit-def: $sgpr18_sgpr19
                                        ; implicit-def: $sgpr22_sgpr23
                                        ; implicit-def: $sgpr26_sgpr27
                                        ; implicit-def: $sgpr42_sgpr43
	s_branch .LBB261_1174
.LBB261_1173:                           ;   in Loop: Header=BB261_1174 Depth=2
	s_or_b64 exec, exec, s[46:47]
	s_and_b64 s[46:47], exec, s[22:23]
	s_or_b64 s[20:21], s[46:47], s[20:21]
	s_andn2_b64 s[42:43], s[42:43], exec
	s_and_b64 s[44:45], s[44:45], exec
	s_or_b64 s[42:43], s[42:43], s[44:45]
	s_andn2_b64 s[18:19], s[18:19], exec
	s_and_b64 s[44:45], s[26:27], exec
	s_or_b64 s[18:19], s[18:19], s[44:45]
	s_andn2_b64 exec, exec, s[20:21]
	s_cbranch_execz .LBB261_1169
.LBB261_1174:                           ;   Parent Loop BB261_1171 Depth=1
                                        ; =>  This Inner Loop Header: Depth=2
	global_load_ubyte v44, v[0:1], off
	global_load_ubyte v45, v[22:23], off
	s_andn2_b64 s[26:27], s[26:27], exec
	s_or_b64 s[22:23], s[22:23], exec
	s_waitcnt vmcnt(0)
	v_cmp_le_i16_sdwa s[46:47], sext(v44), sext(v45) src0_sel:BYTE_0 src1_sel:BYTE_0
	v_cmp_lt_i16_sdwa s[44:45], sext(v44), sext(v45) src0_sel:BYTE_0 src1_sel:BYTE_0
	s_and_b64 s[46:47], s[46:47], s[42:43]
	s_or_b64 s[44:45], s[44:45], s[46:47]
	s_and_b64 s[46:47], s[44:45], exec
	v_cmp_eq_u16_sdwa s[48:49], v44, v45 src0_sel:BYTE_0 src1_sel:BYTE_0
	s_or_b64 s[26:27], s[26:27], s[46:47]
	s_and_saveexec_b64 s[46:47], s[48:49]
	s_cbranch_execz .LBB261_1173
; %bb.1175:                             ;   in Loop: Header=BB261_1174 Depth=2
	s_add_u32 s24, s24, -1
	s_addc_u32 s25, s25, -1
	s_cmp_eq_u64 s[24:25], 0
	s_cselect_b64 s[42:43], -1, 0
	s_andn2_b64 s[22:23], s[22:23], exec
	s_and_b64 s[42:43], s[42:43], exec
	v_lshl_add_u64 v[0:1], v[0:1], 0, 1
	v_lshl_add_u64 v[22:23], v[22:23], 0, 1
	s_andn2_b64 s[26:27], s[26:27], exec
	s_or_b64 s[22:23], s[22:23], s[42:43]
                                        ; implicit-def: $sgpr42_sgpr43
	s_branch .LBB261_1173
.LBB261_1176:
	s_or_b64 exec, exec, s[16:17]
.LBB261_1177:
	s_or_b64 exec, exec, s[2:3]
	v_add_u32_e32 v0, v24, v40
	v_add_u32_e32 v23, v38, v39
	v_sub_u32_e32 v39, v0, v38
	v_cmp_le_u32_e32 vcc, v23, v24
	v_cmp_le_u32_e64 s[2:3], v39, v25
	s_or_b64 s[2:3], vcc, s[2:3]
	s_and_saveexec_b64 s[14:15], s[2:3]
	s_cbranch_execz .LBB261_1268
; %bb.1178:
	v_cmp_ge_u32_e32 vcc, v23, v24
	v_cmp_lt_u32_e64 s[2:3], v23, v24
                                        ; implicit-def: $vgpr0_vgpr1
	s_and_saveexec_b64 s[16:17], s[2:3]
; %bb.1179:
	v_lshl_add_u32 v0, v38, 3, v37
	ds_read_b64 v[0:1], v0
; %bb.1180:
	s_or_b64 exec, exec, s[16:17]
	v_cmp_ge_u32_e64 s[16:17], v39, v25
	v_cmp_lt_u32_e64 s[2:3], v39, v25
                                        ; implicit-def: $vgpr2_vgpr3
	s_and_saveexec_b64 s[18:19], s[2:3]
; %bb.1181:
	v_lshl_add_u32 v2, v39, 3, v33
	ds_read_b64 v[2:3], v2
; %bb.1182:
	s_or_b64 exec, exec, s[18:19]
	s_nor_b64 s[18:19], vcc, s[16:17]
	s_and_saveexec_b64 s[2:3], s[18:19]
	s_cbranch_execz .LBB261_1191
; %bb.1183:
	s_andn2_b64 vcc, exec, s[40:41]
	s_cbranch_vccnz .LBB261_1189
; %bb.1184:
	v_mov_b64_e32 v[6:7], s[38:39]
	s_waitcnt lgkmcnt(0)
	v_mad_u64_u32 v[4:5], s[18:19], v2, s36, v[6:7]
	v_mul_lo_u32 v8, v2, s37
	v_mul_lo_u32 v9, v3, s36
	v_add3_u32 v5, v9, v5, v8
	v_mad_u64_u32 v[6:7], s[18:19], v0, s36, v[6:7]
	v_mul_lo_u32 v8, v0, s37
	v_mul_lo_u32 v9, v1, s36
	v_add3_u32 v7, v9, v7, v8
	s_mov_b64 s[18:19], 0
	s_mov_b64 s[24:25], s[36:37]
                                        ; implicit-def: $sgpr20_sgpr21
                                        ; implicit-def: $sgpr22_sgpr23
                                        ; implicit-def: $sgpr26_sgpr27
                                        ; implicit-def: $sgpr42_sgpr43
	s_branch .LBB261_1186
.LBB261_1185:                           ;   in Loop: Header=BB261_1186 Depth=1
	s_or_b64 exec, exec, s[46:47]
	s_and_b64 s[46:47], exec, s[22:23]
	s_or_b64 s[18:19], s[46:47], s[18:19]
	s_andn2_b64 s[42:43], s[42:43], exec
	s_and_b64 s[44:45], s[44:45], exec
	s_or_b64 s[42:43], s[42:43], s[44:45]
	s_andn2_b64 s[20:21], s[20:21], exec
	s_and_b64 s[44:45], s[26:27], exec
	s_or_b64 s[20:21], s[20:21], s[44:45]
	s_andn2_b64 exec, exec, s[18:19]
	s_cbranch_execz .LBB261_1188
.LBB261_1186:                           ; =>This Inner Loop Header: Depth=1
	global_load_ubyte v8, v[4:5], off
	global_load_ubyte v9, v[6:7], off
	s_andn2_b64 s[26:27], s[26:27], exec
	s_or_b64 s[22:23], s[22:23], exec
	s_waitcnt vmcnt(0)
	v_cmp_le_i16_sdwa s[46:47], sext(v8), sext(v9) src0_sel:BYTE_0 src1_sel:BYTE_0
	v_cmp_lt_i16_sdwa s[44:45], sext(v8), sext(v9) src0_sel:BYTE_0 src1_sel:BYTE_0
	s_and_b64 s[46:47], s[46:47], s[42:43]
	s_or_b64 s[44:45], s[44:45], s[46:47]
	s_and_b64 s[46:47], s[44:45], exec
	v_cmp_eq_u16_sdwa s[48:49], v8, v9 src0_sel:BYTE_0 src1_sel:BYTE_0
	s_or_b64 s[26:27], s[26:27], s[46:47]
	s_and_saveexec_b64 s[46:47], s[48:49]
	s_cbranch_execz .LBB261_1185
; %bb.1187:                             ;   in Loop: Header=BB261_1186 Depth=1
	s_add_u32 s24, s24, -1
	s_addc_u32 s25, s25, -1
	s_cmp_eq_u64 s[24:25], 0
	s_cselect_b64 s[42:43], -1, 0
	s_andn2_b64 s[22:23], s[22:23], exec
	s_and_b64 s[42:43], s[42:43], exec
	v_lshl_add_u64 v[4:5], v[4:5], 0, 1
	v_lshl_add_u64 v[6:7], v[6:7], 0, 1
	s_andn2_b64 s[26:27], s[26:27], exec
	s_or_b64 s[22:23], s[22:23], s[42:43]
                                        ; implicit-def: $sgpr42_sgpr43
	s_branch .LBB261_1185
.LBB261_1188:
	s_or_b64 exec, exec, s[18:19]
	s_xor_b64 s[18:19], s[20:21], -1
	s_branch .LBB261_1190
.LBB261_1189:
	s_mov_b64 s[18:19], -1
.LBB261_1190:
	s_andn2_b64 s[16:17], s[16:17], exec
	s_and_b64 s[18:19], s[18:19], exec
	s_or_b64 s[16:17], s[16:17], s[18:19]
.LBB261_1191:
	s_or_b64 exec, exec, s[2:3]
	v_cndmask_b32_e64 v4, v39, v23, s[16:17]
	v_cndmask_b32_e64 v5, v25, v24, s[16:17]
	v_add_u32_e32 v6, 1, v4
	v_add_u32_e32 v4, -1, v5
	v_min_u32_e32 v4, v6, v4
	v_lshl_add_u32 v4, v4, 3, v33
	ds_read_b64 v[4:5], v4
	v_cndmask_b32_e64 v8, v6, v39, s[16:17]
	v_cndmask_b32_e64 v9, v23, v6, s[16:17]
	v_cmp_lt_u32_e32 vcc, v8, v25
	s_mov_b64 s[18:19], -1
	s_waitcnt lgkmcnt(0)
	v_cndmask_b32_e64 v14, v5, v3, s[16:17]
	v_cndmask_b32_e64 v15, v4, v2, s[16:17]
	;; [unrolled: 1-line block ×4, first 2 shown]
	s_mov_b64 s[2:3], -1
	s_and_saveexec_b64 s[20:21], vcc
	s_cbranch_execz .LBB261_1202
; %bb.1192:
	v_cmp_lt_u32_e32 vcc, v9, v24
	s_mov_b64 s[22:23], 0
	s_and_saveexec_b64 s[2:3], vcc
	s_cbranch_execz .LBB261_1201
; %bb.1193:
	s_andn2_b64 vcc, exec, s[40:41]
	s_cbranch_vccnz .LBB261_1199
; %bb.1194:
	v_mov_b64_e32 v[6:7], s[38:39]
	v_mad_u64_u32 v[4:5], s[22:23], v15, s36, v[6:7]
	v_mul_lo_u32 v10, v15, s37
	v_mul_lo_u32 v11, v14, s36
	v_add3_u32 v5, v11, v5, v10
	v_mad_u64_u32 v[6:7], s[22:23], v22, s36, v[6:7]
	v_mul_lo_u32 v10, v22, s37
	v_mul_lo_u32 v11, v16, s36
	v_add3_u32 v7, v11, v7, v10
	s_mov_b64 s[22:23], 0
	s_mov_b64 s[42:43], s[36:37]
                                        ; implicit-def: $sgpr24_sgpr25
                                        ; implicit-def: $sgpr26_sgpr27
                                        ; implicit-def: $sgpr44_sgpr45
                                        ; implicit-def: $sgpr46_sgpr47
	s_branch .LBB261_1196
.LBB261_1195:                           ;   in Loop: Header=BB261_1196 Depth=1
	s_or_b64 exec, exec, s[50:51]
	s_and_b64 s[50:51], exec, s[26:27]
	s_or_b64 s[22:23], s[50:51], s[22:23]
	s_andn2_b64 s[46:47], s[46:47], exec
	s_and_b64 s[48:49], s[48:49], exec
	s_or_b64 s[46:47], s[46:47], s[48:49]
	s_andn2_b64 s[24:25], s[24:25], exec
	s_and_b64 s[48:49], s[44:45], exec
	s_or_b64 s[24:25], s[24:25], s[48:49]
	s_andn2_b64 exec, exec, s[22:23]
	s_cbranch_execz .LBB261_1198
.LBB261_1196:                           ; =>This Inner Loop Header: Depth=1
	global_load_ubyte v10, v[4:5], off
	global_load_ubyte v11, v[6:7], off
	s_andn2_b64 s[44:45], s[44:45], exec
	s_or_b64 s[26:27], s[26:27], exec
	s_waitcnt vmcnt(0)
	v_cmp_le_i16_sdwa s[50:51], sext(v10), sext(v11) src0_sel:BYTE_0 src1_sel:BYTE_0
	v_cmp_lt_i16_sdwa s[48:49], sext(v10), sext(v11) src0_sel:BYTE_0 src1_sel:BYTE_0
	s_and_b64 s[50:51], s[50:51], s[46:47]
	s_or_b64 s[48:49], s[48:49], s[50:51]
	s_and_b64 s[50:51], s[48:49], exec
	v_cmp_eq_u16_sdwa s[52:53], v10, v11 src0_sel:BYTE_0 src1_sel:BYTE_0
	s_or_b64 s[44:45], s[44:45], s[50:51]
	s_and_saveexec_b64 s[50:51], s[52:53]
	s_cbranch_execz .LBB261_1195
; %bb.1197:                             ;   in Loop: Header=BB261_1196 Depth=1
	s_add_u32 s42, s42, -1
	s_addc_u32 s43, s43, -1
	s_cmp_eq_u64 s[42:43], 0
	s_cselect_b64 s[46:47], -1, 0
	s_andn2_b64 s[26:27], s[26:27], exec
	s_and_b64 s[46:47], s[46:47], exec
	v_lshl_add_u64 v[4:5], v[4:5], 0, 1
	v_lshl_add_u64 v[6:7], v[6:7], 0, 1
	s_andn2_b64 s[44:45], s[44:45], exec
	s_or_b64 s[26:27], s[26:27], s[46:47]
                                        ; implicit-def: $sgpr46_sgpr47
	s_branch .LBB261_1195
.LBB261_1198:
	s_or_b64 exec, exec, s[22:23]
	s_xor_b64 s[22:23], s[24:25], -1
	s_branch .LBB261_1200
.LBB261_1199:
	s_mov_b64 s[22:23], -1
.LBB261_1200:
	s_and_b64 s[22:23], s[22:23], exec
.LBB261_1201:
	s_or_b64 exec, exec, s[2:3]
	s_orn2_b64 s[2:3], s[22:23], exec
.LBB261_1202:
	s_or_b64 exec, exec, s[20:21]
	v_cndmask_b32_e64 v4, v8, v9, s[2:3]
	v_cndmask_b32_e64 v5, v25, v24, s[2:3]
	v_add_u32_e32 v6, 1, v4
	v_add_u32_e32 v4, -1, v5
	v_min_u32_e32 v4, v6, v4
	v_lshl_add_u32 v4, v4, 3, v33
	ds_read_b64 v[4:5], v4
	v_cndmask_b32_e64 v8, v6, v8, s[2:3]
	v_cndmask_b32_e64 v9, v9, v6, s[2:3]
	v_cmp_lt_u32_e32 vcc, v8, v25
	s_waitcnt lgkmcnt(0)
	v_cndmask_b32_e64 v10, v5, v14, s[2:3]
	v_cndmask_b32_e64 v17, v4, v15, s[2:3]
	;; [unrolled: 1-line block ×4, first 2 shown]
	s_and_saveexec_b64 s[20:21], vcc
	s_cbranch_execz .LBB261_1213
; %bb.1203:
	v_cmp_lt_u32_e32 vcc, v9, v24
	s_mov_b64 s[22:23], 0
	s_and_saveexec_b64 s[18:19], vcc
	s_cbranch_execz .LBB261_1212
; %bb.1204:
	s_andn2_b64 vcc, exec, s[40:41]
	s_cbranch_vccnz .LBB261_1210
; %bb.1205:
	v_mov_b64_e32 v[6:7], s[38:39]
	v_mad_u64_u32 v[4:5], s[22:23], v17, s36, v[6:7]
	v_mul_lo_u32 v12, v17, s37
	v_mul_lo_u32 v13, v10, s36
	v_add3_u32 v5, v13, v5, v12
	v_mad_u64_u32 v[6:7], s[22:23], v23, s36, v[6:7]
	v_mul_lo_u32 v12, v23, s37
	v_mul_lo_u32 v13, v11, s36
	v_add3_u32 v7, v13, v7, v12
	s_mov_b64 s[22:23], 0
	s_mov_b64 s[42:43], s[36:37]
                                        ; implicit-def: $sgpr24_sgpr25
                                        ; implicit-def: $sgpr26_sgpr27
                                        ; implicit-def: $sgpr44_sgpr45
                                        ; implicit-def: $sgpr46_sgpr47
	s_branch .LBB261_1207
.LBB261_1206:                           ;   in Loop: Header=BB261_1207 Depth=1
	s_or_b64 exec, exec, s[50:51]
	s_and_b64 s[50:51], exec, s[26:27]
	s_or_b64 s[22:23], s[50:51], s[22:23]
	s_andn2_b64 s[46:47], s[46:47], exec
	s_and_b64 s[48:49], s[48:49], exec
	s_or_b64 s[46:47], s[46:47], s[48:49]
	s_andn2_b64 s[24:25], s[24:25], exec
	s_and_b64 s[48:49], s[44:45], exec
	s_or_b64 s[24:25], s[24:25], s[48:49]
	s_andn2_b64 exec, exec, s[22:23]
	s_cbranch_execz .LBB261_1209
.LBB261_1207:                           ; =>This Inner Loop Header: Depth=1
	global_load_ubyte v12, v[4:5], off
	global_load_ubyte v13, v[6:7], off
	s_andn2_b64 s[44:45], s[44:45], exec
	s_or_b64 s[26:27], s[26:27], exec
	s_waitcnt vmcnt(0)
	v_cmp_le_i16_sdwa s[50:51], sext(v12), sext(v13) src0_sel:BYTE_0 src1_sel:BYTE_0
	v_cmp_lt_i16_sdwa s[48:49], sext(v12), sext(v13) src0_sel:BYTE_0 src1_sel:BYTE_0
	s_and_b64 s[50:51], s[50:51], s[46:47]
	s_or_b64 s[48:49], s[48:49], s[50:51]
	s_and_b64 s[50:51], s[48:49], exec
	v_cmp_eq_u16_sdwa s[52:53], v12, v13 src0_sel:BYTE_0 src1_sel:BYTE_0
	s_or_b64 s[44:45], s[44:45], s[50:51]
	s_and_saveexec_b64 s[50:51], s[52:53]
	s_cbranch_execz .LBB261_1206
; %bb.1208:                             ;   in Loop: Header=BB261_1207 Depth=1
	s_add_u32 s42, s42, -1
	s_addc_u32 s43, s43, -1
	s_cmp_eq_u64 s[42:43], 0
	s_cselect_b64 s[46:47], -1, 0
	s_andn2_b64 s[26:27], s[26:27], exec
	s_and_b64 s[46:47], s[46:47], exec
	v_lshl_add_u64 v[4:5], v[4:5], 0, 1
	v_lshl_add_u64 v[6:7], v[6:7], 0, 1
	s_andn2_b64 s[44:45], s[44:45], exec
	s_or_b64 s[26:27], s[26:27], s[46:47]
                                        ; implicit-def: $sgpr46_sgpr47
	s_branch .LBB261_1206
.LBB261_1209:
	s_or_b64 exec, exec, s[22:23]
	s_xor_b64 s[22:23], s[24:25], -1
	s_branch .LBB261_1211
.LBB261_1210:
	s_mov_b64 s[22:23], -1
.LBB261_1211:
	s_and_b64 s[22:23], s[22:23], exec
.LBB261_1212:
	s_or_b64 exec, exec, s[18:19]
	s_orn2_b64 s[18:19], s[22:23], exec
.LBB261_1213:
	s_or_b64 exec, exec, s[20:21]
	v_cndmask_b32_e64 v4, v8, v9, s[18:19]
	v_cndmask_b32_e64 v5, v25, v24, s[18:19]
	v_add_u32_e32 v6, 1, v4
	v_add_u32_e32 v4, -1, v5
	v_min_u32_e32 v4, v6, v4
	v_lshl_add_u32 v4, v4, 3, v33
	ds_read_b64 v[4:5], v4
	v_cndmask_b32_e64 v8, v6, v8, s[18:19]
	v_cndmask_b32_e64 v9, v9, v6, s[18:19]
	v_cmp_lt_u32_e32 vcc, v8, v25
	s_mov_b64 s[22:23], -1
	s_waitcnt lgkmcnt(0)
	v_cndmask_b32_e64 v12, v5, v10, s[18:19]
	v_cndmask_b32_e64 v37, v4, v17, s[18:19]
	;; [unrolled: 1-line block ×4, first 2 shown]
	s_mov_b64 s[20:21], -1
	s_and_saveexec_b64 s[24:25], vcc
	s_cbranch_execz .LBB261_1224
; %bb.1214:
	v_cmp_lt_u32_e32 vcc, v9, v24
	s_mov_b64 s[26:27], 0
	s_and_saveexec_b64 s[20:21], vcc
	s_cbranch_execz .LBB261_1223
; %bb.1215:
	s_andn2_b64 vcc, exec, s[40:41]
	s_cbranch_vccnz .LBB261_1221
; %bb.1216:
	v_mov_b64_e32 v[6:7], s[38:39]
	v_mad_u64_u32 v[4:5], s[26:27], v37, s36, v[6:7]
	v_mul_lo_u32 v39, v37, s37
	v_mul_lo_u32 v40, v12, s36
	v_add3_u32 v5, v40, v5, v39
	v_mad_u64_u32 v[6:7], s[26:27], v38, s36, v[6:7]
	v_mul_lo_u32 v39, v38, s37
	v_mul_lo_u32 v40, v13, s36
	v_add3_u32 v7, v40, v7, v39
	s_mov_b64 s[26:27], 0
	s_mov_b64 s[46:47], s[36:37]
                                        ; implicit-def: $sgpr42_sgpr43
                                        ; implicit-def: $sgpr44_sgpr45
                                        ; implicit-def: $sgpr48_sgpr49
                                        ; implicit-def: $sgpr50_sgpr51
	s_branch .LBB261_1218
.LBB261_1217:                           ;   in Loop: Header=BB261_1218 Depth=1
	s_or_b64 exec, exec, s[54:55]
	s_and_b64 s[54:55], exec, s[44:45]
	s_or_b64 s[26:27], s[54:55], s[26:27]
	s_andn2_b64 s[50:51], s[50:51], exec
	s_and_b64 s[52:53], s[52:53], exec
	s_or_b64 s[50:51], s[50:51], s[52:53]
	s_andn2_b64 s[42:43], s[42:43], exec
	s_and_b64 s[52:53], s[48:49], exec
	s_or_b64 s[42:43], s[42:43], s[52:53]
	s_andn2_b64 exec, exec, s[26:27]
	s_cbranch_execz .LBB261_1220
.LBB261_1218:                           ; =>This Inner Loop Header: Depth=1
	global_load_ubyte v39, v[4:5], off
	global_load_ubyte v40, v[6:7], off
	s_andn2_b64 s[48:49], s[48:49], exec
	s_or_b64 s[44:45], s[44:45], exec
	s_waitcnt vmcnt(0)
	v_cmp_le_i16_sdwa s[54:55], sext(v39), sext(v40) src0_sel:BYTE_0 src1_sel:BYTE_0
	v_cmp_lt_i16_sdwa s[52:53], sext(v39), sext(v40) src0_sel:BYTE_0 src1_sel:BYTE_0
	s_and_b64 s[54:55], s[54:55], s[50:51]
	s_or_b64 s[52:53], s[52:53], s[54:55]
	s_and_b64 s[54:55], s[52:53], exec
	v_cmp_eq_u16_sdwa s[56:57], v39, v40 src0_sel:BYTE_0 src1_sel:BYTE_0
	s_or_b64 s[48:49], s[48:49], s[54:55]
	s_and_saveexec_b64 s[54:55], s[56:57]
	s_cbranch_execz .LBB261_1217
; %bb.1219:                             ;   in Loop: Header=BB261_1218 Depth=1
	s_add_u32 s46, s46, -1
	s_addc_u32 s47, s47, -1
	s_cmp_eq_u64 s[46:47], 0
	s_cselect_b64 s[50:51], -1, 0
	s_andn2_b64 s[44:45], s[44:45], exec
	s_and_b64 s[50:51], s[50:51], exec
	v_lshl_add_u64 v[4:5], v[4:5], 0, 1
	v_lshl_add_u64 v[6:7], v[6:7], 0, 1
	s_andn2_b64 s[48:49], s[48:49], exec
	s_or_b64 s[44:45], s[44:45], s[50:51]
                                        ; implicit-def: $sgpr50_sgpr51
	s_branch .LBB261_1217
.LBB261_1220:
	s_or_b64 exec, exec, s[26:27]
	s_xor_b64 s[26:27], s[42:43], -1
	s_branch .LBB261_1222
.LBB261_1221:
	s_mov_b64 s[26:27], -1
.LBB261_1222:
	s_and_b64 s[26:27], s[26:27], exec
.LBB261_1223:
	s_or_b64 exec, exec, s[20:21]
	s_orn2_b64 s[20:21], s[26:27], exec
.LBB261_1224:
	s_or_b64 exec, exec, s[24:25]
	v_cndmask_b32_e64 v4, v8, v9, s[20:21]
	v_cndmask_b32_e64 v5, v25, v24, s[20:21]
	v_add_u32_e32 v6, 1, v4
	v_add_u32_e32 v4, -1, v5
	v_min_u32_e32 v4, v6, v4
	v_lshl_add_u32 v4, v4, 3, v33
	ds_read_b64 v[4:5], v4
	v_cndmask_b32_e64 v45, v6, v8, s[20:21]
	v_cndmask_b32_e64 v46, v9, v6, s[20:21]
	v_cmp_lt_u32_e32 vcc, v45, v25
	s_waitcnt lgkmcnt(0)
	v_cndmask_b32_e64 v39, v5, v12, s[20:21]
	v_cndmask_b32_e64 v40, v4, v37, s[20:21]
	;; [unrolled: 1-line block ×4, first 2 shown]
	s_and_saveexec_b64 s[24:25], vcc
	s_cbranch_execz .LBB261_1235
; %bb.1225:
	v_cmp_lt_u32_e32 vcc, v46, v24
	s_mov_b64 s[26:27], 0
	s_and_saveexec_b64 s[22:23], vcc
	s_cbranch_execz .LBB261_1234
; %bb.1226:
	s_andn2_b64 vcc, exec, s[40:41]
	s_cbranch_vccnz .LBB261_1232
; %bb.1227:
	v_mov_b64_e32 v[6:7], s[38:39]
	v_mad_u64_u32 v[4:5], s[26:27], v40, s36, v[6:7]
	v_mul_lo_u32 v8, v40, s37
	v_mul_lo_u32 v9, v39, s36
	v_add3_u32 v5, v9, v5, v8
	v_mad_u64_u32 v[6:7], s[26:27], v42, s36, v[6:7]
	v_mul_lo_u32 v8, v42, s37
	v_mul_lo_u32 v9, v41, s36
	v_add3_u32 v7, v9, v7, v8
	s_mov_b64 s[26:27], 0
	s_mov_b64 s[46:47], s[36:37]
                                        ; implicit-def: $sgpr42_sgpr43
                                        ; implicit-def: $sgpr44_sgpr45
                                        ; implicit-def: $sgpr48_sgpr49
                                        ; implicit-def: $sgpr50_sgpr51
	s_branch .LBB261_1229
.LBB261_1228:                           ;   in Loop: Header=BB261_1229 Depth=1
	s_or_b64 exec, exec, s[54:55]
	s_and_b64 s[54:55], exec, s[44:45]
	s_or_b64 s[26:27], s[54:55], s[26:27]
	s_andn2_b64 s[50:51], s[50:51], exec
	s_and_b64 s[52:53], s[52:53], exec
	s_or_b64 s[50:51], s[50:51], s[52:53]
	s_andn2_b64 s[42:43], s[42:43], exec
	s_and_b64 s[52:53], s[48:49], exec
	s_or_b64 s[42:43], s[42:43], s[52:53]
	s_andn2_b64 exec, exec, s[26:27]
	s_cbranch_execz .LBB261_1231
.LBB261_1229:                           ; =>This Inner Loop Header: Depth=1
	global_load_ubyte v8, v[4:5], off
	global_load_ubyte v9, v[6:7], off
	s_andn2_b64 s[48:49], s[48:49], exec
	s_or_b64 s[44:45], s[44:45], exec
	s_waitcnt vmcnt(0)
	v_cmp_le_i16_sdwa s[54:55], sext(v8), sext(v9) src0_sel:BYTE_0 src1_sel:BYTE_0
	v_cmp_lt_i16_sdwa s[52:53], sext(v8), sext(v9) src0_sel:BYTE_0 src1_sel:BYTE_0
	s_and_b64 s[54:55], s[54:55], s[50:51]
	s_or_b64 s[52:53], s[52:53], s[54:55]
	s_and_b64 s[54:55], s[52:53], exec
	v_cmp_eq_u16_sdwa s[56:57], v8, v9 src0_sel:BYTE_0 src1_sel:BYTE_0
	s_or_b64 s[48:49], s[48:49], s[54:55]
	s_and_saveexec_b64 s[54:55], s[56:57]
	s_cbranch_execz .LBB261_1228
; %bb.1230:                             ;   in Loop: Header=BB261_1229 Depth=1
	s_add_u32 s46, s46, -1
	s_addc_u32 s47, s47, -1
	s_cmp_eq_u64 s[46:47], 0
	s_cselect_b64 s[50:51], -1, 0
	s_andn2_b64 s[44:45], s[44:45], exec
	s_and_b64 s[50:51], s[50:51], exec
	v_lshl_add_u64 v[4:5], v[4:5], 0, 1
	v_lshl_add_u64 v[6:7], v[6:7], 0, 1
	s_andn2_b64 s[48:49], s[48:49], exec
	s_or_b64 s[44:45], s[44:45], s[50:51]
                                        ; implicit-def: $sgpr50_sgpr51
	s_branch .LBB261_1228
.LBB261_1231:
	s_or_b64 exec, exec, s[26:27]
	s_xor_b64 s[26:27], s[42:43], -1
	s_branch .LBB261_1233
.LBB261_1232:
	s_mov_b64 s[26:27], -1
.LBB261_1233:
	s_and_b64 s[26:27], s[26:27], exec
.LBB261_1234:
	s_or_b64 exec, exec, s[22:23]
	s_orn2_b64 s[22:23], s[26:27], exec
.LBB261_1235:
	s_or_b64 exec, exec, s[24:25]
	v_cndmask_b32_e64 v4, v45, v46, s[22:23]
	v_cndmask_b32_e64 v5, v25, v24, s[22:23]
	v_add_u32_e32 v6, 1, v4
	v_add_u32_e32 v4, -1, v5
	v_min_u32_e32 v4, v6, v4
	v_lshl_add_u32 v4, v4, 3, v33
	ds_read_b64 v[4:5], v4
	v_cndmask_b32_e64 v47, v6, v45, s[22:23]
	v_cndmask_b32_e64 v51, v46, v6, s[22:23]
	v_cmp_lt_u32_e32 vcc, v47, v25
	s_mov_b64 s[24:25], -1
	s_waitcnt lgkmcnt(0)
	v_cndmask_b32_e64 v8, v5, v39, s[22:23]
	v_cndmask_b32_e64 v43, v4, v40, s[22:23]
	;; [unrolled: 1-line block ×4, first 2 shown]
	s_mov_b64 s[26:27], -1
	s_and_saveexec_b64 s[42:43], vcc
	s_cbranch_execz .LBB261_1246
; %bb.1236:
	v_cmp_lt_u32_e32 vcc, v51, v24
	s_mov_b64 s[44:45], 0
	s_and_saveexec_b64 s[26:27], vcc
	s_cbranch_execz .LBB261_1245
; %bb.1237:
	s_andn2_b64 vcc, exec, s[40:41]
	s_cbranch_vccnz .LBB261_1243
; %bb.1238:
	v_mov_b64_e32 v[6:7], s[38:39]
	v_mad_u64_u32 v[4:5], s[44:45], v43, s36, v[6:7]
	v_mul_lo_u32 v45, v43, s37
	v_mul_lo_u32 v46, v8, s36
	v_add3_u32 v5, v46, v5, v45
	v_mad_u64_u32 v[6:7], s[44:45], v44, s36, v[6:7]
	v_mul_lo_u32 v45, v44, s37
	v_mul_lo_u32 v46, v9, s36
	v_add3_u32 v7, v46, v7, v45
	s_mov_b64 s[44:45], 0
	s_mov_b64 s[50:51], s[36:37]
                                        ; implicit-def: $sgpr46_sgpr47
                                        ; implicit-def: $sgpr48_sgpr49
                                        ; implicit-def: $sgpr52_sgpr53
                                        ; implicit-def: $sgpr54_sgpr55
	s_branch .LBB261_1240
.LBB261_1239:                           ;   in Loop: Header=BB261_1240 Depth=1
	s_or_b64 exec, exec, s[58:59]
	s_and_b64 s[58:59], exec, s[48:49]
	s_or_b64 s[44:45], s[58:59], s[44:45]
	s_andn2_b64 s[54:55], s[54:55], exec
	s_and_b64 s[56:57], s[56:57], exec
	s_or_b64 s[54:55], s[54:55], s[56:57]
	s_andn2_b64 s[46:47], s[46:47], exec
	s_and_b64 s[56:57], s[52:53], exec
	s_or_b64 s[46:47], s[46:47], s[56:57]
	s_andn2_b64 exec, exec, s[44:45]
	s_cbranch_execz .LBB261_1242
.LBB261_1240:                           ; =>This Inner Loop Header: Depth=1
	global_load_ubyte v45, v[4:5], off
	global_load_ubyte v46, v[6:7], off
	s_andn2_b64 s[52:53], s[52:53], exec
	s_or_b64 s[48:49], s[48:49], exec
	s_waitcnt vmcnt(0)
	v_cmp_le_i16_sdwa s[58:59], sext(v45), sext(v46) src0_sel:BYTE_0 src1_sel:BYTE_0
	v_cmp_lt_i16_sdwa s[56:57], sext(v45), sext(v46) src0_sel:BYTE_0 src1_sel:BYTE_0
	s_and_b64 s[58:59], s[58:59], s[54:55]
	s_or_b64 s[56:57], s[56:57], s[58:59]
	s_and_b64 s[58:59], s[56:57], exec
	v_cmp_eq_u16_sdwa s[60:61], v45, v46 src0_sel:BYTE_0 src1_sel:BYTE_0
	s_or_b64 s[52:53], s[52:53], s[58:59]
	s_and_saveexec_b64 s[58:59], s[60:61]
	s_cbranch_execz .LBB261_1239
; %bb.1241:                             ;   in Loop: Header=BB261_1240 Depth=1
	s_add_u32 s50, s50, -1
	s_addc_u32 s51, s51, -1
	s_cmp_eq_u64 s[50:51], 0
	s_cselect_b64 s[54:55], -1, 0
	s_andn2_b64 s[48:49], s[48:49], exec
	s_and_b64 s[54:55], s[54:55], exec
	v_lshl_add_u64 v[4:5], v[4:5], 0, 1
	v_lshl_add_u64 v[6:7], v[6:7], 0, 1
	s_andn2_b64 s[52:53], s[52:53], exec
	s_or_b64 s[48:49], s[48:49], s[54:55]
                                        ; implicit-def: $sgpr54_sgpr55
	s_branch .LBB261_1239
.LBB261_1242:
	s_or_b64 exec, exec, s[44:45]
	s_xor_b64 s[44:45], s[46:47], -1
	s_branch .LBB261_1244
.LBB261_1243:
	s_mov_b64 s[44:45], -1
.LBB261_1244:
	s_and_b64 s[44:45], s[44:45], exec
.LBB261_1245:
	s_or_b64 exec, exec, s[26:27]
	s_orn2_b64 s[26:27], s[44:45], exec
.LBB261_1246:
	s_or_b64 exec, exec, s[42:43]
	v_cndmask_b32_e64 v4, v47, v51, s[26:27]
	v_cndmask_b32_e64 v5, v25, v24, s[26:27]
	v_add_u32_e32 v6, 1, v4
	v_add_u32_e32 v4, -1, v5
	v_min_u32_e32 v4, v6, v4
	v_lshl_add_u32 v4, v4, 3, v33
	ds_read_b64 v[4:5], v4
	v_cndmask_b32_e64 v48, v6, v47, s[26:27]
	v_cndmask_b32_e64 v47, v51, v6, s[26:27]
	v_cmp_lt_u32_e32 vcc, v48, v25
	s_waitcnt lgkmcnt(0)
	v_cndmask_b32_e64 v45, v5, v8, s[26:27]
	v_cndmask_b32_e64 v46, v4, v43, s[26:27]
	v_cndmask_b32_e64 v49, v9, v5, s[26:27]
	v_cndmask_b32_e64 v50, v44, v4, s[26:27]
	s_and_saveexec_b64 s[42:43], vcc
	s_cbranch_execz .LBB261_1257
; %bb.1247:
	v_cmp_lt_u32_e32 vcc, v47, v24
	s_mov_b64 s[44:45], 0
	s_and_saveexec_b64 s[24:25], vcc
	s_cbranch_execz .LBB261_1256
; %bb.1248:
	s_andn2_b64 vcc, exec, s[40:41]
	s_cbranch_vccnz .LBB261_1254
; %bb.1249:
	v_mov_b64_e32 v[6:7], s[38:39]
	v_mad_u64_u32 v[4:5], s[44:45], v46, s36, v[6:7]
	v_mul_lo_u32 v51, v46, s37
	v_mul_lo_u32 v52, v45, s36
	v_add3_u32 v5, v52, v5, v51
	v_mad_u64_u32 v[6:7], s[44:45], v50, s36, v[6:7]
	v_mul_lo_u32 v51, v50, s37
	v_mul_lo_u32 v52, v49, s36
	v_add3_u32 v7, v52, v7, v51
	s_mov_b64 s[44:45], 0
	s_mov_b64 s[50:51], s[36:37]
                                        ; implicit-def: $sgpr46_sgpr47
                                        ; implicit-def: $sgpr48_sgpr49
                                        ; implicit-def: $sgpr52_sgpr53
                                        ; implicit-def: $sgpr54_sgpr55
	s_branch .LBB261_1251
.LBB261_1250:                           ;   in Loop: Header=BB261_1251 Depth=1
	s_or_b64 exec, exec, s[58:59]
	s_and_b64 s[58:59], exec, s[48:49]
	s_or_b64 s[44:45], s[58:59], s[44:45]
	s_andn2_b64 s[54:55], s[54:55], exec
	s_and_b64 s[56:57], s[56:57], exec
	s_or_b64 s[54:55], s[54:55], s[56:57]
	s_andn2_b64 s[46:47], s[46:47], exec
	s_and_b64 s[56:57], s[52:53], exec
	s_or_b64 s[46:47], s[46:47], s[56:57]
	s_andn2_b64 exec, exec, s[44:45]
	s_cbranch_execz .LBB261_1253
.LBB261_1251:                           ; =>This Inner Loop Header: Depth=1
	global_load_ubyte v51, v[4:5], off
	global_load_ubyte v52, v[6:7], off
	s_andn2_b64 s[52:53], s[52:53], exec
	s_or_b64 s[48:49], s[48:49], exec
	s_waitcnt vmcnt(0)
	v_cmp_le_i16_sdwa s[58:59], sext(v51), sext(v52) src0_sel:BYTE_0 src1_sel:BYTE_0
	v_cmp_lt_i16_sdwa s[56:57], sext(v51), sext(v52) src0_sel:BYTE_0 src1_sel:BYTE_0
	s_and_b64 s[58:59], s[58:59], s[54:55]
	s_or_b64 s[56:57], s[56:57], s[58:59]
	s_and_b64 s[58:59], s[56:57], exec
	v_cmp_eq_u16_sdwa s[60:61], v51, v52 src0_sel:BYTE_0 src1_sel:BYTE_0
	s_or_b64 s[52:53], s[52:53], s[58:59]
	s_and_saveexec_b64 s[58:59], s[60:61]
	s_cbranch_execz .LBB261_1250
; %bb.1252:                             ;   in Loop: Header=BB261_1251 Depth=1
	s_add_u32 s50, s50, -1
	s_addc_u32 s51, s51, -1
	s_cmp_eq_u64 s[50:51], 0
	s_cselect_b64 s[54:55], -1, 0
	s_andn2_b64 s[48:49], s[48:49], exec
	s_and_b64 s[54:55], s[54:55], exec
	v_lshl_add_u64 v[4:5], v[4:5], 0, 1
	v_lshl_add_u64 v[6:7], v[6:7], 0, 1
	s_andn2_b64 s[52:53], s[52:53], exec
	s_or_b64 s[48:49], s[48:49], s[54:55]
                                        ; implicit-def: $sgpr54_sgpr55
	s_branch .LBB261_1250
.LBB261_1253:
	s_or_b64 exec, exec, s[44:45]
	s_xor_b64 s[44:45], s[46:47], -1
	s_branch .LBB261_1255
.LBB261_1254:
	s_mov_b64 s[44:45], -1
.LBB261_1255:
	s_and_b64 s[44:45], s[44:45], exec
.LBB261_1256:
	s_or_b64 exec, exec, s[24:25]
	s_orn2_b64 s[24:25], s[44:45], exec
.LBB261_1257:
	s_or_b64 exec, exec, s[42:43]
	v_cndmask_b32_e64 v4, v48, v47, s[24:25]
	v_cndmask_b32_e64 v5, v25, v24, s[24:25]
	;; [unrolled: 1-line block ×4, first 2 shown]
	v_add_u32_e32 v37, 1, v4
	v_add_u32_e32 v4, -1, v5
	v_min_u32_e32 v4, v37, v4
	v_lshl_add_u32 v4, v4, 3, v33
	v_cndmask_b32_e64 v11, v10, v11, s[18:19]
	v_cndmask_b32_e64 v10, v17, v23, s[18:19]
	;; [unrolled: 1-line block ×4, first 2 shown]
	ds_read_b64 v[22:23], v4
	v_cndmask_b32_e64 v14, v2, v0, s[16:17]
	v_cndmask_b32_e64 v0, v37, v48, s[24:25]
	;; [unrolled: 1-line block ×9, first 2 shown]
	s_waitcnt lgkmcnt(0)
	v_cndmask_b32_e64 v5, v49, v23, s[24:25]
	v_cndmask_b32_e64 v4, v50, v22, s[24:25]
	v_cmp_lt_u32_e32 vcc, v0, v25
	s_and_saveexec_b64 s[2:3], vcc
	s_cbranch_execz .LBB261_1267
; %bb.1258:
	v_cndmask_b32_e64 v0, v22, v46, s[24:25]
	v_cndmask_b32_e64 v22, v47, v37, s[24:25]
	;; [unrolled: 1-line block ×3, first 2 shown]
	v_cmp_lt_u32_e32 vcc, v22, v24
	s_and_saveexec_b64 s[16:17], vcc
	s_cbranch_execz .LBB261_1266
; %bb.1259:
	s_andn2_b64 vcc, exec, s[40:41]
	s_cbranch_vccnz .LBB261_1265
; %bb.1260:
	v_mov_b64_e32 v[24:25], s[38:39]
	v_mad_u64_u32 v[22:23], s[18:19], v0, s36, v[24:25]
	v_mul_lo_u32 v37, v0, s37
	v_mul_lo_u32 v38, v1, s36
	v_add3_u32 v23, v38, v23, v37
	v_mad_u64_u32 v[24:25], s[18:19], v4, s36, v[24:25]
	v_mul_lo_u32 v37, v4, s37
	v_mul_lo_u32 v38, v5, s36
	v_add3_u32 v25, v38, v25, v37
	s_mov_b64 s[18:19], 0
	s_mov_b64 s[24:25], s[36:37]
                                        ; implicit-def: $sgpr20_sgpr21
                                        ; implicit-def: $sgpr22_sgpr23
                                        ; implicit-def: $sgpr26_sgpr27
                                        ; implicit-def: $sgpr42_sgpr43
	s_branch .LBB261_1262
.LBB261_1261:                           ;   in Loop: Header=BB261_1262 Depth=1
	s_or_b64 exec, exec, s[46:47]
	s_and_b64 s[46:47], exec, s[22:23]
	s_or_b64 s[18:19], s[46:47], s[18:19]
	s_andn2_b64 s[42:43], s[42:43], exec
	s_and_b64 s[44:45], s[44:45], exec
	s_or_b64 s[42:43], s[42:43], s[44:45]
	s_andn2_b64 s[20:21], s[20:21], exec
	s_and_b64 s[44:45], s[26:27], exec
	s_or_b64 s[20:21], s[20:21], s[44:45]
	s_andn2_b64 exec, exec, s[18:19]
	s_cbranch_execz .LBB261_1264
.LBB261_1262:                           ; =>This Inner Loop Header: Depth=1
	global_load_ubyte v37, v[22:23], off
	global_load_ubyte v38, v[24:25], off
	s_andn2_b64 s[26:27], s[26:27], exec
	s_or_b64 s[22:23], s[22:23], exec
	s_waitcnt vmcnt(0)
	v_cmp_le_i16_sdwa s[46:47], sext(v37), sext(v38) src0_sel:BYTE_0 src1_sel:BYTE_0
	v_cmp_lt_i16_sdwa s[44:45], sext(v37), sext(v38) src0_sel:BYTE_0 src1_sel:BYTE_0
	s_and_b64 s[46:47], s[46:47], s[42:43]
	s_or_b64 s[44:45], s[44:45], s[46:47]
	s_and_b64 s[46:47], s[44:45], exec
	v_cmp_eq_u16_sdwa s[48:49], v37, v38 src0_sel:BYTE_0 src1_sel:BYTE_0
	s_or_b64 s[26:27], s[26:27], s[46:47]
	s_and_saveexec_b64 s[46:47], s[48:49]
	s_cbranch_execz .LBB261_1261
; %bb.1263:                             ;   in Loop: Header=BB261_1262 Depth=1
	s_add_u32 s24, s24, -1
	s_addc_u32 s25, s25, -1
	s_cmp_eq_u64 s[24:25], 0
	s_cselect_b64 s[42:43], -1, 0
	s_andn2_b64 s[22:23], s[22:23], exec
	s_and_b64 s[42:43], s[42:43], exec
	v_lshl_add_u64 v[22:23], v[22:23], 0, 1
	v_lshl_add_u64 v[24:25], v[24:25], 0, 1
	s_andn2_b64 s[26:27], s[26:27], exec
	s_or_b64 s[22:23], s[22:23], s[42:43]
                                        ; implicit-def: $sgpr42_sgpr43
	s_branch .LBB261_1261
.LBB261_1264:
	s_or_b64 exec, exec, s[18:19]
	v_cndmask_b32_e64 v5, v5, v1, s[20:21]
	v_cndmask_b32_e64 v4, v4, v0, s[20:21]
.LBB261_1265:
	v_mov_b64_e32 v[0:1], v[4:5]
.LBB261_1266:
	s_or_b64 exec, exec, s[16:17]
	v_mov_b64_e32 v[4:5], v[0:1]
.LBB261_1267:
	s_or_b64 exec, exec, s[2:3]
.LBB261_1268:
	s_or_b64 exec, exec, s[14:15]
	; wave barrier
	ds_write_b128 v36, v[14:17]
	ds_write_b128 v36, v[10:13] offset:16
	ds_write_b128 v36, v[6:9] offset:32
	;; [unrolled: 1-line block ×3, first 2 shown]
	v_and_b32_e32 v36, 0x380, v35
	v_or_b32_e32 v0, 64, v36
	v_min_u32_e32 v24, v34, v0
	v_add_u32_e32 v0, 64, v24
	v_min_u32_e32 v25, v34, v0
	v_and_b32_e32 v0, 0x78, v35
	v_min_u32_e32 v37, v34, v0
	v_sub_u32_e32 v0, v24, v36
	v_sub_u32_e32 v1, v25, v24
	v_sub_u32_e64 v35, v37, v1 clamp
	v_min_u32_e32 v38, v37, v0
	v_lshl_add_u32 v34, v36, 3, v33
	v_cmp_lt_u32_e32 vcc, v35, v38
	; wave barrier
	s_and_saveexec_b64 s[2:3], vcc
	s_cbranch_execz .LBB261_1278
; %bb.1269:
	v_lshlrev_b32_e32 v0, 3, v24
	v_lshlrev_b32_e32 v1, 3, v37
	v_add3_u32 v39, v33, v0, v1
	v_cndmask_b32_e64 v0, 0, 1, s[40:41]
	s_mov_b64 s[16:17], 0
	v_cmp_ne_u32_e64 s[14:15], 1, v0
	s_branch .LBB261_1272
.LBB261_1270:                           ;   in Loop: Header=BB261_1272 Depth=1
	s_or_b64 exec, exec, s[20:21]
.LBB261_1271:                           ;   in Loop: Header=BB261_1272 Depth=1
	v_add_u32_e32 v0, 1, v40
	v_cndmask_b32_e64 v38, v38, v40, s[18:19]
	v_cndmask_b32_e64 v35, v0, v35, s[18:19]
	v_cmp_ge_u32_e32 vcc, v35, v38
	s_or_b64 s[16:17], vcc, s[16:17]
	s_andn2_b64 exec, exec, s[16:17]
	s_cbranch_execz .LBB261_1277
.LBB261_1272:                           ; =>This Loop Header: Depth=1
                                        ;     Child Loop BB261_1275 Depth 2
	v_add_u32_e32 v0, v38, v35
	v_lshrrev_b32_e32 v40, 1, v0
	s_and_b64 vcc, exec, s[14:15]
	s_mov_b64 s[18:19], 0
	s_cbranch_vccnz .LBB261_1271
; %bb.1273:                             ;   in Loop: Header=BB261_1272 Depth=1
	v_not_b32_e32 v0, v40
	v_lshl_add_u32 v0, v0, 3, v39
	ds_read_b64 v[0:1], v0
	v_lshl_add_u32 v41, v40, 3, v34
	ds_read_b64 v[42:43], v41
	v_mov_b64_e32 v[22:23], s[38:39]
	s_mov_b64 s[20:21], 0
	s_waitcnt lgkmcnt(1)
	v_mul_lo_u32 v41, v0, s37
	v_mul_lo_u32 v44, v1, s36
	v_mad_u64_u32 v[0:1], s[18:19], v0, s36, v[22:23]
	v_add3_u32 v1, v44, v1, v41
	s_waitcnt lgkmcnt(0)
	v_mul_lo_u32 v41, v42, s37
	v_mul_lo_u32 v43, v43, s36
	v_mad_u64_u32 v[22:23], s[18:19], v42, s36, v[22:23]
	v_add3_u32 v23, v43, v23, v41
	s_mov_b64 s[24:25], s[36:37]
                                        ; implicit-def: $sgpr18_sgpr19
                                        ; implicit-def: $sgpr22_sgpr23
                                        ; implicit-def: $sgpr26_sgpr27
                                        ; implicit-def: $sgpr42_sgpr43
	s_branch .LBB261_1275
.LBB261_1274:                           ;   in Loop: Header=BB261_1275 Depth=2
	s_or_b64 exec, exec, s[46:47]
	s_and_b64 s[46:47], exec, s[22:23]
	s_or_b64 s[20:21], s[46:47], s[20:21]
	s_andn2_b64 s[42:43], s[42:43], exec
	s_and_b64 s[44:45], s[44:45], exec
	s_or_b64 s[42:43], s[42:43], s[44:45]
	s_andn2_b64 s[18:19], s[18:19], exec
	s_and_b64 s[44:45], s[26:27], exec
	s_or_b64 s[18:19], s[18:19], s[44:45]
	s_andn2_b64 exec, exec, s[20:21]
	s_cbranch_execz .LBB261_1270
.LBB261_1275:                           ;   Parent Loop BB261_1272 Depth=1
                                        ; =>  This Inner Loop Header: Depth=2
	global_load_ubyte v41, v[0:1], off
	global_load_ubyte v42, v[22:23], off
	s_andn2_b64 s[26:27], s[26:27], exec
	s_or_b64 s[22:23], s[22:23], exec
	s_waitcnt vmcnt(0)
	v_cmp_le_i16_sdwa s[46:47], sext(v41), sext(v42) src0_sel:BYTE_0 src1_sel:BYTE_0
	v_cmp_lt_i16_sdwa s[44:45], sext(v41), sext(v42) src0_sel:BYTE_0 src1_sel:BYTE_0
	s_and_b64 s[46:47], s[46:47], s[42:43]
	s_or_b64 s[44:45], s[44:45], s[46:47]
	s_and_b64 s[46:47], s[44:45], exec
	v_cmp_eq_u16_sdwa s[48:49], v41, v42 src0_sel:BYTE_0 src1_sel:BYTE_0
	s_or_b64 s[26:27], s[26:27], s[46:47]
	s_and_saveexec_b64 s[46:47], s[48:49]
	s_cbranch_execz .LBB261_1274
; %bb.1276:                             ;   in Loop: Header=BB261_1275 Depth=2
	s_add_u32 s24, s24, -1
	s_addc_u32 s25, s25, -1
	s_cmp_eq_u64 s[24:25], 0
	s_cselect_b64 s[42:43], -1, 0
	s_andn2_b64 s[22:23], s[22:23], exec
	s_and_b64 s[42:43], s[42:43], exec
	v_lshl_add_u64 v[0:1], v[0:1], 0, 1
	v_lshl_add_u64 v[22:23], v[22:23], 0, 1
	s_andn2_b64 s[26:27], s[26:27], exec
	s_or_b64 s[22:23], s[22:23], s[42:43]
                                        ; implicit-def: $sgpr42_sgpr43
	s_branch .LBB261_1274
.LBB261_1277:
	s_or_b64 exec, exec, s[16:17]
.LBB261_1278:
	s_or_b64 exec, exec, s[2:3]
	v_add_u32_e32 v0, v24, v37
	v_add_u32_e32 v23, v35, v36
	v_sub_u32_e32 v36, v0, v35
	v_cmp_le_u32_e32 vcc, v23, v24
	v_cmp_le_u32_e64 s[2:3], v36, v25
	s_or_b64 s[2:3], vcc, s[2:3]
	s_and_saveexec_b64 s[14:15], s[2:3]
	s_cbranch_execz .LBB261_1369
; %bb.1279:
	v_cmp_ge_u32_e32 vcc, v23, v24
	v_cmp_lt_u32_e64 s[2:3], v23, v24
                                        ; implicit-def: $vgpr0_vgpr1
	s_and_saveexec_b64 s[16:17], s[2:3]
; %bb.1280:
	v_lshl_add_u32 v0, v35, 3, v34
	ds_read_b64 v[0:1], v0
; %bb.1281:
	s_or_b64 exec, exec, s[16:17]
	v_cmp_ge_u32_e64 s[16:17], v36, v25
	v_cmp_lt_u32_e64 s[2:3], v36, v25
                                        ; implicit-def: $vgpr2_vgpr3
	s_and_saveexec_b64 s[18:19], s[2:3]
; %bb.1282:
	v_lshl_add_u32 v2, v36, 3, v33
	ds_read_b64 v[2:3], v2
; %bb.1283:
	s_or_b64 exec, exec, s[18:19]
	s_nor_b64 s[18:19], vcc, s[16:17]
	s_and_saveexec_b64 s[2:3], s[18:19]
	s_cbranch_execz .LBB261_1292
; %bb.1284:
	s_andn2_b64 vcc, exec, s[40:41]
	s_cbranch_vccnz .LBB261_1290
; %bb.1285:
	v_mov_b64_e32 v[6:7], s[38:39]
	s_waitcnt lgkmcnt(0)
	v_mad_u64_u32 v[4:5], s[18:19], v2, s36, v[6:7]
	v_mul_lo_u32 v8, v2, s37
	v_mul_lo_u32 v9, v3, s36
	v_add3_u32 v5, v9, v5, v8
	v_mad_u64_u32 v[6:7], s[18:19], v0, s36, v[6:7]
	v_mul_lo_u32 v8, v0, s37
	v_mul_lo_u32 v9, v1, s36
	v_add3_u32 v7, v9, v7, v8
	s_mov_b64 s[18:19], 0
	s_mov_b64 s[24:25], s[36:37]
                                        ; implicit-def: $sgpr20_sgpr21
                                        ; implicit-def: $sgpr22_sgpr23
                                        ; implicit-def: $sgpr26_sgpr27
                                        ; implicit-def: $sgpr42_sgpr43
	s_branch .LBB261_1287
.LBB261_1286:                           ;   in Loop: Header=BB261_1287 Depth=1
	s_or_b64 exec, exec, s[46:47]
	s_and_b64 s[46:47], exec, s[22:23]
	s_or_b64 s[18:19], s[46:47], s[18:19]
	s_andn2_b64 s[42:43], s[42:43], exec
	s_and_b64 s[44:45], s[44:45], exec
	s_or_b64 s[42:43], s[42:43], s[44:45]
	s_andn2_b64 s[20:21], s[20:21], exec
	s_and_b64 s[44:45], s[26:27], exec
	s_or_b64 s[20:21], s[20:21], s[44:45]
	s_andn2_b64 exec, exec, s[18:19]
	s_cbranch_execz .LBB261_1289
.LBB261_1287:                           ; =>This Inner Loop Header: Depth=1
	global_load_ubyte v8, v[4:5], off
	global_load_ubyte v9, v[6:7], off
	s_andn2_b64 s[26:27], s[26:27], exec
	s_or_b64 s[22:23], s[22:23], exec
	s_waitcnt vmcnt(0)
	v_cmp_le_i16_sdwa s[46:47], sext(v8), sext(v9) src0_sel:BYTE_0 src1_sel:BYTE_0
	v_cmp_lt_i16_sdwa s[44:45], sext(v8), sext(v9) src0_sel:BYTE_0 src1_sel:BYTE_0
	s_and_b64 s[46:47], s[46:47], s[42:43]
	s_or_b64 s[44:45], s[44:45], s[46:47]
	s_and_b64 s[46:47], s[44:45], exec
	v_cmp_eq_u16_sdwa s[48:49], v8, v9 src0_sel:BYTE_0 src1_sel:BYTE_0
	s_or_b64 s[26:27], s[26:27], s[46:47]
	s_and_saveexec_b64 s[46:47], s[48:49]
	s_cbranch_execz .LBB261_1286
; %bb.1288:                             ;   in Loop: Header=BB261_1287 Depth=1
	s_add_u32 s24, s24, -1
	s_addc_u32 s25, s25, -1
	s_cmp_eq_u64 s[24:25], 0
	s_cselect_b64 s[42:43], -1, 0
	s_andn2_b64 s[22:23], s[22:23], exec
	s_and_b64 s[42:43], s[42:43], exec
	v_lshl_add_u64 v[4:5], v[4:5], 0, 1
	v_lshl_add_u64 v[6:7], v[6:7], 0, 1
	s_andn2_b64 s[26:27], s[26:27], exec
	s_or_b64 s[22:23], s[22:23], s[42:43]
                                        ; implicit-def: $sgpr42_sgpr43
	s_branch .LBB261_1286
.LBB261_1289:
	s_or_b64 exec, exec, s[18:19]
	s_xor_b64 s[18:19], s[20:21], -1
	s_branch .LBB261_1291
.LBB261_1290:
	s_mov_b64 s[18:19], -1
.LBB261_1291:
	s_andn2_b64 s[16:17], s[16:17], exec
	s_and_b64 s[18:19], s[18:19], exec
	s_or_b64 s[16:17], s[16:17], s[18:19]
.LBB261_1292:
	s_or_b64 exec, exec, s[2:3]
	v_cndmask_b32_e64 v4, v36, v23, s[16:17]
	v_cndmask_b32_e64 v5, v25, v24, s[16:17]
	v_add_u32_e32 v6, 1, v4
	v_add_u32_e32 v4, -1, v5
	v_min_u32_e32 v4, v6, v4
	v_lshl_add_u32 v4, v4, 3, v33
	ds_read_b64 v[4:5], v4
	v_cndmask_b32_e64 v8, v6, v36, s[16:17]
	v_cndmask_b32_e64 v9, v23, v6, s[16:17]
	v_cmp_lt_u32_e32 vcc, v8, v25
	s_mov_b64 s[18:19], -1
	s_waitcnt lgkmcnt(0)
	v_cndmask_b32_e64 v14, v5, v3, s[16:17]
	v_cndmask_b32_e64 v15, v4, v2, s[16:17]
	;; [unrolled: 1-line block ×4, first 2 shown]
	s_mov_b64 s[2:3], -1
	s_and_saveexec_b64 s[20:21], vcc
	s_cbranch_execz .LBB261_1303
; %bb.1293:
	v_cmp_lt_u32_e32 vcc, v9, v24
	s_mov_b64 s[22:23], 0
	s_and_saveexec_b64 s[2:3], vcc
	s_cbranch_execz .LBB261_1302
; %bb.1294:
	s_andn2_b64 vcc, exec, s[40:41]
	s_cbranch_vccnz .LBB261_1300
; %bb.1295:
	v_mov_b64_e32 v[6:7], s[38:39]
	v_mad_u64_u32 v[4:5], s[22:23], v15, s36, v[6:7]
	v_mul_lo_u32 v10, v15, s37
	v_mul_lo_u32 v11, v14, s36
	v_add3_u32 v5, v11, v5, v10
	v_mad_u64_u32 v[6:7], s[22:23], v22, s36, v[6:7]
	v_mul_lo_u32 v10, v22, s37
	v_mul_lo_u32 v11, v16, s36
	v_add3_u32 v7, v11, v7, v10
	s_mov_b64 s[22:23], 0
	s_mov_b64 s[42:43], s[36:37]
                                        ; implicit-def: $sgpr24_sgpr25
                                        ; implicit-def: $sgpr26_sgpr27
                                        ; implicit-def: $sgpr44_sgpr45
                                        ; implicit-def: $sgpr46_sgpr47
	s_branch .LBB261_1297
.LBB261_1296:                           ;   in Loop: Header=BB261_1297 Depth=1
	s_or_b64 exec, exec, s[50:51]
	s_and_b64 s[50:51], exec, s[26:27]
	s_or_b64 s[22:23], s[50:51], s[22:23]
	s_andn2_b64 s[46:47], s[46:47], exec
	s_and_b64 s[48:49], s[48:49], exec
	s_or_b64 s[46:47], s[46:47], s[48:49]
	s_andn2_b64 s[24:25], s[24:25], exec
	s_and_b64 s[48:49], s[44:45], exec
	s_or_b64 s[24:25], s[24:25], s[48:49]
	s_andn2_b64 exec, exec, s[22:23]
	s_cbranch_execz .LBB261_1299
.LBB261_1297:                           ; =>This Inner Loop Header: Depth=1
	global_load_ubyte v10, v[4:5], off
	global_load_ubyte v11, v[6:7], off
	s_andn2_b64 s[44:45], s[44:45], exec
	s_or_b64 s[26:27], s[26:27], exec
	s_waitcnt vmcnt(0)
	v_cmp_le_i16_sdwa s[50:51], sext(v10), sext(v11) src0_sel:BYTE_0 src1_sel:BYTE_0
	v_cmp_lt_i16_sdwa s[48:49], sext(v10), sext(v11) src0_sel:BYTE_0 src1_sel:BYTE_0
	s_and_b64 s[50:51], s[50:51], s[46:47]
	s_or_b64 s[48:49], s[48:49], s[50:51]
	s_and_b64 s[50:51], s[48:49], exec
	v_cmp_eq_u16_sdwa s[52:53], v10, v11 src0_sel:BYTE_0 src1_sel:BYTE_0
	s_or_b64 s[44:45], s[44:45], s[50:51]
	s_and_saveexec_b64 s[50:51], s[52:53]
	s_cbranch_execz .LBB261_1296
; %bb.1298:                             ;   in Loop: Header=BB261_1297 Depth=1
	s_add_u32 s42, s42, -1
	s_addc_u32 s43, s43, -1
	s_cmp_eq_u64 s[42:43], 0
	s_cselect_b64 s[46:47], -1, 0
	s_andn2_b64 s[26:27], s[26:27], exec
	s_and_b64 s[46:47], s[46:47], exec
	v_lshl_add_u64 v[4:5], v[4:5], 0, 1
	v_lshl_add_u64 v[6:7], v[6:7], 0, 1
	s_andn2_b64 s[44:45], s[44:45], exec
	s_or_b64 s[26:27], s[26:27], s[46:47]
                                        ; implicit-def: $sgpr46_sgpr47
	s_branch .LBB261_1296
.LBB261_1299:
	s_or_b64 exec, exec, s[22:23]
	s_xor_b64 s[22:23], s[24:25], -1
	s_branch .LBB261_1301
.LBB261_1300:
	s_mov_b64 s[22:23], -1
.LBB261_1301:
	s_and_b64 s[22:23], s[22:23], exec
.LBB261_1302:
	s_or_b64 exec, exec, s[2:3]
	s_orn2_b64 s[2:3], s[22:23], exec
.LBB261_1303:
	s_or_b64 exec, exec, s[20:21]
	v_cndmask_b32_e64 v4, v8, v9, s[2:3]
	v_cndmask_b32_e64 v5, v25, v24, s[2:3]
	v_add_u32_e32 v6, 1, v4
	v_add_u32_e32 v4, -1, v5
	v_min_u32_e32 v4, v6, v4
	v_lshl_add_u32 v4, v4, 3, v33
	ds_read_b64 v[4:5], v4
	v_cndmask_b32_e64 v8, v6, v8, s[2:3]
	v_cndmask_b32_e64 v9, v9, v6, s[2:3]
	v_cmp_lt_u32_e32 vcc, v8, v25
	s_waitcnt lgkmcnt(0)
	v_cndmask_b32_e64 v10, v5, v14, s[2:3]
	v_cndmask_b32_e64 v17, v4, v15, s[2:3]
	;; [unrolled: 1-line block ×4, first 2 shown]
	s_and_saveexec_b64 s[20:21], vcc
	s_cbranch_execz .LBB261_1314
; %bb.1304:
	v_cmp_lt_u32_e32 vcc, v9, v24
	s_mov_b64 s[22:23], 0
	s_and_saveexec_b64 s[18:19], vcc
	s_cbranch_execz .LBB261_1313
; %bb.1305:
	s_andn2_b64 vcc, exec, s[40:41]
	s_cbranch_vccnz .LBB261_1311
; %bb.1306:
	v_mov_b64_e32 v[6:7], s[38:39]
	v_mad_u64_u32 v[4:5], s[22:23], v17, s36, v[6:7]
	v_mul_lo_u32 v12, v17, s37
	v_mul_lo_u32 v13, v10, s36
	v_add3_u32 v5, v13, v5, v12
	v_mad_u64_u32 v[6:7], s[22:23], v23, s36, v[6:7]
	v_mul_lo_u32 v12, v23, s37
	v_mul_lo_u32 v13, v11, s36
	v_add3_u32 v7, v13, v7, v12
	s_mov_b64 s[22:23], 0
	s_mov_b64 s[42:43], s[36:37]
                                        ; implicit-def: $sgpr24_sgpr25
                                        ; implicit-def: $sgpr26_sgpr27
                                        ; implicit-def: $sgpr44_sgpr45
                                        ; implicit-def: $sgpr46_sgpr47
	s_branch .LBB261_1308
.LBB261_1307:                           ;   in Loop: Header=BB261_1308 Depth=1
	s_or_b64 exec, exec, s[50:51]
	s_and_b64 s[50:51], exec, s[26:27]
	s_or_b64 s[22:23], s[50:51], s[22:23]
	s_andn2_b64 s[46:47], s[46:47], exec
	s_and_b64 s[48:49], s[48:49], exec
	s_or_b64 s[46:47], s[46:47], s[48:49]
	s_andn2_b64 s[24:25], s[24:25], exec
	s_and_b64 s[48:49], s[44:45], exec
	s_or_b64 s[24:25], s[24:25], s[48:49]
	s_andn2_b64 exec, exec, s[22:23]
	s_cbranch_execz .LBB261_1310
.LBB261_1308:                           ; =>This Inner Loop Header: Depth=1
	global_load_ubyte v12, v[4:5], off
	global_load_ubyte v13, v[6:7], off
	s_andn2_b64 s[44:45], s[44:45], exec
	s_or_b64 s[26:27], s[26:27], exec
	s_waitcnt vmcnt(0)
	v_cmp_le_i16_sdwa s[50:51], sext(v12), sext(v13) src0_sel:BYTE_0 src1_sel:BYTE_0
	v_cmp_lt_i16_sdwa s[48:49], sext(v12), sext(v13) src0_sel:BYTE_0 src1_sel:BYTE_0
	s_and_b64 s[50:51], s[50:51], s[46:47]
	s_or_b64 s[48:49], s[48:49], s[50:51]
	s_and_b64 s[50:51], s[48:49], exec
	v_cmp_eq_u16_sdwa s[52:53], v12, v13 src0_sel:BYTE_0 src1_sel:BYTE_0
	s_or_b64 s[44:45], s[44:45], s[50:51]
	s_and_saveexec_b64 s[50:51], s[52:53]
	s_cbranch_execz .LBB261_1307
; %bb.1309:                             ;   in Loop: Header=BB261_1308 Depth=1
	s_add_u32 s42, s42, -1
	s_addc_u32 s43, s43, -1
	s_cmp_eq_u64 s[42:43], 0
	s_cselect_b64 s[46:47], -1, 0
	s_andn2_b64 s[26:27], s[26:27], exec
	s_and_b64 s[46:47], s[46:47], exec
	v_lshl_add_u64 v[4:5], v[4:5], 0, 1
	v_lshl_add_u64 v[6:7], v[6:7], 0, 1
	s_andn2_b64 s[44:45], s[44:45], exec
	s_or_b64 s[26:27], s[26:27], s[46:47]
                                        ; implicit-def: $sgpr46_sgpr47
	s_branch .LBB261_1307
.LBB261_1310:
	s_or_b64 exec, exec, s[22:23]
	s_xor_b64 s[22:23], s[24:25], -1
	s_branch .LBB261_1312
.LBB261_1311:
	s_mov_b64 s[22:23], -1
.LBB261_1312:
	s_and_b64 s[22:23], s[22:23], exec
.LBB261_1313:
	s_or_b64 exec, exec, s[18:19]
	s_orn2_b64 s[18:19], s[22:23], exec
.LBB261_1314:
	s_or_b64 exec, exec, s[20:21]
	v_cndmask_b32_e64 v4, v8, v9, s[18:19]
	v_cndmask_b32_e64 v5, v25, v24, s[18:19]
	v_add_u32_e32 v6, 1, v4
	v_add_u32_e32 v4, -1, v5
	v_min_u32_e32 v4, v6, v4
	v_lshl_add_u32 v4, v4, 3, v33
	ds_read_b64 v[4:5], v4
	v_cndmask_b32_e64 v8, v6, v8, s[18:19]
	v_cndmask_b32_e64 v9, v9, v6, s[18:19]
	v_cmp_lt_u32_e32 vcc, v8, v25
	s_mov_b64 s[22:23], -1
	s_waitcnt lgkmcnt(0)
	v_cndmask_b32_e64 v12, v5, v10, s[18:19]
	v_cndmask_b32_e64 v34, v4, v17, s[18:19]
	;; [unrolled: 1-line block ×4, first 2 shown]
	s_mov_b64 s[20:21], -1
	s_and_saveexec_b64 s[24:25], vcc
	s_cbranch_execz .LBB261_1325
; %bb.1315:
	v_cmp_lt_u32_e32 vcc, v9, v24
	s_mov_b64 s[26:27], 0
	s_and_saveexec_b64 s[20:21], vcc
	s_cbranch_execz .LBB261_1324
; %bb.1316:
	s_andn2_b64 vcc, exec, s[40:41]
	s_cbranch_vccnz .LBB261_1322
; %bb.1317:
	v_mov_b64_e32 v[6:7], s[38:39]
	v_mad_u64_u32 v[4:5], s[26:27], v34, s36, v[6:7]
	v_mul_lo_u32 v36, v34, s37
	v_mul_lo_u32 v37, v12, s36
	v_add3_u32 v5, v37, v5, v36
	v_mad_u64_u32 v[6:7], s[26:27], v35, s36, v[6:7]
	v_mul_lo_u32 v36, v35, s37
	v_mul_lo_u32 v37, v13, s36
	v_add3_u32 v7, v37, v7, v36
	s_mov_b64 s[26:27], 0
	s_mov_b64 s[46:47], s[36:37]
                                        ; implicit-def: $sgpr42_sgpr43
                                        ; implicit-def: $sgpr44_sgpr45
                                        ; implicit-def: $sgpr48_sgpr49
                                        ; implicit-def: $sgpr50_sgpr51
	s_branch .LBB261_1319
.LBB261_1318:                           ;   in Loop: Header=BB261_1319 Depth=1
	s_or_b64 exec, exec, s[54:55]
	s_and_b64 s[54:55], exec, s[44:45]
	s_or_b64 s[26:27], s[54:55], s[26:27]
	s_andn2_b64 s[50:51], s[50:51], exec
	s_and_b64 s[52:53], s[52:53], exec
	s_or_b64 s[50:51], s[50:51], s[52:53]
	s_andn2_b64 s[42:43], s[42:43], exec
	s_and_b64 s[52:53], s[48:49], exec
	s_or_b64 s[42:43], s[42:43], s[52:53]
	s_andn2_b64 exec, exec, s[26:27]
	s_cbranch_execz .LBB261_1321
.LBB261_1319:                           ; =>This Inner Loop Header: Depth=1
	global_load_ubyte v36, v[4:5], off
	global_load_ubyte v37, v[6:7], off
	s_andn2_b64 s[48:49], s[48:49], exec
	s_or_b64 s[44:45], s[44:45], exec
	s_waitcnt vmcnt(0)
	v_cmp_le_i16_sdwa s[54:55], sext(v36), sext(v37) src0_sel:BYTE_0 src1_sel:BYTE_0
	v_cmp_lt_i16_sdwa s[52:53], sext(v36), sext(v37) src0_sel:BYTE_0 src1_sel:BYTE_0
	s_and_b64 s[54:55], s[54:55], s[50:51]
	s_or_b64 s[52:53], s[52:53], s[54:55]
	s_and_b64 s[54:55], s[52:53], exec
	v_cmp_eq_u16_sdwa s[56:57], v36, v37 src0_sel:BYTE_0 src1_sel:BYTE_0
	s_or_b64 s[48:49], s[48:49], s[54:55]
	s_and_saveexec_b64 s[54:55], s[56:57]
	s_cbranch_execz .LBB261_1318
; %bb.1320:                             ;   in Loop: Header=BB261_1319 Depth=1
	s_add_u32 s46, s46, -1
	s_addc_u32 s47, s47, -1
	s_cmp_eq_u64 s[46:47], 0
	s_cselect_b64 s[50:51], -1, 0
	s_andn2_b64 s[44:45], s[44:45], exec
	s_and_b64 s[50:51], s[50:51], exec
	v_lshl_add_u64 v[4:5], v[4:5], 0, 1
	v_lshl_add_u64 v[6:7], v[6:7], 0, 1
	s_andn2_b64 s[48:49], s[48:49], exec
	s_or_b64 s[44:45], s[44:45], s[50:51]
                                        ; implicit-def: $sgpr50_sgpr51
	s_branch .LBB261_1318
.LBB261_1321:
	s_or_b64 exec, exec, s[26:27]
	s_xor_b64 s[26:27], s[42:43], -1
	s_branch .LBB261_1323
.LBB261_1322:
	s_mov_b64 s[26:27], -1
.LBB261_1323:
	s_and_b64 s[26:27], s[26:27], exec
.LBB261_1324:
	s_or_b64 exec, exec, s[20:21]
	s_orn2_b64 s[20:21], s[26:27], exec
.LBB261_1325:
	s_or_b64 exec, exec, s[24:25]
	v_cndmask_b32_e64 v4, v8, v9, s[20:21]
	v_cndmask_b32_e64 v5, v25, v24, s[20:21]
	v_add_u32_e32 v6, 1, v4
	v_add_u32_e32 v4, -1, v5
	v_min_u32_e32 v4, v6, v4
	v_lshl_add_u32 v4, v4, 3, v33
	ds_read_b64 v[4:5], v4
	v_cndmask_b32_e64 v42, v6, v8, s[20:21]
	v_cndmask_b32_e64 v43, v9, v6, s[20:21]
	v_cmp_lt_u32_e32 vcc, v42, v25
	s_waitcnt lgkmcnt(0)
	v_cndmask_b32_e64 v36, v5, v12, s[20:21]
	v_cndmask_b32_e64 v37, v4, v34, s[20:21]
	;; [unrolled: 1-line block ×4, first 2 shown]
	s_and_saveexec_b64 s[24:25], vcc
	s_cbranch_execz .LBB261_1336
; %bb.1326:
	v_cmp_lt_u32_e32 vcc, v43, v24
	s_mov_b64 s[26:27], 0
	s_and_saveexec_b64 s[22:23], vcc
	s_cbranch_execz .LBB261_1335
; %bb.1327:
	s_andn2_b64 vcc, exec, s[40:41]
	s_cbranch_vccnz .LBB261_1333
; %bb.1328:
	v_mov_b64_e32 v[6:7], s[38:39]
	v_mad_u64_u32 v[4:5], s[26:27], v37, s36, v[6:7]
	v_mul_lo_u32 v8, v37, s37
	v_mul_lo_u32 v9, v36, s36
	v_add3_u32 v5, v9, v5, v8
	v_mad_u64_u32 v[6:7], s[26:27], v39, s36, v[6:7]
	v_mul_lo_u32 v8, v39, s37
	v_mul_lo_u32 v9, v38, s36
	v_add3_u32 v7, v9, v7, v8
	s_mov_b64 s[26:27], 0
	s_mov_b64 s[46:47], s[36:37]
                                        ; implicit-def: $sgpr42_sgpr43
                                        ; implicit-def: $sgpr44_sgpr45
                                        ; implicit-def: $sgpr48_sgpr49
                                        ; implicit-def: $sgpr50_sgpr51
	s_branch .LBB261_1330
.LBB261_1329:                           ;   in Loop: Header=BB261_1330 Depth=1
	s_or_b64 exec, exec, s[54:55]
	s_and_b64 s[54:55], exec, s[44:45]
	s_or_b64 s[26:27], s[54:55], s[26:27]
	s_andn2_b64 s[50:51], s[50:51], exec
	s_and_b64 s[52:53], s[52:53], exec
	s_or_b64 s[50:51], s[50:51], s[52:53]
	s_andn2_b64 s[42:43], s[42:43], exec
	s_and_b64 s[52:53], s[48:49], exec
	s_or_b64 s[42:43], s[42:43], s[52:53]
	s_andn2_b64 exec, exec, s[26:27]
	s_cbranch_execz .LBB261_1332
.LBB261_1330:                           ; =>This Inner Loop Header: Depth=1
	global_load_ubyte v8, v[4:5], off
	global_load_ubyte v9, v[6:7], off
	s_andn2_b64 s[48:49], s[48:49], exec
	s_or_b64 s[44:45], s[44:45], exec
	s_waitcnt vmcnt(0)
	v_cmp_le_i16_sdwa s[54:55], sext(v8), sext(v9) src0_sel:BYTE_0 src1_sel:BYTE_0
	v_cmp_lt_i16_sdwa s[52:53], sext(v8), sext(v9) src0_sel:BYTE_0 src1_sel:BYTE_0
	s_and_b64 s[54:55], s[54:55], s[50:51]
	s_or_b64 s[52:53], s[52:53], s[54:55]
	s_and_b64 s[54:55], s[52:53], exec
	v_cmp_eq_u16_sdwa s[56:57], v8, v9 src0_sel:BYTE_0 src1_sel:BYTE_0
	s_or_b64 s[48:49], s[48:49], s[54:55]
	s_and_saveexec_b64 s[54:55], s[56:57]
	s_cbranch_execz .LBB261_1329
; %bb.1331:                             ;   in Loop: Header=BB261_1330 Depth=1
	s_add_u32 s46, s46, -1
	s_addc_u32 s47, s47, -1
	s_cmp_eq_u64 s[46:47], 0
	s_cselect_b64 s[50:51], -1, 0
	s_andn2_b64 s[44:45], s[44:45], exec
	s_and_b64 s[50:51], s[50:51], exec
	v_lshl_add_u64 v[4:5], v[4:5], 0, 1
	v_lshl_add_u64 v[6:7], v[6:7], 0, 1
	s_andn2_b64 s[48:49], s[48:49], exec
	s_or_b64 s[44:45], s[44:45], s[50:51]
                                        ; implicit-def: $sgpr50_sgpr51
	s_branch .LBB261_1329
.LBB261_1332:
	s_or_b64 exec, exec, s[26:27]
	s_xor_b64 s[26:27], s[42:43], -1
	s_branch .LBB261_1334
.LBB261_1333:
	s_mov_b64 s[26:27], -1
.LBB261_1334:
	s_and_b64 s[26:27], s[26:27], exec
.LBB261_1335:
	s_or_b64 exec, exec, s[22:23]
	s_orn2_b64 s[22:23], s[26:27], exec
.LBB261_1336:
	s_or_b64 exec, exec, s[24:25]
	v_cndmask_b32_e64 v4, v42, v43, s[22:23]
	v_cndmask_b32_e64 v5, v25, v24, s[22:23]
	v_add_u32_e32 v6, 1, v4
	v_add_u32_e32 v4, -1, v5
	v_min_u32_e32 v4, v6, v4
	v_lshl_add_u32 v4, v4, 3, v33
	ds_read_b64 v[4:5], v4
	v_cndmask_b32_e64 v44, v6, v42, s[22:23]
	v_cndmask_b32_e64 v48, v43, v6, s[22:23]
	v_cmp_lt_u32_e32 vcc, v44, v25
	s_mov_b64 s[24:25], -1
	s_waitcnt lgkmcnt(0)
	v_cndmask_b32_e64 v8, v5, v36, s[22:23]
	v_cndmask_b32_e64 v40, v4, v37, s[22:23]
	;; [unrolled: 1-line block ×4, first 2 shown]
	s_mov_b64 s[26:27], -1
	s_and_saveexec_b64 s[42:43], vcc
	s_cbranch_execz .LBB261_1347
; %bb.1337:
	v_cmp_lt_u32_e32 vcc, v48, v24
	s_mov_b64 s[44:45], 0
	s_and_saveexec_b64 s[26:27], vcc
	s_cbranch_execz .LBB261_1346
; %bb.1338:
	s_andn2_b64 vcc, exec, s[40:41]
	s_cbranch_vccnz .LBB261_1344
; %bb.1339:
	v_mov_b64_e32 v[6:7], s[38:39]
	v_mad_u64_u32 v[4:5], s[44:45], v40, s36, v[6:7]
	v_mul_lo_u32 v42, v40, s37
	v_mul_lo_u32 v43, v8, s36
	v_add3_u32 v5, v43, v5, v42
	v_mad_u64_u32 v[6:7], s[44:45], v41, s36, v[6:7]
	v_mul_lo_u32 v42, v41, s37
	v_mul_lo_u32 v43, v9, s36
	v_add3_u32 v7, v43, v7, v42
	s_mov_b64 s[44:45], 0
	s_mov_b64 s[50:51], s[36:37]
                                        ; implicit-def: $sgpr46_sgpr47
                                        ; implicit-def: $sgpr48_sgpr49
                                        ; implicit-def: $sgpr52_sgpr53
                                        ; implicit-def: $sgpr54_sgpr55
	s_branch .LBB261_1341
.LBB261_1340:                           ;   in Loop: Header=BB261_1341 Depth=1
	s_or_b64 exec, exec, s[58:59]
	s_and_b64 s[58:59], exec, s[48:49]
	s_or_b64 s[44:45], s[58:59], s[44:45]
	s_andn2_b64 s[54:55], s[54:55], exec
	s_and_b64 s[56:57], s[56:57], exec
	s_or_b64 s[54:55], s[54:55], s[56:57]
	s_andn2_b64 s[46:47], s[46:47], exec
	s_and_b64 s[56:57], s[52:53], exec
	s_or_b64 s[46:47], s[46:47], s[56:57]
	s_andn2_b64 exec, exec, s[44:45]
	s_cbranch_execz .LBB261_1343
.LBB261_1341:                           ; =>This Inner Loop Header: Depth=1
	global_load_ubyte v42, v[4:5], off
	global_load_ubyte v43, v[6:7], off
	s_andn2_b64 s[52:53], s[52:53], exec
	s_or_b64 s[48:49], s[48:49], exec
	s_waitcnt vmcnt(0)
	v_cmp_le_i16_sdwa s[58:59], sext(v42), sext(v43) src0_sel:BYTE_0 src1_sel:BYTE_0
	v_cmp_lt_i16_sdwa s[56:57], sext(v42), sext(v43) src0_sel:BYTE_0 src1_sel:BYTE_0
	s_and_b64 s[58:59], s[58:59], s[54:55]
	s_or_b64 s[56:57], s[56:57], s[58:59]
	s_and_b64 s[58:59], s[56:57], exec
	v_cmp_eq_u16_sdwa s[60:61], v42, v43 src0_sel:BYTE_0 src1_sel:BYTE_0
	s_or_b64 s[52:53], s[52:53], s[58:59]
	s_and_saveexec_b64 s[58:59], s[60:61]
	s_cbranch_execz .LBB261_1340
; %bb.1342:                             ;   in Loop: Header=BB261_1341 Depth=1
	s_add_u32 s50, s50, -1
	s_addc_u32 s51, s51, -1
	s_cmp_eq_u64 s[50:51], 0
	s_cselect_b64 s[54:55], -1, 0
	s_andn2_b64 s[48:49], s[48:49], exec
	s_and_b64 s[54:55], s[54:55], exec
	v_lshl_add_u64 v[4:5], v[4:5], 0, 1
	v_lshl_add_u64 v[6:7], v[6:7], 0, 1
	s_andn2_b64 s[52:53], s[52:53], exec
	s_or_b64 s[48:49], s[48:49], s[54:55]
                                        ; implicit-def: $sgpr54_sgpr55
	s_branch .LBB261_1340
.LBB261_1343:
	s_or_b64 exec, exec, s[44:45]
	s_xor_b64 s[44:45], s[46:47], -1
	s_branch .LBB261_1345
.LBB261_1344:
	s_mov_b64 s[44:45], -1
.LBB261_1345:
	s_and_b64 s[44:45], s[44:45], exec
.LBB261_1346:
	s_or_b64 exec, exec, s[26:27]
	s_orn2_b64 s[26:27], s[44:45], exec
.LBB261_1347:
	s_or_b64 exec, exec, s[42:43]
	v_cndmask_b32_e64 v4, v44, v48, s[26:27]
	v_cndmask_b32_e64 v5, v25, v24, s[26:27]
	v_add_u32_e32 v6, 1, v4
	v_add_u32_e32 v4, -1, v5
	v_min_u32_e32 v4, v6, v4
	v_lshl_add_u32 v4, v4, 3, v33
	ds_read_b64 v[4:5], v4
	v_cndmask_b32_e64 v45, v6, v44, s[26:27]
	v_cndmask_b32_e64 v44, v48, v6, s[26:27]
	v_cmp_lt_u32_e32 vcc, v45, v25
	s_waitcnt lgkmcnt(0)
	v_cndmask_b32_e64 v42, v5, v8, s[26:27]
	v_cndmask_b32_e64 v43, v4, v40, s[26:27]
	;; [unrolled: 1-line block ×4, first 2 shown]
	s_and_saveexec_b64 s[42:43], vcc
	s_cbranch_execz .LBB261_1358
; %bb.1348:
	v_cmp_lt_u32_e32 vcc, v44, v24
	s_mov_b64 s[44:45], 0
	s_and_saveexec_b64 s[24:25], vcc
	s_cbranch_execz .LBB261_1357
; %bb.1349:
	s_andn2_b64 vcc, exec, s[40:41]
	s_cbranch_vccnz .LBB261_1355
; %bb.1350:
	v_mov_b64_e32 v[6:7], s[38:39]
	v_mad_u64_u32 v[4:5], s[44:45], v43, s36, v[6:7]
	v_mul_lo_u32 v48, v43, s37
	v_mul_lo_u32 v49, v42, s36
	v_add3_u32 v5, v49, v5, v48
	v_mad_u64_u32 v[6:7], s[44:45], v47, s36, v[6:7]
	v_mul_lo_u32 v48, v47, s37
	v_mul_lo_u32 v49, v46, s36
	v_add3_u32 v7, v49, v7, v48
	s_mov_b64 s[44:45], 0
	s_mov_b64 s[50:51], s[36:37]
                                        ; implicit-def: $sgpr46_sgpr47
                                        ; implicit-def: $sgpr48_sgpr49
                                        ; implicit-def: $sgpr52_sgpr53
                                        ; implicit-def: $sgpr54_sgpr55
	s_branch .LBB261_1352
.LBB261_1351:                           ;   in Loop: Header=BB261_1352 Depth=1
	s_or_b64 exec, exec, s[58:59]
	s_and_b64 s[58:59], exec, s[48:49]
	s_or_b64 s[44:45], s[58:59], s[44:45]
	s_andn2_b64 s[54:55], s[54:55], exec
	s_and_b64 s[56:57], s[56:57], exec
	s_or_b64 s[54:55], s[54:55], s[56:57]
	s_andn2_b64 s[46:47], s[46:47], exec
	s_and_b64 s[56:57], s[52:53], exec
	s_or_b64 s[46:47], s[46:47], s[56:57]
	s_andn2_b64 exec, exec, s[44:45]
	s_cbranch_execz .LBB261_1354
.LBB261_1352:                           ; =>This Inner Loop Header: Depth=1
	global_load_ubyte v48, v[4:5], off
	global_load_ubyte v49, v[6:7], off
	s_andn2_b64 s[52:53], s[52:53], exec
	s_or_b64 s[48:49], s[48:49], exec
	s_waitcnt vmcnt(0)
	v_cmp_le_i16_sdwa s[58:59], sext(v48), sext(v49) src0_sel:BYTE_0 src1_sel:BYTE_0
	v_cmp_lt_i16_sdwa s[56:57], sext(v48), sext(v49) src0_sel:BYTE_0 src1_sel:BYTE_0
	s_and_b64 s[58:59], s[58:59], s[54:55]
	s_or_b64 s[56:57], s[56:57], s[58:59]
	s_and_b64 s[58:59], s[56:57], exec
	v_cmp_eq_u16_sdwa s[60:61], v48, v49 src0_sel:BYTE_0 src1_sel:BYTE_0
	s_or_b64 s[52:53], s[52:53], s[58:59]
	s_and_saveexec_b64 s[58:59], s[60:61]
	s_cbranch_execz .LBB261_1351
; %bb.1353:                             ;   in Loop: Header=BB261_1352 Depth=1
	s_add_u32 s50, s50, -1
	s_addc_u32 s51, s51, -1
	s_cmp_eq_u64 s[50:51], 0
	s_cselect_b64 s[54:55], -1, 0
	s_andn2_b64 s[48:49], s[48:49], exec
	s_and_b64 s[54:55], s[54:55], exec
	v_lshl_add_u64 v[4:5], v[4:5], 0, 1
	v_lshl_add_u64 v[6:7], v[6:7], 0, 1
	s_andn2_b64 s[52:53], s[52:53], exec
	s_or_b64 s[48:49], s[48:49], s[54:55]
                                        ; implicit-def: $sgpr54_sgpr55
	s_branch .LBB261_1351
.LBB261_1354:
	s_or_b64 exec, exec, s[44:45]
	s_xor_b64 s[44:45], s[46:47], -1
	s_branch .LBB261_1356
.LBB261_1355:
	s_mov_b64 s[44:45], -1
.LBB261_1356:
	s_and_b64 s[44:45], s[44:45], exec
.LBB261_1357:
	s_or_b64 exec, exec, s[24:25]
	s_orn2_b64 s[24:25], s[44:45], exec
.LBB261_1358:
	s_or_b64 exec, exec, s[42:43]
	v_cndmask_b32_e64 v4, v45, v44, s[24:25]
	v_cndmask_b32_e64 v5, v25, v24, s[24:25]
	;; [unrolled: 1-line block ×4, first 2 shown]
	v_add_u32_e32 v34, 1, v4
	v_add_u32_e32 v4, -1, v5
	v_min_u32_e32 v4, v34, v4
	v_lshl_add_u32 v4, v4, 3, v33
	v_cndmask_b32_e64 v11, v10, v11, s[18:19]
	v_cndmask_b32_e64 v10, v17, v23, s[18:19]
	;; [unrolled: 1-line block ×4, first 2 shown]
	ds_read_b64 v[22:23], v4
	v_cndmask_b32_e64 v14, v2, v0, s[16:17]
	v_cndmask_b32_e64 v0, v34, v45, s[24:25]
	;; [unrolled: 1-line block ×9, first 2 shown]
	s_waitcnt lgkmcnt(0)
	v_cndmask_b32_e64 v5, v46, v23, s[24:25]
	v_cndmask_b32_e64 v4, v47, v22, s[24:25]
	v_cmp_lt_u32_e32 vcc, v0, v25
	s_and_saveexec_b64 s[2:3], vcc
	s_cbranch_execz .LBB261_1368
; %bb.1359:
	v_cndmask_b32_e64 v0, v22, v43, s[24:25]
	v_cndmask_b32_e64 v22, v44, v34, s[24:25]
	;; [unrolled: 1-line block ×3, first 2 shown]
	v_cmp_lt_u32_e32 vcc, v22, v24
	s_and_saveexec_b64 s[16:17], vcc
	s_cbranch_execz .LBB261_1367
; %bb.1360:
	s_andn2_b64 vcc, exec, s[40:41]
	s_cbranch_vccnz .LBB261_1366
; %bb.1361:
	v_mov_b64_e32 v[24:25], s[38:39]
	v_mad_u64_u32 v[22:23], s[18:19], v0, s36, v[24:25]
	v_mul_lo_u32 v33, v0, s37
	v_mul_lo_u32 v34, v1, s36
	v_add3_u32 v23, v34, v23, v33
	v_mad_u64_u32 v[24:25], s[18:19], v4, s36, v[24:25]
	v_mul_lo_u32 v33, v4, s37
	v_mul_lo_u32 v34, v5, s36
	v_add3_u32 v25, v34, v25, v33
	s_mov_b64 s[18:19], 0
	s_mov_b64 s[24:25], s[36:37]
                                        ; implicit-def: $sgpr20_sgpr21
                                        ; implicit-def: $sgpr22_sgpr23
                                        ; implicit-def: $sgpr26_sgpr27
                                        ; implicit-def: $sgpr42_sgpr43
	s_branch .LBB261_1363
.LBB261_1362:                           ;   in Loop: Header=BB261_1363 Depth=1
	s_or_b64 exec, exec, s[46:47]
	s_and_b64 s[46:47], exec, s[22:23]
	s_or_b64 s[18:19], s[46:47], s[18:19]
	s_andn2_b64 s[42:43], s[42:43], exec
	s_and_b64 s[44:45], s[44:45], exec
	s_or_b64 s[42:43], s[42:43], s[44:45]
	s_andn2_b64 s[20:21], s[20:21], exec
	s_and_b64 s[44:45], s[26:27], exec
	s_or_b64 s[20:21], s[20:21], s[44:45]
	s_andn2_b64 exec, exec, s[18:19]
	s_cbranch_execz .LBB261_1365
.LBB261_1363:                           ; =>This Inner Loop Header: Depth=1
	global_load_ubyte v33, v[22:23], off
	global_load_ubyte v34, v[24:25], off
	s_andn2_b64 s[26:27], s[26:27], exec
	s_or_b64 s[22:23], s[22:23], exec
	s_waitcnt vmcnt(0)
	v_cmp_le_i16_sdwa s[46:47], sext(v33), sext(v34) src0_sel:BYTE_0 src1_sel:BYTE_0
	v_cmp_lt_i16_sdwa s[44:45], sext(v33), sext(v34) src0_sel:BYTE_0 src1_sel:BYTE_0
	s_and_b64 s[46:47], s[46:47], s[42:43]
	s_or_b64 s[44:45], s[44:45], s[46:47]
	s_and_b64 s[46:47], s[44:45], exec
	v_cmp_eq_u16_sdwa s[48:49], v33, v34 src0_sel:BYTE_0 src1_sel:BYTE_0
	s_or_b64 s[26:27], s[26:27], s[46:47]
	s_and_saveexec_b64 s[46:47], s[48:49]
	s_cbranch_execz .LBB261_1362
; %bb.1364:                             ;   in Loop: Header=BB261_1363 Depth=1
	s_add_u32 s24, s24, -1
	s_addc_u32 s25, s25, -1
	s_cmp_eq_u64 s[24:25], 0
	s_cselect_b64 s[42:43], -1, 0
	s_andn2_b64 s[22:23], s[22:23], exec
	s_and_b64 s[42:43], s[42:43], exec
	v_lshl_add_u64 v[22:23], v[22:23], 0, 1
	v_lshl_add_u64 v[24:25], v[24:25], 0, 1
	s_andn2_b64 s[26:27], s[26:27], exec
	s_or_b64 s[22:23], s[22:23], s[42:43]
                                        ; implicit-def: $sgpr42_sgpr43
	s_branch .LBB261_1362
.LBB261_1365:
	s_or_b64 exec, exec, s[18:19]
	v_cndmask_b32_e64 v5, v5, v1, s[20:21]
	v_cndmask_b32_e64 v4, v4, v0, s[20:21]
.LBB261_1366:
	v_mov_b64_e32 v[0:1], v[4:5]
.LBB261_1367:
	s_or_b64 exec, exec, s[16:17]
	v_mov_b64_e32 v[4:5], v[0:1]
.LBB261_1368:
	s_or_b64 exec, exec, s[2:3]
.LBB261_1369:
	s_or_b64 exec, exec, s[14:15]
	s_cmpk_lt_u32 s33, 0x81
	; wave barrier
	s_waitcnt lgkmcnt(0)
	s_barrier
	s_cbranch_scc1 .LBB261_1473
; %bb.1370:
	v_cndmask_b32_e64 v0, 0, 1, s[40:41]
	v_lshlrev_b32_e32 v24, 3, v20
	s_movk_i32 s62, 0x80
	v_cmp_ne_u32_e64 s[14:15], 1, v0
	s_branch .LBB261_1376
.LBB261_1371:                           ;   in Loop: Header=BB261_1376 Depth=1
	s_or_b64 exec, exec, s[46:47]
	v_cndmask_b32_e64 v5, v5, v7, s[48:49]
	v_cndmask_b32_e64 v4, v4, v6, s[48:49]
.LBB261_1372:                           ;   in Loop: Header=BB261_1376 Depth=1
	v_mov_b64_e32 v[6:7], v[4:5]
.LBB261_1373:                           ;   in Loop: Header=BB261_1376 Depth=1
	s_or_b64 exec, exec, s[44:45]
	v_mov_b64_e32 v[4:5], v[6:7]
.LBB261_1374:                           ;   in Loop: Header=BB261_1376 Depth=1
	s_or_b64 exec, exec, s[42:43]
	v_cndmask_b32_e64 v9, v42, v44, s[40:41]
	v_cndmask_b32_e64 v8, v43, v45, s[40:41]
	;; [unrolled: 1-line block ×14, first 2 shown]
.LBB261_1375:                           ;   in Loop: Header=BB261_1376 Depth=1
	s_or_b64 exec, exec, s[16:17]
	s_cmp_lt_u32 s62, s33
	s_barrier
	s_cbranch_scc0 .LBB261_1473
.LBB261_1376:                           ; =>This Loop Header: Depth=1
                                        ;     Child Loop BB261_1380 Depth 2
                                        ;       Child Loop BB261_1383 Depth 3
                                        ;     Child Loop BB261_1395 Depth 2
                                        ;     Child Loop BB261_1405 Depth 2
	;; [unrolled: 1-line block ×8, first 2 shown]
	s_mov_b32 s2, s62
	s_lshl_b32 s62, s62, 1
	s_sub_i32 s16, 0, s62
	v_and_b32_e32 v36, s16, v20
	v_add_u32_e32 v0, s2, v36
	v_min_u32_e32 v25, s33, v0
	s_add_i32 s3, s62, -1
	v_add_u32_e32 v0, s2, v25
	v_min_u32_e32 v33, s33, v0
	v_and_b32_e32 v0, s3, v20
	v_min_u32_e32 v37, s33, v0
	v_sub_u32_e32 v0, v25, v36
	v_sub_u32_e32 v1, v33, v25
	v_sub_u32_e64 v35, v37, v1 clamp
	v_min_u32_e32 v38, v37, v0
	v_lshlrev_b32_e32 v34, 3, v36
	v_cmp_lt_u32_e32 vcc, v35, v38
	ds_write_b128 v24, v[14:17]
	ds_write_b128 v24, v[10:13] offset:16
	ds_write_b128 v24, v[6:9] offset:32
	;; [unrolled: 1-line block ×3, first 2 shown]
	s_waitcnt lgkmcnt(0)
	s_barrier
	s_and_saveexec_b64 s[2:3], vcc
	s_cbranch_execz .LBB261_1386
; %bb.1377:                             ;   in Loop: Header=BB261_1376 Depth=1
	v_lshlrev_b32_e32 v0, 3, v37
	v_lshl_add_u32 v39, v25, 3, v0
	s_mov_b64 s[16:17], 0
	s_branch .LBB261_1380
.LBB261_1378:                           ;   in Loop: Header=BB261_1380 Depth=2
	s_or_b64 exec, exec, s[20:21]
.LBB261_1379:                           ;   in Loop: Header=BB261_1380 Depth=2
	v_add_u32_e32 v0, 1, v40
	v_cndmask_b32_e64 v38, v38, v40, s[18:19]
	v_cndmask_b32_e64 v35, v0, v35, s[18:19]
	v_cmp_ge_u32_e32 vcc, v35, v38
	s_or_b64 s[16:17], vcc, s[16:17]
	s_andn2_b64 exec, exec, s[16:17]
	s_cbranch_execz .LBB261_1385
.LBB261_1380:                           ;   Parent Loop BB261_1376 Depth=1
                                        ; =>  This Loop Header: Depth=2
                                        ;       Child Loop BB261_1383 Depth 3
	v_add_u32_e32 v0, v38, v35
	v_lshrrev_b32_e32 v40, 1, v0
	s_and_b64 vcc, exec, s[14:15]
	s_mov_b64 s[18:19], 0
	s_cbranch_vccnz .LBB261_1379
; %bb.1381:                             ;   in Loop: Header=BB261_1380 Depth=2
	v_not_b32_e32 v0, v40
	v_lshl_add_u32 v0, v0, 3, v39
	ds_read_b64 v[0:1], v0
	v_lshl_add_u32 v41, v40, 3, v34
	ds_read_b64 v[42:43], v41
	v_mov_b64_e32 v[22:23], s[38:39]
	s_mov_b64 s[20:21], 0
	s_waitcnt lgkmcnt(1)
	v_mul_lo_u32 v41, v0, s37
	v_mul_lo_u32 v44, v1, s36
	v_mad_u64_u32 v[0:1], s[18:19], v0, s36, v[22:23]
	v_add3_u32 v1, v44, v1, v41
	s_waitcnt lgkmcnt(0)
	v_mul_lo_u32 v41, v42, s37
	v_mul_lo_u32 v43, v43, s36
	v_mad_u64_u32 v[22:23], s[18:19], v42, s36, v[22:23]
	v_add3_u32 v23, v43, v23, v41
	s_mov_b64 s[24:25], s[36:37]
                                        ; implicit-def: $sgpr18_sgpr19
                                        ; implicit-def: $sgpr22_sgpr23
                                        ; implicit-def: $sgpr26_sgpr27
                                        ; implicit-def: $sgpr40_sgpr41
	s_branch .LBB261_1383
.LBB261_1382:                           ;   in Loop: Header=BB261_1383 Depth=3
	s_or_b64 exec, exec, s[44:45]
	s_and_b64 s[44:45], exec, s[22:23]
	s_or_b64 s[20:21], s[44:45], s[20:21]
	s_andn2_b64 s[40:41], s[40:41], exec
	s_and_b64 s[42:43], s[42:43], exec
	s_or_b64 s[40:41], s[40:41], s[42:43]
	s_andn2_b64 s[18:19], s[18:19], exec
	s_and_b64 s[42:43], s[26:27], exec
	s_or_b64 s[18:19], s[18:19], s[42:43]
	s_andn2_b64 exec, exec, s[20:21]
	s_cbranch_execz .LBB261_1378
.LBB261_1383:                           ;   Parent Loop BB261_1376 Depth=1
                                        ;     Parent Loop BB261_1380 Depth=2
                                        ; =>    This Inner Loop Header: Depth=3
	global_load_ubyte v41, v[0:1], off
	global_load_ubyte v42, v[22:23], off
	s_andn2_b64 s[26:27], s[26:27], exec
	s_or_b64 s[22:23], s[22:23], exec
	s_waitcnt vmcnt(0)
	v_cmp_le_i16_sdwa s[44:45], sext(v41), sext(v42) src0_sel:BYTE_0 src1_sel:BYTE_0
	v_cmp_lt_i16_sdwa s[42:43], sext(v41), sext(v42) src0_sel:BYTE_0 src1_sel:BYTE_0
	s_and_b64 s[44:45], s[44:45], s[40:41]
	s_or_b64 s[42:43], s[42:43], s[44:45]
	s_and_b64 s[44:45], s[42:43], exec
	v_cmp_eq_u16_sdwa s[46:47], v41, v42 src0_sel:BYTE_0 src1_sel:BYTE_0
	s_or_b64 s[26:27], s[26:27], s[44:45]
	s_and_saveexec_b64 s[44:45], s[46:47]
	s_cbranch_execz .LBB261_1382
; %bb.1384:                             ;   in Loop: Header=BB261_1383 Depth=3
	s_add_u32 s24, s24, -1
	s_addc_u32 s25, s25, -1
	s_cmp_eq_u64 s[24:25], 0
	s_cselect_b64 s[40:41], -1, 0
	s_andn2_b64 s[22:23], s[22:23], exec
	s_and_b64 s[40:41], s[40:41], exec
	v_lshl_add_u64 v[0:1], v[0:1], 0, 1
	v_lshl_add_u64 v[22:23], v[22:23], 0, 1
	s_andn2_b64 s[26:27], s[26:27], exec
	s_or_b64 s[22:23], s[22:23], s[40:41]
                                        ; implicit-def: $sgpr40_sgpr41
	s_branch .LBB261_1382
.LBB261_1385:                           ;   in Loop: Header=BB261_1376 Depth=1
	s_or_b64 exec, exec, s[16:17]
.LBB261_1386:                           ;   in Loop: Header=BB261_1376 Depth=1
	s_or_b64 exec, exec, s[2:3]
	v_sub_u32_e32 v0, v37, v35
	v_add_u32_e32 v23, v35, v36
	v_add_u32_e32 v36, v0, v25
	v_cmp_le_u32_e32 vcc, v23, v25
	v_cmp_le_u32_e64 s[2:3], v36, v33
	s_or_b64 s[2:3], vcc, s[2:3]
	s_and_saveexec_b64 s[16:17], s[2:3]
	s_cbranch_execz .LBB261_1375
; %bb.1387:                             ;   in Loop: Header=BB261_1376 Depth=1
	v_cmp_ge_u32_e32 vcc, v23, v25
	v_cmp_lt_u32_e64 s[2:3], v23, v25
                                        ; implicit-def: $vgpr0_vgpr1
	s_and_saveexec_b64 s[18:19], s[2:3]
; %bb.1388:                             ;   in Loop: Header=BB261_1376 Depth=1
	v_lshl_add_u32 v0, v35, 3, v34
	ds_read_b64 v[0:1], v0
; %bb.1389:                             ;   in Loop: Header=BB261_1376 Depth=1
	s_or_b64 exec, exec, s[18:19]
	v_cmp_ge_u32_e64 s[18:19], v36, v33
	v_cmp_lt_u32_e64 s[2:3], v36, v33
                                        ; implicit-def: $vgpr2_vgpr3
	s_and_saveexec_b64 s[20:21], s[2:3]
; %bb.1390:                             ;   in Loop: Header=BB261_1376 Depth=1
	v_lshlrev_b32_e32 v2, 3, v36
	ds_read_b64 v[2:3], v2
; %bb.1391:                             ;   in Loop: Header=BB261_1376 Depth=1
	s_or_b64 exec, exec, s[20:21]
	s_nor_b64 s[20:21], vcc, s[18:19]
	s_and_saveexec_b64 s[2:3], s[20:21]
	s_cbranch_execz .LBB261_1400
; %bb.1392:                             ;   in Loop: Header=BB261_1376 Depth=1
	s_and_b64 vcc, exec, s[14:15]
	s_cbranch_vccnz .LBB261_1398
; %bb.1393:                             ;   in Loop: Header=BB261_1376 Depth=1
	v_mov_b64_e32 v[6:7], s[38:39]
	s_waitcnt lgkmcnt(0)
	v_mad_u64_u32 v[4:5], s[20:21], v2, s36, v[6:7]
	v_mul_lo_u32 v8, v2, s37
	v_mul_lo_u32 v9, v3, s36
	v_add3_u32 v5, v9, v5, v8
	v_mad_u64_u32 v[6:7], s[20:21], v0, s36, v[6:7]
	v_mul_lo_u32 v8, v0, s37
	v_mul_lo_u32 v9, v1, s36
	v_add3_u32 v7, v9, v7, v8
	s_mov_b64 s[20:21], 0
	s_mov_b64 s[26:27], s[36:37]
                                        ; implicit-def: $sgpr22_sgpr23
                                        ; implicit-def: $sgpr24_sgpr25
                                        ; implicit-def: $sgpr40_sgpr41
                                        ; implicit-def: $sgpr42_sgpr43
	s_branch .LBB261_1395
.LBB261_1394:                           ;   in Loop: Header=BB261_1395 Depth=2
	s_or_b64 exec, exec, s[46:47]
	s_and_b64 s[46:47], exec, s[24:25]
	s_or_b64 s[20:21], s[46:47], s[20:21]
	s_andn2_b64 s[42:43], s[42:43], exec
	s_and_b64 s[44:45], s[44:45], exec
	s_or_b64 s[42:43], s[42:43], s[44:45]
	s_andn2_b64 s[22:23], s[22:23], exec
	s_and_b64 s[44:45], s[40:41], exec
	s_or_b64 s[22:23], s[22:23], s[44:45]
	s_andn2_b64 exec, exec, s[20:21]
	s_cbranch_execz .LBB261_1397
.LBB261_1395:                           ;   Parent Loop BB261_1376 Depth=1
                                        ; =>  This Inner Loop Header: Depth=2
	global_load_ubyte v8, v[4:5], off
	global_load_ubyte v9, v[6:7], off
	s_andn2_b64 s[40:41], s[40:41], exec
	s_or_b64 s[24:25], s[24:25], exec
	s_waitcnt vmcnt(0)
	v_cmp_le_i16_sdwa s[46:47], sext(v8), sext(v9) src0_sel:BYTE_0 src1_sel:BYTE_0
	v_cmp_lt_i16_sdwa s[44:45], sext(v8), sext(v9) src0_sel:BYTE_0 src1_sel:BYTE_0
	s_and_b64 s[46:47], s[46:47], s[42:43]
	s_or_b64 s[44:45], s[44:45], s[46:47]
	s_and_b64 s[46:47], s[44:45], exec
	v_cmp_eq_u16_sdwa s[48:49], v8, v9 src0_sel:BYTE_0 src1_sel:BYTE_0
	s_or_b64 s[40:41], s[40:41], s[46:47]
	s_and_saveexec_b64 s[46:47], s[48:49]
	s_cbranch_execz .LBB261_1394
; %bb.1396:                             ;   in Loop: Header=BB261_1395 Depth=2
	s_add_u32 s26, s26, -1
	s_addc_u32 s27, s27, -1
	s_cmp_eq_u64 s[26:27], 0
	s_cselect_b64 s[42:43], -1, 0
	s_andn2_b64 s[24:25], s[24:25], exec
	s_and_b64 s[42:43], s[42:43], exec
	v_lshl_add_u64 v[4:5], v[4:5], 0, 1
	v_lshl_add_u64 v[6:7], v[6:7], 0, 1
	s_andn2_b64 s[40:41], s[40:41], exec
	s_or_b64 s[24:25], s[24:25], s[42:43]
                                        ; implicit-def: $sgpr42_sgpr43
	s_branch .LBB261_1394
.LBB261_1397:                           ;   in Loop: Header=BB261_1376 Depth=1
	s_or_b64 exec, exec, s[20:21]
	s_xor_b64 s[20:21], s[22:23], -1
	s_branch .LBB261_1399
.LBB261_1398:                           ;   in Loop: Header=BB261_1376 Depth=1
	s_mov_b64 s[20:21], -1
.LBB261_1399:                           ;   in Loop: Header=BB261_1376 Depth=1
	s_andn2_b64 s[18:19], s[18:19], exec
	s_and_b64 s[20:21], s[20:21], exec
	s_or_b64 s[18:19], s[18:19], s[20:21]
.LBB261_1400:                           ;   in Loop: Header=BB261_1376 Depth=1
	s_or_b64 exec, exec, s[2:3]
	v_cndmask_b32_e64 v4, v36, v23, s[18:19]
	v_cndmask_b32_e64 v5, v33, v25, s[18:19]
	v_add_u32_e32 v6, 1, v4
	v_add_u32_e32 v4, -1, v5
	v_min_u32_e32 v4, v6, v4
	v_lshlrev_b32_e32 v4, 3, v4
	ds_read_b64 v[4:5], v4
	v_cndmask_b32_e64 v8, v6, v36, s[18:19]
	v_cndmask_b32_e64 v9, v23, v6, s[18:19]
	v_cmp_lt_u32_e32 vcc, v8, v33
	s_mov_b64 s[20:21], -1
	s_waitcnt lgkmcnt(0)
	v_cndmask_b32_e64 v14, v5, v3, s[18:19]
	v_cndmask_b32_e64 v15, v4, v2, s[18:19]
	;; [unrolled: 1-line block ×4, first 2 shown]
	s_mov_b64 s[2:3], -1
	s_and_saveexec_b64 s[22:23], vcc
	s_cbranch_execz .LBB261_1411
; %bb.1401:                             ;   in Loop: Header=BB261_1376 Depth=1
	v_cmp_lt_u32_e32 vcc, v9, v25
	s_mov_b64 s[24:25], 0
	s_and_saveexec_b64 s[2:3], vcc
	s_cbranch_execz .LBB261_1410
; %bb.1402:                             ;   in Loop: Header=BB261_1376 Depth=1
	s_and_b64 vcc, exec, s[14:15]
	s_cbranch_vccnz .LBB261_1408
; %bb.1403:                             ;   in Loop: Header=BB261_1376 Depth=1
	v_mov_b64_e32 v[6:7], s[38:39]
	v_mad_u64_u32 v[4:5], s[24:25], v15, s36, v[6:7]
	v_mul_lo_u32 v10, v15, s37
	v_mul_lo_u32 v11, v14, s36
	v_add3_u32 v5, v11, v5, v10
	v_mad_u64_u32 v[6:7], s[24:25], v22, s36, v[6:7]
	v_mul_lo_u32 v10, v22, s37
	v_mul_lo_u32 v11, v16, s36
	v_add3_u32 v7, v11, v7, v10
	s_mov_b64 s[24:25], 0
	s_mov_b64 s[42:43], s[36:37]
                                        ; implicit-def: $sgpr26_sgpr27
                                        ; implicit-def: $sgpr40_sgpr41
                                        ; implicit-def: $sgpr44_sgpr45
                                        ; implicit-def: $sgpr46_sgpr47
	s_branch .LBB261_1405
.LBB261_1404:                           ;   in Loop: Header=BB261_1405 Depth=2
	s_or_b64 exec, exec, s[50:51]
	s_and_b64 s[50:51], exec, s[40:41]
	s_or_b64 s[24:25], s[50:51], s[24:25]
	s_andn2_b64 s[46:47], s[46:47], exec
	s_and_b64 s[48:49], s[48:49], exec
	s_or_b64 s[46:47], s[46:47], s[48:49]
	s_andn2_b64 s[26:27], s[26:27], exec
	s_and_b64 s[48:49], s[44:45], exec
	s_or_b64 s[26:27], s[26:27], s[48:49]
	s_andn2_b64 exec, exec, s[24:25]
	s_cbranch_execz .LBB261_1407
.LBB261_1405:                           ;   Parent Loop BB261_1376 Depth=1
                                        ; =>  This Inner Loop Header: Depth=2
	global_load_ubyte v10, v[4:5], off
	global_load_ubyte v11, v[6:7], off
	s_andn2_b64 s[44:45], s[44:45], exec
	s_or_b64 s[40:41], s[40:41], exec
	s_waitcnt vmcnt(0)
	v_cmp_le_i16_sdwa s[50:51], sext(v10), sext(v11) src0_sel:BYTE_0 src1_sel:BYTE_0
	v_cmp_lt_i16_sdwa s[48:49], sext(v10), sext(v11) src0_sel:BYTE_0 src1_sel:BYTE_0
	s_and_b64 s[50:51], s[50:51], s[46:47]
	s_or_b64 s[48:49], s[48:49], s[50:51]
	s_and_b64 s[50:51], s[48:49], exec
	v_cmp_eq_u16_sdwa s[52:53], v10, v11 src0_sel:BYTE_0 src1_sel:BYTE_0
	s_or_b64 s[44:45], s[44:45], s[50:51]
	s_and_saveexec_b64 s[50:51], s[52:53]
	s_cbranch_execz .LBB261_1404
; %bb.1406:                             ;   in Loop: Header=BB261_1405 Depth=2
	s_add_u32 s42, s42, -1
	s_addc_u32 s43, s43, -1
	s_cmp_eq_u64 s[42:43], 0
	s_cselect_b64 s[46:47], -1, 0
	s_andn2_b64 s[40:41], s[40:41], exec
	s_and_b64 s[46:47], s[46:47], exec
	v_lshl_add_u64 v[4:5], v[4:5], 0, 1
	v_lshl_add_u64 v[6:7], v[6:7], 0, 1
	s_andn2_b64 s[44:45], s[44:45], exec
	s_or_b64 s[40:41], s[40:41], s[46:47]
                                        ; implicit-def: $sgpr46_sgpr47
	s_branch .LBB261_1404
.LBB261_1407:                           ;   in Loop: Header=BB261_1376 Depth=1
	s_or_b64 exec, exec, s[24:25]
	s_xor_b64 s[24:25], s[26:27], -1
	s_branch .LBB261_1409
.LBB261_1408:                           ;   in Loop: Header=BB261_1376 Depth=1
	s_mov_b64 s[24:25], -1
.LBB261_1409:                           ;   in Loop: Header=BB261_1376 Depth=1
	s_and_b64 s[24:25], s[24:25], exec
.LBB261_1410:                           ;   in Loop: Header=BB261_1376 Depth=1
	s_or_b64 exec, exec, s[2:3]
	s_orn2_b64 s[2:3], s[24:25], exec
.LBB261_1411:                           ;   in Loop: Header=BB261_1376 Depth=1
	s_or_b64 exec, exec, s[22:23]
	v_cndmask_b32_e64 v4, v8, v9, s[2:3]
	v_cndmask_b32_e64 v5, v33, v25, s[2:3]
	v_add_u32_e32 v6, 1, v4
	v_add_u32_e32 v4, -1, v5
	v_min_u32_e32 v4, v6, v4
	v_lshlrev_b32_e32 v4, 3, v4
	ds_read_b64 v[4:5], v4
	v_cndmask_b32_e64 v8, v6, v8, s[2:3]
	v_cndmask_b32_e64 v9, v9, v6, s[2:3]
	v_cmp_lt_u32_e32 vcc, v8, v33
	s_waitcnt lgkmcnt(0)
	v_cndmask_b32_e64 v17, v5, v14, s[2:3]
	v_cndmask_b32_e64 v23, v4, v15, s[2:3]
	v_cndmask_b32_e64 v34, v16, v5, s[2:3]
	v_cndmask_b32_e64 v35, v22, v4, s[2:3]
	s_and_saveexec_b64 s[22:23], vcc
	s_cbranch_execz .LBB261_1422
; %bb.1412:                             ;   in Loop: Header=BB261_1376 Depth=1
	v_cmp_lt_u32_e32 vcc, v9, v25
	s_mov_b64 s[24:25], 0
	s_and_saveexec_b64 s[20:21], vcc
	s_cbranch_execz .LBB261_1421
; %bb.1413:                             ;   in Loop: Header=BB261_1376 Depth=1
	s_and_b64 vcc, exec, s[14:15]
	s_cbranch_vccnz .LBB261_1419
; %bb.1414:                             ;   in Loop: Header=BB261_1376 Depth=1
	v_mov_b64_e32 v[6:7], s[38:39]
	v_mad_u64_u32 v[4:5], s[24:25], v23, s36, v[6:7]
	v_mul_lo_u32 v10, v23, s37
	v_mul_lo_u32 v11, v17, s36
	v_add3_u32 v5, v11, v5, v10
	v_mad_u64_u32 v[6:7], s[24:25], v35, s36, v[6:7]
	v_mul_lo_u32 v10, v35, s37
	v_mul_lo_u32 v11, v34, s36
	v_add3_u32 v7, v11, v7, v10
	s_mov_b64 s[24:25], 0
	s_mov_b64 s[42:43], s[36:37]
                                        ; implicit-def: $sgpr26_sgpr27
                                        ; implicit-def: $sgpr40_sgpr41
                                        ; implicit-def: $sgpr44_sgpr45
                                        ; implicit-def: $sgpr46_sgpr47
	s_branch .LBB261_1416
.LBB261_1415:                           ;   in Loop: Header=BB261_1416 Depth=2
	s_or_b64 exec, exec, s[50:51]
	s_and_b64 s[50:51], exec, s[40:41]
	s_or_b64 s[24:25], s[50:51], s[24:25]
	s_andn2_b64 s[46:47], s[46:47], exec
	s_and_b64 s[48:49], s[48:49], exec
	s_or_b64 s[46:47], s[46:47], s[48:49]
	s_andn2_b64 s[26:27], s[26:27], exec
	s_and_b64 s[48:49], s[44:45], exec
	s_or_b64 s[26:27], s[26:27], s[48:49]
	s_andn2_b64 exec, exec, s[24:25]
	s_cbranch_execz .LBB261_1418
.LBB261_1416:                           ;   Parent Loop BB261_1376 Depth=1
                                        ; =>  This Inner Loop Header: Depth=2
	global_load_ubyte v10, v[4:5], off
	global_load_ubyte v11, v[6:7], off
	s_andn2_b64 s[44:45], s[44:45], exec
	s_or_b64 s[40:41], s[40:41], exec
	s_waitcnt vmcnt(0)
	v_cmp_le_i16_sdwa s[50:51], sext(v10), sext(v11) src0_sel:BYTE_0 src1_sel:BYTE_0
	v_cmp_lt_i16_sdwa s[48:49], sext(v10), sext(v11) src0_sel:BYTE_0 src1_sel:BYTE_0
	s_and_b64 s[50:51], s[50:51], s[46:47]
	s_or_b64 s[48:49], s[48:49], s[50:51]
	s_and_b64 s[50:51], s[48:49], exec
	v_cmp_eq_u16_sdwa s[52:53], v10, v11 src0_sel:BYTE_0 src1_sel:BYTE_0
	s_or_b64 s[44:45], s[44:45], s[50:51]
	s_and_saveexec_b64 s[50:51], s[52:53]
	s_cbranch_execz .LBB261_1415
; %bb.1417:                             ;   in Loop: Header=BB261_1416 Depth=2
	s_add_u32 s42, s42, -1
	s_addc_u32 s43, s43, -1
	s_cmp_eq_u64 s[42:43], 0
	s_cselect_b64 s[46:47], -1, 0
	s_andn2_b64 s[40:41], s[40:41], exec
	s_and_b64 s[46:47], s[46:47], exec
	v_lshl_add_u64 v[4:5], v[4:5], 0, 1
	v_lshl_add_u64 v[6:7], v[6:7], 0, 1
	s_andn2_b64 s[44:45], s[44:45], exec
	s_or_b64 s[40:41], s[40:41], s[46:47]
                                        ; implicit-def: $sgpr46_sgpr47
	s_branch .LBB261_1415
.LBB261_1418:                           ;   in Loop: Header=BB261_1376 Depth=1
	s_or_b64 exec, exec, s[24:25]
	s_xor_b64 s[24:25], s[26:27], -1
	s_branch .LBB261_1420
.LBB261_1419:                           ;   in Loop: Header=BB261_1376 Depth=1
	s_mov_b64 s[24:25], -1
.LBB261_1420:                           ;   in Loop: Header=BB261_1376 Depth=1
	s_and_b64 s[24:25], s[24:25], exec
.LBB261_1421:                           ;   in Loop: Header=BB261_1376 Depth=1
	s_or_b64 exec, exec, s[20:21]
	s_orn2_b64 s[20:21], s[24:25], exec
.LBB261_1422:                           ;   in Loop: Header=BB261_1376 Depth=1
	s_or_b64 exec, exec, s[22:23]
	v_cndmask_b32_e64 v4, v8, v9, s[20:21]
	v_cndmask_b32_e64 v5, v33, v25, s[20:21]
	v_add_u32_e32 v6, 1, v4
	v_add_u32_e32 v4, -1, v5
	v_min_u32_e32 v4, v6, v4
	v_lshlrev_b32_e32 v4, 3, v4
	ds_read_b64 v[4:5], v4
	v_cndmask_b32_e64 v8, v6, v8, s[20:21]
	v_cndmask_b32_e64 v9, v9, v6, s[20:21]
	v_cmp_lt_u32_e32 vcc, v8, v33
	s_mov_b64 s[24:25], -1
	s_waitcnt lgkmcnt(0)
	v_cndmask_b32_e64 v12, v5, v17, s[20:21]
	v_cndmask_b32_e64 v36, v4, v23, s[20:21]
	;; [unrolled: 1-line block ×4, first 2 shown]
	s_mov_b64 s[22:23], -1
	s_and_saveexec_b64 s[26:27], vcc
	s_cbranch_execz .LBB261_1433
; %bb.1423:                             ;   in Loop: Header=BB261_1376 Depth=1
	v_cmp_lt_u32_e32 vcc, v9, v25
	s_mov_b64 s[40:41], 0
	s_and_saveexec_b64 s[22:23], vcc
	s_cbranch_execz .LBB261_1432
; %bb.1424:                             ;   in Loop: Header=BB261_1376 Depth=1
	s_and_b64 vcc, exec, s[14:15]
	s_cbranch_vccnz .LBB261_1430
; %bb.1425:                             ;   in Loop: Header=BB261_1376 Depth=1
	v_mov_b64_e32 v[6:7], s[38:39]
	v_mad_u64_u32 v[4:5], s[40:41], v36, s36, v[6:7]
	v_mul_lo_u32 v10, v36, s37
	v_mul_lo_u32 v11, v12, s36
	v_add3_u32 v5, v11, v5, v10
	v_mad_u64_u32 v[6:7], s[40:41], v37, s36, v[6:7]
	v_mul_lo_u32 v10, v37, s37
	v_mul_lo_u32 v11, v13, s36
	v_add3_u32 v7, v11, v7, v10
	s_mov_b64 s[40:41], 0
	s_mov_b64 s[46:47], s[36:37]
                                        ; implicit-def: $sgpr42_sgpr43
                                        ; implicit-def: $sgpr44_sgpr45
                                        ; implicit-def: $sgpr48_sgpr49
                                        ; implicit-def: $sgpr50_sgpr51
	s_branch .LBB261_1427
.LBB261_1426:                           ;   in Loop: Header=BB261_1427 Depth=2
	s_or_b64 exec, exec, s[54:55]
	s_and_b64 s[54:55], exec, s[44:45]
	s_or_b64 s[40:41], s[54:55], s[40:41]
	s_andn2_b64 s[50:51], s[50:51], exec
	s_and_b64 s[52:53], s[52:53], exec
	s_or_b64 s[50:51], s[50:51], s[52:53]
	s_andn2_b64 s[42:43], s[42:43], exec
	s_and_b64 s[52:53], s[48:49], exec
	s_or_b64 s[42:43], s[42:43], s[52:53]
	s_andn2_b64 exec, exec, s[40:41]
	s_cbranch_execz .LBB261_1429
.LBB261_1427:                           ;   Parent Loop BB261_1376 Depth=1
                                        ; =>  This Inner Loop Header: Depth=2
	global_load_ubyte v10, v[4:5], off
	global_load_ubyte v11, v[6:7], off
	s_andn2_b64 s[48:49], s[48:49], exec
	s_or_b64 s[44:45], s[44:45], exec
	s_waitcnt vmcnt(0)
	v_cmp_le_i16_sdwa s[54:55], sext(v10), sext(v11) src0_sel:BYTE_0 src1_sel:BYTE_0
	v_cmp_lt_i16_sdwa s[52:53], sext(v10), sext(v11) src0_sel:BYTE_0 src1_sel:BYTE_0
	s_and_b64 s[54:55], s[54:55], s[50:51]
	s_or_b64 s[52:53], s[52:53], s[54:55]
	s_and_b64 s[54:55], s[52:53], exec
	v_cmp_eq_u16_sdwa s[56:57], v10, v11 src0_sel:BYTE_0 src1_sel:BYTE_0
	s_or_b64 s[48:49], s[48:49], s[54:55]
	s_and_saveexec_b64 s[54:55], s[56:57]
	s_cbranch_execz .LBB261_1426
; %bb.1428:                             ;   in Loop: Header=BB261_1427 Depth=2
	s_add_u32 s46, s46, -1
	s_addc_u32 s47, s47, -1
	s_cmp_eq_u64 s[46:47], 0
	s_cselect_b64 s[50:51], -1, 0
	s_andn2_b64 s[44:45], s[44:45], exec
	s_and_b64 s[50:51], s[50:51], exec
	v_lshl_add_u64 v[4:5], v[4:5], 0, 1
	v_lshl_add_u64 v[6:7], v[6:7], 0, 1
	s_andn2_b64 s[48:49], s[48:49], exec
	s_or_b64 s[44:45], s[44:45], s[50:51]
                                        ; implicit-def: $sgpr50_sgpr51
	s_branch .LBB261_1426
.LBB261_1429:                           ;   in Loop: Header=BB261_1376 Depth=1
	s_or_b64 exec, exec, s[40:41]
	s_xor_b64 s[40:41], s[42:43], -1
	s_branch .LBB261_1431
.LBB261_1430:                           ;   in Loop: Header=BB261_1376 Depth=1
	s_mov_b64 s[40:41], -1
.LBB261_1431:                           ;   in Loop: Header=BB261_1376 Depth=1
	s_and_b64 s[40:41], s[40:41], exec
.LBB261_1432:                           ;   in Loop: Header=BB261_1376 Depth=1
	s_or_b64 exec, exec, s[22:23]
	s_orn2_b64 s[22:23], s[40:41], exec
.LBB261_1433:                           ;   in Loop: Header=BB261_1376 Depth=1
	s_or_b64 exec, exec, s[26:27]
	v_cndmask_b32_e64 v4, v8, v9, s[22:23]
	v_cndmask_b32_e64 v5, v33, v25, s[22:23]
	v_add_u32_e32 v6, 1, v4
	v_add_u32_e32 v4, -1, v5
	v_min_u32_e32 v4, v6, v4
	v_lshlrev_b32_e32 v4, 3, v4
	ds_read_b64 v[4:5], v4
	v_cndmask_b32_e64 v8, v6, v8, s[22:23]
	v_cndmask_b32_e64 v9, v9, v6, s[22:23]
	v_cmp_lt_u32_e32 vcc, v8, v33
	s_waitcnt lgkmcnt(0)
	v_cndmask_b32_e64 v38, v5, v12, s[22:23]
	v_cndmask_b32_e64 v39, v4, v36, s[22:23]
	;; [unrolled: 1-line block ×4, first 2 shown]
	s_and_saveexec_b64 s[26:27], vcc
	s_cbranch_execz .LBB261_1444
; %bb.1434:                             ;   in Loop: Header=BB261_1376 Depth=1
	v_cmp_lt_u32_e32 vcc, v9, v25
	s_mov_b64 s[40:41], 0
	s_and_saveexec_b64 s[24:25], vcc
	s_cbranch_execz .LBB261_1443
; %bb.1435:                             ;   in Loop: Header=BB261_1376 Depth=1
	s_and_b64 vcc, exec, s[14:15]
	s_cbranch_vccnz .LBB261_1441
; %bb.1436:                             ;   in Loop: Header=BB261_1376 Depth=1
	v_mov_b64_e32 v[6:7], s[38:39]
	v_mad_u64_u32 v[4:5], s[40:41], v39, s36, v[6:7]
	v_mul_lo_u32 v10, v39, s37
	v_mul_lo_u32 v11, v38, s36
	v_add3_u32 v5, v11, v5, v10
	v_mad_u64_u32 v[6:7], s[40:41], v41, s36, v[6:7]
	v_mul_lo_u32 v10, v41, s37
	v_mul_lo_u32 v11, v40, s36
	v_add3_u32 v7, v11, v7, v10
	s_mov_b64 s[40:41], 0
	s_mov_b64 s[46:47], s[36:37]
                                        ; implicit-def: $sgpr42_sgpr43
                                        ; implicit-def: $sgpr44_sgpr45
                                        ; implicit-def: $sgpr48_sgpr49
                                        ; implicit-def: $sgpr50_sgpr51
	s_branch .LBB261_1438
.LBB261_1437:                           ;   in Loop: Header=BB261_1438 Depth=2
	s_or_b64 exec, exec, s[54:55]
	s_and_b64 s[54:55], exec, s[44:45]
	s_or_b64 s[40:41], s[54:55], s[40:41]
	s_andn2_b64 s[50:51], s[50:51], exec
	s_and_b64 s[52:53], s[52:53], exec
	s_or_b64 s[50:51], s[50:51], s[52:53]
	s_andn2_b64 s[42:43], s[42:43], exec
	s_and_b64 s[52:53], s[48:49], exec
	s_or_b64 s[42:43], s[42:43], s[52:53]
	s_andn2_b64 exec, exec, s[40:41]
	s_cbranch_execz .LBB261_1440
.LBB261_1438:                           ;   Parent Loop BB261_1376 Depth=1
                                        ; =>  This Inner Loop Header: Depth=2
	global_load_ubyte v10, v[4:5], off
	global_load_ubyte v11, v[6:7], off
	s_andn2_b64 s[48:49], s[48:49], exec
	s_or_b64 s[44:45], s[44:45], exec
	s_waitcnt vmcnt(0)
	v_cmp_le_i16_sdwa s[54:55], sext(v10), sext(v11) src0_sel:BYTE_0 src1_sel:BYTE_0
	v_cmp_lt_i16_sdwa s[52:53], sext(v10), sext(v11) src0_sel:BYTE_0 src1_sel:BYTE_0
	s_and_b64 s[54:55], s[54:55], s[50:51]
	s_or_b64 s[52:53], s[52:53], s[54:55]
	s_and_b64 s[54:55], s[52:53], exec
	v_cmp_eq_u16_sdwa s[56:57], v10, v11 src0_sel:BYTE_0 src1_sel:BYTE_0
	s_or_b64 s[48:49], s[48:49], s[54:55]
	s_and_saveexec_b64 s[54:55], s[56:57]
	s_cbranch_execz .LBB261_1437
; %bb.1439:                             ;   in Loop: Header=BB261_1438 Depth=2
	s_add_u32 s46, s46, -1
	s_addc_u32 s47, s47, -1
	s_cmp_eq_u64 s[46:47], 0
	s_cselect_b64 s[50:51], -1, 0
	s_andn2_b64 s[44:45], s[44:45], exec
	s_and_b64 s[50:51], s[50:51], exec
	v_lshl_add_u64 v[4:5], v[4:5], 0, 1
	v_lshl_add_u64 v[6:7], v[6:7], 0, 1
	s_andn2_b64 s[48:49], s[48:49], exec
	s_or_b64 s[44:45], s[44:45], s[50:51]
                                        ; implicit-def: $sgpr50_sgpr51
	s_branch .LBB261_1437
.LBB261_1440:                           ;   in Loop: Header=BB261_1376 Depth=1
	s_or_b64 exec, exec, s[40:41]
	s_xor_b64 s[40:41], s[42:43], -1
	s_branch .LBB261_1442
.LBB261_1441:                           ;   in Loop: Header=BB261_1376 Depth=1
	s_mov_b64 s[40:41], -1
.LBB261_1442:                           ;   in Loop: Header=BB261_1376 Depth=1
	s_and_b64 s[40:41], s[40:41], exec
.LBB261_1443:                           ;   in Loop: Header=BB261_1376 Depth=1
	s_or_b64 exec, exec, s[24:25]
	s_orn2_b64 s[24:25], s[40:41], exec
.LBB261_1444:                           ;   in Loop: Header=BB261_1376 Depth=1
	s_or_b64 exec, exec, s[26:27]
	v_cndmask_b32_e64 v4, v8, v9, s[24:25]
	v_cndmask_b32_e64 v5, v33, v25, s[24:25]
	v_add_u32_e32 v6, 1, v4
	v_add_u32_e32 v4, -1, v5
	v_min_u32_e32 v4, v6, v4
	v_lshlrev_b32_e32 v4, 3, v4
	ds_read_b64 v[4:5], v4
	v_cndmask_b32_e64 v8, v6, v8, s[24:25]
	v_cndmask_b32_e64 v9, v9, v6, s[24:25]
	v_cmp_lt_u32_e32 vcc, v8, v33
	s_mov_b64 s[26:27], -1
	s_waitcnt lgkmcnt(0)
	v_cndmask_b32_e64 v42, v5, v38, s[24:25]
	v_cndmask_b32_e64 v43, v4, v39, s[24:25]
	;; [unrolled: 1-line block ×4, first 2 shown]
	s_mov_b64 s[40:41], -1
	s_and_saveexec_b64 s[42:43], vcc
	s_cbranch_execz .LBB261_1455
; %bb.1445:                             ;   in Loop: Header=BB261_1376 Depth=1
	v_cmp_lt_u32_e32 vcc, v9, v25
	s_mov_b64 s[44:45], 0
	s_and_saveexec_b64 s[40:41], vcc
	s_cbranch_execz .LBB261_1454
; %bb.1446:                             ;   in Loop: Header=BB261_1376 Depth=1
	s_and_b64 vcc, exec, s[14:15]
	s_cbranch_vccnz .LBB261_1452
; %bb.1447:                             ;   in Loop: Header=BB261_1376 Depth=1
	v_mov_b64_e32 v[6:7], s[38:39]
	v_mad_u64_u32 v[4:5], s[44:45], v43, s36, v[6:7]
	v_mul_lo_u32 v10, v43, s37
	v_mul_lo_u32 v11, v42, s36
	v_add3_u32 v5, v11, v5, v10
	v_mad_u64_u32 v[6:7], s[44:45], v45, s36, v[6:7]
	v_mul_lo_u32 v10, v45, s37
	v_mul_lo_u32 v11, v44, s36
	v_add3_u32 v7, v11, v7, v10
	s_mov_b64 s[44:45], 0
	s_mov_b64 s[50:51], s[36:37]
                                        ; implicit-def: $sgpr46_sgpr47
                                        ; implicit-def: $sgpr48_sgpr49
                                        ; implicit-def: $sgpr52_sgpr53
                                        ; implicit-def: $sgpr54_sgpr55
	s_branch .LBB261_1449
.LBB261_1448:                           ;   in Loop: Header=BB261_1449 Depth=2
	s_or_b64 exec, exec, s[58:59]
	s_and_b64 s[58:59], exec, s[48:49]
	s_or_b64 s[44:45], s[58:59], s[44:45]
	s_andn2_b64 s[54:55], s[54:55], exec
	s_and_b64 s[56:57], s[56:57], exec
	s_or_b64 s[54:55], s[54:55], s[56:57]
	s_andn2_b64 s[46:47], s[46:47], exec
	s_and_b64 s[56:57], s[52:53], exec
	s_or_b64 s[46:47], s[46:47], s[56:57]
	s_andn2_b64 exec, exec, s[44:45]
	s_cbranch_execz .LBB261_1451
.LBB261_1449:                           ;   Parent Loop BB261_1376 Depth=1
                                        ; =>  This Inner Loop Header: Depth=2
	global_load_ubyte v10, v[4:5], off
	global_load_ubyte v11, v[6:7], off
	s_andn2_b64 s[52:53], s[52:53], exec
	s_or_b64 s[48:49], s[48:49], exec
	s_waitcnt vmcnt(0)
	v_cmp_le_i16_sdwa s[58:59], sext(v10), sext(v11) src0_sel:BYTE_0 src1_sel:BYTE_0
	v_cmp_lt_i16_sdwa s[56:57], sext(v10), sext(v11) src0_sel:BYTE_0 src1_sel:BYTE_0
	s_and_b64 s[58:59], s[58:59], s[54:55]
	s_or_b64 s[56:57], s[56:57], s[58:59]
	s_and_b64 s[58:59], s[56:57], exec
	v_cmp_eq_u16_sdwa s[60:61], v10, v11 src0_sel:BYTE_0 src1_sel:BYTE_0
	s_or_b64 s[52:53], s[52:53], s[58:59]
	s_and_saveexec_b64 s[58:59], s[60:61]
	s_cbranch_execz .LBB261_1448
; %bb.1450:                             ;   in Loop: Header=BB261_1449 Depth=2
	s_add_u32 s50, s50, -1
	s_addc_u32 s51, s51, -1
	s_cmp_eq_u64 s[50:51], 0
	s_cselect_b64 s[54:55], -1, 0
	s_andn2_b64 s[48:49], s[48:49], exec
	s_and_b64 s[54:55], s[54:55], exec
	v_lshl_add_u64 v[4:5], v[4:5], 0, 1
	v_lshl_add_u64 v[6:7], v[6:7], 0, 1
	s_andn2_b64 s[52:53], s[52:53], exec
	s_or_b64 s[48:49], s[48:49], s[54:55]
                                        ; implicit-def: $sgpr54_sgpr55
	s_branch .LBB261_1448
.LBB261_1451:                           ;   in Loop: Header=BB261_1376 Depth=1
	s_or_b64 exec, exec, s[44:45]
	s_xor_b64 s[44:45], s[46:47], -1
	s_branch .LBB261_1453
.LBB261_1452:                           ;   in Loop: Header=BB261_1376 Depth=1
	s_mov_b64 s[44:45], -1
.LBB261_1453:                           ;   in Loop: Header=BB261_1376 Depth=1
	s_and_b64 s[44:45], s[44:45], exec
.LBB261_1454:                           ;   in Loop: Header=BB261_1376 Depth=1
	s_or_b64 exec, exec, s[40:41]
	s_orn2_b64 s[40:41], s[44:45], exec
.LBB261_1455:                           ;   in Loop: Header=BB261_1376 Depth=1
	s_or_b64 exec, exec, s[42:43]
	v_cndmask_b32_e64 v4, v8, v9, s[40:41]
	v_cndmask_b32_e64 v5, v33, v25, s[40:41]
	v_add_u32_e32 v6, 1, v4
	v_add_u32_e32 v4, -1, v5
	v_min_u32_e32 v4, v6, v4
	v_lshlrev_b32_e32 v4, 3, v4
	ds_read_b64 v[4:5], v4
	v_cndmask_b32_e64 v10, v6, v8, s[40:41]
	v_cndmask_b32_e64 v8, v9, v6, s[40:41]
	v_cmp_lt_u32_e32 vcc, v10, v33
	s_waitcnt lgkmcnt(0)
	v_cndmask_b32_e64 v46, v5, v42, s[40:41]
	v_cndmask_b32_e64 v47, v4, v43, s[40:41]
	;; [unrolled: 1-line block ×4, first 2 shown]
	s_and_saveexec_b64 s[42:43], vcc
	s_cbranch_execz .LBB261_1466
; %bb.1456:                             ;   in Loop: Header=BB261_1376 Depth=1
	v_cmp_lt_u32_e32 vcc, v8, v25
	s_mov_b64 s[44:45], 0
	s_and_saveexec_b64 s[26:27], vcc
	s_cbranch_execz .LBB261_1465
; %bb.1457:                             ;   in Loop: Header=BB261_1376 Depth=1
	s_and_b64 vcc, exec, s[14:15]
	s_cbranch_vccnz .LBB261_1463
; %bb.1458:                             ;   in Loop: Header=BB261_1376 Depth=1
	v_mov_b64_e32 v[6:7], s[38:39]
	v_mad_u64_u32 v[4:5], s[44:45], v47, s36, v[6:7]
	v_mul_lo_u32 v9, v47, s37
	v_mul_lo_u32 v11, v46, s36
	v_add3_u32 v5, v11, v5, v9
	v_mad_u64_u32 v[6:7], s[44:45], v49, s36, v[6:7]
	v_mul_lo_u32 v9, v49, s37
	v_mul_lo_u32 v11, v48, s36
	v_add3_u32 v7, v11, v7, v9
	s_mov_b64 s[44:45], 0
	s_mov_b64 s[50:51], s[36:37]
                                        ; implicit-def: $sgpr46_sgpr47
                                        ; implicit-def: $sgpr48_sgpr49
                                        ; implicit-def: $sgpr52_sgpr53
                                        ; implicit-def: $sgpr54_sgpr55
	s_branch .LBB261_1460
.LBB261_1459:                           ;   in Loop: Header=BB261_1460 Depth=2
	s_or_b64 exec, exec, s[58:59]
	s_and_b64 s[58:59], exec, s[48:49]
	s_or_b64 s[44:45], s[58:59], s[44:45]
	s_andn2_b64 s[54:55], s[54:55], exec
	s_and_b64 s[56:57], s[56:57], exec
	s_or_b64 s[54:55], s[54:55], s[56:57]
	s_andn2_b64 s[46:47], s[46:47], exec
	s_and_b64 s[56:57], s[52:53], exec
	s_or_b64 s[46:47], s[46:47], s[56:57]
	s_andn2_b64 exec, exec, s[44:45]
	s_cbranch_execz .LBB261_1462
.LBB261_1460:                           ;   Parent Loop BB261_1376 Depth=1
                                        ; =>  This Inner Loop Header: Depth=2
	global_load_ubyte v9, v[4:5], off
	global_load_ubyte v11, v[6:7], off
	s_andn2_b64 s[52:53], s[52:53], exec
	s_or_b64 s[48:49], s[48:49], exec
	s_waitcnt vmcnt(0)
	v_cmp_le_i16_sdwa s[58:59], sext(v9), sext(v11) src0_sel:BYTE_0 src1_sel:BYTE_0
	v_cmp_lt_i16_sdwa s[56:57], sext(v9), sext(v11) src0_sel:BYTE_0 src1_sel:BYTE_0
	s_and_b64 s[58:59], s[58:59], s[54:55]
	s_or_b64 s[56:57], s[56:57], s[58:59]
	s_and_b64 s[58:59], s[56:57], exec
	v_cmp_eq_u16_sdwa s[60:61], v9, v11 src0_sel:BYTE_0 src1_sel:BYTE_0
	s_or_b64 s[52:53], s[52:53], s[58:59]
	s_and_saveexec_b64 s[58:59], s[60:61]
	s_cbranch_execz .LBB261_1459
; %bb.1461:                             ;   in Loop: Header=BB261_1460 Depth=2
	s_add_u32 s50, s50, -1
	s_addc_u32 s51, s51, -1
	s_cmp_eq_u64 s[50:51], 0
	s_cselect_b64 s[54:55], -1, 0
	s_andn2_b64 s[48:49], s[48:49], exec
	s_and_b64 s[54:55], s[54:55], exec
	v_lshl_add_u64 v[4:5], v[4:5], 0, 1
	v_lshl_add_u64 v[6:7], v[6:7], 0, 1
	s_andn2_b64 s[52:53], s[52:53], exec
	s_or_b64 s[48:49], s[48:49], s[54:55]
                                        ; implicit-def: $sgpr54_sgpr55
	s_branch .LBB261_1459
.LBB261_1462:                           ;   in Loop: Header=BB261_1376 Depth=1
	s_or_b64 exec, exec, s[44:45]
	s_xor_b64 s[44:45], s[46:47], -1
	s_branch .LBB261_1464
.LBB261_1463:                           ;   in Loop: Header=BB261_1376 Depth=1
	s_mov_b64 s[44:45], -1
.LBB261_1464:                           ;   in Loop: Header=BB261_1376 Depth=1
	s_and_b64 s[44:45], s[44:45], exec
.LBB261_1465:                           ;   in Loop: Header=BB261_1376 Depth=1
	s_or_b64 exec, exec, s[26:27]
	s_orn2_b64 s[26:27], s[44:45], exec
.LBB261_1466:                           ;   in Loop: Header=BB261_1376 Depth=1
	s_or_b64 exec, exec, s[42:43]
	v_cndmask_b32_e64 v4, v10, v8, s[26:27]
	v_cndmask_b32_e64 v5, v33, v25, s[26:27]
	v_add_u32_e32 v9, 1, v4
	v_add_u32_e32 v4, -1, v5
	v_min_u32_e32 v4, v9, v4
	v_lshlrev_b32_e32 v4, 3, v4
	ds_read_b64 v[6:7], v4
	v_cndmask_b32_e64 v10, v9, v10, s[26:27]
	v_cmp_lt_u32_e32 vcc, v10, v33
	s_waitcnt lgkmcnt(0)
	v_cndmask_b32_e64 v5, v48, v7, s[26:27]
	v_cndmask_b32_e64 v4, v49, v6, s[26:27]
	s_and_saveexec_b64 s[42:43], vcc
	s_cbranch_execz .LBB261_1374
; %bb.1467:                             ;   in Loop: Header=BB261_1376 Depth=1
	v_cndmask_b32_e64 v8, v8, v9, s[26:27]
	v_cndmask_b32_e64 v7, v7, v46, s[26:27]
	v_cndmask_b32_e64 v6, v6, v47, s[26:27]
	v_cmp_lt_u32_e32 vcc, v8, v25
	s_and_saveexec_b64 s[44:45], vcc
	s_cbranch_execz .LBB261_1373
; %bb.1468:                             ;   in Loop: Header=BB261_1376 Depth=1
	s_and_b64 vcc, exec, s[14:15]
	s_cbranch_vccnz .LBB261_1372
; %bb.1469:                             ;   in Loop: Header=BB261_1376 Depth=1
	v_mov_b64_e32 v[10:11], s[38:39]
	v_mad_u64_u32 v[8:9], s[46:47], v6, s36, v[10:11]
	v_mul_lo_u32 v25, v6, s37
	v_mul_lo_u32 v33, v7, s36
	v_add3_u32 v9, v33, v9, v25
	v_mad_u64_u32 v[10:11], s[46:47], v4, s36, v[10:11]
	v_mul_lo_u32 v25, v4, s37
	v_mul_lo_u32 v33, v5, s36
	v_add3_u32 v11, v33, v11, v25
	s_mov_b64 s[46:47], 0
	s_mov_b64 s[52:53], s[36:37]
                                        ; implicit-def: $sgpr48_sgpr49
                                        ; implicit-def: $sgpr50_sgpr51
                                        ; implicit-def: $sgpr54_sgpr55
                                        ; implicit-def: $sgpr56_sgpr57
	s_branch .LBB261_1471
.LBB261_1470:                           ;   in Loop: Header=BB261_1471 Depth=2
	s_or_b64 exec, exec, s[60:61]
	s_and_b64 s[60:61], exec, s[50:51]
	s_or_b64 s[46:47], s[60:61], s[46:47]
	s_andn2_b64 s[56:57], s[56:57], exec
	s_and_b64 s[58:59], s[58:59], exec
	s_or_b64 s[56:57], s[56:57], s[58:59]
	s_andn2_b64 s[48:49], s[48:49], exec
	s_and_b64 s[58:59], s[54:55], exec
	s_or_b64 s[48:49], s[48:49], s[58:59]
	s_andn2_b64 exec, exec, s[46:47]
	s_cbranch_execz .LBB261_1371
.LBB261_1471:                           ;   Parent Loop BB261_1376 Depth=1
                                        ; =>  This Inner Loop Header: Depth=2
	global_load_ubyte v25, v[8:9], off
	global_load_ubyte v33, v[10:11], off
	s_andn2_b64 s[54:55], s[54:55], exec
	s_or_b64 s[50:51], s[50:51], exec
	s_waitcnt vmcnt(0)
	v_cmp_le_i16_sdwa s[60:61], sext(v25), sext(v33) src0_sel:BYTE_0 src1_sel:BYTE_0
	v_cmp_lt_i16_sdwa s[58:59], sext(v25), sext(v33) src0_sel:BYTE_0 src1_sel:BYTE_0
	s_and_b64 s[60:61], s[60:61], s[56:57]
	s_or_b64 s[58:59], s[58:59], s[60:61]
	s_and_b64 s[60:61], s[58:59], exec
	v_cmp_eq_u16_sdwa s[64:65], v25, v33 src0_sel:BYTE_0 src1_sel:BYTE_0
	s_or_b64 s[54:55], s[54:55], s[60:61]
	s_and_saveexec_b64 s[60:61], s[64:65]
	s_cbranch_execz .LBB261_1470
; %bb.1472:                             ;   in Loop: Header=BB261_1471 Depth=2
	s_add_u32 s52, s52, -1
	s_addc_u32 s53, s53, -1
	s_cmp_eq_u64 s[52:53], 0
	s_cselect_b64 s[56:57], -1, 0
	s_andn2_b64 s[50:51], s[50:51], exec
	s_and_b64 s[56:57], s[56:57], exec
	v_lshl_add_u64 v[8:9], v[8:9], 0, 1
	v_lshl_add_u64 v[10:11], v[10:11], 0, 1
	s_andn2_b64 s[54:55], s[54:55], exec
	s_or_b64 s[50:51], s[50:51], s[56:57]
                                        ; implicit-def: $sgpr56_sgpr57
	s_branch .LBB261_1470
.LBB261_1473:
	s_barrier
	ds_write2_b64 v32, v[14:15], v[16:17] offset1:1
	ds_write2_b64 v32, v[10:11], v[12:13] offset0:2 offset1:3
	ds_write2_b64 v32, v[6:7], v[8:9] offset0:4 offset1:5
	ds_write2_b64 v32, v[2:3], v[4:5] offset0:6 offset1:7
	s_waitcnt lgkmcnt(0)
	s_barrier
	ds_read_b64 v[12:13], v21 offset:2048
	ds_read_b64 v[10:11], v26 offset:4096
	;; [unrolled: 1-line block ×7, first 2 shown]
	v_mov_b32_e32 v21, 0
	v_lshl_add_u64 v[2:3], s[30:31], 0, v[20:21]
	s_and_saveexec_b64 s[2:3], s[0:1]
	s_cbranch_execnz .LBB261_1485
; %bb.1474:
	s_or_b64 exec, exec, s[2:3]
	s_and_saveexec_b64 s[0:1], s[28:29]
	s_cbranch_execnz .LBB261_1486
.LBB261_1475:
	s_or_b64 exec, exec, s[0:1]
	s_and_saveexec_b64 s[0:1], s[4:5]
	s_cbranch_execnz .LBB261_1487
.LBB261_1476:
	s_or_b64 exec, exec, s[0:1]
	s_and_saveexec_b64 s[0:1], s[6:7]
	s_cbranch_execnz .LBB261_1488
.LBB261_1477:
	s_or_b64 exec, exec, s[0:1]
	s_and_saveexec_b64 s[0:1], s[8:9]
	s_cbranch_execnz .LBB261_1489
.LBB261_1478:
	s_or_b64 exec, exec, s[0:1]
	s_and_saveexec_b64 s[0:1], s[10:11]
	s_cbranch_execnz .LBB261_1490
.LBB261_1479:
	s_or_b64 exec, exec, s[0:1]
	s_and_saveexec_b64 s[0:1], s[12:13]
	s_cbranch_execz .LBB261_1481
.LBB261_1480:
	v_add_co_u32_e32 v2, vcc, 0x3000, v2
	s_nop 1
	v_addc_co_u32_e32 v3, vcc, 0, v3, vcc
	s_waitcnt lgkmcnt(1)
	global_store_dwordx2 v[2:3], v[0:1], off
.LBB261_1481:
	s_or_b64 exec, exec, s[0:1]
	v_mov_b32_e32 v19, v21
.LBB261_1482:
	s_and_saveexec_b64 s[0:1], s[34:35]
	s_cbranch_execz .LBB261_1484
; %bb.1483:
	s_waitcnt lgkmcnt(1)
	v_lshl_add_u64 v[0:1], v[18:19], 3, s[30:31]
	v_add_co_u32_e32 v0, vcc, 0x3000, v0
	s_nop 1
	v_addc_co_u32_e32 v1, vcc, 0, v1, vcc
	s_waitcnt lgkmcnt(0)
	global_store_dwordx2 v[0:1], v[14:15], off offset:2048
.LBB261_1484:
	s_endpgm
.LBB261_1485:
	ds_read_b64 v[16:17], v19
	s_waitcnt lgkmcnt(0)
	global_store_dwordx2 v[2:3], v[16:17], off
	s_or_b64 exec, exec, s[2:3]
	s_and_saveexec_b64 s[0:1], s[28:29]
	s_cbranch_execz .LBB261_1475
.LBB261_1486:
	s_waitcnt lgkmcnt(6)
	global_store_dwordx2 v[2:3], v[12:13], off offset:2048
	s_or_b64 exec, exec, s[0:1]
	s_and_saveexec_b64 s[0:1], s[4:5]
	s_cbranch_execz .LBB261_1476
.LBB261_1487:
	s_waitcnt lgkmcnt(6)
	v_add_co_u32_e32 v12, vcc, 0x1000, v2
	s_nop 1
	v_addc_co_u32_e32 v13, vcc, 0, v3, vcc
	s_waitcnt lgkmcnt(5)
	global_store_dwordx2 v[12:13], v[10:11], off
	s_or_b64 exec, exec, s[0:1]
	s_and_saveexec_b64 s[0:1], s[6:7]
	s_cbranch_execz .LBB261_1477
.LBB261_1488:
	s_waitcnt lgkmcnt(5)
	v_add_co_u32_e32 v10, vcc, 0x1000, v2
	s_nop 1
	v_addc_co_u32_e32 v11, vcc, 0, v3, vcc
	s_waitcnt lgkmcnt(4)
	global_store_dwordx2 v[10:11], v[8:9], off offset:2048
	s_or_b64 exec, exec, s[0:1]
	s_and_saveexec_b64 s[0:1], s[8:9]
	s_cbranch_execz .LBB261_1478
.LBB261_1489:
	s_waitcnt lgkmcnt(4)
	v_add_co_u32_e32 v8, vcc, 0x2000, v2
	s_nop 1
	v_addc_co_u32_e32 v9, vcc, 0, v3, vcc
	s_waitcnt lgkmcnt(3)
	global_store_dwordx2 v[8:9], v[6:7], off
	s_or_b64 exec, exec, s[0:1]
	s_and_saveexec_b64 s[0:1], s[10:11]
	s_cbranch_execz .LBB261_1479
.LBB261_1490:
	s_waitcnt lgkmcnt(3)
	v_add_co_u32_e32 v6, vcc, 0x2000, v2
	s_nop 1
	v_addc_co_u32_e32 v7, vcc, 0, v3, vcc
	s_waitcnt lgkmcnt(2)
	global_store_dwordx2 v[6:7], v[4:5], off offset:2048
	s_or_b64 exec, exec, s[0:1]
	s_and_saveexec_b64 s[0:1], s[12:13]
	s_cbranch_execnz .LBB261_1480
	s_branch .LBB261_1481
	.section	.rodata,"a",@progbits
	.p2align	6, 0x0
	.amdhsa_kernel _ZN7rocprim17ROCPRIM_400000_NS6detail17trampoline_kernelINS0_14default_configENS1_37merge_sort_block_sort_config_selectorIlNS0_10empty_typeEEEZNS1_21merge_sort_block_sortIS3_PlS8_PS5_S9_ZN2at6native12_GLOBAL__N_124unique_dim_cuda_templateIaEESt5tupleIJNSA_6TensorESF_SF_EERKSF_lbbbEUlllE_EE10hipError_tT0_T1_T2_T3_mRjT4_P12ihipStream_tbNS1_7vsmem_tEEUlT_E_NS1_11comp_targetILNS1_3genE0ELNS1_11target_archE4294967295ELNS1_3gpuE0ELNS1_3repE0EEENS1_30default_config_static_selectorELNS0_4arch9wavefront6targetE1EEEvSM_
		.amdhsa_group_segment_fixed_size 16896
		.amdhsa_private_segment_fixed_size 0
		.amdhsa_kernarg_size 328
		.amdhsa_user_sgpr_count 2
		.amdhsa_user_sgpr_dispatch_ptr 0
		.amdhsa_user_sgpr_queue_ptr 0
		.amdhsa_user_sgpr_kernarg_segment_ptr 1
		.amdhsa_user_sgpr_dispatch_id 0
		.amdhsa_user_sgpr_kernarg_preload_length 0
		.amdhsa_user_sgpr_kernarg_preload_offset 0
		.amdhsa_user_sgpr_private_segment_size 0
		.amdhsa_uses_dynamic_stack 0
		.amdhsa_enable_private_segment 0
		.amdhsa_system_sgpr_workgroup_id_x 1
		.amdhsa_system_sgpr_workgroup_id_y 1
		.amdhsa_system_sgpr_workgroup_id_z 1
		.amdhsa_system_sgpr_workgroup_info 0
		.amdhsa_system_vgpr_workitem_id 2
		.amdhsa_next_free_vgpr 55
		.amdhsa_next_free_sgpr 66
		.amdhsa_accum_offset 56
		.amdhsa_reserve_vcc 1
		.amdhsa_float_round_mode_32 0
		.amdhsa_float_round_mode_16_64 0
		.amdhsa_float_denorm_mode_32 3
		.amdhsa_float_denorm_mode_16_64 3
		.amdhsa_dx10_clamp 1
		.amdhsa_ieee_mode 1
		.amdhsa_fp16_overflow 0
		.amdhsa_tg_split 0
		.amdhsa_exception_fp_ieee_invalid_op 0
		.amdhsa_exception_fp_denorm_src 0
		.amdhsa_exception_fp_ieee_div_zero 0
		.amdhsa_exception_fp_ieee_overflow 0
		.amdhsa_exception_fp_ieee_underflow 0
		.amdhsa_exception_fp_ieee_inexact 0
		.amdhsa_exception_int_div_zero 0
	.end_amdhsa_kernel
	.section	.text._ZN7rocprim17ROCPRIM_400000_NS6detail17trampoline_kernelINS0_14default_configENS1_37merge_sort_block_sort_config_selectorIlNS0_10empty_typeEEEZNS1_21merge_sort_block_sortIS3_PlS8_PS5_S9_ZN2at6native12_GLOBAL__N_124unique_dim_cuda_templateIaEESt5tupleIJNSA_6TensorESF_SF_EERKSF_lbbbEUlllE_EE10hipError_tT0_T1_T2_T3_mRjT4_P12ihipStream_tbNS1_7vsmem_tEEUlT_E_NS1_11comp_targetILNS1_3genE0ELNS1_11target_archE4294967295ELNS1_3gpuE0ELNS1_3repE0EEENS1_30default_config_static_selectorELNS0_4arch9wavefront6targetE1EEEvSM_,"axG",@progbits,_ZN7rocprim17ROCPRIM_400000_NS6detail17trampoline_kernelINS0_14default_configENS1_37merge_sort_block_sort_config_selectorIlNS0_10empty_typeEEEZNS1_21merge_sort_block_sortIS3_PlS8_PS5_S9_ZN2at6native12_GLOBAL__N_124unique_dim_cuda_templateIaEESt5tupleIJNSA_6TensorESF_SF_EERKSF_lbbbEUlllE_EE10hipError_tT0_T1_T2_T3_mRjT4_P12ihipStream_tbNS1_7vsmem_tEEUlT_E_NS1_11comp_targetILNS1_3genE0ELNS1_11target_archE4294967295ELNS1_3gpuE0ELNS1_3repE0EEENS1_30default_config_static_selectorELNS0_4arch9wavefront6targetE1EEEvSM_,comdat
.Lfunc_end261:
	.size	_ZN7rocprim17ROCPRIM_400000_NS6detail17trampoline_kernelINS0_14default_configENS1_37merge_sort_block_sort_config_selectorIlNS0_10empty_typeEEEZNS1_21merge_sort_block_sortIS3_PlS8_PS5_S9_ZN2at6native12_GLOBAL__N_124unique_dim_cuda_templateIaEESt5tupleIJNSA_6TensorESF_SF_EERKSF_lbbbEUlllE_EE10hipError_tT0_T1_T2_T3_mRjT4_P12ihipStream_tbNS1_7vsmem_tEEUlT_E_NS1_11comp_targetILNS1_3genE0ELNS1_11target_archE4294967295ELNS1_3gpuE0ELNS1_3repE0EEENS1_30default_config_static_selectorELNS0_4arch9wavefront6targetE1EEEvSM_, .Lfunc_end261-_ZN7rocprim17ROCPRIM_400000_NS6detail17trampoline_kernelINS0_14default_configENS1_37merge_sort_block_sort_config_selectorIlNS0_10empty_typeEEEZNS1_21merge_sort_block_sortIS3_PlS8_PS5_S9_ZN2at6native12_GLOBAL__N_124unique_dim_cuda_templateIaEESt5tupleIJNSA_6TensorESF_SF_EERKSF_lbbbEUlllE_EE10hipError_tT0_T1_T2_T3_mRjT4_P12ihipStream_tbNS1_7vsmem_tEEUlT_E_NS1_11comp_targetILNS1_3genE0ELNS1_11target_archE4294967295ELNS1_3gpuE0ELNS1_3repE0EEENS1_30default_config_static_selectorELNS0_4arch9wavefront6targetE1EEEvSM_
                                        ; -- End function
	.set _ZN7rocprim17ROCPRIM_400000_NS6detail17trampoline_kernelINS0_14default_configENS1_37merge_sort_block_sort_config_selectorIlNS0_10empty_typeEEEZNS1_21merge_sort_block_sortIS3_PlS8_PS5_S9_ZN2at6native12_GLOBAL__N_124unique_dim_cuda_templateIaEESt5tupleIJNSA_6TensorESF_SF_EERKSF_lbbbEUlllE_EE10hipError_tT0_T1_T2_T3_mRjT4_P12ihipStream_tbNS1_7vsmem_tEEUlT_E_NS1_11comp_targetILNS1_3genE0ELNS1_11target_archE4294967295ELNS1_3gpuE0ELNS1_3repE0EEENS1_30default_config_static_selectorELNS0_4arch9wavefront6targetE1EEEvSM_.num_vgpr, 55
	.set _ZN7rocprim17ROCPRIM_400000_NS6detail17trampoline_kernelINS0_14default_configENS1_37merge_sort_block_sort_config_selectorIlNS0_10empty_typeEEEZNS1_21merge_sort_block_sortIS3_PlS8_PS5_S9_ZN2at6native12_GLOBAL__N_124unique_dim_cuda_templateIaEESt5tupleIJNSA_6TensorESF_SF_EERKSF_lbbbEUlllE_EE10hipError_tT0_T1_T2_T3_mRjT4_P12ihipStream_tbNS1_7vsmem_tEEUlT_E_NS1_11comp_targetILNS1_3genE0ELNS1_11target_archE4294967295ELNS1_3gpuE0ELNS1_3repE0EEENS1_30default_config_static_selectorELNS0_4arch9wavefront6targetE1EEEvSM_.num_agpr, 0
	.set _ZN7rocprim17ROCPRIM_400000_NS6detail17trampoline_kernelINS0_14default_configENS1_37merge_sort_block_sort_config_selectorIlNS0_10empty_typeEEEZNS1_21merge_sort_block_sortIS3_PlS8_PS5_S9_ZN2at6native12_GLOBAL__N_124unique_dim_cuda_templateIaEESt5tupleIJNSA_6TensorESF_SF_EERKSF_lbbbEUlllE_EE10hipError_tT0_T1_T2_T3_mRjT4_P12ihipStream_tbNS1_7vsmem_tEEUlT_E_NS1_11comp_targetILNS1_3genE0ELNS1_11target_archE4294967295ELNS1_3gpuE0ELNS1_3repE0EEENS1_30default_config_static_selectorELNS0_4arch9wavefront6targetE1EEEvSM_.numbered_sgpr, 66
	.set _ZN7rocprim17ROCPRIM_400000_NS6detail17trampoline_kernelINS0_14default_configENS1_37merge_sort_block_sort_config_selectorIlNS0_10empty_typeEEEZNS1_21merge_sort_block_sortIS3_PlS8_PS5_S9_ZN2at6native12_GLOBAL__N_124unique_dim_cuda_templateIaEESt5tupleIJNSA_6TensorESF_SF_EERKSF_lbbbEUlllE_EE10hipError_tT0_T1_T2_T3_mRjT4_P12ihipStream_tbNS1_7vsmem_tEEUlT_E_NS1_11comp_targetILNS1_3genE0ELNS1_11target_archE4294967295ELNS1_3gpuE0ELNS1_3repE0EEENS1_30default_config_static_selectorELNS0_4arch9wavefront6targetE1EEEvSM_.num_named_barrier, 0
	.set _ZN7rocprim17ROCPRIM_400000_NS6detail17trampoline_kernelINS0_14default_configENS1_37merge_sort_block_sort_config_selectorIlNS0_10empty_typeEEEZNS1_21merge_sort_block_sortIS3_PlS8_PS5_S9_ZN2at6native12_GLOBAL__N_124unique_dim_cuda_templateIaEESt5tupleIJNSA_6TensorESF_SF_EERKSF_lbbbEUlllE_EE10hipError_tT0_T1_T2_T3_mRjT4_P12ihipStream_tbNS1_7vsmem_tEEUlT_E_NS1_11comp_targetILNS1_3genE0ELNS1_11target_archE4294967295ELNS1_3gpuE0ELNS1_3repE0EEENS1_30default_config_static_selectorELNS0_4arch9wavefront6targetE1EEEvSM_.private_seg_size, 0
	.set _ZN7rocprim17ROCPRIM_400000_NS6detail17trampoline_kernelINS0_14default_configENS1_37merge_sort_block_sort_config_selectorIlNS0_10empty_typeEEEZNS1_21merge_sort_block_sortIS3_PlS8_PS5_S9_ZN2at6native12_GLOBAL__N_124unique_dim_cuda_templateIaEESt5tupleIJNSA_6TensorESF_SF_EERKSF_lbbbEUlllE_EE10hipError_tT0_T1_T2_T3_mRjT4_P12ihipStream_tbNS1_7vsmem_tEEUlT_E_NS1_11comp_targetILNS1_3genE0ELNS1_11target_archE4294967295ELNS1_3gpuE0ELNS1_3repE0EEENS1_30default_config_static_selectorELNS0_4arch9wavefront6targetE1EEEvSM_.uses_vcc, 1
	.set _ZN7rocprim17ROCPRIM_400000_NS6detail17trampoline_kernelINS0_14default_configENS1_37merge_sort_block_sort_config_selectorIlNS0_10empty_typeEEEZNS1_21merge_sort_block_sortIS3_PlS8_PS5_S9_ZN2at6native12_GLOBAL__N_124unique_dim_cuda_templateIaEESt5tupleIJNSA_6TensorESF_SF_EERKSF_lbbbEUlllE_EE10hipError_tT0_T1_T2_T3_mRjT4_P12ihipStream_tbNS1_7vsmem_tEEUlT_E_NS1_11comp_targetILNS1_3genE0ELNS1_11target_archE4294967295ELNS1_3gpuE0ELNS1_3repE0EEENS1_30default_config_static_selectorELNS0_4arch9wavefront6targetE1EEEvSM_.uses_flat_scratch, 0
	.set _ZN7rocprim17ROCPRIM_400000_NS6detail17trampoline_kernelINS0_14default_configENS1_37merge_sort_block_sort_config_selectorIlNS0_10empty_typeEEEZNS1_21merge_sort_block_sortIS3_PlS8_PS5_S9_ZN2at6native12_GLOBAL__N_124unique_dim_cuda_templateIaEESt5tupleIJNSA_6TensorESF_SF_EERKSF_lbbbEUlllE_EE10hipError_tT0_T1_T2_T3_mRjT4_P12ihipStream_tbNS1_7vsmem_tEEUlT_E_NS1_11comp_targetILNS1_3genE0ELNS1_11target_archE4294967295ELNS1_3gpuE0ELNS1_3repE0EEENS1_30default_config_static_selectorELNS0_4arch9wavefront6targetE1EEEvSM_.has_dyn_sized_stack, 0
	.set _ZN7rocprim17ROCPRIM_400000_NS6detail17trampoline_kernelINS0_14default_configENS1_37merge_sort_block_sort_config_selectorIlNS0_10empty_typeEEEZNS1_21merge_sort_block_sortIS3_PlS8_PS5_S9_ZN2at6native12_GLOBAL__N_124unique_dim_cuda_templateIaEESt5tupleIJNSA_6TensorESF_SF_EERKSF_lbbbEUlllE_EE10hipError_tT0_T1_T2_T3_mRjT4_P12ihipStream_tbNS1_7vsmem_tEEUlT_E_NS1_11comp_targetILNS1_3genE0ELNS1_11target_archE4294967295ELNS1_3gpuE0ELNS1_3repE0EEENS1_30default_config_static_selectorELNS0_4arch9wavefront6targetE1EEEvSM_.has_recursion, 0
	.set _ZN7rocprim17ROCPRIM_400000_NS6detail17trampoline_kernelINS0_14default_configENS1_37merge_sort_block_sort_config_selectorIlNS0_10empty_typeEEEZNS1_21merge_sort_block_sortIS3_PlS8_PS5_S9_ZN2at6native12_GLOBAL__N_124unique_dim_cuda_templateIaEESt5tupleIJNSA_6TensorESF_SF_EERKSF_lbbbEUlllE_EE10hipError_tT0_T1_T2_T3_mRjT4_P12ihipStream_tbNS1_7vsmem_tEEUlT_E_NS1_11comp_targetILNS1_3genE0ELNS1_11target_archE4294967295ELNS1_3gpuE0ELNS1_3repE0EEENS1_30default_config_static_selectorELNS0_4arch9wavefront6targetE1EEEvSM_.has_indirect_call, 0
	.section	.AMDGPU.csdata,"",@progbits
; Kernel info:
; codeLenInByte = 59788
; TotalNumSgprs: 72
; NumVgprs: 55
; NumAgprs: 0
; TotalNumVgprs: 55
; ScratchSize: 0
; MemoryBound: 0
; FloatMode: 240
; IeeeMode: 1
; LDSByteSize: 16896 bytes/workgroup (compile time only)
; SGPRBlocks: 8
; VGPRBlocks: 6
; NumSGPRsForWavesPerEU: 72
; NumVGPRsForWavesPerEU: 55
; AccumOffset: 56
; Occupancy: 8
; WaveLimiterHint : 1
; COMPUTE_PGM_RSRC2:SCRATCH_EN: 0
; COMPUTE_PGM_RSRC2:USER_SGPR: 2
; COMPUTE_PGM_RSRC2:TRAP_HANDLER: 0
; COMPUTE_PGM_RSRC2:TGID_X_EN: 1
; COMPUTE_PGM_RSRC2:TGID_Y_EN: 1
; COMPUTE_PGM_RSRC2:TGID_Z_EN: 1
; COMPUTE_PGM_RSRC2:TIDIG_COMP_CNT: 2
; COMPUTE_PGM_RSRC3_GFX90A:ACCUM_OFFSET: 13
; COMPUTE_PGM_RSRC3_GFX90A:TG_SPLIT: 0
	.section	.text._ZN7rocprim17ROCPRIM_400000_NS6detail17trampoline_kernelINS0_14default_configENS1_37merge_sort_block_sort_config_selectorIlNS0_10empty_typeEEEZNS1_21merge_sort_block_sortIS3_PlS8_PS5_S9_ZN2at6native12_GLOBAL__N_124unique_dim_cuda_templateIaEESt5tupleIJNSA_6TensorESF_SF_EERKSF_lbbbEUlllE_EE10hipError_tT0_T1_T2_T3_mRjT4_P12ihipStream_tbNS1_7vsmem_tEEUlT_E_NS1_11comp_targetILNS1_3genE5ELNS1_11target_archE942ELNS1_3gpuE9ELNS1_3repE0EEENS1_30default_config_static_selectorELNS0_4arch9wavefront6targetE1EEEvSM_,"axG",@progbits,_ZN7rocprim17ROCPRIM_400000_NS6detail17trampoline_kernelINS0_14default_configENS1_37merge_sort_block_sort_config_selectorIlNS0_10empty_typeEEEZNS1_21merge_sort_block_sortIS3_PlS8_PS5_S9_ZN2at6native12_GLOBAL__N_124unique_dim_cuda_templateIaEESt5tupleIJNSA_6TensorESF_SF_EERKSF_lbbbEUlllE_EE10hipError_tT0_T1_T2_T3_mRjT4_P12ihipStream_tbNS1_7vsmem_tEEUlT_E_NS1_11comp_targetILNS1_3genE5ELNS1_11target_archE942ELNS1_3gpuE9ELNS1_3repE0EEENS1_30default_config_static_selectorELNS0_4arch9wavefront6targetE1EEEvSM_,comdat
	.globl	_ZN7rocprim17ROCPRIM_400000_NS6detail17trampoline_kernelINS0_14default_configENS1_37merge_sort_block_sort_config_selectorIlNS0_10empty_typeEEEZNS1_21merge_sort_block_sortIS3_PlS8_PS5_S9_ZN2at6native12_GLOBAL__N_124unique_dim_cuda_templateIaEESt5tupleIJNSA_6TensorESF_SF_EERKSF_lbbbEUlllE_EE10hipError_tT0_T1_T2_T3_mRjT4_P12ihipStream_tbNS1_7vsmem_tEEUlT_E_NS1_11comp_targetILNS1_3genE5ELNS1_11target_archE942ELNS1_3gpuE9ELNS1_3repE0EEENS1_30default_config_static_selectorELNS0_4arch9wavefront6targetE1EEEvSM_ ; -- Begin function _ZN7rocprim17ROCPRIM_400000_NS6detail17trampoline_kernelINS0_14default_configENS1_37merge_sort_block_sort_config_selectorIlNS0_10empty_typeEEEZNS1_21merge_sort_block_sortIS3_PlS8_PS5_S9_ZN2at6native12_GLOBAL__N_124unique_dim_cuda_templateIaEESt5tupleIJNSA_6TensorESF_SF_EERKSF_lbbbEUlllE_EE10hipError_tT0_T1_T2_T3_mRjT4_P12ihipStream_tbNS1_7vsmem_tEEUlT_E_NS1_11comp_targetILNS1_3genE5ELNS1_11target_archE942ELNS1_3gpuE9ELNS1_3repE0EEENS1_30default_config_static_selectorELNS0_4arch9wavefront6targetE1EEEvSM_
	.p2align	8
	.type	_ZN7rocprim17ROCPRIM_400000_NS6detail17trampoline_kernelINS0_14default_configENS1_37merge_sort_block_sort_config_selectorIlNS0_10empty_typeEEEZNS1_21merge_sort_block_sortIS3_PlS8_PS5_S9_ZN2at6native12_GLOBAL__N_124unique_dim_cuda_templateIaEESt5tupleIJNSA_6TensorESF_SF_EERKSF_lbbbEUlllE_EE10hipError_tT0_T1_T2_T3_mRjT4_P12ihipStream_tbNS1_7vsmem_tEEUlT_E_NS1_11comp_targetILNS1_3genE5ELNS1_11target_archE942ELNS1_3gpuE9ELNS1_3repE0EEENS1_30default_config_static_selectorELNS0_4arch9wavefront6targetE1EEEvSM_,@function
_ZN7rocprim17ROCPRIM_400000_NS6detail17trampoline_kernelINS0_14default_configENS1_37merge_sort_block_sort_config_selectorIlNS0_10empty_typeEEEZNS1_21merge_sort_block_sortIS3_PlS8_PS5_S9_ZN2at6native12_GLOBAL__N_124unique_dim_cuda_templateIaEESt5tupleIJNSA_6TensorESF_SF_EERKSF_lbbbEUlllE_EE10hipError_tT0_T1_T2_T3_mRjT4_P12ihipStream_tbNS1_7vsmem_tEEUlT_E_NS1_11comp_targetILNS1_3genE5ELNS1_11target_archE942ELNS1_3gpuE9ELNS1_3repE0EEENS1_30default_config_static_selectorELNS0_4arch9wavefront6targetE1EEEvSM_: ; @_ZN7rocprim17ROCPRIM_400000_NS6detail17trampoline_kernelINS0_14default_configENS1_37merge_sort_block_sort_config_selectorIlNS0_10empty_typeEEEZNS1_21merge_sort_block_sortIS3_PlS8_PS5_S9_ZN2at6native12_GLOBAL__N_124unique_dim_cuda_templateIaEESt5tupleIJNSA_6TensorESF_SF_EERKSF_lbbbEUlllE_EE10hipError_tT0_T1_T2_T3_mRjT4_P12ihipStream_tbNS1_7vsmem_tEEUlT_E_NS1_11comp_targetILNS1_3genE5ELNS1_11target_archE942ELNS1_3gpuE9ELNS1_3repE0EEENS1_30default_config_static_selectorELNS0_4arch9wavefront6targetE1EEEvSM_
; %bb.0:
	.section	.rodata,"a",@progbits
	.p2align	6, 0x0
	.amdhsa_kernel _ZN7rocprim17ROCPRIM_400000_NS6detail17trampoline_kernelINS0_14default_configENS1_37merge_sort_block_sort_config_selectorIlNS0_10empty_typeEEEZNS1_21merge_sort_block_sortIS3_PlS8_PS5_S9_ZN2at6native12_GLOBAL__N_124unique_dim_cuda_templateIaEESt5tupleIJNSA_6TensorESF_SF_EERKSF_lbbbEUlllE_EE10hipError_tT0_T1_T2_T3_mRjT4_P12ihipStream_tbNS1_7vsmem_tEEUlT_E_NS1_11comp_targetILNS1_3genE5ELNS1_11target_archE942ELNS1_3gpuE9ELNS1_3repE0EEENS1_30default_config_static_selectorELNS0_4arch9wavefront6targetE1EEEvSM_
		.amdhsa_group_segment_fixed_size 0
		.amdhsa_private_segment_fixed_size 0
		.amdhsa_kernarg_size 72
		.amdhsa_user_sgpr_count 2
		.amdhsa_user_sgpr_dispatch_ptr 0
		.amdhsa_user_sgpr_queue_ptr 0
		.amdhsa_user_sgpr_kernarg_segment_ptr 1
		.amdhsa_user_sgpr_dispatch_id 0
		.amdhsa_user_sgpr_kernarg_preload_length 0
		.amdhsa_user_sgpr_kernarg_preload_offset 0
		.amdhsa_user_sgpr_private_segment_size 0
		.amdhsa_uses_dynamic_stack 0
		.amdhsa_enable_private_segment 0
		.amdhsa_system_sgpr_workgroup_id_x 1
		.amdhsa_system_sgpr_workgroup_id_y 0
		.amdhsa_system_sgpr_workgroup_id_z 0
		.amdhsa_system_sgpr_workgroup_info 0
		.amdhsa_system_vgpr_workitem_id 0
		.amdhsa_next_free_vgpr 1
		.amdhsa_next_free_sgpr 0
		.amdhsa_accum_offset 4
		.amdhsa_reserve_vcc 0
		.amdhsa_float_round_mode_32 0
		.amdhsa_float_round_mode_16_64 0
		.amdhsa_float_denorm_mode_32 3
		.amdhsa_float_denorm_mode_16_64 3
		.amdhsa_dx10_clamp 1
		.amdhsa_ieee_mode 1
		.amdhsa_fp16_overflow 0
		.amdhsa_tg_split 0
		.amdhsa_exception_fp_ieee_invalid_op 0
		.amdhsa_exception_fp_denorm_src 0
		.amdhsa_exception_fp_ieee_div_zero 0
		.amdhsa_exception_fp_ieee_overflow 0
		.amdhsa_exception_fp_ieee_underflow 0
		.amdhsa_exception_fp_ieee_inexact 0
		.amdhsa_exception_int_div_zero 0
	.end_amdhsa_kernel
	.section	.text._ZN7rocprim17ROCPRIM_400000_NS6detail17trampoline_kernelINS0_14default_configENS1_37merge_sort_block_sort_config_selectorIlNS0_10empty_typeEEEZNS1_21merge_sort_block_sortIS3_PlS8_PS5_S9_ZN2at6native12_GLOBAL__N_124unique_dim_cuda_templateIaEESt5tupleIJNSA_6TensorESF_SF_EERKSF_lbbbEUlllE_EE10hipError_tT0_T1_T2_T3_mRjT4_P12ihipStream_tbNS1_7vsmem_tEEUlT_E_NS1_11comp_targetILNS1_3genE5ELNS1_11target_archE942ELNS1_3gpuE9ELNS1_3repE0EEENS1_30default_config_static_selectorELNS0_4arch9wavefront6targetE1EEEvSM_,"axG",@progbits,_ZN7rocprim17ROCPRIM_400000_NS6detail17trampoline_kernelINS0_14default_configENS1_37merge_sort_block_sort_config_selectorIlNS0_10empty_typeEEEZNS1_21merge_sort_block_sortIS3_PlS8_PS5_S9_ZN2at6native12_GLOBAL__N_124unique_dim_cuda_templateIaEESt5tupleIJNSA_6TensorESF_SF_EERKSF_lbbbEUlllE_EE10hipError_tT0_T1_T2_T3_mRjT4_P12ihipStream_tbNS1_7vsmem_tEEUlT_E_NS1_11comp_targetILNS1_3genE5ELNS1_11target_archE942ELNS1_3gpuE9ELNS1_3repE0EEENS1_30default_config_static_selectorELNS0_4arch9wavefront6targetE1EEEvSM_,comdat
.Lfunc_end262:
	.size	_ZN7rocprim17ROCPRIM_400000_NS6detail17trampoline_kernelINS0_14default_configENS1_37merge_sort_block_sort_config_selectorIlNS0_10empty_typeEEEZNS1_21merge_sort_block_sortIS3_PlS8_PS5_S9_ZN2at6native12_GLOBAL__N_124unique_dim_cuda_templateIaEESt5tupleIJNSA_6TensorESF_SF_EERKSF_lbbbEUlllE_EE10hipError_tT0_T1_T2_T3_mRjT4_P12ihipStream_tbNS1_7vsmem_tEEUlT_E_NS1_11comp_targetILNS1_3genE5ELNS1_11target_archE942ELNS1_3gpuE9ELNS1_3repE0EEENS1_30default_config_static_selectorELNS0_4arch9wavefront6targetE1EEEvSM_, .Lfunc_end262-_ZN7rocprim17ROCPRIM_400000_NS6detail17trampoline_kernelINS0_14default_configENS1_37merge_sort_block_sort_config_selectorIlNS0_10empty_typeEEEZNS1_21merge_sort_block_sortIS3_PlS8_PS5_S9_ZN2at6native12_GLOBAL__N_124unique_dim_cuda_templateIaEESt5tupleIJNSA_6TensorESF_SF_EERKSF_lbbbEUlllE_EE10hipError_tT0_T1_T2_T3_mRjT4_P12ihipStream_tbNS1_7vsmem_tEEUlT_E_NS1_11comp_targetILNS1_3genE5ELNS1_11target_archE942ELNS1_3gpuE9ELNS1_3repE0EEENS1_30default_config_static_selectorELNS0_4arch9wavefront6targetE1EEEvSM_
                                        ; -- End function
	.set _ZN7rocprim17ROCPRIM_400000_NS6detail17trampoline_kernelINS0_14default_configENS1_37merge_sort_block_sort_config_selectorIlNS0_10empty_typeEEEZNS1_21merge_sort_block_sortIS3_PlS8_PS5_S9_ZN2at6native12_GLOBAL__N_124unique_dim_cuda_templateIaEESt5tupleIJNSA_6TensorESF_SF_EERKSF_lbbbEUlllE_EE10hipError_tT0_T1_T2_T3_mRjT4_P12ihipStream_tbNS1_7vsmem_tEEUlT_E_NS1_11comp_targetILNS1_3genE5ELNS1_11target_archE942ELNS1_3gpuE9ELNS1_3repE0EEENS1_30default_config_static_selectorELNS0_4arch9wavefront6targetE1EEEvSM_.num_vgpr, 0
	.set _ZN7rocprim17ROCPRIM_400000_NS6detail17trampoline_kernelINS0_14default_configENS1_37merge_sort_block_sort_config_selectorIlNS0_10empty_typeEEEZNS1_21merge_sort_block_sortIS3_PlS8_PS5_S9_ZN2at6native12_GLOBAL__N_124unique_dim_cuda_templateIaEESt5tupleIJNSA_6TensorESF_SF_EERKSF_lbbbEUlllE_EE10hipError_tT0_T1_T2_T3_mRjT4_P12ihipStream_tbNS1_7vsmem_tEEUlT_E_NS1_11comp_targetILNS1_3genE5ELNS1_11target_archE942ELNS1_3gpuE9ELNS1_3repE0EEENS1_30default_config_static_selectorELNS0_4arch9wavefront6targetE1EEEvSM_.num_agpr, 0
	.set _ZN7rocprim17ROCPRIM_400000_NS6detail17trampoline_kernelINS0_14default_configENS1_37merge_sort_block_sort_config_selectorIlNS0_10empty_typeEEEZNS1_21merge_sort_block_sortIS3_PlS8_PS5_S9_ZN2at6native12_GLOBAL__N_124unique_dim_cuda_templateIaEESt5tupleIJNSA_6TensorESF_SF_EERKSF_lbbbEUlllE_EE10hipError_tT0_T1_T2_T3_mRjT4_P12ihipStream_tbNS1_7vsmem_tEEUlT_E_NS1_11comp_targetILNS1_3genE5ELNS1_11target_archE942ELNS1_3gpuE9ELNS1_3repE0EEENS1_30default_config_static_selectorELNS0_4arch9wavefront6targetE1EEEvSM_.numbered_sgpr, 0
	.set _ZN7rocprim17ROCPRIM_400000_NS6detail17trampoline_kernelINS0_14default_configENS1_37merge_sort_block_sort_config_selectorIlNS0_10empty_typeEEEZNS1_21merge_sort_block_sortIS3_PlS8_PS5_S9_ZN2at6native12_GLOBAL__N_124unique_dim_cuda_templateIaEESt5tupleIJNSA_6TensorESF_SF_EERKSF_lbbbEUlllE_EE10hipError_tT0_T1_T2_T3_mRjT4_P12ihipStream_tbNS1_7vsmem_tEEUlT_E_NS1_11comp_targetILNS1_3genE5ELNS1_11target_archE942ELNS1_3gpuE9ELNS1_3repE0EEENS1_30default_config_static_selectorELNS0_4arch9wavefront6targetE1EEEvSM_.num_named_barrier, 0
	.set _ZN7rocprim17ROCPRIM_400000_NS6detail17trampoline_kernelINS0_14default_configENS1_37merge_sort_block_sort_config_selectorIlNS0_10empty_typeEEEZNS1_21merge_sort_block_sortIS3_PlS8_PS5_S9_ZN2at6native12_GLOBAL__N_124unique_dim_cuda_templateIaEESt5tupleIJNSA_6TensorESF_SF_EERKSF_lbbbEUlllE_EE10hipError_tT0_T1_T2_T3_mRjT4_P12ihipStream_tbNS1_7vsmem_tEEUlT_E_NS1_11comp_targetILNS1_3genE5ELNS1_11target_archE942ELNS1_3gpuE9ELNS1_3repE0EEENS1_30default_config_static_selectorELNS0_4arch9wavefront6targetE1EEEvSM_.private_seg_size, 0
	.set _ZN7rocprim17ROCPRIM_400000_NS6detail17trampoline_kernelINS0_14default_configENS1_37merge_sort_block_sort_config_selectorIlNS0_10empty_typeEEEZNS1_21merge_sort_block_sortIS3_PlS8_PS5_S9_ZN2at6native12_GLOBAL__N_124unique_dim_cuda_templateIaEESt5tupleIJNSA_6TensorESF_SF_EERKSF_lbbbEUlllE_EE10hipError_tT0_T1_T2_T3_mRjT4_P12ihipStream_tbNS1_7vsmem_tEEUlT_E_NS1_11comp_targetILNS1_3genE5ELNS1_11target_archE942ELNS1_3gpuE9ELNS1_3repE0EEENS1_30default_config_static_selectorELNS0_4arch9wavefront6targetE1EEEvSM_.uses_vcc, 0
	.set _ZN7rocprim17ROCPRIM_400000_NS6detail17trampoline_kernelINS0_14default_configENS1_37merge_sort_block_sort_config_selectorIlNS0_10empty_typeEEEZNS1_21merge_sort_block_sortIS3_PlS8_PS5_S9_ZN2at6native12_GLOBAL__N_124unique_dim_cuda_templateIaEESt5tupleIJNSA_6TensorESF_SF_EERKSF_lbbbEUlllE_EE10hipError_tT0_T1_T2_T3_mRjT4_P12ihipStream_tbNS1_7vsmem_tEEUlT_E_NS1_11comp_targetILNS1_3genE5ELNS1_11target_archE942ELNS1_3gpuE9ELNS1_3repE0EEENS1_30default_config_static_selectorELNS0_4arch9wavefront6targetE1EEEvSM_.uses_flat_scratch, 0
	.set _ZN7rocprim17ROCPRIM_400000_NS6detail17trampoline_kernelINS0_14default_configENS1_37merge_sort_block_sort_config_selectorIlNS0_10empty_typeEEEZNS1_21merge_sort_block_sortIS3_PlS8_PS5_S9_ZN2at6native12_GLOBAL__N_124unique_dim_cuda_templateIaEESt5tupleIJNSA_6TensorESF_SF_EERKSF_lbbbEUlllE_EE10hipError_tT0_T1_T2_T3_mRjT4_P12ihipStream_tbNS1_7vsmem_tEEUlT_E_NS1_11comp_targetILNS1_3genE5ELNS1_11target_archE942ELNS1_3gpuE9ELNS1_3repE0EEENS1_30default_config_static_selectorELNS0_4arch9wavefront6targetE1EEEvSM_.has_dyn_sized_stack, 0
	.set _ZN7rocprim17ROCPRIM_400000_NS6detail17trampoline_kernelINS0_14default_configENS1_37merge_sort_block_sort_config_selectorIlNS0_10empty_typeEEEZNS1_21merge_sort_block_sortIS3_PlS8_PS5_S9_ZN2at6native12_GLOBAL__N_124unique_dim_cuda_templateIaEESt5tupleIJNSA_6TensorESF_SF_EERKSF_lbbbEUlllE_EE10hipError_tT0_T1_T2_T3_mRjT4_P12ihipStream_tbNS1_7vsmem_tEEUlT_E_NS1_11comp_targetILNS1_3genE5ELNS1_11target_archE942ELNS1_3gpuE9ELNS1_3repE0EEENS1_30default_config_static_selectorELNS0_4arch9wavefront6targetE1EEEvSM_.has_recursion, 0
	.set _ZN7rocprim17ROCPRIM_400000_NS6detail17trampoline_kernelINS0_14default_configENS1_37merge_sort_block_sort_config_selectorIlNS0_10empty_typeEEEZNS1_21merge_sort_block_sortIS3_PlS8_PS5_S9_ZN2at6native12_GLOBAL__N_124unique_dim_cuda_templateIaEESt5tupleIJNSA_6TensorESF_SF_EERKSF_lbbbEUlllE_EE10hipError_tT0_T1_T2_T3_mRjT4_P12ihipStream_tbNS1_7vsmem_tEEUlT_E_NS1_11comp_targetILNS1_3genE5ELNS1_11target_archE942ELNS1_3gpuE9ELNS1_3repE0EEENS1_30default_config_static_selectorELNS0_4arch9wavefront6targetE1EEEvSM_.has_indirect_call, 0
	.section	.AMDGPU.csdata,"",@progbits
; Kernel info:
; codeLenInByte = 0
; TotalNumSgprs: 6
; NumVgprs: 0
; NumAgprs: 0
; TotalNumVgprs: 0
; ScratchSize: 0
; MemoryBound: 0
; FloatMode: 240
; IeeeMode: 1
; LDSByteSize: 0 bytes/workgroup (compile time only)
; SGPRBlocks: 0
; VGPRBlocks: 0
; NumSGPRsForWavesPerEU: 6
; NumVGPRsForWavesPerEU: 1
; AccumOffset: 4
; Occupancy: 8
; WaveLimiterHint : 0
; COMPUTE_PGM_RSRC2:SCRATCH_EN: 0
; COMPUTE_PGM_RSRC2:USER_SGPR: 2
; COMPUTE_PGM_RSRC2:TRAP_HANDLER: 0
; COMPUTE_PGM_RSRC2:TGID_X_EN: 1
; COMPUTE_PGM_RSRC2:TGID_Y_EN: 0
; COMPUTE_PGM_RSRC2:TGID_Z_EN: 0
; COMPUTE_PGM_RSRC2:TIDIG_COMP_CNT: 0
; COMPUTE_PGM_RSRC3_GFX90A:ACCUM_OFFSET: 0
; COMPUTE_PGM_RSRC3_GFX90A:TG_SPLIT: 0
	.section	.text._ZN7rocprim17ROCPRIM_400000_NS6detail17trampoline_kernelINS0_14default_configENS1_37merge_sort_block_sort_config_selectorIlNS0_10empty_typeEEEZNS1_21merge_sort_block_sortIS3_PlS8_PS5_S9_ZN2at6native12_GLOBAL__N_124unique_dim_cuda_templateIaEESt5tupleIJNSA_6TensorESF_SF_EERKSF_lbbbEUlllE_EE10hipError_tT0_T1_T2_T3_mRjT4_P12ihipStream_tbNS1_7vsmem_tEEUlT_E_NS1_11comp_targetILNS1_3genE4ELNS1_11target_archE910ELNS1_3gpuE8ELNS1_3repE0EEENS1_30default_config_static_selectorELNS0_4arch9wavefront6targetE1EEEvSM_,"axG",@progbits,_ZN7rocprim17ROCPRIM_400000_NS6detail17trampoline_kernelINS0_14default_configENS1_37merge_sort_block_sort_config_selectorIlNS0_10empty_typeEEEZNS1_21merge_sort_block_sortIS3_PlS8_PS5_S9_ZN2at6native12_GLOBAL__N_124unique_dim_cuda_templateIaEESt5tupleIJNSA_6TensorESF_SF_EERKSF_lbbbEUlllE_EE10hipError_tT0_T1_T2_T3_mRjT4_P12ihipStream_tbNS1_7vsmem_tEEUlT_E_NS1_11comp_targetILNS1_3genE4ELNS1_11target_archE910ELNS1_3gpuE8ELNS1_3repE0EEENS1_30default_config_static_selectorELNS0_4arch9wavefront6targetE1EEEvSM_,comdat
	.globl	_ZN7rocprim17ROCPRIM_400000_NS6detail17trampoline_kernelINS0_14default_configENS1_37merge_sort_block_sort_config_selectorIlNS0_10empty_typeEEEZNS1_21merge_sort_block_sortIS3_PlS8_PS5_S9_ZN2at6native12_GLOBAL__N_124unique_dim_cuda_templateIaEESt5tupleIJNSA_6TensorESF_SF_EERKSF_lbbbEUlllE_EE10hipError_tT0_T1_T2_T3_mRjT4_P12ihipStream_tbNS1_7vsmem_tEEUlT_E_NS1_11comp_targetILNS1_3genE4ELNS1_11target_archE910ELNS1_3gpuE8ELNS1_3repE0EEENS1_30default_config_static_selectorELNS0_4arch9wavefront6targetE1EEEvSM_ ; -- Begin function _ZN7rocprim17ROCPRIM_400000_NS6detail17trampoline_kernelINS0_14default_configENS1_37merge_sort_block_sort_config_selectorIlNS0_10empty_typeEEEZNS1_21merge_sort_block_sortIS3_PlS8_PS5_S9_ZN2at6native12_GLOBAL__N_124unique_dim_cuda_templateIaEESt5tupleIJNSA_6TensorESF_SF_EERKSF_lbbbEUlllE_EE10hipError_tT0_T1_T2_T3_mRjT4_P12ihipStream_tbNS1_7vsmem_tEEUlT_E_NS1_11comp_targetILNS1_3genE4ELNS1_11target_archE910ELNS1_3gpuE8ELNS1_3repE0EEENS1_30default_config_static_selectorELNS0_4arch9wavefront6targetE1EEEvSM_
	.p2align	8
	.type	_ZN7rocprim17ROCPRIM_400000_NS6detail17trampoline_kernelINS0_14default_configENS1_37merge_sort_block_sort_config_selectorIlNS0_10empty_typeEEEZNS1_21merge_sort_block_sortIS3_PlS8_PS5_S9_ZN2at6native12_GLOBAL__N_124unique_dim_cuda_templateIaEESt5tupleIJNSA_6TensorESF_SF_EERKSF_lbbbEUlllE_EE10hipError_tT0_T1_T2_T3_mRjT4_P12ihipStream_tbNS1_7vsmem_tEEUlT_E_NS1_11comp_targetILNS1_3genE4ELNS1_11target_archE910ELNS1_3gpuE8ELNS1_3repE0EEENS1_30default_config_static_selectorELNS0_4arch9wavefront6targetE1EEEvSM_,@function
_ZN7rocprim17ROCPRIM_400000_NS6detail17trampoline_kernelINS0_14default_configENS1_37merge_sort_block_sort_config_selectorIlNS0_10empty_typeEEEZNS1_21merge_sort_block_sortIS3_PlS8_PS5_S9_ZN2at6native12_GLOBAL__N_124unique_dim_cuda_templateIaEESt5tupleIJNSA_6TensorESF_SF_EERKSF_lbbbEUlllE_EE10hipError_tT0_T1_T2_T3_mRjT4_P12ihipStream_tbNS1_7vsmem_tEEUlT_E_NS1_11comp_targetILNS1_3genE4ELNS1_11target_archE910ELNS1_3gpuE8ELNS1_3repE0EEENS1_30default_config_static_selectorELNS0_4arch9wavefront6targetE1EEEvSM_: ; @_ZN7rocprim17ROCPRIM_400000_NS6detail17trampoline_kernelINS0_14default_configENS1_37merge_sort_block_sort_config_selectorIlNS0_10empty_typeEEEZNS1_21merge_sort_block_sortIS3_PlS8_PS5_S9_ZN2at6native12_GLOBAL__N_124unique_dim_cuda_templateIaEESt5tupleIJNSA_6TensorESF_SF_EERKSF_lbbbEUlllE_EE10hipError_tT0_T1_T2_T3_mRjT4_P12ihipStream_tbNS1_7vsmem_tEEUlT_E_NS1_11comp_targetILNS1_3genE4ELNS1_11target_archE910ELNS1_3gpuE8ELNS1_3repE0EEENS1_30default_config_static_selectorELNS0_4arch9wavefront6targetE1EEEvSM_
; %bb.0:
	.section	.rodata,"a",@progbits
	.p2align	6, 0x0
	.amdhsa_kernel _ZN7rocprim17ROCPRIM_400000_NS6detail17trampoline_kernelINS0_14default_configENS1_37merge_sort_block_sort_config_selectorIlNS0_10empty_typeEEEZNS1_21merge_sort_block_sortIS3_PlS8_PS5_S9_ZN2at6native12_GLOBAL__N_124unique_dim_cuda_templateIaEESt5tupleIJNSA_6TensorESF_SF_EERKSF_lbbbEUlllE_EE10hipError_tT0_T1_T2_T3_mRjT4_P12ihipStream_tbNS1_7vsmem_tEEUlT_E_NS1_11comp_targetILNS1_3genE4ELNS1_11target_archE910ELNS1_3gpuE8ELNS1_3repE0EEENS1_30default_config_static_selectorELNS0_4arch9wavefront6targetE1EEEvSM_
		.amdhsa_group_segment_fixed_size 0
		.amdhsa_private_segment_fixed_size 0
		.amdhsa_kernarg_size 72
		.amdhsa_user_sgpr_count 2
		.amdhsa_user_sgpr_dispatch_ptr 0
		.amdhsa_user_sgpr_queue_ptr 0
		.amdhsa_user_sgpr_kernarg_segment_ptr 1
		.amdhsa_user_sgpr_dispatch_id 0
		.amdhsa_user_sgpr_kernarg_preload_length 0
		.amdhsa_user_sgpr_kernarg_preload_offset 0
		.amdhsa_user_sgpr_private_segment_size 0
		.amdhsa_uses_dynamic_stack 0
		.amdhsa_enable_private_segment 0
		.amdhsa_system_sgpr_workgroup_id_x 1
		.amdhsa_system_sgpr_workgroup_id_y 0
		.amdhsa_system_sgpr_workgroup_id_z 0
		.amdhsa_system_sgpr_workgroup_info 0
		.amdhsa_system_vgpr_workitem_id 0
		.amdhsa_next_free_vgpr 1
		.amdhsa_next_free_sgpr 0
		.amdhsa_accum_offset 4
		.amdhsa_reserve_vcc 0
		.amdhsa_float_round_mode_32 0
		.amdhsa_float_round_mode_16_64 0
		.amdhsa_float_denorm_mode_32 3
		.amdhsa_float_denorm_mode_16_64 3
		.amdhsa_dx10_clamp 1
		.amdhsa_ieee_mode 1
		.amdhsa_fp16_overflow 0
		.amdhsa_tg_split 0
		.amdhsa_exception_fp_ieee_invalid_op 0
		.amdhsa_exception_fp_denorm_src 0
		.amdhsa_exception_fp_ieee_div_zero 0
		.amdhsa_exception_fp_ieee_overflow 0
		.amdhsa_exception_fp_ieee_underflow 0
		.amdhsa_exception_fp_ieee_inexact 0
		.amdhsa_exception_int_div_zero 0
	.end_amdhsa_kernel
	.section	.text._ZN7rocprim17ROCPRIM_400000_NS6detail17trampoline_kernelINS0_14default_configENS1_37merge_sort_block_sort_config_selectorIlNS0_10empty_typeEEEZNS1_21merge_sort_block_sortIS3_PlS8_PS5_S9_ZN2at6native12_GLOBAL__N_124unique_dim_cuda_templateIaEESt5tupleIJNSA_6TensorESF_SF_EERKSF_lbbbEUlllE_EE10hipError_tT0_T1_T2_T3_mRjT4_P12ihipStream_tbNS1_7vsmem_tEEUlT_E_NS1_11comp_targetILNS1_3genE4ELNS1_11target_archE910ELNS1_3gpuE8ELNS1_3repE0EEENS1_30default_config_static_selectorELNS0_4arch9wavefront6targetE1EEEvSM_,"axG",@progbits,_ZN7rocprim17ROCPRIM_400000_NS6detail17trampoline_kernelINS0_14default_configENS1_37merge_sort_block_sort_config_selectorIlNS0_10empty_typeEEEZNS1_21merge_sort_block_sortIS3_PlS8_PS5_S9_ZN2at6native12_GLOBAL__N_124unique_dim_cuda_templateIaEESt5tupleIJNSA_6TensorESF_SF_EERKSF_lbbbEUlllE_EE10hipError_tT0_T1_T2_T3_mRjT4_P12ihipStream_tbNS1_7vsmem_tEEUlT_E_NS1_11comp_targetILNS1_3genE4ELNS1_11target_archE910ELNS1_3gpuE8ELNS1_3repE0EEENS1_30default_config_static_selectorELNS0_4arch9wavefront6targetE1EEEvSM_,comdat
.Lfunc_end263:
	.size	_ZN7rocprim17ROCPRIM_400000_NS6detail17trampoline_kernelINS0_14default_configENS1_37merge_sort_block_sort_config_selectorIlNS0_10empty_typeEEEZNS1_21merge_sort_block_sortIS3_PlS8_PS5_S9_ZN2at6native12_GLOBAL__N_124unique_dim_cuda_templateIaEESt5tupleIJNSA_6TensorESF_SF_EERKSF_lbbbEUlllE_EE10hipError_tT0_T1_T2_T3_mRjT4_P12ihipStream_tbNS1_7vsmem_tEEUlT_E_NS1_11comp_targetILNS1_3genE4ELNS1_11target_archE910ELNS1_3gpuE8ELNS1_3repE0EEENS1_30default_config_static_selectorELNS0_4arch9wavefront6targetE1EEEvSM_, .Lfunc_end263-_ZN7rocprim17ROCPRIM_400000_NS6detail17trampoline_kernelINS0_14default_configENS1_37merge_sort_block_sort_config_selectorIlNS0_10empty_typeEEEZNS1_21merge_sort_block_sortIS3_PlS8_PS5_S9_ZN2at6native12_GLOBAL__N_124unique_dim_cuda_templateIaEESt5tupleIJNSA_6TensorESF_SF_EERKSF_lbbbEUlllE_EE10hipError_tT0_T1_T2_T3_mRjT4_P12ihipStream_tbNS1_7vsmem_tEEUlT_E_NS1_11comp_targetILNS1_3genE4ELNS1_11target_archE910ELNS1_3gpuE8ELNS1_3repE0EEENS1_30default_config_static_selectorELNS0_4arch9wavefront6targetE1EEEvSM_
                                        ; -- End function
	.set _ZN7rocprim17ROCPRIM_400000_NS6detail17trampoline_kernelINS0_14default_configENS1_37merge_sort_block_sort_config_selectorIlNS0_10empty_typeEEEZNS1_21merge_sort_block_sortIS3_PlS8_PS5_S9_ZN2at6native12_GLOBAL__N_124unique_dim_cuda_templateIaEESt5tupleIJNSA_6TensorESF_SF_EERKSF_lbbbEUlllE_EE10hipError_tT0_T1_T2_T3_mRjT4_P12ihipStream_tbNS1_7vsmem_tEEUlT_E_NS1_11comp_targetILNS1_3genE4ELNS1_11target_archE910ELNS1_3gpuE8ELNS1_3repE0EEENS1_30default_config_static_selectorELNS0_4arch9wavefront6targetE1EEEvSM_.num_vgpr, 0
	.set _ZN7rocprim17ROCPRIM_400000_NS6detail17trampoline_kernelINS0_14default_configENS1_37merge_sort_block_sort_config_selectorIlNS0_10empty_typeEEEZNS1_21merge_sort_block_sortIS3_PlS8_PS5_S9_ZN2at6native12_GLOBAL__N_124unique_dim_cuda_templateIaEESt5tupleIJNSA_6TensorESF_SF_EERKSF_lbbbEUlllE_EE10hipError_tT0_T1_T2_T3_mRjT4_P12ihipStream_tbNS1_7vsmem_tEEUlT_E_NS1_11comp_targetILNS1_3genE4ELNS1_11target_archE910ELNS1_3gpuE8ELNS1_3repE0EEENS1_30default_config_static_selectorELNS0_4arch9wavefront6targetE1EEEvSM_.num_agpr, 0
	.set _ZN7rocprim17ROCPRIM_400000_NS6detail17trampoline_kernelINS0_14default_configENS1_37merge_sort_block_sort_config_selectorIlNS0_10empty_typeEEEZNS1_21merge_sort_block_sortIS3_PlS8_PS5_S9_ZN2at6native12_GLOBAL__N_124unique_dim_cuda_templateIaEESt5tupleIJNSA_6TensorESF_SF_EERKSF_lbbbEUlllE_EE10hipError_tT0_T1_T2_T3_mRjT4_P12ihipStream_tbNS1_7vsmem_tEEUlT_E_NS1_11comp_targetILNS1_3genE4ELNS1_11target_archE910ELNS1_3gpuE8ELNS1_3repE0EEENS1_30default_config_static_selectorELNS0_4arch9wavefront6targetE1EEEvSM_.numbered_sgpr, 0
	.set _ZN7rocprim17ROCPRIM_400000_NS6detail17trampoline_kernelINS0_14default_configENS1_37merge_sort_block_sort_config_selectorIlNS0_10empty_typeEEEZNS1_21merge_sort_block_sortIS3_PlS8_PS5_S9_ZN2at6native12_GLOBAL__N_124unique_dim_cuda_templateIaEESt5tupleIJNSA_6TensorESF_SF_EERKSF_lbbbEUlllE_EE10hipError_tT0_T1_T2_T3_mRjT4_P12ihipStream_tbNS1_7vsmem_tEEUlT_E_NS1_11comp_targetILNS1_3genE4ELNS1_11target_archE910ELNS1_3gpuE8ELNS1_3repE0EEENS1_30default_config_static_selectorELNS0_4arch9wavefront6targetE1EEEvSM_.num_named_barrier, 0
	.set _ZN7rocprim17ROCPRIM_400000_NS6detail17trampoline_kernelINS0_14default_configENS1_37merge_sort_block_sort_config_selectorIlNS0_10empty_typeEEEZNS1_21merge_sort_block_sortIS3_PlS8_PS5_S9_ZN2at6native12_GLOBAL__N_124unique_dim_cuda_templateIaEESt5tupleIJNSA_6TensorESF_SF_EERKSF_lbbbEUlllE_EE10hipError_tT0_T1_T2_T3_mRjT4_P12ihipStream_tbNS1_7vsmem_tEEUlT_E_NS1_11comp_targetILNS1_3genE4ELNS1_11target_archE910ELNS1_3gpuE8ELNS1_3repE0EEENS1_30default_config_static_selectorELNS0_4arch9wavefront6targetE1EEEvSM_.private_seg_size, 0
	.set _ZN7rocprim17ROCPRIM_400000_NS6detail17trampoline_kernelINS0_14default_configENS1_37merge_sort_block_sort_config_selectorIlNS0_10empty_typeEEEZNS1_21merge_sort_block_sortIS3_PlS8_PS5_S9_ZN2at6native12_GLOBAL__N_124unique_dim_cuda_templateIaEESt5tupleIJNSA_6TensorESF_SF_EERKSF_lbbbEUlllE_EE10hipError_tT0_T1_T2_T3_mRjT4_P12ihipStream_tbNS1_7vsmem_tEEUlT_E_NS1_11comp_targetILNS1_3genE4ELNS1_11target_archE910ELNS1_3gpuE8ELNS1_3repE0EEENS1_30default_config_static_selectorELNS0_4arch9wavefront6targetE1EEEvSM_.uses_vcc, 0
	.set _ZN7rocprim17ROCPRIM_400000_NS6detail17trampoline_kernelINS0_14default_configENS1_37merge_sort_block_sort_config_selectorIlNS0_10empty_typeEEEZNS1_21merge_sort_block_sortIS3_PlS8_PS5_S9_ZN2at6native12_GLOBAL__N_124unique_dim_cuda_templateIaEESt5tupleIJNSA_6TensorESF_SF_EERKSF_lbbbEUlllE_EE10hipError_tT0_T1_T2_T3_mRjT4_P12ihipStream_tbNS1_7vsmem_tEEUlT_E_NS1_11comp_targetILNS1_3genE4ELNS1_11target_archE910ELNS1_3gpuE8ELNS1_3repE0EEENS1_30default_config_static_selectorELNS0_4arch9wavefront6targetE1EEEvSM_.uses_flat_scratch, 0
	.set _ZN7rocprim17ROCPRIM_400000_NS6detail17trampoline_kernelINS0_14default_configENS1_37merge_sort_block_sort_config_selectorIlNS0_10empty_typeEEEZNS1_21merge_sort_block_sortIS3_PlS8_PS5_S9_ZN2at6native12_GLOBAL__N_124unique_dim_cuda_templateIaEESt5tupleIJNSA_6TensorESF_SF_EERKSF_lbbbEUlllE_EE10hipError_tT0_T1_T2_T3_mRjT4_P12ihipStream_tbNS1_7vsmem_tEEUlT_E_NS1_11comp_targetILNS1_3genE4ELNS1_11target_archE910ELNS1_3gpuE8ELNS1_3repE0EEENS1_30default_config_static_selectorELNS0_4arch9wavefront6targetE1EEEvSM_.has_dyn_sized_stack, 0
	.set _ZN7rocprim17ROCPRIM_400000_NS6detail17trampoline_kernelINS0_14default_configENS1_37merge_sort_block_sort_config_selectorIlNS0_10empty_typeEEEZNS1_21merge_sort_block_sortIS3_PlS8_PS5_S9_ZN2at6native12_GLOBAL__N_124unique_dim_cuda_templateIaEESt5tupleIJNSA_6TensorESF_SF_EERKSF_lbbbEUlllE_EE10hipError_tT0_T1_T2_T3_mRjT4_P12ihipStream_tbNS1_7vsmem_tEEUlT_E_NS1_11comp_targetILNS1_3genE4ELNS1_11target_archE910ELNS1_3gpuE8ELNS1_3repE0EEENS1_30default_config_static_selectorELNS0_4arch9wavefront6targetE1EEEvSM_.has_recursion, 0
	.set _ZN7rocprim17ROCPRIM_400000_NS6detail17trampoline_kernelINS0_14default_configENS1_37merge_sort_block_sort_config_selectorIlNS0_10empty_typeEEEZNS1_21merge_sort_block_sortIS3_PlS8_PS5_S9_ZN2at6native12_GLOBAL__N_124unique_dim_cuda_templateIaEESt5tupleIJNSA_6TensorESF_SF_EERKSF_lbbbEUlllE_EE10hipError_tT0_T1_T2_T3_mRjT4_P12ihipStream_tbNS1_7vsmem_tEEUlT_E_NS1_11comp_targetILNS1_3genE4ELNS1_11target_archE910ELNS1_3gpuE8ELNS1_3repE0EEENS1_30default_config_static_selectorELNS0_4arch9wavefront6targetE1EEEvSM_.has_indirect_call, 0
	.section	.AMDGPU.csdata,"",@progbits
; Kernel info:
; codeLenInByte = 0
; TotalNumSgprs: 6
; NumVgprs: 0
; NumAgprs: 0
; TotalNumVgprs: 0
; ScratchSize: 0
; MemoryBound: 0
; FloatMode: 240
; IeeeMode: 1
; LDSByteSize: 0 bytes/workgroup (compile time only)
; SGPRBlocks: 0
; VGPRBlocks: 0
; NumSGPRsForWavesPerEU: 6
; NumVGPRsForWavesPerEU: 1
; AccumOffset: 4
; Occupancy: 8
; WaveLimiterHint : 0
; COMPUTE_PGM_RSRC2:SCRATCH_EN: 0
; COMPUTE_PGM_RSRC2:USER_SGPR: 2
; COMPUTE_PGM_RSRC2:TRAP_HANDLER: 0
; COMPUTE_PGM_RSRC2:TGID_X_EN: 1
; COMPUTE_PGM_RSRC2:TGID_Y_EN: 0
; COMPUTE_PGM_RSRC2:TGID_Z_EN: 0
; COMPUTE_PGM_RSRC2:TIDIG_COMP_CNT: 0
; COMPUTE_PGM_RSRC3_GFX90A:ACCUM_OFFSET: 0
; COMPUTE_PGM_RSRC3_GFX90A:TG_SPLIT: 0
	.section	.text._ZN7rocprim17ROCPRIM_400000_NS6detail17trampoline_kernelINS0_14default_configENS1_37merge_sort_block_sort_config_selectorIlNS0_10empty_typeEEEZNS1_21merge_sort_block_sortIS3_PlS8_PS5_S9_ZN2at6native12_GLOBAL__N_124unique_dim_cuda_templateIaEESt5tupleIJNSA_6TensorESF_SF_EERKSF_lbbbEUlllE_EE10hipError_tT0_T1_T2_T3_mRjT4_P12ihipStream_tbNS1_7vsmem_tEEUlT_E_NS1_11comp_targetILNS1_3genE3ELNS1_11target_archE908ELNS1_3gpuE7ELNS1_3repE0EEENS1_30default_config_static_selectorELNS0_4arch9wavefront6targetE1EEEvSM_,"axG",@progbits,_ZN7rocprim17ROCPRIM_400000_NS6detail17trampoline_kernelINS0_14default_configENS1_37merge_sort_block_sort_config_selectorIlNS0_10empty_typeEEEZNS1_21merge_sort_block_sortIS3_PlS8_PS5_S9_ZN2at6native12_GLOBAL__N_124unique_dim_cuda_templateIaEESt5tupleIJNSA_6TensorESF_SF_EERKSF_lbbbEUlllE_EE10hipError_tT0_T1_T2_T3_mRjT4_P12ihipStream_tbNS1_7vsmem_tEEUlT_E_NS1_11comp_targetILNS1_3genE3ELNS1_11target_archE908ELNS1_3gpuE7ELNS1_3repE0EEENS1_30default_config_static_selectorELNS0_4arch9wavefront6targetE1EEEvSM_,comdat
	.globl	_ZN7rocprim17ROCPRIM_400000_NS6detail17trampoline_kernelINS0_14default_configENS1_37merge_sort_block_sort_config_selectorIlNS0_10empty_typeEEEZNS1_21merge_sort_block_sortIS3_PlS8_PS5_S9_ZN2at6native12_GLOBAL__N_124unique_dim_cuda_templateIaEESt5tupleIJNSA_6TensorESF_SF_EERKSF_lbbbEUlllE_EE10hipError_tT0_T1_T2_T3_mRjT4_P12ihipStream_tbNS1_7vsmem_tEEUlT_E_NS1_11comp_targetILNS1_3genE3ELNS1_11target_archE908ELNS1_3gpuE7ELNS1_3repE0EEENS1_30default_config_static_selectorELNS0_4arch9wavefront6targetE1EEEvSM_ ; -- Begin function _ZN7rocprim17ROCPRIM_400000_NS6detail17trampoline_kernelINS0_14default_configENS1_37merge_sort_block_sort_config_selectorIlNS0_10empty_typeEEEZNS1_21merge_sort_block_sortIS3_PlS8_PS5_S9_ZN2at6native12_GLOBAL__N_124unique_dim_cuda_templateIaEESt5tupleIJNSA_6TensorESF_SF_EERKSF_lbbbEUlllE_EE10hipError_tT0_T1_T2_T3_mRjT4_P12ihipStream_tbNS1_7vsmem_tEEUlT_E_NS1_11comp_targetILNS1_3genE3ELNS1_11target_archE908ELNS1_3gpuE7ELNS1_3repE0EEENS1_30default_config_static_selectorELNS0_4arch9wavefront6targetE1EEEvSM_
	.p2align	8
	.type	_ZN7rocprim17ROCPRIM_400000_NS6detail17trampoline_kernelINS0_14default_configENS1_37merge_sort_block_sort_config_selectorIlNS0_10empty_typeEEEZNS1_21merge_sort_block_sortIS3_PlS8_PS5_S9_ZN2at6native12_GLOBAL__N_124unique_dim_cuda_templateIaEESt5tupleIJNSA_6TensorESF_SF_EERKSF_lbbbEUlllE_EE10hipError_tT0_T1_T2_T3_mRjT4_P12ihipStream_tbNS1_7vsmem_tEEUlT_E_NS1_11comp_targetILNS1_3genE3ELNS1_11target_archE908ELNS1_3gpuE7ELNS1_3repE0EEENS1_30default_config_static_selectorELNS0_4arch9wavefront6targetE1EEEvSM_,@function
_ZN7rocprim17ROCPRIM_400000_NS6detail17trampoline_kernelINS0_14default_configENS1_37merge_sort_block_sort_config_selectorIlNS0_10empty_typeEEEZNS1_21merge_sort_block_sortIS3_PlS8_PS5_S9_ZN2at6native12_GLOBAL__N_124unique_dim_cuda_templateIaEESt5tupleIJNSA_6TensorESF_SF_EERKSF_lbbbEUlllE_EE10hipError_tT0_T1_T2_T3_mRjT4_P12ihipStream_tbNS1_7vsmem_tEEUlT_E_NS1_11comp_targetILNS1_3genE3ELNS1_11target_archE908ELNS1_3gpuE7ELNS1_3repE0EEENS1_30default_config_static_selectorELNS0_4arch9wavefront6targetE1EEEvSM_: ; @_ZN7rocprim17ROCPRIM_400000_NS6detail17trampoline_kernelINS0_14default_configENS1_37merge_sort_block_sort_config_selectorIlNS0_10empty_typeEEEZNS1_21merge_sort_block_sortIS3_PlS8_PS5_S9_ZN2at6native12_GLOBAL__N_124unique_dim_cuda_templateIaEESt5tupleIJNSA_6TensorESF_SF_EERKSF_lbbbEUlllE_EE10hipError_tT0_T1_T2_T3_mRjT4_P12ihipStream_tbNS1_7vsmem_tEEUlT_E_NS1_11comp_targetILNS1_3genE3ELNS1_11target_archE908ELNS1_3gpuE7ELNS1_3repE0EEENS1_30default_config_static_selectorELNS0_4arch9wavefront6targetE1EEEvSM_
; %bb.0:
	.section	.rodata,"a",@progbits
	.p2align	6, 0x0
	.amdhsa_kernel _ZN7rocprim17ROCPRIM_400000_NS6detail17trampoline_kernelINS0_14default_configENS1_37merge_sort_block_sort_config_selectorIlNS0_10empty_typeEEEZNS1_21merge_sort_block_sortIS3_PlS8_PS5_S9_ZN2at6native12_GLOBAL__N_124unique_dim_cuda_templateIaEESt5tupleIJNSA_6TensorESF_SF_EERKSF_lbbbEUlllE_EE10hipError_tT0_T1_T2_T3_mRjT4_P12ihipStream_tbNS1_7vsmem_tEEUlT_E_NS1_11comp_targetILNS1_3genE3ELNS1_11target_archE908ELNS1_3gpuE7ELNS1_3repE0EEENS1_30default_config_static_selectorELNS0_4arch9wavefront6targetE1EEEvSM_
		.amdhsa_group_segment_fixed_size 0
		.amdhsa_private_segment_fixed_size 0
		.amdhsa_kernarg_size 72
		.amdhsa_user_sgpr_count 2
		.amdhsa_user_sgpr_dispatch_ptr 0
		.amdhsa_user_sgpr_queue_ptr 0
		.amdhsa_user_sgpr_kernarg_segment_ptr 1
		.amdhsa_user_sgpr_dispatch_id 0
		.amdhsa_user_sgpr_kernarg_preload_length 0
		.amdhsa_user_sgpr_kernarg_preload_offset 0
		.amdhsa_user_sgpr_private_segment_size 0
		.amdhsa_uses_dynamic_stack 0
		.amdhsa_enable_private_segment 0
		.amdhsa_system_sgpr_workgroup_id_x 1
		.amdhsa_system_sgpr_workgroup_id_y 0
		.amdhsa_system_sgpr_workgroup_id_z 0
		.amdhsa_system_sgpr_workgroup_info 0
		.amdhsa_system_vgpr_workitem_id 0
		.amdhsa_next_free_vgpr 1
		.amdhsa_next_free_sgpr 0
		.amdhsa_accum_offset 4
		.amdhsa_reserve_vcc 0
		.amdhsa_float_round_mode_32 0
		.amdhsa_float_round_mode_16_64 0
		.amdhsa_float_denorm_mode_32 3
		.amdhsa_float_denorm_mode_16_64 3
		.amdhsa_dx10_clamp 1
		.amdhsa_ieee_mode 1
		.amdhsa_fp16_overflow 0
		.amdhsa_tg_split 0
		.amdhsa_exception_fp_ieee_invalid_op 0
		.amdhsa_exception_fp_denorm_src 0
		.amdhsa_exception_fp_ieee_div_zero 0
		.amdhsa_exception_fp_ieee_overflow 0
		.amdhsa_exception_fp_ieee_underflow 0
		.amdhsa_exception_fp_ieee_inexact 0
		.amdhsa_exception_int_div_zero 0
	.end_amdhsa_kernel
	.section	.text._ZN7rocprim17ROCPRIM_400000_NS6detail17trampoline_kernelINS0_14default_configENS1_37merge_sort_block_sort_config_selectorIlNS0_10empty_typeEEEZNS1_21merge_sort_block_sortIS3_PlS8_PS5_S9_ZN2at6native12_GLOBAL__N_124unique_dim_cuda_templateIaEESt5tupleIJNSA_6TensorESF_SF_EERKSF_lbbbEUlllE_EE10hipError_tT0_T1_T2_T3_mRjT4_P12ihipStream_tbNS1_7vsmem_tEEUlT_E_NS1_11comp_targetILNS1_3genE3ELNS1_11target_archE908ELNS1_3gpuE7ELNS1_3repE0EEENS1_30default_config_static_selectorELNS0_4arch9wavefront6targetE1EEEvSM_,"axG",@progbits,_ZN7rocprim17ROCPRIM_400000_NS6detail17trampoline_kernelINS0_14default_configENS1_37merge_sort_block_sort_config_selectorIlNS0_10empty_typeEEEZNS1_21merge_sort_block_sortIS3_PlS8_PS5_S9_ZN2at6native12_GLOBAL__N_124unique_dim_cuda_templateIaEESt5tupleIJNSA_6TensorESF_SF_EERKSF_lbbbEUlllE_EE10hipError_tT0_T1_T2_T3_mRjT4_P12ihipStream_tbNS1_7vsmem_tEEUlT_E_NS1_11comp_targetILNS1_3genE3ELNS1_11target_archE908ELNS1_3gpuE7ELNS1_3repE0EEENS1_30default_config_static_selectorELNS0_4arch9wavefront6targetE1EEEvSM_,comdat
.Lfunc_end264:
	.size	_ZN7rocprim17ROCPRIM_400000_NS6detail17trampoline_kernelINS0_14default_configENS1_37merge_sort_block_sort_config_selectorIlNS0_10empty_typeEEEZNS1_21merge_sort_block_sortIS3_PlS8_PS5_S9_ZN2at6native12_GLOBAL__N_124unique_dim_cuda_templateIaEESt5tupleIJNSA_6TensorESF_SF_EERKSF_lbbbEUlllE_EE10hipError_tT0_T1_T2_T3_mRjT4_P12ihipStream_tbNS1_7vsmem_tEEUlT_E_NS1_11comp_targetILNS1_3genE3ELNS1_11target_archE908ELNS1_3gpuE7ELNS1_3repE0EEENS1_30default_config_static_selectorELNS0_4arch9wavefront6targetE1EEEvSM_, .Lfunc_end264-_ZN7rocprim17ROCPRIM_400000_NS6detail17trampoline_kernelINS0_14default_configENS1_37merge_sort_block_sort_config_selectorIlNS0_10empty_typeEEEZNS1_21merge_sort_block_sortIS3_PlS8_PS5_S9_ZN2at6native12_GLOBAL__N_124unique_dim_cuda_templateIaEESt5tupleIJNSA_6TensorESF_SF_EERKSF_lbbbEUlllE_EE10hipError_tT0_T1_T2_T3_mRjT4_P12ihipStream_tbNS1_7vsmem_tEEUlT_E_NS1_11comp_targetILNS1_3genE3ELNS1_11target_archE908ELNS1_3gpuE7ELNS1_3repE0EEENS1_30default_config_static_selectorELNS0_4arch9wavefront6targetE1EEEvSM_
                                        ; -- End function
	.set _ZN7rocprim17ROCPRIM_400000_NS6detail17trampoline_kernelINS0_14default_configENS1_37merge_sort_block_sort_config_selectorIlNS0_10empty_typeEEEZNS1_21merge_sort_block_sortIS3_PlS8_PS5_S9_ZN2at6native12_GLOBAL__N_124unique_dim_cuda_templateIaEESt5tupleIJNSA_6TensorESF_SF_EERKSF_lbbbEUlllE_EE10hipError_tT0_T1_T2_T3_mRjT4_P12ihipStream_tbNS1_7vsmem_tEEUlT_E_NS1_11comp_targetILNS1_3genE3ELNS1_11target_archE908ELNS1_3gpuE7ELNS1_3repE0EEENS1_30default_config_static_selectorELNS0_4arch9wavefront6targetE1EEEvSM_.num_vgpr, 0
	.set _ZN7rocprim17ROCPRIM_400000_NS6detail17trampoline_kernelINS0_14default_configENS1_37merge_sort_block_sort_config_selectorIlNS0_10empty_typeEEEZNS1_21merge_sort_block_sortIS3_PlS8_PS5_S9_ZN2at6native12_GLOBAL__N_124unique_dim_cuda_templateIaEESt5tupleIJNSA_6TensorESF_SF_EERKSF_lbbbEUlllE_EE10hipError_tT0_T1_T2_T3_mRjT4_P12ihipStream_tbNS1_7vsmem_tEEUlT_E_NS1_11comp_targetILNS1_3genE3ELNS1_11target_archE908ELNS1_3gpuE7ELNS1_3repE0EEENS1_30default_config_static_selectorELNS0_4arch9wavefront6targetE1EEEvSM_.num_agpr, 0
	.set _ZN7rocprim17ROCPRIM_400000_NS6detail17trampoline_kernelINS0_14default_configENS1_37merge_sort_block_sort_config_selectorIlNS0_10empty_typeEEEZNS1_21merge_sort_block_sortIS3_PlS8_PS5_S9_ZN2at6native12_GLOBAL__N_124unique_dim_cuda_templateIaEESt5tupleIJNSA_6TensorESF_SF_EERKSF_lbbbEUlllE_EE10hipError_tT0_T1_T2_T3_mRjT4_P12ihipStream_tbNS1_7vsmem_tEEUlT_E_NS1_11comp_targetILNS1_3genE3ELNS1_11target_archE908ELNS1_3gpuE7ELNS1_3repE0EEENS1_30default_config_static_selectorELNS0_4arch9wavefront6targetE1EEEvSM_.numbered_sgpr, 0
	.set _ZN7rocprim17ROCPRIM_400000_NS6detail17trampoline_kernelINS0_14default_configENS1_37merge_sort_block_sort_config_selectorIlNS0_10empty_typeEEEZNS1_21merge_sort_block_sortIS3_PlS8_PS5_S9_ZN2at6native12_GLOBAL__N_124unique_dim_cuda_templateIaEESt5tupleIJNSA_6TensorESF_SF_EERKSF_lbbbEUlllE_EE10hipError_tT0_T1_T2_T3_mRjT4_P12ihipStream_tbNS1_7vsmem_tEEUlT_E_NS1_11comp_targetILNS1_3genE3ELNS1_11target_archE908ELNS1_3gpuE7ELNS1_3repE0EEENS1_30default_config_static_selectorELNS0_4arch9wavefront6targetE1EEEvSM_.num_named_barrier, 0
	.set _ZN7rocprim17ROCPRIM_400000_NS6detail17trampoline_kernelINS0_14default_configENS1_37merge_sort_block_sort_config_selectorIlNS0_10empty_typeEEEZNS1_21merge_sort_block_sortIS3_PlS8_PS5_S9_ZN2at6native12_GLOBAL__N_124unique_dim_cuda_templateIaEESt5tupleIJNSA_6TensorESF_SF_EERKSF_lbbbEUlllE_EE10hipError_tT0_T1_T2_T3_mRjT4_P12ihipStream_tbNS1_7vsmem_tEEUlT_E_NS1_11comp_targetILNS1_3genE3ELNS1_11target_archE908ELNS1_3gpuE7ELNS1_3repE0EEENS1_30default_config_static_selectorELNS0_4arch9wavefront6targetE1EEEvSM_.private_seg_size, 0
	.set _ZN7rocprim17ROCPRIM_400000_NS6detail17trampoline_kernelINS0_14default_configENS1_37merge_sort_block_sort_config_selectorIlNS0_10empty_typeEEEZNS1_21merge_sort_block_sortIS3_PlS8_PS5_S9_ZN2at6native12_GLOBAL__N_124unique_dim_cuda_templateIaEESt5tupleIJNSA_6TensorESF_SF_EERKSF_lbbbEUlllE_EE10hipError_tT0_T1_T2_T3_mRjT4_P12ihipStream_tbNS1_7vsmem_tEEUlT_E_NS1_11comp_targetILNS1_3genE3ELNS1_11target_archE908ELNS1_3gpuE7ELNS1_3repE0EEENS1_30default_config_static_selectorELNS0_4arch9wavefront6targetE1EEEvSM_.uses_vcc, 0
	.set _ZN7rocprim17ROCPRIM_400000_NS6detail17trampoline_kernelINS0_14default_configENS1_37merge_sort_block_sort_config_selectorIlNS0_10empty_typeEEEZNS1_21merge_sort_block_sortIS3_PlS8_PS5_S9_ZN2at6native12_GLOBAL__N_124unique_dim_cuda_templateIaEESt5tupleIJNSA_6TensorESF_SF_EERKSF_lbbbEUlllE_EE10hipError_tT0_T1_T2_T3_mRjT4_P12ihipStream_tbNS1_7vsmem_tEEUlT_E_NS1_11comp_targetILNS1_3genE3ELNS1_11target_archE908ELNS1_3gpuE7ELNS1_3repE0EEENS1_30default_config_static_selectorELNS0_4arch9wavefront6targetE1EEEvSM_.uses_flat_scratch, 0
	.set _ZN7rocprim17ROCPRIM_400000_NS6detail17trampoline_kernelINS0_14default_configENS1_37merge_sort_block_sort_config_selectorIlNS0_10empty_typeEEEZNS1_21merge_sort_block_sortIS3_PlS8_PS5_S9_ZN2at6native12_GLOBAL__N_124unique_dim_cuda_templateIaEESt5tupleIJNSA_6TensorESF_SF_EERKSF_lbbbEUlllE_EE10hipError_tT0_T1_T2_T3_mRjT4_P12ihipStream_tbNS1_7vsmem_tEEUlT_E_NS1_11comp_targetILNS1_3genE3ELNS1_11target_archE908ELNS1_3gpuE7ELNS1_3repE0EEENS1_30default_config_static_selectorELNS0_4arch9wavefront6targetE1EEEvSM_.has_dyn_sized_stack, 0
	.set _ZN7rocprim17ROCPRIM_400000_NS6detail17trampoline_kernelINS0_14default_configENS1_37merge_sort_block_sort_config_selectorIlNS0_10empty_typeEEEZNS1_21merge_sort_block_sortIS3_PlS8_PS5_S9_ZN2at6native12_GLOBAL__N_124unique_dim_cuda_templateIaEESt5tupleIJNSA_6TensorESF_SF_EERKSF_lbbbEUlllE_EE10hipError_tT0_T1_T2_T3_mRjT4_P12ihipStream_tbNS1_7vsmem_tEEUlT_E_NS1_11comp_targetILNS1_3genE3ELNS1_11target_archE908ELNS1_3gpuE7ELNS1_3repE0EEENS1_30default_config_static_selectorELNS0_4arch9wavefront6targetE1EEEvSM_.has_recursion, 0
	.set _ZN7rocprim17ROCPRIM_400000_NS6detail17trampoline_kernelINS0_14default_configENS1_37merge_sort_block_sort_config_selectorIlNS0_10empty_typeEEEZNS1_21merge_sort_block_sortIS3_PlS8_PS5_S9_ZN2at6native12_GLOBAL__N_124unique_dim_cuda_templateIaEESt5tupleIJNSA_6TensorESF_SF_EERKSF_lbbbEUlllE_EE10hipError_tT0_T1_T2_T3_mRjT4_P12ihipStream_tbNS1_7vsmem_tEEUlT_E_NS1_11comp_targetILNS1_3genE3ELNS1_11target_archE908ELNS1_3gpuE7ELNS1_3repE0EEENS1_30default_config_static_selectorELNS0_4arch9wavefront6targetE1EEEvSM_.has_indirect_call, 0
	.section	.AMDGPU.csdata,"",@progbits
; Kernel info:
; codeLenInByte = 0
; TotalNumSgprs: 6
; NumVgprs: 0
; NumAgprs: 0
; TotalNumVgprs: 0
; ScratchSize: 0
; MemoryBound: 0
; FloatMode: 240
; IeeeMode: 1
; LDSByteSize: 0 bytes/workgroup (compile time only)
; SGPRBlocks: 0
; VGPRBlocks: 0
; NumSGPRsForWavesPerEU: 6
; NumVGPRsForWavesPerEU: 1
; AccumOffset: 4
; Occupancy: 8
; WaveLimiterHint : 0
; COMPUTE_PGM_RSRC2:SCRATCH_EN: 0
; COMPUTE_PGM_RSRC2:USER_SGPR: 2
; COMPUTE_PGM_RSRC2:TRAP_HANDLER: 0
; COMPUTE_PGM_RSRC2:TGID_X_EN: 1
; COMPUTE_PGM_RSRC2:TGID_Y_EN: 0
; COMPUTE_PGM_RSRC2:TGID_Z_EN: 0
; COMPUTE_PGM_RSRC2:TIDIG_COMP_CNT: 0
; COMPUTE_PGM_RSRC3_GFX90A:ACCUM_OFFSET: 0
; COMPUTE_PGM_RSRC3_GFX90A:TG_SPLIT: 0
	.section	.text._ZN7rocprim17ROCPRIM_400000_NS6detail17trampoline_kernelINS0_14default_configENS1_37merge_sort_block_sort_config_selectorIlNS0_10empty_typeEEEZNS1_21merge_sort_block_sortIS3_PlS8_PS5_S9_ZN2at6native12_GLOBAL__N_124unique_dim_cuda_templateIaEESt5tupleIJNSA_6TensorESF_SF_EERKSF_lbbbEUlllE_EE10hipError_tT0_T1_T2_T3_mRjT4_P12ihipStream_tbNS1_7vsmem_tEEUlT_E_NS1_11comp_targetILNS1_3genE2ELNS1_11target_archE906ELNS1_3gpuE6ELNS1_3repE0EEENS1_30default_config_static_selectorELNS0_4arch9wavefront6targetE1EEEvSM_,"axG",@progbits,_ZN7rocprim17ROCPRIM_400000_NS6detail17trampoline_kernelINS0_14default_configENS1_37merge_sort_block_sort_config_selectorIlNS0_10empty_typeEEEZNS1_21merge_sort_block_sortIS3_PlS8_PS5_S9_ZN2at6native12_GLOBAL__N_124unique_dim_cuda_templateIaEESt5tupleIJNSA_6TensorESF_SF_EERKSF_lbbbEUlllE_EE10hipError_tT0_T1_T2_T3_mRjT4_P12ihipStream_tbNS1_7vsmem_tEEUlT_E_NS1_11comp_targetILNS1_3genE2ELNS1_11target_archE906ELNS1_3gpuE6ELNS1_3repE0EEENS1_30default_config_static_selectorELNS0_4arch9wavefront6targetE1EEEvSM_,comdat
	.globl	_ZN7rocprim17ROCPRIM_400000_NS6detail17trampoline_kernelINS0_14default_configENS1_37merge_sort_block_sort_config_selectorIlNS0_10empty_typeEEEZNS1_21merge_sort_block_sortIS3_PlS8_PS5_S9_ZN2at6native12_GLOBAL__N_124unique_dim_cuda_templateIaEESt5tupleIJNSA_6TensorESF_SF_EERKSF_lbbbEUlllE_EE10hipError_tT0_T1_T2_T3_mRjT4_P12ihipStream_tbNS1_7vsmem_tEEUlT_E_NS1_11comp_targetILNS1_3genE2ELNS1_11target_archE906ELNS1_3gpuE6ELNS1_3repE0EEENS1_30default_config_static_selectorELNS0_4arch9wavefront6targetE1EEEvSM_ ; -- Begin function _ZN7rocprim17ROCPRIM_400000_NS6detail17trampoline_kernelINS0_14default_configENS1_37merge_sort_block_sort_config_selectorIlNS0_10empty_typeEEEZNS1_21merge_sort_block_sortIS3_PlS8_PS5_S9_ZN2at6native12_GLOBAL__N_124unique_dim_cuda_templateIaEESt5tupleIJNSA_6TensorESF_SF_EERKSF_lbbbEUlllE_EE10hipError_tT0_T1_T2_T3_mRjT4_P12ihipStream_tbNS1_7vsmem_tEEUlT_E_NS1_11comp_targetILNS1_3genE2ELNS1_11target_archE906ELNS1_3gpuE6ELNS1_3repE0EEENS1_30default_config_static_selectorELNS0_4arch9wavefront6targetE1EEEvSM_
	.p2align	8
	.type	_ZN7rocprim17ROCPRIM_400000_NS6detail17trampoline_kernelINS0_14default_configENS1_37merge_sort_block_sort_config_selectorIlNS0_10empty_typeEEEZNS1_21merge_sort_block_sortIS3_PlS8_PS5_S9_ZN2at6native12_GLOBAL__N_124unique_dim_cuda_templateIaEESt5tupleIJNSA_6TensorESF_SF_EERKSF_lbbbEUlllE_EE10hipError_tT0_T1_T2_T3_mRjT4_P12ihipStream_tbNS1_7vsmem_tEEUlT_E_NS1_11comp_targetILNS1_3genE2ELNS1_11target_archE906ELNS1_3gpuE6ELNS1_3repE0EEENS1_30default_config_static_selectorELNS0_4arch9wavefront6targetE1EEEvSM_,@function
_ZN7rocprim17ROCPRIM_400000_NS6detail17trampoline_kernelINS0_14default_configENS1_37merge_sort_block_sort_config_selectorIlNS0_10empty_typeEEEZNS1_21merge_sort_block_sortIS3_PlS8_PS5_S9_ZN2at6native12_GLOBAL__N_124unique_dim_cuda_templateIaEESt5tupleIJNSA_6TensorESF_SF_EERKSF_lbbbEUlllE_EE10hipError_tT0_T1_T2_T3_mRjT4_P12ihipStream_tbNS1_7vsmem_tEEUlT_E_NS1_11comp_targetILNS1_3genE2ELNS1_11target_archE906ELNS1_3gpuE6ELNS1_3repE0EEENS1_30default_config_static_selectorELNS0_4arch9wavefront6targetE1EEEvSM_: ; @_ZN7rocprim17ROCPRIM_400000_NS6detail17trampoline_kernelINS0_14default_configENS1_37merge_sort_block_sort_config_selectorIlNS0_10empty_typeEEEZNS1_21merge_sort_block_sortIS3_PlS8_PS5_S9_ZN2at6native12_GLOBAL__N_124unique_dim_cuda_templateIaEESt5tupleIJNSA_6TensorESF_SF_EERKSF_lbbbEUlllE_EE10hipError_tT0_T1_T2_T3_mRjT4_P12ihipStream_tbNS1_7vsmem_tEEUlT_E_NS1_11comp_targetILNS1_3genE2ELNS1_11target_archE906ELNS1_3gpuE6ELNS1_3repE0EEENS1_30default_config_static_selectorELNS0_4arch9wavefront6targetE1EEEvSM_
; %bb.0:
	.section	.rodata,"a",@progbits
	.p2align	6, 0x0
	.amdhsa_kernel _ZN7rocprim17ROCPRIM_400000_NS6detail17trampoline_kernelINS0_14default_configENS1_37merge_sort_block_sort_config_selectorIlNS0_10empty_typeEEEZNS1_21merge_sort_block_sortIS3_PlS8_PS5_S9_ZN2at6native12_GLOBAL__N_124unique_dim_cuda_templateIaEESt5tupleIJNSA_6TensorESF_SF_EERKSF_lbbbEUlllE_EE10hipError_tT0_T1_T2_T3_mRjT4_P12ihipStream_tbNS1_7vsmem_tEEUlT_E_NS1_11comp_targetILNS1_3genE2ELNS1_11target_archE906ELNS1_3gpuE6ELNS1_3repE0EEENS1_30default_config_static_selectorELNS0_4arch9wavefront6targetE1EEEvSM_
		.amdhsa_group_segment_fixed_size 0
		.amdhsa_private_segment_fixed_size 0
		.amdhsa_kernarg_size 72
		.amdhsa_user_sgpr_count 2
		.amdhsa_user_sgpr_dispatch_ptr 0
		.amdhsa_user_sgpr_queue_ptr 0
		.amdhsa_user_sgpr_kernarg_segment_ptr 1
		.amdhsa_user_sgpr_dispatch_id 0
		.amdhsa_user_sgpr_kernarg_preload_length 0
		.amdhsa_user_sgpr_kernarg_preload_offset 0
		.amdhsa_user_sgpr_private_segment_size 0
		.amdhsa_uses_dynamic_stack 0
		.amdhsa_enable_private_segment 0
		.amdhsa_system_sgpr_workgroup_id_x 1
		.amdhsa_system_sgpr_workgroup_id_y 0
		.amdhsa_system_sgpr_workgroup_id_z 0
		.amdhsa_system_sgpr_workgroup_info 0
		.amdhsa_system_vgpr_workitem_id 0
		.amdhsa_next_free_vgpr 1
		.amdhsa_next_free_sgpr 0
		.amdhsa_accum_offset 4
		.amdhsa_reserve_vcc 0
		.amdhsa_float_round_mode_32 0
		.amdhsa_float_round_mode_16_64 0
		.amdhsa_float_denorm_mode_32 3
		.amdhsa_float_denorm_mode_16_64 3
		.amdhsa_dx10_clamp 1
		.amdhsa_ieee_mode 1
		.amdhsa_fp16_overflow 0
		.amdhsa_tg_split 0
		.amdhsa_exception_fp_ieee_invalid_op 0
		.amdhsa_exception_fp_denorm_src 0
		.amdhsa_exception_fp_ieee_div_zero 0
		.amdhsa_exception_fp_ieee_overflow 0
		.amdhsa_exception_fp_ieee_underflow 0
		.amdhsa_exception_fp_ieee_inexact 0
		.amdhsa_exception_int_div_zero 0
	.end_amdhsa_kernel
	.section	.text._ZN7rocprim17ROCPRIM_400000_NS6detail17trampoline_kernelINS0_14default_configENS1_37merge_sort_block_sort_config_selectorIlNS0_10empty_typeEEEZNS1_21merge_sort_block_sortIS3_PlS8_PS5_S9_ZN2at6native12_GLOBAL__N_124unique_dim_cuda_templateIaEESt5tupleIJNSA_6TensorESF_SF_EERKSF_lbbbEUlllE_EE10hipError_tT0_T1_T2_T3_mRjT4_P12ihipStream_tbNS1_7vsmem_tEEUlT_E_NS1_11comp_targetILNS1_3genE2ELNS1_11target_archE906ELNS1_3gpuE6ELNS1_3repE0EEENS1_30default_config_static_selectorELNS0_4arch9wavefront6targetE1EEEvSM_,"axG",@progbits,_ZN7rocprim17ROCPRIM_400000_NS6detail17trampoline_kernelINS0_14default_configENS1_37merge_sort_block_sort_config_selectorIlNS0_10empty_typeEEEZNS1_21merge_sort_block_sortIS3_PlS8_PS5_S9_ZN2at6native12_GLOBAL__N_124unique_dim_cuda_templateIaEESt5tupleIJNSA_6TensorESF_SF_EERKSF_lbbbEUlllE_EE10hipError_tT0_T1_T2_T3_mRjT4_P12ihipStream_tbNS1_7vsmem_tEEUlT_E_NS1_11comp_targetILNS1_3genE2ELNS1_11target_archE906ELNS1_3gpuE6ELNS1_3repE0EEENS1_30default_config_static_selectorELNS0_4arch9wavefront6targetE1EEEvSM_,comdat
.Lfunc_end265:
	.size	_ZN7rocprim17ROCPRIM_400000_NS6detail17trampoline_kernelINS0_14default_configENS1_37merge_sort_block_sort_config_selectorIlNS0_10empty_typeEEEZNS1_21merge_sort_block_sortIS3_PlS8_PS5_S9_ZN2at6native12_GLOBAL__N_124unique_dim_cuda_templateIaEESt5tupleIJNSA_6TensorESF_SF_EERKSF_lbbbEUlllE_EE10hipError_tT0_T1_T2_T3_mRjT4_P12ihipStream_tbNS1_7vsmem_tEEUlT_E_NS1_11comp_targetILNS1_3genE2ELNS1_11target_archE906ELNS1_3gpuE6ELNS1_3repE0EEENS1_30default_config_static_selectorELNS0_4arch9wavefront6targetE1EEEvSM_, .Lfunc_end265-_ZN7rocprim17ROCPRIM_400000_NS6detail17trampoline_kernelINS0_14default_configENS1_37merge_sort_block_sort_config_selectorIlNS0_10empty_typeEEEZNS1_21merge_sort_block_sortIS3_PlS8_PS5_S9_ZN2at6native12_GLOBAL__N_124unique_dim_cuda_templateIaEESt5tupleIJNSA_6TensorESF_SF_EERKSF_lbbbEUlllE_EE10hipError_tT0_T1_T2_T3_mRjT4_P12ihipStream_tbNS1_7vsmem_tEEUlT_E_NS1_11comp_targetILNS1_3genE2ELNS1_11target_archE906ELNS1_3gpuE6ELNS1_3repE0EEENS1_30default_config_static_selectorELNS0_4arch9wavefront6targetE1EEEvSM_
                                        ; -- End function
	.set _ZN7rocprim17ROCPRIM_400000_NS6detail17trampoline_kernelINS0_14default_configENS1_37merge_sort_block_sort_config_selectorIlNS0_10empty_typeEEEZNS1_21merge_sort_block_sortIS3_PlS8_PS5_S9_ZN2at6native12_GLOBAL__N_124unique_dim_cuda_templateIaEESt5tupleIJNSA_6TensorESF_SF_EERKSF_lbbbEUlllE_EE10hipError_tT0_T1_T2_T3_mRjT4_P12ihipStream_tbNS1_7vsmem_tEEUlT_E_NS1_11comp_targetILNS1_3genE2ELNS1_11target_archE906ELNS1_3gpuE6ELNS1_3repE0EEENS1_30default_config_static_selectorELNS0_4arch9wavefront6targetE1EEEvSM_.num_vgpr, 0
	.set _ZN7rocprim17ROCPRIM_400000_NS6detail17trampoline_kernelINS0_14default_configENS1_37merge_sort_block_sort_config_selectorIlNS0_10empty_typeEEEZNS1_21merge_sort_block_sortIS3_PlS8_PS5_S9_ZN2at6native12_GLOBAL__N_124unique_dim_cuda_templateIaEESt5tupleIJNSA_6TensorESF_SF_EERKSF_lbbbEUlllE_EE10hipError_tT0_T1_T2_T3_mRjT4_P12ihipStream_tbNS1_7vsmem_tEEUlT_E_NS1_11comp_targetILNS1_3genE2ELNS1_11target_archE906ELNS1_3gpuE6ELNS1_3repE0EEENS1_30default_config_static_selectorELNS0_4arch9wavefront6targetE1EEEvSM_.num_agpr, 0
	.set _ZN7rocprim17ROCPRIM_400000_NS6detail17trampoline_kernelINS0_14default_configENS1_37merge_sort_block_sort_config_selectorIlNS0_10empty_typeEEEZNS1_21merge_sort_block_sortIS3_PlS8_PS5_S9_ZN2at6native12_GLOBAL__N_124unique_dim_cuda_templateIaEESt5tupleIJNSA_6TensorESF_SF_EERKSF_lbbbEUlllE_EE10hipError_tT0_T1_T2_T3_mRjT4_P12ihipStream_tbNS1_7vsmem_tEEUlT_E_NS1_11comp_targetILNS1_3genE2ELNS1_11target_archE906ELNS1_3gpuE6ELNS1_3repE0EEENS1_30default_config_static_selectorELNS0_4arch9wavefront6targetE1EEEvSM_.numbered_sgpr, 0
	.set _ZN7rocprim17ROCPRIM_400000_NS6detail17trampoline_kernelINS0_14default_configENS1_37merge_sort_block_sort_config_selectorIlNS0_10empty_typeEEEZNS1_21merge_sort_block_sortIS3_PlS8_PS5_S9_ZN2at6native12_GLOBAL__N_124unique_dim_cuda_templateIaEESt5tupleIJNSA_6TensorESF_SF_EERKSF_lbbbEUlllE_EE10hipError_tT0_T1_T2_T3_mRjT4_P12ihipStream_tbNS1_7vsmem_tEEUlT_E_NS1_11comp_targetILNS1_3genE2ELNS1_11target_archE906ELNS1_3gpuE6ELNS1_3repE0EEENS1_30default_config_static_selectorELNS0_4arch9wavefront6targetE1EEEvSM_.num_named_barrier, 0
	.set _ZN7rocprim17ROCPRIM_400000_NS6detail17trampoline_kernelINS0_14default_configENS1_37merge_sort_block_sort_config_selectorIlNS0_10empty_typeEEEZNS1_21merge_sort_block_sortIS3_PlS8_PS5_S9_ZN2at6native12_GLOBAL__N_124unique_dim_cuda_templateIaEESt5tupleIJNSA_6TensorESF_SF_EERKSF_lbbbEUlllE_EE10hipError_tT0_T1_T2_T3_mRjT4_P12ihipStream_tbNS1_7vsmem_tEEUlT_E_NS1_11comp_targetILNS1_3genE2ELNS1_11target_archE906ELNS1_3gpuE6ELNS1_3repE0EEENS1_30default_config_static_selectorELNS0_4arch9wavefront6targetE1EEEvSM_.private_seg_size, 0
	.set _ZN7rocprim17ROCPRIM_400000_NS6detail17trampoline_kernelINS0_14default_configENS1_37merge_sort_block_sort_config_selectorIlNS0_10empty_typeEEEZNS1_21merge_sort_block_sortIS3_PlS8_PS5_S9_ZN2at6native12_GLOBAL__N_124unique_dim_cuda_templateIaEESt5tupleIJNSA_6TensorESF_SF_EERKSF_lbbbEUlllE_EE10hipError_tT0_T1_T2_T3_mRjT4_P12ihipStream_tbNS1_7vsmem_tEEUlT_E_NS1_11comp_targetILNS1_3genE2ELNS1_11target_archE906ELNS1_3gpuE6ELNS1_3repE0EEENS1_30default_config_static_selectorELNS0_4arch9wavefront6targetE1EEEvSM_.uses_vcc, 0
	.set _ZN7rocprim17ROCPRIM_400000_NS6detail17trampoline_kernelINS0_14default_configENS1_37merge_sort_block_sort_config_selectorIlNS0_10empty_typeEEEZNS1_21merge_sort_block_sortIS3_PlS8_PS5_S9_ZN2at6native12_GLOBAL__N_124unique_dim_cuda_templateIaEESt5tupleIJNSA_6TensorESF_SF_EERKSF_lbbbEUlllE_EE10hipError_tT0_T1_T2_T3_mRjT4_P12ihipStream_tbNS1_7vsmem_tEEUlT_E_NS1_11comp_targetILNS1_3genE2ELNS1_11target_archE906ELNS1_3gpuE6ELNS1_3repE0EEENS1_30default_config_static_selectorELNS0_4arch9wavefront6targetE1EEEvSM_.uses_flat_scratch, 0
	.set _ZN7rocprim17ROCPRIM_400000_NS6detail17trampoline_kernelINS0_14default_configENS1_37merge_sort_block_sort_config_selectorIlNS0_10empty_typeEEEZNS1_21merge_sort_block_sortIS3_PlS8_PS5_S9_ZN2at6native12_GLOBAL__N_124unique_dim_cuda_templateIaEESt5tupleIJNSA_6TensorESF_SF_EERKSF_lbbbEUlllE_EE10hipError_tT0_T1_T2_T3_mRjT4_P12ihipStream_tbNS1_7vsmem_tEEUlT_E_NS1_11comp_targetILNS1_3genE2ELNS1_11target_archE906ELNS1_3gpuE6ELNS1_3repE0EEENS1_30default_config_static_selectorELNS0_4arch9wavefront6targetE1EEEvSM_.has_dyn_sized_stack, 0
	.set _ZN7rocprim17ROCPRIM_400000_NS6detail17trampoline_kernelINS0_14default_configENS1_37merge_sort_block_sort_config_selectorIlNS0_10empty_typeEEEZNS1_21merge_sort_block_sortIS3_PlS8_PS5_S9_ZN2at6native12_GLOBAL__N_124unique_dim_cuda_templateIaEESt5tupleIJNSA_6TensorESF_SF_EERKSF_lbbbEUlllE_EE10hipError_tT0_T1_T2_T3_mRjT4_P12ihipStream_tbNS1_7vsmem_tEEUlT_E_NS1_11comp_targetILNS1_3genE2ELNS1_11target_archE906ELNS1_3gpuE6ELNS1_3repE0EEENS1_30default_config_static_selectorELNS0_4arch9wavefront6targetE1EEEvSM_.has_recursion, 0
	.set _ZN7rocprim17ROCPRIM_400000_NS6detail17trampoline_kernelINS0_14default_configENS1_37merge_sort_block_sort_config_selectorIlNS0_10empty_typeEEEZNS1_21merge_sort_block_sortIS3_PlS8_PS5_S9_ZN2at6native12_GLOBAL__N_124unique_dim_cuda_templateIaEESt5tupleIJNSA_6TensorESF_SF_EERKSF_lbbbEUlllE_EE10hipError_tT0_T1_T2_T3_mRjT4_P12ihipStream_tbNS1_7vsmem_tEEUlT_E_NS1_11comp_targetILNS1_3genE2ELNS1_11target_archE906ELNS1_3gpuE6ELNS1_3repE0EEENS1_30default_config_static_selectorELNS0_4arch9wavefront6targetE1EEEvSM_.has_indirect_call, 0
	.section	.AMDGPU.csdata,"",@progbits
; Kernel info:
; codeLenInByte = 0
; TotalNumSgprs: 6
; NumVgprs: 0
; NumAgprs: 0
; TotalNumVgprs: 0
; ScratchSize: 0
; MemoryBound: 0
; FloatMode: 240
; IeeeMode: 1
; LDSByteSize: 0 bytes/workgroup (compile time only)
; SGPRBlocks: 0
; VGPRBlocks: 0
; NumSGPRsForWavesPerEU: 6
; NumVGPRsForWavesPerEU: 1
; AccumOffset: 4
; Occupancy: 8
; WaveLimiterHint : 0
; COMPUTE_PGM_RSRC2:SCRATCH_EN: 0
; COMPUTE_PGM_RSRC2:USER_SGPR: 2
; COMPUTE_PGM_RSRC2:TRAP_HANDLER: 0
; COMPUTE_PGM_RSRC2:TGID_X_EN: 1
; COMPUTE_PGM_RSRC2:TGID_Y_EN: 0
; COMPUTE_PGM_RSRC2:TGID_Z_EN: 0
; COMPUTE_PGM_RSRC2:TIDIG_COMP_CNT: 0
; COMPUTE_PGM_RSRC3_GFX90A:ACCUM_OFFSET: 0
; COMPUTE_PGM_RSRC3_GFX90A:TG_SPLIT: 0
	.section	.text._ZN7rocprim17ROCPRIM_400000_NS6detail17trampoline_kernelINS0_14default_configENS1_37merge_sort_block_sort_config_selectorIlNS0_10empty_typeEEEZNS1_21merge_sort_block_sortIS3_PlS8_PS5_S9_ZN2at6native12_GLOBAL__N_124unique_dim_cuda_templateIaEESt5tupleIJNSA_6TensorESF_SF_EERKSF_lbbbEUlllE_EE10hipError_tT0_T1_T2_T3_mRjT4_P12ihipStream_tbNS1_7vsmem_tEEUlT_E_NS1_11comp_targetILNS1_3genE10ELNS1_11target_archE1201ELNS1_3gpuE5ELNS1_3repE0EEENS1_30default_config_static_selectorELNS0_4arch9wavefront6targetE1EEEvSM_,"axG",@progbits,_ZN7rocprim17ROCPRIM_400000_NS6detail17trampoline_kernelINS0_14default_configENS1_37merge_sort_block_sort_config_selectorIlNS0_10empty_typeEEEZNS1_21merge_sort_block_sortIS3_PlS8_PS5_S9_ZN2at6native12_GLOBAL__N_124unique_dim_cuda_templateIaEESt5tupleIJNSA_6TensorESF_SF_EERKSF_lbbbEUlllE_EE10hipError_tT0_T1_T2_T3_mRjT4_P12ihipStream_tbNS1_7vsmem_tEEUlT_E_NS1_11comp_targetILNS1_3genE10ELNS1_11target_archE1201ELNS1_3gpuE5ELNS1_3repE0EEENS1_30default_config_static_selectorELNS0_4arch9wavefront6targetE1EEEvSM_,comdat
	.globl	_ZN7rocprim17ROCPRIM_400000_NS6detail17trampoline_kernelINS0_14default_configENS1_37merge_sort_block_sort_config_selectorIlNS0_10empty_typeEEEZNS1_21merge_sort_block_sortIS3_PlS8_PS5_S9_ZN2at6native12_GLOBAL__N_124unique_dim_cuda_templateIaEESt5tupleIJNSA_6TensorESF_SF_EERKSF_lbbbEUlllE_EE10hipError_tT0_T1_T2_T3_mRjT4_P12ihipStream_tbNS1_7vsmem_tEEUlT_E_NS1_11comp_targetILNS1_3genE10ELNS1_11target_archE1201ELNS1_3gpuE5ELNS1_3repE0EEENS1_30default_config_static_selectorELNS0_4arch9wavefront6targetE1EEEvSM_ ; -- Begin function _ZN7rocprim17ROCPRIM_400000_NS6detail17trampoline_kernelINS0_14default_configENS1_37merge_sort_block_sort_config_selectorIlNS0_10empty_typeEEEZNS1_21merge_sort_block_sortIS3_PlS8_PS5_S9_ZN2at6native12_GLOBAL__N_124unique_dim_cuda_templateIaEESt5tupleIJNSA_6TensorESF_SF_EERKSF_lbbbEUlllE_EE10hipError_tT0_T1_T2_T3_mRjT4_P12ihipStream_tbNS1_7vsmem_tEEUlT_E_NS1_11comp_targetILNS1_3genE10ELNS1_11target_archE1201ELNS1_3gpuE5ELNS1_3repE0EEENS1_30default_config_static_selectorELNS0_4arch9wavefront6targetE1EEEvSM_
	.p2align	8
	.type	_ZN7rocprim17ROCPRIM_400000_NS6detail17trampoline_kernelINS0_14default_configENS1_37merge_sort_block_sort_config_selectorIlNS0_10empty_typeEEEZNS1_21merge_sort_block_sortIS3_PlS8_PS5_S9_ZN2at6native12_GLOBAL__N_124unique_dim_cuda_templateIaEESt5tupleIJNSA_6TensorESF_SF_EERKSF_lbbbEUlllE_EE10hipError_tT0_T1_T2_T3_mRjT4_P12ihipStream_tbNS1_7vsmem_tEEUlT_E_NS1_11comp_targetILNS1_3genE10ELNS1_11target_archE1201ELNS1_3gpuE5ELNS1_3repE0EEENS1_30default_config_static_selectorELNS0_4arch9wavefront6targetE1EEEvSM_,@function
_ZN7rocprim17ROCPRIM_400000_NS6detail17trampoline_kernelINS0_14default_configENS1_37merge_sort_block_sort_config_selectorIlNS0_10empty_typeEEEZNS1_21merge_sort_block_sortIS3_PlS8_PS5_S9_ZN2at6native12_GLOBAL__N_124unique_dim_cuda_templateIaEESt5tupleIJNSA_6TensorESF_SF_EERKSF_lbbbEUlllE_EE10hipError_tT0_T1_T2_T3_mRjT4_P12ihipStream_tbNS1_7vsmem_tEEUlT_E_NS1_11comp_targetILNS1_3genE10ELNS1_11target_archE1201ELNS1_3gpuE5ELNS1_3repE0EEENS1_30default_config_static_selectorELNS0_4arch9wavefront6targetE1EEEvSM_: ; @_ZN7rocprim17ROCPRIM_400000_NS6detail17trampoline_kernelINS0_14default_configENS1_37merge_sort_block_sort_config_selectorIlNS0_10empty_typeEEEZNS1_21merge_sort_block_sortIS3_PlS8_PS5_S9_ZN2at6native12_GLOBAL__N_124unique_dim_cuda_templateIaEESt5tupleIJNSA_6TensorESF_SF_EERKSF_lbbbEUlllE_EE10hipError_tT0_T1_T2_T3_mRjT4_P12ihipStream_tbNS1_7vsmem_tEEUlT_E_NS1_11comp_targetILNS1_3genE10ELNS1_11target_archE1201ELNS1_3gpuE5ELNS1_3repE0EEENS1_30default_config_static_selectorELNS0_4arch9wavefront6targetE1EEEvSM_
; %bb.0:
	.section	.rodata,"a",@progbits
	.p2align	6, 0x0
	.amdhsa_kernel _ZN7rocprim17ROCPRIM_400000_NS6detail17trampoline_kernelINS0_14default_configENS1_37merge_sort_block_sort_config_selectorIlNS0_10empty_typeEEEZNS1_21merge_sort_block_sortIS3_PlS8_PS5_S9_ZN2at6native12_GLOBAL__N_124unique_dim_cuda_templateIaEESt5tupleIJNSA_6TensorESF_SF_EERKSF_lbbbEUlllE_EE10hipError_tT0_T1_T2_T3_mRjT4_P12ihipStream_tbNS1_7vsmem_tEEUlT_E_NS1_11comp_targetILNS1_3genE10ELNS1_11target_archE1201ELNS1_3gpuE5ELNS1_3repE0EEENS1_30default_config_static_selectorELNS0_4arch9wavefront6targetE1EEEvSM_
		.amdhsa_group_segment_fixed_size 0
		.amdhsa_private_segment_fixed_size 0
		.amdhsa_kernarg_size 72
		.amdhsa_user_sgpr_count 2
		.amdhsa_user_sgpr_dispatch_ptr 0
		.amdhsa_user_sgpr_queue_ptr 0
		.amdhsa_user_sgpr_kernarg_segment_ptr 1
		.amdhsa_user_sgpr_dispatch_id 0
		.amdhsa_user_sgpr_kernarg_preload_length 0
		.amdhsa_user_sgpr_kernarg_preload_offset 0
		.amdhsa_user_sgpr_private_segment_size 0
		.amdhsa_uses_dynamic_stack 0
		.amdhsa_enable_private_segment 0
		.amdhsa_system_sgpr_workgroup_id_x 1
		.amdhsa_system_sgpr_workgroup_id_y 0
		.amdhsa_system_sgpr_workgroup_id_z 0
		.amdhsa_system_sgpr_workgroup_info 0
		.amdhsa_system_vgpr_workitem_id 0
		.amdhsa_next_free_vgpr 1
		.amdhsa_next_free_sgpr 0
		.amdhsa_accum_offset 4
		.amdhsa_reserve_vcc 0
		.amdhsa_float_round_mode_32 0
		.amdhsa_float_round_mode_16_64 0
		.amdhsa_float_denorm_mode_32 3
		.amdhsa_float_denorm_mode_16_64 3
		.amdhsa_dx10_clamp 1
		.amdhsa_ieee_mode 1
		.amdhsa_fp16_overflow 0
		.amdhsa_tg_split 0
		.amdhsa_exception_fp_ieee_invalid_op 0
		.amdhsa_exception_fp_denorm_src 0
		.amdhsa_exception_fp_ieee_div_zero 0
		.amdhsa_exception_fp_ieee_overflow 0
		.amdhsa_exception_fp_ieee_underflow 0
		.amdhsa_exception_fp_ieee_inexact 0
		.amdhsa_exception_int_div_zero 0
	.end_amdhsa_kernel
	.section	.text._ZN7rocprim17ROCPRIM_400000_NS6detail17trampoline_kernelINS0_14default_configENS1_37merge_sort_block_sort_config_selectorIlNS0_10empty_typeEEEZNS1_21merge_sort_block_sortIS3_PlS8_PS5_S9_ZN2at6native12_GLOBAL__N_124unique_dim_cuda_templateIaEESt5tupleIJNSA_6TensorESF_SF_EERKSF_lbbbEUlllE_EE10hipError_tT0_T1_T2_T3_mRjT4_P12ihipStream_tbNS1_7vsmem_tEEUlT_E_NS1_11comp_targetILNS1_3genE10ELNS1_11target_archE1201ELNS1_3gpuE5ELNS1_3repE0EEENS1_30default_config_static_selectorELNS0_4arch9wavefront6targetE1EEEvSM_,"axG",@progbits,_ZN7rocprim17ROCPRIM_400000_NS6detail17trampoline_kernelINS0_14default_configENS1_37merge_sort_block_sort_config_selectorIlNS0_10empty_typeEEEZNS1_21merge_sort_block_sortIS3_PlS8_PS5_S9_ZN2at6native12_GLOBAL__N_124unique_dim_cuda_templateIaEESt5tupleIJNSA_6TensorESF_SF_EERKSF_lbbbEUlllE_EE10hipError_tT0_T1_T2_T3_mRjT4_P12ihipStream_tbNS1_7vsmem_tEEUlT_E_NS1_11comp_targetILNS1_3genE10ELNS1_11target_archE1201ELNS1_3gpuE5ELNS1_3repE0EEENS1_30default_config_static_selectorELNS0_4arch9wavefront6targetE1EEEvSM_,comdat
.Lfunc_end266:
	.size	_ZN7rocprim17ROCPRIM_400000_NS6detail17trampoline_kernelINS0_14default_configENS1_37merge_sort_block_sort_config_selectorIlNS0_10empty_typeEEEZNS1_21merge_sort_block_sortIS3_PlS8_PS5_S9_ZN2at6native12_GLOBAL__N_124unique_dim_cuda_templateIaEESt5tupleIJNSA_6TensorESF_SF_EERKSF_lbbbEUlllE_EE10hipError_tT0_T1_T2_T3_mRjT4_P12ihipStream_tbNS1_7vsmem_tEEUlT_E_NS1_11comp_targetILNS1_3genE10ELNS1_11target_archE1201ELNS1_3gpuE5ELNS1_3repE0EEENS1_30default_config_static_selectorELNS0_4arch9wavefront6targetE1EEEvSM_, .Lfunc_end266-_ZN7rocprim17ROCPRIM_400000_NS6detail17trampoline_kernelINS0_14default_configENS1_37merge_sort_block_sort_config_selectorIlNS0_10empty_typeEEEZNS1_21merge_sort_block_sortIS3_PlS8_PS5_S9_ZN2at6native12_GLOBAL__N_124unique_dim_cuda_templateIaEESt5tupleIJNSA_6TensorESF_SF_EERKSF_lbbbEUlllE_EE10hipError_tT0_T1_T2_T3_mRjT4_P12ihipStream_tbNS1_7vsmem_tEEUlT_E_NS1_11comp_targetILNS1_3genE10ELNS1_11target_archE1201ELNS1_3gpuE5ELNS1_3repE0EEENS1_30default_config_static_selectorELNS0_4arch9wavefront6targetE1EEEvSM_
                                        ; -- End function
	.set _ZN7rocprim17ROCPRIM_400000_NS6detail17trampoline_kernelINS0_14default_configENS1_37merge_sort_block_sort_config_selectorIlNS0_10empty_typeEEEZNS1_21merge_sort_block_sortIS3_PlS8_PS5_S9_ZN2at6native12_GLOBAL__N_124unique_dim_cuda_templateIaEESt5tupleIJNSA_6TensorESF_SF_EERKSF_lbbbEUlllE_EE10hipError_tT0_T1_T2_T3_mRjT4_P12ihipStream_tbNS1_7vsmem_tEEUlT_E_NS1_11comp_targetILNS1_3genE10ELNS1_11target_archE1201ELNS1_3gpuE5ELNS1_3repE0EEENS1_30default_config_static_selectorELNS0_4arch9wavefront6targetE1EEEvSM_.num_vgpr, 0
	.set _ZN7rocprim17ROCPRIM_400000_NS6detail17trampoline_kernelINS0_14default_configENS1_37merge_sort_block_sort_config_selectorIlNS0_10empty_typeEEEZNS1_21merge_sort_block_sortIS3_PlS8_PS5_S9_ZN2at6native12_GLOBAL__N_124unique_dim_cuda_templateIaEESt5tupleIJNSA_6TensorESF_SF_EERKSF_lbbbEUlllE_EE10hipError_tT0_T1_T2_T3_mRjT4_P12ihipStream_tbNS1_7vsmem_tEEUlT_E_NS1_11comp_targetILNS1_3genE10ELNS1_11target_archE1201ELNS1_3gpuE5ELNS1_3repE0EEENS1_30default_config_static_selectorELNS0_4arch9wavefront6targetE1EEEvSM_.num_agpr, 0
	.set _ZN7rocprim17ROCPRIM_400000_NS6detail17trampoline_kernelINS0_14default_configENS1_37merge_sort_block_sort_config_selectorIlNS0_10empty_typeEEEZNS1_21merge_sort_block_sortIS3_PlS8_PS5_S9_ZN2at6native12_GLOBAL__N_124unique_dim_cuda_templateIaEESt5tupleIJNSA_6TensorESF_SF_EERKSF_lbbbEUlllE_EE10hipError_tT0_T1_T2_T3_mRjT4_P12ihipStream_tbNS1_7vsmem_tEEUlT_E_NS1_11comp_targetILNS1_3genE10ELNS1_11target_archE1201ELNS1_3gpuE5ELNS1_3repE0EEENS1_30default_config_static_selectorELNS0_4arch9wavefront6targetE1EEEvSM_.numbered_sgpr, 0
	.set _ZN7rocprim17ROCPRIM_400000_NS6detail17trampoline_kernelINS0_14default_configENS1_37merge_sort_block_sort_config_selectorIlNS0_10empty_typeEEEZNS1_21merge_sort_block_sortIS3_PlS8_PS5_S9_ZN2at6native12_GLOBAL__N_124unique_dim_cuda_templateIaEESt5tupleIJNSA_6TensorESF_SF_EERKSF_lbbbEUlllE_EE10hipError_tT0_T1_T2_T3_mRjT4_P12ihipStream_tbNS1_7vsmem_tEEUlT_E_NS1_11comp_targetILNS1_3genE10ELNS1_11target_archE1201ELNS1_3gpuE5ELNS1_3repE0EEENS1_30default_config_static_selectorELNS0_4arch9wavefront6targetE1EEEvSM_.num_named_barrier, 0
	.set _ZN7rocprim17ROCPRIM_400000_NS6detail17trampoline_kernelINS0_14default_configENS1_37merge_sort_block_sort_config_selectorIlNS0_10empty_typeEEEZNS1_21merge_sort_block_sortIS3_PlS8_PS5_S9_ZN2at6native12_GLOBAL__N_124unique_dim_cuda_templateIaEESt5tupleIJNSA_6TensorESF_SF_EERKSF_lbbbEUlllE_EE10hipError_tT0_T1_T2_T3_mRjT4_P12ihipStream_tbNS1_7vsmem_tEEUlT_E_NS1_11comp_targetILNS1_3genE10ELNS1_11target_archE1201ELNS1_3gpuE5ELNS1_3repE0EEENS1_30default_config_static_selectorELNS0_4arch9wavefront6targetE1EEEvSM_.private_seg_size, 0
	.set _ZN7rocprim17ROCPRIM_400000_NS6detail17trampoline_kernelINS0_14default_configENS1_37merge_sort_block_sort_config_selectorIlNS0_10empty_typeEEEZNS1_21merge_sort_block_sortIS3_PlS8_PS5_S9_ZN2at6native12_GLOBAL__N_124unique_dim_cuda_templateIaEESt5tupleIJNSA_6TensorESF_SF_EERKSF_lbbbEUlllE_EE10hipError_tT0_T1_T2_T3_mRjT4_P12ihipStream_tbNS1_7vsmem_tEEUlT_E_NS1_11comp_targetILNS1_3genE10ELNS1_11target_archE1201ELNS1_3gpuE5ELNS1_3repE0EEENS1_30default_config_static_selectorELNS0_4arch9wavefront6targetE1EEEvSM_.uses_vcc, 0
	.set _ZN7rocprim17ROCPRIM_400000_NS6detail17trampoline_kernelINS0_14default_configENS1_37merge_sort_block_sort_config_selectorIlNS0_10empty_typeEEEZNS1_21merge_sort_block_sortIS3_PlS8_PS5_S9_ZN2at6native12_GLOBAL__N_124unique_dim_cuda_templateIaEESt5tupleIJNSA_6TensorESF_SF_EERKSF_lbbbEUlllE_EE10hipError_tT0_T1_T2_T3_mRjT4_P12ihipStream_tbNS1_7vsmem_tEEUlT_E_NS1_11comp_targetILNS1_3genE10ELNS1_11target_archE1201ELNS1_3gpuE5ELNS1_3repE0EEENS1_30default_config_static_selectorELNS0_4arch9wavefront6targetE1EEEvSM_.uses_flat_scratch, 0
	.set _ZN7rocprim17ROCPRIM_400000_NS6detail17trampoline_kernelINS0_14default_configENS1_37merge_sort_block_sort_config_selectorIlNS0_10empty_typeEEEZNS1_21merge_sort_block_sortIS3_PlS8_PS5_S9_ZN2at6native12_GLOBAL__N_124unique_dim_cuda_templateIaEESt5tupleIJNSA_6TensorESF_SF_EERKSF_lbbbEUlllE_EE10hipError_tT0_T1_T2_T3_mRjT4_P12ihipStream_tbNS1_7vsmem_tEEUlT_E_NS1_11comp_targetILNS1_3genE10ELNS1_11target_archE1201ELNS1_3gpuE5ELNS1_3repE0EEENS1_30default_config_static_selectorELNS0_4arch9wavefront6targetE1EEEvSM_.has_dyn_sized_stack, 0
	.set _ZN7rocprim17ROCPRIM_400000_NS6detail17trampoline_kernelINS0_14default_configENS1_37merge_sort_block_sort_config_selectorIlNS0_10empty_typeEEEZNS1_21merge_sort_block_sortIS3_PlS8_PS5_S9_ZN2at6native12_GLOBAL__N_124unique_dim_cuda_templateIaEESt5tupleIJNSA_6TensorESF_SF_EERKSF_lbbbEUlllE_EE10hipError_tT0_T1_T2_T3_mRjT4_P12ihipStream_tbNS1_7vsmem_tEEUlT_E_NS1_11comp_targetILNS1_3genE10ELNS1_11target_archE1201ELNS1_3gpuE5ELNS1_3repE0EEENS1_30default_config_static_selectorELNS0_4arch9wavefront6targetE1EEEvSM_.has_recursion, 0
	.set _ZN7rocprim17ROCPRIM_400000_NS6detail17trampoline_kernelINS0_14default_configENS1_37merge_sort_block_sort_config_selectorIlNS0_10empty_typeEEEZNS1_21merge_sort_block_sortIS3_PlS8_PS5_S9_ZN2at6native12_GLOBAL__N_124unique_dim_cuda_templateIaEESt5tupleIJNSA_6TensorESF_SF_EERKSF_lbbbEUlllE_EE10hipError_tT0_T1_T2_T3_mRjT4_P12ihipStream_tbNS1_7vsmem_tEEUlT_E_NS1_11comp_targetILNS1_3genE10ELNS1_11target_archE1201ELNS1_3gpuE5ELNS1_3repE0EEENS1_30default_config_static_selectorELNS0_4arch9wavefront6targetE1EEEvSM_.has_indirect_call, 0
	.section	.AMDGPU.csdata,"",@progbits
; Kernel info:
; codeLenInByte = 0
; TotalNumSgprs: 6
; NumVgprs: 0
; NumAgprs: 0
; TotalNumVgprs: 0
; ScratchSize: 0
; MemoryBound: 0
; FloatMode: 240
; IeeeMode: 1
; LDSByteSize: 0 bytes/workgroup (compile time only)
; SGPRBlocks: 0
; VGPRBlocks: 0
; NumSGPRsForWavesPerEU: 6
; NumVGPRsForWavesPerEU: 1
; AccumOffset: 4
; Occupancy: 8
; WaveLimiterHint : 0
; COMPUTE_PGM_RSRC2:SCRATCH_EN: 0
; COMPUTE_PGM_RSRC2:USER_SGPR: 2
; COMPUTE_PGM_RSRC2:TRAP_HANDLER: 0
; COMPUTE_PGM_RSRC2:TGID_X_EN: 1
; COMPUTE_PGM_RSRC2:TGID_Y_EN: 0
; COMPUTE_PGM_RSRC2:TGID_Z_EN: 0
; COMPUTE_PGM_RSRC2:TIDIG_COMP_CNT: 0
; COMPUTE_PGM_RSRC3_GFX90A:ACCUM_OFFSET: 0
; COMPUTE_PGM_RSRC3_GFX90A:TG_SPLIT: 0
	.section	.text._ZN7rocprim17ROCPRIM_400000_NS6detail17trampoline_kernelINS0_14default_configENS1_37merge_sort_block_sort_config_selectorIlNS0_10empty_typeEEEZNS1_21merge_sort_block_sortIS3_PlS8_PS5_S9_ZN2at6native12_GLOBAL__N_124unique_dim_cuda_templateIaEESt5tupleIJNSA_6TensorESF_SF_EERKSF_lbbbEUlllE_EE10hipError_tT0_T1_T2_T3_mRjT4_P12ihipStream_tbNS1_7vsmem_tEEUlT_E_NS1_11comp_targetILNS1_3genE10ELNS1_11target_archE1200ELNS1_3gpuE4ELNS1_3repE0EEENS1_30default_config_static_selectorELNS0_4arch9wavefront6targetE1EEEvSM_,"axG",@progbits,_ZN7rocprim17ROCPRIM_400000_NS6detail17trampoline_kernelINS0_14default_configENS1_37merge_sort_block_sort_config_selectorIlNS0_10empty_typeEEEZNS1_21merge_sort_block_sortIS3_PlS8_PS5_S9_ZN2at6native12_GLOBAL__N_124unique_dim_cuda_templateIaEESt5tupleIJNSA_6TensorESF_SF_EERKSF_lbbbEUlllE_EE10hipError_tT0_T1_T2_T3_mRjT4_P12ihipStream_tbNS1_7vsmem_tEEUlT_E_NS1_11comp_targetILNS1_3genE10ELNS1_11target_archE1200ELNS1_3gpuE4ELNS1_3repE0EEENS1_30default_config_static_selectorELNS0_4arch9wavefront6targetE1EEEvSM_,comdat
	.globl	_ZN7rocprim17ROCPRIM_400000_NS6detail17trampoline_kernelINS0_14default_configENS1_37merge_sort_block_sort_config_selectorIlNS0_10empty_typeEEEZNS1_21merge_sort_block_sortIS3_PlS8_PS5_S9_ZN2at6native12_GLOBAL__N_124unique_dim_cuda_templateIaEESt5tupleIJNSA_6TensorESF_SF_EERKSF_lbbbEUlllE_EE10hipError_tT0_T1_T2_T3_mRjT4_P12ihipStream_tbNS1_7vsmem_tEEUlT_E_NS1_11comp_targetILNS1_3genE10ELNS1_11target_archE1200ELNS1_3gpuE4ELNS1_3repE0EEENS1_30default_config_static_selectorELNS0_4arch9wavefront6targetE1EEEvSM_ ; -- Begin function _ZN7rocprim17ROCPRIM_400000_NS6detail17trampoline_kernelINS0_14default_configENS1_37merge_sort_block_sort_config_selectorIlNS0_10empty_typeEEEZNS1_21merge_sort_block_sortIS3_PlS8_PS5_S9_ZN2at6native12_GLOBAL__N_124unique_dim_cuda_templateIaEESt5tupleIJNSA_6TensorESF_SF_EERKSF_lbbbEUlllE_EE10hipError_tT0_T1_T2_T3_mRjT4_P12ihipStream_tbNS1_7vsmem_tEEUlT_E_NS1_11comp_targetILNS1_3genE10ELNS1_11target_archE1200ELNS1_3gpuE4ELNS1_3repE0EEENS1_30default_config_static_selectorELNS0_4arch9wavefront6targetE1EEEvSM_
	.p2align	8
	.type	_ZN7rocprim17ROCPRIM_400000_NS6detail17trampoline_kernelINS0_14default_configENS1_37merge_sort_block_sort_config_selectorIlNS0_10empty_typeEEEZNS1_21merge_sort_block_sortIS3_PlS8_PS5_S9_ZN2at6native12_GLOBAL__N_124unique_dim_cuda_templateIaEESt5tupleIJNSA_6TensorESF_SF_EERKSF_lbbbEUlllE_EE10hipError_tT0_T1_T2_T3_mRjT4_P12ihipStream_tbNS1_7vsmem_tEEUlT_E_NS1_11comp_targetILNS1_3genE10ELNS1_11target_archE1200ELNS1_3gpuE4ELNS1_3repE0EEENS1_30default_config_static_selectorELNS0_4arch9wavefront6targetE1EEEvSM_,@function
_ZN7rocprim17ROCPRIM_400000_NS6detail17trampoline_kernelINS0_14default_configENS1_37merge_sort_block_sort_config_selectorIlNS0_10empty_typeEEEZNS1_21merge_sort_block_sortIS3_PlS8_PS5_S9_ZN2at6native12_GLOBAL__N_124unique_dim_cuda_templateIaEESt5tupleIJNSA_6TensorESF_SF_EERKSF_lbbbEUlllE_EE10hipError_tT0_T1_T2_T3_mRjT4_P12ihipStream_tbNS1_7vsmem_tEEUlT_E_NS1_11comp_targetILNS1_3genE10ELNS1_11target_archE1200ELNS1_3gpuE4ELNS1_3repE0EEENS1_30default_config_static_selectorELNS0_4arch9wavefront6targetE1EEEvSM_: ; @_ZN7rocprim17ROCPRIM_400000_NS6detail17trampoline_kernelINS0_14default_configENS1_37merge_sort_block_sort_config_selectorIlNS0_10empty_typeEEEZNS1_21merge_sort_block_sortIS3_PlS8_PS5_S9_ZN2at6native12_GLOBAL__N_124unique_dim_cuda_templateIaEESt5tupleIJNSA_6TensorESF_SF_EERKSF_lbbbEUlllE_EE10hipError_tT0_T1_T2_T3_mRjT4_P12ihipStream_tbNS1_7vsmem_tEEUlT_E_NS1_11comp_targetILNS1_3genE10ELNS1_11target_archE1200ELNS1_3gpuE4ELNS1_3repE0EEENS1_30default_config_static_selectorELNS0_4arch9wavefront6targetE1EEEvSM_
; %bb.0:
	.section	.rodata,"a",@progbits
	.p2align	6, 0x0
	.amdhsa_kernel _ZN7rocprim17ROCPRIM_400000_NS6detail17trampoline_kernelINS0_14default_configENS1_37merge_sort_block_sort_config_selectorIlNS0_10empty_typeEEEZNS1_21merge_sort_block_sortIS3_PlS8_PS5_S9_ZN2at6native12_GLOBAL__N_124unique_dim_cuda_templateIaEESt5tupleIJNSA_6TensorESF_SF_EERKSF_lbbbEUlllE_EE10hipError_tT0_T1_T2_T3_mRjT4_P12ihipStream_tbNS1_7vsmem_tEEUlT_E_NS1_11comp_targetILNS1_3genE10ELNS1_11target_archE1200ELNS1_3gpuE4ELNS1_3repE0EEENS1_30default_config_static_selectorELNS0_4arch9wavefront6targetE1EEEvSM_
		.amdhsa_group_segment_fixed_size 0
		.amdhsa_private_segment_fixed_size 0
		.amdhsa_kernarg_size 72
		.amdhsa_user_sgpr_count 2
		.amdhsa_user_sgpr_dispatch_ptr 0
		.amdhsa_user_sgpr_queue_ptr 0
		.amdhsa_user_sgpr_kernarg_segment_ptr 1
		.amdhsa_user_sgpr_dispatch_id 0
		.amdhsa_user_sgpr_kernarg_preload_length 0
		.amdhsa_user_sgpr_kernarg_preload_offset 0
		.amdhsa_user_sgpr_private_segment_size 0
		.amdhsa_uses_dynamic_stack 0
		.amdhsa_enable_private_segment 0
		.amdhsa_system_sgpr_workgroup_id_x 1
		.amdhsa_system_sgpr_workgroup_id_y 0
		.amdhsa_system_sgpr_workgroup_id_z 0
		.amdhsa_system_sgpr_workgroup_info 0
		.amdhsa_system_vgpr_workitem_id 0
		.amdhsa_next_free_vgpr 1
		.amdhsa_next_free_sgpr 0
		.amdhsa_accum_offset 4
		.amdhsa_reserve_vcc 0
		.amdhsa_float_round_mode_32 0
		.amdhsa_float_round_mode_16_64 0
		.amdhsa_float_denorm_mode_32 3
		.amdhsa_float_denorm_mode_16_64 3
		.amdhsa_dx10_clamp 1
		.amdhsa_ieee_mode 1
		.amdhsa_fp16_overflow 0
		.amdhsa_tg_split 0
		.amdhsa_exception_fp_ieee_invalid_op 0
		.amdhsa_exception_fp_denorm_src 0
		.amdhsa_exception_fp_ieee_div_zero 0
		.amdhsa_exception_fp_ieee_overflow 0
		.amdhsa_exception_fp_ieee_underflow 0
		.amdhsa_exception_fp_ieee_inexact 0
		.amdhsa_exception_int_div_zero 0
	.end_amdhsa_kernel
	.section	.text._ZN7rocprim17ROCPRIM_400000_NS6detail17trampoline_kernelINS0_14default_configENS1_37merge_sort_block_sort_config_selectorIlNS0_10empty_typeEEEZNS1_21merge_sort_block_sortIS3_PlS8_PS5_S9_ZN2at6native12_GLOBAL__N_124unique_dim_cuda_templateIaEESt5tupleIJNSA_6TensorESF_SF_EERKSF_lbbbEUlllE_EE10hipError_tT0_T1_T2_T3_mRjT4_P12ihipStream_tbNS1_7vsmem_tEEUlT_E_NS1_11comp_targetILNS1_3genE10ELNS1_11target_archE1200ELNS1_3gpuE4ELNS1_3repE0EEENS1_30default_config_static_selectorELNS0_4arch9wavefront6targetE1EEEvSM_,"axG",@progbits,_ZN7rocprim17ROCPRIM_400000_NS6detail17trampoline_kernelINS0_14default_configENS1_37merge_sort_block_sort_config_selectorIlNS0_10empty_typeEEEZNS1_21merge_sort_block_sortIS3_PlS8_PS5_S9_ZN2at6native12_GLOBAL__N_124unique_dim_cuda_templateIaEESt5tupleIJNSA_6TensorESF_SF_EERKSF_lbbbEUlllE_EE10hipError_tT0_T1_T2_T3_mRjT4_P12ihipStream_tbNS1_7vsmem_tEEUlT_E_NS1_11comp_targetILNS1_3genE10ELNS1_11target_archE1200ELNS1_3gpuE4ELNS1_3repE0EEENS1_30default_config_static_selectorELNS0_4arch9wavefront6targetE1EEEvSM_,comdat
.Lfunc_end267:
	.size	_ZN7rocprim17ROCPRIM_400000_NS6detail17trampoline_kernelINS0_14default_configENS1_37merge_sort_block_sort_config_selectorIlNS0_10empty_typeEEEZNS1_21merge_sort_block_sortIS3_PlS8_PS5_S9_ZN2at6native12_GLOBAL__N_124unique_dim_cuda_templateIaEESt5tupleIJNSA_6TensorESF_SF_EERKSF_lbbbEUlllE_EE10hipError_tT0_T1_T2_T3_mRjT4_P12ihipStream_tbNS1_7vsmem_tEEUlT_E_NS1_11comp_targetILNS1_3genE10ELNS1_11target_archE1200ELNS1_3gpuE4ELNS1_3repE0EEENS1_30default_config_static_selectorELNS0_4arch9wavefront6targetE1EEEvSM_, .Lfunc_end267-_ZN7rocprim17ROCPRIM_400000_NS6detail17trampoline_kernelINS0_14default_configENS1_37merge_sort_block_sort_config_selectorIlNS0_10empty_typeEEEZNS1_21merge_sort_block_sortIS3_PlS8_PS5_S9_ZN2at6native12_GLOBAL__N_124unique_dim_cuda_templateIaEESt5tupleIJNSA_6TensorESF_SF_EERKSF_lbbbEUlllE_EE10hipError_tT0_T1_T2_T3_mRjT4_P12ihipStream_tbNS1_7vsmem_tEEUlT_E_NS1_11comp_targetILNS1_3genE10ELNS1_11target_archE1200ELNS1_3gpuE4ELNS1_3repE0EEENS1_30default_config_static_selectorELNS0_4arch9wavefront6targetE1EEEvSM_
                                        ; -- End function
	.set _ZN7rocprim17ROCPRIM_400000_NS6detail17trampoline_kernelINS0_14default_configENS1_37merge_sort_block_sort_config_selectorIlNS0_10empty_typeEEEZNS1_21merge_sort_block_sortIS3_PlS8_PS5_S9_ZN2at6native12_GLOBAL__N_124unique_dim_cuda_templateIaEESt5tupleIJNSA_6TensorESF_SF_EERKSF_lbbbEUlllE_EE10hipError_tT0_T1_T2_T3_mRjT4_P12ihipStream_tbNS1_7vsmem_tEEUlT_E_NS1_11comp_targetILNS1_3genE10ELNS1_11target_archE1200ELNS1_3gpuE4ELNS1_3repE0EEENS1_30default_config_static_selectorELNS0_4arch9wavefront6targetE1EEEvSM_.num_vgpr, 0
	.set _ZN7rocprim17ROCPRIM_400000_NS6detail17trampoline_kernelINS0_14default_configENS1_37merge_sort_block_sort_config_selectorIlNS0_10empty_typeEEEZNS1_21merge_sort_block_sortIS3_PlS8_PS5_S9_ZN2at6native12_GLOBAL__N_124unique_dim_cuda_templateIaEESt5tupleIJNSA_6TensorESF_SF_EERKSF_lbbbEUlllE_EE10hipError_tT0_T1_T2_T3_mRjT4_P12ihipStream_tbNS1_7vsmem_tEEUlT_E_NS1_11comp_targetILNS1_3genE10ELNS1_11target_archE1200ELNS1_3gpuE4ELNS1_3repE0EEENS1_30default_config_static_selectorELNS0_4arch9wavefront6targetE1EEEvSM_.num_agpr, 0
	.set _ZN7rocprim17ROCPRIM_400000_NS6detail17trampoline_kernelINS0_14default_configENS1_37merge_sort_block_sort_config_selectorIlNS0_10empty_typeEEEZNS1_21merge_sort_block_sortIS3_PlS8_PS5_S9_ZN2at6native12_GLOBAL__N_124unique_dim_cuda_templateIaEESt5tupleIJNSA_6TensorESF_SF_EERKSF_lbbbEUlllE_EE10hipError_tT0_T1_T2_T3_mRjT4_P12ihipStream_tbNS1_7vsmem_tEEUlT_E_NS1_11comp_targetILNS1_3genE10ELNS1_11target_archE1200ELNS1_3gpuE4ELNS1_3repE0EEENS1_30default_config_static_selectorELNS0_4arch9wavefront6targetE1EEEvSM_.numbered_sgpr, 0
	.set _ZN7rocprim17ROCPRIM_400000_NS6detail17trampoline_kernelINS0_14default_configENS1_37merge_sort_block_sort_config_selectorIlNS0_10empty_typeEEEZNS1_21merge_sort_block_sortIS3_PlS8_PS5_S9_ZN2at6native12_GLOBAL__N_124unique_dim_cuda_templateIaEESt5tupleIJNSA_6TensorESF_SF_EERKSF_lbbbEUlllE_EE10hipError_tT0_T1_T2_T3_mRjT4_P12ihipStream_tbNS1_7vsmem_tEEUlT_E_NS1_11comp_targetILNS1_3genE10ELNS1_11target_archE1200ELNS1_3gpuE4ELNS1_3repE0EEENS1_30default_config_static_selectorELNS0_4arch9wavefront6targetE1EEEvSM_.num_named_barrier, 0
	.set _ZN7rocprim17ROCPRIM_400000_NS6detail17trampoline_kernelINS0_14default_configENS1_37merge_sort_block_sort_config_selectorIlNS0_10empty_typeEEEZNS1_21merge_sort_block_sortIS3_PlS8_PS5_S9_ZN2at6native12_GLOBAL__N_124unique_dim_cuda_templateIaEESt5tupleIJNSA_6TensorESF_SF_EERKSF_lbbbEUlllE_EE10hipError_tT0_T1_T2_T3_mRjT4_P12ihipStream_tbNS1_7vsmem_tEEUlT_E_NS1_11comp_targetILNS1_3genE10ELNS1_11target_archE1200ELNS1_3gpuE4ELNS1_3repE0EEENS1_30default_config_static_selectorELNS0_4arch9wavefront6targetE1EEEvSM_.private_seg_size, 0
	.set _ZN7rocprim17ROCPRIM_400000_NS6detail17trampoline_kernelINS0_14default_configENS1_37merge_sort_block_sort_config_selectorIlNS0_10empty_typeEEEZNS1_21merge_sort_block_sortIS3_PlS8_PS5_S9_ZN2at6native12_GLOBAL__N_124unique_dim_cuda_templateIaEESt5tupleIJNSA_6TensorESF_SF_EERKSF_lbbbEUlllE_EE10hipError_tT0_T1_T2_T3_mRjT4_P12ihipStream_tbNS1_7vsmem_tEEUlT_E_NS1_11comp_targetILNS1_3genE10ELNS1_11target_archE1200ELNS1_3gpuE4ELNS1_3repE0EEENS1_30default_config_static_selectorELNS0_4arch9wavefront6targetE1EEEvSM_.uses_vcc, 0
	.set _ZN7rocprim17ROCPRIM_400000_NS6detail17trampoline_kernelINS0_14default_configENS1_37merge_sort_block_sort_config_selectorIlNS0_10empty_typeEEEZNS1_21merge_sort_block_sortIS3_PlS8_PS5_S9_ZN2at6native12_GLOBAL__N_124unique_dim_cuda_templateIaEESt5tupleIJNSA_6TensorESF_SF_EERKSF_lbbbEUlllE_EE10hipError_tT0_T1_T2_T3_mRjT4_P12ihipStream_tbNS1_7vsmem_tEEUlT_E_NS1_11comp_targetILNS1_3genE10ELNS1_11target_archE1200ELNS1_3gpuE4ELNS1_3repE0EEENS1_30default_config_static_selectorELNS0_4arch9wavefront6targetE1EEEvSM_.uses_flat_scratch, 0
	.set _ZN7rocprim17ROCPRIM_400000_NS6detail17trampoline_kernelINS0_14default_configENS1_37merge_sort_block_sort_config_selectorIlNS0_10empty_typeEEEZNS1_21merge_sort_block_sortIS3_PlS8_PS5_S9_ZN2at6native12_GLOBAL__N_124unique_dim_cuda_templateIaEESt5tupleIJNSA_6TensorESF_SF_EERKSF_lbbbEUlllE_EE10hipError_tT0_T1_T2_T3_mRjT4_P12ihipStream_tbNS1_7vsmem_tEEUlT_E_NS1_11comp_targetILNS1_3genE10ELNS1_11target_archE1200ELNS1_3gpuE4ELNS1_3repE0EEENS1_30default_config_static_selectorELNS0_4arch9wavefront6targetE1EEEvSM_.has_dyn_sized_stack, 0
	.set _ZN7rocprim17ROCPRIM_400000_NS6detail17trampoline_kernelINS0_14default_configENS1_37merge_sort_block_sort_config_selectorIlNS0_10empty_typeEEEZNS1_21merge_sort_block_sortIS3_PlS8_PS5_S9_ZN2at6native12_GLOBAL__N_124unique_dim_cuda_templateIaEESt5tupleIJNSA_6TensorESF_SF_EERKSF_lbbbEUlllE_EE10hipError_tT0_T1_T2_T3_mRjT4_P12ihipStream_tbNS1_7vsmem_tEEUlT_E_NS1_11comp_targetILNS1_3genE10ELNS1_11target_archE1200ELNS1_3gpuE4ELNS1_3repE0EEENS1_30default_config_static_selectorELNS0_4arch9wavefront6targetE1EEEvSM_.has_recursion, 0
	.set _ZN7rocprim17ROCPRIM_400000_NS6detail17trampoline_kernelINS0_14default_configENS1_37merge_sort_block_sort_config_selectorIlNS0_10empty_typeEEEZNS1_21merge_sort_block_sortIS3_PlS8_PS5_S9_ZN2at6native12_GLOBAL__N_124unique_dim_cuda_templateIaEESt5tupleIJNSA_6TensorESF_SF_EERKSF_lbbbEUlllE_EE10hipError_tT0_T1_T2_T3_mRjT4_P12ihipStream_tbNS1_7vsmem_tEEUlT_E_NS1_11comp_targetILNS1_3genE10ELNS1_11target_archE1200ELNS1_3gpuE4ELNS1_3repE0EEENS1_30default_config_static_selectorELNS0_4arch9wavefront6targetE1EEEvSM_.has_indirect_call, 0
	.section	.AMDGPU.csdata,"",@progbits
; Kernel info:
; codeLenInByte = 0
; TotalNumSgprs: 6
; NumVgprs: 0
; NumAgprs: 0
; TotalNumVgprs: 0
; ScratchSize: 0
; MemoryBound: 0
; FloatMode: 240
; IeeeMode: 1
; LDSByteSize: 0 bytes/workgroup (compile time only)
; SGPRBlocks: 0
; VGPRBlocks: 0
; NumSGPRsForWavesPerEU: 6
; NumVGPRsForWavesPerEU: 1
; AccumOffset: 4
; Occupancy: 8
; WaveLimiterHint : 0
; COMPUTE_PGM_RSRC2:SCRATCH_EN: 0
; COMPUTE_PGM_RSRC2:USER_SGPR: 2
; COMPUTE_PGM_RSRC2:TRAP_HANDLER: 0
; COMPUTE_PGM_RSRC2:TGID_X_EN: 1
; COMPUTE_PGM_RSRC2:TGID_Y_EN: 0
; COMPUTE_PGM_RSRC2:TGID_Z_EN: 0
; COMPUTE_PGM_RSRC2:TIDIG_COMP_CNT: 0
; COMPUTE_PGM_RSRC3_GFX90A:ACCUM_OFFSET: 0
; COMPUTE_PGM_RSRC3_GFX90A:TG_SPLIT: 0
	.section	.text._ZN7rocprim17ROCPRIM_400000_NS6detail17trampoline_kernelINS0_14default_configENS1_37merge_sort_block_sort_config_selectorIlNS0_10empty_typeEEEZNS1_21merge_sort_block_sortIS3_PlS8_PS5_S9_ZN2at6native12_GLOBAL__N_124unique_dim_cuda_templateIaEESt5tupleIJNSA_6TensorESF_SF_EERKSF_lbbbEUlllE_EE10hipError_tT0_T1_T2_T3_mRjT4_P12ihipStream_tbNS1_7vsmem_tEEUlT_E_NS1_11comp_targetILNS1_3genE9ELNS1_11target_archE1100ELNS1_3gpuE3ELNS1_3repE0EEENS1_30default_config_static_selectorELNS0_4arch9wavefront6targetE1EEEvSM_,"axG",@progbits,_ZN7rocprim17ROCPRIM_400000_NS6detail17trampoline_kernelINS0_14default_configENS1_37merge_sort_block_sort_config_selectorIlNS0_10empty_typeEEEZNS1_21merge_sort_block_sortIS3_PlS8_PS5_S9_ZN2at6native12_GLOBAL__N_124unique_dim_cuda_templateIaEESt5tupleIJNSA_6TensorESF_SF_EERKSF_lbbbEUlllE_EE10hipError_tT0_T1_T2_T3_mRjT4_P12ihipStream_tbNS1_7vsmem_tEEUlT_E_NS1_11comp_targetILNS1_3genE9ELNS1_11target_archE1100ELNS1_3gpuE3ELNS1_3repE0EEENS1_30default_config_static_selectorELNS0_4arch9wavefront6targetE1EEEvSM_,comdat
	.globl	_ZN7rocprim17ROCPRIM_400000_NS6detail17trampoline_kernelINS0_14default_configENS1_37merge_sort_block_sort_config_selectorIlNS0_10empty_typeEEEZNS1_21merge_sort_block_sortIS3_PlS8_PS5_S9_ZN2at6native12_GLOBAL__N_124unique_dim_cuda_templateIaEESt5tupleIJNSA_6TensorESF_SF_EERKSF_lbbbEUlllE_EE10hipError_tT0_T1_T2_T3_mRjT4_P12ihipStream_tbNS1_7vsmem_tEEUlT_E_NS1_11comp_targetILNS1_3genE9ELNS1_11target_archE1100ELNS1_3gpuE3ELNS1_3repE0EEENS1_30default_config_static_selectorELNS0_4arch9wavefront6targetE1EEEvSM_ ; -- Begin function _ZN7rocprim17ROCPRIM_400000_NS6detail17trampoline_kernelINS0_14default_configENS1_37merge_sort_block_sort_config_selectorIlNS0_10empty_typeEEEZNS1_21merge_sort_block_sortIS3_PlS8_PS5_S9_ZN2at6native12_GLOBAL__N_124unique_dim_cuda_templateIaEESt5tupleIJNSA_6TensorESF_SF_EERKSF_lbbbEUlllE_EE10hipError_tT0_T1_T2_T3_mRjT4_P12ihipStream_tbNS1_7vsmem_tEEUlT_E_NS1_11comp_targetILNS1_3genE9ELNS1_11target_archE1100ELNS1_3gpuE3ELNS1_3repE0EEENS1_30default_config_static_selectorELNS0_4arch9wavefront6targetE1EEEvSM_
	.p2align	8
	.type	_ZN7rocprim17ROCPRIM_400000_NS6detail17trampoline_kernelINS0_14default_configENS1_37merge_sort_block_sort_config_selectorIlNS0_10empty_typeEEEZNS1_21merge_sort_block_sortIS3_PlS8_PS5_S9_ZN2at6native12_GLOBAL__N_124unique_dim_cuda_templateIaEESt5tupleIJNSA_6TensorESF_SF_EERKSF_lbbbEUlllE_EE10hipError_tT0_T1_T2_T3_mRjT4_P12ihipStream_tbNS1_7vsmem_tEEUlT_E_NS1_11comp_targetILNS1_3genE9ELNS1_11target_archE1100ELNS1_3gpuE3ELNS1_3repE0EEENS1_30default_config_static_selectorELNS0_4arch9wavefront6targetE1EEEvSM_,@function
_ZN7rocprim17ROCPRIM_400000_NS6detail17trampoline_kernelINS0_14default_configENS1_37merge_sort_block_sort_config_selectorIlNS0_10empty_typeEEEZNS1_21merge_sort_block_sortIS3_PlS8_PS5_S9_ZN2at6native12_GLOBAL__N_124unique_dim_cuda_templateIaEESt5tupleIJNSA_6TensorESF_SF_EERKSF_lbbbEUlllE_EE10hipError_tT0_T1_T2_T3_mRjT4_P12ihipStream_tbNS1_7vsmem_tEEUlT_E_NS1_11comp_targetILNS1_3genE9ELNS1_11target_archE1100ELNS1_3gpuE3ELNS1_3repE0EEENS1_30default_config_static_selectorELNS0_4arch9wavefront6targetE1EEEvSM_: ; @_ZN7rocprim17ROCPRIM_400000_NS6detail17trampoline_kernelINS0_14default_configENS1_37merge_sort_block_sort_config_selectorIlNS0_10empty_typeEEEZNS1_21merge_sort_block_sortIS3_PlS8_PS5_S9_ZN2at6native12_GLOBAL__N_124unique_dim_cuda_templateIaEESt5tupleIJNSA_6TensorESF_SF_EERKSF_lbbbEUlllE_EE10hipError_tT0_T1_T2_T3_mRjT4_P12ihipStream_tbNS1_7vsmem_tEEUlT_E_NS1_11comp_targetILNS1_3genE9ELNS1_11target_archE1100ELNS1_3gpuE3ELNS1_3repE0EEENS1_30default_config_static_selectorELNS0_4arch9wavefront6targetE1EEEvSM_
; %bb.0:
	.section	.rodata,"a",@progbits
	.p2align	6, 0x0
	.amdhsa_kernel _ZN7rocprim17ROCPRIM_400000_NS6detail17trampoline_kernelINS0_14default_configENS1_37merge_sort_block_sort_config_selectorIlNS0_10empty_typeEEEZNS1_21merge_sort_block_sortIS3_PlS8_PS5_S9_ZN2at6native12_GLOBAL__N_124unique_dim_cuda_templateIaEESt5tupleIJNSA_6TensorESF_SF_EERKSF_lbbbEUlllE_EE10hipError_tT0_T1_T2_T3_mRjT4_P12ihipStream_tbNS1_7vsmem_tEEUlT_E_NS1_11comp_targetILNS1_3genE9ELNS1_11target_archE1100ELNS1_3gpuE3ELNS1_3repE0EEENS1_30default_config_static_selectorELNS0_4arch9wavefront6targetE1EEEvSM_
		.amdhsa_group_segment_fixed_size 0
		.amdhsa_private_segment_fixed_size 0
		.amdhsa_kernarg_size 72
		.amdhsa_user_sgpr_count 2
		.amdhsa_user_sgpr_dispatch_ptr 0
		.amdhsa_user_sgpr_queue_ptr 0
		.amdhsa_user_sgpr_kernarg_segment_ptr 1
		.amdhsa_user_sgpr_dispatch_id 0
		.amdhsa_user_sgpr_kernarg_preload_length 0
		.amdhsa_user_sgpr_kernarg_preload_offset 0
		.amdhsa_user_sgpr_private_segment_size 0
		.amdhsa_uses_dynamic_stack 0
		.amdhsa_enable_private_segment 0
		.amdhsa_system_sgpr_workgroup_id_x 1
		.amdhsa_system_sgpr_workgroup_id_y 0
		.amdhsa_system_sgpr_workgroup_id_z 0
		.amdhsa_system_sgpr_workgroup_info 0
		.amdhsa_system_vgpr_workitem_id 0
		.amdhsa_next_free_vgpr 1
		.amdhsa_next_free_sgpr 0
		.amdhsa_accum_offset 4
		.amdhsa_reserve_vcc 0
		.amdhsa_float_round_mode_32 0
		.amdhsa_float_round_mode_16_64 0
		.amdhsa_float_denorm_mode_32 3
		.amdhsa_float_denorm_mode_16_64 3
		.amdhsa_dx10_clamp 1
		.amdhsa_ieee_mode 1
		.amdhsa_fp16_overflow 0
		.amdhsa_tg_split 0
		.amdhsa_exception_fp_ieee_invalid_op 0
		.amdhsa_exception_fp_denorm_src 0
		.amdhsa_exception_fp_ieee_div_zero 0
		.amdhsa_exception_fp_ieee_overflow 0
		.amdhsa_exception_fp_ieee_underflow 0
		.amdhsa_exception_fp_ieee_inexact 0
		.amdhsa_exception_int_div_zero 0
	.end_amdhsa_kernel
	.section	.text._ZN7rocprim17ROCPRIM_400000_NS6detail17trampoline_kernelINS0_14default_configENS1_37merge_sort_block_sort_config_selectorIlNS0_10empty_typeEEEZNS1_21merge_sort_block_sortIS3_PlS8_PS5_S9_ZN2at6native12_GLOBAL__N_124unique_dim_cuda_templateIaEESt5tupleIJNSA_6TensorESF_SF_EERKSF_lbbbEUlllE_EE10hipError_tT0_T1_T2_T3_mRjT4_P12ihipStream_tbNS1_7vsmem_tEEUlT_E_NS1_11comp_targetILNS1_3genE9ELNS1_11target_archE1100ELNS1_3gpuE3ELNS1_3repE0EEENS1_30default_config_static_selectorELNS0_4arch9wavefront6targetE1EEEvSM_,"axG",@progbits,_ZN7rocprim17ROCPRIM_400000_NS6detail17trampoline_kernelINS0_14default_configENS1_37merge_sort_block_sort_config_selectorIlNS0_10empty_typeEEEZNS1_21merge_sort_block_sortIS3_PlS8_PS5_S9_ZN2at6native12_GLOBAL__N_124unique_dim_cuda_templateIaEESt5tupleIJNSA_6TensorESF_SF_EERKSF_lbbbEUlllE_EE10hipError_tT0_T1_T2_T3_mRjT4_P12ihipStream_tbNS1_7vsmem_tEEUlT_E_NS1_11comp_targetILNS1_3genE9ELNS1_11target_archE1100ELNS1_3gpuE3ELNS1_3repE0EEENS1_30default_config_static_selectorELNS0_4arch9wavefront6targetE1EEEvSM_,comdat
.Lfunc_end268:
	.size	_ZN7rocprim17ROCPRIM_400000_NS6detail17trampoline_kernelINS0_14default_configENS1_37merge_sort_block_sort_config_selectorIlNS0_10empty_typeEEEZNS1_21merge_sort_block_sortIS3_PlS8_PS5_S9_ZN2at6native12_GLOBAL__N_124unique_dim_cuda_templateIaEESt5tupleIJNSA_6TensorESF_SF_EERKSF_lbbbEUlllE_EE10hipError_tT0_T1_T2_T3_mRjT4_P12ihipStream_tbNS1_7vsmem_tEEUlT_E_NS1_11comp_targetILNS1_3genE9ELNS1_11target_archE1100ELNS1_3gpuE3ELNS1_3repE0EEENS1_30default_config_static_selectorELNS0_4arch9wavefront6targetE1EEEvSM_, .Lfunc_end268-_ZN7rocprim17ROCPRIM_400000_NS6detail17trampoline_kernelINS0_14default_configENS1_37merge_sort_block_sort_config_selectorIlNS0_10empty_typeEEEZNS1_21merge_sort_block_sortIS3_PlS8_PS5_S9_ZN2at6native12_GLOBAL__N_124unique_dim_cuda_templateIaEESt5tupleIJNSA_6TensorESF_SF_EERKSF_lbbbEUlllE_EE10hipError_tT0_T1_T2_T3_mRjT4_P12ihipStream_tbNS1_7vsmem_tEEUlT_E_NS1_11comp_targetILNS1_3genE9ELNS1_11target_archE1100ELNS1_3gpuE3ELNS1_3repE0EEENS1_30default_config_static_selectorELNS0_4arch9wavefront6targetE1EEEvSM_
                                        ; -- End function
	.set _ZN7rocprim17ROCPRIM_400000_NS6detail17trampoline_kernelINS0_14default_configENS1_37merge_sort_block_sort_config_selectorIlNS0_10empty_typeEEEZNS1_21merge_sort_block_sortIS3_PlS8_PS5_S9_ZN2at6native12_GLOBAL__N_124unique_dim_cuda_templateIaEESt5tupleIJNSA_6TensorESF_SF_EERKSF_lbbbEUlllE_EE10hipError_tT0_T1_T2_T3_mRjT4_P12ihipStream_tbNS1_7vsmem_tEEUlT_E_NS1_11comp_targetILNS1_3genE9ELNS1_11target_archE1100ELNS1_3gpuE3ELNS1_3repE0EEENS1_30default_config_static_selectorELNS0_4arch9wavefront6targetE1EEEvSM_.num_vgpr, 0
	.set _ZN7rocprim17ROCPRIM_400000_NS6detail17trampoline_kernelINS0_14default_configENS1_37merge_sort_block_sort_config_selectorIlNS0_10empty_typeEEEZNS1_21merge_sort_block_sortIS3_PlS8_PS5_S9_ZN2at6native12_GLOBAL__N_124unique_dim_cuda_templateIaEESt5tupleIJNSA_6TensorESF_SF_EERKSF_lbbbEUlllE_EE10hipError_tT0_T1_T2_T3_mRjT4_P12ihipStream_tbNS1_7vsmem_tEEUlT_E_NS1_11comp_targetILNS1_3genE9ELNS1_11target_archE1100ELNS1_3gpuE3ELNS1_3repE0EEENS1_30default_config_static_selectorELNS0_4arch9wavefront6targetE1EEEvSM_.num_agpr, 0
	.set _ZN7rocprim17ROCPRIM_400000_NS6detail17trampoline_kernelINS0_14default_configENS1_37merge_sort_block_sort_config_selectorIlNS0_10empty_typeEEEZNS1_21merge_sort_block_sortIS3_PlS8_PS5_S9_ZN2at6native12_GLOBAL__N_124unique_dim_cuda_templateIaEESt5tupleIJNSA_6TensorESF_SF_EERKSF_lbbbEUlllE_EE10hipError_tT0_T1_T2_T3_mRjT4_P12ihipStream_tbNS1_7vsmem_tEEUlT_E_NS1_11comp_targetILNS1_3genE9ELNS1_11target_archE1100ELNS1_3gpuE3ELNS1_3repE0EEENS1_30default_config_static_selectorELNS0_4arch9wavefront6targetE1EEEvSM_.numbered_sgpr, 0
	.set _ZN7rocprim17ROCPRIM_400000_NS6detail17trampoline_kernelINS0_14default_configENS1_37merge_sort_block_sort_config_selectorIlNS0_10empty_typeEEEZNS1_21merge_sort_block_sortIS3_PlS8_PS5_S9_ZN2at6native12_GLOBAL__N_124unique_dim_cuda_templateIaEESt5tupleIJNSA_6TensorESF_SF_EERKSF_lbbbEUlllE_EE10hipError_tT0_T1_T2_T3_mRjT4_P12ihipStream_tbNS1_7vsmem_tEEUlT_E_NS1_11comp_targetILNS1_3genE9ELNS1_11target_archE1100ELNS1_3gpuE3ELNS1_3repE0EEENS1_30default_config_static_selectorELNS0_4arch9wavefront6targetE1EEEvSM_.num_named_barrier, 0
	.set _ZN7rocprim17ROCPRIM_400000_NS6detail17trampoline_kernelINS0_14default_configENS1_37merge_sort_block_sort_config_selectorIlNS0_10empty_typeEEEZNS1_21merge_sort_block_sortIS3_PlS8_PS5_S9_ZN2at6native12_GLOBAL__N_124unique_dim_cuda_templateIaEESt5tupleIJNSA_6TensorESF_SF_EERKSF_lbbbEUlllE_EE10hipError_tT0_T1_T2_T3_mRjT4_P12ihipStream_tbNS1_7vsmem_tEEUlT_E_NS1_11comp_targetILNS1_3genE9ELNS1_11target_archE1100ELNS1_3gpuE3ELNS1_3repE0EEENS1_30default_config_static_selectorELNS0_4arch9wavefront6targetE1EEEvSM_.private_seg_size, 0
	.set _ZN7rocprim17ROCPRIM_400000_NS6detail17trampoline_kernelINS0_14default_configENS1_37merge_sort_block_sort_config_selectorIlNS0_10empty_typeEEEZNS1_21merge_sort_block_sortIS3_PlS8_PS5_S9_ZN2at6native12_GLOBAL__N_124unique_dim_cuda_templateIaEESt5tupleIJNSA_6TensorESF_SF_EERKSF_lbbbEUlllE_EE10hipError_tT0_T1_T2_T3_mRjT4_P12ihipStream_tbNS1_7vsmem_tEEUlT_E_NS1_11comp_targetILNS1_3genE9ELNS1_11target_archE1100ELNS1_3gpuE3ELNS1_3repE0EEENS1_30default_config_static_selectorELNS0_4arch9wavefront6targetE1EEEvSM_.uses_vcc, 0
	.set _ZN7rocprim17ROCPRIM_400000_NS6detail17trampoline_kernelINS0_14default_configENS1_37merge_sort_block_sort_config_selectorIlNS0_10empty_typeEEEZNS1_21merge_sort_block_sortIS3_PlS8_PS5_S9_ZN2at6native12_GLOBAL__N_124unique_dim_cuda_templateIaEESt5tupleIJNSA_6TensorESF_SF_EERKSF_lbbbEUlllE_EE10hipError_tT0_T1_T2_T3_mRjT4_P12ihipStream_tbNS1_7vsmem_tEEUlT_E_NS1_11comp_targetILNS1_3genE9ELNS1_11target_archE1100ELNS1_3gpuE3ELNS1_3repE0EEENS1_30default_config_static_selectorELNS0_4arch9wavefront6targetE1EEEvSM_.uses_flat_scratch, 0
	.set _ZN7rocprim17ROCPRIM_400000_NS6detail17trampoline_kernelINS0_14default_configENS1_37merge_sort_block_sort_config_selectorIlNS0_10empty_typeEEEZNS1_21merge_sort_block_sortIS3_PlS8_PS5_S9_ZN2at6native12_GLOBAL__N_124unique_dim_cuda_templateIaEESt5tupleIJNSA_6TensorESF_SF_EERKSF_lbbbEUlllE_EE10hipError_tT0_T1_T2_T3_mRjT4_P12ihipStream_tbNS1_7vsmem_tEEUlT_E_NS1_11comp_targetILNS1_3genE9ELNS1_11target_archE1100ELNS1_3gpuE3ELNS1_3repE0EEENS1_30default_config_static_selectorELNS0_4arch9wavefront6targetE1EEEvSM_.has_dyn_sized_stack, 0
	.set _ZN7rocprim17ROCPRIM_400000_NS6detail17trampoline_kernelINS0_14default_configENS1_37merge_sort_block_sort_config_selectorIlNS0_10empty_typeEEEZNS1_21merge_sort_block_sortIS3_PlS8_PS5_S9_ZN2at6native12_GLOBAL__N_124unique_dim_cuda_templateIaEESt5tupleIJNSA_6TensorESF_SF_EERKSF_lbbbEUlllE_EE10hipError_tT0_T1_T2_T3_mRjT4_P12ihipStream_tbNS1_7vsmem_tEEUlT_E_NS1_11comp_targetILNS1_3genE9ELNS1_11target_archE1100ELNS1_3gpuE3ELNS1_3repE0EEENS1_30default_config_static_selectorELNS0_4arch9wavefront6targetE1EEEvSM_.has_recursion, 0
	.set _ZN7rocprim17ROCPRIM_400000_NS6detail17trampoline_kernelINS0_14default_configENS1_37merge_sort_block_sort_config_selectorIlNS0_10empty_typeEEEZNS1_21merge_sort_block_sortIS3_PlS8_PS5_S9_ZN2at6native12_GLOBAL__N_124unique_dim_cuda_templateIaEESt5tupleIJNSA_6TensorESF_SF_EERKSF_lbbbEUlllE_EE10hipError_tT0_T1_T2_T3_mRjT4_P12ihipStream_tbNS1_7vsmem_tEEUlT_E_NS1_11comp_targetILNS1_3genE9ELNS1_11target_archE1100ELNS1_3gpuE3ELNS1_3repE0EEENS1_30default_config_static_selectorELNS0_4arch9wavefront6targetE1EEEvSM_.has_indirect_call, 0
	.section	.AMDGPU.csdata,"",@progbits
; Kernel info:
; codeLenInByte = 0
; TotalNumSgprs: 6
; NumVgprs: 0
; NumAgprs: 0
; TotalNumVgprs: 0
; ScratchSize: 0
; MemoryBound: 0
; FloatMode: 240
; IeeeMode: 1
; LDSByteSize: 0 bytes/workgroup (compile time only)
; SGPRBlocks: 0
; VGPRBlocks: 0
; NumSGPRsForWavesPerEU: 6
; NumVGPRsForWavesPerEU: 1
; AccumOffset: 4
; Occupancy: 8
; WaveLimiterHint : 0
; COMPUTE_PGM_RSRC2:SCRATCH_EN: 0
; COMPUTE_PGM_RSRC2:USER_SGPR: 2
; COMPUTE_PGM_RSRC2:TRAP_HANDLER: 0
; COMPUTE_PGM_RSRC2:TGID_X_EN: 1
; COMPUTE_PGM_RSRC2:TGID_Y_EN: 0
; COMPUTE_PGM_RSRC2:TGID_Z_EN: 0
; COMPUTE_PGM_RSRC2:TIDIG_COMP_CNT: 0
; COMPUTE_PGM_RSRC3_GFX90A:ACCUM_OFFSET: 0
; COMPUTE_PGM_RSRC3_GFX90A:TG_SPLIT: 0
	.section	.text._ZN7rocprim17ROCPRIM_400000_NS6detail17trampoline_kernelINS0_14default_configENS1_37merge_sort_block_sort_config_selectorIlNS0_10empty_typeEEEZNS1_21merge_sort_block_sortIS3_PlS8_PS5_S9_ZN2at6native12_GLOBAL__N_124unique_dim_cuda_templateIaEESt5tupleIJNSA_6TensorESF_SF_EERKSF_lbbbEUlllE_EE10hipError_tT0_T1_T2_T3_mRjT4_P12ihipStream_tbNS1_7vsmem_tEEUlT_E_NS1_11comp_targetILNS1_3genE8ELNS1_11target_archE1030ELNS1_3gpuE2ELNS1_3repE0EEENS1_30default_config_static_selectorELNS0_4arch9wavefront6targetE1EEEvSM_,"axG",@progbits,_ZN7rocprim17ROCPRIM_400000_NS6detail17trampoline_kernelINS0_14default_configENS1_37merge_sort_block_sort_config_selectorIlNS0_10empty_typeEEEZNS1_21merge_sort_block_sortIS3_PlS8_PS5_S9_ZN2at6native12_GLOBAL__N_124unique_dim_cuda_templateIaEESt5tupleIJNSA_6TensorESF_SF_EERKSF_lbbbEUlllE_EE10hipError_tT0_T1_T2_T3_mRjT4_P12ihipStream_tbNS1_7vsmem_tEEUlT_E_NS1_11comp_targetILNS1_3genE8ELNS1_11target_archE1030ELNS1_3gpuE2ELNS1_3repE0EEENS1_30default_config_static_selectorELNS0_4arch9wavefront6targetE1EEEvSM_,comdat
	.globl	_ZN7rocprim17ROCPRIM_400000_NS6detail17trampoline_kernelINS0_14default_configENS1_37merge_sort_block_sort_config_selectorIlNS0_10empty_typeEEEZNS1_21merge_sort_block_sortIS3_PlS8_PS5_S9_ZN2at6native12_GLOBAL__N_124unique_dim_cuda_templateIaEESt5tupleIJNSA_6TensorESF_SF_EERKSF_lbbbEUlllE_EE10hipError_tT0_T1_T2_T3_mRjT4_P12ihipStream_tbNS1_7vsmem_tEEUlT_E_NS1_11comp_targetILNS1_3genE8ELNS1_11target_archE1030ELNS1_3gpuE2ELNS1_3repE0EEENS1_30default_config_static_selectorELNS0_4arch9wavefront6targetE1EEEvSM_ ; -- Begin function _ZN7rocprim17ROCPRIM_400000_NS6detail17trampoline_kernelINS0_14default_configENS1_37merge_sort_block_sort_config_selectorIlNS0_10empty_typeEEEZNS1_21merge_sort_block_sortIS3_PlS8_PS5_S9_ZN2at6native12_GLOBAL__N_124unique_dim_cuda_templateIaEESt5tupleIJNSA_6TensorESF_SF_EERKSF_lbbbEUlllE_EE10hipError_tT0_T1_T2_T3_mRjT4_P12ihipStream_tbNS1_7vsmem_tEEUlT_E_NS1_11comp_targetILNS1_3genE8ELNS1_11target_archE1030ELNS1_3gpuE2ELNS1_3repE0EEENS1_30default_config_static_selectorELNS0_4arch9wavefront6targetE1EEEvSM_
	.p2align	8
	.type	_ZN7rocprim17ROCPRIM_400000_NS6detail17trampoline_kernelINS0_14default_configENS1_37merge_sort_block_sort_config_selectorIlNS0_10empty_typeEEEZNS1_21merge_sort_block_sortIS3_PlS8_PS5_S9_ZN2at6native12_GLOBAL__N_124unique_dim_cuda_templateIaEESt5tupleIJNSA_6TensorESF_SF_EERKSF_lbbbEUlllE_EE10hipError_tT0_T1_T2_T3_mRjT4_P12ihipStream_tbNS1_7vsmem_tEEUlT_E_NS1_11comp_targetILNS1_3genE8ELNS1_11target_archE1030ELNS1_3gpuE2ELNS1_3repE0EEENS1_30default_config_static_selectorELNS0_4arch9wavefront6targetE1EEEvSM_,@function
_ZN7rocprim17ROCPRIM_400000_NS6detail17trampoline_kernelINS0_14default_configENS1_37merge_sort_block_sort_config_selectorIlNS0_10empty_typeEEEZNS1_21merge_sort_block_sortIS3_PlS8_PS5_S9_ZN2at6native12_GLOBAL__N_124unique_dim_cuda_templateIaEESt5tupleIJNSA_6TensorESF_SF_EERKSF_lbbbEUlllE_EE10hipError_tT0_T1_T2_T3_mRjT4_P12ihipStream_tbNS1_7vsmem_tEEUlT_E_NS1_11comp_targetILNS1_3genE8ELNS1_11target_archE1030ELNS1_3gpuE2ELNS1_3repE0EEENS1_30default_config_static_selectorELNS0_4arch9wavefront6targetE1EEEvSM_: ; @_ZN7rocprim17ROCPRIM_400000_NS6detail17trampoline_kernelINS0_14default_configENS1_37merge_sort_block_sort_config_selectorIlNS0_10empty_typeEEEZNS1_21merge_sort_block_sortIS3_PlS8_PS5_S9_ZN2at6native12_GLOBAL__N_124unique_dim_cuda_templateIaEESt5tupleIJNSA_6TensorESF_SF_EERKSF_lbbbEUlllE_EE10hipError_tT0_T1_T2_T3_mRjT4_P12ihipStream_tbNS1_7vsmem_tEEUlT_E_NS1_11comp_targetILNS1_3genE8ELNS1_11target_archE1030ELNS1_3gpuE2ELNS1_3repE0EEENS1_30default_config_static_selectorELNS0_4arch9wavefront6targetE1EEEvSM_
; %bb.0:
	.section	.rodata,"a",@progbits
	.p2align	6, 0x0
	.amdhsa_kernel _ZN7rocprim17ROCPRIM_400000_NS6detail17trampoline_kernelINS0_14default_configENS1_37merge_sort_block_sort_config_selectorIlNS0_10empty_typeEEEZNS1_21merge_sort_block_sortIS3_PlS8_PS5_S9_ZN2at6native12_GLOBAL__N_124unique_dim_cuda_templateIaEESt5tupleIJNSA_6TensorESF_SF_EERKSF_lbbbEUlllE_EE10hipError_tT0_T1_T2_T3_mRjT4_P12ihipStream_tbNS1_7vsmem_tEEUlT_E_NS1_11comp_targetILNS1_3genE8ELNS1_11target_archE1030ELNS1_3gpuE2ELNS1_3repE0EEENS1_30default_config_static_selectorELNS0_4arch9wavefront6targetE1EEEvSM_
		.amdhsa_group_segment_fixed_size 0
		.amdhsa_private_segment_fixed_size 0
		.amdhsa_kernarg_size 72
		.amdhsa_user_sgpr_count 2
		.amdhsa_user_sgpr_dispatch_ptr 0
		.amdhsa_user_sgpr_queue_ptr 0
		.amdhsa_user_sgpr_kernarg_segment_ptr 1
		.amdhsa_user_sgpr_dispatch_id 0
		.amdhsa_user_sgpr_kernarg_preload_length 0
		.amdhsa_user_sgpr_kernarg_preload_offset 0
		.amdhsa_user_sgpr_private_segment_size 0
		.amdhsa_uses_dynamic_stack 0
		.amdhsa_enable_private_segment 0
		.amdhsa_system_sgpr_workgroup_id_x 1
		.amdhsa_system_sgpr_workgroup_id_y 0
		.amdhsa_system_sgpr_workgroup_id_z 0
		.amdhsa_system_sgpr_workgroup_info 0
		.amdhsa_system_vgpr_workitem_id 0
		.amdhsa_next_free_vgpr 1
		.amdhsa_next_free_sgpr 0
		.amdhsa_accum_offset 4
		.amdhsa_reserve_vcc 0
		.amdhsa_float_round_mode_32 0
		.amdhsa_float_round_mode_16_64 0
		.amdhsa_float_denorm_mode_32 3
		.amdhsa_float_denorm_mode_16_64 3
		.amdhsa_dx10_clamp 1
		.amdhsa_ieee_mode 1
		.amdhsa_fp16_overflow 0
		.amdhsa_tg_split 0
		.amdhsa_exception_fp_ieee_invalid_op 0
		.amdhsa_exception_fp_denorm_src 0
		.amdhsa_exception_fp_ieee_div_zero 0
		.amdhsa_exception_fp_ieee_overflow 0
		.amdhsa_exception_fp_ieee_underflow 0
		.amdhsa_exception_fp_ieee_inexact 0
		.amdhsa_exception_int_div_zero 0
	.end_amdhsa_kernel
	.section	.text._ZN7rocprim17ROCPRIM_400000_NS6detail17trampoline_kernelINS0_14default_configENS1_37merge_sort_block_sort_config_selectorIlNS0_10empty_typeEEEZNS1_21merge_sort_block_sortIS3_PlS8_PS5_S9_ZN2at6native12_GLOBAL__N_124unique_dim_cuda_templateIaEESt5tupleIJNSA_6TensorESF_SF_EERKSF_lbbbEUlllE_EE10hipError_tT0_T1_T2_T3_mRjT4_P12ihipStream_tbNS1_7vsmem_tEEUlT_E_NS1_11comp_targetILNS1_3genE8ELNS1_11target_archE1030ELNS1_3gpuE2ELNS1_3repE0EEENS1_30default_config_static_selectorELNS0_4arch9wavefront6targetE1EEEvSM_,"axG",@progbits,_ZN7rocprim17ROCPRIM_400000_NS6detail17trampoline_kernelINS0_14default_configENS1_37merge_sort_block_sort_config_selectorIlNS0_10empty_typeEEEZNS1_21merge_sort_block_sortIS3_PlS8_PS5_S9_ZN2at6native12_GLOBAL__N_124unique_dim_cuda_templateIaEESt5tupleIJNSA_6TensorESF_SF_EERKSF_lbbbEUlllE_EE10hipError_tT0_T1_T2_T3_mRjT4_P12ihipStream_tbNS1_7vsmem_tEEUlT_E_NS1_11comp_targetILNS1_3genE8ELNS1_11target_archE1030ELNS1_3gpuE2ELNS1_3repE0EEENS1_30default_config_static_selectorELNS0_4arch9wavefront6targetE1EEEvSM_,comdat
.Lfunc_end269:
	.size	_ZN7rocprim17ROCPRIM_400000_NS6detail17trampoline_kernelINS0_14default_configENS1_37merge_sort_block_sort_config_selectorIlNS0_10empty_typeEEEZNS1_21merge_sort_block_sortIS3_PlS8_PS5_S9_ZN2at6native12_GLOBAL__N_124unique_dim_cuda_templateIaEESt5tupleIJNSA_6TensorESF_SF_EERKSF_lbbbEUlllE_EE10hipError_tT0_T1_T2_T3_mRjT4_P12ihipStream_tbNS1_7vsmem_tEEUlT_E_NS1_11comp_targetILNS1_3genE8ELNS1_11target_archE1030ELNS1_3gpuE2ELNS1_3repE0EEENS1_30default_config_static_selectorELNS0_4arch9wavefront6targetE1EEEvSM_, .Lfunc_end269-_ZN7rocprim17ROCPRIM_400000_NS6detail17trampoline_kernelINS0_14default_configENS1_37merge_sort_block_sort_config_selectorIlNS0_10empty_typeEEEZNS1_21merge_sort_block_sortIS3_PlS8_PS5_S9_ZN2at6native12_GLOBAL__N_124unique_dim_cuda_templateIaEESt5tupleIJNSA_6TensorESF_SF_EERKSF_lbbbEUlllE_EE10hipError_tT0_T1_T2_T3_mRjT4_P12ihipStream_tbNS1_7vsmem_tEEUlT_E_NS1_11comp_targetILNS1_3genE8ELNS1_11target_archE1030ELNS1_3gpuE2ELNS1_3repE0EEENS1_30default_config_static_selectorELNS0_4arch9wavefront6targetE1EEEvSM_
                                        ; -- End function
	.set _ZN7rocprim17ROCPRIM_400000_NS6detail17trampoline_kernelINS0_14default_configENS1_37merge_sort_block_sort_config_selectorIlNS0_10empty_typeEEEZNS1_21merge_sort_block_sortIS3_PlS8_PS5_S9_ZN2at6native12_GLOBAL__N_124unique_dim_cuda_templateIaEESt5tupleIJNSA_6TensorESF_SF_EERKSF_lbbbEUlllE_EE10hipError_tT0_T1_T2_T3_mRjT4_P12ihipStream_tbNS1_7vsmem_tEEUlT_E_NS1_11comp_targetILNS1_3genE8ELNS1_11target_archE1030ELNS1_3gpuE2ELNS1_3repE0EEENS1_30default_config_static_selectorELNS0_4arch9wavefront6targetE1EEEvSM_.num_vgpr, 0
	.set _ZN7rocprim17ROCPRIM_400000_NS6detail17trampoline_kernelINS0_14default_configENS1_37merge_sort_block_sort_config_selectorIlNS0_10empty_typeEEEZNS1_21merge_sort_block_sortIS3_PlS8_PS5_S9_ZN2at6native12_GLOBAL__N_124unique_dim_cuda_templateIaEESt5tupleIJNSA_6TensorESF_SF_EERKSF_lbbbEUlllE_EE10hipError_tT0_T1_T2_T3_mRjT4_P12ihipStream_tbNS1_7vsmem_tEEUlT_E_NS1_11comp_targetILNS1_3genE8ELNS1_11target_archE1030ELNS1_3gpuE2ELNS1_3repE0EEENS1_30default_config_static_selectorELNS0_4arch9wavefront6targetE1EEEvSM_.num_agpr, 0
	.set _ZN7rocprim17ROCPRIM_400000_NS6detail17trampoline_kernelINS0_14default_configENS1_37merge_sort_block_sort_config_selectorIlNS0_10empty_typeEEEZNS1_21merge_sort_block_sortIS3_PlS8_PS5_S9_ZN2at6native12_GLOBAL__N_124unique_dim_cuda_templateIaEESt5tupleIJNSA_6TensorESF_SF_EERKSF_lbbbEUlllE_EE10hipError_tT0_T1_T2_T3_mRjT4_P12ihipStream_tbNS1_7vsmem_tEEUlT_E_NS1_11comp_targetILNS1_3genE8ELNS1_11target_archE1030ELNS1_3gpuE2ELNS1_3repE0EEENS1_30default_config_static_selectorELNS0_4arch9wavefront6targetE1EEEvSM_.numbered_sgpr, 0
	.set _ZN7rocprim17ROCPRIM_400000_NS6detail17trampoline_kernelINS0_14default_configENS1_37merge_sort_block_sort_config_selectorIlNS0_10empty_typeEEEZNS1_21merge_sort_block_sortIS3_PlS8_PS5_S9_ZN2at6native12_GLOBAL__N_124unique_dim_cuda_templateIaEESt5tupleIJNSA_6TensorESF_SF_EERKSF_lbbbEUlllE_EE10hipError_tT0_T1_T2_T3_mRjT4_P12ihipStream_tbNS1_7vsmem_tEEUlT_E_NS1_11comp_targetILNS1_3genE8ELNS1_11target_archE1030ELNS1_3gpuE2ELNS1_3repE0EEENS1_30default_config_static_selectorELNS0_4arch9wavefront6targetE1EEEvSM_.num_named_barrier, 0
	.set _ZN7rocprim17ROCPRIM_400000_NS6detail17trampoline_kernelINS0_14default_configENS1_37merge_sort_block_sort_config_selectorIlNS0_10empty_typeEEEZNS1_21merge_sort_block_sortIS3_PlS8_PS5_S9_ZN2at6native12_GLOBAL__N_124unique_dim_cuda_templateIaEESt5tupleIJNSA_6TensorESF_SF_EERKSF_lbbbEUlllE_EE10hipError_tT0_T1_T2_T3_mRjT4_P12ihipStream_tbNS1_7vsmem_tEEUlT_E_NS1_11comp_targetILNS1_3genE8ELNS1_11target_archE1030ELNS1_3gpuE2ELNS1_3repE0EEENS1_30default_config_static_selectorELNS0_4arch9wavefront6targetE1EEEvSM_.private_seg_size, 0
	.set _ZN7rocprim17ROCPRIM_400000_NS6detail17trampoline_kernelINS0_14default_configENS1_37merge_sort_block_sort_config_selectorIlNS0_10empty_typeEEEZNS1_21merge_sort_block_sortIS3_PlS8_PS5_S9_ZN2at6native12_GLOBAL__N_124unique_dim_cuda_templateIaEESt5tupleIJNSA_6TensorESF_SF_EERKSF_lbbbEUlllE_EE10hipError_tT0_T1_T2_T3_mRjT4_P12ihipStream_tbNS1_7vsmem_tEEUlT_E_NS1_11comp_targetILNS1_3genE8ELNS1_11target_archE1030ELNS1_3gpuE2ELNS1_3repE0EEENS1_30default_config_static_selectorELNS0_4arch9wavefront6targetE1EEEvSM_.uses_vcc, 0
	.set _ZN7rocprim17ROCPRIM_400000_NS6detail17trampoline_kernelINS0_14default_configENS1_37merge_sort_block_sort_config_selectorIlNS0_10empty_typeEEEZNS1_21merge_sort_block_sortIS3_PlS8_PS5_S9_ZN2at6native12_GLOBAL__N_124unique_dim_cuda_templateIaEESt5tupleIJNSA_6TensorESF_SF_EERKSF_lbbbEUlllE_EE10hipError_tT0_T1_T2_T3_mRjT4_P12ihipStream_tbNS1_7vsmem_tEEUlT_E_NS1_11comp_targetILNS1_3genE8ELNS1_11target_archE1030ELNS1_3gpuE2ELNS1_3repE0EEENS1_30default_config_static_selectorELNS0_4arch9wavefront6targetE1EEEvSM_.uses_flat_scratch, 0
	.set _ZN7rocprim17ROCPRIM_400000_NS6detail17trampoline_kernelINS0_14default_configENS1_37merge_sort_block_sort_config_selectorIlNS0_10empty_typeEEEZNS1_21merge_sort_block_sortIS3_PlS8_PS5_S9_ZN2at6native12_GLOBAL__N_124unique_dim_cuda_templateIaEESt5tupleIJNSA_6TensorESF_SF_EERKSF_lbbbEUlllE_EE10hipError_tT0_T1_T2_T3_mRjT4_P12ihipStream_tbNS1_7vsmem_tEEUlT_E_NS1_11comp_targetILNS1_3genE8ELNS1_11target_archE1030ELNS1_3gpuE2ELNS1_3repE0EEENS1_30default_config_static_selectorELNS0_4arch9wavefront6targetE1EEEvSM_.has_dyn_sized_stack, 0
	.set _ZN7rocprim17ROCPRIM_400000_NS6detail17trampoline_kernelINS0_14default_configENS1_37merge_sort_block_sort_config_selectorIlNS0_10empty_typeEEEZNS1_21merge_sort_block_sortIS3_PlS8_PS5_S9_ZN2at6native12_GLOBAL__N_124unique_dim_cuda_templateIaEESt5tupleIJNSA_6TensorESF_SF_EERKSF_lbbbEUlllE_EE10hipError_tT0_T1_T2_T3_mRjT4_P12ihipStream_tbNS1_7vsmem_tEEUlT_E_NS1_11comp_targetILNS1_3genE8ELNS1_11target_archE1030ELNS1_3gpuE2ELNS1_3repE0EEENS1_30default_config_static_selectorELNS0_4arch9wavefront6targetE1EEEvSM_.has_recursion, 0
	.set _ZN7rocprim17ROCPRIM_400000_NS6detail17trampoline_kernelINS0_14default_configENS1_37merge_sort_block_sort_config_selectorIlNS0_10empty_typeEEEZNS1_21merge_sort_block_sortIS3_PlS8_PS5_S9_ZN2at6native12_GLOBAL__N_124unique_dim_cuda_templateIaEESt5tupleIJNSA_6TensorESF_SF_EERKSF_lbbbEUlllE_EE10hipError_tT0_T1_T2_T3_mRjT4_P12ihipStream_tbNS1_7vsmem_tEEUlT_E_NS1_11comp_targetILNS1_3genE8ELNS1_11target_archE1030ELNS1_3gpuE2ELNS1_3repE0EEENS1_30default_config_static_selectorELNS0_4arch9wavefront6targetE1EEEvSM_.has_indirect_call, 0
	.section	.AMDGPU.csdata,"",@progbits
; Kernel info:
; codeLenInByte = 0
; TotalNumSgprs: 6
; NumVgprs: 0
; NumAgprs: 0
; TotalNumVgprs: 0
; ScratchSize: 0
; MemoryBound: 0
; FloatMode: 240
; IeeeMode: 1
; LDSByteSize: 0 bytes/workgroup (compile time only)
; SGPRBlocks: 0
; VGPRBlocks: 0
; NumSGPRsForWavesPerEU: 6
; NumVGPRsForWavesPerEU: 1
; AccumOffset: 4
; Occupancy: 8
; WaveLimiterHint : 0
; COMPUTE_PGM_RSRC2:SCRATCH_EN: 0
; COMPUTE_PGM_RSRC2:USER_SGPR: 2
; COMPUTE_PGM_RSRC2:TRAP_HANDLER: 0
; COMPUTE_PGM_RSRC2:TGID_X_EN: 1
; COMPUTE_PGM_RSRC2:TGID_Y_EN: 0
; COMPUTE_PGM_RSRC2:TGID_Z_EN: 0
; COMPUTE_PGM_RSRC2:TIDIG_COMP_CNT: 0
; COMPUTE_PGM_RSRC3_GFX90A:ACCUM_OFFSET: 0
; COMPUTE_PGM_RSRC3_GFX90A:TG_SPLIT: 0
	.section	.text._ZN7rocprim17ROCPRIM_400000_NS6detail17trampoline_kernelINS0_14default_configENS1_38merge_sort_block_merge_config_selectorIlNS0_10empty_typeEEEZZNS1_27merge_sort_block_merge_implIS3_PlPS5_mZN2at6native12_GLOBAL__N_124unique_dim_cuda_templateIaEESt5tupleIJNSA_6TensorESF_SF_EERKSF_lbbbEUlllE_EE10hipError_tT0_T1_T2_jT3_P12ihipStream_tbPNSt15iterator_traitsISL_E10value_typeEPNSR_ISM_E10value_typeEPSN_NS1_7vsmem_tEENKUlT_SL_SM_SN_E_clIS8_S8_S9_S9_EESK_S10_SL_SM_SN_EUlS10_E_NS1_11comp_targetILNS1_3genE0ELNS1_11target_archE4294967295ELNS1_3gpuE0ELNS1_3repE0EEENS1_48merge_mergepath_partition_config_static_selectorELNS0_4arch9wavefront6targetE1EEEvSM_,"axG",@progbits,_ZN7rocprim17ROCPRIM_400000_NS6detail17trampoline_kernelINS0_14default_configENS1_38merge_sort_block_merge_config_selectorIlNS0_10empty_typeEEEZZNS1_27merge_sort_block_merge_implIS3_PlPS5_mZN2at6native12_GLOBAL__N_124unique_dim_cuda_templateIaEESt5tupleIJNSA_6TensorESF_SF_EERKSF_lbbbEUlllE_EE10hipError_tT0_T1_T2_jT3_P12ihipStream_tbPNSt15iterator_traitsISL_E10value_typeEPNSR_ISM_E10value_typeEPSN_NS1_7vsmem_tEENKUlT_SL_SM_SN_E_clIS8_S8_S9_S9_EESK_S10_SL_SM_SN_EUlS10_E_NS1_11comp_targetILNS1_3genE0ELNS1_11target_archE4294967295ELNS1_3gpuE0ELNS1_3repE0EEENS1_48merge_mergepath_partition_config_static_selectorELNS0_4arch9wavefront6targetE1EEEvSM_,comdat
	.globl	_ZN7rocprim17ROCPRIM_400000_NS6detail17trampoline_kernelINS0_14default_configENS1_38merge_sort_block_merge_config_selectorIlNS0_10empty_typeEEEZZNS1_27merge_sort_block_merge_implIS3_PlPS5_mZN2at6native12_GLOBAL__N_124unique_dim_cuda_templateIaEESt5tupleIJNSA_6TensorESF_SF_EERKSF_lbbbEUlllE_EE10hipError_tT0_T1_T2_jT3_P12ihipStream_tbPNSt15iterator_traitsISL_E10value_typeEPNSR_ISM_E10value_typeEPSN_NS1_7vsmem_tEENKUlT_SL_SM_SN_E_clIS8_S8_S9_S9_EESK_S10_SL_SM_SN_EUlS10_E_NS1_11comp_targetILNS1_3genE0ELNS1_11target_archE4294967295ELNS1_3gpuE0ELNS1_3repE0EEENS1_48merge_mergepath_partition_config_static_selectorELNS0_4arch9wavefront6targetE1EEEvSM_ ; -- Begin function _ZN7rocprim17ROCPRIM_400000_NS6detail17trampoline_kernelINS0_14default_configENS1_38merge_sort_block_merge_config_selectorIlNS0_10empty_typeEEEZZNS1_27merge_sort_block_merge_implIS3_PlPS5_mZN2at6native12_GLOBAL__N_124unique_dim_cuda_templateIaEESt5tupleIJNSA_6TensorESF_SF_EERKSF_lbbbEUlllE_EE10hipError_tT0_T1_T2_jT3_P12ihipStream_tbPNSt15iterator_traitsISL_E10value_typeEPNSR_ISM_E10value_typeEPSN_NS1_7vsmem_tEENKUlT_SL_SM_SN_E_clIS8_S8_S9_S9_EESK_S10_SL_SM_SN_EUlS10_E_NS1_11comp_targetILNS1_3genE0ELNS1_11target_archE4294967295ELNS1_3gpuE0ELNS1_3repE0EEENS1_48merge_mergepath_partition_config_static_selectorELNS0_4arch9wavefront6targetE1EEEvSM_
	.p2align	8
	.type	_ZN7rocprim17ROCPRIM_400000_NS6detail17trampoline_kernelINS0_14default_configENS1_38merge_sort_block_merge_config_selectorIlNS0_10empty_typeEEEZZNS1_27merge_sort_block_merge_implIS3_PlPS5_mZN2at6native12_GLOBAL__N_124unique_dim_cuda_templateIaEESt5tupleIJNSA_6TensorESF_SF_EERKSF_lbbbEUlllE_EE10hipError_tT0_T1_T2_jT3_P12ihipStream_tbPNSt15iterator_traitsISL_E10value_typeEPNSR_ISM_E10value_typeEPSN_NS1_7vsmem_tEENKUlT_SL_SM_SN_E_clIS8_S8_S9_S9_EESK_S10_SL_SM_SN_EUlS10_E_NS1_11comp_targetILNS1_3genE0ELNS1_11target_archE4294967295ELNS1_3gpuE0ELNS1_3repE0EEENS1_48merge_mergepath_partition_config_static_selectorELNS0_4arch9wavefront6targetE1EEEvSM_,@function
_ZN7rocprim17ROCPRIM_400000_NS6detail17trampoline_kernelINS0_14default_configENS1_38merge_sort_block_merge_config_selectorIlNS0_10empty_typeEEEZZNS1_27merge_sort_block_merge_implIS3_PlPS5_mZN2at6native12_GLOBAL__N_124unique_dim_cuda_templateIaEESt5tupleIJNSA_6TensorESF_SF_EERKSF_lbbbEUlllE_EE10hipError_tT0_T1_T2_jT3_P12ihipStream_tbPNSt15iterator_traitsISL_E10value_typeEPNSR_ISM_E10value_typeEPSN_NS1_7vsmem_tEENKUlT_SL_SM_SN_E_clIS8_S8_S9_S9_EESK_S10_SL_SM_SN_EUlS10_E_NS1_11comp_targetILNS1_3genE0ELNS1_11target_archE4294967295ELNS1_3gpuE0ELNS1_3repE0EEENS1_48merge_mergepath_partition_config_static_selectorELNS0_4arch9wavefront6targetE1EEEvSM_: ; @_ZN7rocprim17ROCPRIM_400000_NS6detail17trampoline_kernelINS0_14default_configENS1_38merge_sort_block_merge_config_selectorIlNS0_10empty_typeEEEZZNS1_27merge_sort_block_merge_implIS3_PlPS5_mZN2at6native12_GLOBAL__N_124unique_dim_cuda_templateIaEESt5tupleIJNSA_6TensorESF_SF_EERKSF_lbbbEUlllE_EE10hipError_tT0_T1_T2_jT3_P12ihipStream_tbPNSt15iterator_traitsISL_E10value_typeEPNSR_ISM_E10value_typeEPSN_NS1_7vsmem_tEENKUlT_SL_SM_SN_E_clIS8_S8_S9_S9_EESK_S10_SL_SM_SN_EUlS10_E_NS1_11comp_targetILNS1_3genE0ELNS1_11target_archE4294967295ELNS1_3gpuE0ELNS1_3repE0EEENS1_48merge_mergepath_partition_config_static_selectorELNS0_4arch9wavefront6targetE1EEEvSM_
; %bb.0:
	s_load_dword s3, s[0:1], 0x0
	v_lshl_or_b32 v0, s2, 7, v0
	s_waitcnt lgkmcnt(0)
	v_cmp_gt_u32_e32 vcc, s3, v0
	s_and_saveexec_b64 s[2:3], vcc
	s_cbranch_execz .LBB270_12
; %bb.1:
	s_load_dwordx4 s[12:15], s[0:1], 0x8
	s_load_dwordx8 s[4:11], s[0:1], 0x18
	v_mov_b32_e32 v5, 0
	v_mov_b32_e32 v7, v5
	s_waitcnt lgkmcnt(0)
	s_lshr_b64 s[0:1], s[12:13], 9
	s_and_b32 s0, s0, -2
	s_add_i32 s1, s0, -1
	s_sub_i32 s0, 0, s0
	v_and_b32_e32 v4, s0, v0
	v_lshlrev_b64 v[8:9], 10, v[4:5]
	v_mov_b32_e32 v1, s15
	v_cmp_lt_u64_e32 vcc, s[14:15], v[8:9]
	v_mov_b32_e32 v4, s14
	v_and_b32_e32 v6, s1, v0
	v_cndmask_b32_e32 v3, v9, v1, vcc
	v_cndmask_b32_e32 v2, v8, v4, vcc
	v_lshl_add_u64 v[8:9], v[8:9], 0, s[12:13]
	v_cmp_lt_u64_e32 vcc, s[14:15], v[8:9]
	s_nop 1
	v_cndmask_b32_e32 v11, v9, v1, vcc
	v_cndmask_b32_e32 v10, v8, v4, vcc
	v_lshl_add_u64 v[8:9], v[10:11], 0, s[12:13]
	v_cmp_lt_u64_e32 vcc, s[14:15], v[8:9]
	s_nop 1
	v_cndmask_b32_e32 v14, v8, v4, vcc
	v_cndmask_b32_e32 v1, v9, v1, vcc
	v_sub_co_u32_e32 v8, vcc, v14, v2
	v_lshlrev_b64 v[4:5], 10, v[6:7]
	s_nop 0
	v_subb_co_u32_e32 v9, vcc, v1, v3, vcc
	v_cmp_lt_u64_e32 vcc, v[8:9], v[4:5]
	s_nop 1
	v_cndmask_b32_e32 v13, v5, v9, vcc
	v_cndmask_b32_e32 v12, v4, v8, vcc
	v_sub_co_u32_e32 v6, vcc, v10, v2
	s_nop 1
	v_subb_co_u32_e32 v7, vcc, v11, v3, vcc
	v_sub_co_u32_e32 v4, vcc, v10, v14
	s_nop 1
	v_subb_co_u32_e32 v5, vcc, v11, v1, vcc
	v_lshl_add_u64 v[4:5], v[12:13], 0, v[4:5]
	v_cmp_gt_u64_e32 vcc, v[4:5], v[12:13]
	s_nop 1
	v_cndmask_b32_e64 v5, v5, 0, vcc
	v_cndmask_b32_e64 v4, v4, 0, vcc
	v_cmp_lt_u64_e32 vcc, v[12:13], v[6:7]
	s_nop 1
	v_cndmask_b32_e32 v7, v7, v13, vcc
	v_cndmask_b32_e32 v6, v6, v12, vcc
	v_cmp_lt_u64_e32 vcc, v[4:5], v[6:7]
	s_and_saveexec_b64 s[2:3], vcc
	s_cbranch_execz .LBB270_11
; %bb.2:
	v_cmp_gt_i64_e64 s[0:1], s[6:7], 0
	v_lshl_add_u64 v[10:11], v[10:11], 3, s[4:5]
	v_lshl_add_u64 v[8:9], v[2:3], 3, s[4:5]
	v_cndmask_b32_e64 v1, 0, 1, s[0:1]
	v_lshl_add_u64 v[10:11], v[12:13], 3, v[10:11]
	s_mov_b64 s[4:5], 0
	v_cmp_ne_u32_e64 s[0:1], 1, v1
	s_branch .LBB270_5
.LBB270_3:                              ;   in Loop: Header=BB270_5 Depth=1
	s_or_b64 exec, exec, s[14:15]
.LBB270_4:                              ;   in Loop: Header=BB270_5 Depth=1
	v_lshl_add_u64 v[14:15], v[12:13], 0, 1
	v_cndmask_b32_e64 v7, v7, v13, s[12:13]
	v_cndmask_b32_e64 v6, v6, v12, s[12:13]
	;; [unrolled: 1-line block ×4, first 2 shown]
	v_cmp_ge_u64_e32 vcc, v[4:5], v[6:7]
	s_or_b64 s[4:5], vcc, s[4:5]
	s_andn2_b64 exec, exec, s[4:5]
	s_cbranch_execz .LBB270_10
.LBB270_5:                              ; =>This Loop Header: Depth=1
                                        ;     Child Loop BB270_8 Depth 2
	v_lshl_add_u64 v[12:13], v[6:7], 0, v[4:5]
	v_lshrrev_b64 v[12:13], 1, v[12:13]
	s_and_b64 vcc, exec, s[0:1]
	s_mov_b64 s[12:13], 0
	s_cbranch_vccnz .LBB270_4
; %bb.6:                                ;   in Loop: Header=BB270_5 Depth=1
	v_not_b32_e32 v15, v13
	v_not_b32_e32 v14, v12
	v_lshl_add_u64 v[14:15], v[14:15], 3, v[10:11]
	v_lshl_add_u64 v[16:17], v[12:13], 3, v[8:9]
	global_load_dwordx2 v[14:15], v[14:15], off
	v_mov_b64_e32 v[18:19], s[8:9]
	global_load_dwordx2 v[16:17], v[16:17], off
	s_mov_b64 s[14:15], 0
                                        ; implicit-def: $sgpr12_sgpr13
                                        ; implicit-def: $sgpr16_sgpr17
                                        ; implicit-def: $sgpr18_sgpr19
                                        ; implicit-def: $sgpr22_sgpr23
	s_waitcnt vmcnt(1)
	v_mul_lo_u32 v1, v14, s7
	v_mul_lo_u32 v20, v15, s6
	v_mad_u64_u32 v[14:15], s[20:21], v14, s6, v[18:19]
	s_waitcnt vmcnt(0)
	v_mul_lo_u32 v21, v16, s7
	v_mul_lo_u32 v22, v17, s6
	v_mad_u64_u32 v[16:17], s[20:21], v16, s6, v[18:19]
	v_add3_u32 v15, v20, v15, v1
	v_add3_u32 v17, v22, v17, v21
	s_mov_b64 s[20:21], s[6:7]
	s_branch .LBB270_8
.LBB270_7:                              ;   in Loop: Header=BB270_8 Depth=2
	s_or_b64 exec, exec, s[26:27]
	s_and_b64 s[26:27], exec, s[16:17]
	s_or_b64 s[14:15], s[26:27], s[14:15]
	s_andn2_b64 s[22:23], s[22:23], exec
	s_and_b64 s[24:25], s[24:25], exec
	s_or_b64 s[22:23], s[22:23], s[24:25]
	s_andn2_b64 s[12:13], s[12:13], exec
	s_and_b64 s[24:25], s[18:19], exec
	s_or_b64 s[12:13], s[12:13], s[24:25]
	s_andn2_b64 exec, exec, s[14:15]
	s_cbranch_execz .LBB270_3
.LBB270_8:                              ;   Parent Loop BB270_5 Depth=1
                                        ; =>  This Inner Loop Header: Depth=2
	global_load_ubyte v1, v[14:15], off
	global_load_ubyte v18, v[16:17], off
	s_andn2_b64 s[18:19], s[18:19], exec
	s_or_b64 s[16:17], s[16:17], exec
	s_waitcnt vmcnt(0)
	v_cmp_le_i16_sdwa s[26:27], sext(v1), sext(v18) src0_sel:BYTE_0 src1_sel:BYTE_0
	v_cmp_lt_i16_sdwa s[24:25], sext(v1), sext(v18) src0_sel:BYTE_0 src1_sel:BYTE_0
	s_and_b64 s[26:27], s[26:27], s[22:23]
	s_or_b64 s[24:25], s[24:25], s[26:27]
	s_and_b64 s[26:27], s[24:25], exec
	v_cmp_eq_u16_sdwa s[28:29], v1, v18 src0_sel:BYTE_0 src1_sel:BYTE_0
	s_or_b64 s[18:19], s[18:19], s[26:27]
	s_and_saveexec_b64 s[26:27], s[28:29]
	s_cbranch_execz .LBB270_7
; %bb.9:                                ;   in Loop: Header=BB270_8 Depth=2
	s_add_u32 s20, s20, -1
	s_addc_u32 s21, s21, -1
	s_cmp_eq_u64 s[20:21], 0
	s_cselect_b64 s[22:23], -1, 0
	s_andn2_b64 s[16:17], s[16:17], exec
	s_and_b64 s[22:23], s[22:23], exec
	v_lshl_add_u64 v[14:15], v[14:15], 0, 1
	v_lshl_add_u64 v[16:17], v[16:17], 0, 1
	s_andn2_b64 s[18:19], s[18:19], exec
	s_or_b64 s[16:17], s[16:17], s[22:23]
                                        ; implicit-def: $sgpr22_sgpr23
	s_branch .LBB270_7
.LBB270_10:
	s_or_b64 exec, exec, s[4:5]
.LBB270_11:
	s_or_b64 exec, exec, s[2:3]
	v_mov_b32_e32 v6, s10
	v_mov_b32_e32 v7, s11
	;; [unrolled: 1-line block ×3, first 2 shown]
	v_lshl_add_u64 v[2:3], v[4:5], 0, v[2:3]
	v_lshl_add_u64 v[0:1], v[0:1], 3, v[6:7]
	global_store_dwordx2 v[0:1], v[2:3], off
.LBB270_12:
	s_endpgm
	.section	.rodata,"a",@progbits
	.p2align	6, 0x0
	.amdhsa_kernel _ZN7rocprim17ROCPRIM_400000_NS6detail17trampoline_kernelINS0_14default_configENS1_38merge_sort_block_merge_config_selectorIlNS0_10empty_typeEEEZZNS1_27merge_sort_block_merge_implIS3_PlPS5_mZN2at6native12_GLOBAL__N_124unique_dim_cuda_templateIaEESt5tupleIJNSA_6TensorESF_SF_EERKSF_lbbbEUlllE_EE10hipError_tT0_T1_T2_jT3_P12ihipStream_tbPNSt15iterator_traitsISL_E10value_typeEPNSR_ISM_E10value_typeEPSN_NS1_7vsmem_tEENKUlT_SL_SM_SN_E_clIS8_S8_S9_S9_EESK_S10_SL_SM_SN_EUlS10_E_NS1_11comp_targetILNS1_3genE0ELNS1_11target_archE4294967295ELNS1_3gpuE0ELNS1_3repE0EEENS1_48merge_mergepath_partition_config_static_selectorELNS0_4arch9wavefront6targetE1EEEvSM_
		.amdhsa_group_segment_fixed_size 0
		.amdhsa_private_segment_fixed_size 0
		.amdhsa_kernarg_size 56
		.amdhsa_user_sgpr_count 2
		.amdhsa_user_sgpr_dispatch_ptr 0
		.amdhsa_user_sgpr_queue_ptr 0
		.amdhsa_user_sgpr_kernarg_segment_ptr 1
		.amdhsa_user_sgpr_dispatch_id 0
		.amdhsa_user_sgpr_kernarg_preload_length 0
		.amdhsa_user_sgpr_kernarg_preload_offset 0
		.amdhsa_user_sgpr_private_segment_size 0
		.amdhsa_uses_dynamic_stack 0
		.amdhsa_enable_private_segment 0
		.amdhsa_system_sgpr_workgroup_id_x 1
		.amdhsa_system_sgpr_workgroup_id_y 0
		.amdhsa_system_sgpr_workgroup_id_z 0
		.amdhsa_system_sgpr_workgroup_info 0
		.amdhsa_system_vgpr_workitem_id 0
		.amdhsa_next_free_vgpr 23
		.amdhsa_next_free_sgpr 30
		.amdhsa_accum_offset 24
		.amdhsa_reserve_vcc 1
		.amdhsa_float_round_mode_32 0
		.amdhsa_float_round_mode_16_64 0
		.amdhsa_float_denorm_mode_32 3
		.amdhsa_float_denorm_mode_16_64 3
		.amdhsa_dx10_clamp 1
		.amdhsa_ieee_mode 1
		.amdhsa_fp16_overflow 0
		.amdhsa_tg_split 0
		.amdhsa_exception_fp_ieee_invalid_op 0
		.amdhsa_exception_fp_denorm_src 0
		.amdhsa_exception_fp_ieee_div_zero 0
		.amdhsa_exception_fp_ieee_overflow 0
		.amdhsa_exception_fp_ieee_underflow 0
		.amdhsa_exception_fp_ieee_inexact 0
		.amdhsa_exception_int_div_zero 0
	.end_amdhsa_kernel
	.section	.text._ZN7rocprim17ROCPRIM_400000_NS6detail17trampoline_kernelINS0_14default_configENS1_38merge_sort_block_merge_config_selectorIlNS0_10empty_typeEEEZZNS1_27merge_sort_block_merge_implIS3_PlPS5_mZN2at6native12_GLOBAL__N_124unique_dim_cuda_templateIaEESt5tupleIJNSA_6TensorESF_SF_EERKSF_lbbbEUlllE_EE10hipError_tT0_T1_T2_jT3_P12ihipStream_tbPNSt15iterator_traitsISL_E10value_typeEPNSR_ISM_E10value_typeEPSN_NS1_7vsmem_tEENKUlT_SL_SM_SN_E_clIS8_S8_S9_S9_EESK_S10_SL_SM_SN_EUlS10_E_NS1_11comp_targetILNS1_3genE0ELNS1_11target_archE4294967295ELNS1_3gpuE0ELNS1_3repE0EEENS1_48merge_mergepath_partition_config_static_selectorELNS0_4arch9wavefront6targetE1EEEvSM_,"axG",@progbits,_ZN7rocprim17ROCPRIM_400000_NS6detail17trampoline_kernelINS0_14default_configENS1_38merge_sort_block_merge_config_selectorIlNS0_10empty_typeEEEZZNS1_27merge_sort_block_merge_implIS3_PlPS5_mZN2at6native12_GLOBAL__N_124unique_dim_cuda_templateIaEESt5tupleIJNSA_6TensorESF_SF_EERKSF_lbbbEUlllE_EE10hipError_tT0_T1_T2_jT3_P12ihipStream_tbPNSt15iterator_traitsISL_E10value_typeEPNSR_ISM_E10value_typeEPSN_NS1_7vsmem_tEENKUlT_SL_SM_SN_E_clIS8_S8_S9_S9_EESK_S10_SL_SM_SN_EUlS10_E_NS1_11comp_targetILNS1_3genE0ELNS1_11target_archE4294967295ELNS1_3gpuE0ELNS1_3repE0EEENS1_48merge_mergepath_partition_config_static_selectorELNS0_4arch9wavefront6targetE1EEEvSM_,comdat
.Lfunc_end270:
	.size	_ZN7rocprim17ROCPRIM_400000_NS6detail17trampoline_kernelINS0_14default_configENS1_38merge_sort_block_merge_config_selectorIlNS0_10empty_typeEEEZZNS1_27merge_sort_block_merge_implIS3_PlPS5_mZN2at6native12_GLOBAL__N_124unique_dim_cuda_templateIaEESt5tupleIJNSA_6TensorESF_SF_EERKSF_lbbbEUlllE_EE10hipError_tT0_T1_T2_jT3_P12ihipStream_tbPNSt15iterator_traitsISL_E10value_typeEPNSR_ISM_E10value_typeEPSN_NS1_7vsmem_tEENKUlT_SL_SM_SN_E_clIS8_S8_S9_S9_EESK_S10_SL_SM_SN_EUlS10_E_NS1_11comp_targetILNS1_3genE0ELNS1_11target_archE4294967295ELNS1_3gpuE0ELNS1_3repE0EEENS1_48merge_mergepath_partition_config_static_selectorELNS0_4arch9wavefront6targetE1EEEvSM_, .Lfunc_end270-_ZN7rocprim17ROCPRIM_400000_NS6detail17trampoline_kernelINS0_14default_configENS1_38merge_sort_block_merge_config_selectorIlNS0_10empty_typeEEEZZNS1_27merge_sort_block_merge_implIS3_PlPS5_mZN2at6native12_GLOBAL__N_124unique_dim_cuda_templateIaEESt5tupleIJNSA_6TensorESF_SF_EERKSF_lbbbEUlllE_EE10hipError_tT0_T1_T2_jT3_P12ihipStream_tbPNSt15iterator_traitsISL_E10value_typeEPNSR_ISM_E10value_typeEPSN_NS1_7vsmem_tEENKUlT_SL_SM_SN_E_clIS8_S8_S9_S9_EESK_S10_SL_SM_SN_EUlS10_E_NS1_11comp_targetILNS1_3genE0ELNS1_11target_archE4294967295ELNS1_3gpuE0ELNS1_3repE0EEENS1_48merge_mergepath_partition_config_static_selectorELNS0_4arch9wavefront6targetE1EEEvSM_
                                        ; -- End function
	.set _ZN7rocprim17ROCPRIM_400000_NS6detail17trampoline_kernelINS0_14default_configENS1_38merge_sort_block_merge_config_selectorIlNS0_10empty_typeEEEZZNS1_27merge_sort_block_merge_implIS3_PlPS5_mZN2at6native12_GLOBAL__N_124unique_dim_cuda_templateIaEESt5tupleIJNSA_6TensorESF_SF_EERKSF_lbbbEUlllE_EE10hipError_tT0_T1_T2_jT3_P12ihipStream_tbPNSt15iterator_traitsISL_E10value_typeEPNSR_ISM_E10value_typeEPSN_NS1_7vsmem_tEENKUlT_SL_SM_SN_E_clIS8_S8_S9_S9_EESK_S10_SL_SM_SN_EUlS10_E_NS1_11comp_targetILNS1_3genE0ELNS1_11target_archE4294967295ELNS1_3gpuE0ELNS1_3repE0EEENS1_48merge_mergepath_partition_config_static_selectorELNS0_4arch9wavefront6targetE1EEEvSM_.num_vgpr, 23
	.set _ZN7rocprim17ROCPRIM_400000_NS6detail17trampoline_kernelINS0_14default_configENS1_38merge_sort_block_merge_config_selectorIlNS0_10empty_typeEEEZZNS1_27merge_sort_block_merge_implIS3_PlPS5_mZN2at6native12_GLOBAL__N_124unique_dim_cuda_templateIaEESt5tupleIJNSA_6TensorESF_SF_EERKSF_lbbbEUlllE_EE10hipError_tT0_T1_T2_jT3_P12ihipStream_tbPNSt15iterator_traitsISL_E10value_typeEPNSR_ISM_E10value_typeEPSN_NS1_7vsmem_tEENKUlT_SL_SM_SN_E_clIS8_S8_S9_S9_EESK_S10_SL_SM_SN_EUlS10_E_NS1_11comp_targetILNS1_3genE0ELNS1_11target_archE4294967295ELNS1_3gpuE0ELNS1_3repE0EEENS1_48merge_mergepath_partition_config_static_selectorELNS0_4arch9wavefront6targetE1EEEvSM_.num_agpr, 0
	.set _ZN7rocprim17ROCPRIM_400000_NS6detail17trampoline_kernelINS0_14default_configENS1_38merge_sort_block_merge_config_selectorIlNS0_10empty_typeEEEZZNS1_27merge_sort_block_merge_implIS3_PlPS5_mZN2at6native12_GLOBAL__N_124unique_dim_cuda_templateIaEESt5tupleIJNSA_6TensorESF_SF_EERKSF_lbbbEUlllE_EE10hipError_tT0_T1_T2_jT3_P12ihipStream_tbPNSt15iterator_traitsISL_E10value_typeEPNSR_ISM_E10value_typeEPSN_NS1_7vsmem_tEENKUlT_SL_SM_SN_E_clIS8_S8_S9_S9_EESK_S10_SL_SM_SN_EUlS10_E_NS1_11comp_targetILNS1_3genE0ELNS1_11target_archE4294967295ELNS1_3gpuE0ELNS1_3repE0EEENS1_48merge_mergepath_partition_config_static_selectorELNS0_4arch9wavefront6targetE1EEEvSM_.numbered_sgpr, 30
	.set _ZN7rocprim17ROCPRIM_400000_NS6detail17trampoline_kernelINS0_14default_configENS1_38merge_sort_block_merge_config_selectorIlNS0_10empty_typeEEEZZNS1_27merge_sort_block_merge_implIS3_PlPS5_mZN2at6native12_GLOBAL__N_124unique_dim_cuda_templateIaEESt5tupleIJNSA_6TensorESF_SF_EERKSF_lbbbEUlllE_EE10hipError_tT0_T1_T2_jT3_P12ihipStream_tbPNSt15iterator_traitsISL_E10value_typeEPNSR_ISM_E10value_typeEPSN_NS1_7vsmem_tEENKUlT_SL_SM_SN_E_clIS8_S8_S9_S9_EESK_S10_SL_SM_SN_EUlS10_E_NS1_11comp_targetILNS1_3genE0ELNS1_11target_archE4294967295ELNS1_3gpuE0ELNS1_3repE0EEENS1_48merge_mergepath_partition_config_static_selectorELNS0_4arch9wavefront6targetE1EEEvSM_.num_named_barrier, 0
	.set _ZN7rocprim17ROCPRIM_400000_NS6detail17trampoline_kernelINS0_14default_configENS1_38merge_sort_block_merge_config_selectorIlNS0_10empty_typeEEEZZNS1_27merge_sort_block_merge_implIS3_PlPS5_mZN2at6native12_GLOBAL__N_124unique_dim_cuda_templateIaEESt5tupleIJNSA_6TensorESF_SF_EERKSF_lbbbEUlllE_EE10hipError_tT0_T1_T2_jT3_P12ihipStream_tbPNSt15iterator_traitsISL_E10value_typeEPNSR_ISM_E10value_typeEPSN_NS1_7vsmem_tEENKUlT_SL_SM_SN_E_clIS8_S8_S9_S9_EESK_S10_SL_SM_SN_EUlS10_E_NS1_11comp_targetILNS1_3genE0ELNS1_11target_archE4294967295ELNS1_3gpuE0ELNS1_3repE0EEENS1_48merge_mergepath_partition_config_static_selectorELNS0_4arch9wavefront6targetE1EEEvSM_.private_seg_size, 0
	.set _ZN7rocprim17ROCPRIM_400000_NS6detail17trampoline_kernelINS0_14default_configENS1_38merge_sort_block_merge_config_selectorIlNS0_10empty_typeEEEZZNS1_27merge_sort_block_merge_implIS3_PlPS5_mZN2at6native12_GLOBAL__N_124unique_dim_cuda_templateIaEESt5tupleIJNSA_6TensorESF_SF_EERKSF_lbbbEUlllE_EE10hipError_tT0_T1_T2_jT3_P12ihipStream_tbPNSt15iterator_traitsISL_E10value_typeEPNSR_ISM_E10value_typeEPSN_NS1_7vsmem_tEENKUlT_SL_SM_SN_E_clIS8_S8_S9_S9_EESK_S10_SL_SM_SN_EUlS10_E_NS1_11comp_targetILNS1_3genE0ELNS1_11target_archE4294967295ELNS1_3gpuE0ELNS1_3repE0EEENS1_48merge_mergepath_partition_config_static_selectorELNS0_4arch9wavefront6targetE1EEEvSM_.uses_vcc, 1
	.set _ZN7rocprim17ROCPRIM_400000_NS6detail17trampoline_kernelINS0_14default_configENS1_38merge_sort_block_merge_config_selectorIlNS0_10empty_typeEEEZZNS1_27merge_sort_block_merge_implIS3_PlPS5_mZN2at6native12_GLOBAL__N_124unique_dim_cuda_templateIaEESt5tupleIJNSA_6TensorESF_SF_EERKSF_lbbbEUlllE_EE10hipError_tT0_T1_T2_jT3_P12ihipStream_tbPNSt15iterator_traitsISL_E10value_typeEPNSR_ISM_E10value_typeEPSN_NS1_7vsmem_tEENKUlT_SL_SM_SN_E_clIS8_S8_S9_S9_EESK_S10_SL_SM_SN_EUlS10_E_NS1_11comp_targetILNS1_3genE0ELNS1_11target_archE4294967295ELNS1_3gpuE0ELNS1_3repE0EEENS1_48merge_mergepath_partition_config_static_selectorELNS0_4arch9wavefront6targetE1EEEvSM_.uses_flat_scratch, 0
	.set _ZN7rocprim17ROCPRIM_400000_NS6detail17trampoline_kernelINS0_14default_configENS1_38merge_sort_block_merge_config_selectorIlNS0_10empty_typeEEEZZNS1_27merge_sort_block_merge_implIS3_PlPS5_mZN2at6native12_GLOBAL__N_124unique_dim_cuda_templateIaEESt5tupleIJNSA_6TensorESF_SF_EERKSF_lbbbEUlllE_EE10hipError_tT0_T1_T2_jT3_P12ihipStream_tbPNSt15iterator_traitsISL_E10value_typeEPNSR_ISM_E10value_typeEPSN_NS1_7vsmem_tEENKUlT_SL_SM_SN_E_clIS8_S8_S9_S9_EESK_S10_SL_SM_SN_EUlS10_E_NS1_11comp_targetILNS1_3genE0ELNS1_11target_archE4294967295ELNS1_3gpuE0ELNS1_3repE0EEENS1_48merge_mergepath_partition_config_static_selectorELNS0_4arch9wavefront6targetE1EEEvSM_.has_dyn_sized_stack, 0
	.set _ZN7rocprim17ROCPRIM_400000_NS6detail17trampoline_kernelINS0_14default_configENS1_38merge_sort_block_merge_config_selectorIlNS0_10empty_typeEEEZZNS1_27merge_sort_block_merge_implIS3_PlPS5_mZN2at6native12_GLOBAL__N_124unique_dim_cuda_templateIaEESt5tupleIJNSA_6TensorESF_SF_EERKSF_lbbbEUlllE_EE10hipError_tT0_T1_T2_jT3_P12ihipStream_tbPNSt15iterator_traitsISL_E10value_typeEPNSR_ISM_E10value_typeEPSN_NS1_7vsmem_tEENKUlT_SL_SM_SN_E_clIS8_S8_S9_S9_EESK_S10_SL_SM_SN_EUlS10_E_NS1_11comp_targetILNS1_3genE0ELNS1_11target_archE4294967295ELNS1_3gpuE0ELNS1_3repE0EEENS1_48merge_mergepath_partition_config_static_selectorELNS0_4arch9wavefront6targetE1EEEvSM_.has_recursion, 0
	.set _ZN7rocprim17ROCPRIM_400000_NS6detail17trampoline_kernelINS0_14default_configENS1_38merge_sort_block_merge_config_selectorIlNS0_10empty_typeEEEZZNS1_27merge_sort_block_merge_implIS3_PlPS5_mZN2at6native12_GLOBAL__N_124unique_dim_cuda_templateIaEESt5tupleIJNSA_6TensorESF_SF_EERKSF_lbbbEUlllE_EE10hipError_tT0_T1_T2_jT3_P12ihipStream_tbPNSt15iterator_traitsISL_E10value_typeEPNSR_ISM_E10value_typeEPSN_NS1_7vsmem_tEENKUlT_SL_SM_SN_E_clIS8_S8_S9_S9_EESK_S10_SL_SM_SN_EUlS10_E_NS1_11comp_targetILNS1_3genE0ELNS1_11target_archE4294967295ELNS1_3gpuE0ELNS1_3repE0EEENS1_48merge_mergepath_partition_config_static_selectorELNS0_4arch9wavefront6targetE1EEEvSM_.has_indirect_call, 0
	.section	.AMDGPU.csdata,"",@progbits
; Kernel info:
; codeLenInByte = 772
; TotalNumSgprs: 36
; NumVgprs: 23
; NumAgprs: 0
; TotalNumVgprs: 23
; ScratchSize: 0
; MemoryBound: 0
; FloatMode: 240
; IeeeMode: 1
; LDSByteSize: 0 bytes/workgroup (compile time only)
; SGPRBlocks: 4
; VGPRBlocks: 2
; NumSGPRsForWavesPerEU: 36
; NumVGPRsForWavesPerEU: 23
; AccumOffset: 24
; Occupancy: 8
; WaveLimiterHint : 0
; COMPUTE_PGM_RSRC2:SCRATCH_EN: 0
; COMPUTE_PGM_RSRC2:USER_SGPR: 2
; COMPUTE_PGM_RSRC2:TRAP_HANDLER: 0
; COMPUTE_PGM_RSRC2:TGID_X_EN: 1
; COMPUTE_PGM_RSRC2:TGID_Y_EN: 0
; COMPUTE_PGM_RSRC2:TGID_Z_EN: 0
; COMPUTE_PGM_RSRC2:TIDIG_COMP_CNT: 0
; COMPUTE_PGM_RSRC3_GFX90A:ACCUM_OFFSET: 5
; COMPUTE_PGM_RSRC3_GFX90A:TG_SPLIT: 0
	.section	.text._ZN7rocprim17ROCPRIM_400000_NS6detail17trampoline_kernelINS0_14default_configENS1_38merge_sort_block_merge_config_selectorIlNS0_10empty_typeEEEZZNS1_27merge_sort_block_merge_implIS3_PlPS5_mZN2at6native12_GLOBAL__N_124unique_dim_cuda_templateIaEESt5tupleIJNSA_6TensorESF_SF_EERKSF_lbbbEUlllE_EE10hipError_tT0_T1_T2_jT3_P12ihipStream_tbPNSt15iterator_traitsISL_E10value_typeEPNSR_ISM_E10value_typeEPSN_NS1_7vsmem_tEENKUlT_SL_SM_SN_E_clIS8_S8_S9_S9_EESK_S10_SL_SM_SN_EUlS10_E_NS1_11comp_targetILNS1_3genE10ELNS1_11target_archE1201ELNS1_3gpuE5ELNS1_3repE0EEENS1_48merge_mergepath_partition_config_static_selectorELNS0_4arch9wavefront6targetE1EEEvSM_,"axG",@progbits,_ZN7rocprim17ROCPRIM_400000_NS6detail17trampoline_kernelINS0_14default_configENS1_38merge_sort_block_merge_config_selectorIlNS0_10empty_typeEEEZZNS1_27merge_sort_block_merge_implIS3_PlPS5_mZN2at6native12_GLOBAL__N_124unique_dim_cuda_templateIaEESt5tupleIJNSA_6TensorESF_SF_EERKSF_lbbbEUlllE_EE10hipError_tT0_T1_T2_jT3_P12ihipStream_tbPNSt15iterator_traitsISL_E10value_typeEPNSR_ISM_E10value_typeEPSN_NS1_7vsmem_tEENKUlT_SL_SM_SN_E_clIS8_S8_S9_S9_EESK_S10_SL_SM_SN_EUlS10_E_NS1_11comp_targetILNS1_3genE10ELNS1_11target_archE1201ELNS1_3gpuE5ELNS1_3repE0EEENS1_48merge_mergepath_partition_config_static_selectorELNS0_4arch9wavefront6targetE1EEEvSM_,comdat
	.globl	_ZN7rocprim17ROCPRIM_400000_NS6detail17trampoline_kernelINS0_14default_configENS1_38merge_sort_block_merge_config_selectorIlNS0_10empty_typeEEEZZNS1_27merge_sort_block_merge_implIS3_PlPS5_mZN2at6native12_GLOBAL__N_124unique_dim_cuda_templateIaEESt5tupleIJNSA_6TensorESF_SF_EERKSF_lbbbEUlllE_EE10hipError_tT0_T1_T2_jT3_P12ihipStream_tbPNSt15iterator_traitsISL_E10value_typeEPNSR_ISM_E10value_typeEPSN_NS1_7vsmem_tEENKUlT_SL_SM_SN_E_clIS8_S8_S9_S9_EESK_S10_SL_SM_SN_EUlS10_E_NS1_11comp_targetILNS1_3genE10ELNS1_11target_archE1201ELNS1_3gpuE5ELNS1_3repE0EEENS1_48merge_mergepath_partition_config_static_selectorELNS0_4arch9wavefront6targetE1EEEvSM_ ; -- Begin function _ZN7rocprim17ROCPRIM_400000_NS6detail17trampoline_kernelINS0_14default_configENS1_38merge_sort_block_merge_config_selectorIlNS0_10empty_typeEEEZZNS1_27merge_sort_block_merge_implIS3_PlPS5_mZN2at6native12_GLOBAL__N_124unique_dim_cuda_templateIaEESt5tupleIJNSA_6TensorESF_SF_EERKSF_lbbbEUlllE_EE10hipError_tT0_T1_T2_jT3_P12ihipStream_tbPNSt15iterator_traitsISL_E10value_typeEPNSR_ISM_E10value_typeEPSN_NS1_7vsmem_tEENKUlT_SL_SM_SN_E_clIS8_S8_S9_S9_EESK_S10_SL_SM_SN_EUlS10_E_NS1_11comp_targetILNS1_3genE10ELNS1_11target_archE1201ELNS1_3gpuE5ELNS1_3repE0EEENS1_48merge_mergepath_partition_config_static_selectorELNS0_4arch9wavefront6targetE1EEEvSM_
	.p2align	8
	.type	_ZN7rocprim17ROCPRIM_400000_NS6detail17trampoline_kernelINS0_14default_configENS1_38merge_sort_block_merge_config_selectorIlNS0_10empty_typeEEEZZNS1_27merge_sort_block_merge_implIS3_PlPS5_mZN2at6native12_GLOBAL__N_124unique_dim_cuda_templateIaEESt5tupleIJNSA_6TensorESF_SF_EERKSF_lbbbEUlllE_EE10hipError_tT0_T1_T2_jT3_P12ihipStream_tbPNSt15iterator_traitsISL_E10value_typeEPNSR_ISM_E10value_typeEPSN_NS1_7vsmem_tEENKUlT_SL_SM_SN_E_clIS8_S8_S9_S9_EESK_S10_SL_SM_SN_EUlS10_E_NS1_11comp_targetILNS1_3genE10ELNS1_11target_archE1201ELNS1_3gpuE5ELNS1_3repE0EEENS1_48merge_mergepath_partition_config_static_selectorELNS0_4arch9wavefront6targetE1EEEvSM_,@function
_ZN7rocprim17ROCPRIM_400000_NS6detail17trampoline_kernelINS0_14default_configENS1_38merge_sort_block_merge_config_selectorIlNS0_10empty_typeEEEZZNS1_27merge_sort_block_merge_implIS3_PlPS5_mZN2at6native12_GLOBAL__N_124unique_dim_cuda_templateIaEESt5tupleIJNSA_6TensorESF_SF_EERKSF_lbbbEUlllE_EE10hipError_tT0_T1_T2_jT3_P12ihipStream_tbPNSt15iterator_traitsISL_E10value_typeEPNSR_ISM_E10value_typeEPSN_NS1_7vsmem_tEENKUlT_SL_SM_SN_E_clIS8_S8_S9_S9_EESK_S10_SL_SM_SN_EUlS10_E_NS1_11comp_targetILNS1_3genE10ELNS1_11target_archE1201ELNS1_3gpuE5ELNS1_3repE0EEENS1_48merge_mergepath_partition_config_static_selectorELNS0_4arch9wavefront6targetE1EEEvSM_: ; @_ZN7rocprim17ROCPRIM_400000_NS6detail17trampoline_kernelINS0_14default_configENS1_38merge_sort_block_merge_config_selectorIlNS0_10empty_typeEEEZZNS1_27merge_sort_block_merge_implIS3_PlPS5_mZN2at6native12_GLOBAL__N_124unique_dim_cuda_templateIaEESt5tupleIJNSA_6TensorESF_SF_EERKSF_lbbbEUlllE_EE10hipError_tT0_T1_T2_jT3_P12ihipStream_tbPNSt15iterator_traitsISL_E10value_typeEPNSR_ISM_E10value_typeEPSN_NS1_7vsmem_tEENKUlT_SL_SM_SN_E_clIS8_S8_S9_S9_EESK_S10_SL_SM_SN_EUlS10_E_NS1_11comp_targetILNS1_3genE10ELNS1_11target_archE1201ELNS1_3gpuE5ELNS1_3repE0EEENS1_48merge_mergepath_partition_config_static_selectorELNS0_4arch9wavefront6targetE1EEEvSM_
; %bb.0:
	.section	.rodata,"a",@progbits
	.p2align	6, 0x0
	.amdhsa_kernel _ZN7rocprim17ROCPRIM_400000_NS6detail17trampoline_kernelINS0_14default_configENS1_38merge_sort_block_merge_config_selectorIlNS0_10empty_typeEEEZZNS1_27merge_sort_block_merge_implIS3_PlPS5_mZN2at6native12_GLOBAL__N_124unique_dim_cuda_templateIaEESt5tupleIJNSA_6TensorESF_SF_EERKSF_lbbbEUlllE_EE10hipError_tT0_T1_T2_jT3_P12ihipStream_tbPNSt15iterator_traitsISL_E10value_typeEPNSR_ISM_E10value_typeEPSN_NS1_7vsmem_tEENKUlT_SL_SM_SN_E_clIS8_S8_S9_S9_EESK_S10_SL_SM_SN_EUlS10_E_NS1_11comp_targetILNS1_3genE10ELNS1_11target_archE1201ELNS1_3gpuE5ELNS1_3repE0EEENS1_48merge_mergepath_partition_config_static_selectorELNS0_4arch9wavefront6targetE1EEEvSM_
		.amdhsa_group_segment_fixed_size 0
		.amdhsa_private_segment_fixed_size 0
		.amdhsa_kernarg_size 56
		.amdhsa_user_sgpr_count 2
		.amdhsa_user_sgpr_dispatch_ptr 0
		.amdhsa_user_sgpr_queue_ptr 0
		.amdhsa_user_sgpr_kernarg_segment_ptr 1
		.amdhsa_user_sgpr_dispatch_id 0
		.amdhsa_user_sgpr_kernarg_preload_length 0
		.amdhsa_user_sgpr_kernarg_preload_offset 0
		.amdhsa_user_sgpr_private_segment_size 0
		.amdhsa_uses_dynamic_stack 0
		.amdhsa_enable_private_segment 0
		.amdhsa_system_sgpr_workgroup_id_x 1
		.amdhsa_system_sgpr_workgroup_id_y 0
		.amdhsa_system_sgpr_workgroup_id_z 0
		.amdhsa_system_sgpr_workgroup_info 0
		.amdhsa_system_vgpr_workitem_id 0
		.amdhsa_next_free_vgpr 1
		.amdhsa_next_free_sgpr 0
		.amdhsa_accum_offset 4
		.amdhsa_reserve_vcc 0
		.amdhsa_float_round_mode_32 0
		.amdhsa_float_round_mode_16_64 0
		.amdhsa_float_denorm_mode_32 3
		.amdhsa_float_denorm_mode_16_64 3
		.amdhsa_dx10_clamp 1
		.amdhsa_ieee_mode 1
		.amdhsa_fp16_overflow 0
		.amdhsa_tg_split 0
		.amdhsa_exception_fp_ieee_invalid_op 0
		.amdhsa_exception_fp_denorm_src 0
		.amdhsa_exception_fp_ieee_div_zero 0
		.amdhsa_exception_fp_ieee_overflow 0
		.amdhsa_exception_fp_ieee_underflow 0
		.amdhsa_exception_fp_ieee_inexact 0
		.amdhsa_exception_int_div_zero 0
	.end_amdhsa_kernel
	.section	.text._ZN7rocprim17ROCPRIM_400000_NS6detail17trampoline_kernelINS0_14default_configENS1_38merge_sort_block_merge_config_selectorIlNS0_10empty_typeEEEZZNS1_27merge_sort_block_merge_implIS3_PlPS5_mZN2at6native12_GLOBAL__N_124unique_dim_cuda_templateIaEESt5tupleIJNSA_6TensorESF_SF_EERKSF_lbbbEUlllE_EE10hipError_tT0_T1_T2_jT3_P12ihipStream_tbPNSt15iterator_traitsISL_E10value_typeEPNSR_ISM_E10value_typeEPSN_NS1_7vsmem_tEENKUlT_SL_SM_SN_E_clIS8_S8_S9_S9_EESK_S10_SL_SM_SN_EUlS10_E_NS1_11comp_targetILNS1_3genE10ELNS1_11target_archE1201ELNS1_3gpuE5ELNS1_3repE0EEENS1_48merge_mergepath_partition_config_static_selectorELNS0_4arch9wavefront6targetE1EEEvSM_,"axG",@progbits,_ZN7rocprim17ROCPRIM_400000_NS6detail17trampoline_kernelINS0_14default_configENS1_38merge_sort_block_merge_config_selectorIlNS0_10empty_typeEEEZZNS1_27merge_sort_block_merge_implIS3_PlPS5_mZN2at6native12_GLOBAL__N_124unique_dim_cuda_templateIaEESt5tupleIJNSA_6TensorESF_SF_EERKSF_lbbbEUlllE_EE10hipError_tT0_T1_T2_jT3_P12ihipStream_tbPNSt15iterator_traitsISL_E10value_typeEPNSR_ISM_E10value_typeEPSN_NS1_7vsmem_tEENKUlT_SL_SM_SN_E_clIS8_S8_S9_S9_EESK_S10_SL_SM_SN_EUlS10_E_NS1_11comp_targetILNS1_3genE10ELNS1_11target_archE1201ELNS1_3gpuE5ELNS1_3repE0EEENS1_48merge_mergepath_partition_config_static_selectorELNS0_4arch9wavefront6targetE1EEEvSM_,comdat
.Lfunc_end271:
	.size	_ZN7rocprim17ROCPRIM_400000_NS6detail17trampoline_kernelINS0_14default_configENS1_38merge_sort_block_merge_config_selectorIlNS0_10empty_typeEEEZZNS1_27merge_sort_block_merge_implIS3_PlPS5_mZN2at6native12_GLOBAL__N_124unique_dim_cuda_templateIaEESt5tupleIJNSA_6TensorESF_SF_EERKSF_lbbbEUlllE_EE10hipError_tT0_T1_T2_jT3_P12ihipStream_tbPNSt15iterator_traitsISL_E10value_typeEPNSR_ISM_E10value_typeEPSN_NS1_7vsmem_tEENKUlT_SL_SM_SN_E_clIS8_S8_S9_S9_EESK_S10_SL_SM_SN_EUlS10_E_NS1_11comp_targetILNS1_3genE10ELNS1_11target_archE1201ELNS1_3gpuE5ELNS1_3repE0EEENS1_48merge_mergepath_partition_config_static_selectorELNS0_4arch9wavefront6targetE1EEEvSM_, .Lfunc_end271-_ZN7rocprim17ROCPRIM_400000_NS6detail17trampoline_kernelINS0_14default_configENS1_38merge_sort_block_merge_config_selectorIlNS0_10empty_typeEEEZZNS1_27merge_sort_block_merge_implIS3_PlPS5_mZN2at6native12_GLOBAL__N_124unique_dim_cuda_templateIaEESt5tupleIJNSA_6TensorESF_SF_EERKSF_lbbbEUlllE_EE10hipError_tT0_T1_T2_jT3_P12ihipStream_tbPNSt15iterator_traitsISL_E10value_typeEPNSR_ISM_E10value_typeEPSN_NS1_7vsmem_tEENKUlT_SL_SM_SN_E_clIS8_S8_S9_S9_EESK_S10_SL_SM_SN_EUlS10_E_NS1_11comp_targetILNS1_3genE10ELNS1_11target_archE1201ELNS1_3gpuE5ELNS1_3repE0EEENS1_48merge_mergepath_partition_config_static_selectorELNS0_4arch9wavefront6targetE1EEEvSM_
                                        ; -- End function
	.set _ZN7rocprim17ROCPRIM_400000_NS6detail17trampoline_kernelINS0_14default_configENS1_38merge_sort_block_merge_config_selectorIlNS0_10empty_typeEEEZZNS1_27merge_sort_block_merge_implIS3_PlPS5_mZN2at6native12_GLOBAL__N_124unique_dim_cuda_templateIaEESt5tupleIJNSA_6TensorESF_SF_EERKSF_lbbbEUlllE_EE10hipError_tT0_T1_T2_jT3_P12ihipStream_tbPNSt15iterator_traitsISL_E10value_typeEPNSR_ISM_E10value_typeEPSN_NS1_7vsmem_tEENKUlT_SL_SM_SN_E_clIS8_S8_S9_S9_EESK_S10_SL_SM_SN_EUlS10_E_NS1_11comp_targetILNS1_3genE10ELNS1_11target_archE1201ELNS1_3gpuE5ELNS1_3repE0EEENS1_48merge_mergepath_partition_config_static_selectorELNS0_4arch9wavefront6targetE1EEEvSM_.num_vgpr, 0
	.set _ZN7rocprim17ROCPRIM_400000_NS6detail17trampoline_kernelINS0_14default_configENS1_38merge_sort_block_merge_config_selectorIlNS0_10empty_typeEEEZZNS1_27merge_sort_block_merge_implIS3_PlPS5_mZN2at6native12_GLOBAL__N_124unique_dim_cuda_templateIaEESt5tupleIJNSA_6TensorESF_SF_EERKSF_lbbbEUlllE_EE10hipError_tT0_T1_T2_jT3_P12ihipStream_tbPNSt15iterator_traitsISL_E10value_typeEPNSR_ISM_E10value_typeEPSN_NS1_7vsmem_tEENKUlT_SL_SM_SN_E_clIS8_S8_S9_S9_EESK_S10_SL_SM_SN_EUlS10_E_NS1_11comp_targetILNS1_3genE10ELNS1_11target_archE1201ELNS1_3gpuE5ELNS1_3repE0EEENS1_48merge_mergepath_partition_config_static_selectorELNS0_4arch9wavefront6targetE1EEEvSM_.num_agpr, 0
	.set _ZN7rocprim17ROCPRIM_400000_NS6detail17trampoline_kernelINS0_14default_configENS1_38merge_sort_block_merge_config_selectorIlNS0_10empty_typeEEEZZNS1_27merge_sort_block_merge_implIS3_PlPS5_mZN2at6native12_GLOBAL__N_124unique_dim_cuda_templateIaEESt5tupleIJNSA_6TensorESF_SF_EERKSF_lbbbEUlllE_EE10hipError_tT0_T1_T2_jT3_P12ihipStream_tbPNSt15iterator_traitsISL_E10value_typeEPNSR_ISM_E10value_typeEPSN_NS1_7vsmem_tEENKUlT_SL_SM_SN_E_clIS8_S8_S9_S9_EESK_S10_SL_SM_SN_EUlS10_E_NS1_11comp_targetILNS1_3genE10ELNS1_11target_archE1201ELNS1_3gpuE5ELNS1_3repE0EEENS1_48merge_mergepath_partition_config_static_selectorELNS0_4arch9wavefront6targetE1EEEvSM_.numbered_sgpr, 0
	.set _ZN7rocprim17ROCPRIM_400000_NS6detail17trampoline_kernelINS0_14default_configENS1_38merge_sort_block_merge_config_selectorIlNS0_10empty_typeEEEZZNS1_27merge_sort_block_merge_implIS3_PlPS5_mZN2at6native12_GLOBAL__N_124unique_dim_cuda_templateIaEESt5tupleIJNSA_6TensorESF_SF_EERKSF_lbbbEUlllE_EE10hipError_tT0_T1_T2_jT3_P12ihipStream_tbPNSt15iterator_traitsISL_E10value_typeEPNSR_ISM_E10value_typeEPSN_NS1_7vsmem_tEENKUlT_SL_SM_SN_E_clIS8_S8_S9_S9_EESK_S10_SL_SM_SN_EUlS10_E_NS1_11comp_targetILNS1_3genE10ELNS1_11target_archE1201ELNS1_3gpuE5ELNS1_3repE0EEENS1_48merge_mergepath_partition_config_static_selectorELNS0_4arch9wavefront6targetE1EEEvSM_.num_named_barrier, 0
	.set _ZN7rocprim17ROCPRIM_400000_NS6detail17trampoline_kernelINS0_14default_configENS1_38merge_sort_block_merge_config_selectorIlNS0_10empty_typeEEEZZNS1_27merge_sort_block_merge_implIS3_PlPS5_mZN2at6native12_GLOBAL__N_124unique_dim_cuda_templateIaEESt5tupleIJNSA_6TensorESF_SF_EERKSF_lbbbEUlllE_EE10hipError_tT0_T1_T2_jT3_P12ihipStream_tbPNSt15iterator_traitsISL_E10value_typeEPNSR_ISM_E10value_typeEPSN_NS1_7vsmem_tEENKUlT_SL_SM_SN_E_clIS8_S8_S9_S9_EESK_S10_SL_SM_SN_EUlS10_E_NS1_11comp_targetILNS1_3genE10ELNS1_11target_archE1201ELNS1_3gpuE5ELNS1_3repE0EEENS1_48merge_mergepath_partition_config_static_selectorELNS0_4arch9wavefront6targetE1EEEvSM_.private_seg_size, 0
	.set _ZN7rocprim17ROCPRIM_400000_NS6detail17trampoline_kernelINS0_14default_configENS1_38merge_sort_block_merge_config_selectorIlNS0_10empty_typeEEEZZNS1_27merge_sort_block_merge_implIS3_PlPS5_mZN2at6native12_GLOBAL__N_124unique_dim_cuda_templateIaEESt5tupleIJNSA_6TensorESF_SF_EERKSF_lbbbEUlllE_EE10hipError_tT0_T1_T2_jT3_P12ihipStream_tbPNSt15iterator_traitsISL_E10value_typeEPNSR_ISM_E10value_typeEPSN_NS1_7vsmem_tEENKUlT_SL_SM_SN_E_clIS8_S8_S9_S9_EESK_S10_SL_SM_SN_EUlS10_E_NS1_11comp_targetILNS1_3genE10ELNS1_11target_archE1201ELNS1_3gpuE5ELNS1_3repE0EEENS1_48merge_mergepath_partition_config_static_selectorELNS0_4arch9wavefront6targetE1EEEvSM_.uses_vcc, 0
	.set _ZN7rocprim17ROCPRIM_400000_NS6detail17trampoline_kernelINS0_14default_configENS1_38merge_sort_block_merge_config_selectorIlNS0_10empty_typeEEEZZNS1_27merge_sort_block_merge_implIS3_PlPS5_mZN2at6native12_GLOBAL__N_124unique_dim_cuda_templateIaEESt5tupleIJNSA_6TensorESF_SF_EERKSF_lbbbEUlllE_EE10hipError_tT0_T1_T2_jT3_P12ihipStream_tbPNSt15iterator_traitsISL_E10value_typeEPNSR_ISM_E10value_typeEPSN_NS1_7vsmem_tEENKUlT_SL_SM_SN_E_clIS8_S8_S9_S9_EESK_S10_SL_SM_SN_EUlS10_E_NS1_11comp_targetILNS1_3genE10ELNS1_11target_archE1201ELNS1_3gpuE5ELNS1_3repE0EEENS1_48merge_mergepath_partition_config_static_selectorELNS0_4arch9wavefront6targetE1EEEvSM_.uses_flat_scratch, 0
	.set _ZN7rocprim17ROCPRIM_400000_NS6detail17trampoline_kernelINS0_14default_configENS1_38merge_sort_block_merge_config_selectorIlNS0_10empty_typeEEEZZNS1_27merge_sort_block_merge_implIS3_PlPS5_mZN2at6native12_GLOBAL__N_124unique_dim_cuda_templateIaEESt5tupleIJNSA_6TensorESF_SF_EERKSF_lbbbEUlllE_EE10hipError_tT0_T1_T2_jT3_P12ihipStream_tbPNSt15iterator_traitsISL_E10value_typeEPNSR_ISM_E10value_typeEPSN_NS1_7vsmem_tEENKUlT_SL_SM_SN_E_clIS8_S8_S9_S9_EESK_S10_SL_SM_SN_EUlS10_E_NS1_11comp_targetILNS1_3genE10ELNS1_11target_archE1201ELNS1_3gpuE5ELNS1_3repE0EEENS1_48merge_mergepath_partition_config_static_selectorELNS0_4arch9wavefront6targetE1EEEvSM_.has_dyn_sized_stack, 0
	.set _ZN7rocprim17ROCPRIM_400000_NS6detail17trampoline_kernelINS0_14default_configENS1_38merge_sort_block_merge_config_selectorIlNS0_10empty_typeEEEZZNS1_27merge_sort_block_merge_implIS3_PlPS5_mZN2at6native12_GLOBAL__N_124unique_dim_cuda_templateIaEESt5tupleIJNSA_6TensorESF_SF_EERKSF_lbbbEUlllE_EE10hipError_tT0_T1_T2_jT3_P12ihipStream_tbPNSt15iterator_traitsISL_E10value_typeEPNSR_ISM_E10value_typeEPSN_NS1_7vsmem_tEENKUlT_SL_SM_SN_E_clIS8_S8_S9_S9_EESK_S10_SL_SM_SN_EUlS10_E_NS1_11comp_targetILNS1_3genE10ELNS1_11target_archE1201ELNS1_3gpuE5ELNS1_3repE0EEENS1_48merge_mergepath_partition_config_static_selectorELNS0_4arch9wavefront6targetE1EEEvSM_.has_recursion, 0
	.set _ZN7rocprim17ROCPRIM_400000_NS6detail17trampoline_kernelINS0_14default_configENS1_38merge_sort_block_merge_config_selectorIlNS0_10empty_typeEEEZZNS1_27merge_sort_block_merge_implIS3_PlPS5_mZN2at6native12_GLOBAL__N_124unique_dim_cuda_templateIaEESt5tupleIJNSA_6TensorESF_SF_EERKSF_lbbbEUlllE_EE10hipError_tT0_T1_T2_jT3_P12ihipStream_tbPNSt15iterator_traitsISL_E10value_typeEPNSR_ISM_E10value_typeEPSN_NS1_7vsmem_tEENKUlT_SL_SM_SN_E_clIS8_S8_S9_S9_EESK_S10_SL_SM_SN_EUlS10_E_NS1_11comp_targetILNS1_3genE10ELNS1_11target_archE1201ELNS1_3gpuE5ELNS1_3repE0EEENS1_48merge_mergepath_partition_config_static_selectorELNS0_4arch9wavefront6targetE1EEEvSM_.has_indirect_call, 0
	.section	.AMDGPU.csdata,"",@progbits
; Kernel info:
; codeLenInByte = 0
; TotalNumSgprs: 6
; NumVgprs: 0
; NumAgprs: 0
; TotalNumVgprs: 0
; ScratchSize: 0
; MemoryBound: 0
; FloatMode: 240
; IeeeMode: 1
; LDSByteSize: 0 bytes/workgroup (compile time only)
; SGPRBlocks: 0
; VGPRBlocks: 0
; NumSGPRsForWavesPerEU: 6
; NumVGPRsForWavesPerEU: 1
; AccumOffset: 4
; Occupancy: 8
; WaveLimiterHint : 0
; COMPUTE_PGM_RSRC2:SCRATCH_EN: 0
; COMPUTE_PGM_RSRC2:USER_SGPR: 2
; COMPUTE_PGM_RSRC2:TRAP_HANDLER: 0
; COMPUTE_PGM_RSRC2:TGID_X_EN: 1
; COMPUTE_PGM_RSRC2:TGID_Y_EN: 0
; COMPUTE_PGM_RSRC2:TGID_Z_EN: 0
; COMPUTE_PGM_RSRC2:TIDIG_COMP_CNT: 0
; COMPUTE_PGM_RSRC3_GFX90A:ACCUM_OFFSET: 0
; COMPUTE_PGM_RSRC3_GFX90A:TG_SPLIT: 0
	.section	.text._ZN7rocprim17ROCPRIM_400000_NS6detail17trampoline_kernelINS0_14default_configENS1_38merge_sort_block_merge_config_selectorIlNS0_10empty_typeEEEZZNS1_27merge_sort_block_merge_implIS3_PlPS5_mZN2at6native12_GLOBAL__N_124unique_dim_cuda_templateIaEESt5tupleIJNSA_6TensorESF_SF_EERKSF_lbbbEUlllE_EE10hipError_tT0_T1_T2_jT3_P12ihipStream_tbPNSt15iterator_traitsISL_E10value_typeEPNSR_ISM_E10value_typeEPSN_NS1_7vsmem_tEENKUlT_SL_SM_SN_E_clIS8_S8_S9_S9_EESK_S10_SL_SM_SN_EUlS10_E_NS1_11comp_targetILNS1_3genE5ELNS1_11target_archE942ELNS1_3gpuE9ELNS1_3repE0EEENS1_48merge_mergepath_partition_config_static_selectorELNS0_4arch9wavefront6targetE1EEEvSM_,"axG",@progbits,_ZN7rocprim17ROCPRIM_400000_NS6detail17trampoline_kernelINS0_14default_configENS1_38merge_sort_block_merge_config_selectorIlNS0_10empty_typeEEEZZNS1_27merge_sort_block_merge_implIS3_PlPS5_mZN2at6native12_GLOBAL__N_124unique_dim_cuda_templateIaEESt5tupleIJNSA_6TensorESF_SF_EERKSF_lbbbEUlllE_EE10hipError_tT0_T1_T2_jT3_P12ihipStream_tbPNSt15iterator_traitsISL_E10value_typeEPNSR_ISM_E10value_typeEPSN_NS1_7vsmem_tEENKUlT_SL_SM_SN_E_clIS8_S8_S9_S9_EESK_S10_SL_SM_SN_EUlS10_E_NS1_11comp_targetILNS1_3genE5ELNS1_11target_archE942ELNS1_3gpuE9ELNS1_3repE0EEENS1_48merge_mergepath_partition_config_static_selectorELNS0_4arch9wavefront6targetE1EEEvSM_,comdat
	.globl	_ZN7rocprim17ROCPRIM_400000_NS6detail17trampoline_kernelINS0_14default_configENS1_38merge_sort_block_merge_config_selectorIlNS0_10empty_typeEEEZZNS1_27merge_sort_block_merge_implIS3_PlPS5_mZN2at6native12_GLOBAL__N_124unique_dim_cuda_templateIaEESt5tupleIJNSA_6TensorESF_SF_EERKSF_lbbbEUlllE_EE10hipError_tT0_T1_T2_jT3_P12ihipStream_tbPNSt15iterator_traitsISL_E10value_typeEPNSR_ISM_E10value_typeEPSN_NS1_7vsmem_tEENKUlT_SL_SM_SN_E_clIS8_S8_S9_S9_EESK_S10_SL_SM_SN_EUlS10_E_NS1_11comp_targetILNS1_3genE5ELNS1_11target_archE942ELNS1_3gpuE9ELNS1_3repE0EEENS1_48merge_mergepath_partition_config_static_selectorELNS0_4arch9wavefront6targetE1EEEvSM_ ; -- Begin function _ZN7rocprim17ROCPRIM_400000_NS6detail17trampoline_kernelINS0_14default_configENS1_38merge_sort_block_merge_config_selectorIlNS0_10empty_typeEEEZZNS1_27merge_sort_block_merge_implIS3_PlPS5_mZN2at6native12_GLOBAL__N_124unique_dim_cuda_templateIaEESt5tupleIJNSA_6TensorESF_SF_EERKSF_lbbbEUlllE_EE10hipError_tT0_T1_T2_jT3_P12ihipStream_tbPNSt15iterator_traitsISL_E10value_typeEPNSR_ISM_E10value_typeEPSN_NS1_7vsmem_tEENKUlT_SL_SM_SN_E_clIS8_S8_S9_S9_EESK_S10_SL_SM_SN_EUlS10_E_NS1_11comp_targetILNS1_3genE5ELNS1_11target_archE942ELNS1_3gpuE9ELNS1_3repE0EEENS1_48merge_mergepath_partition_config_static_selectorELNS0_4arch9wavefront6targetE1EEEvSM_
	.p2align	8
	.type	_ZN7rocprim17ROCPRIM_400000_NS6detail17trampoline_kernelINS0_14default_configENS1_38merge_sort_block_merge_config_selectorIlNS0_10empty_typeEEEZZNS1_27merge_sort_block_merge_implIS3_PlPS5_mZN2at6native12_GLOBAL__N_124unique_dim_cuda_templateIaEESt5tupleIJNSA_6TensorESF_SF_EERKSF_lbbbEUlllE_EE10hipError_tT0_T1_T2_jT3_P12ihipStream_tbPNSt15iterator_traitsISL_E10value_typeEPNSR_ISM_E10value_typeEPSN_NS1_7vsmem_tEENKUlT_SL_SM_SN_E_clIS8_S8_S9_S9_EESK_S10_SL_SM_SN_EUlS10_E_NS1_11comp_targetILNS1_3genE5ELNS1_11target_archE942ELNS1_3gpuE9ELNS1_3repE0EEENS1_48merge_mergepath_partition_config_static_selectorELNS0_4arch9wavefront6targetE1EEEvSM_,@function
_ZN7rocprim17ROCPRIM_400000_NS6detail17trampoline_kernelINS0_14default_configENS1_38merge_sort_block_merge_config_selectorIlNS0_10empty_typeEEEZZNS1_27merge_sort_block_merge_implIS3_PlPS5_mZN2at6native12_GLOBAL__N_124unique_dim_cuda_templateIaEESt5tupleIJNSA_6TensorESF_SF_EERKSF_lbbbEUlllE_EE10hipError_tT0_T1_T2_jT3_P12ihipStream_tbPNSt15iterator_traitsISL_E10value_typeEPNSR_ISM_E10value_typeEPSN_NS1_7vsmem_tEENKUlT_SL_SM_SN_E_clIS8_S8_S9_S9_EESK_S10_SL_SM_SN_EUlS10_E_NS1_11comp_targetILNS1_3genE5ELNS1_11target_archE942ELNS1_3gpuE9ELNS1_3repE0EEENS1_48merge_mergepath_partition_config_static_selectorELNS0_4arch9wavefront6targetE1EEEvSM_: ; @_ZN7rocprim17ROCPRIM_400000_NS6detail17trampoline_kernelINS0_14default_configENS1_38merge_sort_block_merge_config_selectorIlNS0_10empty_typeEEEZZNS1_27merge_sort_block_merge_implIS3_PlPS5_mZN2at6native12_GLOBAL__N_124unique_dim_cuda_templateIaEESt5tupleIJNSA_6TensorESF_SF_EERKSF_lbbbEUlllE_EE10hipError_tT0_T1_T2_jT3_P12ihipStream_tbPNSt15iterator_traitsISL_E10value_typeEPNSR_ISM_E10value_typeEPSN_NS1_7vsmem_tEENKUlT_SL_SM_SN_E_clIS8_S8_S9_S9_EESK_S10_SL_SM_SN_EUlS10_E_NS1_11comp_targetILNS1_3genE5ELNS1_11target_archE942ELNS1_3gpuE9ELNS1_3repE0EEENS1_48merge_mergepath_partition_config_static_selectorELNS0_4arch9wavefront6targetE1EEEvSM_
; %bb.0:
	.section	.rodata,"a",@progbits
	.p2align	6, 0x0
	.amdhsa_kernel _ZN7rocprim17ROCPRIM_400000_NS6detail17trampoline_kernelINS0_14default_configENS1_38merge_sort_block_merge_config_selectorIlNS0_10empty_typeEEEZZNS1_27merge_sort_block_merge_implIS3_PlPS5_mZN2at6native12_GLOBAL__N_124unique_dim_cuda_templateIaEESt5tupleIJNSA_6TensorESF_SF_EERKSF_lbbbEUlllE_EE10hipError_tT0_T1_T2_jT3_P12ihipStream_tbPNSt15iterator_traitsISL_E10value_typeEPNSR_ISM_E10value_typeEPSN_NS1_7vsmem_tEENKUlT_SL_SM_SN_E_clIS8_S8_S9_S9_EESK_S10_SL_SM_SN_EUlS10_E_NS1_11comp_targetILNS1_3genE5ELNS1_11target_archE942ELNS1_3gpuE9ELNS1_3repE0EEENS1_48merge_mergepath_partition_config_static_selectorELNS0_4arch9wavefront6targetE1EEEvSM_
		.amdhsa_group_segment_fixed_size 0
		.amdhsa_private_segment_fixed_size 0
		.amdhsa_kernarg_size 56
		.amdhsa_user_sgpr_count 2
		.amdhsa_user_sgpr_dispatch_ptr 0
		.amdhsa_user_sgpr_queue_ptr 0
		.amdhsa_user_sgpr_kernarg_segment_ptr 1
		.amdhsa_user_sgpr_dispatch_id 0
		.amdhsa_user_sgpr_kernarg_preload_length 0
		.amdhsa_user_sgpr_kernarg_preload_offset 0
		.amdhsa_user_sgpr_private_segment_size 0
		.amdhsa_uses_dynamic_stack 0
		.amdhsa_enable_private_segment 0
		.amdhsa_system_sgpr_workgroup_id_x 1
		.amdhsa_system_sgpr_workgroup_id_y 0
		.amdhsa_system_sgpr_workgroup_id_z 0
		.amdhsa_system_sgpr_workgroup_info 0
		.amdhsa_system_vgpr_workitem_id 0
		.amdhsa_next_free_vgpr 1
		.amdhsa_next_free_sgpr 0
		.amdhsa_accum_offset 4
		.amdhsa_reserve_vcc 0
		.amdhsa_float_round_mode_32 0
		.amdhsa_float_round_mode_16_64 0
		.amdhsa_float_denorm_mode_32 3
		.amdhsa_float_denorm_mode_16_64 3
		.amdhsa_dx10_clamp 1
		.amdhsa_ieee_mode 1
		.amdhsa_fp16_overflow 0
		.amdhsa_tg_split 0
		.amdhsa_exception_fp_ieee_invalid_op 0
		.amdhsa_exception_fp_denorm_src 0
		.amdhsa_exception_fp_ieee_div_zero 0
		.amdhsa_exception_fp_ieee_overflow 0
		.amdhsa_exception_fp_ieee_underflow 0
		.amdhsa_exception_fp_ieee_inexact 0
		.amdhsa_exception_int_div_zero 0
	.end_amdhsa_kernel
	.section	.text._ZN7rocprim17ROCPRIM_400000_NS6detail17trampoline_kernelINS0_14default_configENS1_38merge_sort_block_merge_config_selectorIlNS0_10empty_typeEEEZZNS1_27merge_sort_block_merge_implIS3_PlPS5_mZN2at6native12_GLOBAL__N_124unique_dim_cuda_templateIaEESt5tupleIJNSA_6TensorESF_SF_EERKSF_lbbbEUlllE_EE10hipError_tT0_T1_T2_jT3_P12ihipStream_tbPNSt15iterator_traitsISL_E10value_typeEPNSR_ISM_E10value_typeEPSN_NS1_7vsmem_tEENKUlT_SL_SM_SN_E_clIS8_S8_S9_S9_EESK_S10_SL_SM_SN_EUlS10_E_NS1_11comp_targetILNS1_3genE5ELNS1_11target_archE942ELNS1_3gpuE9ELNS1_3repE0EEENS1_48merge_mergepath_partition_config_static_selectorELNS0_4arch9wavefront6targetE1EEEvSM_,"axG",@progbits,_ZN7rocprim17ROCPRIM_400000_NS6detail17trampoline_kernelINS0_14default_configENS1_38merge_sort_block_merge_config_selectorIlNS0_10empty_typeEEEZZNS1_27merge_sort_block_merge_implIS3_PlPS5_mZN2at6native12_GLOBAL__N_124unique_dim_cuda_templateIaEESt5tupleIJNSA_6TensorESF_SF_EERKSF_lbbbEUlllE_EE10hipError_tT0_T1_T2_jT3_P12ihipStream_tbPNSt15iterator_traitsISL_E10value_typeEPNSR_ISM_E10value_typeEPSN_NS1_7vsmem_tEENKUlT_SL_SM_SN_E_clIS8_S8_S9_S9_EESK_S10_SL_SM_SN_EUlS10_E_NS1_11comp_targetILNS1_3genE5ELNS1_11target_archE942ELNS1_3gpuE9ELNS1_3repE0EEENS1_48merge_mergepath_partition_config_static_selectorELNS0_4arch9wavefront6targetE1EEEvSM_,comdat
.Lfunc_end272:
	.size	_ZN7rocprim17ROCPRIM_400000_NS6detail17trampoline_kernelINS0_14default_configENS1_38merge_sort_block_merge_config_selectorIlNS0_10empty_typeEEEZZNS1_27merge_sort_block_merge_implIS3_PlPS5_mZN2at6native12_GLOBAL__N_124unique_dim_cuda_templateIaEESt5tupleIJNSA_6TensorESF_SF_EERKSF_lbbbEUlllE_EE10hipError_tT0_T1_T2_jT3_P12ihipStream_tbPNSt15iterator_traitsISL_E10value_typeEPNSR_ISM_E10value_typeEPSN_NS1_7vsmem_tEENKUlT_SL_SM_SN_E_clIS8_S8_S9_S9_EESK_S10_SL_SM_SN_EUlS10_E_NS1_11comp_targetILNS1_3genE5ELNS1_11target_archE942ELNS1_3gpuE9ELNS1_3repE0EEENS1_48merge_mergepath_partition_config_static_selectorELNS0_4arch9wavefront6targetE1EEEvSM_, .Lfunc_end272-_ZN7rocprim17ROCPRIM_400000_NS6detail17trampoline_kernelINS0_14default_configENS1_38merge_sort_block_merge_config_selectorIlNS0_10empty_typeEEEZZNS1_27merge_sort_block_merge_implIS3_PlPS5_mZN2at6native12_GLOBAL__N_124unique_dim_cuda_templateIaEESt5tupleIJNSA_6TensorESF_SF_EERKSF_lbbbEUlllE_EE10hipError_tT0_T1_T2_jT3_P12ihipStream_tbPNSt15iterator_traitsISL_E10value_typeEPNSR_ISM_E10value_typeEPSN_NS1_7vsmem_tEENKUlT_SL_SM_SN_E_clIS8_S8_S9_S9_EESK_S10_SL_SM_SN_EUlS10_E_NS1_11comp_targetILNS1_3genE5ELNS1_11target_archE942ELNS1_3gpuE9ELNS1_3repE0EEENS1_48merge_mergepath_partition_config_static_selectorELNS0_4arch9wavefront6targetE1EEEvSM_
                                        ; -- End function
	.set _ZN7rocprim17ROCPRIM_400000_NS6detail17trampoline_kernelINS0_14default_configENS1_38merge_sort_block_merge_config_selectorIlNS0_10empty_typeEEEZZNS1_27merge_sort_block_merge_implIS3_PlPS5_mZN2at6native12_GLOBAL__N_124unique_dim_cuda_templateIaEESt5tupleIJNSA_6TensorESF_SF_EERKSF_lbbbEUlllE_EE10hipError_tT0_T1_T2_jT3_P12ihipStream_tbPNSt15iterator_traitsISL_E10value_typeEPNSR_ISM_E10value_typeEPSN_NS1_7vsmem_tEENKUlT_SL_SM_SN_E_clIS8_S8_S9_S9_EESK_S10_SL_SM_SN_EUlS10_E_NS1_11comp_targetILNS1_3genE5ELNS1_11target_archE942ELNS1_3gpuE9ELNS1_3repE0EEENS1_48merge_mergepath_partition_config_static_selectorELNS0_4arch9wavefront6targetE1EEEvSM_.num_vgpr, 0
	.set _ZN7rocprim17ROCPRIM_400000_NS6detail17trampoline_kernelINS0_14default_configENS1_38merge_sort_block_merge_config_selectorIlNS0_10empty_typeEEEZZNS1_27merge_sort_block_merge_implIS3_PlPS5_mZN2at6native12_GLOBAL__N_124unique_dim_cuda_templateIaEESt5tupleIJNSA_6TensorESF_SF_EERKSF_lbbbEUlllE_EE10hipError_tT0_T1_T2_jT3_P12ihipStream_tbPNSt15iterator_traitsISL_E10value_typeEPNSR_ISM_E10value_typeEPSN_NS1_7vsmem_tEENKUlT_SL_SM_SN_E_clIS8_S8_S9_S9_EESK_S10_SL_SM_SN_EUlS10_E_NS1_11comp_targetILNS1_3genE5ELNS1_11target_archE942ELNS1_3gpuE9ELNS1_3repE0EEENS1_48merge_mergepath_partition_config_static_selectorELNS0_4arch9wavefront6targetE1EEEvSM_.num_agpr, 0
	.set _ZN7rocprim17ROCPRIM_400000_NS6detail17trampoline_kernelINS0_14default_configENS1_38merge_sort_block_merge_config_selectorIlNS0_10empty_typeEEEZZNS1_27merge_sort_block_merge_implIS3_PlPS5_mZN2at6native12_GLOBAL__N_124unique_dim_cuda_templateIaEESt5tupleIJNSA_6TensorESF_SF_EERKSF_lbbbEUlllE_EE10hipError_tT0_T1_T2_jT3_P12ihipStream_tbPNSt15iterator_traitsISL_E10value_typeEPNSR_ISM_E10value_typeEPSN_NS1_7vsmem_tEENKUlT_SL_SM_SN_E_clIS8_S8_S9_S9_EESK_S10_SL_SM_SN_EUlS10_E_NS1_11comp_targetILNS1_3genE5ELNS1_11target_archE942ELNS1_3gpuE9ELNS1_3repE0EEENS1_48merge_mergepath_partition_config_static_selectorELNS0_4arch9wavefront6targetE1EEEvSM_.numbered_sgpr, 0
	.set _ZN7rocprim17ROCPRIM_400000_NS6detail17trampoline_kernelINS0_14default_configENS1_38merge_sort_block_merge_config_selectorIlNS0_10empty_typeEEEZZNS1_27merge_sort_block_merge_implIS3_PlPS5_mZN2at6native12_GLOBAL__N_124unique_dim_cuda_templateIaEESt5tupleIJNSA_6TensorESF_SF_EERKSF_lbbbEUlllE_EE10hipError_tT0_T1_T2_jT3_P12ihipStream_tbPNSt15iterator_traitsISL_E10value_typeEPNSR_ISM_E10value_typeEPSN_NS1_7vsmem_tEENKUlT_SL_SM_SN_E_clIS8_S8_S9_S9_EESK_S10_SL_SM_SN_EUlS10_E_NS1_11comp_targetILNS1_3genE5ELNS1_11target_archE942ELNS1_3gpuE9ELNS1_3repE0EEENS1_48merge_mergepath_partition_config_static_selectorELNS0_4arch9wavefront6targetE1EEEvSM_.num_named_barrier, 0
	.set _ZN7rocprim17ROCPRIM_400000_NS6detail17trampoline_kernelINS0_14default_configENS1_38merge_sort_block_merge_config_selectorIlNS0_10empty_typeEEEZZNS1_27merge_sort_block_merge_implIS3_PlPS5_mZN2at6native12_GLOBAL__N_124unique_dim_cuda_templateIaEESt5tupleIJNSA_6TensorESF_SF_EERKSF_lbbbEUlllE_EE10hipError_tT0_T1_T2_jT3_P12ihipStream_tbPNSt15iterator_traitsISL_E10value_typeEPNSR_ISM_E10value_typeEPSN_NS1_7vsmem_tEENKUlT_SL_SM_SN_E_clIS8_S8_S9_S9_EESK_S10_SL_SM_SN_EUlS10_E_NS1_11comp_targetILNS1_3genE5ELNS1_11target_archE942ELNS1_3gpuE9ELNS1_3repE0EEENS1_48merge_mergepath_partition_config_static_selectorELNS0_4arch9wavefront6targetE1EEEvSM_.private_seg_size, 0
	.set _ZN7rocprim17ROCPRIM_400000_NS6detail17trampoline_kernelINS0_14default_configENS1_38merge_sort_block_merge_config_selectorIlNS0_10empty_typeEEEZZNS1_27merge_sort_block_merge_implIS3_PlPS5_mZN2at6native12_GLOBAL__N_124unique_dim_cuda_templateIaEESt5tupleIJNSA_6TensorESF_SF_EERKSF_lbbbEUlllE_EE10hipError_tT0_T1_T2_jT3_P12ihipStream_tbPNSt15iterator_traitsISL_E10value_typeEPNSR_ISM_E10value_typeEPSN_NS1_7vsmem_tEENKUlT_SL_SM_SN_E_clIS8_S8_S9_S9_EESK_S10_SL_SM_SN_EUlS10_E_NS1_11comp_targetILNS1_3genE5ELNS1_11target_archE942ELNS1_3gpuE9ELNS1_3repE0EEENS1_48merge_mergepath_partition_config_static_selectorELNS0_4arch9wavefront6targetE1EEEvSM_.uses_vcc, 0
	.set _ZN7rocprim17ROCPRIM_400000_NS6detail17trampoline_kernelINS0_14default_configENS1_38merge_sort_block_merge_config_selectorIlNS0_10empty_typeEEEZZNS1_27merge_sort_block_merge_implIS3_PlPS5_mZN2at6native12_GLOBAL__N_124unique_dim_cuda_templateIaEESt5tupleIJNSA_6TensorESF_SF_EERKSF_lbbbEUlllE_EE10hipError_tT0_T1_T2_jT3_P12ihipStream_tbPNSt15iterator_traitsISL_E10value_typeEPNSR_ISM_E10value_typeEPSN_NS1_7vsmem_tEENKUlT_SL_SM_SN_E_clIS8_S8_S9_S9_EESK_S10_SL_SM_SN_EUlS10_E_NS1_11comp_targetILNS1_3genE5ELNS1_11target_archE942ELNS1_3gpuE9ELNS1_3repE0EEENS1_48merge_mergepath_partition_config_static_selectorELNS0_4arch9wavefront6targetE1EEEvSM_.uses_flat_scratch, 0
	.set _ZN7rocprim17ROCPRIM_400000_NS6detail17trampoline_kernelINS0_14default_configENS1_38merge_sort_block_merge_config_selectorIlNS0_10empty_typeEEEZZNS1_27merge_sort_block_merge_implIS3_PlPS5_mZN2at6native12_GLOBAL__N_124unique_dim_cuda_templateIaEESt5tupleIJNSA_6TensorESF_SF_EERKSF_lbbbEUlllE_EE10hipError_tT0_T1_T2_jT3_P12ihipStream_tbPNSt15iterator_traitsISL_E10value_typeEPNSR_ISM_E10value_typeEPSN_NS1_7vsmem_tEENKUlT_SL_SM_SN_E_clIS8_S8_S9_S9_EESK_S10_SL_SM_SN_EUlS10_E_NS1_11comp_targetILNS1_3genE5ELNS1_11target_archE942ELNS1_3gpuE9ELNS1_3repE0EEENS1_48merge_mergepath_partition_config_static_selectorELNS0_4arch9wavefront6targetE1EEEvSM_.has_dyn_sized_stack, 0
	.set _ZN7rocprim17ROCPRIM_400000_NS6detail17trampoline_kernelINS0_14default_configENS1_38merge_sort_block_merge_config_selectorIlNS0_10empty_typeEEEZZNS1_27merge_sort_block_merge_implIS3_PlPS5_mZN2at6native12_GLOBAL__N_124unique_dim_cuda_templateIaEESt5tupleIJNSA_6TensorESF_SF_EERKSF_lbbbEUlllE_EE10hipError_tT0_T1_T2_jT3_P12ihipStream_tbPNSt15iterator_traitsISL_E10value_typeEPNSR_ISM_E10value_typeEPSN_NS1_7vsmem_tEENKUlT_SL_SM_SN_E_clIS8_S8_S9_S9_EESK_S10_SL_SM_SN_EUlS10_E_NS1_11comp_targetILNS1_3genE5ELNS1_11target_archE942ELNS1_3gpuE9ELNS1_3repE0EEENS1_48merge_mergepath_partition_config_static_selectorELNS0_4arch9wavefront6targetE1EEEvSM_.has_recursion, 0
	.set _ZN7rocprim17ROCPRIM_400000_NS6detail17trampoline_kernelINS0_14default_configENS1_38merge_sort_block_merge_config_selectorIlNS0_10empty_typeEEEZZNS1_27merge_sort_block_merge_implIS3_PlPS5_mZN2at6native12_GLOBAL__N_124unique_dim_cuda_templateIaEESt5tupleIJNSA_6TensorESF_SF_EERKSF_lbbbEUlllE_EE10hipError_tT0_T1_T2_jT3_P12ihipStream_tbPNSt15iterator_traitsISL_E10value_typeEPNSR_ISM_E10value_typeEPSN_NS1_7vsmem_tEENKUlT_SL_SM_SN_E_clIS8_S8_S9_S9_EESK_S10_SL_SM_SN_EUlS10_E_NS1_11comp_targetILNS1_3genE5ELNS1_11target_archE942ELNS1_3gpuE9ELNS1_3repE0EEENS1_48merge_mergepath_partition_config_static_selectorELNS0_4arch9wavefront6targetE1EEEvSM_.has_indirect_call, 0
	.section	.AMDGPU.csdata,"",@progbits
; Kernel info:
; codeLenInByte = 0
; TotalNumSgprs: 6
; NumVgprs: 0
; NumAgprs: 0
; TotalNumVgprs: 0
; ScratchSize: 0
; MemoryBound: 0
; FloatMode: 240
; IeeeMode: 1
; LDSByteSize: 0 bytes/workgroup (compile time only)
; SGPRBlocks: 0
; VGPRBlocks: 0
; NumSGPRsForWavesPerEU: 6
; NumVGPRsForWavesPerEU: 1
; AccumOffset: 4
; Occupancy: 8
; WaveLimiterHint : 0
; COMPUTE_PGM_RSRC2:SCRATCH_EN: 0
; COMPUTE_PGM_RSRC2:USER_SGPR: 2
; COMPUTE_PGM_RSRC2:TRAP_HANDLER: 0
; COMPUTE_PGM_RSRC2:TGID_X_EN: 1
; COMPUTE_PGM_RSRC2:TGID_Y_EN: 0
; COMPUTE_PGM_RSRC2:TGID_Z_EN: 0
; COMPUTE_PGM_RSRC2:TIDIG_COMP_CNT: 0
; COMPUTE_PGM_RSRC3_GFX90A:ACCUM_OFFSET: 0
; COMPUTE_PGM_RSRC3_GFX90A:TG_SPLIT: 0
	.section	.text._ZN7rocprim17ROCPRIM_400000_NS6detail17trampoline_kernelINS0_14default_configENS1_38merge_sort_block_merge_config_selectorIlNS0_10empty_typeEEEZZNS1_27merge_sort_block_merge_implIS3_PlPS5_mZN2at6native12_GLOBAL__N_124unique_dim_cuda_templateIaEESt5tupleIJNSA_6TensorESF_SF_EERKSF_lbbbEUlllE_EE10hipError_tT0_T1_T2_jT3_P12ihipStream_tbPNSt15iterator_traitsISL_E10value_typeEPNSR_ISM_E10value_typeEPSN_NS1_7vsmem_tEENKUlT_SL_SM_SN_E_clIS8_S8_S9_S9_EESK_S10_SL_SM_SN_EUlS10_E_NS1_11comp_targetILNS1_3genE4ELNS1_11target_archE910ELNS1_3gpuE8ELNS1_3repE0EEENS1_48merge_mergepath_partition_config_static_selectorELNS0_4arch9wavefront6targetE1EEEvSM_,"axG",@progbits,_ZN7rocprim17ROCPRIM_400000_NS6detail17trampoline_kernelINS0_14default_configENS1_38merge_sort_block_merge_config_selectorIlNS0_10empty_typeEEEZZNS1_27merge_sort_block_merge_implIS3_PlPS5_mZN2at6native12_GLOBAL__N_124unique_dim_cuda_templateIaEESt5tupleIJNSA_6TensorESF_SF_EERKSF_lbbbEUlllE_EE10hipError_tT0_T1_T2_jT3_P12ihipStream_tbPNSt15iterator_traitsISL_E10value_typeEPNSR_ISM_E10value_typeEPSN_NS1_7vsmem_tEENKUlT_SL_SM_SN_E_clIS8_S8_S9_S9_EESK_S10_SL_SM_SN_EUlS10_E_NS1_11comp_targetILNS1_3genE4ELNS1_11target_archE910ELNS1_3gpuE8ELNS1_3repE0EEENS1_48merge_mergepath_partition_config_static_selectorELNS0_4arch9wavefront6targetE1EEEvSM_,comdat
	.globl	_ZN7rocprim17ROCPRIM_400000_NS6detail17trampoline_kernelINS0_14default_configENS1_38merge_sort_block_merge_config_selectorIlNS0_10empty_typeEEEZZNS1_27merge_sort_block_merge_implIS3_PlPS5_mZN2at6native12_GLOBAL__N_124unique_dim_cuda_templateIaEESt5tupleIJNSA_6TensorESF_SF_EERKSF_lbbbEUlllE_EE10hipError_tT0_T1_T2_jT3_P12ihipStream_tbPNSt15iterator_traitsISL_E10value_typeEPNSR_ISM_E10value_typeEPSN_NS1_7vsmem_tEENKUlT_SL_SM_SN_E_clIS8_S8_S9_S9_EESK_S10_SL_SM_SN_EUlS10_E_NS1_11comp_targetILNS1_3genE4ELNS1_11target_archE910ELNS1_3gpuE8ELNS1_3repE0EEENS1_48merge_mergepath_partition_config_static_selectorELNS0_4arch9wavefront6targetE1EEEvSM_ ; -- Begin function _ZN7rocprim17ROCPRIM_400000_NS6detail17trampoline_kernelINS0_14default_configENS1_38merge_sort_block_merge_config_selectorIlNS0_10empty_typeEEEZZNS1_27merge_sort_block_merge_implIS3_PlPS5_mZN2at6native12_GLOBAL__N_124unique_dim_cuda_templateIaEESt5tupleIJNSA_6TensorESF_SF_EERKSF_lbbbEUlllE_EE10hipError_tT0_T1_T2_jT3_P12ihipStream_tbPNSt15iterator_traitsISL_E10value_typeEPNSR_ISM_E10value_typeEPSN_NS1_7vsmem_tEENKUlT_SL_SM_SN_E_clIS8_S8_S9_S9_EESK_S10_SL_SM_SN_EUlS10_E_NS1_11comp_targetILNS1_3genE4ELNS1_11target_archE910ELNS1_3gpuE8ELNS1_3repE0EEENS1_48merge_mergepath_partition_config_static_selectorELNS0_4arch9wavefront6targetE1EEEvSM_
	.p2align	8
	.type	_ZN7rocprim17ROCPRIM_400000_NS6detail17trampoline_kernelINS0_14default_configENS1_38merge_sort_block_merge_config_selectorIlNS0_10empty_typeEEEZZNS1_27merge_sort_block_merge_implIS3_PlPS5_mZN2at6native12_GLOBAL__N_124unique_dim_cuda_templateIaEESt5tupleIJNSA_6TensorESF_SF_EERKSF_lbbbEUlllE_EE10hipError_tT0_T1_T2_jT3_P12ihipStream_tbPNSt15iterator_traitsISL_E10value_typeEPNSR_ISM_E10value_typeEPSN_NS1_7vsmem_tEENKUlT_SL_SM_SN_E_clIS8_S8_S9_S9_EESK_S10_SL_SM_SN_EUlS10_E_NS1_11comp_targetILNS1_3genE4ELNS1_11target_archE910ELNS1_3gpuE8ELNS1_3repE0EEENS1_48merge_mergepath_partition_config_static_selectorELNS0_4arch9wavefront6targetE1EEEvSM_,@function
_ZN7rocprim17ROCPRIM_400000_NS6detail17trampoline_kernelINS0_14default_configENS1_38merge_sort_block_merge_config_selectorIlNS0_10empty_typeEEEZZNS1_27merge_sort_block_merge_implIS3_PlPS5_mZN2at6native12_GLOBAL__N_124unique_dim_cuda_templateIaEESt5tupleIJNSA_6TensorESF_SF_EERKSF_lbbbEUlllE_EE10hipError_tT0_T1_T2_jT3_P12ihipStream_tbPNSt15iterator_traitsISL_E10value_typeEPNSR_ISM_E10value_typeEPSN_NS1_7vsmem_tEENKUlT_SL_SM_SN_E_clIS8_S8_S9_S9_EESK_S10_SL_SM_SN_EUlS10_E_NS1_11comp_targetILNS1_3genE4ELNS1_11target_archE910ELNS1_3gpuE8ELNS1_3repE0EEENS1_48merge_mergepath_partition_config_static_selectorELNS0_4arch9wavefront6targetE1EEEvSM_: ; @_ZN7rocprim17ROCPRIM_400000_NS6detail17trampoline_kernelINS0_14default_configENS1_38merge_sort_block_merge_config_selectorIlNS0_10empty_typeEEEZZNS1_27merge_sort_block_merge_implIS3_PlPS5_mZN2at6native12_GLOBAL__N_124unique_dim_cuda_templateIaEESt5tupleIJNSA_6TensorESF_SF_EERKSF_lbbbEUlllE_EE10hipError_tT0_T1_T2_jT3_P12ihipStream_tbPNSt15iterator_traitsISL_E10value_typeEPNSR_ISM_E10value_typeEPSN_NS1_7vsmem_tEENKUlT_SL_SM_SN_E_clIS8_S8_S9_S9_EESK_S10_SL_SM_SN_EUlS10_E_NS1_11comp_targetILNS1_3genE4ELNS1_11target_archE910ELNS1_3gpuE8ELNS1_3repE0EEENS1_48merge_mergepath_partition_config_static_selectorELNS0_4arch9wavefront6targetE1EEEvSM_
; %bb.0:
	.section	.rodata,"a",@progbits
	.p2align	6, 0x0
	.amdhsa_kernel _ZN7rocprim17ROCPRIM_400000_NS6detail17trampoline_kernelINS0_14default_configENS1_38merge_sort_block_merge_config_selectorIlNS0_10empty_typeEEEZZNS1_27merge_sort_block_merge_implIS3_PlPS5_mZN2at6native12_GLOBAL__N_124unique_dim_cuda_templateIaEESt5tupleIJNSA_6TensorESF_SF_EERKSF_lbbbEUlllE_EE10hipError_tT0_T1_T2_jT3_P12ihipStream_tbPNSt15iterator_traitsISL_E10value_typeEPNSR_ISM_E10value_typeEPSN_NS1_7vsmem_tEENKUlT_SL_SM_SN_E_clIS8_S8_S9_S9_EESK_S10_SL_SM_SN_EUlS10_E_NS1_11comp_targetILNS1_3genE4ELNS1_11target_archE910ELNS1_3gpuE8ELNS1_3repE0EEENS1_48merge_mergepath_partition_config_static_selectorELNS0_4arch9wavefront6targetE1EEEvSM_
		.amdhsa_group_segment_fixed_size 0
		.amdhsa_private_segment_fixed_size 0
		.amdhsa_kernarg_size 56
		.amdhsa_user_sgpr_count 2
		.amdhsa_user_sgpr_dispatch_ptr 0
		.amdhsa_user_sgpr_queue_ptr 0
		.amdhsa_user_sgpr_kernarg_segment_ptr 1
		.amdhsa_user_sgpr_dispatch_id 0
		.amdhsa_user_sgpr_kernarg_preload_length 0
		.amdhsa_user_sgpr_kernarg_preload_offset 0
		.amdhsa_user_sgpr_private_segment_size 0
		.amdhsa_uses_dynamic_stack 0
		.amdhsa_enable_private_segment 0
		.amdhsa_system_sgpr_workgroup_id_x 1
		.amdhsa_system_sgpr_workgroup_id_y 0
		.amdhsa_system_sgpr_workgroup_id_z 0
		.amdhsa_system_sgpr_workgroup_info 0
		.amdhsa_system_vgpr_workitem_id 0
		.amdhsa_next_free_vgpr 1
		.amdhsa_next_free_sgpr 0
		.amdhsa_accum_offset 4
		.amdhsa_reserve_vcc 0
		.amdhsa_float_round_mode_32 0
		.amdhsa_float_round_mode_16_64 0
		.amdhsa_float_denorm_mode_32 3
		.amdhsa_float_denorm_mode_16_64 3
		.amdhsa_dx10_clamp 1
		.amdhsa_ieee_mode 1
		.amdhsa_fp16_overflow 0
		.amdhsa_tg_split 0
		.amdhsa_exception_fp_ieee_invalid_op 0
		.amdhsa_exception_fp_denorm_src 0
		.amdhsa_exception_fp_ieee_div_zero 0
		.amdhsa_exception_fp_ieee_overflow 0
		.amdhsa_exception_fp_ieee_underflow 0
		.amdhsa_exception_fp_ieee_inexact 0
		.amdhsa_exception_int_div_zero 0
	.end_amdhsa_kernel
	.section	.text._ZN7rocprim17ROCPRIM_400000_NS6detail17trampoline_kernelINS0_14default_configENS1_38merge_sort_block_merge_config_selectorIlNS0_10empty_typeEEEZZNS1_27merge_sort_block_merge_implIS3_PlPS5_mZN2at6native12_GLOBAL__N_124unique_dim_cuda_templateIaEESt5tupleIJNSA_6TensorESF_SF_EERKSF_lbbbEUlllE_EE10hipError_tT0_T1_T2_jT3_P12ihipStream_tbPNSt15iterator_traitsISL_E10value_typeEPNSR_ISM_E10value_typeEPSN_NS1_7vsmem_tEENKUlT_SL_SM_SN_E_clIS8_S8_S9_S9_EESK_S10_SL_SM_SN_EUlS10_E_NS1_11comp_targetILNS1_3genE4ELNS1_11target_archE910ELNS1_3gpuE8ELNS1_3repE0EEENS1_48merge_mergepath_partition_config_static_selectorELNS0_4arch9wavefront6targetE1EEEvSM_,"axG",@progbits,_ZN7rocprim17ROCPRIM_400000_NS6detail17trampoline_kernelINS0_14default_configENS1_38merge_sort_block_merge_config_selectorIlNS0_10empty_typeEEEZZNS1_27merge_sort_block_merge_implIS3_PlPS5_mZN2at6native12_GLOBAL__N_124unique_dim_cuda_templateIaEESt5tupleIJNSA_6TensorESF_SF_EERKSF_lbbbEUlllE_EE10hipError_tT0_T1_T2_jT3_P12ihipStream_tbPNSt15iterator_traitsISL_E10value_typeEPNSR_ISM_E10value_typeEPSN_NS1_7vsmem_tEENKUlT_SL_SM_SN_E_clIS8_S8_S9_S9_EESK_S10_SL_SM_SN_EUlS10_E_NS1_11comp_targetILNS1_3genE4ELNS1_11target_archE910ELNS1_3gpuE8ELNS1_3repE0EEENS1_48merge_mergepath_partition_config_static_selectorELNS0_4arch9wavefront6targetE1EEEvSM_,comdat
.Lfunc_end273:
	.size	_ZN7rocprim17ROCPRIM_400000_NS6detail17trampoline_kernelINS0_14default_configENS1_38merge_sort_block_merge_config_selectorIlNS0_10empty_typeEEEZZNS1_27merge_sort_block_merge_implIS3_PlPS5_mZN2at6native12_GLOBAL__N_124unique_dim_cuda_templateIaEESt5tupleIJNSA_6TensorESF_SF_EERKSF_lbbbEUlllE_EE10hipError_tT0_T1_T2_jT3_P12ihipStream_tbPNSt15iterator_traitsISL_E10value_typeEPNSR_ISM_E10value_typeEPSN_NS1_7vsmem_tEENKUlT_SL_SM_SN_E_clIS8_S8_S9_S9_EESK_S10_SL_SM_SN_EUlS10_E_NS1_11comp_targetILNS1_3genE4ELNS1_11target_archE910ELNS1_3gpuE8ELNS1_3repE0EEENS1_48merge_mergepath_partition_config_static_selectorELNS0_4arch9wavefront6targetE1EEEvSM_, .Lfunc_end273-_ZN7rocprim17ROCPRIM_400000_NS6detail17trampoline_kernelINS0_14default_configENS1_38merge_sort_block_merge_config_selectorIlNS0_10empty_typeEEEZZNS1_27merge_sort_block_merge_implIS3_PlPS5_mZN2at6native12_GLOBAL__N_124unique_dim_cuda_templateIaEESt5tupleIJNSA_6TensorESF_SF_EERKSF_lbbbEUlllE_EE10hipError_tT0_T1_T2_jT3_P12ihipStream_tbPNSt15iterator_traitsISL_E10value_typeEPNSR_ISM_E10value_typeEPSN_NS1_7vsmem_tEENKUlT_SL_SM_SN_E_clIS8_S8_S9_S9_EESK_S10_SL_SM_SN_EUlS10_E_NS1_11comp_targetILNS1_3genE4ELNS1_11target_archE910ELNS1_3gpuE8ELNS1_3repE0EEENS1_48merge_mergepath_partition_config_static_selectorELNS0_4arch9wavefront6targetE1EEEvSM_
                                        ; -- End function
	.set _ZN7rocprim17ROCPRIM_400000_NS6detail17trampoline_kernelINS0_14default_configENS1_38merge_sort_block_merge_config_selectorIlNS0_10empty_typeEEEZZNS1_27merge_sort_block_merge_implIS3_PlPS5_mZN2at6native12_GLOBAL__N_124unique_dim_cuda_templateIaEESt5tupleIJNSA_6TensorESF_SF_EERKSF_lbbbEUlllE_EE10hipError_tT0_T1_T2_jT3_P12ihipStream_tbPNSt15iterator_traitsISL_E10value_typeEPNSR_ISM_E10value_typeEPSN_NS1_7vsmem_tEENKUlT_SL_SM_SN_E_clIS8_S8_S9_S9_EESK_S10_SL_SM_SN_EUlS10_E_NS1_11comp_targetILNS1_3genE4ELNS1_11target_archE910ELNS1_3gpuE8ELNS1_3repE0EEENS1_48merge_mergepath_partition_config_static_selectorELNS0_4arch9wavefront6targetE1EEEvSM_.num_vgpr, 0
	.set _ZN7rocprim17ROCPRIM_400000_NS6detail17trampoline_kernelINS0_14default_configENS1_38merge_sort_block_merge_config_selectorIlNS0_10empty_typeEEEZZNS1_27merge_sort_block_merge_implIS3_PlPS5_mZN2at6native12_GLOBAL__N_124unique_dim_cuda_templateIaEESt5tupleIJNSA_6TensorESF_SF_EERKSF_lbbbEUlllE_EE10hipError_tT0_T1_T2_jT3_P12ihipStream_tbPNSt15iterator_traitsISL_E10value_typeEPNSR_ISM_E10value_typeEPSN_NS1_7vsmem_tEENKUlT_SL_SM_SN_E_clIS8_S8_S9_S9_EESK_S10_SL_SM_SN_EUlS10_E_NS1_11comp_targetILNS1_3genE4ELNS1_11target_archE910ELNS1_3gpuE8ELNS1_3repE0EEENS1_48merge_mergepath_partition_config_static_selectorELNS0_4arch9wavefront6targetE1EEEvSM_.num_agpr, 0
	.set _ZN7rocprim17ROCPRIM_400000_NS6detail17trampoline_kernelINS0_14default_configENS1_38merge_sort_block_merge_config_selectorIlNS0_10empty_typeEEEZZNS1_27merge_sort_block_merge_implIS3_PlPS5_mZN2at6native12_GLOBAL__N_124unique_dim_cuda_templateIaEESt5tupleIJNSA_6TensorESF_SF_EERKSF_lbbbEUlllE_EE10hipError_tT0_T1_T2_jT3_P12ihipStream_tbPNSt15iterator_traitsISL_E10value_typeEPNSR_ISM_E10value_typeEPSN_NS1_7vsmem_tEENKUlT_SL_SM_SN_E_clIS8_S8_S9_S9_EESK_S10_SL_SM_SN_EUlS10_E_NS1_11comp_targetILNS1_3genE4ELNS1_11target_archE910ELNS1_3gpuE8ELNS1_3repE0EEENS1_48merge_mergepath_partition_config_static_selectorELNS0_4arch9wavefront6targetE1EEEvSM_.numbered_sgpr, 0
	.set _ZN7rocprim17ROCPRIM_400000_NS6detail17trampoline_kernelINS0_14default_configENS1_38merge_sort_block_merge_config_selectorIlNS0_10empty_typeEEEZZNS1_27merge_sort_block_merge_implIS3_PlPS5_mZN2at6native12_GLOBAL__N_124unique_dim_cuda_templateIaEESt5tupleIJNSA_6TensorESF_SF_EERKSF_lbbbEUlllE_EE10hipError_tT0_T1_T2_jT3_P12ihipStream_tbPNSt15iterator_traitsISL_E10value_typeEPNSR_ISM_E10value_typeEPSN_NS1_7vsmem_tEENKUlT_SL_SM_SN_E_clIS8_S8_S9_S9_EESK_S10_SL_SM_SN_EUlS10_E_NS1_11comp_targetILNS1_3genE4ELNS1_11target_archE910ELNS1_3gpuE8ELNS1_3repE0EEENS1_48merge_mergepath_partition_config_static_selectorELNS0_4arch9wavefront6targetE1EEEvSM_.num_named_barrier, 0
	.set _ZN7rocprim17ROCPRIM_400000_NS6detail17trampoline_kernelINS0_14default_configENS1_38merge_sort_block_merge_config_selectorIlNS0_10empty_typeEEEZZNS1_27merge_sort_block_merge_implIS3_PlPS5_mZN2at6native12_GLOBAL__N_124unique_dim_cuda_templateIaEESt5tupleIJNSA_6TensorESF_SF_EERKSF_lbbbEUlllE_EE10hipError_tT0_T1_T2_jT3_P12ihipStream_tbPNSt15iterator_traitsISL_E10value_typeEPNSR_ISM_E10value_typeEPSN_NS1_7vsmem_tEENKUlT_SL_SM_SN_E_clIS8_S8_S9_S9_EESK_S10_SL_SM_SN_EUlS10_E_NS1_11comp_targetILNS1_3genE4ELNS1_11target_archE910ELNS1_3gpuE8ELNS1_3repE0EEENS1_48merge_mergepath_partition_config_static_selectorELNS0_4arch9wavefront6targetE1EEEvSM_.private_seg_size, 0
	.set _ZN7rocprim17ROCPRIM_400000_NS6detail17trampoline_kernelINS0_14default_configENS1_38merge_sort_block_merge_config_selectorIlNS0_10empty_typeEEEZZNS1_27merge_sort_block_merge_implIS3_PlPS5_mZN2at6native12_GLOBAL__N_124unique_dim_cuda_templateIaEESt5tupleIJNSA_6TensorESF_SF_EERKSF_lbbbEUlllE_EE10hipError_tT0_T1_T2_jT3_P12ihipStream_tbPNSt15iterator_traitsISL_E10value_typeEPNSR_ISM_E10value_typeEPSN_NS1_7vsmem_tEENKUlT_SL_SM_SN_E_clIS8_S8_S9_S9_EESK_S10_SL_SM_SN_EUlS10_E_NS1_11comp_targetILNS1_3genE4ELNS1_11target_archE910ELNS1_3gpuE8ELNS1_3repE0EEENS1_48merge_mergepath_partition_config_static_selectorELNS0_4arch9wavefront6targetE1EEEvSM_.uses_vcc, 0
	.set _ZN7rocprim17ROCPRIM_400000_NS6detail17trampoline_kernelINS0_14default_configENS1_38merge_sort_block_merge_config_selectorIlNS0_10empty_typeEEEZZNS1_27merge_sort_block_merge_implIS3_PlPS5_mZN2at6native12_GLOBAL__N_124unique_dim_cuda_templateIaEESt5tupleIJNSA_6TensorESF_SF_EERKSF_lbbbEUlllE_EE10hipError_tT0_T1_T2_jT3_P12ihipStream_tbPNSt15iterator_traitsISL_E10value_typeEPNSR_ISM_E10value_typeEPSN_NS1_7vsmem_tEENKUlT_SL_SM_SN_E_clIS8_S8_S9_S9_EESK_S10_SL_SM_SN_EUlS10_E_NS1_11comp_targetILNS1_3genE4ELNS1_11target_archE910ELNS1_3gpuE8ELNS1_3repE0EEENS1_48merge_mergepath_partition_config_static_selectorELNS0_4arch9wavefront6targetE1EEEvSM_.uses_flat_scratch, 0
	.set _ZN7rocprim17ROCPRIM_400000_NS6detail17trampoline_kernelINS0_14default_configENS1_38merge_sort_block_merge_config_selectorIlNS0_10empty_typeEEEZZNS1_27merge_sort_block_merge_implIS3_PlPS5_mZN2at6native12_GLOBAL__N_124unique_dim_cuda_templateIaEESt5tupleIJNSA_6TensorESF_SF_EERKSF_lbbbEUlllE_EE10hipError_tT0_T1_T2_jT3_P12ihipStream_tbPNSt15iterator_traitsISL_E10value_typeEPNSR_ISM_E10value_typeEPSN_NS1_7vsmem_tEENKUlT_SL_SM_SN_E_clIS8_S8_S9_S9_EESK_S10_SL_SM_SN_EUlS10_E_NS1_11comp_targetILNS1_3genE4ELNS1_11target_archE910ELNS1_3gpuE8ELNS1_3repE0EEENS1_48merge_mergepath_partition_config_static_selectorELNS0_4arch9wavefront6targetE1EEEvSM_.has_dyn_sized_stack, 0
	.set _ZN7rocprim17ROCPRIM_400000_NS6detail17trampoline_kernelINS0_14default_configENS1_38merge_sort_block_merge_config_selectorIlNS0_10empty_typeEEEZZNS1_27merge_sort_block_merge_implIS3_PlPS5_mZN2at6native12_GLOBAL__N_124unique_dim_cuda_templateIaEESt5tupleIJNSA_6TensorESF_SF_EERKSF_lbbbEUlllE_EE10hipError_tT0_T1_T2_jT3_P12ihipStream_tbPNSt15iterator_traitsISL_E10value_typeEPNSR_ISM_E10value_typeEPSN_NS1_7vsmem_tEENKUlT_SL_SM_SN_E_clIS8_S8_S9_S9_EESK_S10_SL_SM_SN_EUlS10_E_NS1_11comp_targetILNS1_3genE4ELNS1_11target_archE910ELNS1_3gpuE8ELNS1_3repE0EEENS1_48merge_mergepath_partition_config_static_selectorELNS0_4arch9wavefront6targetE1EEEvSM_.has_recursion, 0
	.set _ZN7rocprim17ROCPRIM_400000_NS6detail17trampoline_kernelINS0_14default_configENS1_38merge_sort_block_merge_config_selectorIlNS0_10empty_typeEEEZZNS1_27merge_sort_block_merge_implIS3_PlPS5_mZN2at6native12_GLOBAL__N_124unique_dim_cuda_templateIaEESt5tupleIJNSA_6TensorESF_SF_EERKSF_lbbbEUlllE_EE10hipError_tT0_T1_T2_jT3_P12ihipStream_tbPNSt15iterator_traitsISL_E10value_typeEPNSR_ISM_E10value_typeEPSN_NS1_7vsmem_tEENKUlT_SL_SM_SN_E_clIS8_S8_S9_S9_EESK_S10_SL_SM_SN_EUlS10_E_NS1_11comp_targetILNS1_3genE4ELNS1_11target_archE910ELNS1_3gpuE8ELNS1_3repE0EEENS1_48merge_mergepath_partition_config_static_selectorELNS0_4arch9wavefront6targetE1EEEvSM_.has_indirect_call, 0
	.section	.AMDGPU.csdata,"",@progbits
; Kernel info:
; codeLenInByte = 0
; TotalNumSgprs: 6
; NumVgprs: 0
; NumAgprs: 0
; TotalNumVgprs: 0
; ScratchSize: 0
; MemoryBound: 0
; FloatMode: 240
; IeeeMode: 1
; LDSByteSize: 0 bytes/workgroup (compile time only)
; SGPRBlocks: 0
; VGPRBlocks: 0
; NumSGPRsForWavesPerEU: 6
; NumVGPRsForWavesPerEU: 1
; AccumOffset: 4
; Occupancy: 8
; WaveLimiterHint : 0
; COMPUTE_PGM_RSRC2:SCRATCH_EN: 0
; COMPUTE_PGM_RSRC2:USER_SGPR: 2
; COMPUTE_PGM_RSRC2:TRAP_HANDLER: 0
; COMPUTE_PGM_RSRC2:TGID_X_EN: 1
; COMPUTE_PGM_RSRC2:TGID_Y_EN: 0
; COMPUTE_PGM_RSRC2:TGID_Z_EN: 0
; COMPUTE_PGM_RSRC2:TIDIG_COMP_CNT: 0
; COMPUTE_PGM_RSRC3_GFX90A:ACCUM_OFFSET: 0
; COMPUTE_PGM_RSRC3_GFX90A:TG_SPLIT: 0
	.section	.text._ZN7rocprim17ROCPRIM_400000_NS6detail17trampoline_kernelINS0_14default_configENS1_38merge_sort_block_merge_config_selectorIlNS0_10empty_typeEEEZZNS1_27merge_sort_block_merge_implIS3_PlPS5_mZN2at6native12_GLOBAL__N_124unique_dim_cuda_templateIaEESt5tupleIJNSA_6TensorESF_SF_EERKSF_lbbbEUlllE_EE10hipError_tT0_T1_T2_jT3_P12ihipStream_tbPNSt15iterator_traitsISL_E10value_typeEPNSR_ISM_E10value_typeEPSN_NS1_7vsmem_tEENKUlT_SL_SM_SN_E_clIS8_S8_S9_S9_EESK_S10_SL_SM_SN_EUlS10_E_NS1_11comp_targetILNS1_3genE3ELNS1_11target_archE908ELNS1_3gpuE7ELNS1_3repE0EEENS1_48merge_mergepath_partition_config_static_selectorELNS0_4arch9wavefront6targetE1EEEvSM_,"axG",@progbits,_ZN7rocprim17ROCPRIM_400000_NS6detail17trampoline_kernelINS0_14default_configENS1_38merge_sort_block_merge_config_selectorIlNS0_10empty_typeEEEZZNS1_27merge_sort_block_merge_implIS3_PlPS5_mZN2at6native12_GLOBAL__N_124unique_dim_cuda_templateIaEESt5tupleIJNSA_6TensorESF_SF_EERKSF_lbbbEUlllE_EE10hipError_tT0_T1_T2_jT3_P12ihipStream_tbPNSt15iterator_traitsISL_E10value_typeEPNSR_ISM_E10value_typeEPSN_NS1_7vsmem_tEENKUlT_SL_SM_SN_E_clIS8_S8_S9_S9_EESK_S10_SL_SM_SN_EUlS10_E_NS1_11comp_targetILNS1_3genE3ELNS1_11target_archE908ELNS1_3gpuE7ELNS1_3repE0EEENS1_48merge_mergepath_partition_config_static_selectorELNS0_4arch9wavefront6targetE1EEEvSM_,comdat
	.globl	_ZN7rocprim17ROCPRIM_400000_NS6detail17trampoline_kernelINS0_14default_configENS1_38merge_sort_block_merge_config_selectorIlNS0_10empty_typeEEEZZNS1_27merge_sort_block_merge_implIS3_PlPS5_mZN2at6native12_GLOBAL__N_124unique_dim_cuda_templateIaEESt5tupleIJNSA_6TensorESF_SF_EERKSF_lbbbEUlllE_EE10hipError_tT0_T1_T2_jT3_P12ihipStream_tbPNSt15iterator_traitsISL_E10value_typeEPNSR_ISM_E10value_typeEPSN_NS1_7vsmem_tEENKUlT_SL_SM_SN_E_clIS8_S8_S9_S9_EESK_S10_SL_SM_SN_EUlS10_E_NS1_11comp_targetILNS1_3genE3ELNS1_11target_archE908ELNS1_3gpuE7ELNS1_3repE0EEENS1_48merge_mergepath_partition_config_static_selectorELNS0_4arch9wavefront6targetE1EEEvSM_ ; -- Begin function _ZN7rocprim17ROCPRIM_400000_NS6detail17trampoline_kernelINS0_14default_configENS1_38merge_sort_block_merge_config_selectorIlNS0_10empty_typeEEEZZNS1_27merge_sort_block_merge_implIS3_PlPS5_mZN2at6native12_GLOBAL__N_124unique_dim_cuda_templateIaEESt5tupleIJNSA_6TensorESF_SF_EERKSF_lbbbEUlllE_EE10hipError_tT0_T1_T2_jT3_P12ihipStream_tbPNSt15iterator_traitsISL_E10value_typeEPNSR_ISM_E10value_typeEPSN_NS1_7vsmem_tEENKUlT_SL_SM_SN_E_clIS8_S8_S9_S9_EESK_S10_SL_SM_SN_EUlS10_E_NS1_11comp_targetILNS1_3genE3ELNS1_11target_archE908ELNS1_3gpuE7ELNS1_3repE0EEENS1_48merge_mergepath_partition_config_static_selectorELNS0_4arch9wavefront6targetE1EEEvSM_
	.p2align	8
	.type	_ZN7rocprim17ROCPRIM_400000_NS6detail17trampoline_kernelINS0_14default_configENS1_38merge_sort_block_merge_config_selectorIlNS0_10empty_typeEEEZZNS1_27merge_sort_block_merge_implIS3_PlPS5_mZN2at6native12_GLOBAL__N_124unique_dim_cuda_templateIaEESt5tupleIJNSA_6TensorESF_SF_EERKSF_lbbbEUlllE_EE10hipError_tT0_T1_T2_jT3_P12ihipStream_tbPNSt15iterator_traitsISL_E10value_typeEPNSR_ISM_E10value_typeEPSN_NS1_7vsmem_tEENKUlT_SL_SM_SN_E_clIS8_S8_S9_S9_EESK_S10_SL_SM_SN_EUlS10_E_NS1_11comp_targetILNS1_3genE3ELNS1_11target_archE908ELNS1_3gpuE7ELNS1_3repE0EEENS1_48merge_mergepath_partition_config_static_selectorELNS0_4arch9wavefront6targetE1EEEvSM_,@function
_ZN7rocprim17ROCPRIM_400000_NS6detail17trampoline_kernelINS0_14default_configENS1_38merge_sort_block_merge_config_selectorIlNS0_10empty_typeEEEZZNS1_27merge_sort_block_merge_implIS3_PlPS5_mZN2at6native12_GLOBAL__N_124unique_dim_cuda_templateIaEESt5tupleIJNSA_6TensorESF_SF_EERKSF_lbbbEUlllE_EE10hipError_tT0_T1_T2_jT3_P12ihipStream_tbPNSt15iterator_traitsISL_E10value_typeEPNSR_ISM_E10value_typeEPSN_NS1_7vsmem_tEENKUlT_SL_SM_SN_E_clIS8_S8_S9_S9_EESK_S10_SL_SM_SN_EUlS10_E_NS1_11comp_targetILNS1_3genE3ELNS1_11target_archE908ELNS1_3gpuE7ELNS1_3repE0EEENS1_48merge_mergepath_partition_config_static_selectorELNS0_4arch9wavefront6targetE1EEEvSM_: ; @_ZN7rocprim17ROCPRIM_400000_NS6detail17trampoline_kernelINS0_14default_configENS1_38merge_sort_block_merge_config_selectorIlNS0_10empty_typeEEEZZNS1_27merge_sort_block_merge_implIS3_PlPS5_mZN2at6native12_GLOBAL__N_124unique_dim_cuda_templateIaEESt5tupleIJNSA_6TensorESF_SF_EERKSF_lbbbEUlllE_EE10hipError_tT0_T1_T2_jT3_P12ihipStream_tbPNSt15iterator_traitsISL_E10value_typeEPNSR_ISM_E10value_typeEPSN_NS1_7vsmem_tEENKUlT_SL_SM_SN_E_clIS8_S8_S9_S9_EESK_S10_SL_SM_SN_EUlS10_E_NS1_11comp_targetILNS1_3genE3ELNS1_11target_archE908ELNS1_3gpuE7ELNS1_3repE0EEENS1_48merge_mergepath_partition_config_static_selectorELNS0_4arch9wavefront6targetE1EEEvSM_
; %bb.0:
	.section	.rodata,"a",@progbits
	.p2align	6, 0x0
	.amdhsa_kernel _ZN7rocprim17ROCPRIM_400000_NS6detail17trampoline_kernelINS0_14default_configENS1_38merge_sort_block_merge_config_selectorIlNS0_10empty_typeEEEZZNS1_27merge_sort_block_merge_implIS3_PlPS5_mZN2at6native12_GLOBAL__N_124unique_dim_cuda_templateIaEESt5tupleIJNSA_6TensorESF_SF_EERKSF_lbbbEUlllE_EE10hipError_tT0_T1_T2_jT3_P12ihipStream_tbPNSt15iterator_traitsISL_E10value_typeEPNSR_ISM_E10value_typeEPSN_NS1_7vsmem_tEENKUlT_SL_SM_SN_E_clIS8_S8_S9_S9_EESK_S10_SL_SM_SN_EUlS10_E_NS1_11comp_targetILNS1_3genE3ELNS1_11target_archE908ELNS1_3gpuE7ELNS1_3repE0EEENS1_48merge_mergepath_partition_config_static_selectorELNS0_4arch9wavefront6targetE1EEEvSM_
		.amdhsa_group_segment_fixed_size 0
		.amdhsa_private_segment_fixed_size 0
		.amdhsa_kernarg_size 56
		.amdhsa_user_sgpr_count 2
		.amdhsa_user_sgpr_dispatch_ptr 0
		.amdhsa_user_sgpr_queue_ptr 0
		.amdhsa_user_sgpr_kernarg_segment_ptr 1
		.amdhsa_user_sgpr_dispatch_id 0
		.amdhsa_user_sgpr_kernarg_preload_length 0
		.amdhsa_user_sgpr_kernarg_preload_offset 0
		.amdhsa_user_sgpr_private_segment_size 0
		.amdhsa_uses_dynamic_stack 0
		.amdhsa_enable_private_segment 0
		.amdhsa_system_sgpr_workgroup_id_x 1
		.amdhsa_system_sgpr_workgroup_id_y 0
		.amdhsa_system_sgpr_workgroup_id_z 0
		.amdhsa_system_sgpr_workgroup_info 0
		.amdhsa_system_vgpr_workitem_id 0
		.amdhsa_next_free_vgpr 1
		.amdhsa_next_free_sgpr 0
		.amdhsa_accum_offset 4
		.amdhsa_reserve_vcc 0
		.amdhsa_float_round_mode_32 0
		.amdhsa_float_round_mode_16_64 0
		.amdhsa_float_denorm_mode_32 3
		.amdhsa_float_denorm_mode_16_64 3
		.amdhsa_dx10_clamp 1
		.amdhsa_ieee_mode 1
		.amdhsa_fp16_overflow 0
		.amdhsa_tg_split 0
		.amdhsa_exception_fp_ieee_invalid_op 0
		.amdhsa_exception_fp_denorm_src 0
		.amdhsa_exception_fp_ieee_div_zero 0
		.amdhsa_exception_fp_ieee_overflow 0
		.amdhsa_exception_fp_ieee_underflow 0
		.amdhsa_exception_fp_ieee_inexact 0
		.amdhsa_exception_int_div_zero 0
	.end_amdhsa_kernel
	.section	.text._ZN7rocprim17ROCPRIM_400000_NS6detail17trampoline_kernelINS0_14default_configENS1_38merge_sort_block_merge_config_selectorIlNS0_10empty_typeEEEZZNS1_27merge_sort_block_merge_implIS3_PlPS5_mZN2at6native12_GLOBAL__N_124unique_dim_cuda_templateIaEESt5tupleIJNSA_6TensorESF_SF_EERKSF_lbbbEUlllE_EE10hipError_tT0_T1_T2_jT3_P12ihipStream_tbPNSt15iterator_traitsISL_E10value_typeEPNSR_ISM_E10value_typeEPSN_NS1_7vsmem_tEENKUlT_SL_SM_SN_E_clIS8_S8_S9_S9_EESK_S10_SL_SM_SN_EUlS10_E_NS1_11comp_targetILNS1_3genE3ELNS1_11target_archE908ELNS1_3gpuE7ELNS1_3repE0EEENS1_48merge_mergepath_partition_config_static_selectorELNS0_4arch9wavefront6targetE1EEEvSM_,"axG",@progbits,_ZN7rocprim17ROCPRIM_400000_NS6detail17trampoline_kernelINS0_14default_configENS1_38merge_sort_block_merge_config_selectorIlNS0_10empty_typeEEEZZNS1_27merge_sort_block_merge_implIS3_PlPS5_mZN2at6native12_GLOBAL__N_124unique_dim_cuda_templateIaEESt5tupleIJNSA_6TensorESF_SF_EERKSF_lbbbEUlllE_EE10hipError_tT0_T1_T2_jT3_P12ihipStream_tbPNSt15iterator_traitsISL_E10value_typeEPNSR_ISM_E10value_typeEPSN_NS1_7vsmem_tEENKUlT_SL_SM_SN_E_clIS8_S8_S9_S9_EESK_S10_SL_SM_SN_EUlS10_E_NS1_11comp_targetILNS1_3genE3ELNS1_11target_archE908ELNS1_3gpuE7ELNS1_3repE0EEENS1_48merge_mergepath_partition_config_static_selectorELNS0_4arch9wavefront6targetE1EEEvSM_,comdat
.Lfunc_end274:
	.size	_ZN7rocprim17ROCPRIM_400000_NS6detail17trampoline_kernelINS0_14default_configENS1_38merge_sort_block_merge_config_selectorIlNS0_10empty_typeEEEZZNS1_27merge_sort_block_merge_implIS3_PlPS5_mZN2at6native12_GLOBAL__N_124unique_dim_cuda_templateIaEESt5tupleIJNSA_6TensorESF_SF_EERKSF_lbbbEUlllE_EE10hipError_tT0_T1_T2_jT3_P12ihipStream_tbPNSt15iterator_traitsISL_E10value_typeEPNSR_ISM_E10value_typeEPSN_NS1_7vsmem_tEENKUlT_SL_SM_SN_E_clIS8_S8_S9_S9_EESK_S10_SL_SM_SN_EUlS10_E_NS1_11comp_targetILNS1_3genE3ELNS1_11target_archE908ELNS1_3gpuE7ELNS1_3repE0EEENS1_48merge_mergepath_partition_config_static_selectorELNS0_4arch9wavefront6targetE1EEEvSM_, .Lfunc_end274-_ZN7rocprim17ROCPRIM_400000_NS6detail17trampoline_kernelINS0_14default_configENS1_38merge_sort_block_merge_config_selectorIlNS0_10empty_typeEEEZZNS1_27merge_sort_block_merge_implIS3_PlPS5_mZN2at6native12_GLOBAL__N_124unique_dim_cuda_templateIaEESt5tupleIJNSA_6TensorESF_SF_EERKSF_lbbbEUlllE_EE10hipError_tT0_T1_T2_jT3_P12ihipStream_tbPNSt15iterator_traitsISL_E10value_typeEPNSR_ISM_E10value_typeEPSN_NS1_7vsmem_tEENKUlT_SL_SM_SN_E_clIS8_S8_S9_S9_EESK_S10_SL_SM_SN_EUlS10_E_NS1_11comp_targetILNS1_3genE3ELNS1_11target_archE908ELNS1_3gpuE7ELNS1_3repE0EEENS1_48merge_mergepath_partition_config_static_selectorELNS0_4arch9wavefront6targetE1EEEvSM_
                                        ; -- End function
	.set _ZN7rocprim17ROCPRIM_400000_NS6detail17trampoline_kernelINS0_14default_configENS1_38merge_sort_block_merge_config_selectorIlNS0_10empty_typeEEEZZNS1_27merge_sort_block_merge_implIS3_PlPS5_mZN2at6native12_GLOBAL__N_124unique_dim_cuda_templateIaEESt5tupleIJNSA_6TensorESF_SF_EERKSF_lbbbEUlllE_EE10hipError_tT0_T1_T2_jT3_P12ihipStream_tbPNSt15iterator_traitsISL_E10value_typeEPNSR_ISM_E10value_typeEPSN_NS1_7vsmem_tEENKUlT_SL_SM_SN_E_clIS8_S8_S9_S9_EESK_S10_SL_SM_SN_EUlS10_E_NS1_11comp_targetILNS1_3genE3ELNS1_11target_archE908ELNS1_3gpuE7ELNS1_3repE0EEENS1_48merge_mergepath_partition_config_static_selectorELNS0_4arch9wavefront6targetE1EEEvSM_.num_vgpr, 0
	.set _ZN7rocprim17ROCPRIM_400000_NS6detail17trampoline_kernelINS0_14default_configENS1_38merge_sort_block_merge_config_selectorIlNS0_10empty_typeEEEZZNS1_27merge_sort_block_merge_implIS3_PlPS5_mZN2at6native12_GLOBAL__N_124unique_dim_cuda_templateIaEESt5tupleIJNSA_6TensorESF_SF_EERKSF_lbbbEUlllE_EE10hipError_tT0_T1_T2_jT3_P12ihipStream_tbPNSt15iterator_traitsISL_E10value_typeEPNSR_ISM_E10value_typeEPSN_NS1_7vsmem_tEENKUlT_SL_SM_SN_E_clIS8_S8_S9_S9_EESK_S10_SL_SM_SN_EUlS10_E_NS1_11comp_targetILNS1_3genE3ELNS1_11target_archE908ELNS1_3gpuE7ELNS1_3repE0EEENS1_48merge_mergepath_partition_config_static_selectorELNS0_4arch9wavefront6targetE1EEEvSM_.num_agpr, 0
	.set _ZN7rocprim17ROCPRIM_400000_NS6detail17trampoline_kernelINS0_14default_configENS1_38merge_sort_block_merge_config_selectorIlNS0_10empty_typeEEEZZNS1_27merge_sort_block_merge_implIS3_PlPS5_mZN2at6native12_GLOBAL__N_124unique_dim_cuda_templateIaEESt5tupleIJNSA_6TensorESF_SF_EERKSF_lbbbEUlllE_EE10hipError_tT0_T1_T2_jT3_P12ihipStream_tbPNSt15iterator_traitsISL_E10value_typeEPNSR_ISM_E10value_typeEPSN_NS1_7vsmem_tEENKUlT_SL_SM_SN_E_clIS8_S8_S9_S9_EESK_S10_SL_SM_SN_EUlS10_E_NS1_11comp_targetILNS1_3genE3ELNS1_11target_archE908ELNS1_3gpuE7ELNS1_3repE0EEENS1_48merge_mergepath_partition_config_static_selectorELNS0_4arch9wavefront6targetE1EEEvSM_.numbered_sgpr, 0
	.set _ZN7rocprim17ROCPRIM_400000_NS6detail17trampoline_kernelINS0_14default_configENS1_38merge_sort_block_merge_config_selectorIlNS0_10empty_typeEEEZZNS1_27merge_sort_block_merge_implIS3_PlPS5_mZN2at6native12_GLOBAL__N_124unique_dim_cuda_templateIaEESt5tupleIJNSA_6TensorESF_SF_EERKSF_lbbbEUlllE_EE10hipError_tT0_T1_T2_jT3_P12ihipStream_tbPNSt15iterator_traitsISL_E10value_typeEPNSR_ISM_E10value_typeEPSN_NS1_7vsmem_tEENKUlT_SL_SM_SN_E_clIS8_S8_S9_S9_EESK_S10_SL_SM_SN_EUlS10_E_NS1_11comp_targetILNS1_3genE3ELNS1_11target_archE908ELNS1_3gpuE7ELNS1_3repE0EEENS1_48merge_mergepath_partition_config_static_selectorELNS0_4arch9wavefront6targetE1EEEvSM_.num_named_barrier, 0
	.set _ZN7rocprim17ROCPRIM_400000_NS6detail17trampoline_kernelINS0_14default_configENS1_38merge_sort_block_merge_config_selectorIlNS0_10empty_typeEEEZZNS1_27merge_sort_block_merge_implIS3_PlPS5_mZN2at6native12_GLOBAL__N_124unique_dim_cuda_templateIaEESt5tupleIJNSA_6TensorESF_SF_EERKSF_lbbbEUlllE_EE10hipError_tT0_T1_T2_jT3_P12ihipStream_tbPNSt15iterator_traitsISL_E10value_typeEPNSR_ISM_E10value_typeEPSN_NS1_7vsmem_tEENKUlT_SL_SM_SN_E_clIS8_S8_S9_S9_EESK_S10_SL_SM_SN_EUlS10_E_NS1_11comp_targetILNS1_3genE3ELNS1_11target_archE908ELNS1_3gpuE7ELNS1_3repE0EEENS1_48merge_mergepath_partition_config_static_selectorELNS0_4arch9wavefront6targetE1EEEvSM_.private_seg_size, 0
	.set _ZN7rocprim17ROCPRIM_400000_NS6detail17trampoline_kernelINS0_14default_configENS1_38merge_sort_block_merge_config_selectorIlNS0_10empty_typeEEEZZNS1_27merge_sort_block_merge_implIS3_PlPS5_mZN2at6native12_GLOBAL__N_124unique_dim_cuda_templateIaEESt5tupleIJNSA_6TensorESF_SF_EERKSF_lbbbEUlllE_EE10hipError_tT0_T1_T2_jT3_P12ihipStream_tbPNSt15iterator_traitsISL_E10value_typeEPNSR_ISM_E10value_typeEPSN_NS1_7vsmem_tEENKUlT_SL_SM_SN_E_clIS8_S8_S9_S9_EESK_S10_SL_SM_SN_EUlS10_E_NS1_11comp_targetILNS1_3genE3ELNS1_11target_archE908ELNS1_3gpuE7ELNS1_3repE0EEENS1_48merge_mergepath_partition_config_static_selectorELNS0_4arch9wavefront6targetE1EEEvSM_.uses_vcc, 0
	.set _ZN7rocprim17ROCPRIM_400000_NS6detail17trampoline_kernelINS0_14default_configENS1_38merge_sort_block_merge_config_selectorIlNS0_10empty_typeEEEZZNS1_27merge_sort_block_merge_implIS3_PlPS5_mZN2at6native12_GLOBAL__N_124unique_dim_cuda_templateIaEESt5tupleIJNSA_6TensorESF_SF_EERKSF_lbbbEUlllE_EE10hipError_tT0_T1_T2_jT3_P12ihipStream_tbPNSt15iterator_traitsISL_E10value_typeEPNSR_ISM_E10value_typeEPSN_NS1_7vsmem_tEENKUlT_SL_SM_SN_E_clIS8_S8_S9_S9_EESK_S10_SL_SM_SN_EUlS10_E_NS1_11comp_targetILNS1_3genE3ELNS1_11target_archE908ELNS1_3gpuE7ELNS1_3repE0EEENS1_48merge_mergepath_partition_config_static_selectorELNS0_4arch9wavefront6targetE1EEEvSM_.uses_flat_scratch, 0
	.set _ZN7rocprim17ROCPRIM_400000_NS6detail17trampoline_kernelINS0_14default_configENS1_38merge_sort_block_merge_config_selectorIlNS0_10empty_typeEEEZZNS1_27merge_sort_block_merge_implIS3_PlPS5_mZN2at6native12_GLOBAL__N_124unique_dim_cuda_templateIaEESt5tupleIJNSA_6TensorESF_SF_EERKSF_lbbbEUlllE_EE10hipError_tT0_T1_T2_jT3_P12ihipStream_tbPNSt15iterator_traitsISL_E10value_typeEPNSR_ISM_E10value_typeEPSN_NS1_7vsmem_tEENKUlT_SL_SM_SN_E_clIS8_S8_S9_S9_EESK_S10_SL_SM_SN_EUlS10_E_NS1_11comp_targetILNS1_3genE3ELNS1_11target_archE908ELNS1_3gpuE7ELNS1_3repE0EEENS1_48merge_mergepath_partition_config_static_selectorELNS0_4arch9wavefront6targetE1EEEvSM_.has_dyn_sized_stack, 0
	.set _ZN7rocprim17ROCPRIM_400000_NS6detail17trampoline_kernelINS0_14default_configENS1_38merge_sort_block_merge_config_selectorIlNS0_10empty_typeEEEZZNS1_27merge_sort_block_merge_implIS3_PlPS5_mZN2at6native12_GLOBAL__N_124unique_dim_cuda_templateIaEESt5tupleIJNSA_6TensorESF_SF_EERKSF_lbbbEUlllE_EE10hipError_tT0_T1_T2_jT3_P12ihipStream_tbPNSt15iterator_traitsISL_E10value_typeEPNSR_ISM_E10value_typeEPSN_NS1_7vsmem_tEENKUlT_SL_SM_SN_E_clIS8_S8_S9_S9_EESK_S10_SL_SM_SN_EUlS10_E_NS1_11comp_targetILNS1_3genE3ELNS1_11target_archE908ELNS1_3gpuE7ELNS1_3repE0EEENS1_48merge_mergepath_partition_config_static_selectorELNS0_4arch9wavefront6targetE1EEEvSM_.has_recursion, 0
	.set _ZN7rocprim17ROCPRIM_400000_NS6detail17trampoline_kernelINS0_14default_configENS1_38merge_sort_block_merge_config_selectorIlNS0_10empty_typeEEEZZNS1_27merge_sort_block_merge_implIS3_PlPS5_mZN2at6native12_GLOBAL__N_124unique_dim_cuda_templateIaEESt5tupleIJNSA_6TensorESF_SF_EERKSF_lbbbEUlllE_EE10hipError_tT0_T1_T2_jT3_P12ihipStream_tbPNSt15iterator_traitsISL_E10value_typeEPNSR_ISM_E10value_typeEPSN_NS1_7vsmem_tEENKUlT_SL_SM_SN_E_clIS8_S8_S9_S9_EESK_S10_SL_SM_SN_EUlS10_E_NS1_11comp_targetILNS1_3genE3ELNS1_11target_archE908ELNS1_3gpuE7ELNS1_3repE0EEENS1_48merge_mergepath_partition_config_static_selectorELNS0_4arch9wavefront6targetE1EEEvSM_.has_indirect_call, 0
	.section	.AMDGPU.csdata,"",@progbits
; Kernel info:
; codeLenInByte = 0
; TotalNumSgprs: 6
; NumVgprs: 0
; NumAgprs: 0
; TotalNumVgprs: 0
; ScratchSize: 0
; MemoryBound: 0
; FloatMode: 240
; IeeeMode: 1
; LDSByteSize: 0 bytes/workgroup (compile time only)
; SGPRBlocks: 0
; VGPRBlocks: 0
; NumSGPRsForWavesPerEU: 6
; NumVGPRsForWavesPerEU: 1
; AccumOffset: 4
; Occupancy: 8
; WaveLimiterHint : 0
; COMPUTE_PGM_RSRC2:SCRATCH_EN: 0
; COMPUTE_PGM_RSRC2:USER_SGPR: 2
; COMPUTE_PGM_RSRC2:TRAP_HANDLER: 0
; COMPUTE_PGM_RSRC2:TGID_X_EN: 1
; COMPUTE_PGM_RSRC2:TGID_Y_EN: 0
; COMPUTE_PGM_RSRC2:TGID_Z_EN: 0
; COMPUTE_PGM_RSRC2:TIDIG_COMP_CNT: 0
; COMPUTE_PGM_RSRC3_GFX90A:ACCUM_OFFSET: 0
; COMPUTE_PGM_RSRC3_GFX90A:TG_SPLIT: 0
	.section	.text._ZN7rocprim17ROCPRIM_400000_NS6detail17trampoline_kernelINS0_14default_configENS1_38merge_sort_block_merge_config_selectorIlNS0_10empty_typeEEEZZNS1_27merge_sort_block_merge_implIS3_PlPS5_mZN2at6native12_GLOBAL__N_124unique_dim_cuda_templateIaEESt5tupleIJNSA_6TensorESF_SF_EERKSF_lbbbEUlllE_EE10hipError_tT0_T1_T2_jT3_P12ihipStream_tbPNSt15iterator_traitsISL_E10value_typeEPNSR_ISM_E10value_typeEPSN_NS1_7vsmem_tEENKUlT_SL_SM_SN_E_clIS8_S8_S9_S9_EESK_S10_SL_SM_SN_EUlS10_E_NS1_11comp_targetILNS1_3genE2ELNS1_11target_archE906ELNS1_3gpuE6ELNS1_3repE0EEENS1_48merge_mergepath_partition_config_static_selectorELNS0_4arch9wavefront6targetE1EEEvSM_,"axG",@progbits,_ZN7rocprim17ROCPRIM_400000_NS6detail17trampoline_kernelINS0_14default_configENS1_38merge_sort_block_merge_config_selectorIlNS0_10empty_typeEEEZZNS1_27merge_sort_block_merge_implIS3_PlPS5_mZN2at6native12_GLOBAL__N_124unique_dim_cuda_templateIaEESt5tupleIJNSA_6TensorESF_SF_EERKSF_lbbbEUlllE_EE10hipError_tT0_T1_T2_jT3_P12ihipStream_tbPNSt15iterator_traitsISL_E10value_typeEPNSR_ISM_E10value_typeEPSN_NS1_7vsmem_tEENKUlT_SL_SM_SN_E_clIS8_S8_S9_S9_EESK_S10_SL_SM_SN_EUlS10_E_NS1_11comp_targetILNS1_3genE2ELNS1_11target_archE906ELNS1_3gpuE6ELNS1_3repE0EEENS1_48merge_mergepath_partition_config_static_selectorELNS0_4arch9wavefront6targetE1EEEvSM_,comdat
	.globl	_ZN7rocprim17ROCPRIM_400000_NS6detail17trampoline_kernelINS0_14default_configENS1_38merge_sort_block_merge_config_selectorIlNS0_10empty_typeEEEZZNS1_27merge_sort_block_merge_implIS3_PlPS5_mZN2at6native12_GLOBAL__N_124unique_dim_cuda_templateIaEESt5tupleIJNSA_6TensorESF_SF_EERKSF_lbbbEUlllE_EE10hipError_tT0_T1_T2_jT3_P12ihipStream_tbPNSt15iterator_traitsISL_E10value_typeEPNSR_ISM_E10value_typeEPSN_NS1_7vsmem_tEENKUlT_SL_SM_SN_E_clIS8_S8_S9_S9_EESK_S10_SL_SM_SN_EUlS10_E_NS1_11comp_targetILNS1_3genE2ELNS1_11target_archE906ELNS1_3gpuE6ELNS1_3repE0EEENS1_48merge_mergepath_partition_config_static_selectorELNS0_4arch9wavefront6targetE1EEEvSM_ ; -- Begin function _ZN7rocprim17ROCPRIM_400000_NS6detail17trampoline_kernelINS0_14default_configENS1_38merge_sort_block_merge_config_selectorIlNS0_10empty_typeEEEZZNS1_27merge_sort_block_merge_implIS3_PlPS5_mZN2at6native12_GLOBAL__N_124unique_dim_cuda_templateIaEESt5tupleIJNSA_6TensorESF_SF_EERKSF_lbbbEUlllE_EE10hipError_tT0_T1_T2_jT3_P12ihipStream_tbPNSt15iterator_traitsISL_E10value_typeEPNSR_ISM_E10value_typeEPSN_NS1_7vsmem_tEENKUlT_SL_SM_SN_E_clIS8_S8_S9_S9_EESK_S10_SL_SM_SN_EUlS10_E_NS1_11comp_targetILNS1_3genE2ELNS1_11target_archE906ELNS1_3gpuE6ELNS1_3repE0EEENS1_48merge_mergepath_partition_config_static_selectorELNS0_4arch9wavefront6targetE1EEEvSM_
	.p2align	8
	.type	_ZN7rocprim17ROCPRIM_400000_NS6detail17trampoline_kernelINS0_14default_configENS1_38merge_sort_block_merge_config_selectorIlNS0_10empty_typeEEEZZNS1_27merge_sort_block_merge_implIS3_PlPS5_mZN2at6native12_GLOBAL__N_124unique_dim_cuda_templateIaEESt5tupleIJNSA_6TensorESF_SF_EERKSF_lbbbEUlllE_EE10hipError_tT0_T1_T2_jT3_P12ihipStream_tbPNSt15iterator_traitsISL_E10value_typeEPNSR_ISM_E10value_typeEPSN_NS1_7vsmem_tEENKUlT_SL_SM_SN_E_clIS8_S8_S9_S9_EESK_S10_SL_SM_SN_EUlS10_E_NS1_11comp_targetILNS1_3genE2ELNS1_11target_archE906ELNS1_3gpuE6ELNS1_3repE0EEENS1_48merge_mergepath_partition_config_static_selectorELNS0_4arch9wavefront6targetE1EEEvSM_,@function
_ZN7rocprim17ROCPRIM_400000_NS6detail17trampoline_kernelINS0_14default_configENS1_38merge_sort_block_merge_config_selectorIlNS0_10empty_typeEEEZZNS1_27merge_sort_block_merge_implIS3_PlPS5_mZN2at6native12_GLOBAL__N_124unique_dim_cuda_templateIaEESt5tupleIJNSA_6TensorESF_SF_EERKSF_lbbbEUlllE_EE10hipError_tT0_T1_T2_jT3_P12ihipStream_tbPNSt15iterator_traitsISL_E10value_typeEPNSR_ISM_E10value_typeEPSN_NS1_7vsmem_tEENKUlT_SL_SM_SN_E_clIS8_S8_S9_S9_EESK_S10_SL_SM_SN_EUlS10_E_NS1_11comp_targetILNS1_3genE2ELNS1_11target_archE906ELNS1_3gpuE6ELNS1_3repE0EEENS1_48merge_mergepath_partition_config_static_selectorELNS0_4arch9wavefront6targetE1EEEvSM_: ; @_ZN7rocprim17ROCPRIM_400000_NS6detail17trampoline_kernelINS0_14default_configENS1_38merge_sort_block_merge_config_selectorIlNS0_10empty_typeEEEZZNS1_27merge_sort_block_merge_implIS3_PlPS5_mZN2at6native12_GLOBAL__N_124unique_dim_cuda_templateIaEESt5tupleIJNSA_6TensorESF_SF_EERKSF_lbbbEUlllE_EE10hipError_tT0_T1_T2_jT3_P12ihipStream_tbPNSt15iterator_traitsISL_E10value_typeEPNSR_ISM_E10value_typeEPSN_NS1_7vsmem_tEENKUlT_SL_SM_SN_E_clIS8_S8_S9_S9_EESK_S10_SL_SM_SN_EUlS10_E_NS1_11comp_targetILNS1_3genE2ELNS1_11target_archE906ELNS1_3gpuE6ELNS1_3repE0EEENS1_48merge_mergepath_partition_config_static_selectorELNS0_4arch9wavefront6targetE1EEEvSM_
; %bb.0:
	.section	.rodata,"a",@progbits
	.p2align	6, 0x0
	.amdhsa_kernel _ZN7rocprim17ROCPRIM_400000_NS6detail17trampoline_kernelINS0_14default_configENS1_38merge_sort_block_merge_config_selectorIlNS0_10empty_typeEEEZZNS1_27merge_sort_block_merge_implIS3_PlPS5_mZN2at6native12_GLOBAL__N_124unique_dim_cuda_templateIaEESt5tupleIJNSA_6TensorESF_SF_EERKSF_lbbbEUlllE_EE10hipError_tT0_T1_T2_jT3_P12ihipStream_tbPNSt15iterator_traitsISL_E10value_typeEPNSR_ISM_E10value_typeEPSN_NS1_7vsmem_tEENKUlT_SL_SM_SN_E_clIS8_S8_S9_S9_EESK_S10_SL_SM_SN_EUlS10_E_NS1_11comp_targetILNS1_3genE2ELNS1_11target_archE906ELNS1_3gpuE6ELNS1_3repE0EEENS1_48merge_mergepath_partition_config_static_selectorELNS0_4arch9wavefront6targetE1EEEvSM_
		.amdhsa_group_segment_fixed_size 0
		.amdhsa_private_segment_fixed_size 0
		.amdhsa_kernarg_size 56
		.amdhsa_user_sgpr_count 2
		.amdhsa_user_sgpr_dispatch_ptr 0
		.amdhsa_user_sgpr_queue_ptr 0
		.amdhsa_user_sgpr_kernarg_segment_ptr 1
		.amdhsa_user_sgpr_dispatch_id 0
		.amdhsa_user_sgpr_kernarg_preload_length 0
		.amdhsa_user_sgpr_kernarg_preload_offset 0
		.amdhsa_user_sgpr_private_segment_size 0
		.amdhsa_uses_dynamic_stack 0
		.amdhsa_enable_private_segment 0
		.amdhsa_system_sgpr_workgroup_id_x 1
		.amdhsa_system_sgpr_workgroup_id_y 0
		.amdhsa_system_sgpr_workgroup_id_z 0
		.amdhsa_system_sgpr_workgroup_info 0
		.amdhsa_system_vgpr_workitem_id 0
		.amdhsa_next_free_vgpr 1
		.amdhsa_next_free_sgpr 0
		.amdhsa_accum_offset 4
		.amdhsa_reserve_vcc 0
		.amdhsa_float_round_mode_32 0
		.amdhsa_float_round_mode_16_64 0
		.amdhsa_float_denorm_mode_32 3
		.amdhsa_float_denorm_mode_16_64 3
		.amdhsa_dx10_clamp 1
		.amdhsa_ieee_mode 1
		.amdhsa_fp16_overflow 0
		.amdhsa_tg_split 0
		.amdhsa_exception_fp_ieee_invalid_op 0
		.amdhsa_exception_fp_denorm_src 0
		.amdhsa_exception_fp_ieee_div_zero 0
		.amdhsa_exception_fp_ieee_overflow 0
		.amdhsa_exception_fp_ieee_underflow 0
		.amdhsa_exception_fp_ieee_inexact 0
		.amdhsa_exception_int_div_zero 0
	.end_amdhsa_kernel
	.section	.text._ZN7rocprim17ROCPRIM_400000_NS6detail17trampoline_kernelINS0_14default_configENS1_38merge_sort_block_merge_config_selectorIlNS0_10empty_typeEEEZZNS1_27merge_sort_block_merge_implIS3_PlPS5_mZN2at6native12_GLOBAL__N_124unique_dim_cuda_templateIaEESt5tupleIJNSA_6TensorESF_SF_EERKSF_lbbbEUlllE_EE10hipError_tT0_T1_T2_jT3_P12ihipStream_tbPNSt15iterator_traitsISL_E10value_typeEPNSR_ISM_E10value_typeEPSN_NS1_7vsmem_tEENKUlT_SL_SM_SN_E_clIS8_S8_S9_S9_EESK_S10_SL_SM_SN_EUlS10_E_NS1_11comp_targetILNS1_3genE2ELNS1_11target_archE906ELNS1_3gpuE6ELNS1_3repE0EEENS1_48merge_mergepath_partition_config_static_selectorELNS0_4arch9wavefront6targetE1EEEvSM_,"axG",@progbits,_ZN7rocprim17ROCPRIM_400000_NS6detail17trampoline_kernelINS0_14default_configENS1_38merge_sort_block_merge_config_selectorIlNS0_10empty_typeEEEZZNS1_27merge_sort_block_merge_implIS3_PlPS5_mZN2at6native12_GLOBAL__N_124unique_dim_cuda_templateIaEESt5tupleIJNSA_6TensorESF_SF_EERKSF_lbbbEUlllE_EE10hipError_tT0_T1_T2_jT3_P12ihipStream_tbPNSt15iterator_traitsISL_E10value_typeEPNSR_ISM_E10value_typeEPSN_NS1_7vsmem_tEENKUlT_SL_SM_SN_E_clIS8_S8_S9_S9_EESK_S10_SL_SM_SN_EUlS10_E_NS1_11comp_targetILNS1_3genE2ELNS1_11target_archE906ELNS1_3gpuE6ELNS1_3repE0EEENS1_48merge_mergepath_partition_config_static_selectorELNS0_4arch9wavefront6targetE1EEEvSM_,comdat
.Lfunc_end275:
	.size	_ZN7rocprim17ROCPRIM_400000_NS6detail17trampoline_kernelINS0_14default_configENS1_38merge_sort_block_merge_config_selectorIlNS0_10empty_typeEEEZZNS1_27merge_sort_block_merge_implIS3_PlPS5_mZN2at6native12_GLOBAL__N_124unique_dim_cuda_templateIaEESt5tupleIJNSA_6TensorESF_SF_EERKSF_lbbbEUlllE_EE10hipError_tT0_T1_T2_jT3_P12ihipStream_tbPNSt15iterator_traitsISL_E10value_typeEPNSR_ISM_E10value_typeEPSN_NS1_7vsmem_tEENKUlT_SL_SM_SN_E_clIS8_S8_S9_S9_EESK_S10_SL_SM_SN_EUlS10_E_NS1_11comp_targetILNS1_3genE2ELNS1_11target_archE906ELNS1_3gpuE6ELNS1_3repE0EEENS1_48merge_mergepath_partition_config_static_selectorELNS0_4arch9wavefront6targetE1EEEvSM_, .Lfunc_end275-_ZN7rocprim17ROCPRIM_400000_NS6detail17trampoline_kernelINS0_14default_configENS1_38merge_sort_block_merge_config_selectorIlNS0_10empty_typeEEEZZNS1_27merge_sort_block_merge_implIS3_PlPS5_mZN2at6native12_GLOBAL__N_124unique_dim_cuda_templateIaEESt5tupleIJNSA_6TensorESF_SF_EERKSF_lbbbEUlllE_EE10hipError_tT0_T1_T2_jT3_P12ihipStream_tbPNSt15iterator_traitsISL_E10value_typeEPNSR_ISM_E10value_typeEPSN_NS1_7vsmem_tEENKUlT_SL_SM_SN_E_clIS8_S8_S9_S9_EESK_S10_SL_SM_SN_EUlS10_E_NS1_11comp_targetILNS1_3genE2ELNS1_11target_archE906ELNS1_3gpuE6ELNS1_3repE0EEENS1_48merge_mergepath_partition_config_static_selectorELNS0_4arch9wavefront6targetE1EEEvSM_
                                        ; -- End function
	.set _ZN7rocprim17ROCPRIM_400000_NS6detail17trampoline_kernelINS0_14default_configENS1_38merge_sort_block_merge_config_selectorIlNS0_10empty_typeEEEZZNS1_27merge_sort_block_merge_implIS3_PlPS5_mZN2at6native12_GLOBAL__N_124unique_dim_cuda_templateIaEESt5tupleIJNSA_6TensorESF_SF_EERKSF_lbbbEUlllE_EE10hipError_tT0_T1_T2_jT3_P12ihipStream_tbPNSt15iterator_traitsISL_E10value_typeEPNSR_ISM_E10value_typeEPSN_NS1_7vsmem_tEENKUlT_SL_SM_SN_E_clIS8_S8_S9_S9_EESK_S10_SL_SM_SN_EUlS10_E_NS1_11comp_targetILNS1_3genE2ELNS1_11target_archE906ELNS1_3gpuE6ELNS1_3repE0EEENS1_48merge_mergepath_partition_config_static_selectorELNS0_4arch9wavefront6targetE1EEEvSM_.num_vgpr, 0
	.set _ZN7rocprim17ROCPRIM_400000_NS6detail17trampoline_kernelINS0_14default_configENS1_38merge_sort_block_merge_config_selectorIlNS0_10empty_typeEEEZZNS1_27merge_sort_block_merge_implIS3_PlPS5_mZN2at6native12_GLOBAL__N_124unique_dim_cuda_templateIaEESt5tupleIJNSA_6TensorESF_SF_EERKSF_lbbbEUlllE_EE10hipError_tT0_T1_T2_jT3_P12ihipStream_tbPNSt15iterator_traitsISL_E10value_typeEPNSR_ISM_E10value_typeEPSN_NS1_7vsmem_tEENKUlT_SL_SM_SN_E_clIS8_S8_S9_S9_EESK_S10_SL_SM_SN_EUlS10_E_NS1_11comp_targetILNS1_3genE2ELNS1_11target_archE906ELNS1_3gpuE6ELNS1_3repE0EEENS1_48merge_mergepath_partition_config_static_selectorELNS0_4arch9wavefront6targetE1EEEvSM_.num_agpr, 0
	.set _ZN7rocprim17ROCPRIM_400000_NS6detail17trampoline_kernelINS0_14default_configENS1_38merge_sort_block_merge_config_selectorIlNS0_10empty_typeEEEZZNS1_27merge_sort_block_merge_implIS3_PlPS5_mZN2at6native12_GLOBAL__N_124unique_dim_cuda_templateIaEESt5tupleIJNSA_6TensorESF_SF_EERKSF_lbbbEUlllE_EE10hipError_tT0_T1_T2_jT3_P12ihipStream_tbPNSt15iterator_traitsISL_E10value_typeEPNSR_ISM_E10value_typeEPSN_NS1_7vsmem_tEENKUlT_SL_SM_SN_E_clIS8_S8_S9_S9_EESK_S10_SL_SM_SN_EUlS10_E_NS1_11comp_targetILNS1_3genE2ELNS1_11target_archE906ELNS1_3gpuE6ELNS1_3repE0EEENS1_48merge_mergepath_partition_config_static_selectorELNS0_4arch9wavefront6targetE1EEEvSM_.numbered_sgpr, 0
	.set _ZN7rocprim17ROCPRIM_400000_NS6detail17trampoline_kernelINS0_14default_configENS1_38merge_sort_block_merge_config_selectorIlNS0_10empty_typeEEEZZNS1_27merge_sort_block_merge_implIS3_PlPS5_mZN2at6native12_GLOBAL__N_124unique_dim_cuda_templateIaEESt5tupleIJNSA_6TensorESF_SF_EERKSF_lbbbEUlllE_EE10hipError_tT0_T1_T2_jT3_P12ihipStream_tbPNSt15iterator_traitsISL_E10value_typeEPNSR_ISM_E10value_typeEPSN_NS1_7vsmem_tEENKUlT_SL_SM_SN_E_clIS8_S8_S9_S9_EESK_S10_SL_SM_SN_EUlS10_E_NS1_11comp_targetILNS1_3genE2ELNS1_11target_archE906ELNS1_3gpuE6ELNS1_3repE0EEENS1_48merge_mergepath_partition_config_static_selectorELNS0_4arch9wavefront6targetE1EEEvSM_.num_named_barrier, 0
	.set _ZN7rocprim17ROCPRIM_400000_NS6detail17trampoline_kernelINS0_14default_configENS1_38merge_sort_block_merge_config_selectorIlNS0_10empty_typeEEEZZNS1_27merge_sort_block_merge_implIS3_PlPS5_mZN2at6native12_GLOBAL__N_124unique_dim_cuda_templateIaEESt5tupleIJNSA_6TensorESF_SF_EERKSF_lbbbEUlllE_EE10hipError_tT0_T1_T2_jT3_P12ihipStream_tbPNSt15iterator_traitsISL_E10value_typeEPNSR_ISM_E10value_typeEPSN_NS1_7vsmem_tEENKUlT_SL_SM_SN_E_clIS8_S8_S9_S9_EESK_S10_SL_SM_SN_EUlS10_E_NS1_11comp_targetILNS1_3genE2ELNS1_11target_archE906ELNS1_3gpuE6ELNS1_3repE0EEENS1_48merge_mergepath_partition_config_static_selectorELNS0_4arch9wavefront6targetE1EEEvSM_.private_seg_size, 0
	.set _ZN7rocprim17ROCPRIM_400000_NS6detail17trampoline_kernelINS0_14default_configENS1_38merge_sort_block_merge_config_selectorIlNS0_10empty_typeEEEZZNS1_27merge_sort_block_merge_implIS3_PlPS5_mZN2at6native12_GLOBAL__N_124unique_dim_cuda_templateIaEESt5tupleIJNSA_6TensorESF_SF_EERKSF_lbbbEUlllE_EE10hipError_tT0_T1_T2_jT3_P12ihipStream_tbPNSt15iterator_traitsISL_E10value_typeEPNSR_ISM_E10value_typeEPSN_NS1_7vsmem_tEENKUlT_SL_SM_SN_E_clIS8_S8_S9_S9_EESK_S10_SL_SM_SN_EUlS10_E_NS1_11comp_targetILNS1_3genE2ELNS1_11target_archE906ELNS1_3gpuE6ELNS1_3repE0EEENS1_48merge_mergepath_partition_config_static_selectorELNS0_4arch9wavefront6targetE1EEEvSM_.uses_vcc, 0
	.set _ZN7rocprim17ROCPRIM_400000_NS6detail17trampoline_kernelINS0_14default_configENS1_38merge_sort_block_merge_config_selectorIlNS0_10empty_typeEEEZZNS1_27merge_sort_block_merge_implIS3_PlPS5_mZN2at6native12_GLOBAL__N_124unique_dim_cuda_templateIaEESt5tupleIJNSA_6TensorESF_SF_EERKSF_lbbbEUlllE_EE10hipError_tT0_T1_T2_jT3_P12ihipStream_tbPNSt15iterator_traitsISL_E10value_typeEPNSR_ISM_E10value_typeEPSN_NS1_7vsmem_tEENKUlT_SL_SM_SN_E_clIS8_S8_S9_S9_EESK_S10_SL_SM_SN_EUlS10_E_NS1_11comp_targetILNS1_3genE2ELNS1_11target_archE906ELNS1_3gpuE6ELNS1_3repE0EEENS1_48merge_mergepath_partition_config_static_selectorELNS0_4arch9wavefront6targetE1EEEvSM_.uses_flat_scratch, 0
	.set _ZN7rocprim17ROCPRIM_400000_NS6detail17trampoline_kernelINS0_14default_configENS1_38merge_sort_block_merge_config_selectorIlNS0_10empty_typeEEEZZNS1_27merge_sort_block_merge_implIS3_PlPS5_mZN2at6native12_GLOBAL__N_124unique_dim_cuda_templateIaEESt5tupleIJNSA_6TensorESF_SF_EERKSF_lbbbEUlllE_EE10hipError_tT0_T1_T2_jT3_P12ihipStream_tbPNSt15iterator_traitsISL_E10value_typeEPNSR_ISM_E10value_typeEPSN_NS1_7vsmem_tEENKUlT_SL_SM_SN_E_clIS8_S8_S9_S9_EESK_S10_SL_SM_SN_EUlS10_E_NS1_11comp_targetILNS1_3genE2ELNS1_11target_archE906ELNS1_3gpuE6ELNS1_3repE0EEENS1_48merge_mergepath_partition_config_static_selectorELNS0_4arch9wavefront6targetE1EEEvSM_.has_dyn_sized_stack, 0
	.set _ZN7rocprim17ROCPRIM_400000_NS6detail17trampoline_kernelINS0_14default_configENS1_38merge_sort_block_merge_config_selectorIlNS0_10empty_typeEEEZZNS1_27merge_sort_block_merge_implIS3_PlPS5_mZN2at6native12_GLOBAL__N_124unique_dim_cuda_templateIaEESt5tupleIJNSA_6TensorESF_SF_EERKSF_lbbbEUlllE_EE10hipError_tT0_T1_T2_jT3_P12ihipStream_tbPNSt15iterator_traitsISL_E10value_typeEPNSR_ISM_E10value_typeEPSN_NS1_7vsmem_tEENKUlT_SL_SM_SN_E_clIS8_S8_S9_S9_EESK_S10_SL_SM_SN_EUlS10_E_NS1_11comp_targetILNS1_3genE2ELNS1_11target_archE906ELNS1_3gpuE6ELNS1_3repE0EEENS1_48merge_mergepath_partition_config_static_selectorELNS0_4arch9wavefront6targetE1EEEvSM_.has_recursion, 0
	.set _ZN7rocprim17ROCPRIM_400000_NS6detail17trampoline_kernelINS0_14default_configENS1_38merge_sort_block_merge_config_selectorIlNS0_10empty_typeEEEZZNS1_27merge_sort_block_merge_implIS3_PlPS5_mZN2at6native12_GLOBAL__N_124unique_dim_cuda_templateIaEESt5tupleIJNSA_6TensorESF_SF_EERKSF_lbbbEUlllE_EE10hipError_tT0_T1_T2_jT3_P12ihipStream_tbPNSt15iterator_traitsISL_E10value_typeEPNSR_ISM_E10value_typeEPSN_NS1_7vsmem_tEENKUlT_SL_SM_SN_E_clIS8_S8_S9_S9_EESK_S10_SL_SM_SN_EUlS10_E_NS1_11comp_targetILNS1_3genE2ELNS1_11target_archE906ELNS1_3gpuE6ELNS1_3repE0EEENS1_48merge_mergepath_partition_config_static_selectorELNS0_4arch9wavefront6targetE1EEEvSM_.has_indirect_call, 0
	.section	.AMDGPU.csdata,"",@progbits
; Kernel info:
; codeLenInByte = 0
; TotalNumSgprs: 6
; NumVgprs: 0
; NumAgprs: 0
; TotalNumVgprs: 0
; ScratchSize: 0
; MemoryBound: 0
; FloatMode: 240
; IeeeMode: 1
; LDSByteSize: 0 bytes/workgroup (compile time only)
; SGPRBlocks: 0
; VGPRBlocks: 0
; NumSGPRsForWavesPerEU: 6
; NumVGPRsForWavesPerEU: 1
; AccumOffset: 4
; Occupancy: 8
; WaveLimiterHint : 0
; COMPUTE_PGM_RSRC2:SCRATCH_EN: 0
; COMPUTE_PGM_RSRC2:USER_SGPR: 2
; COMPUTE_PGM_RSRC2:TRAP_HANDLER: 0
; COMPUTE_PGM_RSRC2:TGID_X_EN: 1
; COMPUTE_PGM_RSRC2:TGID_Y_EN: 0
; COMPUTE_PGM_RSRC2:TGID_Z_EN: 0
; COMPUTE_PGM_RSRC2:TIDIG_COMP_CNT: 0
; COMPUTE_PGM_RSRC3_GFX90A:ACCUM_OFFSET: 0
; COMPUTE_PGM_RSRC3_GFX90A:TG_SPLIT: 0
	.section	.text._ZN7rocprim17ROCPRIM_400000_NS6detail17trampoline_kernelINS0_14default_configENS1_38merge_sort_block_merge_config_selectorIlNS0_10empty_typeEEEZZNS1_27merge_sort_block_merge_implIS3_PlPS5_mZN2at6native12_GLOBAL__N_124unique_dim_cuda_templateIaEESt5tupleIJNSA_6TensorESF_SF_EERKSF_lbbbEUlllE_EE10hipError_tT0_T1_T2_jT3_P12ihipStream_tbPNSt15iterator_traitsISL_E10value_typeEPNSR_ISM_E10value_typeEPSN_NS1_7vsmem_tEENKUlT_SL_SM_SN_E_clIS8_S8_S9_S9_EESK_S10_SL_SM_SN_EUlS10_E_NS1_11comp_targetILNS1_3genE9ELNS1_11target_archE1100ELNS1_3gpuE3ELNS1_3repE0EEENS1_48merge_mergepath_partition_config_static_selectorELNS0_4arch9wavefront6targetE1EEEvSM_,"axG",@progbits,_ZN7rocprim17ROCPRIM_400000_NS6detail17trampoline_kernelINS0_14default_configENS1_38merge_sort_block_merge_config_selectorIlNS0_10empty_typeEEEZZNS1_27merge_sort_block_merge_implIS3_PlPS5_mZN2at6native12_GLOBAL__N_124unique_dim_cuda_templateIaEESt5tupleIJNSA_6TensorESF_SF_EERKSF_lbbbEUlllE_EE10hipError_tT0_T1_T2_jT3_P12ihipStream_tbPNSt15iterator_traitsISL_E10value_typeEPNSR_ISM_E10value_typeEPSN_NS1_7vsmem_tEENKUlT_SL_SM_SN_E_clIS8_S8_S9_S9_EESK_S10_SL_SM_SN_EUlS10_E_NS1_11comp_targetILNS1_3genE9ELNS1_11target_archE1100ELNS1_3gpuE3ELNS1_3repE0EEENS1_48merge_mergepath_partition_config_static_selectorELNS0_4arch9wavefront6targetE1EEEvSM_,comdat
	.globl	_ZN7rocprim17ROCPRIM_400000_NS6detail17trampoline_kernelINS0_14default_configENS1_38merge_sort_block_merge_config_selectorIlNS0_10empty_typeEEEZZNS1_27merge_sort_block_merge_implIS3_PlPS5_mZN2at6native12_GLOBAL__N_124unique_dim_cuda_templateIaEESt5tupleIJNSA_6TensorESF_SF_EERKSF_lbbbEUlllE_EE10hipError_tT0_T1_T2_jT3_P12ihipStream_tbPNSt15iterator_traitsISL_E10value_typeEPNSR_ISM_E10value_typeEPSN_NS1_7vsmem_tEENKUlT_SL_SM_SN_E_clIS8_S8_S9_S9_EESK_S10_SL_SM_SN_EUlS10_E_NS1_11comp_targetILNS1_3genE9ELNS1_11target_archE1100ELNS1_3gpuE3ELNS1_3repE0EEENS1_48merge_mergepath_partition_config_static_selectorELNS0_4arch9wavefront6targetE1EEEvSM_ ; -- Begin function _ZN7rocprim17ROCPRIM_400000_NS6detail17trampoline_kernelINS0_14default_configENS1_38merge_sort_block_merge_config_selectorIlNS0_10empty_typeEEEZZNS1_27merge_sort_block_merge_implIS3_PlPS5_mZN2at6native12_GLOBAL__N_124unique_dim_cuda_templateIaEESt5tupleIJNSA_6TensorESF_SF_EERKSF_lbbbEUlllE_EE10hipError_tT0_T1_T2_jT3_P12ihipStream_tbPNSt15iterator_traitsISL_E10value_typeEPNSR_ISM_E10value_typeEPSN_NS1_7vsmem_tEENKUlT_SL_SM_SN_E_clIS8_S8_S9_S9_EESK_S10_SL_SM_SN_EUlS10_E_NS1_11comp_targetILNS1_3genE9ELNS1_11target_archE1100ELNS1_3gpuE3ELNS1_3repE0EEENS1_48merge_mergepath_partition_config_static_selectorELNS0_4arch9wavefront6targetE1EEEvSM_
	.p2align	8
	.type	_ZN7rocprim17ROCPRIM_400000_NS6detail17trampoline_kernelINS0_14default_configENS1_38merge_sort_block_merge_config_selectorIlNS0_10empty_typeEEEZZNS1_27merge_sort_block_merge_implIS3_PlPS5_mZN2at6native12_GLOBAL__N_124unique_dim_cuda_templateIaEESt5tupleIJNSA_6TensorESF_SF_EERKSF_lbbbEUlllE_EE10hipError_tT0_T1_T2_jT3_P12ihipStream_tbPNSt15iterator_traitsISL_E10value_typeEPNSR_ISM_E10value_typeEPSN_NS1_7vsmem_tEENKUlT_SL_SM_SN_E_clIS8_S8_S9_S9_EESK_S10_SL_SM_SN_EUlS10_E_NS1_11comp_targetILNS1_3genE9ELNS1_11target_archE1100ELNS1_3gpuE3ELNS1_3repE0EEENS1_48merge_mergepath_partition_config_static_selectorELNS0_4arch9wavefront6targetE1EEEvSM_,@function
_ZN7rocprim17ROCPRIM_400000_NS6detail17trampoline_kernelINS0_14default_configENS1_38merge_sort_block_merge_config_selectorIlNS0_10empty_typeEEEZZNS1_27merge_sort_block_merge_implIS3_PlPS5_mZN2at6native12_GLOBAL__N_124unique_dim_cuda_templateIaEESt5tupleIJNSA_6TensorESF_SF_EERKSF_lbbbEUlllE_EE10hipError_tT0_T1_T2_jT3_P12ihipStream_tbPNSt15iterator_traitsISL_E10value_typeEPNSR_ISM_E10value_typeEPSN_NS1_7vsmem_tEENKUlT_SL_SM_SN_E_clIS8_S8_S9_S9_EESK_S10_SL_SM_SN_EUlS10_E_NS1_11comp_targetILNS1_3genE9ELNS1_11target_archE1100ELNS1_3gpuE3ELNS1_3repE0EEENS1_48merge_mergepath_partition_config_static_selectorELNS0_4arch9wavefront6targetE1EEEvSM_: ; @_ZN7rocprim17ROCPRIM_400000_NS6detail17trampoline_kernelINS0_14default_configENS1_38merge_sort_block_merge_config_selectorIlNS0_10empty_typeEEEZZNS1_27merge_sort_block_merge_implIS3_PlPS5_mZN2at6native12_GLOBAL__N_124unique_dim_cuda_templateIaEESt5tupleIJNSA_6TensorESF_SF_EERKSF_lbbbEUlllE_EE10hipError_tT0_T1_T2_jT3_P12ihipStream_tbPNSt15iterator_traitsISL_E10value_typeEPNSR_ISM_E10value_typeEPSN_NS1_7vsmem_tEENKUlT_SL_SM_SN_E_clIS8_S8_S9_S9_EESK_S10_SL_SM_SN_EUlS10_E_NS1_11comp_targetILNS1_3genE9ELNS1_11target_archE1100ELNS1_3gpuE3ELNS1_3repE0EEENS1_48merge_mergepath_partition_config_static_selectorELNS0_4arch9wavefront6targetE1EEEvSM_
; %bb.0:
	.section	.rodata,"a",@progbits
	.p2align	6, 0x0
	.amdhsa_kernel _ZN7rocprim17ROCPRIM_400000_NS6detail17trampoline_kernelINS0_14default_configENS1_38merge_sort_block_merge_config_selectorIlNS0_10empty_typeEEEZZNS1_27merge_sort_block_merge_implIS3_PlPS5_mZN2at6native12_GLOBAL__N_124unique_dim_cuda_templateIaEESt5tupleIJNSA_6TensorESF_SF_EERKSF_lbbbEUlllE_EE10hipError_tT0_T1_T2_jT3_P12ihipStream_tbPNSt15iterator_traitsISL_E10value_typeEPNSR_ISM_E10value_typeEPSN_NS1_7vsmem_tEENKUlT_SL_SM_SN_E_clIS8_S8_S9_S9_EESK_S10_SL_SM_SN_EUlS10_E_NS1_11comp_targetILNS1_3genE9ELNS1_11target_archE1100ELNS1_3gpuE3ELNS1_3repE0EEENS1_48merge_mergepath_partition_config_static_selectorELNS0_4arch9wavefront6targetE1EEEvSM_
		.amdhsa_group_segment_fixed_size 0
		.amdhsa_private_segment_fixed_size 0
		.amdhsa_kernarg_size 56
		.amdhsa_user_sgpr_count 2
		.amdhsa_user_sgpr_dispatch_ptr 0
		.amdhsa_user_sgpr_queue_ptr 0
		.amdhsa_user_sgpr_kernarg_segment_ptr 1
		.amdhsa_user_sgpr_dispatch_id 0
		.amdhsa_user_sgpr_kernarg_preload_length 0
		.amdhsa_user_sgpr_kernarg_preload_offset 0
		.amdhsa_user_sgpr_private_segment_size 0
		.amdhsa_uses_dynamic_stack 0
		.amdhsa_enable_private_segment 0
		.amdhsa_system_sgpr_workgroup_id_x 1
		.amdhsa_system_sgpr_workgroup_id_y 0
		.amdhsa_system_sgpr_workgroup_id_z 0
		.amdhsa_system_sgpr_workgroup_info 0
		.amdhsa_system_vgpr_workitem_id 0
		.amdhsa_next_free_vgpr 1
		.amdhsa_next_free_sgpr 0
		.amdhsa_accum_offset 4
		.amdhsa_reserve_vcc 0
		.amdhsa_float_round_mode_32 0
		.amdhsa_float_round_mode_16_64 0
		.amdhsa_float_denorm_mode_32 3
		.amdhsa_float_denorm_mode_16_64 3
		.amdhsa_dx10_clamp 1
		.amdhsa_ieee_mode 1
		.amdhsa_fp16_overflow 0
		.amdhsa_tg_split 0
		.amdhsa_exception_fp_ieee_invalid_op 0
		.amdhsa_exception_fp_denorm_src 0
		.amdhsa_exception_fp_ieee_div_zero 0
		.amdhsa_exception_fp_ieee_overflow 0
		.amdhsa_exception_fp_ieee_underflow 0
		.amdhsa_exception_fp_ieee_inexact 0
		.amdhsa_exception_int_div_zero 0
	.end_amdhsa_kernel
	.section	.text._ZN7rocprim17ROCPRIM_400000_NS6detail17trampoline_kernelINS0_14default_configENS1_38merge_sort_block_merge_config_selectorIlNS0_10empty_typeEEEZZNS1_27merge_sort_block_merge_implIS3_PlPS5_mZN2at6native12_GLOBAL__N_124unique_dim_cuda_templateIaEESt5tupleIJNSA_6TensorESF_SF_EERKSF_lbbbEUlllE_EE10hipError_tT0_T1_T2_jT3_P12ihipStream_tbPNSt15iterator_traitsISL_E10value_typeEPNSR_ISM_E10value_typeEPSN_NS1_7vsmem_tEENKUlT_SL_SM_SN_E_clIS8_S8_S9_S9_EESK_S10_SL_SM_SN_EUlS10_E_NS1_11comp_targetILNS1_3genE9ELNS1_11target_archE1100ELNS1_3gpuE3ELNS1_3repE0EEENS1_48merge_mergepath_partition_config_static_selectorELNS0_4arch9wavefront6targetE1EEEvSM_,"axG",@progbits,_ZN7rocprim17ROCPRIM_400000_NS6detail17trampoline_kernelINS0_14default_configENS1_38merge_sort_block_merge_config_selectorIlNS0_10empty_typeEEEZZNS1_27merge_sort_block_merge_implIS3_PlPS5_mZN2at6native12_GLOBAL__N_124unique_dim_cuda_templateIaEESt5tupleIJNSA_6TensorESF_SF_EERKSF_lbbbEUlllE_EE10hipError_tT0_T1_T2_jT3_P12ihipStream_tbPNSt15iterator_traitsISL_E10value_typeEPNSR_ISM_E10value_typeEPSN_NS1_7vsmem_tEENKUlT_SL_SM_SN_E_clIS8_S8_S9_S9_EESK_S10_SL_SM_SN_EUlS10_E_NS1_11comp_targetILNS1_3genE9ELNS1_11target_archE1100ELNS1_3gpuE3ELNS1_3repE0EEENS1_48merge_mergepath_partition_config_static_selectorELNS0_4arch9wavefront6targetE1EEEvSM_,comdat
.Lfunc_end276:
	.size	_ZN7rocprim17ROCPRIM_400000_NS6detail17trampoline_kernelINS0_14default_configENS1_38merge_sort_block_merge_config_selectorIlNS0_10empty_typeEEEZZNS1_27merge_sort_block_merge_implIS3_PlPS5_mZN2at6native12_GLOBAL__N_124unique_dim_cuda_templateIaEESt5tupleIJNSA_6TensorESF_SF_EERKSF_lbbbEUlllE_EE10hipError_tT0_T1_T2_jT3_P12ihipStream_tbPNSt15iterator_traitsISL_E10value_typeEPNSR_ISM_E10value_typeEPSN_NS1_7vsmem_tEENKUlT_SL_SM_SN_E_clIS8_S8_S9_S9_EESK_S10_SL_SM_SN_EUlS10_E_NS1_11comp_targetILNS1_3genE9ELNS1_11target_archE1100ELNS1_3gpuE3ELNS1_3repE0EEENS1_48merge_mergepath_partition_config_static_selectorELNS0_4arch9wavefront6targetE1EEEvSM_, .Lfunc_end276-_ZN7rocprim17ROCPRIM_400000_NS6detail17trampoline_kernelINS0_14default_configENS1_38merge_sort_block_merge_config_selectorIlNS0_10empty_typeEEEZZNS1_27merge_sort_block_merge_implIS3_PlPS5_mZN2at6native12_GLOBAL__N_124unique_dim_cuda_templateIaEESt5tupleIJNSA_6TensorESF_SF_EERKSF_lbbbEUlllE_EE10hipError_tT0_T1_T2_jT3_P12ihipStream_tbPNSt15iterator_traitsISL_E10value_typeEPNSR_ISM_E10value_typeEPSN_NS1_7vsmem_tEENKUlT_SL_SM_SN_E_clIS8_S8_S9_S9_EESK_S10_SL_SM_SN_EUlS10_E_NS1_11comp_targetILNS1_3genE9ELNS1_11target_archE1100ELNS1_3gpuE3ELNS1_3repE0EEENS1_48merge_mergepath_partition_config_static_selectorELNS0_4arch9wavefront6targetE1EEEvSM_
                                        ; -- End function
	.set _ZN7rocprim17ROCPRIM_400000_NS6detail17trampoline_kernelINS0_14default_configENS1_38merge_sort_block_merge_config_selectorIlNS0_10empty_typeEEEZZNS1_27merge_sort_block_merge_implIS3_PlPS5_mZN2at6native12_GLOBAL__N_124unique_dim_cuda_templateIaEESt5tupleIJNSA_6TensorESF_SF_EERKSF_lbbbEUlllE_EE10hipError_tT0_T1_T2_jT3_P12ihipStream_tbPNSt15iterator_traitsISL_E10value_typeEPNSR_ISM_E10value_typeEPSN_NS1_7vsmem_tEENKUlT_SL_SM_SN_E_clIS8_S8_S9_S9_EESK_S10_SL_SM_SN_EUlS10_E_NS1_11comp_targetILNS1_3genE9ELNS1_11target_archE1100ELNS1_3gpuE3ELNS1_3repE0EEENS1_48merge_mergepath_partition_config_static_selectorELNS0_4arch9wavefront6targetE1EEEvSM_.num_vgpr, 0
	.set _ZN7rocprim17ROCPRIM_400000_NS6detail17trampoline_kernelINS0_14default_configENS1_38merge_sort_block_merge_config_selectorIlNS0_10empty_typeEEEZZNS1_27merge_sort_block_merge_implIS3_PlPS5_mZN2at6native12_GLOBAL__N_124unique_dim_cuda_templateIaEESt5tupleIJNSA_6TensorESF_SF_EERKSF_lbbbEUlllE_EE10hipError_tT0_T1_T2_jT3_P12ihipStream_tbPNSt15iterator_traitsISL_E10value_typeEPNSR_ISM_E10value_typeEPSN_NS1_7vsmem_tEENKUlT_SL_SM_SN_E_clIS8_S8_S9_S9_EESK_S10_SL_SM_SN_EUlS10_E_NS1_11comp_targetILNS1_3genE9ELNS1_11target_archE1100ELNS1_3gpuE3ELNS1_3repE0EEENS1_48merge_mergepath_partition_config_static_selectorELNS0_4arch9wavefront6targetE1EEEvSM_.num_agpr, 0
	.set _ZN7rocprim17ROCPRIM_400000_NS6detail17trampoline_kernelINS0_14default_configENS1_38merge_sort_block_merge_config_selectorIlNS0_10empty_typeEEEZZNS1_27merge_sort_block_merge_implIS3_PlPS5_mZN2at6native12_GLOBAL__N_124unique_dim_cuda_templateIaEESt5tupleIJNSA_6TensorESF_SF_EERKSF_lbbbEUlllE_EE10hipError_tT0_T1_T2_jT3_P12ihipStream_tbPNSt15iterator_traitsISL_E10value_typeEPNSR_ISM_E10value_typeEPSN_NS1_7vsmem_tEENKUlT_SL_SM_SN_E_clIS8_S8_S9_S9_EESK_S10_SL_SM_SN_EUlS10_E_NS1_11comp_targetILNS1_3genE9ELNS1_11target_archE1100ELNS1_3gpuE3ELNS1_3repE0EEENS1_48merge_mergepath_partition_config_static_selectorELNS0_4arch9wavefront6targetE1EEEvSM_.numbered_sgpr, 0
	.set _ZN7rocprim17ROCPRIM_400000_NS6detail17trampoline_kernelINS0_14default_configENS1_38merge_sort_block_merge_config_selectorIlNS0_10empty_typeEEEZZNS1_27merge_sort_block_merge_implIS3_PlPS5_mZN2at6native12_GLOBAL__N_124unique_dim_cuda_templateIaEESt5tupleIJNSA_6TensorESF_SF_EERKSF_lbbbEUlllE_EE10hipError_tT0_T1_T2_jT3_P12ihipStream_tbPNSt15iterator_traitsISL_E10value_typeEPNSR_ISM_E10value_typeEPSN_NS1_7vsmem_tEENKUlT_SL_SM_SN_E_clIS8_S8_S9_S9_EESK_S10_SL_SM_SN_EUlS10_E_NS1_11comp_targetILNS1_3genE9ELNS1_11target_archE1100ELNS1_3gpuE3ELNS1_3repE0EEENS1_48merge_mergepath_partition_config_static_selectorELNS0_4arch9wavefront6targetE1EEEvSM_.num_named_barrier, 0
	.set _ZN7rocprim17ROCPRIM_400000_NS6detail17trampoline_kernelINS0_14default_configENS1_38merge_sort_block_merge_config_selectorIlNS0_10empty_typeEEEZZNS1_27merge_sort_block_merge_implIS3_PlPS5_mZN2at6native12_GLOBAL__N_124unique_dim_cuda_templateIaEESt5tupleIJNSA_6TensorESF_SF_EERKSF_lbbbEUlllE_EE10hipError_tT0_T1_T2_jT3_P12ihipStream_tbPNSt15iterator_traitsISL_E10value_typeEPNSR_ISM_E10value_typeEPSN_NS1_7vsmem_tEENKUlT_SL_SM_SN_E_clIS8_S8_S9_S9_EESK_S10_SL_SM_SN_EUlS10_E_NS1_11comp_targetILNS1_3genE9ELNS1_11target_archE1100ELNS1_3gpuE3ELNS1_3repE0EEENS1_48merge_mergepath_partition_config_static_selectorELNS0_4arch9wavefront6targetE1EEEvSM_.private_seg_size, 0
	.set _ZN7rocprim17ROCPRIM_400000_NS6detail17trampoline_kernelINS0_14default_configENS1_38merge_sort_block_merge_config_selectorIlNS0_10empty_typeEEEZZNS1_27merge_sort_block_merge_implIS3_PlPS5_mZN2at6native12_GLOBAL__N_124unique_dim_cuda_templateIaEESt5tupleIJNSA_6TensorESF_SF_EERKSF_lbbbEUlllE_EE10hipError_tT0_T1_T2_jT3_P12ihipStream_tbPNSt15iterator_traitsISL_E10value_typeEPNSR_ISM_E10value_typeEPSN_NS1_7vsmem_tEENKUlT_SL_SM_SN_E_clIS8_S8_S9_S9_EESK_S10_SL_SM_SN_EUlS10_E_NS1_11comp_targetILNS1_3genE9ELNS1_11target_archE1100ELNS1_3gpuE3ELNS1_3repE0EEENS1_48merge_mergepath_partition_config_static_selectorELNS0_4arch9wavefront6targetE1EEEvSM_.uses_vcc, 0
	.set _ZN7rocprim17ROCPRIM_400000_NS6detail17trampoline_kernelINS0_14default_configENS1_38merge_sort_block_merge_config_selectorIlNS0_10empty_typeEEEZZNS1_27merge_sort_block_merge_implIS3_PlPS5_mZN2at6native12_GLOBAL__N_124unique_dim_cuda_templateIaEESt5tupleIJNSA_6TensorESF_SF_EERKSF_lbbbEUlllE_EE10hipError_tT0_T1_T2_jT3_P12ihipStream_tbPNSt15iterator_traitsISL_E10value_typeEPNSR_ISM_E10value_typeEPSN_NS1_7vsmem_tEENKUlT_SL_SM_SN_E_clIS8_S8_S9_S9_EESK_S10_SL_SM_SN_EUlS10_E_NS1_11comp_targetILNS1_3genE9ELNS1_11target_archE1100ELNS1_3gpuE3ELNS1_3repE0EEENS1_48merge_mergepath_partition_config_static_selectorELNS0_4arch9wavefront6targetE1EEEvSM_.uses_flat_scratch, 0
	.set _ZN7rocprim17ROCPRIM_400000_NS6detail17trampoline_kernelINS0_14default_configENS1_38merge_sort_block_merge_config_selectorIlNS0_10empty_typeEEEZZNS1_27merge_sort_block_merge_implIS3_PlPS5_mZN2at6native12_GLOBAL__N_124unique_dim_cuda_templateIaEESt5tupleIJNSA_6TensorESF_SF_EERKSF_lbbbEUlllE_EE10hipError_tT0_T1_T2_jT3_P12ihipStream_tbPNSt15iterator_traitsISL_E10value_typeEPNSR_ISM_E10value_typeEPSN_NS1_7vsmem_tEENKUlT_SL_SM_SN_E_clIS8_S8_S9_S9_EESK_S10_SL_SM_SN_EUlS10_E_NS1_11comp_targetILNS1_3genE9ELNS1_11target_archE1100ELNS1_3gpuE3ELNS1_3repE0EEENS1_48merge_mergepath_partition_config_static_selectorELNS0_4arch9wavefront6targetE1EEEvSM_.has_dyn_sized_stack, 0
	.set _ZN7rocprim17ROCPRIM_400000_NS6detail17trampoline_kernelINS0_14default_configENS1_38merge_sort_block_merge_config_selectorIlNS0_10empty_typeEEEZZNS1_27merge_sort_block_merge_implIS3_PlPS5_mZN2at6native12_GLOBAL__N_124unique_dim_cuda_templateIaEESt5tupleIJNSA_6TensorESF_SF_EERKSF_lbbbEUlllE_EE10hipError_tT0_T1_T2_jT3_P12ihipStream_tbPNSt15iterator_traitsISL_E10value_typeEPNSR_ISM_E10value_typeEPSN_NS1_7vsmem_tEENKUlT_SL_SM_SN_E_clIS8_S8_S9_S9_EESK_S10_SL_SM_SN_EUlS10_E_NS1_11comp_targetILNS1_3genE9ELNS1_11target_archE1100ELNS1_3gpuE3ELNS1_3repE0EEENS1_48merge_mergepath_partition_config_static_selectorELNS0_4arch9wavefront6targetE1EEEvSM_.has_recursion, 0
	.set _ZN7rocprim17ROCPRIM_400000_NS6detail17trampoline_kernelINS0_14default_configENS1_38merge_sort_block_merge_config_selectorIlNS0_10empty_typeEEEZZNS1_27merge_sort_block_merge_implIS3_PlPS5_mZN2at6native12_GLOBAL__N_124unique_dim_cuda_templateIaEESt5tupleIJNSA_6TensorESF_SF_EERKSF_lbbbEUlllE_EE10hipError_tT0_T1_T2_jT3_P12ihipStream_tbPNSt15iterator_traitsISL_E10value_typeEPNSR_ISM_E10value_typeEPSN_NS1_7vsmem_tEENKUlT_SL_SM_SN_E_clIS8_S8_S9_S9_EESK_S10_SL_SM_SN_EUlS10_E_NS1_11comp_targetILNS1_3genE9ELNS1_11target_archE1100ELNS1_3gpuE3ELNS1_3repE0EEENS1_48merge_mergepath_partition_config_static_selectorELNS0_4arch9wavefront6targetE1EEEvSM_.has_indirect_call, 0
	.section	.AMDGPU.csdata,"",@progbits
; Kernel info:
; codeLenInByte = 0
; TotalNumSgprs: 6
; NumVgprs: 0
; NumAgprs: 0
; TotalNumVgprs: 0
; ScratchSize: 0
; MemoryBound: 0
; FloatMode: 240
; IeeeMode: 1
; LDSByteSize: 0 bytes/workgroup (compile time only)
; SGPRBlocks: 0
; VGPRBlocks: 0
; NumSGPRsForWavesPerEU: 6
; NumVGPRsForWavesPerEU: 1
; AccumOffset: 4
; Occupancy: 8
; WaveLimiterHint : 0
; COMPUTE_PGM_RSRC2:SCRATCH_EN: 0
; COMPUTE_PGM_RSRC2:USER_SGPR: 2
; COMPUTE_PGM_RSRC2:TRAP_HANDLER: 0
; COMPUTE_PGM_RSRC2:TGID_X_EN: 1
; COMPUTE_PGM_RSRC2:TGID_Y_EN: 0
; COMPUTE_PGM_RSRC2:TGID_Z_EN: 0
; COMPUTE_PGM_RSRC2:TIDIG_COMP_CNT: 0
; COMPUTE_PGM_RSRC3_GFX90A:ACCUM_OFFSET: 0
; COMPUTE_PGM_RSRC3_GFX90A:TG_SPLIT: 0
	.section	.text._ZN7rocprim17ROCPRIM_400000_NS6detail17trampoline_kernelINS0_14default_configENS1_38merge_sort_block_merge_config_selectorIlNS0_10empty_typeEEEZZNS1_27merge_sort_block_merge_implIS3_PlPS5_mZN2at6native12_GLOBAL__N_124unique_dim_cuda_templateIaEESt5tupleIJNSA_6TensorESF_SF_EERKSF_lbbbEUlllE_EE10hipError_tT0_T1_T2_jT3_P12ihipStream_tbPNSt15iterator_traitsISL_E10value_typeEPNSR_ISM_E10value_typeEPSN_NS1_7vsmem_tEENKUlT_SL_SM_SN_E_clIS8_S8_S9_S9_EESK_S10_SL_SM_SN_EUlS10_E_NS1_11comp_targetILNS1_3genE8ELNS1_11target_archE1030ELNS1_3gpuE2ELNS1_3repE0EEENS1_48merge_mergepath_partition_config_static_selectorELNS0_4arch9wavefront6targetE1EEEvSM_,"axG",@progbits,_ZN7rocprim17ROCPRIM_400000_NS6detail17trampoline_kernelINS0_14default_configENS1_38merge_sort_block_merge_config_selectorIlNS0_10empty_typeEEEZZNS1_27merge_sort_block_merge_implIS3_PlPS5_mZN2at6native12_GLOBAL__N_124unique_dim_cuda_templateIaEESt5tupleIJNSA_6TensorESF_SF_EERKSF_lbbbEUlllE_EE10hipError_tT0_T1_T2_jT3_P12ihipStream_tbPNSt15iterator_traitsISL_E10value_typeEPNSR_ISM_E10value_typeEPSN_NS1_7vsmem_tEENKUlT_SL_SM_SN_E_clIS8_S8_S9_S9_EESK_S10_SL_SM_SN_EUlS10_E_NS1_11comp_targetILNS1_3genE8ELNS1_11target_archE1030ELNS1_3gpuE2ELNS1_3repE0EEENS1_48merge_mergepath_partition_config_static_selectorELNS0_4arch9wavefront6targetE1EEEvSM_,comdat
	.globl	_ZN7rocprim17ROCPRIM_400000_NS6detail17trampoline_kernelINS0_14default_configENS1_38merge_sort_block_merge_config_selectorIlNS0_10empty_typeEEEZZNS1_27merge_sort_block_merge_implIS3_PlPS5_mZN2at6native12_GLOBAL__N_124unique_dim_cuda_templateIaEESt5tupleIJNSA_6TensorESF_SF_EERKSF_lbbbEUlllE_EE10hipError_tT0_T1_T2_jT3_P12ihipStream_tbPNSt15iterator_traitsISL_E10value_typeEPNSR_ISM_E10value_typeEPSN_NS1_7vsmem_tEENKUlT_SL_SM_SN_E_clIS8_S8_S9_S9_EESK_S10_SL_SM_SN_EUlS10_E_NS1_11comp_targetILNS1_3genE8ELNS1_11target_archE1030ELNS1_3gpuE2ELNS1_3repE0EEENS1_48merge_mergepath_partition_config_static_selectorELNS0_4arch9wavefront6targetE1EEEvSM_ ; -- Begin function _ZN7rocprim17ROCPRIM_400000_NS6detail17trampoline_kernelINS0_14default_configENS1_38merge_sort_block_merge_config_selectorIlNS0_10empty_typeEEEZZNS1_27merge_sort_block_merge_implIS3_PlPS5_mZN2at6native12_GLOBAL__N_124unique_dim_cuda_templateIaEESt5tupleIJNSA_6TensorESF_SF_EERKSF_lbbbEUlllE_EE10hipError_tT0_T1_T2_jT3_P12ihipStream_tbPNSt15iterator_traitsISL_E10value_typeEPNSR_ISM_E10value_typeEPSN_NS1_7vsmem_tEENKUlT_SL_SM_SN_E_clIS8_S8_S9_S9_EESK_S10_SL_SM_SN_EUlS10_E_NS1_11comp_targetILNS1_3genE8ELNS1_11target_archE1030ELNS1_3gpuE2ELNS1_3repE0EEENS1_48merge_mergepath_partition_config_static_selectorELNS0_4arch9wavefront6targetE1EEEvSM_
	.p2align	8
	.type	_ZN7rocprim17ROCPRIM_400000_NS6detail17trampoline_kernelINS0_14default_configENS1_38merge_sort_block_merge_config_selectorIlNS0_10empty_typeEEEZZNS1_27merge_sort_block_merge_implIS3_PlPS5_mZN2at6native12_GLOBAL__N_124unique_dim_cuda_templateIaEESt5tupleIJNSA_6TensorESF_SF_EERKSF_lbbbEUlllE_EE10hipError_tT0_T1_T2_jT3_P12ihipStream_tbPNSt15iterator_traitsISL_E10value_typeEPNSR_ISM_E10value_typeEPSN_NS1_7vsmem_tEENKUlT_SL_SM_SN_E_clIS8_S8_S9_S9_EESK_S10_SL_SM_SN_EUlS10_E_NS1_11comp_targetILNS1_3genE8ELNS1_11target_archE1030ELNS1_3gpuE2ELNS1_3repE0EEENS1_48merge_mergepath_partition_config_static_selectorELNS0_4arch9wavefront6targetE1EEEvSM_,@function
_ZN7rocprim17ROCPRIM_400000_NS6detail17trampoline_kernelINS0_14default_configENS1_38merge_sort_block_merge_config_selectorIlNS0_10empty_typeEEEZZNS1_27merge_sort_block_merge_implIS3_PlPS5_mZN2at6native12_GLOBAL__N_124unique_dim_cuda_templateIaEESt5tupleIJNSA_6TensorESF_SF_EERKSF_lbbbEUlllE_EE10hipError_tT0_T1_T2_jT3_P12ihipStream_tbPNSt15iterator_traitsISL_E10value_typeEPNSR_ISM_E10value_typeEPSN_NS1_7vsmem_tEENKUlT_SL_SM_SN_E_clIS8_S8_S9_S9_EESK_S10_SL_SM_SN_EUlS10_E_NS1_11comp_targetILNS1_3genE8ELNS1_11target_archE1030ELNS1_3gpuE2ELNS1_3repE0EEENS1_48merge_mergepath_partition_config_static_selectorELNS0_4arch9wavefront6targetE1EEEvSM_: ; @_ZN7rocprim17ROCPRIM_400000_NS6detail17trampoline_kernelINS0_14default_configENS1_38merge_sort_block_merge_config_selectorIlNS0_10empty_typeEEEZZNS1_27merge_sort_block_merge_implIS3_PlPS5_mZN2at6native12_GLOBAL__N_124unique_dim_cuda_templateIaEESt5tupleIJNSA_6TensorESF_SF_EERKSF_lbbbEUlllE_EE10hipError_tT0_T1_T2_jT3_P12ihipStream_tbPNSt15iterator_traitsISL_E10value_typeEPNSR_ISM_E10value_typeEPSN_NS1_7vsmem_tEENKUlT_SL_SM_SN_E_clIS8_S8_S9_S9_EESK_S10_SL_SM_SN_EUlS10_E_NS1_11comp_targetILNS1_3genE8ELNS1_11target_archE1030ELNS1_3gpuE2ELNS1_3repE0EEENS1_48merge_mergepath_partition_config_static_selectorELNS0_4arch9wavefront6targetE1EEEvSM_
; %bb.0:
	.section	.rodata,"a",@progbits
	.p2align	6, 0x0
	.amdhsa_kernel _ZN7rocprim17ROCPRIM_400000_NS6detail17trampoline_kernelINS0_14default_configENS1_38merge_sort_block_merge_config_selectorIlNS0_10empty_typeEEEZZNS1_27merge_sort_block_merge_implIS3_PlPS5_mZN2at6native12_GLOBAL__N_124unique_dim_cuda_templateIaEESt5tupleIJNSA_6TensorESF_SF_EERKSF_lbbbEUlllE_EE10hipError_tT0_T1_T2_jT3_P12ihipStream_tbPNSt15iterator_traitsISL_E10value_typeEPNSR_ISM_E10value_typeEPSN_NS1_7vsmem_tEENKUlT_SL_SM_SN_E_clIS8_S8_S9_S9_EESK_S10_SL_SM_SN_EUlS10_E_NS1_11comp_targetILNS1_3genE8ELNS1_11target_archE1030ELNS1_3gpuE2ELNS1_3repE0EEENS1_48merge_mergepath_partition_config_static_selectorELNS0_4arch9wavefront6targetE1EEEvSM_
		.amdhsa_group_segment_fixed_size 0
		.amdhsa_private_segment_fixed_size 0
		.amdhsa_kernarg_size 56
		.amdhsa_user_sgpr_count 2
		.amdhsa_user_sgpr_dispatch_ptr 0
		.amdhsa_user_sgpr_queue_ptr 0
		.amdhsa_user_sgpr_kernarg_segment_ptr 1
		.amdhsa_user_sgpr_dispatch_id 0
		.amdhsa_user_sgpr_kernarg_preload_length 0
		.amdhsa_user_sgpr_kernarg_preload_offset 0
		.amdhsa_user_sgpr_private_segment_size 0
		.amdhsa_uses_dynamic_stack 0
		.amdhsa_enable_private_segment 0
		.amdhsa_system_sgpr_workgroup_id_x 1
		.amdhsa_system_sgpr_workgroup_id_y 0
		.amdhsa_system_sgpr_workgroup_id_z 0
		.amdhsa_system_sgpr_workgroup_info 0
		.amdhsa_system_vgpr_workitem_id 0
		.amdhsa_next_free_vgpr 1
		.amdhsa_next_free_sgpr 0
		.amdhsa_accum_offset 4
		.amdhsa_reserve_vcc 0
		.amdhsa_float_round_mode_32 0
		.amdhsa_float_round_mode_16_64 0
		.amdhsa_float_denorm_mode_32 3
		.amdhsa_float_denorm_mode_16_64 3
		.amdhsa_dx10_clamp 1
		.amdhsa_ieee_mode 1
		.amdhsa_fp16_overflow 0
		.amdhsa_tg_split 0
		.amdhsa_exception_fp_ieee_invalid_op 0
		.amdhsa_exception_fp_denorm_src 0
		.amdhsa_exception_fp_ieee_div_zero 0
		.amdhsa_exception_fp_ieee_overflow 0
		.amdhsa_exception_fp_ieee_underflow 0
		.amdhsa_exception_fp_ieee_inexact 0
		.amdhsa_exception_int_div_zero 0
	.end_amdhsa_kernel
	.section	.text._ZN7rocprim17ROCPRIM_400000_NS6detail17trampoline_kernelINS0_14default_configENS1_38merge_sort_block_merge_config_selectorIlNS0_10empty_typeEEEZZNS1_27merge_sort_block_merge_implIS3_PlPS5_mZN2at6native12_GLOBAL__N_124unique_dim_cuda_templateIaEESt5tupleIJNSA_6TensorESF_SF_EERKSF_lbbbEUlllE_EE10hipError_tT0_T1_T2_jT3_P12ihipStream_tbPNSt15iterator_traitsISL_E10value_typeEPNSR_ISM_E10value_typeEPSN_NS1_7vsmem_tEENKUlT_SL_SM_SN_E_clIS8_S8_S9_S9_EESK_S10_SL_SM_SN_EUlS10_E_NS1_11comp_targetILNS1_3genE8ELNS1_11target_archE1030ELNS1_3gpuE2ELNS1_3repE0EEENS1_48merge_mergepath_partition_config_static_selectorELNS0_4arch9wavefront6targetE1EEEvSM_,"axG",@progbits,_ZN7rocprim17ROCPRIM_400000_NS6detail17trampoline_kernelINS0_14default_configENS1_38merge_sort_block_merge_config_selectorIlNS0_10empty_typeEEEZZNS1_27merge_sort_block_merge_implIS3_PlPS5_mZN2at6native12_GLOBAL__N_124unique_dim_cuda_templateIaEESt5tupleIJNSA_6TensorESF_SF_EERKSF_lbbbEUlllE_EE10hipError_tT0_T1_T2_jT3_P12ihipStream_tbPNSt15iterator_traitsISL_E10value_typeEPNSR_ISM_E10value_typeEPSN_NS1_7vsmem_tEENKUlT_SL_SM_SN_E_clIS8_S8_S9_S9_EESK_S10_SL_SM_SN_EUlS10_E_NS1_11comp_targetILNS1_3genE8ELNS1_11target_archE1030ELNS1_3gpuE2ELNS1_3repE0EEENS1_48merge_mergepath_partition_config_static_selectorELNS0_4arch9wavefront6targetE1EEEvSM_,comdat
.Lfunc_end277:
	.size	_ZN7rocprim17ROCPRIM_400000_NS6detail17trampoline_kernelINS0_14default_configENS1_38merge_sort_block_merge_config_selectorIlNS0_10empty_typeEEEZZNS1_27merge_sort_block_merge_implIS3_PlPS5_mZN2at6native12_GLOBAL__N_124unique_dim_cuda_templateIaEESt5tupleIJNSA_6TensorESF_SF_EERKSF_lbbbEUlllE_EE10hipError_tT0_T1_T2_jT3_P12ihipStream_tbPNSt15iterator_traitsISL_E10value_typeEPNSR_ISM_E10value_typeEPSN_NS1_7vsmem_tEENKUlT_SL_SM_SN_E_clIS8_S8_S9_S9_EESK_S10_SL_SM_SN_EUlS10_E_NS1_11comp_targetILNS1_3genE8ELNS1_11target_archE1030ELNS1_3gpuE2ELNS1_3repE0EEENS1_48merge_mergepath_partition_config_static_selectorELNS0_4arch9wavefront6targetE1EEEvSM_, .Lfunc_end277-_ZN7rocprim17ROCPRIM_400000_NS6detail17trampoline_kernelINS0_14default_configENS1_38merge_sort_block_merge_config_selectorIlNS0_10empty_typeEEEZZNS1_27merge_sort_block_merge_implIS3_PlPS5_mZN2at6native12_GLOBAL__N_124unique_dim_cuda_templateIaEESt5tupleIJNSA_6TensorESF_SF_EERKSF_lbbbEUlllE_EE10hipError_tT0_T1_T2_jT3_P12ihipStream_tbPNSt15iterator_traitsISL_E10value_typeEPNSR_ISM_E10value_typeEPSN_NS1_7vsmem_tEENKUlT_SL_SM_SN_E_clIS8_S8_S9_S9_EESK_S10_SL_SM_SN_EUlS10_E_NS1_11comp_targetILNS1_3genE8ELNS1_11target_archE1030ELNS1_3gpuE2ELNS1_3repE0EEENS1_48merge_mergepath_partition_config_static_selectorELNS0_4arch9wavefront6targetE1EEEvSM_
                                        ; -- End function
	.set _ZN7rocprim17ROCPRIM_400000_NS6detail17trampoline_kernelINS0_14default_configENS1_38merge_sort_block_merge_config_selectorIlNS0_10empty_typeEEEZZNS1_27merge_sort_block_merge_implIS3_PlPS5_mZN2at6native12_GLOBAL__N_124unique_dim_cuda_templateIaEESt5tupleIJNSA_6TensorESF_SF_EERKSF_lbbbEUlllE_EE10hipError_tT0_T1_T2_jT3_P12ihipStream_tbPNSt15iterator_traitsISL_E10value_typeEPNSR_ISM_E10value_typeEPSN_NS1_7vsmem_tEENKUlT_SL_SM_SN_E_clIS8_S8_S9_S9_EESK_S10_SL_SM_SN_EUlS10_E_NS1_11comp_targetILNS1_3genE8ELNS1_11target_archE1030ELNS1_3gpuE2ELNS1_3repE0EEENS1_48merge_mergepath_partition_config_static_selectorELNS0_4arch9wavefront6targetE1EEEvSM_.num_vgpr, 0
	.set _ZN7rocprim17ROCPRIM_400000_NS6detail17trampoline_kernelINS0_14default_configENS1_38merge_sort_block_merge_config_selectorIlNS0_10empty_typeEEEZZNS1_27merge_sort_block_merge_implIS3_PlPS5_mZN2at6native12_GLOBAL__N_124unique_dim_cuda_templateIaEESt5tupleIJNSA_6TensorESF_SF_EERKSF_lbbbEUlllE_EE10hipError_tT0_T1_T2_jT3_P12ihipStream_tbPNSt15iterator_traitsISL_E10value_typeEPNSR_ISM_E10value_typeEPSN_NS1_7vsmem_tEENKUlT_SL_SM_SN_E_clIS8_S8_S9_S9_EESK_S10_SL_SM_SN_EUlS10_E_NS1_11comp_targetILNS1_3genE8ELNS1_11target_archE1030ELNS1_3gpuE2ELNS1_3repE0EEENS1_48merge_mergepath_partition_config_static_selectorELNS0_4arch9wavefront6targetE1EEEvSM_.num_agpr, 0
	.set _ZN7rocprim17ROCPRIM_400000_NS6detail17trampoline_kernelINS0_14default_configENS1_38merge_sort_block_merge_config_selectorIlNS0_10empty_typeEEEZZNS1_27merge_sort_block_merge_implIS3_PlPS5_mZN2at6native12_GLOBAL__N_124unique_dim_cuda_templateIaEESt5tupleIJNSA_6TensorESF_SF_EERKSF_lbbbEUlllE_EE10hipError_tT0_T1_T2_jT3_P12ihipStream_tbPNSt15iterator_traitsISL_E10value_typeEPNSR_ISM_E10value_typeEPSN_NS1_7vsmem_tEENKUlT_SL_SM_SN_E_clIS8_S8_S9_S9_EESK_S10_SL_SM_SN_EUlS10_E_NS1_11comp_targetILNS1_3genE8ELNS1_11target_archE1030ELNS1_3gpuE2ELNS1_3repE0EEENS1_48merge_mergepath_partition_config_static_selectorELNS0_4arch9wavefront6targetE1EEEvSM_.numbered_sgpr, 0
	.set _ZN7rocprim17ROCPRIM_400000_NS6detail17trampoline_kernelINS0_14default_configENS1_38merge_sort_block_merge_config_selectorIlNS0_10empty_typeEEEZZNS1_27merge_sort_block_merge_implIS3_PlPS5_mZN2at6native12_GLOBAL__N_124unique_dim_cuda_templateIaEESt5tupleIJNSA_6TensorESF_SF_EERKSF_lbbbEUlllE_EE10hipError_tT0_T1_T2_jT3_P12ihipStream_tbPNSt15iterator_traitsISL_E10value_typeEPNSR_ISM_E10value_typeEPSN_NS1_7vsmem_tEENKUlT_SL_SM_SN_E_clIS8_S8_S9_S9_EESK_S10_SL_SM_SN_EUlS10_E_NS1_11comp_targetILNS1_3genE8ELNS1_11target_archE1030ELNS1_3gpuE2ELNS1_3repE0EEENS1_48merge_mergepath_partition_config_static_selectorELNS0_4arch9wavefront6targetE1EEEvSM_.num_named_barrier, 0
	.set _ZN7rocprim17ROCPRIM_400000_NS6detail17trampoline_kernelINS0_14default_configENS1_38merge_sort_block_merge_config_selectorIlNS0_10empty_typeEEEZZNS1_27merge_sort_block_merge_implIS3_PlPS5_mZN2at6native12_GLOBAL__N_124unique_dim_cuda_templateIaEESt5tupleIJNSA_6TensorESF_SF_EERKSF_lbbbEUlllE_EE10hipError_tT0_T1_T2_jT3_P12ihipStream_tbPNSt15iterator_traitsISL_E10value_typeEPNSR_ISM_E10value_typeEPSN_NS1_7vsmem_tEENKUlT_SL_SM_SN_E_clIS8_S8_S9_S9_EESK_S10_SL_SM_SN_EUlS10_E_NS1_11comp_targetILNS1_3genE8ELNS1_11target_archE1030ELNS1_3gpuE2ELNS1_3repE0EEENS1_48merge_mergepath_partition_config_static_selectorELNS0_4arch9wavefront6targetE1EEEvSM_.private_seg_size, 0
	.set _ZN7rocprim17ROCPRIM_400000_NS6detail17trampoline_kernelINS0_14default_configENS1_38merge_sort_block_merge_config_selectorIlNS0_10empty_typeEEEZZNS1_27merge_sort_block_merge_implIS3_PlPS5_mZN2at6native12_GLOBAL__N_124unique_dim_cuda_templateIaEESt5tupleIJNSA_6TensorESF_SF_EERKSF_lbbbEUlllE_EE10hipError_tT0_T1_T2_jT3_P12ihipStream_tbPNSt15iterator_traitsISL_E10value_typeEPNSR_ISM_E10value_typeEPSN_NS1_7vsmem_tEENKUlT_SL_SM_SN_E_clIS8_S8_S9_S9_EESK_S10_SL_SM_SN_EUlS10_E_NS1_11comp_targetILNS1_3genE8ELNS1_11target_archE1030ELNS1_3gpuE2ELNS1_3repE0EEENS1_48merge_mergepath_partition_config_static_selectorELNS0_4arch9wavefront6targetE1EEEvSM_.uses_vcc, 0
	.set _ZN7rocprim17ROCPRIM_400000_NS6detail17trampoline_kernelINS0_14default_configENS1_38merge_sort_block_merge_config_selectorIlNS0_10empty_typeEEEZZNS1_27merge_sort_block_merge_implIS3_PlPS5_mZN2at6native12_GLOBAL__N_124unique_dim_cuda_templateIaEESt5tupleIJNSA_6TensorESF_SF_EERKSF_lbbbEUlllE_EE10hipError_tT0_T1_T2_jT3_P12ihipStream_tbPNSt15iterator_traitsISL_E10value_typeEPNSR_ISM_E10value_typeEPSN_NS1_7vsmem_tEENKUlT_SL_SM_SN_E_clIS8_S8_S9_S9_EESK_S10_SL_SM_SN_EUlS10_E_NS1_11comp_targetILNS1_3genE8ELNS1_11target_archE1030ELNS1_3gpuE2ELNS1_3repE0EEENS1_48merge_mergepath_partition_config_static_selectorELNS0_4arch9wavefront6targetE1EEEvSM_.uses_flat_scratch, 0
	.set _ZN7rocprim17ROCPRIM_400000_NS6detail17trampoline_kernelINS0_14default_configENS1_38merge_sort_block_merge_config_selectorIlNS0_10empty_typeEEEZZNS1_27merge_sort_block_merge_implIS3_PlPS5_mZN2at6native12_GLOBAL__N_124unique_dim_cuda_templateIaEESt5tupleIJNSA_6TensorESF_SF_EERKSF_lbbbEUlllE_EE10hipError_tT0_T1_T2_jT3_P12ihipStream_tbPNSt15iterator_traitsISL_E10value_typeEPNSR_ISM_E10value_typeEPSN_NS1_7vsmem_tEENKUlT_SL_SM_SN_E_clIS8_S8_S9_S9_EESK_S10_SL_SM_SN_EUlS10_E_NS1_11comp_targetILNS1_3genE8ELNS1_11target_archE1030ELNS1_3gpuE2ELNS1_3repE0EEENS1_48merge_mergepath_partition_config_static_selectorELNS0_4arch9wavefront6targetE1EEEvSM_.has_dyn_sized_stack, 0
	.set _ZN7rocprim17ROCPRIM_400000_NS6detail17trampoline_kernelINS0_14default_configENS1_38merge_sort_block_merge_config_selectorIlNS0_10empty_typeEEEZZNS1_27merge_sort_block_merge_implIS3_PlPS5_mZN2at6native12_GLOBAL__N_124unique_dim_cuda_templateIaEESt5tupleIJNSA_6TensorESF_SF_EERKSF_lbbbEUlllE_EE10hipError_tT0_T1_T2_jT3_P12ihipStream_tbPNSt15iterator_traitsISL_E10value_typeEPNSR_ISM_E10value_typeEPSN_NS1_7vsmem_tEENKUlT_SL_SM_SN_E_clIS8_S8_S9_S9_EESK_S10_SL_SM_SN_EUlS10_E_NS1_11comp_targetILNS1_3genE8ELNS1_11target_archE1030ELNS1_3gpuE2ELNS1_3repE0EEENS1_48merge_mergepath_partition_config_static_selectorELNS0_4arch9wavefront6targetE1EEEvSM_.has_recursion, 0
	.set _ZN7rocprim17ROCPRIM_400000_NS6detail17trampoline_kernelINS0_14default_configENS1_38merge_sort_block_merge_config_selectorIlNS0_10empty_typeEEEZZNS1_27merge_sort_block_merge_implIS3_PlPS5_mZN2at6native12_GLOBAL__N_124unique_dim_cuda_templateIaEESt5tupleIJNSA_6TensorESF_SF_EERKSF_lbbbEUlllE_EE10hipError_tT0_T1_T2_jT3_P12ihipStream_tbPNSt15iterator_traitsISL_E10value_typeEPNSR_ISM_E10value_typeEPSN_NS1_7vsmem_tEENKUlT_SL_SM_SN_E_clIS8_S8_S9_S9_EESK_S10_SL_SM_SN_EUlS10_E_NS1_11comp_targetILNS1_3genE8ELNS1_11target_archE1030ELNS1_3gpuE2ELNS1_3repE0EEENS1_48merge_mergepath_partition_config_static_selectorELNS0_4arch9wavefront6targetE1EEEvSM_.has_indirect_call, 0
	.section	.AMDGPU.csdata,"",@progbits
; Kernel info:
; codeLenInByte = 0
; TotalNumSgprs: 6
; NumVgprs: 0
; NumAgprs: 0
; TotalNumVgprs: 0
; ScratchSize: 0
; MemoryBound: 0
; FloatMode: 240
; IeeeMode: 1
; LDSByteSize: 0 bytes/workgroup (compile time only)
; SGPRBlocks: 0
; VGPRBlocks: 0
; NumSGPRsForWavesPerEU: 6
; NumVGPRsForWavesPerEU: 1
; AccumOffset: 4
; Occupancy: 8
; WaveLimiterHint : 0
; COMPUTE_PGM_RSRC2:SCRATCH_EN: 0
; COMPUTE_PGM_RSRC2:USER_SGPR: 2
; COMPUTE_PGM_RSRC2:TRAP_HANDLER: 0
; COMPUTE_PGM_RSRC2:TGID_X_EN: 1
; COMPUTE_PGM_RSRC2:TGID_Y_EN: 0
; COMPUTE_PGM_RSRC2:TGID_Z_EN: 0
; COMPUTE_PGM_RSRC2:TIDIG_COMP_CNT: 0
; COMPUTE_PGM_RSRC3_GFX90A:ACCUM_OFFSET: 0
; COMPUTE_PGM_RSRC3_GFX90A:TG_SPLIT: 0
	.section	.text._ZN7rocprim17ROCPRIM_400000_NS6detail17trampoline_kernelINS0_14default_configENS1_38merge_sort_block_merge_config_selectorIlNS0_10empty_typeEEEZZNS1_27merge_sort_block_merge_implIS3_PlPS5_mZN2at6native12_GLOBAL__N_124unique_dim_cuda_templateIaEESt5tupleIJNSA_6TensorESF_SF_EERKSF_lbbbEUlllE_EE10hipError_tT0_T1_T2_jT3_P12ihipStream_tbPNSt15iterator_traitsISL_E10value_typeEPNSR_ISM_E10value_typeEPSN_NS1_7vsmem_tEENKUlT_SL_SM_SN_E_clIS8_S8_S9_S9_EESK_S10_SL_SM_SN_EUlS10_E0_NS1_11comp_targetILNS1_3genE0ELNS1_11target_archE4294967295ELNS1_3gpuE0ELNS1_3repE0EEENS1_38merge_mergepath_config_static_selectorELNS0_4arch9wavefront6targetE1EEEvSM_,"axG",@progbits,_ZN7rocprim17ROCPRIM_400000_NS6detail17trampoline_kernelINS0_14default_configENS1_38merge_sort_block_merge_config_selectorIlNS0_10empty_typeEEEZZNS1_27merge_sort_block_merge_implIS3_PlPS5_mZN2at6native12_GLOBAL__N_124unique_dim_cuda_templateIaEESt5tupleIJNSA_6TensorESF_SF_EERKSF_lbbbEUlllE_EE10hipError_tT0_T1_T2_jT3_P12ihipStream_tbPNSt15iterator_traitsISL_E10value_typeEPNSR_ISM_E10value_typeEPSN_NS1_7vsmem_tEENKUlT_SL_SM_SN_E_clIS8_S8_S9_S9_EESK_S10_SL_SM_SN_EUlS10_E0_NS1_11comp_targetILNS1_3genE0ELNS1_11target_archE4294967295ELNS1_3gpuE0ELNS1_3repE0EEENS1_38merge_mergepath_config_static_selectorELNS0_4arch9wavefront6targetE1EEEvSM_,comdat
	.globl	_ZN7rocprim17ROCPRIM_400000_NS6detail17trampoline_kernelINS0_14default_configENS1_38merge_sort_block_merge_config_selectorIlNS0_10empty_typeEEEZZNS1_27merge_sort_block_merge_implIS3_PlPS5_mZN2at6native12_GLOBAL__N_124unique_dim_cuda_templateIaEESt5tupleIJNSA_6TensorESF_SF_EERKSF_lbbbEUlllE_EE10hipError_tT0_T1_T2_jT3_P12ihipStream_tbPNSt15iterator_traitsISL_E10value_typeEPNSR_ISM_E10value_typeEPSN_NS1_7vsmem_tEENKUlT_SL_SM_SN_E_clIS8_S8_S9_S9_EESK_S10_SL_SM_SN_EUlS10_E0_NS1_11comp_targetILNS1_3genE0ELNS1_11target_archE4294967295ELNS1_3gpuE0ELNS1_3repE0EEENS1_38merge_mergepath_config_static_selectorELNS0_4arch9wavefront6targetE1EEEvSM_ ; -- Begin function _ZN7rocprim17ROCPRIM_400000_NS6detail17trampoline_kernelINS0_14default_configENS1_38merge_sort_block_merge_config_selectorIlNS0_10empty_typeEEEZZNS1_27merge_sort_block_merge_implIS3_PlPS5_mZN2at6native12_GLOBAL__N_124unique_dim_cuda_templateIaEESt5tupleIJNSA_6TensorESF_SF_EERKSF_lbbbEUlllE_EE10hipError_tT0_T1_T2_jT3_P12ihipStream_tbPNSt15iterator_traitsISL_E10value_typeEPNSR_ISM_E10value_typeEPSN_NS1_7vsmem_tEENKUlT_SL_SM_SN_E_clIS8_S8_S9_S9_EESK_S10_SL_SM_SN_EUlS10_E0_NS1_11comp_targetILNS1_3genE0ELNS1_11target_archE4294967295ELNS1_3gpuE0ELNS1_3repE0EEENS1_38merge_mergepath_config_static_selectorELNS0_4arch9wavefront6targetE1EEEvSM_
	.p2align	8
	.type	_ZN7rocprim17ROCPRIM_400000_NS6detail17trampoline_kernelINS0_14default_configENS1_38merge_sort_block_merge_config_selectorIlNS0_10empty_typeEEEZZNS1_27merge_sort_block_merge_implIS3_PlPS5_mZN2at6native12_GLOBAL__N_124unique_dim_cuda_templateIaEESt5tupleIJNSA_6TensorESF_SF_EERKSF_lbbbEUlllE_EE10hipError_tT0_T1_T2_jT3_P12ihipStream_tbPNSt15iterator_traitsISL_E10value_typeEPNSR_ISM_E10value_typeEPSN_NS1_7vsmem_tEENKUlT_SL_SM_SN_E_clIS8_S8_S9_S9_EESK_S10_SL_SM_SN_EUlS10_E0_NS1_11comp_targetILNS1_3genE0ELNS1_11target_archE4294967295ELNS1_3gpuE0ELNS1_3repE0EEENS1_38merge_mergepath_config_static_selectorELNS0_4arch9wavefront6targetE1EEEvSM_,@function
_ZN7rocprim17ROCPRIM_400000_NS6detail17trampoline_kernelINS0_14default_configENS1_38merge_sort_block_merge_config_selectorIlNS0_10empty_typeEEEZZNS1_27merge_sort_block_merge_implIS3_PlPS5_mZN2at6native12_GLOBAL__N_124unique_dim_cuda_templateIaEESt5tupleIJNSA_6TensorESF_SF_EERKSF_lbbbEUlllE_EE10hipError_tT0_T1_T2_jT3_P12ihipStream_tbPNSt15iterator_traitsISL_E10value_typeEPNSR_ISM_E10value_typeEPSN_NS1_7vsmem_tEENKUlT_SL_SM_SN_E_clIS8_S8_S9_S9_EESK_S10_SL_SM_SN_EUlS10_E0_NS1_11comp_targetILNS1_3genE0ELNS1_11target_archE4294967295ELNS1_3gpuE0ELNS1_3repE0EEENS1_38merge_mergepath_config_static_selectorELNS0_4arch9wavefront6targetE1EEEvSM_: ; @_ZN7rocprim17ROCPRIM_400000_NS6detail17trampoline_kernelINS0_14default_configENS1_38merge_sort_block_merge_config_selectorIlNS0_10empty_typeEEEZZNS1_27merge_sort_block_merge_implIS3_PlPS5_mZN2at6native12_GLOBAL__N_124unique_dim_cuda_templateIaEESt5tupleIJNSA_6TensorESF_SF_EERKSF_lbbbEUlllE_EE10hipError_tT0_T1_T2_jT3_P12ihipStream_tbPNSt15iterator_traitsISL_E10value_typeEPNSR_ISM_E10value_typeEPSN_NS1_7vsmem_tEENKUlT_SL_SM_SN_E_clIS8_S8_S9_S9_EESK_S10_SL_SM_SN_EUlS10_E0_NS1_11comp_targetILNS1_3genE0ELNS1_11target_archE4294967295ELNS1_3gpuE0ELNS1_3repE0EEENS1_38merge_mergepath_config_static_selectorELNS0_4arch9wavefront6targetE1EEEvSM_
; %bb.0:
	s_load_dwordx2 s[22:23], s[0:1], 0x58
	s_load_dword s5, s[0:1], 0x38
	s_add_u32 s18, s0, 0x58
	s_addc_u32 s19, s1, 0
	s_waitcnt lgkmcnt(0)
	s_mul_i32 s4, s23, s4
	s_add_i32 s3, s4, s3
	s_mul_i32 s3, s3, s22
	s_add_i32 s20, s3, s2
	s_cmp_ge_u32 s20, s5
	s_cbranch_scc1 .LBB278_138
; %bb.1:
	s_load_dwordx2 s[12:13], s[0:1], 0x50
	s_load_dwordx4 s[8:11], s[0:1], 0x8
	s_load_dwordx4 s[4:7], s[0:1], 0x28
	s_mov_b32 s21, 0
	s_lshl_b64 s[14:15], s[20:21], 3
	s_waitcnt lgkmcnt(0)
	s_add_u32 s16, s12, s14
	s_addc_u32 s17, s13, s15
	s_load_dwordx4 s[12:15], s[16:17], 0x0
	s_lshr_b64 s[16:17], s[6:7], 9
	s_and_b32 s3, s16, -2
	s_sub_i32 s33, 0, s3
	s_and_b32 s26, s20, s33
	s_mov_b32 s27, s21
	s_lshl_b64 s[24:25], s[26:27], 10
	s_lshl_b64 s[16:17], s[20:21], 10
	s_sub_u32 s3, s16, s24
	s_subb_u32 s23, s17, s25
	s_lshl_b64 s[26:27], s[26:27], 11
	s_add_u32 s26, s26, s6
	s_addc_u32 s27, s27, s7
	s_add_u32 s3, s26, s3
	s_addc_u32 s23, s27, s23
	s_waitcnt lgkmcnt(0)
	s_sub_u32 s28, s3, s14
	s_subb_u32 s15, s23, s15
	s_add_u32 s28, s28, 0x400
	s_addc_u32 s29, s15, 0
	v_mov_b64_e32 v[2:3], s[28:29]
	v_cmp_lt_u64_e32 vcc, s[4:5], v[2:3]
	s_and_b64 s[30:31], vcc, exec
	s_cselect_b32 s15, s4, s28
	s_or_b32 s28, s20, s33
	s_cmp_lg_u32 s28, -1
	s_cbranch_scc1 .LBB278_3
; %bb.2:
	s_sub_u32 s24, s26, s24
	s_subb_u32 s25, s27, s25
	v_mov_b64_e32 v[2:3], s[24:25]
	v_cmp_lt_u64_e32 vcc, s[4:5], v[2:3]
	s_and_b64 s[14:15], vcc, exec
	s_cselect_b32 s14, s4, s24
	s_add_u32 s6, s24, s6
	s_addc_u32 s7, s25, s7
	v_mov_b64_e32 v[2:3], s[6:7]
	v_cmp_lt_u64_e32 vcc, s[4:5], v[2:3]
	s_and_b64 s[24:25], vcc, exec
	s_cselect_b32 s15, s4, s6
.LBB278_3:
	s_lshr_b64 s[24:25], s[4:5], 10
	s_cmp_lg_u64 s[24:25], s[20:21]
	s_cselect_b64 s[6:7], -1, 0
	s_sub_u32 s26, s3, s12
	s_subb_u32 s27, s23, s13
	v_mov_b64_e32 v[2:3], s[26:27]
	v_cmp_lt_u64_e32 vcc, s[4:5], v[2:3]
	s_and_b64 s[28:29], vcc, exec
	s_cselect_b32 s26, s4, s26
	s_cselect_b32 s27, s5, s27
	s_sub_i32 s5, s14, s12
	s_sub_i32 s23, s15, s26
	s_lshl_b64 s[12:13], s[12:13], 3
	s_add_u32 s12, s8, s12
	s_addc_u32 s13, s9, s13
	s_lshl_b64 s[14:15], s[26:27], 3
	s_add_u32 s8, s8, s14
	s_addc_u32 s9, s9, s15
	s_cmp_lt_u32 s2, s22
	v_mov_b32_e32 v19, 0
	s_cselect_b32 s2, 12, 18
	global_load_dword v1, v19, s[18:19] offset:14
	s_add_u32 s2, s18, s2
	s_addc_u32 s3, s19, 0
	global_load_ushort v2, v19, s[2:3]
	s_cmp_eq_u64 s[24:25], s[20:21]
	v_lshlrev_b32_e32 v18, 3, v0
	s_waitcnt vmcnt(1)
	v_lshrrev_b32_e32 v3, 16, v1
	v_and_b32_e32 v1, 0xffff, v1
	v_mul_lo_u32 v1, v1, v3
	s_waitcnt vmcnt(0)
	v_mul_lo_u32 v1, v1, v2
	s_cbranch_scc1 .LBB278_5
; %bb.4:
	v_subrev_co_u32_e32 v4, vcc, s5, v0
	v_mov_b32_e32 v5, v19
	v_lshl_add_u64 v[2:3], s[12:13], 0, v[18:19]
	v_lshl_add_u64 v[4:5], v[4:5], 3, s[8:9]
	v_add_u32_e32 v6, v1, v0
	v_cndmask_b32_e32 v3, v5, v3, vcc
	v_cndmask_b32_e32 v2, v4, v2, vcc
	v_mov_b32_e32 v7, v19
	v_subrev_co_u32_e32 v8, vcc, s5, v6
	v_mov_b32_e32 v9, v19
	v_lshl_add_u64 v[4:5], v[6:7], 3, s[12:13]
	v_lshl_add_u64 v[8:9], v[8:9], 3, s[8:9]
	v_cndmask_b32_e32 v4, v8, v4, vcc
	v_add_u32_e32 v8, v6, v1
	v_cndmask_b32_e32 v5, v9, v5, vcc
	v_mov_b32_e32 v9, v19
	v_subrev_co_u32_e32 v10, vcc, s5, v8
	v_mov_b32_e32 v11, v19
	v_lshl_add_u64 v[6:7], v[8:9], 3, s[12:13]
	v_lshl_add_u64 v[10:11], v[10:11], 3, s[8:9]
	v_cndmask_b32_e32 v6, v10, v6, vcc
	v_add_u32_e32 v10, v8, v1
	;; [unrolled: 8-line block ×5, first 2 shown]
	v_cndmask_b32_e32 v13, v17, v13, vcc
	v_mov_b32_e32 v17, v19
	v_subrev_co_u32_e32 v20, vcc, s5, v16
	v_mov_b32_e32 v21, v19
	v_lshl_add_u64 v[14:15], v[16:17], 3, s[12:13]
	v_lshl_add_u64 v[20:21], v[20:21], 3, s[8:9]
	v_add_u32_e32 v16, v16, v1
	v_cndmask_b32_e32 v15, v21, v15, vcc
	v_cndmask_b32_e32 v14, v20, v14, vcc
	v_lshl_add_u64 v[20:21], v[16:17], 3, s[12:13]
	v_subrev_co_u32_e32 v16, vcc, s5, v16
	v_lshl_add_u64 v[16:17], v[16:17], 3, s[8:9]
	s_nop 0
	v_cndmask_b32_e32 v17, v17, v21, vcc
	v_cndmask_b32_e32 v16, v16, v20, vcc
	global_load_dwordx2 v[2:3], v[2:3], off
	s_add_i32 s33, s5, s23
	global_load_dwordx2 v[4:5], v[4:5], off
	s_nop 0
	global_load_dwordx2 v[6:7], v[6:7], off
	s_nop 0
	;; [unrolled: 2-line block ×6, first 2 shown]
	global_load_dwordx2 v[16:17], v[16:17], off
	s_cbranch_execz .LBB278_6
	s_branch .LBB278_23
.LBB278_5:
                                        ; implicit-def: $vgpr2_vgpr3_vgpr4_vgpr5_vgpr6_vgpr7_vgpr8_vgpr9_vgpr10_vgpr11_vgpr12_vgpr13_vgpr14_vgpr15_vgpr16_vgpr17
                                        ; implicit-def: $sgpr33
.LBB278_6:
	s_add_i32 s33, s5, s23
	s_waitcnt vmcnt(7)
	v_mov_b32_e32 v2, 0
	v_cmp_gt_u32_e32 vcc, s33, v0
	v_mov_b32_e32 v3, v2
	s_waitcnt vmcnt(6)
	v_mov_b32_e32 v4, v2
	v_mov_b32_e32 v5, v2
	s_waitcnt vmcnt(5)
	v_mov_b32_e32 v6, v2
	;; [unrolled: 3-line block ×7, first 2 shown]
	v_mov_b32_e32 v17, v2
	s_and_saveexec_b64 s[2:3], vcc
	s_cbranch_execz .LBB278_8
; %bb.7:
	v_mov_b32_e32 v19, v2
	v_subrev_co_u32_e32 v6, vcc, s5, v0
	v_mov_b32_e32 v7, v2
	v_lshl_add_u64 v[4:5], s[12:13], 0, v[18:19]
	v_lshl_add_u64 v[6:7], v[6:7], 3, s[8:9]
	v_cndmask_b32_e32 v5, v7, v5, vcc
	v_cndmask_b32_e32 v4, v6, v4, vcc
	global_load_dwordx2 v[20:21], v[4:5], off
	v_mov_b32_e32 v22, v2
	v_mov_b32_e32 v23, v2
	;; [unrolled: 1-line block ×14, first 2 shown]
	s_waitcnt vmcnt(0)
	v_mov_b64_e32 v[2:3], v[20:21]
	v_mov_b64_e32 v[4:5], v[22:23]
	;; [unrolled: 1-line block ×8, first 2 shown]
.LBB278_8:
	s_or_b64 exec, exec, s[2:3]
	v_add_u32_e32 v20, v1, v0
	v_cmp_gt_u32_e32 vcc, s33, v20
	s_and_saveexec_b64 s[2:3], vcc
	s_cbranch_execz .LBB278_10
; %bb.9:
	v_mov_b32_e32 v21, 0
	v_subrev_co_u32_e32 v22, vcc, s5, v20
	v_mov_b32_e32 v23, v21
	v_lshl_add_u64 v[4:5], v[20:21], 3, s[12:13]
	v_lshl_add_u64 v[22:23], v[22:23], 3, s[8:9]
	v_cndmask_b32_e32 v5, v23, v5, vcc
	v_cndmask_b32_e32 v4, v22, v4, vcc
	global_load_dwordx2 v[4:5], v[4:5], off
.LBB278_10:
	s_or_b64 exec, exec, s[2:3]
	v_add_u32_e32 v20, v20, v1
	v_cmp_gt_u32_e32 vcc, s33, v20
	s_and_saveexec_b64 s[2:3], vcc
	s_cbranch_execz .LBB278_12
; %bb.11:
	v_mov_b32_e32 v21, 0
	v_subrev_co_u32_e32 v22, vcc, s5, v20
	v_mov_b32_e32 v23, v21
	v_lshl_add_u64 v[6:7], v[20:21], 3, s[12:13]
	v_lshl_add_u64 v[22:23], v[22:23], 3, s[8:9]
	v_cndmask_b32_e32 v7, v23, v7, vcc
	v_cndmask_b32_e32 v6, v22, v6, vcc
	global_load_dwordx2 v[6:7], v[6:7], off
.LBB278_12:
	s_or_b64 exec, exec, s[2:3]
	v_add_u32_e32 v20, v20, v1
	v_cmp_gt_u32_e32 vcc, s33, v20
	s_and_saveexec_b64 s[2:3], vcc
	s_cbranch_execz .LBB278_14
; %bb.13:
	v_mov_b32_e32 v21, 0
	v_subrev_co_u32_e32 v22, vcc, s5, v20
	v_mov_b32_e32 v23, v21
	v_lshl_add_u64 v[8:9], v[20:21], 3, s[12:13]
	v_lshl_add_u64 v[22:23], v[22:23], 3, s[8:9]
	v_cndmask_b32_e32 v9, v23, v9, vcc
	v_cndmask_b32_e32 v8, v22, v8, vcc
	global_load_dwordx2 v[8:9], v[8:9], off
.LBB278_14:
	s_or_b64 exec, exec, s[2:3]
	v_add_u32_e32 v20, v20, v1
	v_cmp_gt_u32_e32 vcc, s33, v20
	s_and_saveexec_b64 s[2:3], vcc
	s_cbranch_execz .LBB278_16
; %bb.15:
	v_mov_b32_e32 v21, 0
	v_subrev_co_u32_e32 v22, vcc, s5, v20
	v_mov_b32_e32 v23, v21
	v_lshl_add_u64 v[10:11], v[20:21], 3, s[12:13]
	v_lshl_add_u64 v[22:23], v[22:23], 3, s[8:9]
	v_cndmask_b32_e32 v11, v23, v11, vcc
	v_cndmask_b32_e32 v10, v22, v10, vcc
	global_load_dwordx2 v[10:11], v[10:11], off
.LBB278_16:
	s_or_b64 exec, exec, s[2:3]
	v_add_u32_e32 v20, v20, v1
	v_cmp_gt_u32_e32 vcc, s33, v20
	s_and_saveexec_b64 s[2:3], vcc
	s_cbranch_execz .LBB278_18
; %bb.17:
	v_mov_b32_e32 v21, 0
	v_subrev_co_u32_e32 v22, vcc, s5, v20
	v_mov_b32_e32 v23, v21
	v_lshl_add_u64 v[12:13], v[20:21], 3, s[12:13]
	v_lshl_add_u64 v[22:23], v[22:23], 3, s[8:9]
	v_cndmask_b32_e32 v13, v23, v13, vcc
	v_cndmask_b32_e32 v12, v22, v12, vcc
	global_load_dwordx2 v[12:13], v[12:13], off
.LBB278_18:
	s_or_b64 exec, exec, s[2:3]
	v_add_u32_e32 v20, v20, v1
	v_cmp_gt_u32_e32 vcc, s33, v20
	s_and_saveexec_b64 s[2:3], vcc
	s_cbranch_execz .LBB278_20
; %bb.19:
	v_mov_b32_e32 v21, 0
	v_subrev_co_u32_e32 v22, vcc, s5, v20
	v_mov_b32_e32 v23, v21
	v_lshl_add_u64 v[14:15], v[20:21], 3, s[12:13]
	v_lshl_add_u64 v[22:23], v[22:23], 3, s[8:9]
	v_cndmask_b32_e32 v15, v23, v15, vcc
	v_cndmask_b32_e32 v14, v22, v14, vcc
	global_load_dwordx2 v[14:15], v[14:15], off
.LBB278_20:
	s_or_b64 exec, exec, s[2:3]
	v_add_u32_e32 v20, v20, v1
	v_cmp_gt_u32_e32 vcc, s33, v20
	s_and_saveexec_b64 s[2:3], vcc
	s_cbranch_execz .LBB278_22
; %bb.21:
	v_mov_b32_e32 v21, 0
	v_lshl_add_u64 v[16:17], v[20:21], 3, s[12:13]
	v_subrev_co_u32_e32 v20, vcc, s5, v20
	v_lshl_add_u64 v[20:21], v[20:21], 3, s[8:9]
	s_nop 0
	v_cndmask_b32_e32 v17, v21, v17, vcc
	v_cndmask_b32_e32 v16, v20, v16, vcc
	global_load_dwordx2 v[16:17], v[16:17], off
.LBB278_22:
	s_or_b64 exec, exec, s[2:3]
.LBB278_23:
	s_load_dwordx4 s[12:15], s[0:1], 0x40
	v_min_u32_e32 v1, s33, v18
	v_sub_u32_e64 v24, v1, s23 clamp
	v_min_u32_e32 v19, s5, v1
	v_cmp_lt_u32_e32 vcc, v24, v19
	s_waitcnt vmcnt(0)
	ds_write2st64_b64 v18, v[2:3], v[4:5] offset1:2
	ds_write2st64_b64 v18, v[6:7], v[8:9] offset0:4 offset1:6
	ds_write2st64_b64 v18, v[10:11], v[12:13] offset0:8 offset1:10
	;; [unrolled: 1-line block ×3, first 2 shown]
	s_waitcnt lgkmcnt(0)
	s_barrier
	s_and_saveexec_b64 s[2:3], vcc
	s_cbranch_execz .LBB278_33
; %bb.24:
	v_lshlrev_b32_e32 v20, 3, v1
	v_cmp_gt_i64_e64 s[0:1], s[12:13], 0
	v_lshl_add_u32 v25, s5, 3, v20
	s_mov_b64 s[8:9], 0
	v_cndmask_b32_e64 v20, 0, 1, s[0:1]
	v_cmp_ne_u32_e64 s[0:1], 1, v20
	s_branch .LBB278_27
.LBB278_25:                             ;   in Loop: Header=BB278_27 Depth=1
	s_or_b64 exec, exec, s[20:21]
.LBB278_26:                             ;   in Loop: Header=BB278_27 Depth=1
	v_add_u32_e32 v20, 1, v26
	v_cndmask_b32_e64 v19, v19, v26, s[18:19]
	v_cndmask_b32_e64 v24, v20, v24, s[18:19]
	v_cmp_ge_u32_e32 vcc, v24, v19
	s_or_b64 s[8:9], vcc, s[8:9]
	s_andn2_b64 exec, exec, s[8:9]
	s_cbranch_execz .LBB278_32
.LBB278_27:                             ; =>This Loop Header: Depth=1
                                        ;     Child Loop BB278_30 Depth 2
	v_add_u32_e32 v20, v19, v24
	v_lshrrev_b32_e32 v26, 1, v20
	s_and_b64 vcc, exec, s[0:1]
	s_mov_b64 s[18:19], 0
	s_cbranch_vccnz .LBB278_26
; %bb.28:                               ;   in Loop: Header=BB278_27 Depth=1
	v_not_b32_e32 v20, v26
	v_lshl_add_u32 v20, v20, 3, v25
	ds_read_b64 v[20:21], v20
	v_lshlrev_b32_e32 v27, 3, v26
	ds_read_b64 v[28:29], v27
	v_mov_b64_e32 v[22:23], s[14:15]
	s_mov_b64 s[20:21], 0
	s_waitcnt lgkmcnt(1)
	v_mul_lo_u32 v27, v20, s13
	v_mul_lo_u32 v30, v21, s12
	v_mad_u64_u32 v[20:21], s[18:19], v20, s12, v[22:23]
	v_add3_u32 v21, v30, v21, v27
	s_waitcnt lgkmcnt(0)
	v_mul_lo_u32 v27, v28, s13
	v_mul_lo_u32 v29, v29, s12
	v_mad_u64_u32 v[22:23], s[18:19], v28, s12, v[22:23]
	v_add3_u32 v23, v29, v23, v27
	s_mov_b64 s[24:25], s[12:13]
                                        ; implicit-def: $sgpr18_sgpr19
                                        ; implicit-def: $sgpr22_sgpr23
                                        ; implicit-def: $sgpr26_sgpr27
                                        ; implicit-def: $sgpr28_sgpr29
	s_branch .LBB278_30
.LBB278_29:                             ;   in Loop: Header=BB278_30 Depth=2
	s_or_b64 exec, exec, s[34:35]
	s_and_b64 s[34:35], exec, s[22:23]
	s_or_b64 s[20:21], s[34:35], s[20:21]
	s_andn2_b64 s[28:29], s[28:29], exec
	s_and_b64 s[30:31], s[30:31], exec
	s_or_b64 s[28:29], s[28:29], s[30:31]
	s_andn2_b64 s[18:19], s[18:19], exec
	s_and_b64 s[30:31], s[26:27], exec
	s_or_b64 s[18:19], s[18:19], s[30:31]
	s_andn2_b64 exec, exec, s[20:21]
	s_cbranch_execz .LBB278_25
.LBB278_30:                             ;   Parent Loop BB278_27 Depth=1
                                        ; =>  This Inner Loop Header: Depth=2
	global_load_ubyte v27, v[20:21], off
	global_load_ubyte v28, v[22:23], off
	s_andn2_b64 s[26:27], s[26:27], exec
	s_or_b64 s[22:23], s[22:23], exec
	s_waitcnt vmcnt(0)
	v_cmp_le_i16_sdwa s[34:35], sext(v27), sext(v28) src0_sel:BYTE_0 src1_sel:BYTE_0
	v_cmp_lt_i16_sdwa s[30:31], sext(v27), sext(v28) src0_sel:BYTE_0 src1_sel:BYTE_0
	s_and_b64 s[34:35], s[34:35], s[28:29]
	s_or_b64 s[30:31], s[30:31], s[34:35]
	s_and_b64 s[34:35], s[30:31], exec
	v_cmp_eq_u16_sdwa s[36:37], v27, v28 src0_sel:BYTE_0 src1_sel:BYTE_0
	s_or_b64 s[26:27], s[26:27], s[34:35]
	s_and_saveexec_b64 s[34:35], s[36:37]
	s_cbranch_execz .LBB278_29
; %bb.31:                               ;   in Loop: Header=BB278_30 Depth=2
	s_add_u32 s24, s24, -1
	s_addc_u32 s25, s25, -1
	s_cmp_eq_u64 s[24:25], 0
	s_cselect_b64 s[28:29], -1, 0
	s_andn2_b64 s[22:23], s[22:23], exec
	s_and_b64 s[28:29], s[28:29], exec
	v_lshl_add_u64 v[20:21], v[20:21], 0, 1
	v_lshl_add_u64 v[22:23], v[22:23], 0, 1
	s_andn2_b64 s[26:27], s[26:27], exec
	s_or_b64 s[22:23], s[22:23], s[28:29]
                                        ; implicit-def: $sgpr28_sgpr29
	s_branch .LBB278_29
.LBB278_32:
	s_or_b64 exec, exec, s[8:9]
.LBB278_33:
	s_or_b64 exec, exec, s[2:3]
	v_sub_u32_e32 v1, v1, v24
	v_add_u32_e32 v20, s5, v1
	v_cmp_ge_u32_e32 vcc, s5, v24
	v_cmp_ge_u32_e64 s[0:1], s33, v20
	s_or_b64 s[0:1], vcc, s[0:1]
	s_and_saveexec_b64 s[2:3], s[0:1]
	s_cbranch_execz .LBB278_124
; %bb.34:
	v_cmp_le_u32_e32 vcc, s5, v24
	v_cmp_gt_u32_e64 s[0:1], s5, v24
                                        ; implicit-def: $vgpr2_vgpr3
	s_and_saveexec_b64 s[8:9], s[0:1]
; %bb.35:
	v_lshlrev_b32_e32 v1, 3, v24
	ds_read_b64 v[2:3], v1
; %bb.36:
	s_or_b64 exec, exec, s[8:9]
	v_cmp_le_u32_e64 s[8:9], s33, v20
	v_cmp_gt_u32_e64 s[0:1], s33, v20
                                        ; implicit-def: $vgpr14_vgpr15
	s_and_saveexec_b64 s[18:19], s[0:1]
; %bb.37:
	v_lshlrev_b32_e32 v1, 3, v20
	ds_read_b64 v[14:15], v1
; %bb.38:
	s_or_b64 exec, exec, s[18:19]
	v_cmp_gt_i64_e64 s[0:1], s[12:13], 0
	s_nor_b64 s[20:21], vcc, s[8:9]
	s_and_saveexec_b64 s[18:19], s[20:21]
	s_cbranch_execz .LBB278_47
; %bb.39:
	s_andn2_b64 vcc, exec, s[0:1]
	s_cbranch_vccnz .LBB278_45
; %bb.40:
	v_mov_b64_e32 v[6:7], s[14:15]
	s_waitcnt lgkmcnt(0)
	v_mad_u64_u32 v[4:5], s[20:21], v14, s12, v[6:7]
	v_mul_lo_u32 v1, v14, s13
	v_mul_lo_u32 v8, v15, s12
	v_add3_u32 v5, v8, v5, v1
	v_mad_u64_u32 v[6:7], s[20:21], v2, s12, v[6:7]
	v_mul_lo_u32 v1, v2, s13
	v_mul_lo_u32 v8, v3, s12
	v_add3_u32 v7, v8, v7, v1
	s_mov_b64 s[20:21], 0
	s_mov_b64 s[26:27], s[12:13]
                                        ; implicit-def: $sgpr22_sgpr23
                                        ; implicit-def: $sgpr24_sgpr25
                                        ; implicit-def: $sgpr28_sgpr29
                                        ; implicit-def: $sgpr30_sgpr31
	s_branch .LBB278_42
.LBB278_41:                             ;   in Loop: Header=BB278_42 Depth=1
	s_or_b64 exec, exec, s[36:37]
	s_and_b64 s[36:37], exec, s[24:25]
	s_or_b64 s[20:21], s[36:37], s[20:21]
	s_andn2_b64 s[30:31], s[30:31], exec
	s_and_b64 s[34:35], s[34:35], exec
	s_or_b64 s[30:31], s[30:31], s[34:35]
	s_andn2_b64 s[22:23], s[22:23], exec
	s_and_b64 s[34:35], s[28:29], exec
	s_or_b64 s[22:23], s[22:23], s[34:35]
	s_andn2_b64 exec, exec, s[20:21]
	s_cbranch_execz .LBB278_44
.LBB278_42:                             ; =>This Inner Loop Header: Depth=1
	global_load_ubyte v1, v[4:5], off
	global_load_ubyte v8, v[6:7], off
	s_andn2_b64 s[28:29], s[28:29], exec
	s_or_b64 s[24:25], s[24:25], exec
	s_waitcnt vmcnt(0)
	v_cmp_le_i16_sdwa s[36:37], sext(v1), sext(v8) src0_sel:BYTE_0 src1_sel:BYTE_0
	v_cmp_lt_i16_sdwa s[34:35], sext(v1), sext(v8) src0_sel:BYTE_0 src1_sel:BYTE_0
	s_and_b64 s[36:37], s[36:37], s[30:31]
	s_or_b64 s[34:35], s[34:35], s[36:37]
	s_and_b64 s[36:37], s[34:35], exec
	v_cmp_eq_u16_sdwa s[38:39], v1, v8 src0_sel:BYTE_0 src1_sel:BYTE_0
	s_or_b64 s[28:29], s[28:29], s[36:37]
	s_and_saveexec_b64 s[36:37], s[38:39]
	s_cbranch_execz .LBB278_41
; %bb.43:                               ;   in Loop: Header=BB278_42 Depth=1
	s_add_u32 s26, s26, -1
	s_addc_u32 s27, s27, -1
	s_cmp_eq_u64 s[26:27], 0
	s_cselect_b64 s[30:31], -1, 0
	s_andn2_b64 s[24:25], s[24:25], exec
	s_and_b64 s[30:31], s[30:31], exec
	v_lshl_add_u64 v[4:5], v[4:5], 0, 1
	v_lshl_add_u64 v[6:7], v[6:7], 0, 1
	s_andn2_b64 s[28:29], s[28:29], exec
	s_or_b64 s[24:25], s[24:25], s[30:31]
                                        ; implicit-def: $sgpr30_sgpr31
	s_branch .LBB278_41
.LBB278_44:
	s_or_b64 exec, exec, s[20:21]
	s_xor_b64 s[20:21], s[22:23], -1
	s_branch .LBB278_46
.LBB278_45:
	s_mov_b64 s[20:21], -1
.LBB278_46:
	s_andn2_b64 s[8:9], s[8:9], exec
	s_and_b64 s[20:21], s[20:21], exec
	s_or_b64 s[8:9], s[8:9], s[20:21]
.LBB278_47:
	s_or_b64 exec, exec, s[18:19]
	v_mov_b32_e32 v4, s33
	v_mov_b32_e32 v5, s5
	v_cndmask_b32_e64 v1, v20, v24, s[8:9]
	v_cndmask_b32_e64 v4, v4, v5, s[8:9]
	v_add_u32_e32 v6, 1, v1
	v_add_u32_e32 v1, -1, v4
	v_min_u32_e32 v1, v6, v1
	v_lshlrev_b32_e32 v1, 3, v1
	ds_read_b64 v[4:5], v1
	v_cndmask_b32_e64 v8, v6, v20, s[8:9]
	v_cndmask_b32_e64 v9, v24, v6, s[8:9]
	v_cmp_gt_u32_e32 vcc, s33, v8
	s_mov_b64 s[20:21], -1
	s_waitcnt lgkmcnt(0)
	v_cndmask_b32_e64 v1, v5, v15, s[8:9]
	v_cndmask_b32_e64 v16, v4, v14, s[8:9]
	;; [unrolled: 1-line block ×4, first 2 shown]
	s_mov_b64 s[18:19], -1
	s_and_saveexec_b64 s[22:23], vcc
	s_cbranch_execz .LBB278_58
; %bb.48:
	v_cmp_gt_u32_e32 vcc, s5, v9
	s_mov_b64 s[24:25], 0
	s_and_saveexec_b64 s[18:19], vcc
	s_cbranch_execz .LBB278_57
; %bb.49:
	s_andn2_b64 vcc, exec, s[0:1]
	s_cbranch_vccnz .LBB278_55
; %bb.50:
	v_mov_b64_e32 v[6:7], s[14:15]
	v_mad_u64_u32 v[4:5], s[24:25], v16, s12, v[6:7]
	v_mul_lo_u32 v10, v16, s13
	v_mul_lo_u32 v11, v1, s12
	v_add3_u32 v5, v11, v5, v10
	v_mad_u64_u32 v[6:7], s[24:25], v19, s12, v[6:7]
	v_mul_lo_u32 v10, v19, s13
	v_mul_lo_u32 v11, v17, s12
	v_add3_u32 v7, v11, v7, v10
	s_mov_b64 s[24:25], 0
	s_mov_b64 s[30:31], s[12:13]
                                        ; implicit-def: $sgpr26_sgpr27
                                        ; implicit-def: $sgpr28_sgpr29
                                        ; implicit-def: $sgpr34_sgpr35
                                        ; implicit-def: $sgpr36_sgpr37
	s_branch .LBB278_52
.LBB278_51:                             ;   in Loop: Header=BB278_52 Depth=1
	s_or_b64 exec, exec, s[40:41]
	s_and_b64 s[40:41], exec, s[28:29]
	s_or_b64 s[24:25], s[40:41], s[24:25]
	s_andn2_b64 s[36:37], s[36:37], exec
	s_and_b64 s[38:39], s[38:39], exec
	s_or_b64 s[36:37], s[36:37], s[38:39]
	s_andn2_b64 s[26:27], s[26:27], exec
	s_and_b64 s[38:39], s[34:35], exec
	s_or_b64 s[26:27], s[26:27], s[38:39]
	s_andn2_b64 exec, exec, s[24:25]
	s_cbranch_execz .LBB278_54
.LBB278_52:                             ; =>This Inner Loop Header: Depth=1
	global_load_ubyte v10, v[4:5], off
	global_load_ubyte v11, v[6:7], off
	s_andn2_b64 s[34:35], s[34:35], exec
	s_or_b64 s[28:29], s[28:29], exec
	s_waitcnt vmcnt(0)
	v_cmp_le_i16_sdwa s[40:41], sext(v10), sext(v11) src0_sel:BYTE_0 src1_sel:BYTE_0
	v_cmp_lt_i16_sdwa s[38:39], sext(v10), sext(v11) src0_sel:BYTE_0 src1_sel:BYTE_0
	s_and_b64 s[40:41], s[40:41], s[36:37]
	s_or_b64 s[38:39], s[38:39], s[40:41]
	s_and_b64 s[40:41], s[38:39], exec
	v_cmp_eq_u16_sdwa s[42:43], v10, v11 src0_sel:BYTE_0 src1_sel:BYTE_0
	s_or_b64 s[34:35], s[34:35], s[40:41]
	s_and_saveexec_b64 s[40:41], s[42:43]
	s_cbranch_execz .LBB278_51
; %bb.53:                               ;   in Loop: Header=BB278_52 Depth=1
	s_add_u32 s30, s30, -1
	s_addc_u32 s31, s31, -1
	s_cmp_eq_u64 s[30:31], 0
	s_cselect_b64 s[36:37], -1, 0
	s_andn2_b64 s[28:29], s[28:29], exec
	s_and_b64 s[36:37], s[36:37], exec
	v_lshl_add_u64 v[4:5], v[4:5], 0, 1
	v_lshl_add_u64 v[6:7], v[6:7], 0, 1
	s_andn2_b64 s[34:35], s[34:35], exec
	s_or_b64 s[28:29], s[28:29], s[36:37]
                                        ; implicit-def: $sgpr36_sgpr37
	s_branch .LBB278_51
.LBB278_54:
	s_or_b64 exec, exec, s[24:25]
	s_xor_b64 s[24:25], s[26:27], -1
	s_branch .LBB278_56
.LBB278_55:
	s_mov_b64 s[24:25], -1
.LBB278_56:
	s_and_b64 s[24:25], s[24:25], exec
.LBB278_57:
	s_or_b64 exec, exec, s[18:19]
	s_orn2_b64 s[18:19], s[24:25], exec
.LBB278_58:
	s_or_b64 exec, exec, s[22:23]
	v_mov_b32_e32 v5, s33
	v_mov_b32_e32 v6, s5
	v_cndmask_b32_e64 v4, v8, v9, s[18:19]
	v_cndmask_b32_e64 v5, v5, v6, s[18:19]
	v_add_u32_e32 v6, 1, v4
	v_add_u32_e32 v4, -1, v5
	v_min_u32_e32 v4, v6, v4
	v_lshlrev_b32_e32 v4, 3, v4
	ds_read_b64 v[4:5], v4
	v_cndmask_b32_e64 v10, v6, v8, s[18:19]
	v_cndmask_b32_e64 v11, v9, v6, s[18:19]
	v_cmp_gt_u32_e32 vcc, s33, v10
	s_waitcnt lgkmcnt(0)
	v_cndmask_b32_e64 v20, v5, v1, s[18:19]
	v_cndmask_b32_e64 v21, v4, v16, s[18:19]
	;; [unrolled: 1-line block ×4, first 2 shown]
	s_and_saveexec_b64 s[22:23], vcc
	s_cbranch_execz .LBB278_69
; %bb.59:
	v_cmp_gt_u32_e32 vcc, s5, v11
	s_mov_b64 s[24:25], 0
	s_and_saveexec_b64 s[20:21], vcc
	s_cbranch_execz .LBB278_68
; %bb.60:
	s_andn2_b64 vcc, exec, s[0:1]
	s_cbranch_vccnz .LBB278_66
; %bb.61:
	v_mov_b64_e32 v[6:7], s[14:15]
	v_mad_u64_u32 v[4:5], s[24:25], v21, s12, v[6:7]
	v_mul_lo_u32 v8, v21, s13
	v_mul_lo_u32 v9, v20, s12
	v_add3_u32 v5, v9, v5, v8
	v_mad_u64_u32 v[6:7], s[24:25], v23, s12, v[6:7]
	v_mul_lo_u32 v8, v23, s13
	v_mul_lo_u32 v9, v22, s12
	v_add3_u32 v7, v9, v7, v8
	s_mov_b64 s[24:25], 0
	s_mov_b64 s[30:31], s[12:13]
                                        ; implicit-def: $sgpr26_sgpr27
                                        ; implicit-def: $sgpr28_sgpr29
                                        ; implicit-def: $sgpr34_sgpr35
                                        ; implicit-def: $sgpr36_sgpr37
	s_branch .LBB278_63
.LBB278_62:                             ;   in Loop: Header=BB278_63 Depth=1
	s_or_b64 exec, exec, s[40:41]
	s_and_b64 s[40:41], exec, s[28:29]
	s_or_b64 s[24:25], s[40:41], s[24:25]
	s_andn2_b64 s[36:37], s[36:37], exec
	s_and_b64 s[38:39], s[38:39], exec
	s_or_b64 s[36:37], s[36:37], s[38:39]
	s_andn2_b64 s[26:27], s[26:27], exec
	s_and_b64 s[38:39], s[34:35], exec
	s_or_b64 s[26:27], s[26:27], s[38:39]
	s_andn2_b64 exec, exec, s[24:25]
	s_cbranch_execz .LBB278_65
.LBB278_63:                             ; =>This Inner Loop Header: Depth=1
	global_load_ubyte v8, v[4:5], off
	global_load_ubyte v9, v[6:7], off
	s_andn2_b64 s[34:35], s[34:35], exec
	s_or_b64 s[28:29], s[28:29], exec
	s_waitcnt vmcnt(0)
	v_cmp_le_i16_sdwa s[40:41], sext(v8), sext(v9) src0_sel:BYTE_0 src1_sel:BYTE_0
	v_cmp_lt_i16_sdwa s[38:39], sext(v8), sext(v9) src0_sel:BYTE_0 src1_sel:BYTE_0
	s_and_b64 s[40:41], s[40:41], s[36:37]
	s_or_b64 s[38:39], s[38:39], s[40:41]
	s_and_b64 s[40:41], s[38:39], exec
	v_cmp_eq_u16_sdwa s[42:43], v8, v9 src0_sel:BYTE_0 src1_sel:BYTE_0
	s_or_b64 s[34:35], s[34:35], s[40:41]
	s_and_saveexec_b64 s[40:41], s[42:43]
	s_cbranch_execz .LBB278_62
; %bb.64:                               ;   in Loop: Header=BB278_63 Depth=1
	s_add_u32 s30, s30, -1
	s_addc_u32 s31, s31, -1
	s_cmp_eq_u64 s[30:31], 0
	s_cselect_b64 s[36:37], -1, 0
	s_andn2_b64 s[28:29], s[28:29], exec
	s_and_b64 s[36:37], s[36:37], exec
	v_lshl_add_u64 v[4:5], v[4:5], 0, 1
	v_lshl_add_u64 v[6:7], v[6:7], 0, 1
	s_andn2_b64 s[34:35], s[34:35], exec
	s_or_b64 s[28:29], s[28:29], s[36:37]
                                        ; implicit-def: $sgpr36_sgpr37
	s_branch .LBB278_62
.LBB278_65:
	s_or_b64 exec, exec, s[24:25]
	s_xor_b64 s[24:25], s[26:27], -1
	s_branch .LBB278_67
.LBB278_66:
	s_mov_b64 s[24:25], -1
.LBB278_67:
	s_and_b64 s[24:25], s[24:25], exec
.LBB278_68:
	s_or_b64 exec, exec, s[20:21]
	s_orn2_b64 s[20:21], s[24:25], exec
.LBB278_69:
	s_or_b64 exec, exec, s[22:23]
	v_mov_b32_e32 v5, s33
	v_mov_b32_e32 v6, s5
	v_cndmask_b32_e64 v4, v10, v11, s[20:21]
	v_cndmask_b32_e64 v5, v5, v6, s[20:21]
	v_add_u32_e32 v6, 1, v4
	v_add_u32_e32 v4, -1, v5
	v_min_u32_e32 v4, v6, v4
	v_lshlrev_b32_e32 v4, 3, v4
	ds_read_b64 v[4:5], v4
	v_cndmask_b32_e64 v12, v6, v10, s[20:21]
	v_cndmask_b32_e64 v13, v11, v6, s[20:21]
	v_cmp_gt_u32_e32 vcc, s33, v12
	s_mov_b64 s[24:25], -1
	s_waitcnt lgkmcnt(0)
	v_cndmask_b32_e64 v8, v5, v20, s[20:21]
	v_cndmask_b32_e64 v24, v4, v21, s[20:21]
	;; [unrolled: 1-line block ×4, first 2 shown]
	s_mov_b64 s[22:23], -1
	s_and_saveexec_b64 s[26:27], vcc
	s_cbranch_execz .LBB278_80
; %bb.70:
	v_cmp_gt_u32_e32 vcc, s5, v13
	s_mov_b64 s[28:29], 0
	s_and_saveexec_b64 s[22:23], vcc
	s_cbranch_execz .LBB278_79
; %bb.71:
	s_andn2_b64 vcc, exec, s[0:1]
	s_cbranch_vccnz .LBB278_77
; %bb.72:
	v_mov_b64_e32 v[6:7], s[14:15]
	v_mad_u64_u32 v[4:5], s[28:29], v24, s12, v[6:7]
	v_mul_lo_u32 v10, v24, s13
	v_mul_lo_u32 v11, v8, s12
	v_add3_u32 v5, v11, v5, v10
	v_mad_u64_u32 v[6:7], s[28:29], v25, s12, v[6:7]
	v_mul_lo_u32 v10, v25, s13
	v_mul_lo_u32 v11, v9, s12
	v_add3_u32 v7, v11, v7, v10
	s_mov_b64 s[28:29], 0
	s_mov_b64 s[36:37], s[12:13]
                                        ; implicit-def: $sgpr30_sgpr31
                                        ; implicit-def: $sgpr34_sgpr35
                                        ; implicit-def: $sgpr38_sgpr39
                                        ; implicit-def: $sgpr40_sgpr41
	s_branch .LBB278_74
.LBB278_73:                             ;   in Loop: Header=BB278_74 Depth=1
	s_or_b64 exec, exec, s[44:45]
	s_and_b64 s[44:45], exec, s[34:35]
	s_or_b64 s[28:29], s[44:45], s[28:29]
	s_andn2_b64 s[40:41], s[40:41], exec
	s_and_b64 s[42:43], s[42:43], exec
	s_or_b64 s[40:41], s[40:41], s[42:43]
	s_andn2_b64 s[30:31], s[30:31], exec
	s_and_b64 s[42:43], s[38:39], exec
	s_or_b64 s[30:31], s[30:31], s[42:43]
	s_andn2_b64 exec, exec, s[28:29]
	s_cbranch_execz .LBB278_76
.LBB278_74:                             ; =>This Inner Loop Header: Depth=1
	global_load_ubyte v10, v[4:5], off
	global_load_ubyte v11, v[6:7], off
	s_andn2_b64 s[38:39], s[38:39], exec
	s_or_b64 s[34:35], s[34:35], exec
	s_waitcnt vmcnt(0)
	v_cmp_le_i16_sdwa s[44:45], sext(v10), sext(v11) src0_sel:BYTE_0 src1_sel:BYTE_0
	v_cmp_lt_i16_sdwa s[42:43], sext(v10), sext(v11) src0_sel:BYTE_0 src1_sel:BYTE_0
	s_and_b64 s[44:45], s[44:45], s[40:41]
	s_or_b64 s[42:43], s[42:43], s[44:45]
	s_and_b64 s[44:45], s[42:43], exec
	v_cmp_eq_u16_sdwa s[46:47], v10, v11 src0_sel:BYTE_0 src1_sel:BYTE_0
	s_or_b64 s[38:39], s[38:39], s[44:45]
	s_and_saveexec_b64 s[44:45], s[46:47]
	s_cbranch_execz .LBB278_73
; %bb.75:                               ;   in Loop: Header=BB278_74 Depth=1
	s_add_u32 s36, s36, -1
	s_addc_u32 s37, s37, -1
	s_cmp_eq_u64 s[36:37], 0
	s_cselect_b64 s[40:41], -1, 0
	s_andn2_b64 s[34:35], s[34:35], exec
	s_and_b64 s[40:41], s[40:41], exec
	v_lshl_add_u64 v[4:5], v[4:5], 0, 1
	v_lshl_add_u64 v[6:7], v[6:7], 0, 1
	s_andn2_b64 s[38:39], s[38:39], exec
	s_or_b64 s[34:35], s[34:35], s[40:41]
                                        ; implicit-def: $sgpr40_sgpr41
	s_branch .LBB278_73
.LBB278_76:
	s_or_b64 exec, exec, s[28:29]
	s_xor_b64 s[28:29], s[30:31], -1
	s_branch .LBB278_78
.LBB278_77:
	s_mov_b64 s[28:29], -1
.LBB278_78:
	s_and_b64 s[28:29], s[28:29], exec
.LBB278_79:
	s_or_b64 exec, exec, s[22:23]
	s_orn2_b64 s[22:23], s[28:29], exec
.LBB278_80:
	s_or_b64 exec, exec, s[26:27]
	v_mov_b32_e32 v5, s33
	v_mov_b32_e32 v6, s5
	v_cndmask_b32_e64 v4, v12, v13, s[22:23]
	v_cndmask_b32_e64 v5, v5, v6, s[22:23]
	v_add_u32_e32 v6, 1, v4
	v_add_u32_e32 v4, -1, v5
	v_min_u32_e32 v4, v6, v4
	v_lshlrev_b32_e32 v4, 3, v4
	ds_read_b64 v[4:5], v4
	v_cndmask_b32_e64 v30, v6, v12, s[22:23]
	v_cndmask_b32_e64 v31, v13, v6, s[22:23]
	v_cmp_gt_u32_e32 vcc, s33, v30
	s_waitcnt lgkmcnt(0)
	v_cndmask_b32_e64 v10, v5, v8, s[22:23]
	v_cndmask_b32_e64 v26, v4, v24, s[22:23]
	;; [unrolled: 1-line block ×4, first 2 shown]
	s_and_saveexec_b64 s[26:27], vcc
	s_cbranch_execz .LBB278_91
; %bb.81:
	v_cmp_gt_u32_e32 vcc, s5, v31
	s_mov_b64 s[28:29], 0
	s_and_saveexec_b64 s[24:25], vcc
	s_cbranch_execz .LBB278_90
; %bb.82:
	s_andn2_b64 vcc, exec, s[0:1]
	s_cbranch_vccnz .LBB278_88
; %bb.83:
	v_mov_b64_e32 v[6:7], s[14:15]
	v_mad_u64_u32 v[4:5], s[28:29], v26, s12, v[6:7]
	v_mul_lo_u32 v12, v26, s13
	v_mul_lo_u32 v13, v10, s12
	v_add3_u32 v5, v13, v5, v12
	v_mad_u64_u32 v[6:7], s[28:29], v27, s12, v[6:7]
	v_mul_lo_u32 v12, v27, s13
	v_mul_lo_u32 v13, v11, s12
	v_add3_u32 v7, v13, v7, v12
	s_mov_b64 s[28:29], 0
	s_mov_b64 s[36:37], s[12:13]
                                        ; implicit-def: $sgpr30_sgpr31
                                        ; implicit-def: $sgpr34_sgpr35
                                        ; implicit-def: $sgpr38_sgpr39
                                        ; implicit-def: $sgpr40_sgpr41
	s_branch .LBB278_85
.LBB278_84:                             ;   in Loop: Header=BB278_85 Depth=1
	s_or_b64 exec, exec, s[44:45]
	s_and_b64 s[44:45], exec, s[34:35]
	s_or_b64 s[28:29], s[44:45], s[28:29]
	s_andn2_b64 s[40:41], s[40:41], exec
	s_and_b64 s[42:43], s[42:43], exec
	s_or_b64 s[40:41], s[40:41], s[42:43]
	s_andn2_b64 s[30:31], s[30:31], exec
	s_and_b64 s[42:43], s[38:39], exec
	s_or_b64 s[30:31], s[30:31], s[42:43]
	s_andn2_b64 exec, exec, s[28:29]
	s_cbranch_execz .LBB278_87
.LBB278_85:                             ; =>This Inner Loop Header: Depth=1
	global_load_ubyte v12, v[4:5], off
	global_load_ubyte v13, v[6:7], off
	s_andn2_b64 s[38:39], s[38:39], exec
	s_or_b64 s[34:35], s[34:35], exec
	s_waitcnt vmcnt(0)
	v_cmp_le_i16_sdwa s[44:45], sext(v12), sext(v13) src0_sel:BYTE_0 src1_sel:BYTE_0
	v_cmp_lt_i16_sdwa s[42:43], sext(v12), sext(v13) src0_sel:BYTE_0 src1_sel:BYTE_0
	s_and_b64 s[44:45], s[44:45], s[40:41]
	s_or_b64 s[42:43], s[42:43], s[44:45]
	s_and_b64 s[44:45], s[42:43], exec
	v_cmp_eq_u16_sdwa s[46:47], v12, v13 src0_sel:BYTE_0 src1_sel:BYTE_0
	s_or_b64 s[38:39], s[38:39], s[44:45]
	s_and_saveexec_b64 s[44:45], s[46:47]
	s_cbranch_execz .LBB278_84
; %bb.86:                               ;   in Loop: Header=BB278_85 Depth=1
	s_add_u32 s36, s36, -1
	s_addc_u32 s37, s37, -1
	s_cmp_eq_u64 s[36:37], 0
	s_cselect_b64 s[40:41], -1, 0
	s_andn2_b64 s[34:35], s[34:35], exec
	s_and_b64 s[40:41], s[40:41], exec
	v_lshl_add_u64 v[4:5], v[4:5], 0, 1
	v_lshl_add_u64 v[6:7], v[6:7], 0, 1
	s_andn2_b64 s[38:39], s[38:39], exec
	s_or_b64 s[34:35], s[34:35], s[40:41]
                                        ; implicit-def: $sgpr40_sgpr41
	s_branch .LBB278_84
.LBB278_87:
	s_or_b64 exec, exec, s[28:29]
	s_xor_b64 s[28:29], s[30:31], -1
	s_branch .LBB278_89
.LBB278_88:
	s_mov_b64 s[28:29], -1
.LBB278_89:
	s_and_b64 s[28:29], s[28:29], exec
.LBB278_90:
	s_or_b64 exec, exec, s[24:25]
	s_orn2_b64 s[24:25], s[28:29], exec
.LBB278_91:
	s_or_b64 exec, exec, s[26:27]
	v_mov_b32_e32 v5, s33
	v_mov_b32_e32 v6, s5
	v_cndmask_b32_e64 v4, v30, v31, s[24:25]
	v_cndmask_b32_e64 v5, v5, v6, s[24:25]
	v_add_u32_e32 v6, 1, v4
	v_add_u32_e32 v4, -1, v5
	v_min_u32_e32 v4, v6, v4
	v_lshlrev_b32_e32 v4, 3, v4
	ds_read_b64 v[4:5], v4
	v_cndmask_b32_e64 v32, v6, v30, s[24:25]
	v_cndmask_b32_e64 v36, v31, v6, s[24:25]
	v_cmp_gt_u32_e32 vcc, s33, v32
	s_mov_b64 s[26:27], -1
	s_waitcnt lgkmcnt(0)
	v_cndmask_b32_e64 v12, v5, v10, s[24:25]
	v_cndmask_b32_e64 v28, v4, v26, s[24:25]
	;; [unrolled: 1-line block ×4, first 2 shown]
	s_mov_b64 s[28:29], -1
	s_and_saveexec_b64 s[30:31], vcc
	s_cbranch_execz .LBB278_102
; %bb.92:
	v_cmp_gt_u32_e32 vcc, s5, v36
	s_mov_b64 s[34:35], 0
	s_and_saveexec_b64 s[28:29], vcc
	s_cbranch_execz .LBB278_101
; %bb.93:
	s_andn2_b64 vcc, exec, s[0:1]
	s_cbranch_vccnz .LBB278_99
; %bb.94:
	v_mov_b64_e32 v[6:7], s[14:15]
	v_mad_u64_u32 v[4:5], s[34:35], v28, s12, v[6:7]
	v_mul_lo_u32 v30, v28, s13
	v_mul_lo_u32 v31, v12, s12
	v_add3_u32 v5, v31, v5, v30
	v_mad_u64_u32 v[6:7], s[34:35], v29, s12, v[6:7]
	v_mul_lo_u32 v30, v29, s13
	v_mul_lo_u32 v31, v13, s12
	v_add3_u32 v7, v31, v7, v30
	s_mov_b64 s[34:35], 0
	s_mov_b64 s[40:41], s[12:13]
                                        ; implicit-def: $sgpr36_sgpr37
                                        ; implicit-def: $sgpr38_sgpr39
                                        ; implicit-def: $sgpr42_sgpr43
                                        ; implicit-def: $sgpr44_sgpr45
	s_branch .LBB278_96
.LBB278_95:                             ;   in Loop: Header=BB278_96 Depth=1
	s_or_b64 exec, exec, s[48:49]
	s_and_b64 s[48:49], exec, s[38:39]
	s_or_b64 s[34:35], s[48:49], s[34:35]
	s_andn2_b64 s[44:45], s[44:45], exec
	s_and_b64 s[46:47], s[46:47], exec
	s_or_b64 s[44:45], s[44:45], s[46:47]
	s_andn2_b64 s[36:37], s[36:37], exec
	s_and_b64 s[46:47], s[42:43], exec
	s_or_b64 s[36:37], s[36:37], s[46:47]
	s_andn2_b64 exec, exec, s[34:35]
	s_cbranch_execz .LBB278_98
.LBB278_96:                             ; =>This Inner Loop Header: Depth=1
	global_load_ubyte v30, v[4:5], off
	global_load_ubyte v31, v[6:7], off
	s_andn2_b64 s[42:43], s[42:43], exec
	s_or_b64 s[38:39], s[38:39], exec
	s_waitcnt vmcnt(0)
	v_cmp_le_i16_sdwa s[48:49], sext(v30), sext(v31) src0_sel:BYTE_0 src1_sel:BYTE_0
	v_cmp_lt_i16_sdwa s[46:47], sext(v30), sext(v31) src0_sel:BYTE_0 src1_sel:BYTE_0
	s_and_b64 s[48:49], s[48:49], s[44:45]
	s_or_b64 s[46:47], s[46:47], s[48:49]
	s_and_b64 s[48:49], s[46:47], exec
	v_cmp_eq_u16_sdwa s[50:51], v30, v31 src0_sel:BYTE_0 src1_sel:BYTE_0
	s_or_b64 s[42:43], s[42:43], s[48:49]
	s_and_saveexec_b64 s[48:49], s[50:51]
	s_cbranch_execz .LBB278_95
; %bb.97:                               ;   in Loop: Header=BB278_96 Depth=1
	s_add_u32 s40, s40, -1
	s_addc_u32 s41, s41, -1
	s_cmp_eq_u64 s[40:41], 0
	s_cselect_b64 s[44:45], -1, 0
	s_andn2_b64 s[38:39], s[38:39], exec
	s_and_b64 s[44:45], s[44:45], exec
	v_lshl_add_u64 v[4:5], v[4:5], 0, 1
	v_lshl_add_u64 v[6:7], v[6:7], 0, 1
	s_andn2_b64 s[42:43], s[42:43], exec
	s_or_b64 s[38:39], s[38:39], s[44:45]
                                        ; implicit-def: $sgpr44_sgpr45
	s_branch .LBB278_95
.LBB278_98:
	s_or_b64 exec, exec, s[34:35]
	s_xor_b64 s[34:35], s[36:37], -1
	s_branch .LBB278_100
.LBB278_99:
	s_mov_b64 s[34:35], -1
.LBB278_100:
	s_and_b64 s[34:35], s[34:35], exec
.LBB278_101:
	s_or_b64 exec, exec, s[28:29]
	s_orn2_b64 s[28:29], s[34:35], exec
.LBB278_102:
	s_or_b64 exec, exec, s[30:31]
	v_mov_b32_e32 v5, s33
	v_mov_b32_e32 v6, s5
	v_cndmask_b32_e64 v4, v32, v36, s[28:29]
	v_cndmask_b32_e64 v5, v5, v6, s[28:29]
	v_add_u32_e32 v6, 1, v4
	v_add_u32_e32 v4, -1, v5
	v_min_u32_e32 v4, v6, v4
	v_lshlrev_b32_e32 v4, 3, v4
	ds_read_b64 v[4:5], v4
	v_cndmask_b32_e64 v33, v6, v32, s[28:29]
	v_cndmask_b32_e64 v32, v36, v6, s[28:29]
	v_cmp_gt_u32_e32 vcc, s33, v33
	s_waitcnt lgkmcnt(0)
	v_cndmask_b32_e64 v30, v5, v12, s[28:29]
	v_cndmask_b32_e64 v31, v4, v28, s[28:29]
	;; [unrolled: 1-line block ×4, first 2 shown]
	s_and_saveexec_b64 s[30:31], vcc
	s_cbranch_execz .LBB278_113
; %bb.103:
	v_cmp_gt_u32_e32 vcc, s5, v32
	s_mov_b64 s[34:35], 0
	s_and_saveexec_b64 s[26:27], vcc
	s_cbranch_execz .LBB278_112
; %bb.104:
	s_andn2_b64 vcc, exec, s[0:1]
	s_cbranch_vccnz .LBB278_110
; %bb.105:
	v_mov_b64_e32 v[6:7], s[14:15]
	v_mad_u64_u32 v[4:5], s[34:35], v31, s12, v[6:7]
	v_mul_lo_u32 v36, v31, s13
	v_mul_lo_u32 v37, v30, s12
	v_add3_u32 v5, v37, v5, v36
	v_mad_u64_u32 v[6:7], s[34:35], v35, s12, v[6:7]
	v_mul_lo_u32 v36, v35, s13
	v_mul_lo_u32 v37, v34, s12
	v_add3_u32 v7, v37, v7, v36
	s_mov_b64 s[34:35], 0
	s_mov_b64 s[40:41], s[12:13]
                                        ; implicit-def: $sgpr36_sgpr37
                                        ; implicit-def: $sgpr38_sgpr39
                                        ; implicit-def: $sgpr42_sgpr43
                                        ; implicit-def: $sgpr44_sgpr45
	s_branch .LBB278_107
.LBB278_106:                            ;   in Loop: Header=BB278_107 Depth=1
	s_or_b64 exec, exec, s[48:49]
	s_and_b64 s[48:49], exec, s[38:39]
	s_or_b64 s[34:35], s[48:49], s[34:35]
	s_andn2_b64 s[44:45], s[44:45], exec
	s_and_b64 s[46:47], s[46:47], exec
	s_or_b64 s[44:45], s[44:45], s[46:47]
	s_andn2_b64 s[36:37], s[36:37], exec
	s_and_b64 s[46:47], s[42:43], exec
	s_or_b64 s[36:37], s[36:37], s[46:47]
	s_andn2_b64 exec, exec, s[34:35]
	s_cbranch_execz .LBB278_109
.LBB278_107:                            ; =>This Inner Loop Header: Depth=1
	global_load_ubyte v36, v[4:5], off
	global_load_ubyte v37, v[6:7], off
	s_andn2_b64 s[42:43], s[42:43], exec
	s_or_b64 s[38:39], s[38:39], exec
	s_waitcnt vmcnt(0)
	v_cmp_le_i16_sdwa s[48:49], sext(v36), sext(v37) src0_sel:BYTE_0 src1_sel:BYTE_0
	v_cmp_lt_i16_sdwa s[46:47], sext(v36), sext(v37) src0_sel:BYTE_0 src1_sel:BYTE_0
	s_and_b64 s[48:49], s[48:49], s[44:45]
	s_or_b64 s[46:47], s[46:47], s[48:49]
	s_and_b64 s[48:49], s[46:47], exec
	v_cmp_eq_u16_sdwa s[50:51], v36, v37 src0_sel:BYTE_0 src1_sel:BYTE_0
	s_or_b64 s[42:43], s[42:43], s[48:49]
	s_and_saveexec_b64 s[48:49], s[50:51]
	s_cbranch_execz .LBB278_106
; %bb.108:                              ;   in Loop: Header=BB278_107 Depth=1
	s_add_u32 s40, s40, -1
	s_addc_u32 s41, s41, -1
	s_cmp_eq_u64 s[40:41], 0
	s_cselect_b64 s[44:45], -1, 0
	s_andn2_b64 s[38:39], s[38:39], exec
	s_and_b64 s[44:45], s[44:45], exec
	v_lshl_add_u64 v[4:5], v[4:5], 0, 1
	v_lshl_add_u64 v[6:7], v[6:7], 0, 1
	s_andn2_b64 s[42:43], s[42:43], exec
	s_or_b64 s[38:39], s[38:39], s[44:45]
                                        ; implicit-def: $sgpr44_sgpr45
	s_branch .LBB278_106
.LBB278_109:
	s_or_b64 exec, exec, s[34:35]
	s_xor_b64 s[34:35], s[36:37], -1
	s_branch .LBB278_111
.LBB278_110:
	s_mov_b64 s[34:35], -1
.LBB278_111:
	s_and_b64 s[34:35], s[34:35], exec
.LBB278_112:
	s_or_b64 exec, exec, s[26:27]
	s_orn2_b64 s[26:27], s[34:35], exec
.LBB278_113:
	s_or_b64 exec, exec, s[30:31]
	v_cndmask_b32_e64 v5, v1, v17, s[18:19]
	v_cndmask_b32_e64 v4, v16, v19, s[18:19]
	v_mov_b32_e32 v16, s33
	v_mov_b32_e32 v17, s5
	v_cndmask_b32_e64 v1, v33, v32, s[26:27]
	v_cndmask_b32_e64 v16, v16, v17, s[26:27]
	v_add_u32_e32 v1, 1, v1
	v_add_u32_e32 v16, -1, v16
	v_min_u32_e32 v16, v1, v16
	v_lshlrev_b32_e32 v16, 3, v16
	v_cndmask_b32_e64 v7, v20, v22, s[20:21]
	v_cndmask_b32_e64 v6, v21, v23, s[20:21]
	ds_read_b64 v[20:21], v16
	v_cndmask_b32_e64 v19, v1, v33, s[26:27]
	v_cndmask_b32_e64 v13, v12, v13, s[28:29]
	;; [unrolled: 1-line block ×11, first 2 shown]
	s_waitcnt lgkmcnt(0)
	v_cndmask_b32_e64 v17, v34, v21, s[26:27]
	v_cndmask_b32_e64 v16, v35, v20, s[26:27]
	v_cmp_gt_u32_e32 vcc, s33, v19
	s_and_saveexec_b64 s[8:9], vcc
	s_cbranch_execz .LBB278_123
; %bb.114:
	v_cndmask_b32_e64 v1, v32, v1, s[26:27]
	v_cndmask_b32_e64 v21, v21, v30, s[26:27]
	;; [unrolled: 1-line block ×3, first 2 shown]
	v_cmp_gt_u32_e32 vcc, s5, v1
	s_and_saveexec_b64 s[18:19], vcc
	s_cbranch_execz .LBB278_122
; %bb.115:
	s_andn2_b64 vcc, exec, s[0:1]
	s_cbranch_vccnz .LBB278_121
; %bb.116:
	v_mov_b64_e32 v[24:25], s[14:15]
	v_mad_u64_u32 v[22:23], s[0:1], v20, s12, v[24:25]
	v_mul_lo_u32 v1, v20, s13
	v_mul_lo_u32 v19, v21, s12
	v_add3_u32 v23, v19, v23, v1
	v_mad_u64_u32 v[24:25], s[0:1], v16, s12, v[24:25]
	v_mul_lo_u32 v1, v16, s13
	v_mul_lo_u32 v19, v17, s12
	v_add3_u32 v25, v19, v25, v1
	s_mov_b64 s[0:1], 0
                                        ; implicit-def: $sgpr14_sgpr15
                                        ; implicit-def: $sgpr20_sgpr21
                                        ; implicit-def: $sgpr22_sgpr23
                                        ; implicit-def: $sgpr24_sgpr25
	s_branch .LBB278_118
.LBB278_117:                            ;   in Loop: Header=BB278_118 Depth=1
	s_or_b64 exec, exec, s[28:29]
	s_and_b64 s[28:29], exec, s[20:21]
	s_or_b64 s[0:1], s[28:29], s[0:1]
	s_andn2_b64 s[24:25], s[24:25], exec
	s_and_b64 s[26:27], s[26:27], exec
	s_or_b64 s[24:25], s[24:25], s[26:27]
	s_andn2_b64 s[14:15], s[14:15], exec
	s_and_b64 s[26:27], s[22:23], exec
	s_or_b64 s[14:15], s[14:15], s[26:27]
	s_andn2_b64 exec, exec, s[0:1]
	s_cbranch_execz .LBB278_120
.LBB278_118:                            ; =>This Inner Loop Header: Depth=1
	global_load_ubyte v1, v[22:23], off
	global_load_ubyte v19, v[24:25], off
	s_andn2_b64 s[22:23], s[22:23], exec
	s_or_b64 s[20:21], s[20:21], exec
	s_waitcnt vmcnt(0)
	v_cmp_le_i16_sdwa s[28:29], sext(v1), sext(v19) src0_sel:BYTE_0 src1_sel:BYTE_0
	v_cmp_lt_i16_sdwa s[26:27], sext(v1), sext(v19) src0_sel:BYTE_0 src1_sel:BYTE_0
	s_and_b64 s[28:29], s[28:29], s[24:25]
	s_or_b64 s[26:27], s[26:27], s[28:29]
	s_and_b64 s[28:29], s[26:27], exec
	v_cmp_eq_u16_sdwa s[30:31], v1, v19 src0_sel:BYTE_0 src1_sel:BYTE_0
	s_or_b64 s[22:23], s[22:23], s[28:29]
	s_and_saveexec_b64 s[28:29], s[30:31]
	s_cbranch_execz .LBB278_117
; %bb.119:                              ;   in Loop: Header=BB278_118 Depth=1
	s_add_u32 s12, s12, -1
	s_addc_u32 s13, s13, -1
	s_cmp_eq_u64 s[12:13], 0
	s_cselect_b64 s[24:25], -1, 0
	s_andn2_b64 s[20:21], s[20:21], exec
	s_and_b64 s[24:25], s[24:25], exec
	v_lshl_add_u64 v[22:23], v[22:23], 0, 1
	v_lshl_add_u64 v[24:25], v[24:25], 0, 1
	s_andn2_b64 s[22:23], s[22:23], exec
	s_or_b64 s[20:21], s[20:21], s[24:25]
                                        ; implicit-def: $sgpr24_sgpr25
	s_branch .LBB278_117
.LBB278_120:
	s_or_b64 exec, exec, s[0:1]
	v_cndmask_b32_e64 v17, v17, v21, s[14:15]
	v_cndmask_b32_e64 v16, v16, v20, s[14:15]
.LBB278_121:
	v_mov_b64_e32 v[20:21], v[16:17]
.LBB278_122:
	s_or_b64 exec, exec, s[18:19]
	v_mov_b64_e32 v[16:17], v[20:21]
.LBB278_123:
	s_or_b64 exec, exec, s[8:9]
.LBB278_124:
	s_or_b64 exec, exec, s[2:3]
	v_lshrrev_b32_e32 v1, 2, v0
	v_lshlrev_b32_e32 v19, 3, v18
	v_lshl_add_u32 v19, v1, 3, v19
	v_and_b32_e32 v1, 24, v1
	v_or_b32_e32 v23, 0x80, v0
	v_add_u32_e32 v24, v1, v18
	v_lshrrev_b32_e32 v1, 2, v23
	v_and_b32_e32 v1, 56, v1
	v_or_b32_e32 v22, 0x100, v0
	s_barrier
	s_barrier
	ds_write2_b64 v19, v[2:3], v[4:5] offset1:1
	ds_write2_b64 v19, v[6:7], v[8:9] offset0:2 offset1:3
	ds_write2_b64 v19, v[10:11], v[12:13] offset0:4 offset1:5
	;; [unrolled: 1-line block ×3, first 2 shown]
	v_add_u32_e32 v4, v1, v18
	v_lshrrev_b32_e32 v1, 2, v22
	v_and_b32_e32 v1, 0x58, v1
	v_or_b32_e32 v21, 0x180, v0
	v_add_u32_e32 v5, v1, v18
	v_lshrrev_b32_e32 v1, 2, v21
	v_and_b32_e32 v1, 0x78, v1
	v_or_b32_e32 v20, 0x200, v0
	;; [unrolled: 4-line block ×4, first 2 shown]
	v_add_u32_e32 v25, v1, v18
	v_lshrrev_b32_e32 v1, 2, v16
	v_and_b32_e32 v1, 0xd8, v1
	s_lshl_b64 s[0:1], s[16:17], 3
	v_add_u32_e32 v26, v1, v18
	v_or_b32_e32 v1, 0x380, v0
	s_add_u32 s0, s10, s0
	v_lshrrev_b32_e32 v2, 2, v1
	s_addc_u32 s1, s11, s1
	v_and_b32_e32 v2, 0xf8, v2
	v_mov_b32_e32 v19, 0
	v_add_u32_e32 v27, v2, v18
	v_lshl_add_u64 v[2:3], s[0:1], 0, v[18:19]
	s_and_b64 vcc, exec, s[6:7]
	s_waitcnt lgkmcnt(0)
	s_cbranch_vccz .LBB278_126
; %bb.125:
	s_barrier
	ds_read_b64 v[8:9], v24
	ds_read_b64 v[10:11], v4 offset:1024
	ds_read_b64 v[12:13], v5 offset:2048
	;; [unrolled: 1-line block ×7, first 2 shown]
	s_waitcnt lgkmcnt(7)
	global_store_dwordx2 v[2:3], v[8:9], off
	s_waitcnt lgkmcnt(6)
	global_store_dwordx2 v[2:3], v[10:11], off offset:1024
	s_waitcnt lgkmcnt(5)
	global_store_dwordx2 v[2:3], v[12:13], off offset:2048
	;; [unrolled: 2-line block ×3, first 2 shown]
	v_add_co_u32_e32 v8, vcc, 0x1000, v2
	s_nop 1
	v_addc_co_u32_e32 v9, vcc, 0, v3, vcc
	s_waitcnt lgkmcnt(3)
	global_store_dwordx2 v[8:9], v[28:29], off
	s_waitcnt lgkmcnt(2)
	global_store_dwordx2 v[8:9], v[30:31], off offset:1024
	s_waitcnt lgkmcnt(1)
	global_store_dwordx2 v[8:9], v[32:33], off offset:2048
	s_mov_b64 s[0:1], -1
	s_cbranch_execz .LBB278_127
	s_branch .LBB278_136
.LBB278_126:
	s_mov_b64 s[0:1], 0
                                        ; implicit-def: $vgpr18_vgpr19
.LBB278_127:
	s_barrier
	s_waitcnt lgkmcnt(0)
	ds_read_b64 v[14:15], v4 offset:1024
	ds_read_b64 v[12:13], v5 offset:2048
	;; [unrolled: 1-line block ×7, first 2 shown]
	s_sub_i32 s2, s4, s16
	v_cmp_gt_u32_e32 vcc, s2, v0
	s_and_saveexec_b64 s[0:1], vcc
	s_cbranch_execnz .LBB278_139
; %bb.128:
	s_or_b64 exec, exec, s[0:1]
	v_cmp_gt_u32_e32 vcc, s2, v23
	s_and_saveexec_b64 s[0:1], vcc
	s_cbranch_execnz .LBB278_140
.LBB278_129:
	s_or_b64 exec, exec, s[0:1]
	v_cmp_gt_u32_e32 vcc, s2, v22
	s_and_saveexec_b64 s[0:1], vcc
	s_cbranch_execnz .LBB278_141
.LBB278_130:
	s_or_b64 exec, exec, s[0:1]
	v_cmp_gt_u32_e32 vcc, s2, v21
	s_and_saveexec_b64 s[0:1], vcc
	s_cbranch_execnz .LBB278_142
.LBB278_131:
	s_or_b64 exec, exec, s[0:1]
	v_cmp_gt_u32_e32 vcc, s2, v20
	s_and_saveexec_b64 s[0:1], vcc
	s_cbranch_execnz .LBB278_143
.LBB278_132:
	s_or_b64 exec, exec, s[0:1]
	v_cmp_gt_u32_e32 vcc, s2, v17
	s_and_saveexec_b64 s[0:1], vcc
	s_cbranch_execnz .LBB278_144
.LBB278_133:
	s_or_b64 exec, exec, s[0:1]
	v_cmp_gt_u32_e32 vcc, s2, v16
	s_and_saveexec_b64 s[0:1], vcc
	s_cbranch_execz .LBB278_135
.LBB278_134:
	s_waitcnt lgkmcnt(2)
	v_add_co_u32_e32 v6, vcc, 0x1000, v2
	s_nop 1
	v_addc_co_u32_e32 v7, vcc, 0, v3, vcc
	s_waitcnt lgkmcnt(1)
	global_store_dwordx2 v[6:7], v[4:5], off offset:2048
.LBB278_135:
	s_or_b64 exec, exec, s[0:1]
	v_cmp_gt_u32_e64 s[0:1], s2, v1
.LBB278_136:
	s_and_saveexec_b64 s[2:3], s[0:1]
	s_cbranch_execz .LBB278_138
; %bb.137:
	v_add_co_u32_e32 v0, vcc, 0x1000, v2
	s_nop 1
	v_addc_co_u32_e32 v1, vcc, 0, v3, vcc
	s_waitcnt lgkmcnt(0)
	global_store_dwordx2 v[0:1], v[18:19], off offset:3072
.LBB278_138:
	s_endpgm
.LBB278_139:
	ds_read_b64 v[24:25], v24
	s_waitcnt lgkmcnt(0)
	global_store_dwordx2 v[2:3], v[24:25], off
	s_or_b64 exec, exec, s[0:1]
	v_cmp_gt_u32_e32 vcc, s2, v23
	s_and_saveexec_b64 s[0:1], vcc
	s_cbranch_execz .LBB278_129
.LBB278_140:
	s_waitcnt lgkmcnt(6)
	global_store_dwordx2 v[2:3], v[14:15], off offset:1024
	s_or_b64 exec, exec, s[0:1]
	v_cmp_gt_u32_e32 vcc, s2, v22
	s_and_saveexec_b64 s[0:1], vcc
	s_cbranch_execz .LBB278_130
.LBB278_141:
	s_waitcnt lgkmcnt(5)
	global_store_dwordx2 v[2:3], v[12:13], off offset:2048
	s_or_b64 exec, exec, s[0:1]
	v_cmp_gt_u32_e32 vcc, s2, v21
	s_and_saveexec_b64 s[0:1], vcc
	s_cbranch_execz .LBB278_131
.LBB278_142:
	s_waitcnt lgkmcnt(4)
	global_store_dwordx2 v[2:3], v[10:11], off offset:3072
	s_or_b64 exec, exec, s[0:1]
	v_cmp_gt_u32_e32 vcc, s2, v20
	s_and_saveexec_b64 s[0:1], vcc
	s_cbranch_execz .LBB278_132
.LBB278_143:
	s_waitcnt lgkmcnt(4)
	v_add_co_u32_e32 v10, vcc, 0x1000, v2
	s_nop 1
	v_addc_co_u32_e32 v11, vcc, 0, v3, vcc
	s_waitcnt lgkmcnt(3)
	global_store_dwordx2 v[10:11], v[8:9], off
	s_or_b64 exec, exec, s[0:1]
	v_cmp_gt_u32_e32 vcc, s2, v17
	s_and_saveexec_b64 s[0:1], vcc
	s_cbranch_execz .LBB278_133
.LBB278_144:
	s_waitcnt lgkmcnt(3)
	v_add_co_u32_e32 v8, vcc, 0x1000, v2
	s_nop 1
	v_addc_co_u32_e32 v9, vcc, 0, v3, vcc
	s_waitcnt lgkmcnt(2)
	global_store_dwordx2 v[8:9], v[6:7], off offset:1024
	s_or_b64 exec, exec, s[0:1]
	v_cmp_gt_u32_e32 vcc, s2, v16
	s_and_saveexec_b64 s[0:1], vcc
	s_cbranch_execnz .LBB278_134
	s_branch .LBB278_135
	.section	.rodata,"a",@progbits
	.p2align	6, 0x0
	.amdhsa_kernel _ZN7rocprim17ROCPRIM_400000_NS6detail17trampoline_kernelINS0_14default_configENS1_38merge_sort_block_merge_config_selectorIlNS0_10empty_typeEEEZZNS1_27merge_sort_block_merge_implIS3_PlPS5_mZN2at6native12_GLOBAL__N_124unique_dim_cuda_templateIaEESt5tupleIJNSA_6TensorESF_SF_EERKSF_lbbbEUlllE_EE10hipError_tT0_T1_T2_jT3_P12ihipStream_tbPNSt15iterator_traitsISL_E10value_typeEPNSR_ISM_E10value_typeEPSN_NS1_7vsmem_tEENKUlT_SL_SM_SN_E_clIS8_S8_S9_S9_EESK_S10_SL_SM_SN_EUlS10_E0_NS1_11comp_targetILNS1_3genE0ELNS1_11target_archE4294967295ELNS1_3gpuE0ELNS1_3repE0EEENS1_38merge_mergepath_config_static_selectorELNS0_4arch9wavefront6targetE1EEEvSM_
		.amdhsa_group_segment_fixed_size 8448
		.amdhsa_private_segment_fixed_size 0
		.amdhsa_kernarg_size 344
		.amdhsa_user_sgpr_count 2
		.amdhsa_user_sgpr_dispatch_ptr 0
		.amdhsa_user_sgpr_queue_ptr 0
		.amdhsa_user_sgpr_kernarg_segment_ptr 1
		.amdhsa_user_sgpr_dispatch_id 0
		.amdhsa_user_sgpr_kernarg_preload_length 0
		.amdhsa_user_sgpr_kernarg_preload_offset 0
		.amdhsa_user_sgpr_private_segment_size 0
		.amdhsa_uses_dynamic_stack 0
		.amdhsa_enable_private_segment 0
		.amdhsa_system_sgpr_workgroup_id_x 1
		.amdhsa_system_sgpr_workgroup_id_y 1
		.amdhsa_system_sgpr_workgroup_id_z 1
		.amdhsa_system_sgpr_workgroup_info 0
		.amdhsa_system_vgpr_workitem_id 0
		.amdhsa_next_free_vgpr 38
		.amdhsa_next_free_sgpr 52
		.amdhsa_accum_offset 40
		.amdhsa_reserve_vcc 1
		.amdhsa_float_round_mode_32 0
		.amdhsa_float_round_mode_16_64 0
		.amdhsa_float_denorm_mode_32 3
		.amdhsa_float_denorm_mode_16_64 3
		.amdhsa_dx10_clamp 1
		.amdhsa_ieee_mode 1
		.amdhsa_fp16_overflow 0
		.amdhsa_tg_split 0
		.amdhsa_exception_fp_ieee_invalid_op 0
		.amdhsa_exception_fp_denorm_src 0
		.amdhsa_exception_fp_ieee_div_zero 0
		.amdhsa_exception_fp_ieee_overflow 0
		.amdhsa_exception_fp_ieee_underflow 0
		.amdhsa_exception_fp_ieee_inexact 0
		.amdhsa_exception_int_div_zero 0
	.end_amdhsa_kernel
	.section	.text._ZN7rocprim17ROCPRIM_400000_NS6detail17trampoline_kernelINS0_14default_configENS1_38merge_sort_block_merge_config_selectorIlNS0_10empty_typeEEEZZNS1_27merge_sort_block_merge_implIS3_PlPS5_mZN2at6native12_GLOBAL__N_124unique_dim_cuda_templateIaEESt5tupleIJNSA_6TensorESF_SF_EERKSF_lbbbEUlllE_EE10hipError_tT0_T1_T2_jT3_P12ihipStream_tbPNSt15iterator_traitsISL_E10value_typeEPNSR_ISM_E10value_typeEPSN_NS1_7vsmem_tEENKUlT_SL_SM_SN_E_clIS8_S8_S9_S9_EESK_S10_SL_SM_SN_EUlS10_E0_NS1_11comp_targetILNS1_3genE0ELNS1_11target_archE4294967295ELNS1_3gpuE0ELNS1_3repE0EEENS1_38merge_mergepath_config_static_selectorELNS0_4arch9wavefront6targetE1EEEvSM_,"axG",@progbits,_ZN7rocprim17ROCPRIM_400000_NS6detail17trampoline_kernelINS0_14default_configENS1_38merge_sort_block_merge_config_selectorIlNS0_10empty_typeEEEZZNS1_27merge_sort_block_merge_implIS3_PlPS5_mZN2at6native12_GLOBAL__N_124unique_dim_cuda_templateIaEESt5tupleIJNSA_6TensorESF_SF_EERKSF_lbbbEUlllE_EE10hipError_tT0_T1_T2_jT3_P12ihipStream_tbPNSt15iterator_traitsISL_E10value_typeEPNSR_ISM_E10value_typeEPSN_NS1_7vsmem_tEENKUlT_SL_SM_SN_E_clIS8_S8_S9_S9_EESK_S10_SL_SM_SN_EUlS10_E0_NS1_11comp_targetILNS1_3genE0ELNS1_11target_archE4294967295ELNS1_3gpuE0ELNS1_3repE0EEENS1_38merge_mergepath_config_static_selectorELNS0_4arch9wavefront6targetE1EEEvSM_,comdat
.Lfunc_end278:
	.size	_ZN7rocprim17ROCPRIM_400000_NS6detail17trampoline_kernelINS0_14default_configENS1_38merge_sort_block_merge_config_selectorIlNS0_10empty_typeEEEZZNS1_27merge_sort_block_merge_implIS3_PlPS5_mZN2at6native12_GLOBAL__N_124unique_dim_cuda_templateIaEESt5tupleIJNSA_6TensorESF_SF_EERKSF_lbbbEUlllE_EE10hipError_tT0_T1_T2_jT3_P12ihipStream_tbPNSt15iterator_traitsISL_E10value_typeEPNSR_ISM_E10value_typeEPSN_NS1_7vsmem_tEENKUlT_SL_SM_SN_E_clIS8_S8_S9_S9_EESK_S10_SL_SM_SN_EUlS10_E0_NS1_11comp_targetILNS1_3genE0ELNS1_11target_archE4294967295ELNS1_3gpuE0ELNS1_3repE0EEENS1_38merge_mergepath_config_static_selectorELNS0_4arch9wavefront6targetE1EEEvSM_, .Lfunc_end278-_ZN7rocprim17ROCPRIM_400000_NS6detail17trampoline_kernelINS0_14default_configENS1_38merge_sort_block_merge_config_selectorIlNS0_10empty_typeEEEZZNS1_27merge_sort_block_merge_implIS3_PlPS5_mZN2at6native12_GLOBAL__N_124unique_dim_cuda_templateIaEESt5tupleIJNSA_6TensorESF_SF_EERKSF_lbbbEUlllE_EE10hipError_tT0_T1_T2_jT3_P12ihipStream_tbPNSt15iterator_traitsISL_E10value_typeEPNSR_ISM_E10value_typeEPSN_NS1_7vsmem_tEENKUlT_SL_SM_SN_E_clIS8_S8_S9_S9_EESK_S10_SL_SM_SN_EUlS10_E0_NS1_11comp_targetILNS1_3genE0ELNS1_11target_archE4294967295ELNS1_3gpuE0ELNS1_3repE0EEENS1_38merge_mergepath_config_static_selectorELNS0_4arch9wavefront6targetE1EEEvSM_
                                        ; -- End function
	.set _ZN7rocprim17ROCPRIM_400000_NS6detail17trampoline_kernelINS0_14default_configENS1_38merge_sort_block_merge_config_selectorIlNS0_10empty_typeEEEZZNS1_27merge_sort_block_merge_implIS3_PlPS5_mZN2at6native12_GLOBAL__N_124unique_dim_cuda_templateIaEESt5tupleIJNSA_6TensorESF_SF_EERKSF_lbbbEUlllE_EE10hipError_tT0_T1_T2_jT3_P12ihipStream_tbPNSt15iterator_traitsISL_E10value_typeEPNSR_ISM_E10value_typeEPSN_NS1_7vsmem_tEENKUlT_SL_SM_SN_E_clIS8_S8_S9_S9_EESK_S10_SL_SM_SN_EUlS10_E0_NS1_11comp_targetILNS1_3genE0ELNS1_11target_archE4294967295ELNS1_3gpuE0ELNS1_3repE0EEENS1_38merge_mergepath_config_static_selectorELNS0_4arch9wavefront6targetE1EEEvSM_.num_vgpr, 38
	.set _ZN7rocprim17ROCPRIM_400000_NS6detail17trampoline_kernelINS0_14default_configENS1_38merge_sort_block_merge_config_selectorIlNS0_10empty_typeEEEZZNS1_27merge_sort_block_merge_implIS3_PlPS5_mZN2at6native12_GLOBAL__N_124unique_dim_cuda_templateIaEESt5tupleIJNSA_6TensorESF_SF_EERKSF_lbbbEUlllE_EE10hipError_tT0_T1_T2_jT3_P12ihipStream_tbPNSt15iterator_traitsISL_E10value_typeEPNSR_ISM_E10value_typeEPSN_NS1_7vsmem_tEENKUlT_SL_SM_SN_E_clIS8_S8_S9_S9_EESK_S10_SL_SM_SN_EUlS10_E0_NS1_11comp_targetILNS1_3genE0ELNS1_11target_archE4294967295ELNS1_3gpuE0ELNS1_3repE0EEENS1_38merge_mergepath_config_static_selectorELNS0_4arch9wavefront6targetE1EEEvSM_.num_agpr, 0
	.set _ZN7rocprim17ROCPRIM_400000_NS6detail17trampoline_kernelINS0_14default_configENS1_38merge_sort_block_merge_config_selectorIlNS0_10empty_typeEEEZZNS1_27merge_sort_block_merge_implIS3_PlPS5_mZN2at6native12_GLOBAL__N_124unique_dim_cuda_templateIaEESt5tupleIJNSA_6TensorESF_SF_EERKSF_lbbbEUlllE_EE10hipError_tT0_T1_T2_jT3_P12ihipStream_tbPNSt15iterator_traitsISL_E10value_typeEPNSR_ISM_E10value_typeEPSN_NS1_7vsmem_tEENKUlT_SL_SM_SN_E_clIS8_S8_S9_S9_EESK_S10_SL_SM_SN_EUlS10_E0_NS1_11comp_targetILNS1_3genE0ELNS1_11target_archE4294967295ELNS1_3gpuE0ELNS1_3repE0EEENS1_38merge_mergepath_config_static_selectorELNS0_4arch9wavefront6targetE1EEEvSM_.numbered_sgpr, 52
	.set _ZN7rocprim17ROCPRIM_400000_NS6detail17trampoline_kernelINS0_14default_configENS1_38merge_sort_block_merge_config_selectorIlNS0_10empty_typeEEEZZNS1_27merge_sort_block_merge_implIS3_PlPS5_mZN2at6native12_GLOBAL__N_124unique_dim_cuda_templateIaEESt5tupleIJNSA_6TensorESF_SF_EERKSF_lbbbEUlllE_EE10hipError_tT0_T1_T2_jT3_P12ihipStream_tbPNSt15iterator_traitsISL_E10value_typeEPNSR_ISM_E10value_typeEPSN_NS1_7vsmem_tEENKUlT_SL_SM_SN_E_clIS8_S8_S9_S9_EESK_S10_SL_SM_SN_EUlS10_E0_NS1_11comp_targetILNS1_3genE0ELNS1_11target_archE4294967295ELNS1_3gpuE0ELNS1_3repE0EEENS1_38merge_mergepath_config_static_selectorELNS0_4arch9wavefront6targetE1EEEvSM_.num_named_barrier, 0
	.set _ZN7rocprim17ROCPRIM_400000_NS6detail17trampoline_kernelINS0_14default_configENS1_38merge_sort_block_merge_config_selectorIlNS0_10empty_typeEEEZZNS1_27merge_sort_block_merge_implIS3_PlPS5_mZN2at6native12_GLOBAL__N_124unique_dim_cuda_templateIaEESt5tupleIJNSA_6TensorESF_SF_EERKSF_lbbbEUlllE_EE10hipError_tT0_T1_T2_jT3_P12ihipStream_tbPNSt15iterator_traitsISL_E10value_typeEPNSR_ISM_E10value_typeEPSN_NS1_7vsmem_tEENKUlT_SL_SM_SN_E_clIS8_S8_S9_S9_EESK_S10_SL_SM_SN_EUlS10_E0_NS1_11comp_targetILNS1_3genE0ELNS1_11target_archE4294967295ELNS1_3gpuE0ELNS1_3repE0EEENS1_38merge_mergepath_config_static_selectorELNS0_4arch9wavefront6targetE1EEEvSM_.private_seg_size, 0
	.set _ZN7rocprim17ROCPRIM_400000_NS6detail17trampoline_kernelINS0_14default_configENS1_38merge_sort_block_merge_config_selectorIlNS0_10empty_typeEEEZZNS1_27merge_sort_block_merge_implIS3_PlPS5_mZN2at6native12_GLOBAL__N_124unique_dim_cuda_templateIaEESt5tupleIJNSA_6TensorESF_SF_EERKSF_lbbbEUlllE_EE10hipError_tT0_T1_T2_jT3_P12ihipStream_tbPNSt15iterator_traitsISL_E10value_typeEPNSR_ISM_E10value_typeEPSN_NS1_7vsmem_tEENKUlT_SL_SM_SN_E_clIS8_S8_S9_S9_EESK_S10_SL_SM_SN_EUlS10_E0_NS1_11comp_targetILNS1_3genE0ELNS1_11target_archE4294967295ELNS1_3gpuE0ELNS1_3repE0EEENS1_38merge_mergepath_config_static_selectorELNS0_4arch9wavefront6targetE1EEEvSM_.uses_vcc, 1
	.set _ZN7rocprim17ROCPRIM_400000_NS6detail17trampoline_kernelINS0_14default_configENS1_38merge_sort_block_merge_config_selectorIlNS0_10empty_typeEEEZZNS1_27merge_sort_block_merge_implIS3_PlPS5_mZN2at6native12_GLOBAL__N_124unique_dim_cuda_templateIaEESt5tupleIJNSA_6TensorESF_SF_EERKSF_lbbbEUlllE_EE10hipError_tT0_T1_T2_jT3_P12ihipStream_tbPNSt15iterator_traitsISL_E10value_typeEPNSR_ISM_E10value_typeEPSN_NS1_7vsmem_tEENKUlT_SL_SM_SN_E_clIS8_S8_S9_S9_EESK_S10_SL_SM_SN_EUlS10_E0_NS1_11comp_targetILNS1_3genE0ELNS1_11target_archE4294967295ELNS1_3gpuE0ELNS1_3repE0EEENS1_38merge_mergepath_config_static_selectorELNS0_4arch9wavefront6targetE1EEEvSM_.uses_flat_scratch, 0
	.set _ZN7rocprim17ROCPRIM_400000_NS6detail17trampoline_kernelINS0_14default_configENS1_38merge_sort_block_merge_config_selectorIlNS0_10empty_typeEEEZZNS1_27merge_sort_block_merge_implIS3_PlPS5_mZN2at6native12_GLOBAL__N_124unique_dim_cuda_templateIaEESt5tupleIJNSA_6TensorESF_SF_EERKSF_lbbbEUlllE_EE10hipError_tT0_T1_T2_jT3_P12ihipStream_tbPNSt15iterator_traitsISL_E10value_typeEPNSR_ISM_E10value_typeEPSN_NS1_7vsmem_tEENKUlT_SL_SM_SN_E_clIS8_S8_S9_S9_EESK_S10_SL_SM_SN_EUlS10_E0_NS1_11comp_targetILNS1_3genE0ELNS1_11target_archE4294967295ELNS1_3gpuE0ELNS1_3repE0EEENS1_38merge_mergepath_config_static_selectorELNS0_4arch9wavefront6targetE1EEEvSM_.has_dyn_sized_stack, 0
	.set _ZN7rocprim17ROCPRIM_400000_NS6detail17trampoline_kernelINS0_14default_configENS1_38merge_sort_block_merge_config_selectorIlNS0_10empty_typeEEEZZNS1_27merge_sort_block_merge_implIS3_PlPS5_mZN2at6native12_GLOBAL__N_124unique_dim_cuda_templateIaEESt5tupleIJNSA_6TensorESF_SF_EERKSF_lbbbEUlllE_EE10hipError_tT0_T1_T2_jT3_P12ihipStream_tbPNSt15iterator_traitsISL_E10value_typeEPNSR_ISM_E10value_typeEPSN_NS1_7vsmem_tEENKUlT_SL_SM_SN_E_clIS8_S8_S9_S9_EESK_S10_SL_SM_SN_EUlS10_E0_NS1_11comp_targetILNS1_3genE0ELNS1_11target_archE4294967295ELNS1_3gpuE0ELNS1_3repE0EEENS1_38merge_mergepath_config_static_selectorELNS0_4arch9wavefront6targetE1EEEvSM_.has_recursion, 0
	.set _ZN7rocprim17ROCPRIM_400000_NS6detail17trampoline_kernelINS0_14default_configENS1_38merge_sort_block_merge_config_selectorIlNS0_10empty_typeEEEZZNS1_27merge_sort_block_merge_implIS3_PlPS5_mZN2at6native12_GLOBAL__N_124unique_dim_cuda_templateIaEESt5tupleIJNSA_6TensorESF_SF_EERKSF_lbbbEUlllE_EE10hipError_tT0_T1_T2_jT3_P12ihipStream_tbPNSt15iterator_traitsISL_E10value_typeEPNSR_ISM_E10value_typeEPSN_NS1_7vsmem_tEENKUlT_SL_SM_SN_E_clIS8_S8_S9_S9_EESK_S10_SL_SM_SN_EUlS10_E0_NS1_11comp_targetILNS1_3genE0ELNS1_11target_archE4294967295ELNS1_3gpuE0ELNS1_3repE0EEENS1_38merge_mergepath_config_static_selectorELNS0_4arch9wavefront6targetE1EEEvSM_.has_indirect_call, 0
	.section	.AMDGPU.csdata,"",@progbits
; Kernel info:
; codeLenInByte = 6432
; TotalNumSgprs: 58
; NumVgprs: 38
; NumAgprs: 0
; TotalNumVgprs: 38
; ScratchSize: 0
; MemoryBound: 0
; FloatMode: 240
; IeeeMode: 1
; LDSByteSize: 8448 bytes/workgroup (compile time only)
; SGPRBlocks: 7
; VGPRBlocks: 4
; NumSGPRsForWavesPerEU: 58
; NumVGPRsForWavesPerEU: 38
; AccumOffset: 40
; Occupancy: 8
; WaveLimiterHint : 1
; COMPUTE_PGM_RSRC2:SCRATCH_EN: 0
; COMPUTE_PGM_RSRC2:USER_SGPR: 2
; COMPUTE_PGM_RSRC2:TRAP_HANDLER: 0
; COMPUTE_PGM_RSRC2:TGID_X_EN: 1
; COMPUTE_PGM_RSRC2:TGID_Y_EN: 1
; COMPUTE_PGM_RSRC2:TGID_Z_EN: 1
; COMPUTE_PGM_RSRC2:TIDIG_COMP_CNT: 0
; COMPUTE_PGM_RSRC3_GFX90A:ACCUM_OFFSET: 9
; COMPUTE_PGM_RSRC3_GFX90A:TG_SPLIT: 0
	.section	.text._ZN7rocprim17ROCPRIM_400000_NS6detail17trampoline_kernelINS0_14default_configENS1_38merge_sort_block_merge_config_selectorIlNS0_10empty_typeEEEZZNS1_27merge_sort_block_merge_implIS3_PlPS5_mZN2at6native12_GLOBAL__N_124unique_dim_cuda_templateIaEESt5tupleIJNSA_6TensorESF_SF_EERKSF_lbbbEUlllE_EE10hipError_tT0_T1_T2_jT3_P12ihipStream_tbPNSt15iterator_traitsISL_E10value_typeEPNSR_ISM_E10value_typeEPSN_NS1_7vsmem_tEENKUlT_SL_SM_SN_E_clIS8_S8_S9_S9_EESK_S10_SL_SM_SN_EUlS10_E0_NS1_11comp_targetILNS1_3genE10ELNS1_11target_archE1201ELNS1_3gpuE5ELNS1_3repE0EEENS1_38merge_mergepath_config_static_selectorELNS0_4arch9wavefront6targetE1EEEvSM_,"axG",@progbits,_ZN7rocprim17ROCPRIM_400000_NS6detail17trampoline_kernelINS0_14default_configENS1_38merge_sort_block_merge_config_selectorIlNS0_10empty_typeEEEZZNS1_27merge_sort_block_merge_implIS3_PlPS5_mZN2at6native12_GLOBAL__N_124unique_dim_cuda_templateIaEESt5tupleIJNSA_6TensorESF_SF_EERKSF_lbbbEUlllE_EE10hipError_tT0_T1_T2_jT3_P12ihipStream_tbPNSt15iterator_traitsISL_E10value_typeEPNSR_ISM_E10value_typeEPSN_NS1_7vsmem_tEENKUlT_SL_SM_SN_E_clIS8_S8_S9_S9_EESK_S10_SL_SM_SN_EUlS10_E0_NS1_11comp_targetILNS1_3genE10ELNS1_11target_archE1201ELNS1_3gpuE5ELNS1_3repE0EEENS1_38merge_mergepath_config_static_selectorELNS0_4arch9wavefront6targetE1EEEvSM_,comdat
	.globl	_ZN7rocprim17ROCPRIM_400000_NS6detail17trampoline_kernelINS0_14default_configENS1_38merge_sort_block_merge_config_selectorIlNS0_10empty_typeEEEZZNS1_27merge_sort_block_merge_implIS3_PlPS5_mZN2at6native12_GLOBAL__N_124unique_dim_cuda_templateIaEESt5tupleIJNSA_6TensorESF_SF_EERKSF_lbbbEUlllE_EE10hipError_tT0_T1_T2_jT3_P12ihipStream_tbPNSt15iterator_traitsISL_E10value_typeEPNSR_ISM_E10value_typeEPSN_NS1_7vsmem_tEENKUlT_SL_SM_SN_E_clIS8_S8_S9_S9_EESK_S10_SL_SM_SN_EUlS10_E0_NS1_11comp_targetILNS1_3genE10ELNS1_11target_archE1201ELNS1_3gpuE5ELNS1_3repE0EEENS1_38merge_mergepath_config_static_selectorELNS0_4arch9wavefront6targetE1EEEvSM_ ; -- Begin function _ZN7rocprim17ROCPRIM_400000_NS6detail17trampoline_kernelINS0_14default_configENS1_38merge_sort_block_merge_config_selectorIlNS0_10empty_typeEEEZZNS1_27merge_sort_block_merge_implIS3_PlPS5_mZN2at6native12_GLOBAL__N_124unique_dim_cuda_templateIaEESt5tupleIJNSA_6TensorESF_SF_EERKSF_lbbbEUlllE_EE10hipError_tT0_T1_T2_jT3_P12ihipStream_tbPNSt15iterator_traitsISL_E10value_typeEPNSR_ISM_E10value_typeEPSN_NS1_7vsmem_tEENKUlT_SL_SM_SN_E_clIS8_S8_S9_S9_EESK_S10_SL_SM_SN_EUlS10_E0_NS1_11comp_targetILNS1_3genE10ELNS1_11target_archE1201ELNS1_3gpuE5ELNS1_3repE0EEENS1_38merge_mergepath_config_static_selectorELNS0_4arch9wavefront6targetE1EEEvSM_
	.p2align	8
	.type	_ZN7rocprim17ROCPRIM_400000_NS6detail17trampoline_kernelINS0_14default_configENS1_38merge_sort_block_merge_config_selectorIlNS0_10empty_typeEEEZZNS1_27merge_sort_block_merge_implIS3_PlPS5_mZN2at6native12_GLOBAL__N_124unique_dim_cuda_templateIaEESt5tupleIJNSA_6TensorESF_SF_EERKSF_lbbbEUlllE_EE10hipError_tT0_T1_T2_jT3_P12ihipStream_tbPNSt15iterator_traitsISL_E10value_typeEPNSR_ISM_E10value_typeEPSN_NS1_7vsmem_tEENKUlT_SL_SM_SN_E_clIS8_S8_S9_S9_EESK_S10_SL_SM_SN_EUlS10_E0_NS1_11comp_targetILNS1_3genE10ELNS1_11target_archE1201ELNS1_3gpuE5ELNS1_3repE0EEENS1_38merge_mergepath_config_static_selectorELNS0_4arch9wavefront6targetE1EEEvSM_,@function
_ZN7rocprim17ROCPRIM_400000_NS6detail17trampoline_kernelINS0_14default_configENS1_38merge_sort_block_merge_config_selectorIlNS0_10empty_typeEEEZZNS1_27merge_sort_block_merge_implIS3_PlPS5_mZN2at6native12_GLOBAL__N_124unique_dim_cuda_templateIaEESt5tupleIJNSA_6TensorESF_SF_EERKSF_lbbbEUlllE_EE10hipError_tT0_T1_T2_jT3_P12ihipStream_tbPNSt15iterator_traitsISL_E10value_typeEPNSR_ISM_E10value_typeEPSN_NS1_7vsmem_tEENKUlT_SL_SM_SN_E_clIS8_S8_S9_S9_EESK_S10_SL_SM_SN_EUlS10_E0_NS1_11comp_targetILNS1_3genE10ELNS1_11target_archE1201ELNS1_3gpuE5ELNS1_3repE0EEENS1_38merge_mergepath_config_static_selectorELNS0_4arch9wavefront6targetE1EEEvSM_: ; @_ZN7rocprim17ROCPRIM_400000_NS6detail17trampoline_kernelINS0_14default_configENS1_38merge_sort_block_merge_config_selectorIlNS0_10empty_typeEEEZZNS1_27merge_sort_block_merge_implIS3_PlPS5_mZN2at6native12_GLOBAL__N_124unique_dim_cuda_templateIaEESt5tupleIJNSA_6TensorESF_SF_EERKSF_lbbbEUlllE_EE10hipError_tT0_T1_T2_jT3_P12ihipStream_tbPNSt15iterator_traitsISL_E10value_typeEPNSR_ISM_E10value_typeEPSN_NS1_7vsmem_tEENKUlT_SL_SM_SN_E_clIS8_S8_S9_S9_EESK_S10_SL_SM_SN_EUlS10_E0_NS1_11comp_targetILNS1_3genE10ELNS1_11target_archE1201ELNS1_3gpuE5ELNS1_3repE0EEENS1_38merge_mergepath_config_static_selectorELNS0_4arch9wavefront6targetE1EEEvSM_
; %bb.0:
	.section	.rodata,"a",@progbits
	.p2align	6, 0x0
	.amdhsa_kernel _ZN7rocprim17ROCPRIM_400000_NS6detail17trampoline_kernelINS0_14default_configENS1_38merge_sort_block_merge_config_selectorIlNS0_10empty_typeEEEZZNS1_27merge_sort_block_merge_implIS3_PlPS5_mZN2at6native12_GLOBAL__N_124unique_dim_cuda_templateIaEESt5tupleIJNSA_6TensorESF_SF_EERKSF_lbbbEUlllE_EE10hipError_tT0_T1_T2_jT3_P12ihipStream_tbPNSt15iterator_traitsISL_E10value_typeEPNSR_ISM_E10value_typeEPSN_NS1_7vsmem_tEENKUlT_SL_SM_SN_E_clIS8_S8_S9_S9_EESK_S10_SL_SM_SN_EUlS10_E0_NS1_11comp_targetILNS1_3genE10ELNS1_11target_archE1201ELNS1_3gpuE5ELNS1_3repE0EEENS1_38merge_mergepath_config_static_selectorELNS0_4arch9wavefront6targetE1EEEvSM_
		.amdhsa_group_segment_fixed_size 0
		.amdhsa_private_segment_fixed_size 0
		.amdhsa_kernarg_size 88
		.amdhsa_user_sgpr_count 2
		.amdhsa_user_sgpr_dispatch_ptr 0
		.amdhsa_user_sgpr_queue_ptr 0
		.amdhsa_user_sgpr_kernarg_segment_ptr 1
		.amdhsa_user_sgpr_dispatch_id 0
		.amdhsa_user_sgpr_kernarg_preload_length 0
		.amdhsa_user_sgpr_kernarg_preload_offset 0
		.amdhsa_user_sgpr_private_segment_size 0
		.amdhsa_uses_dynamic_stack 0
		.amdhsa_enable_private_segment 0
		.amdhsa_system_sgpr_workgroup_id_x 1
		.amdhsa_system_sgpr_workgroup_id_y 0
		.amdhsa_system_sgpr_workgroup_id_z 0
		.amdhsa_system_sgpr_workgroup_info 0
		.amdhsa_system_vgpr_workitem_id 0
		.amdhsa_next_free_vgpr 1
		.amdhsa_next_free_sgpr 0
		.amdhsa_accum_offset 4
		.amdhsa_reserve_vcc 0
		.amdhsa_float_round_mode_32 0
		.amdhsa_float_round_mode_16_64 0
		.amdhsa_float_denorm_mode_32 3
		.amdhsa_float_denorm_mode_16_64 3
		.amdhsa_dx10_clamp 1
		.amdhsa_ieee_mode 1
		.amdhsa_fp16_overflow 0
		.amdhsa_tg_split 0
		.amdhsa_exception_fp_ieee_invalid_op 0
		.amdhsa_exception_fp_denorm_src 0
		.amdhsa_exception_fp_ieee_div_zero 0
		.amdhsa_exception_fp_ieee_overflow 0
		.amdhsa_exception_fp_ieee_underflow 0
		.amdhsa_exception_fp_ieee_inexact 0
		.amdhsa_exception_int_div_zero 0
	.end_amdhsa_kernel
	.section	.text._ZN7rocprim17ROCPRIM_400000_NS6detail17trampoline_kernelINS0_14default_configENS1_38merge_sort_block_merge_config_selectorIlNS0_10empty_typeEEEZZNS1_27merge_sort_block_merge_implIS3_PlPS5_mZN2at6native12_GLOBAL__N_124unique_dim_cuda_templateIaEESt5tupleIJNSA_6TensorESF_SF_EERKSF_lbbbEUlllE_EE10hipError_tT0_T1_T2_jT3_P12ihipStream_tbPNSt15iterator_traitsISL_E10value_typeEPNSR_ISM_E10value_typeEPSN_NS1_7vsmem_tEENKUlT_SL_SM_SN_E_clIS8_S8_S9_S9_EESK_S10_SL_SM_SN_EUlS10_E0_NS1_11comp_targetILNS1_3genE10ELNS1_11target_archE1201ELNS1_3gpuE5ELNS1_3repE0EEENS1_38merge_mergepath_config_static_selectorELNS0_4arch9wavefront6targetE1EEEvSM_,"axG",@progbits,_ZN7rocprim17ROCPRIM_400000_NS6detail17trampoline_kernelINS0_14default_configENS1_38merge_sort_block_merge_config_selectorIlNS0_10empty_typeEEEZZNS1_27merge_sort_block_merge_implIS3_PlPS5_mZN2at6native12_GLOBAL__N_124unique_dim_cuda_templateIaEESt5tupleIJNSA_6TensorESF_SF_EERKSF_lbbbEUlllE_EE10hipError_tT0_T1_T2_jT3_P12ihipStream_tbPNSt15iterator_traitsISL_E10value_typeEPNSR_ISM_E10value_typeEPSN_NS1_7vsmem_tEENKUlT_SL_SM_SN_E_clIS8_S8_S9_S9_EESK_S10_SL_SM_SN_EUlS10_E0_NS1_11comp_targetILNS1_3genE10ELNS1_11target_archE1201ELNS1_3gpuE5ELNS1_3repE0EEENS1_38merge_mergepath_config_static_selectorELNS0_4arch9wavefront6targetE1EEEvSM_,comdat
.Lfunc_end279:
	.size	_ZN7rocprim17ROCPRIM_400000_NS6detail17trampoline_kernelINS0_14default_configENS1_38merge_sort_block_merge_config_selectorIlNS0_10empty_typeEEEZZNS1_27merge_sort_block_merge_implIS3_PlPS5_mZN2at6native12_GLOBAL__N_124unique_dim_cuda_templateIaEESt5tupleIJNSA_6TensorESF_SF_EERKSF_lbbbEUlllE_EE10hipError_tT0_T1_T2_jT3_P12ihipStream_tbPNSt15iterator_traitsISL_E10value_typeEPNSR_ISM_E10value_typeEPSN_NS1_7vsmem_tEENKUlT_SL_SM_SN_E_clIS8_S8_S9_S9_EESK_S10_SL_SM_SN_EUlS10_E0_NS1_11comp_targetILNS1_3genE10ELNS1_11target_archE1201ELNS1_3gpuE5ELNS1_3repE0EEENS1_38merge_mergepath_config_static_selectorELNS0_4arch9wavefront6targetE1EEEvSM_, .Lfunc_end279-_ZN7rocprim17ROCPRIM_400000_NS6detail17trampoline_kernelINS0_14default_configENS1_38merge_sort_block_merge_config_selectorIlNS0_10empty_typeEEEZZNS1_27merge_sort_block_merge_implIS3_PlPS5_mZN2at6native12_GLOBAL__N_124unique_dim_cuda_templateIaEESt5tupleIJNSA_6TensorESF_SF_EERKSF_lbbbEUlllE_EE10hipError_tT0_T1_T2_jT3_P12ihipStream_tbPNSt15iterator_traitsISL_E10value_typeEPNSR_ISM_E10value_typeEPSN_NS1_7vsmem_tEENKUlT_SL_SM_SN_E_clIS8_S8_S9_S9_EESK_S10_SL_SM_SN_EUlS10_E0_NS1_11comp_targetILNS1_3genE10ELNS1_11target_archE1201ELNS1_3gpuE5ELNS1_3repE0EEENS1_38merge_mergepath_config_static_selectorELNS0_4arch9wavefront6targetE1EEEvSM_
                                        ; -- End function
	.set _ZN7rocprim17ROCPRIM_400000_NS6detail17trampoline_kernelINS0_14default_configENS1_38merge_sort_block_merge_config_selectorIlNS0_10empty_typeEEEZZNS1_27merge_sort_block_merge_implIS3_PlPS5_mZN2at6native12_GLOBAL__N_124unique_dim_cuda_templateIaEESt5tupleIJNSA_6TensorESF_SF_EERKSF_lbbbEUlllE_EE10hipError_tT0_T1_T2_jT3_P12ihipStream_tbPNSt15iterator_traitsISL_E10value_typeEPNSR_ISM_E10value_typeEPSN_NS1_7vsmem_tEENKUlT_SL_SM_SN_E_clIS8_S8_S9_S9_EESK_S10_SL_SM_SN_EUlS10_E0_NS1_11comp_targetILNS1_3genE10ELNS1_11target_archE1201ELNS1_3gpuE5ELNS1_3repE0EEENS1_38merge_mergepath_config_static_selectorELNS0_4arch9wavefront6targetE1EEEvSM_.num_vgpr, 0
	.set _ZN7rocprim17ROCPRIM_400000_NS6detail17trampoline_kernelINS0_14default_configENS1_38merge_sort_block_merge_config_selectorIlNS0_10empty_typeEEEZZNS1_27merge_sort_block_merge_implIS3_PlPS5_mZN2at6native12_GLOBAL__N_124unique_dim_cuda_templateIaEESt5tupleIJNSA_6TensorESF_SF_EERKSF_lbbbEUlllE_EE10hipError_tT0_T1_T2_jT3_P12ihipStream_tbPNSt15iterator_traitsISL_E10value_typeEPNSR_ISM_E10value_typeEPSN_NS1_7vsmem_tEENKUlT_SL_SM_SN_E_clIS8_S8_S9_S9_EESK_S10_SL_SM_SN_EUlS10_E0_NS1_11comp_targetILNS1_3genE10ELNS1_11target_archE1201ELNS1_3gpuE5ELNS1_3repE0EEENS1_38merge_mergepath_config_static_selectorELNS0_4arch9wavefront6targetE1EEEvSM_.num_agpr, 0
	.set _ZN7rocprim17ROCPRIM_400000_NS6detail17trampoline_kernelINS0_14default_configENS1_38merge_sort_block_merge_config_selectorIlNS0_10empty_typeEEEZZNS1_27merge_sort_block_merge_implIS3_PlPS5_mZN2at6native12_GLOBAL__N_124unique_dim_cuda_templateIaEESt5tupleIJNSA_6TensorESF_SF_EERKSF_lbbbEUlllE_EE10hipError_tT0_T1_T2_jT3_P12ihipStream_tbPNSt15iterator_traitsISL_E10value_typeEPNSR_ISM_E10value_typeEPSN_NS1_7vsmem_tEENKUlT_SL_SM_SN_E_clIS8_S8_S9_S9_EESK_S10_SL_SM_SN_EUlS10_E0_NS1_11comp_targetILNS1_3genE10ELNS1_11target_archE1201ELNS1_3gpuE5ELNS1_3repE0EEENS1_38merge_mergepath_config_static_selectorELNS0_4arch9wavefront6targetE1EEEvSM_.numbered_sgpr, 0
	.set _ZN7rocprim17ROCPRIM_400000_NS6detail17trampoline_kernelINS0_14default_configENS1_38merge_sort_block_merge_config_selectorIlNS0_10empty_typeEEEZZNS1_27merge_sort_block_merge_implIS3_PlPS5_mZN2at6native12_GLOBAL__N_124unique_dim_cuda_templateIaEESt5tupleIJNSA_6TensorESF_SF_EERKSF_lbbbEUlllE_EE10hipError_tT0_T1_T2_jT3_P12ihipStream_tbPNSt15iterator_traitsISL_E10value_typeEPNSR_ISM_E10value_typeEPSN_NS1_7vsmem_tEENKUlT_SL_SM_SN_E_clIS8_S8_S9_S9_EESK_S10_SL_SM_SN_EUlS10_E0_NS1_11comp_targetILNS1_3genE10ELNS1_11target_archE1201ELNS1_3gpuE5ELNS1_3repE0EEENS1_38merge_mergepath_config_static_selectorELNS0_4arch9wavefront6targetE1EEEvSM_.num_named_barrier, 0
	.set _ZN7rocprim17ROCPRIM_400000_NS6detail17trampoline_kernelINS0_14default_configENS1_38merge_sort_block_merge_config_selectorIlNS0_10empty_typeEEEZZNS1_27merge_sort_block_merge_implIS3_PlPS5_mZN2at6native12_GLOBAL__N_124unique_dim_cuda_templateIaEESt5tupleIJNSA_6TensorESF_SF_EERKSF_lbbbEUlllE_EE10hipError_tT0_T1_T2_jT3_P12ihipStream_tbPNSt15iterator_traitsISL_E10value_typeEPNSR_ISM_E10value_typeEPSN_NS1_7vsmem_tEENKUlT_SL_SM_SN_E_clIS8_S8_S9_S9_EESK_S10_SL_SM_SN_EUlS10_E0_NS1_11comp_targetILNS1_3genE10ELNS1_11target_archE1201ELNS1_3gpuE5ELNS1_3repE0EEENS1_38merge_mergepath_config_static_selectorELNS0_4arch9wavefront6targetE1EEEvSM_.private_seg_size, 0
	.set _ZN7rocprim17ROCPRIM_400000_NS6detail17trampoline_kernelINS0_14default_configENS1_38merge_sort_block_merge_config_selectorIlNS0_10empty_typeEEEZZNS1_27merge_sort_block_merge_implIS3_PlPS5_mZN2at6native12_GLOBAL__N_124unique_dim_cuda_templateIaEESt5tupleIJNSA_6TensorESF_SF_EERKSF_lbbbEUlllE_EE10hipError_tT0_T1_T2_jT3_P12ihipStream_tbPNSt15iterator_traitsISL_E10value_typeEPNSR_ISM_E10value_typeEPSN_NS1_7vsmem_tEENKUlT_SL_SM_SN_E_clIS8_S8_S9_S9_EESK_S10_SL_SM_SN_EUlS10_E0_NS1_11comp_targetILNS1_3genE10ELNS1_11target_archE1201ELNS1_3gpuE5ELNS1_3repE0EEENS1_38merge_mergepath_config_static_selectorELNS0_4arch9wavefront6targetE1EEEvSM_.uses_vcc, 0
	.set _ZN7rocprim17ROCPRIM_400000_NS6detail17trampoline_kernelINS0_14default_configENS1_38merge_sort_block_merge_config_selectorIlNS0_10empty_typeEEEZZNS1_27merge_sort_block_merge_implIS3_PlPS5_mZN2at6native12_GLOBAL__N_124unique_dim_cuda_templateIaEESt5tupleIJNSA_6TensorESF_SF_EERKSF_lbbbEUlllE_EE10hipError_tT0_T1_T2_jT3_P12ihipStream_tbPNSt15iterator_traitsISL_E10value_typeEPNSR_ISM_E10value_typeEPSN_NS1_7vsmem_tEENKUlT_SL_SM_SN_E_clIS8_S8_S9_S9_EESK_S10_SL_SM_SN_EUlS10_E0_NS1_11comp_targetILNS1_3genE10ELNS1_11target_archE1201ELNS1_3gpuE5ELNS1_3repE0EEENS1_38merge_mergepath_config_static_selectorELNS0_4arch9wavefront6targetE1EEEvSM_.uses_flat_scratch, 0
	.set _ZN7rocprim17ROCPRIM_400000_NS6detail17trampoline_kernelINS0_14default_configENS1_38merge_sort_block_merge_config_selectorIlNS0_10empty_typeEEEZZNS1_27merge_sort_block_merge_implIS3_PlPS5_mZN2at6native12_GLOBAL__N_124unique_dim_cuda_templateIaEESt5tupleIJNSA_6TensorESF_SF_EERKSF_lbbbEUlllE_EE10hipError_tT0_T1_T2_jT3_P12ihipStream_tbPNSt15iterator_traitsISL_E10value_typeEPNSR_ISM_E10value_typeEPSN_NS1_7vsmem_tEENKUlT_SL_SM_SN_E_clIS8_S8_S9_S9_EESK_S10_SL_SM_SN_EUlS10_E0_NS1_11comp_targetILNS1_3genE10ELNS1_11target_archE1201ELNS1_3gpuE5ELNS1_3repE0EEENS1_38merge_mergepath_config_static_selectorELNS0_4arch9wavefront6targetE1EEEvSM_.has_dyn_sized_stack, 0
	.set _ZN7rocprim17ROCPRIM_400000_NS6detail17trampoline_kernelINS0_14default_configENS1_38merge_sort_block_merge_config_selectorIlNS0_10empty_typeEEEZZNS1_27merge_sort_block_merge_implIS3_PlPS5_mZN2at6native12_GLOBAL__N_124unique_dim_cuda_templateIaEESt5tupleIJNSA_6TensorESF_SF_EERKSF_lbbbEUlllE_EE10hipError_tT0_T1_T2_jT3_P12ihipStream_tbPNSt15iterator_traitsISL_E10value_typeEPNSR_ISM_E10value_typeEPSN_NS1_7vsmem_tEENKUlT_SL_SM_SN_E_clIS8_S8_S9_S9_EESK_S10_SL_SM_SN_EUlS10_E0_NS1_11comp_targetILNS1_3genE10ELNS1_11target_archE1201ELNS1_3gpuE5ELNS1_3repE0EEENS1_38merge_mergepath_config_static_selectorELNS0_4arch9wavefront6targetE1EEEvSM_.has_recursion, 0
	.set _ZN7rocprim17ROCPRIM_400000_NS6detail17trampoline_kernelINS0_14default_configENS1_38merge_sort_block_merge_config_selectorIlNS0_10empty_typeEEEZZNS1_27merge_sort_block_merge_implIS3_PlPS5_mZN2at6native12_GLOBAL__N_124unique_dim_cuda_templateIaEESt5tupleIJNSA_6TensorESF_SF_EERKSF_lbbbEUlllE_EE10hipError_tT0_T1_T2_jT3_P12ihipStream_tbPNSt15iterator_traitsISL_E10value_typeEPNSR_ISM_E10value_typeEPSN_NS1_7vsmem_tEENKUlT_SL_SM_SN_E_clIS8_S8_S9_S9_EESK_S10_SL_SM_SN_EUlS10_E0_NS1_11comp_targetILNS1_3genE10ELNS1_11target_archE1201ELNS1_3gpuE5ELNS1_3repE0EEENS1_38merge_mergepath_config_static_selectorELNS0_4arch9wavefront6targetE1EEEvSM_.has_indirect_call, 0
	.section	.AMDGPU.csdata,"",@progbits
; Kernel info:
; codeLenInByte = 0
; TotalNumSgprs: 6
; NumVgprs: 0
; NumAgprs: 0
; TotalNumVgprs: 0
; ScratchSize: 0
; MemoryBound: 0
; FloatMode: 240
; IeeeMode: 1
; LDSByteSize: 0 bytes/workgroup (compile time only)
; SGPRBlocks: 0
; VGPRBlocks: 0
; NumSGPRsForWavesPerEU: 6
; NumVGPRsForWavesPerEU: 1
; AccumOffset: 4
; Occupancy: 8
; WaveLimiterHint : 0
; COMPUTE_PGM_RSRC2:SCRATCH_EN: 0
; COMPUTE_PGM_RSRC2:USER_SGPR: 2
; COMPUTE_PGM_RSRC2:TRAP_HANDLER: 0
; COMPUTE_PGM_RSRC2:TGID_X_EN: 1
; COMPUTE_PGM_RSRC2:TGID_Y_EN: 0
; COMPUTE_PGM_RSRC2:TGID_Z_EN: 0
; COMPUTE_PGM_RSRC2:TIDIG_COMP_CNT: 0
; COMPUTE_PGM_RSRC3_GFX90A:ACCUM_OFFSET: 0
; COMPUTE_PGM_RSRC3_GFX90A:TG_SPLIT: 0
	.section	.text._ZN7rocprim17ROCPRIM_400000_NS6detail17trampoline_kernelINS0_14default_configENS1_38merge_sort_block_merge_config_selectorIlNS0_10empty_typeEEEZZNS1_27merge_sort_block_merge_implIS3_PlPS5_mZN2at6native12_GLOBAL__N_124unique_dim_cuda_templateIaEESt5tupleIJNSA_6TensorESF_SF_EERKSF_lbbbEUlllE_EE10hipError_tT0_T1_T2_jT3_P12ihipStream_tbPNSt15iterator_traitsISL_E10value_typeEPNSR_ISM_E10value_typeEPSN_NS1_7vsmem_tEENKUlT_SL_SM_SN_E_clIS8_S8_S9_S9_EESK_S10_SL_SM_SN_EUlS10_E0_NS1_11comp_targetILNS1_3genE5ELNS1_11target_archE942ELNS1_3gpuE9ELNS1_3repE0EEENS1_38merge_mergepath_config_static_selectorELNS0_4arch9wavefront6targetE1EEEvSM_,"axG",@progbits,_ZN7rocprim17ROCPRIM_400000_NS6detail17trampoline_kernelINS0_14default_configENS1_38merge_sort_block_merge_config_selectorIlNS0_10empty_typeEEEZZNS1_27merge_sort_block_merge_implIS3_PlPS5_mZN2at6native12_GLOBAL__N_124unique_dim_cuda_templateIaEESt5tupleIJNSA_6TensorESF_SF_EERKSF_lbbbEUlllE_EE10hipError_tT0_T1_T2_jT3_P12ihipStream_tbPNSt15iterator_traitsISL_E10value_typeEPNSR_ISM_E10value_typeEPSN_NS1_7vsmem_tEENKUlT_SL_SM_SN_E_clIS8_S8_S9_S9_EESK_S10_SL_SM_SN_EUlS10_E0_NS1_11comp_targetILNS1_3genE5ELNS1_11target_archE942ELNS1_3gpuE9ELNS1_3repE0EEENS1_38merge_mergepath_config_static_selectorELNS0_4arch9wavefront6targetE1EEEvSM_,comdat
	.globl	_ZN7rocprim17ROCPRIM_400000_NS6detail17trampoline_kernelINS0_14default_configENS1_38merge_sort_block_merge_config_selectorIlNS0_10empty_typeEEEZZNS1_27merge_sort_block_merge_implIS3_PlPS5_mZN2at6native12_GLOBAL__N_124unique_dim_cuda_templateIaEESt5tupleIJNSA_6TensorESF_SF_EERKSF_lbbbEUlllE_EE10hipError_tT0_T1_T2_jT3_P12ihipStream_tbPNSt15iterator_traitsISL_E10value_typeEPNSR_ISM_E10value_typeEPSN_NS1_7vsmem_tEENKUlT_SL_SM_SN_E_clIS8_S8_S9_S9_EESK_S10_SL_SM_SN_EUlS10_E0_NS1_11comp_targetILNS1_3genE5ELNS1_11target_archE942ELNS1_3gpuE9ELNS1_3repE0EEENS1_38merge_mergepath_config_static_selectorELNS0_4arch9wavefront6targetE1EEEvSM_ ; -- Begin function _ZN7rocprim17ROCPRIM_400000_NS6detail17trampoline_kernelINS0_14default_configENS1_38merge_sort_block_merge_config_selectorIlNS0_10empty_typeEEEZZNS1_27merge_sort_block_merge_implIS3_PlPS5_mZN2at6native12_GLOBAL__N_124unique_dim_cuda_templateIaEESt5tupleIJNSA_6TensorESF_SF_EERKSF_lbbbEUlllE_EE10hipError_tT0_T1_T2_jT3_P12ihipStream_tbPNSt15iterator_traitsISL_E10value_typeEPNSR_ISM_E10value_typeEPSN_NS1_7vsmem_tEENKUlT_SL_SM_SN_E_clIS8_S8_S9_S9_EESK_S10_SL_SM_SN_EUlS10_E0_NS1_11comp_targetILNS1_3genE5ELNS1_11target_archE942ELNS1_3gpuE9ELNS1_3repE0EEENS1_38merge_mergepath_config_static_selectorELNS0_4arch9wavefront6targetE1EEEvSM_
	.p2align	8
	.type	_ZN7rocprim17ROCPRIM_400000_NS6detail17trampoline_kernelINS0_14default_configENS1_38merge_sort_block_merge_config_selectorIlNS0_10empty_typeEEEZZNS1_27merge_sort_block_merge_implIS3_PlPS5_mZN2at6native12_GLOBAL__N_124unique_dim_cuda_templateIaEESt5tupleIJNSA_6TensorESF_SF_EERKSF_lbbbEUlllE_EE10hipError_tT0_T1_T2_jT3_P12ihipStream_tbPNSt15iterator_traitsISL_E10value_typeEPNSR_ISM_E10value_typeEPSN_NS1_7vsmem_tEENKUlT_SL_SM_SN_E_clIS8_S8_S9_S9_EESK_S10_SL_SM_SN_EUlS10_E0_NS1_11comp_targetILNS1_3genE5ELNS1_11target_archE942ELNS1_3gpuE9ELNS1_3repE0EEENS1_38merge_mergepath_config_static_selectorELNS0_4arch9wavefront6targetE1EEEvSM_,@function
_ZN7rocprim17ROCPRIM_400000_NS6detail17trampoline_kernelINS0_14default_configENS1_38merge_sort_block_merge_config_selectorIlNS0_10empty_typeEEEZZNS1_27merge_sort_block_merge_implIS3_PlPS5_mZN2at6native12_GLOBAL__N_124unique_dim_cuda_templateIaEESt5tupleIJNSA_6TensorESF_SF_EERKSF_lbbbEUlllE_EE10hipError_tT0_T1_T2_jT3_P12ihipStream_tbPNSt15iterator_traitsISL_E10value_typeEPNSR_ISM_E10value_typeEPSN_NS1_7vsmem_tEENKUlT_SL_SM_SN_E_clIS8_S8_S9_S9_EESK_S10_SL_SM_SN_EUlS10_E0_NS1_11comp_targetILNS1_3genE5ELNS1_11target_archE942ELNS1_3gpuE9ELNS1_3repE0EEENS1_38merge_mergepath_config_static_selectorELNS0_4arch9wavefront6targetE1EEEvSM_: ; @_ZN7rocprim17ROCPRIM_400000_NS6detail17trampoline_kernelINS0_14default_configENS1_38merge_sort_block_merge_config_selectorIlNS0_10empty_typeEEEZZNS1_27merge_sort_block_merge_implIS3_PlPS5_mZN2at6native12_GLOBAL__N_124unique_dim_cuda_templateIaEESt5tupleIJNSA_6TensorESF_SF_EERKSF_lbbbEUlllE_EE10hipError_tT0_T1_T2_jT3_P12ihipStream_tbPNSt15iterator_traitsISL_E10value_typeEPNSR_ISM_E10value_typeEPSN_NS1_7vsmem_tEENKUlT_SL_SM_SN_E_clIS8_S8_S9_S9_EESK_S10_SL_SM_SN_EUlS10_E0_NS1_11comp_targetILNS1_3genE5ELNS1_11target_archE942ELNS1_3gpuE9ELNS1_3repE0EEENS1_38merge_mergepath_config_static_selectorELNS0_4arch9wavefront6targetE1EEEvSM_
; %bb.0:
	.section	.rodata,"a",@progbits
	.p2align	6, 0x0
	.amdhsa_kernel _ZN7rocprim17ROCPRIM_400000_NS6detail17trampoline_kernelINS0_14default_configENS1_38merge_sort_block_merge_config_selectorIlNS0_10empty_typeEEEZZNS1_27merge_sort_block_merge_implIS3_PlPS5_mZN2at6native12_GLOBAL__N_124unique_dim_cuda_templateIaEESt5tupleIJNSA_6TensorESF_SF_EERKSF_lbbbEUlllE_EE10hipError_tT0_T1_T2_jT3_P12ihipStream_tbPNSt15iterator_traitsISL_E10value_typeEPNSR_ISM_E10value_typeEPSN_NS1_7vsmem_tEENKUlT_SL_SM_SN_E_clIS8_S8_S9_S9_EESK_S10_SL_SM_SN_EUlS10_E0_NS1_11comp_targetILNS1_3genE5ELNS1_11target_archE942ELNS1_3gpuE9ELNS1_3repE0EEENS1_38merge_mergepath_config_static_selectorELNS0_4arch9wavefront6targetE1EEEvSM_
		.amdhsa_group_segment_fixed_size 0
		.amdhsa_private_segment_fixed_size 0
		.amdhsa_kernarg_size 88
		.amdhsa_user_sgpr_count 2
		.amdhsa_user_sgpr_dispatch_ptr 0
		.amdhsa_user_sgpr_queue_ptr 0
		.amdhsa_user_sgpr_kernarg_segment_ptr 1
		.amdhsa_user_sgpr_dispatch_id 0
		.amdhsa_user_sgpr_kernarg_preload_length 0
		.amdhsa_user_sgpr_kernarg_preload_offset 0
		.amdhsa_user_sgpr_private_segment_size 0
		.amdhsa_uses_dynamic_stack 0
		.amdhsa_enable_private_segment 0
		.amdhsa_system_sgpr_workgroup_id_x 1
		.amdhsa_system_sgpr_workgroup_id_y 0
		.amdhsa_system_sgpr_workgroup_id_z 0
		.amdhsa_system_sgpr_workgroup_info 0
		.amdhsa_system_vgpr_workitem_id 0
		.amdhsa_next_free_vgpr 1
		.amdhsa_next_free_sgpr 0
		.amdhsa_accum_offset 4
		.amdhsa_reserve_vcc 0
		.amdhsa_float_round_mode_32 0
		.amdhsa_float_round_mode_16_64 0
		.amdhsa_float_denorm_mode_32 3
		.amdhsa_float_denorm_mode_16_64 3
		.amdhsa_dx10_clamp 1
		.amdhsa_ieee_mode 1
		.amdhsa_fp16_overflow 0
		.amdhsa_tg_split 0
		.amdhsa_exception_fp_ieee_invalid_op 0
		.amdhsa_exception_fp_denorm_src 0
		.amdhsa_exception_fp_ieee_div_zero 0
		.amdhsa_exception_fp_ieee_overflow 0
		.amdhsa_exception_fp_ieee_underflow 0
		.amdhsa_exception_fp_ieee_inexact 0
		.amdhsa_exception_int_div_zero 0
	.end_amdhsa_kernel
	.section	.text._ZN7rocprim17ROCPRIM_400000_NS6detail17trampoline_kernelINS0_14default_configENS1_38merge_sort_block_merge_config_selectorIlNS0_10empty_typeEEEZZNS1_27merge_sort_block_merge_implIS3_PlPS5_mZN2at6native12_GLOBAL__N_124unique_dim_cuda_templateIaEESt5tupleIJNSA_6TensorESF_SF_EERKSF_lbbbEUlllE_EE10hipError_tT0_T1_T2_jT3_P12ihipStream_tbPNSt15iterator_traitsISL_E10value_typeEPNSR_ISM_E10value_typeEPSN_NS1_7vsmem_tEENKUlT_SL_SM_SN_E_clIS8_S8_S9_S9_EESK_S10_SL_SM_SN_EUlS10_E0_NS1_11comp_targetILNS1_3genE5ELNS1_11target_archE942ELNS1_3gpuE9ELNS1_3repE0EEENS1_38merge_mergepath_config_static_selectorELNS0_4arch9wavefront6targetE1EEEvSM_,"axG",@progbits,_ZN7rocprim17ROCPRIM_400000_NS6detail17trampoline_kernelINS0_14default_configENS1_38merge_sort_block_merge_config_selectorIlNS0_10empty_typeEEEZZNS1_27merge_sort_block_merge_implIS3_PlPS5_mZN2at6native12_GLOBAL__N_124unique_dim_cuda_templateIaEESt5tupleIJNSA_6TensorESF_SF_EERKSF_lbbbEUlllE_EE10hipError_tT0_T1_T2_jT3_P12ihipStream_tbPNSt15iterator_traitsISL_E10value_typeEPNSR_ISM_E10value_typeEPSN_NS1_7vsmem_tEENKUlT_SL_SM_SN_E_clIS8_S8_S9_S9_EESK_S10_SL_SM_SN_EUlS10_E0_NS1_11comp_targetILNS1_3genE5ELNS1_11target_archE942ELNS1_3gpuE9ELNS1_3repE0EEENS1_38merge_mergepath_config_static_selectorELNS0_4arch9wavefront6targetE1EEEvSM_,comdat
.Lfunc_end280:
	.size	_ZN7rocprim17ROCPRIM_400000_NS6detail17trampoline_kernelINS0_14default_configENS1_38merge_sort_block_merge_config_selectorIlNS0_10empty_typeEEEZZNS1_27merge_sort_block_merge_implIS3_PlPS5_mZN2at6native12_GLOBAL__N_124unique_dim_cuda_templateIaEESt5tupleIJNSA_6TensorESF_SF_EERKSF_lbbbEUlllE_EE10hipError_tT0_T1_T2_jT3_P12ihipStream_tbPNSt15iterator_traitsISL_E10value_typeEPNSR_ISM_E10value_typeEPSN_NS1_7vsmem_tEENKUlT_SL_SM_SN_E_clIS8_S8_S9_S9_EESK_S10_SL_SM_SN_EUlS10_E0_NS1_11comp_targetILNS1_3genE5ELNS1_11target_archE942ELNS1_3gpuE9ELNS1_3repE0EEENS1_38merge_mergepath_config_static_selectorELNS0_4arch9wavefront6targetE1EEEvSM_, .Lfunc_end280-_ZN7rocprim17ROCPRIM_400000_NS6detail17trampoline_kernelINS0_14default_configENS1_38merge_sort_block_merge_config_selectorIlNS0_10empty_typeEEEZZNS1_27merge_sort_block_merge_implIS3_PlPS5_mZN2at6native12_GLOBAL__N_124unique_dim_cuda_templateIaEESt5tupleIJNSA_6TensorESF_SF_EERKSF_lbbbEUlllE_EE10hipError_tT0_T1_T2_jT3_P12ihipStream_tbPNSt15iterator_traitsISL_E10value_typeEPNSR_ISM_E10value_typeEPSN_NS1_7vsmem_tEENKUlT_SL_SM_SN_E_clIS8_S8_S9_S9_EESK_S10_SL_SM_SN_EUlS10_E0_NS1_11comp_targetILNS1_3genE5ELNS1_11target_archE942ELNS1_3gpuE9ELNS1_3repE0EEENS1_38merge_mergepath_config_static_selectorELNS0_4arch9wavefront6targetE1EEEvSM_
                                        ; -- End function
	.set _ZN7rocprim17ROCPRIM_400000_NS6detail17trampoline_kernelINS0_14default_configENS1_38merge_sort_block_merge_config_selectorIlNS0_10empty_typeEEEZZNS1_27merge_sort_block_merge_implIS3_PlPS5_mZN2at6native12_GLOBAL__N_124unique_dim_cuda_templateIaEESt5tupleIJNSA_6TensorESF_SF_EERKSF_lbbbEUlllE_EE10hipError_tT0_T1_T2_jT3_P12ihipStream_tbPNSt15iterator_traitsISL_E10value_typeEPNSR_ISM_E10value_typeEPSN_NS1_7vsmem_tEENKUlT_SL_SM_SN_E_clIS8_S8_S9_S9_EESK_S10_SL_SM_SN_EUlS10_E0_NS1_11comp_targetILNS1_3genE5ELNS1_11target_archE942ELNS1_3gpuE9ELNS1_3repE0EEENS1_38merge_mergepath_config_static_selectorELNS0_4arch9wavefront6targetE1EEEvSM_.num_vgpr, 0
	.set _ZN7rocprim17ROCPRIM_400000_NS6detail17trampoline_kernelINS0_14default_configENS1_38merge_sort_block_merge_config_selectorIlNS0_10empty_typeEEEZZNS1_27merge_sort_block_merge_implIS3_PlPS5_mZN2at6native12_GLOBAL__N_124unique_dim_cuda_templateIaEESt5tupleIJNSA_6TensorESF_SF_EERKSF_lbbbEUlllE_EE10hipError_tT0_T1_T2_jT3_P12ihipStream_tbPNSt15iterator_traitsISL_E10value_typeEPNSR_ISM_E10value_typeEPSN_NS1_7vsmem_tEENKUlT_SL_SM_SN_E_clIS8_S8_S9_S9_EESK_S10_SL_SM_SN_EUlS10_E0_NS1_11comp_targetILNS1_3genE5ELNS1_11target_archE942ELNS1_3gpuE9ELNS1_3repE0EEENS1_38merge_mergepath_config_static_selectorELNS0_4arch9wavefront6targetE1EEEvSM_.num_agpr, 0
	.set _ZN7rocprim17ROCPRIM_400000_NS6detail17trampoline_kernelINS0_14default_configENS1_38merge_sort_block_merge_config_selectorIlNS0_10empty_typeEEEZZNS1_27merge_sort_block_merge_implIS3_PlPS5_mZN2at6native12_GLOBAL__N_124unique_dim_cuda_templateIaEESt5tupleIJNSA_6TensorESF_SF_EERKSF_lbbbEUlllE_EE10hipError_tT0_T1_T2_jT3_P12ihipStream_tbPNSt15iterator_traitsISL_E10value_typeEPNSR_ISM_E10value_typeEPSN_NS1_7vsmem_tEENKUlT_SL_SM_SN_E_clIS8_S8_S9_S9_EESK_S10_SL_SM_SN_EUlS10_E0_NS1_11comp_targetILNS1_3genE5ELNS1_11target_archE942ELNS1_3gpuE9ELNS1_3repE0EEENS1_38merge_mergepath_config_static_selectorELNS0_4arch9wavefront6targetE1EEEvSM_.numbered_sgpr, 0
	.set _ZN7rocprim17ROCPRIM_400000_NS6detail17trampoline_kernelINS0_14default_configENS1_38merge_sort_block_merge_config_selectorIlNS0_10empty_typeEEEZZNS1_27merge_sort_block_merge_implIS3_PlPS5_mZN2at6native12_GLOBAL__N_124unique_dim_cuda_templateIaEESt5tupleIJNSA_6TensorESF_SF_EERKSF_lbbbEUlllE_EE10hipError_tT0_T1_T2_jT3_P12ihipStream_tbPNSt15iterator_traitsISL_E10value_typeEPNSR_ISM_E10value_typeEPSN_NS1_7vsmem_tEENKUlT_SL_SM_SN_E_clIS8_S8_S9_S9_EESK_S10_SL_SM_SN_EUlS10_E0_NS1_11comp_targetILNS1_3genE5ELNS1_11target_archE942ELNS1_3gpuE9ELNS1_3repE0EEENS1_38merge_mergepath_config_static_selectorELNS0_4arch9wavefront6targetE1EEEvSM_.num_named_barrier, 0
	.set _ZN7rocprim17ROCPRIM_400000_NS6detail17trampoline_kernelINS0_14default_configENS1_38merge_sort_block_merge_config_selectorIlNS0_10empty_typeEEEZZNS1_27merge_sort_block_merge_implIS3_PlPS5_mZN2at6native12_GLOBAL__N_124unique_dim_cuda_templateIaEESt5tupleIJNSA_6TensorESF_SF_EERKSF_lbbbEUlllE_EE10hipError_tT0_T1_T2_jT3_P12ihipStream_tbPNSt15iterator_traitsISL_E10value_typeEPNSR_ISM_E10value_typeEPSN_NS1_7vsmem_tEENKUlT_SL_SM_SN_E_clIS8_S8_S9_S9_EESK_S10_SL_SM_SN_EUlS10_E0_NS1_11comp_targetILNS1_3genE5ELNS1_11target_archE942ELNS1_3gpuE9ELNS1_3repE0EEENS1_38merge_mergepath_config_static_selectorELNS0_4arch9wavefront6targetE1EEEvSM_.private_seg_size, 0
	.set _ZN7rocprim17ROCPRIM_400000_NS6detail17trampoline_kernelINS0_14default_configENS1_38merge_sort_block_merge_config_selectorIlNS0_10empty_typeEEEZZNS1_27merge_sort_block_merge_implIS3_PlPS5_mZN2at6native12_GLOBAL__N_124unique_dim_cuda_templateIaEESt5tupleIJNSA_6TensorESF_SF_EERKSF_lbbbEUlllE_EE10hipError_tT0_T1_T2_jT3_P12ihipStream_tbPNSt15iterator_traitsISL_E10value_typeEPNSR_ISM_E10value_typeEPSN_NS1_7vsmem_tEENKUlT_SL_SM_SN_E_clIS8_S8_S9_S9_EESK_S10_SL_SM_SN_EUlS10_E0_NS1_11comp_targetILNS1_3genE5ELNS1_11target_archE942ELNS1_3gpuE9ELNS1_3repE0EEENS1_38merge_mergepath_config_static_selectorELNS0_4arch9wavefront6targetE1EEEvSM_.uses_vcc, 0
	.set _ZN7rocprim17ROCPRIM_400000_NS6detail17trampoline_kernelINS0_14default_configENS1_38merge_sort_block_merge_config_selectorIlNS0_10empty_typeEEEZZNS1_27merge_sort_block_merge_implIS3_PlPS5_mZN2at6native12_GLOBAL__N_124unique_dim_cuda_templateIaEESt5tupleIJNSA_6TensorESF_SF_EERKSF_lbbbEUlllE_EE10hipError_tT0_T1_T2_jT3_P12ihipStream_tbPNSt15iterator_traitsISL_E10value_typeEPNSR_ISM_E10value_typeEPSN_NS1_7vsmem_tEENKUlT_SL_SM_SN_E_clIS8_S8_S9_S9_EESK_S10_SL_SM_SN_EUlS10_E0_NS1_11comp_targetILNS1_3genE5ELNS1_11target_archE942ELNS1_3gpuE9ELNS1_3repE0EEENS1_38merge_mergepath_config_static_selectorELNS0_4arch9wavefront6targetE1EEEvSM_.uses_flat_scratch, 0
	.set _ZN7rocprim17ROCPRIM_400000_NS6detail17trampoline_kernelINS0_14default_configENS1_38merge_sort_block_merge_config_selectorIlNS0_10empty_typeEEEZZNS1_27merge_sort_block_merge_implIS3_PlPS5_mZN2at6native12_GLOBAL__N_124unique_dim_cuda_templateIaEESt5tupleIJNSA_6TensorESF_SF_EERKSF_lbbbEUlllE_EE10hipError_tT0_T1_T2_jT3_P12ihipStream_tbPNSt15iterator_traitsISL_E10value_typeEPNSR_ISM_E10value_typeEPSN_NS1_7vsmem_tEENKUlT_SL_SM_SN_E_clIS8_S8_S9_S9_EESK_S10_SL_SM_SN_EUlS10_E0_NS1_11comp_targetILNS1_3genE5ELNS1_11target_archE942ELNS1_3gpuE9ELNS1_3repE0EEENS1_38merge_mergepath_config_static_selectorELNS0_4arch9wavefront6targetE1EEEvSM_.has_dyn_sized_stack, 0
	.set _ZN7rocprim17ROCPRIM_400000_NS6detail17trampoline_kernelINS0_14default_configENS1_38merge_sort_block_merge_config_selectorIlNS0_10empty_typeEEEZZNS1_27merge_sort_block_merge_implIS3_PlPS5_mZN2at6native12_GLOBAL__N_124unique_dim_cuda_templateIaEESt5tupleIJNSA_6TensorESF_SF_EERKSF_lbbbEUlllE_EE10hipError_tT0_T1_T2_jT3_P12ihipStream_tbPNSt15iterator_traitsISL_E10value_typeEPNSR_ISM_E10value_typeEPSN_NS1_7vsmem_tEENKUlT_SL_SM_SN_E_clIS8_S8_S9_S9_EESK_S10_SL_SM_SN_EUlS10_E0_NS1_11comp_targetILNS1_3genE5ELNS1_11target_archE942ELNS1_3gpuE9ELNS1_3repE0EEENS1_38merge_mergepath_config_static_selectorELNS0_4arch9wavefront6targetE1EEEvSM_.has_recursion, 0
	.set _ZN7rocprim17ROCPRIM_400000_NS6detail17trampoline_kernelINS0_14default_configENS1_38merge_sort_block_merge_config_selectorIlNS0_10empty_typeEEEZZNS1_27merge_sort_block_merge_implIS3_PlPS5_mZN2at6native12_GLOBAL__N_124unique_dim_cuda_templateIaEESt5tupleIJNSA_6TensorESF_SF_EERKSF_lbbbEUlllE_EE10hipError_tT0_T1_T2_jT3_P12ihipStream_tbPNSt15iterator_traitsISL_E10value_typeEPNSR_ISM_E10value_typeEPSN_NS1_7vsmem_tEENKUlT_SL_SM_SN_E_clIS8_S8_S9_S9_EESK_S10_SL_SM_SN_EUlS10_E0_NS1_11comp_targetILNS1_3genE5ELNS1_11target_archE942ELNS1_3gpuE9ELNS1_3repE0EEENS1_38merge_mergepath_config_static_selectorELNS0_4arch9wavefront6targetE1EEEvSM_.has_indirect_call, 0
	.section	.AMDGPU.csdata,"",@progbits
; Kernel info:
; codeLenInByte = 0
; TotalNumSgprs: 6
; NumVgprs: 0
; NumAgprs: 0
; TotalNumVgprs: 0
; ScratchSize: 0
; MemoryBound: 0
; FloatMode: 240
; IeeeMode: 1
; LDSByteSize: 0 bytes/workgroup (compile time only)
; SGPRBlocks: 0
; VGPRBlocks: 0
; NumSGPRsForWavesPerEU: 6
; NumVGPRsForWavesPerEU: 1
; AccumOffset: 4
; Occupancy: 8
; WaveLimiterHint : 0
; COMPUTE_PGM_RSRC2:SCRATCH_EN: 0
; COMPUTE_PGM_RSRC2:USER_SGPR: 2
; COMPUTE_PGM_RSRC2:TRAP_HANDLER: 0
; COMPUTE_PGM_RSRC2:TGID_X_EN: 1
; COMPUTE_PGM_RSRC2:TGID_Y_EN: 0
; COMPUTE_PGM_RSRC2:TGID_Z_EN: 0
; COMPUTE_PGM_RSRC2:TIDIG_COMP_CNT: 0
; COMPUTE_PGM_RSRC3_GFX90A:ACCUM_OFFSET: 0
; COMPUTE_PGM_RSRC3_GFX90A:TG_SPLIT: 0
	.section	.text._ZN7rocprim17ROCPRIM_400000_NS6detail17trampoline_kernelINS0_14default_configENS1_38merge_sort_block_merge_config_selectorIlNS0_10empty_typeEEEZZNS1_27merge_sort_block_merge_implIS3_PlPS5_mZN2at6native12_GLOBAL__N_124unique_dim_cuda_templateIaEESt5tupleIJNSA_6TensorESF_SF_EERKSF_lbbbEUlllE_EE10hipError_tT0_T1_T2_jT3_P12ihipStream_tbPNSt15iterator_traitsISL_E10value_typeEPNSR_ISM_E10value_typeEPSN_NS1_7vsmem_tEENKUlT_SL_SM_SN_E_clIS8_S8_S9_S9_EESK_S10_SL_SM_SN_EUlS10_E0_NS1_11comp_targetILNS1_3genE4ELNS1_11target_archE910ELNS1_3gpuE8ELNS1_3repE0EEENS1_38merge_mergepath_config_static_selectorELNS0_4arch9wavefront6targetE1EEEvSM_,"axG",@progbits,_ZN7rocprim17ROCPRIM_400000_NS6detail17trampoline_kernelINS0_14default_configENS1_38merge_sort_block_merge_config_selectorIlNS0_10empty_typeEEEZZNS1_27merge_sort_block_merge_implIS3_PlPS5_mZN2at6native12_GLOBAL__N_124unique_dim_cuda_templateIaEESt5tupleIJNSA_6TensorESF_SF_EERKSF_lbbbEUlllE_EE10hipError_tT0_T1_T2_jT3_P12ihipStream_tbPNSt15iterator_traitsISL_E10value_typeEPNSR_ISM_E10value_typeEPSN_NS1_7vsmem_tEENKUlT_SL_SM_SN_E_clIS8_S8_S9_S9_EESK_S10_SL_SM_SN_EUlS10_E0_NS1_11comp_targetILNS1_3genE4ELNS1_11target_archE910ELNS1_3gpuE8ELNS1_3repE0EEENS1_38merge_mergepath_config_static_selectorELNS0_4arch9wavefront6targetE1EEEvSM_,comdat
	.globl	_ZN7rocprim17ROCPRIM_400000_NS6detail17trampoline_kernelINS0_14default_configENS1_38merge_sort_block_merge_config_selectorIlNS0_10empty_typeEEEZZNS1_27merge_sort_block_merge_implIS3_PlPS5_mZN2at6native12_GLOBAL__N_124unique_dim_cuda_templateIaEESt5tupleIJNSA_6TensorESF_SF_EERKSF_lbbbEUlllE_EE10hipError_tT0_T1_T2_jT3_P12ihipStream_tbPNSt15iterator_traitsISL_E10value_typeEPNSR_ISM_E10value_typeEPSN_NS1_7vsmem_tEENKUlT_SL_SM_SN_E_clIS8_S8_S9_S9_EESK_S10_SL_SM_SN_EUlS10_E0_NS1_11comp_targetILNS1_3genE4ELNS1_11target_archE910ELNS1_3gpuE8ELNS1_3repE0EEENS1_38merge_mergepath_config_static_selectorELNS0_4arch9wavefront6targetE1EEEvSM_ ; -- Begin function _ZN7rocprim17ROCPRIM_400000_NS6detail17trampoline_kernelINS0_14default_configENS1_38merge_sort_block_merge_config_selectorIlNS0_10empty_typeEEEZZNS1_27merge_sort_block_merge_implIS3_PlPS5_mZN2at6native12_GLOBAL__N_124unique_dim_cuda_templateIaEESt5tupleIJNSA_6TensorESF_SF_EERKSF_lbbbEUlllE_EE10hipError_tT0_T1_T2_jT3_P12ihipStream_tbPNSt15iterator_traitsISL_E10value_typeEPNSR_ISM_E10value_typeEPSN_NS1_7vsmem_tEENKUlT_SL_SM_SN_E_clIS8_S8_S9_S9_EESK_S10_SL_SM_SN_EUlS10_E0_NS1_11comp_targetILNS1_3genE4ELNS1_11target_archE910ELNS1_3gpuE8ELNS1_3repE0EEENS1_38merge_mergepath_config_static_selectorELNS0_4arch9wavefront6targetE1EEEvSM_
	.p2align	8
	.type	_ZN7rocprim17ROCPRIM_400000_NS6detail17trampoline_kernelINS0_14default_configENS1_38merge_sort_block_merge_config_selectorIlNS0_10empty_typeEEEZZNS1_27merge_sort_block_merge_implIS3_PlPS5_mZN2at6native12_GLOBAL__N_124unique_dim_cuda_templateIaEESt5tupleIJNSA_6TensorESF_SF_EERKSF_lbbbEUlllE_EE10hipError_tT0_T1_T2_jT3_P12ihipStream_tbPNSt15iterator_traitsISL_E10value_typeEPNSR_ISM_E10value_typeEPSN_NS1_7vsmem_tEENKUlT_SL_SM_SN_E_clIS8_S8_S9_S9_EESK_S10_SL_SM_SN_EUlS10_E0_NS1_11comp_targetILNS1_3genE4ELNS1_11target_archE910ELNS1_3gpuE8ELNS1_3repE0EEENS1_38merge_mergepath_config_static_selectorELNS0_4arch9wavefront6targetE1EEEvSM_,@function
_ZN7rocprim17ROCPRIM_400000_NS6detail17trampoline_kernelINS0_14default_configENS1_38merge_sort_block_merge_config_selectorIlNS0_10empty_typeEEEZZNS1_27merge_sort_block_merge_implIS3_PlPS5_mZN2at6native12_GLOBAL__N_124unique_dim_cuda_templateIaEESt5tupleIJNSA_6TensorESF_SF_EERKSF_lbbbEUlllE_EE10hipError_tT0_T1_T2_jT3_P12ihipStream_tbPNSt15iterator_traitsISL_E10value_typeEPNSR_ISM_E10value_typeEPSN_NS1_7vsmem_tEENKUlT_SL_SM_SN_E_clIS8_S8_S9_S9_EESK_S10_SL_SM_SN_EUlS10_E0_NS1_11comp_targetILNS1_3genE4ELNS1_11target_archE910ELNS1_3gpuE8ELNS1_3repE0EEENS1_38merge_mergepath_config_static_selectorELNS0_4arch9wavefront6targetE1EEEvSM_: ; @_ZN7rocprim17ROCPRIM_400000_NS6detail17trampoline_kernelINS0_14default_configENS1_38merge_sort_block_merge_config_selectorIlNS0_10empty_typeEEEZZNS1_27merge_sort_block_merge_implIS3_PlPS5_mZN2at6native12_GLOBAL__N_124unique_dim_cuda_templateIaEESt5tupleIJNSA_6TensorESF_SF_EERKSF_lbbbEUlllE_EE10hipError_tT0_T1_T2_jT3_P12ihipStream_tbPNSt15iterator_traitsISL_E10value_typeEPNSR_ISM_E10value_typeEPSN_NS1_7vsmem_tEENKUlT_SL_SM_SN_E_clIS8_S8_S9_S9_EESK_S10_SL_SM_SN_EUlS10_E0_NS1_11comp_targetILNS1_3genE4ELNS1_11target_archE910ELNS1_3gpuE8ELNS1_3repE0EEENS1_38merge_mergepath_config_static_selectorELNS0_4arch9wavefront6targetE1EEEvSM_
; %bb.0:
	.section	.rodata,"a",@progbits
	.p2align	6, 0x0
	.amdhsa_kernel _ZN7rocprim17ROCPRIM_400000_NS6detail17trampoline_kernelINS0_14default_configENS1_38merge_sort_block_merge_config_selectorIlNS0_10empty_typeEEEZZNS1_27merge_sort_block_merge_implIS3_PlPS5_mZN2at6native12_GLOBAL__N_124unique_dim_cuda_templateIaEESt5tupleIJNSA_6TensorESF_SF_EERKSF_lbbbEUlllE_EE10hipError_tT0_T1_T2_jT3_P12ihipStream_tbPNSt15iterator_traitsISL_E10value_typeEPNSR_ISM_E10value_typeEPSN_NS1_7vsmem_tEENKUlT_SL_SM_SN_E_clIS8_S8_S9_S9_EESK_S10_SL_SM_SN_EUlS10_E0_NS1_11comp_targetILNS1_3genE4ELNS1_11target_archE910ELNS1_3gpuE8ELNS1_3repE0EEENS1_38merge_mergepath_config_static_selectorELNS0_4arch9wavefront6targetE1EEEvSM_
		.amdhsa_group_segment_fixed_size 0
		.amdhsa_private_segment_fixed_size 0
		.amdhsa_kernarg_size 88
		.amdhsa_user_sgpr_count 2
		.amdhsa_user_sgpr_dispatch_ptr 0
		.amdhsa_user_sgpr_queue_ptr 0
		.amdhsa_user_sgpr_kernarg_segment_ptr 1
		.amdhsa_user_sgpr_dispatch_id 0
		.amdhsa_user_sgpr_kernarg_preload_length 0
		.amdhsa_user_sgpr_kernarg_preload_offset 0
		.amdhsa_user_sgpr_private_segment_size 0
		.amdhsa_uses_dynamic_stack 0
		.amdhsa_enable_private_segment 0
		.amdhsa_system_sgpr_workgroup_id_x 1
		.amdhsa_system_sgpr_workgroup_id_y 0
		.amdhsa_system_sgpr_workgroup_id_z 0
		.amdhsa_system_sgpr_workgroup_info 0
		.amdhsa_system_vgpr_workitem_id 0
		.amdhsa_next_free_vgpr 1
		.amdhsa_next_free_sgpr 0
		.amdhsa_accum_offset 4
		.amdhsa_reserve_vcc 0
		.amdhsa_float_round_mode_32 0
		.amdhsa_float_round_mode_16_64 0
		.amdhsa_float_denorm_mode_32 3
		.amdhsa_float_denorm_mode_16_64 3
		.amdhsa_dx10_clamp 1
		.amdhsa_ieee_mode 1
		.amdhsa_fp16_overflow 0
		.amdhsa_tg_split 0
		.amdhsa_exception_fp_ieee_invalid_op 0
		.amdhsa_exception_fp_denorm_src 0
		.amdhsa_exception_fp_ieee_div_zero 0
		.amdhsa_exception_fp_ieee_overflow 0
		.amdhsa_exception_fp_ieee_underflow 0
		.amdhsa_exception_fp_ieee_inexact 0
		.amdhsa_exception_int_div_zero 0
	.end_amdhsa_kernel
	.section	.text._ZN7rocprim17ROCPRIM_400000_NS6detail17trampoline_kernelINS0_14default_configENS1_38merge_sort_block_merge_config_selectorIlNS0_10empty_typeEEEZZNS1_27merge_sort_block_merge_implIS3_PlPS5_mZN2at6native12_GLOBAL__N_124unique_dim_cuda_templateIaEESt5tupleIJNSA_6TensorESF_SF_EERKSF_lbbbEUlllE_EE10hipError_tT0_T1_T2_jT3_P12ihipStream_tbPNSt15iterator_traitsISL_E10value_typeEPNSR_ISM_E10value_typeEPSN_NS1_7vsmem_tEENKUlT_SL_SM_SN_E_clIS8_S8_S9_S9_EESK_S10_SL_SM_SN_EUlS10_E0_NS1_11comp_targetILNS1_3genE4ELNS1_11target_archE910ELNS1_3gpuE8ELNS1_3repE0EEENS1_38merge_mergepath_config_static_selectorELNS0_4arch9wavefront6targetE1EEEvSM_,"axG",@progbits,_ZN7rocprim17ROCPRIM_400000_NS6detail17trampoline_kernelINS0_14default_configENS1_38merge_sort_block_merge_config_selectorIlNS0_10empty_typeEEEZZNS1_27merge_sort_block_merge_implIS3_PlPS5_mZN2at6native12_GLOBAL__N_124unique_dim_cuda_templateIaEESt5tupleIJNSA_6TensorESF_SF_EERKSF_lbbbEUlllE_EE10hipError_tT0_T1_T2_jT3_P12ihipStream_tbPNSt15iterator_traitsISL_E10value_typeEPNSR_ISM_E10value_typeEPSN_NS1_7vsmem_tEENKUlT_SL_SM_SN_E_clIS8_S8_S9_S9_EESK_S10_SL_SM_SN_EUlS10_E0_NS1_11comp_targetILNS1_3genE4ELNS1_11target_archE910ELNS1_3gpuE8ELNS1_3repE0EEENS1_38merge_mergepath_config_static_selectorELNS0_4arch9wavefront6targetE1EEEvSM_,comdat
.Lfunc_end281:
	.size	_ZN7rocprim17ROCPRIM_400000_NS6detail17trampoline_kernelINS0_14default_configENS1_38merge_sort_block_merge_config_selectorIlNS0_10empty_typeEEEZZNS1_27merge_sort_block_merge_implIS3_PlPS5_mZN2at6native12_GLOBAL__N_124unique_dim_cuda_templateIaEESt5tupleIJNSA_6TensorESF_SF_EERKSF_lbbbEUlllE_EE10hipError_tT0_T1_T2_jT3_P12ihipStream_tbPNSt15iterator_traitsISL_E10value_typeEPNSR_ISM_E10value_typeEPSN_NS1_7vsmem_tEENKUlT_SL_SM_SN_E_clIS8_S8_S9_S9_EESK_S10_SL_SM_SN_EUlS10_E0_NS1_11comp_targetILNS1_3genE4ELNS1_11target_archE910ELNS1_3gpuE8ELNS1_3repE0EEENS1_38merge_mergepath_config_static_selectorELNS0_4arch9wavefront6targetE1EEEvSM_, .Lfunc_end281-_ZN7rocprim17ROCPRIM_400000_NS6detail17trampoline_kernelINS0_14default_configENS1_38merge_sort_block_merge_config_selectorIlNS0_10empty_typeEEEZZNS1_27merge_sort_block_merge_implIS3_PlPS5_mZN2at6native12_GLOBAL__N_124unique_dim_cuda_templateIaEESt5tupleIJNSA_6TensorESF_SF_EERKSF_lbbbEUlllE_EE10hipError_tT0_T1_T2_jT3_P12ihipStream_tbPNSt15iterator_traitsISL_E10value_typeEPNSR_ISM_E10value_typeEPSN_NS1_7vsmem_tEENKUlT_SL_SM_SN_E_clIS8_S8_S9_S9_EESK_S10_SL_SM_SN_EUlS10_E0_NS1_11comp_targetILNS1_3genE4ELNS1_11target_archE910ELNS1_3gpuE8ELNS1_3repE0EEENS1_38merge_mergepath_config_static_selectorELNS0_4arch9wavefront6targetE1EEEvSM_
                                        ; -- End function
	.set _ZN7rocprim17ROCPRIM_400000_NS6detail17trampoline_kernelINS0_14default_configENS1_38merge_sort_block_merge_config_selectorIlNS0_10empty_typeEEEZZNS1_27merge_sort_block_merge_implIS3_PlPS5_mZN2at6native12_GLOBAL__N_124unique_dim_cuda_templateIaEESt5tupleIJNSA_6TensorESF_SF_EERKSF_lbbbEUlllE_EE10hipError_tT0_T1_T2_jT3_P12ihipStream_tbPNSt15iterator_traitsISL_E10value_typeEPNSR_ISM_E10value_typeEPSN_NS1_7vsmem_tEENKUlT_SL_SM_SN_E_clIS8_S8_S9_S9_EESK_S10_SL_SM_SN_EUlS10_E0_NS1_11comp_targetILNS1_3genE4ELNS1_11target_archE910ELNS1_3gpuE8ELNS1_3repE0EEENS1_38merge_mergepath_config_static_selectorELNS0_4arch9wavefront6targetE1EEEvSM_.num_vgpr, 0
	.set _ZN7rocprim17ROCPRIM_400000_NS6detail17trampoline_kernelINS0_14default_configENS1_38merge_sort_block_merge_config_selectorIlNS0_10empty_typeEEEZZNS1_27merge_sort_block_merge_implIS3_PlPS5_mZN2at6native12_GLOBAL__N_124unique_dim_cuda_templateIaEESt5tupleIJNSA_6TensorESF_SF_EERKSF_lbbbEUlllE_EE10hipError_tT0_T1_T2_jT3_P12ihipStream_tbPNSt15iterator_traitsISL_E10value_typeEPNSR_ISM_E10value_typeEPSN_NS1_7vsmem_tEENKUlT_SL_SM_SN_E_clIS8_S8_S9_S9_EESK_S10_SL_SM_SN_EUlS10_E0_NS1_11comp_targetILNS1_3genE4ELNS1_11target_archE910ELNS1_3gpuE8ELNS1_3repE0EEENS1_38merge_mergepath_config_static_selectorELNS0_4arch9wavefront6targetE1EEEvSM_.num_agpr, 0
	.set _ZN7rocprim17ROCPRIM_400000_NS6detail17trampoline_kernelINS0_14default_configENS1_38merge_sort_block_merge_config_selectorIlNS0_10empty_typeEEEZZNS1_27merge_sort_block_merge_implIS3_PlPS5_mZN2at6native12_GLOBAL__N_124unique_dim_cuda_templateIaEESt5tupleIJNSA_6TensorESF_SF_EERKSF_lbbbEUlllE_EE10hipError_tT0_T1_T2_jT3_P12ihipStream_tbPNSt15iterator_traitsISL_E10value_typeEPNSR_ISM_E10value_typeEPSN_NS1_7vsmem_tEENKUlT_SL_SM_SN_E_clIS8_S8_S9_S9_EESK_S10_SL_SM_SN_EUlS10_E0_NS1_11comp_targetILNS1_3genE4ELNS1_11target_archE910ELNS1_3gpuE8ELNS1_3repE0EEENS1_38merge_mergepath_config_static_selectorELNS0_4arch9wavefront6targetE1EEEvSM_.numbered_sgpr, 0
	.set _ZN7rocprim17ROCPRIM_400000_NS6detail17trampoline_kernelINS0_14default_configENS1_38merge_sort_block_merge_config_selectorIlNS0_10empty_typeEEEZZNS1_27merge_sort_block_merge_implIS3_PlPS5_mZN2at6native12_GLOBAL__N_124unique_dim_cuda_templateIaEESt5tupleIJNSA_6TensorESF_SF_EERKSF_lbbbEUlllE_EE10hipError_tT0_T1_T2_jT3_P12ihipStream_tbPNSt15iterator_traitsISL_E10value_typeEPNSR_ISM_E10value_typeEPSN_NS1_7vsmem_tEENKUlT_SL_SM_SN_E_clIS8_S8_S9_S9_EESK_S10_SL_SM_SN_EUlS10_E0_NS1_11comp_targetILNS1_3genE4ELNS1_11target_archE910ELNS1_3gpuE8ELNS1_3repE0EEENS1_38merge_mergepath_config_static_selectorELNS0_4arch9wavefront6targetE1EEEvSM_.num_named_barrier, 0
	.set _ZN7rocprim17ROCPRIM_400000_NS6detail17trampoline_kernelINS0_14default_configENS1_38merge_sort_block_merge_config_selectorIlNS0_10empty_typeEEEZZNS1_27merge_sort_block_merge_implIS3_PlPS5_mZN2at6native12_GLOBAL__N_124unique_dim_cuda_templateIaEESt5tupleIJNSA_6TensorESF_SF_EERKSF_lbbbEUlllE_EE10hipError_tT0_T1_T2_jT3_P12ihipStream_tbPNSt15iterator_traitsISL_E10value_typeEPNSR_ISM_E10value_typeEPSN_NS1_7vsmem_tEENKUlT_SL_SM_SN_E_clIS8_S8_S9_S9_EESK_S10_SL_SM_SN_EUlS10_E0_NS1_11comp_targetILNS1_3genE4ELNS1_11target_archE910ELNS1_3gpuE8ELNS1_3repE0EEENS1_38merge_mergepath_config_static_selectorELNS0_4arch9wavefront6targetE1EEEvSM_.private_seg_size, 0
	.set _ZN7rocprim17ROCPRIM_400000_NS6detail17trampoline_kernelINS0_14default_configENS1_38merge_sort_block_merge_config_selectorIlNS0_10empty_typeEEEZZNS1_27merge_sort_block_merge_implIS3_PlPS5_mZN2at6native12_GLOBAL__N_124unique_dim_cuda_templateIaEESt5tupleIJNSA_6TensorESF_SF_EERKSF_lbbbEUlllE_EE10hipError_tT0_T1_T2_jT3_P12ihipStream_tbPNSt15iterator_traitsISL_E10value_typeEPNSR_ISM_E10value_typeEPSN_NS1_7vsmem_tEENKUlT_SL_SM_SN_E_clIS8_S8_S9_S9_EESK_S10_SL_SM_SN_EUlS10_E0_NS1_11comp_targetILNS1_3genE4ELNS1_11target_archE910ELNS1_3gpuE8ELNS1_3repE0EEENS1_38merge_mergepath_config_static_selectorELNS0_4arch9wavefront6targetE1EEEvSM_.uses_vcc, 0
	.set _ZN7rocprim17ROCPRIM_400000_NS6detail17trampoline_kernelINS0_14default_configENS1_38merge_sort_block_merge_config_selectorIlNS0_10empty_typeEEEZZNS1_27merge_sort_block_merge_implIS3_PlPS5_mZN2at6native12_GLOBAL__N_124unique_dim_cuda_templateIaEESt5tupleIJNSA_6TensorESF_SF_EERKSF_lbbbEUlllE_EE10hipError_tT0_T1_T2_jT3_P12ihipStream_tbPNSt15iterator_traitsISL_E10value_typeEPNSR_ISM_E10value_typeEPSN_NS1_7vsmem_tEENKUlT_SL_SM_SN_E_clIS8_S8_S9_S9_EESK_S10_SL_SM_SN_EUlS10_E0_NS1_11comp_targetILNS1_3genE4ELNS1_11target_archE910ELNS1_3gpuE8ELNS1_3repE0EEENS1_38merge_mergepath_config_static_selectorELNS0_4arch9wavefront6targetE1EEEvSM_.uses_flat_scratch, 0
	.set _ZN7rocprim17ROCPRIM_400000_NS6detail17trampoline_kernelINS0_14default_configENS1_38merge_sort_block_merge_config_selectorIlNS0_10empty_typeEEEZZNS1_27merge_sort_block_merge_implIS3_PlPS5_mZN2at6native12_GLOBAL__N_124unique_dim_cuda_templateIaEESt5tupleIJNSA_6TensorESF_SF_EERKSF_lbbbEUlllE_EE10hipError_tT0_T1_T2_jT3_P12ihipStream_tbPNSt15iterator_traitsISL_E10value_typeEPNSR_ISM_E10value_typeEPSN_NS1_7vsmem_tEENKUlT_SL_SM_SN_E_clIS8_S8_S9_S9_EESK_S10_SL_SM_SN_EUlS10_E0_NS1_11comp_targetILNS1_3genE4ELNS1_11target_archE910ELNS1_3gpuE8ELNS1_3repE0EEENS1_38merge_mergepath_config_static_selectorELNS0_4arch9wavefront6targetE1EEEvSM_.has_dyn_sized_stack, 0
	.set _ZN7rocprim17ROCPRIM_400000_NS6detail17trampoline_kernelINS0_14default_configENS1_38merge_sort_block_merge_config_selectorIlNS0_10empty_typeEEEZZNS1_27merge_sort_block_merge_implIS3_PlPS5_mZN2at6native12_GLOBAL__N_124unique_dim_cuda_templateIaEESt5tupleIJNSA_6TensorESF_SF_EERKSF_lbbbEUlllE_EE10hipError_tT0_T1_T2_jT3_P12ihipStream_tbPNSt15iterator_traitsISL_E10value_typeEPNSR_ISM_E10value_typeEPSN_NS1_7vsmem_tEENKUlT_SL_SM_SN_E_clIS8_S8_S9_S9_EESK_S10_SL_SM_SN_EUlS10_E0_NS1_11comp_targetILNS1_3genE4ELNS1_11target_archE910ELNS1_3gpuE8ELNS1_3repE0EEENS1_38merge_mergepath_config_static_selectorELNS0_4arch9wavefront6targetE1EEEvSM_.has_recursion, 0
	.set _ZN7rocprim17ROCPRIM_400000_NS6detail17trampoline_kernelINS0_14default_configENS1_38merge_sort_block_merge_config_selectorIlNS0_10empty_typeEEEZZNS1_27merge_sort_block_merge_implIS3_PlPS5_mZN2at6native12_GLOBAL__N_124unique_dim_cuda_templateIaEESt5tupleIJNSA_6TensorESF_SF_EERKSF_lbbbEUlllE_EE10hipError_tT0_T1_T2_jT3_P12ihipStream_tbPNSt15iterator_traitsISL_E10value_typeEPNSR_ISM_E10value_typeEPSN_NS1_7vsmem_tEENKUlT_SL_SM_SN_E_clIS8_S8_S9_S9_EESK_S10_SL_SM_SN_EUlS10_E0_NS1_11comp_targetILNS1_3genE4ELNS1_11target_archE910ELNS1_3gpuE8ELNS1_3repE0EEENS1_38merge_mergepath_config_static_selectorELNS0_4arch9wavefront6targetE1EEEvSM_.has_indirect_call, 0
	.section	.AMDGPU.csdata,"",@progbits
; Kernel info:
; codeLenInByte = 0
; TotalNumSgprs: 6
; NumVgprs: 0
; NumAgprs: 0
; TotalNumVgprs: 0
; ScratchSize: 0
; MemoryBound: 0
; FloatMode: 240
; IeeeMode: 1
; LDSByteSize: 0 bytes/workgroup (compile time only)
; SGPRBlocks: 0
; VGPRBlocks: 0
; NumSGPRsForWavesPerEU: 6
; NumVGPRsForWavesPerEU: 1
; AccumOffset: 4
; Occupancy: 8
; WaveLimiterHint : 0
; COMPUTE_PGM_RSRC2:SCRATCH_EN: 0
; COMPUTE_PGM_RSRC2:USER_SGPR: 2
; COMPUTE_PGM_RSRC2:TRAP_HANDLER: 0
; COMPUTE_PGM_RSRC2:TGID_X_EN: 1
; COMPUTE_PGM_RSRC2:TGID_Y_EN: 0
; COMPUTE_PGM_RSRC2:TGID_Z_EN: 0
; COMPUTE_PGM_RSRC2:TIDIG_COMP_CNT: 0
; COMPUTE_PGM_RSRC3_GFX90A:ACCUM_OFFSET: 0
; COMPUTE_PGM_RSRC3_GFX90A:TG_SPLIT: 0
	.section	.text._ZN7rocprim17ROCPRIM_400000_NS6detail17trampoline_kernelINS0_14default_configENS1_38merge_sort_block_merge_config_selectorIlNS0_10empty_typeEEEZZNS1_27merge_sort_block_merge_implIS3_PlPS5_mZN2at6native12_GLOBAL__N_124unique_dim_cuda_templateIaEESt5tupleIJNSA_6TensorESF_SF_EERKSF_lbbbEUlllE_EE10hipError_tT0_T1_T2_jT3_P12ihipStream_tbPNSt15iterator_traitsISL_E10value_typeEPNSR_ISM_E10value_typeEPSN_NS1_7vsmem_tEENKUlT_SL_SM_SN_E_clIS8_S8_S9_S9_EESK_S10_SL_SM_SN_EUlS10_E0_NS1_11comp_targetILNS1_3genE3ELNS1_11target_archE908ELNS1_3gpuE7ELNS1_3repE0EEENS1_38merge_mergepath_config_static_selectorELNS0_4arch9wavefront6targetE1EEEvSM_,"axG",@progbits,_ZN7rocprim17ROCPRIM_400000_NS6detail17trampoline_kernelINS0_14default_configENS1_38merge_sort_block_merge_config_selectorIlNS0_10empty_typeEEEZZNS1_27merge_sort_block_merge_implIS3_PlPS5_mZN2at6native12_GLOBAL__N_124unique_dim_cuda_templateIaEESt5tupleIJNSA_6TensorESF_SF_EERKSF_lbbbEUlllE_EE10hipError_tT0_T1_T2_jT3_P12ihipStream_tbPNSt15iterator_traitsISL_E10value_typeEPNSR_ISM_E10value_typeEPSN_NS1_7vsmem_tEENKUlT_SL_SM_SN_E_clIS8_S8_S9_S9_EESK_S10_SL_SM_SN_EUlS10_E0_NS1_11comp_targetILNS1_3genE3ELNS1_11target_archE908ELNS1_3gpuE7ELNS1_3repE0EEENS1_38merge_mergepath_config_static_selectorELNS0_4arch9wavefront6targetE1EEEvSM_,comdat
	.globl	_ZN7rocprim17ROCPRIM_400000_NS6detail17trampoline_kernelINS0_14default_configENS1_38merge_sort_block_merge_config_selectorIlNS0_10empty_typeEEEZZNS1_27merge_sort_block_merge_implIS3_PlPS5_mZN2at6native12_GLOBAL__N_124unique_dim_cuda_templateIaEESt5tupleIJNSA_6TensorESF_SF_EERKSF_lbbbEUlllE_EE10hipError_tT0_T1_T2_jT3_P12ihipStream_tbPNSt15iterator_traitsISL_E10value_typeEPNSR_ISM_E10value_typeEPSN_NS1_7vsmem_tEENKUlT_SL_SM_SN_E_clIS8_S8_S9_S9_EESK_S10_SL_SM_SN_EUlS10_E0_NS1_11comp_targetILNS1_3genE3ELNS1_11target_archE908ELNS1_3gpuE7ELNS1_3repE0EEENS1_38merge_mergepath_config_static_selectorELNS0_4arch9wavefront6targetE1EEEvSM_ ; -- Begin function _ZN7rocprim17ROCPRIM_400000_NS6detail17trampoline_kernelINS0_14default_configENS1_38merge_sort_block_merge_config_selectorIlNS0_10empty_typeEEEZZNS1_27merge_sort_block_merge_implIS3_PlPS5_mZN2at6native12_GLOBAL__N_124unique_dim_cuda_templateIaEESt5tupleIJNSA_6TensorESF_SF_EERKSF_lbbbEUlllE_EE10hipError_tT0_T1_T2_jT3_P12ihipStream_tbPNSt15iterator_traitsISL_E10value_typeEPNSR_ISM_E10value_typeEPSN_NS1_7vsmem_tEENKUlT_SL_SM_SN_E_clIS8_S8_S9_S9_EESK_S10_SL_SM_SN_EUlS10_E0_NS1_11comp_targetILNS1_3genE3ELNS1_11target_archE908ELNS1_3gpuE7ELNS1_3repE0EEENS1_38merge_mergepath_config_static_selectorELNS0_4arch9wavefront6targetE1EEEvSM_
	.p2align	8
	.type	_ZN7rocprim17ROCPRIM_400000_NS6detail17trampoline_kernelINS0_14default_configENS1_38merge_sort_block_merge_config_selectorIlNS0_10empty_typeEEEZZNS1_27merge_sort_block_merge_implIS3_PlPS5_mZN2at6native12_GLOBAL__N_124unique_dim_cuda_templateIaEESt5tupleIJNSA_6TensorESF_SF_EERKSF_lbbbEUlllE_EE10hipError_tT0_T1_T2_jT3_P12ihipStream_tbPNSt15iterator_traitsISL_E10value_typeEPNSR_ISM_E10value_typeEPSN_NS1_7vsmem_tEENKUlT_SL_SM_SN_E_clIS8_S8_S9_S9_EESK_S10_SL_SM_SN_EUlS10_E0_NS1_11comp_targetILNS1_3genE3ELNS1_11target_archE908ELNS1_3gpuE7ELNS1_3repE0EEENS1_38merge_mergepath_config_static_selectorELNS0_4arch9wavefront6targetE1EEEvSM_,@function
_ZN7rocprim17ROCPRIM_400000_NS6detail17trampoline_kernelINS0_14default_configENS1_38merge_sort_block_merge_config_selectorIlNS0_10empty_typeEEEZZNS1_27merge_sort_block_merge_implIS3_PlPS5_mZN2at6native12_GLOBAL__N_124unique_dim_cuda_templateIaEESt5tupleIJNSA_6TensorESF_SF_EERKSF_lbbbEUlllE_EE10hipError_tT0_T1_T2_jT3_P12ihipStream_tbPNSt15iterator_traitsISL_E10value_typeEPNSR_ISM_E10value_typeEPSN_NS1_7vsmem_tEENKUlT_SL_SM_SN_E_clIS8_S8_S9_S9_EESK_S10_SL_SM_SN_EUlS10_E0_NS1_11comp_targetILNS1_3genE3ELNS1_11target_archE908ELNS1_3gpuE7ELNS1_3repE0EEENS1_38merge_mergepath_config_static_selectorELNS0_4arch9wavefront6targetE1EEEvSM_: ; @_ZN7rocprim17ROCPRIM_400000_NS6detail17trampoline_kernelINS0_14default_configENS1_38merge_sort_block_merge_config_selectorIlNS0_10empty_typeEEEZZNS1_27merge_sort_block_merge_implIS3_PlPS5_mZN2at6native12_GLOBAL__N_124unique_dim_cuda_templateIaEESt5tupleIJNSA_6TensorESF_SF_EERKSF_lbbbEUlllE_EE10hipError_tT0_T1_T2_jT3_P12ihipStream_tbPNSt15iterator_traitsISL_E10value_typeEPNSR_ISM_E10value_typeEPSN_NS1_7vsmem_tEENKUlT_SL_SM_SN_E_clIS8_S8_S9_S9_EESK_S10_SL_SM_SN_EUlS10_E0_NS1_11comp_targetILNS1_3genE3ELNS1_11target_archE908ELNS1_3gpuE7ELNS1_3repE0EEENS1_38merge_mergepath_config_static_selectorELNS0_4arch9wavefront6targetE1EEEvSM_
; %bb.0:
	.section	.rodata,"a",@progbits
	.p2align	6, 0x0
	.amdhsa_kernel _ZN7rocprim17ROCPRIM_400000_NS6detail17trampoline_kernelINS0_14default_configENS1_38merge_sort_block_merge_config_selectorIlNS0_10empty_typeEEEZZNS1_27merge_sort_block_merge_implIS3_PlPS5_mZN2at6native12_GLOBAL__N_124unique_dim_cuda_templateIaEESt5tupleIJNSA_6TensorESF_SF_EERKSF_lbbbEUlllE_EE10hipError_tT0_T1_T2_jT3_P12ihipStream_tbPNSt15iterator_traitsISL_E10value_typeEPNSR_ISM_E10value_typeEPSN_NS1_7vsmem_tEENKUlT_SL_SM_SN_E_clIS8_S8_S9_S9_EESK_S10_SL_SM_SN_EUlS10_E0_NS1_11comp_targetILNS1_3genE3ELNS1_11target_archE908ELNS1_3gpuE7ELNS1_3repE0EEENS1_38merge_mergepath_config_static_selectorELNS0_4arch9wavefront6targetE1EEEvSM_
		.amdhsa_group_segment_fixed_size 0
		.amdhsa_private_segment_fixed_size 0
		.amdhsa_kernarg_size 88
		.amdhsa_user_sgpr_count 2
		.amdhsa_user_sgpr_dispatch_ptr 0
		.amdhsa_user_sgpr_queue_ptr 0
		.amdhsa_user_sgpr_kernarg_segment_ptr 1
		.amdhsa_user_sgpr_dispatch_id 0
		.amdhsa_user_sgpr_kernarg_preload_length 0
		.amdhsa_user_sgpr_kernarg_preload_offset 0
		.amdhsa_user_sgpr_private_segment_size 0
		.amdhsa_uses_dynamic_stack 0
		.amdhsa_enable_private_segment 0
		.amdhsa_system_sgpr_workgroup_id_x 1
		.amdhsa_system_sgpr_workgroup_id_y 0
		.amdhsa_system_sgpr_workgroup_id_z 0
		.amdhsa_system_sgpr_workgroup_info 0
		.amdhsa_system_vgpr_workitem_id 0
		.amdhsa_next_free_vgpr 1
		.amdhsa_next_free_sgpr 0
		.amdhsa_accum_offset 4
		.amdhsa_reserve_vcc 0
		.amdhsa_float_round_mode_32 0
		.amdhsa_float_round_mode_16_64 0
		.amdhsa_float_denorm_mode_32 3
		.amdhsa_float_denorm_mode_16_64 3
		.amdhsa_dx10_clamp 1
		.amdhsa_ieee_mode 1
		.amdhsa_fp16_overflow 0
		.amdhsa_tg_split 0
		.amdhsa_exception_fp_ieee_invalid_op 0
		.amdhsa_exception_fp_denorm_src 0
		.amdhsa_exception_fp_ieee_div_zero 0
		.amdhsa_exception_fp_ieee_overflow 0
		.amdhsa_exception_fp_ieee_underflow 0
		.amdhsa_exception_fp_ieee_inexact 0
		.amdhsa_exception_int_div_zero 0
	.end_amdhsa_kernel
	.section	.text._ZN7rocprim17ROCPRIM_400000_NS6detail17trampoline_kernelINS0_14default_configENS1_38merge_sort_block_merge_config_selectorIlNS0_10empty_typeEEEZZNS1_27merge_sort_block_merge_implIS3_PlPS5_mZN2at6native12_GLOBAL__N_124unique_dim_cuda_templateIaEESt5tupleIJNSA_6TensorESF_SF_EERKSF_lbbbEUlllE_EE10hipError_tT0_T1_T2_jT3_P12ihipStream_tbPNSt15iterator_traitsISL_E10value_typeEPNSR_ISM_E10value_typeEPSN_NS1_7vsmem_tEENKUlT_SL_SM_SN_E_clIS8_S8_S9_S9_EESK_S10_SL_SM_SN_EUlS10_E0_NS1_11comp_targetILNS1_3genE3ELNS1_11target_archE908ELNS1_3gpuE7ELNS1_3repE0EEENS1_38merge_mergepath_config_static_selectorELNS0_4arch9wavefront6targetE1EEEvSM_,"axG",@progbits,_ZN7rocprim17ROCPRIM_400000_NS6detail17trampoline_kernelINS0_14default_configENS1_38merge_sort_block_merge_config_selectorIlNS0_10empty_typeEEEZZNS1_27merge_sort_block_merge_implIS3_PlPS5_mZN2at6native12_GLOBAL__N_124unique_dim_cuda_templateIaEESt5tupleIJNSA_6TensorESF_SF_EERKSF_lbbbEUlllE_EE10hipError_tT0_T1_T2_jT3_P12ihipStream_tbPNSt15iterator_traitsISL_E10value_typeEPNSR_ISM_E10value_typeEPSN_NS1_7vsmem_tEENKUlT_SL_SM_SN_E_clIS8_S8_S9_S9_EESK_S10_SL_SM_SN_EUlS10_E0_NS1_11comp_targetILNS1_3genE3ELNS1_11target_archE908ELNS1_3gpuE7ELNS1_3repE0EEENS1_38merge_mergepath_config_static_selectorELNS0_4arch9wavefront6targetE1EEEvSM_,comdat
.Lfunc_end282:
	.size	_ZN7rocprim17ROCPRIM_400000_NS6detail17trampoline_kernelINS0_14default_configENS1_38merge_sort_block_merge_config_selectorIlNS0_10empty_typeEEEZZNS1_27merge_sort_block_merge_implIS3_PlPS5_mZN2at6native12_GLOBAL__N_124unique_dim_cuda_templateIaEESt5tupleIJNSA_6TensorESF_SF_EERKSF_lbbbEUlllE_EE10hipError_tT0_T1_T2_jT3_P12ihipStream_tbPNSt15iterator_traitsISL_E10value_typeEPNSR_ISM_E10value_typeEPSN_NS1_7vsmem_tEENKUlT_SL_SM_SN_E_clIS8_S8_S9_S9_EESK_S10_SL_SM_SN_EUlS10_E0_NS1_11comp_targetILNS1_3genE3ELNS1_11target_archE908ELNS1_3gpuE7ELNS1_3repE0EEENS1_38merge_mergepath_config_static_selectorELNS0_4arch9wavefront6targetE1EEEvSM_, .Lfunc_end282-_ZN7rocprim17ROCPRIM_400000_NS6detail17trampoline_kernelINS0_14default_configENS1_38merge_sort_block_merge_config_selectorIlNS0_10empty_typeEEEZZNS1_27merge_sort_block_merge_implIS3_PlPS5_mZN2at6native12_GLOBAL__N_124unique_dim_cuda_templateIaEESt5tupleIJNSA_6TensorESF_SF_EERKSF_lbbbEUlllE_EE10hipError_tT0_T1_T2_jT3_P12ihipStream_tbPNSt15iterator_traitsISL_E10value_typeEPNSR_ISM_E10value_typeEPSN_NS1_7vsmem_tEENKUlT_SL_SM_SN_E_clIS8_S8_S9_S9_EESK_S10_SL_SM_SN_EUlS10_E0_NS1_11comp_targetILNS1_3genE3ELNS1_11target_archE908ELNS1_3gpuE7ELNS1_3repE0EEENS1_38merge_mergepath_config_static_selectorELNS0_4arch9wavefront6targetE1EEEvSM_
                                        ; -- End function
	.set _ZN7rocprim17ROCPRIM_400000_NS6detail17trampoline_kernelINS0_14default_configENS1_38merge_sort_block_merge_config_selectorIlNS0_10empty_typeEEEZZNS1_27merge_sort_block_merge_implIS3_PlPS5_mZN2at6native12_GLOBAL__N_124unique_dim_cuda_templateIaEESt5tupleIJNSA_6TensorESF_SF_EERKSF_lbbbEUlllE_EE10hipError_tT0_T1_T2_jT3_P12ihipStream_tbPNSt15iterator_traitsISL_E10value_typeEPNSR_ISM_E10value_typeEPSN_NS1_7vsmem_tEENKUlT_SL_SM_SN_E_clIS8_S8_S9_S9_EESK_S10_SL_SM_SN_EUlS10_E0_NS1_11comp_targetILNS1_3genE3ELNS1_11target_archE908ELNS1_3gpuE7ELNS1_3repE0EEENS1_38merge_mergepath_config_static_selectorELNS0_4arch9wavefront6targetE1EEEvSM_.num_vgpr, 0
	.set _ZN7rocprim17ROCPRIM_400000_NS6detail17trampoline_kernelINS0_14default_configENS1_38merge_sort_block_merge_config_selectorIlNS0_10empty_typeEEEZZNS1_27merge_sort_block_merge_implIS3_PlPS5_mZN2at6native12_GLOBAL__N_124unique_dim_cuda_templateIaEESt5tupleIJNSA_6TensorESF_SF_EERKSF_lbbbEUlllE_EE10hipError_tT0_T1_T2_jT3_P12ihipStream_tbPNSt15iterator_traitsISL_E10value_typeEPNSR_ISM_E10value_typeEPSN_NS1_7vsmem_tEENKUlT_SL_SM_SN_E_clIS8_S8_S9_S9_EESK_S10_SL_SM_SN_EUlS10_E0_NS1_11comp_targetILNS1_3genE3ELNS1_11target_archE908ELNS1_3gpuE7ELNS1_3repE0EEENS1_38merge_mergepath_config_static_selectorELNS0_4arch9wavefront6targetE1EEEvSM_.num_agpr, 0
	.set _ZN7rocprim17ROCPRIM_400000_NS6detail17trampoline_kernelINS0_14default_configENS1_38merge_sort_block_merge_config_selectorIlNS0_10empty_typeEEEZZNS1_27merge_sort_block_merge_implIS3_PlPS5_mZN2at6native12_GLOBAL__N_124unique_dim_cuda_templateIaEESt5tupleIJNSA_6TensorESF_SF_EERKSF_lbbbEUlllE_EE10hipError_tT0_T1_T2_jT3_P12ihipStream_tbPNSt15iterator_traitsISL_E10value_typeEPNSR_ISM_E10value_typeEPSN_NS1_7vsmem_tEENKUlT_SL_SM_SN_E_clIS8_S8_S9_S9_EESK_S10_SL_SM_SN_EUlS10_E0_NS1_11comp_targetILNS1_3genE3ELNS1_11target_archE908ELNS1_3gpuE7ELNS1_3repE0EEENS1_38merge_mergepath_config_static_selectorELNS0_4arch9wavefront6targetE1EEEvSM_.numbered_sgpr, 0
	.set _ZN7rocprim17ROCPRIM_400000_NS6detail17trampoline_kernelINS0_14default_configENS1_38merge_sort_block_merge_config_selectorIlNS0_10empty_typeEEEZZNS1_27merge_sort_block_merge_implIS3_PlPS5_mZN2at6native12_GLOBAL__N_124unique_dim_cuda_templateIaEESt5tupleIJNSA_6TensorESF_SF_EERKSF_lbbbEUlllE_EE10hipError_tT0_T1_T2_jT3_P12ihipStream_tbPNSt15iterator_traitsISL_E10value_typeEPNSR_ISM_E10value_typeEPSN_NS1_7vsmem_tEENKUlT_SL_SM_SN_E_clIS8_S8_S9_S9_EESK_S10_SL_SM_SN_EUlS10_E0_NS1_11comp_targetILNS1_3genE3ELNS1_11target_archE908ELNS1_3gpuE7ELNS1_3repE0EEENS1_38merge_mergepath_config_static_selectorELNS0_4arch9wavefront6targetE1EEEvSM_.num_named_barrier, 0
	.set _ZN7rocprim17ROCPRIM_400000_NS6detail17trampoline_kernelINS0_14default_configENS1_38merge_sort_block_merge_config_selectorIlNS0_10empty_typeEEEZZNS1_27merge_sort_block_merge_implIS3_PlPS5_mZN2at6native12_GLOBAL__N_124unique_dim_cuda_templateIaEESt5tupleIJNSA_6TensorESF_SF_EERKSF_lbbbEUlllE_EE10hipError_tT0_T1_T2_jT3_P12ihipStream_tbPNSt15iterator_traitsISL_E10value_typeEPNSR_ISM_E10value_typeEPSN_NS1_7vsmem_tEENKUlT_SL_SM_SN_E_clIS8_S8_S9_S9_EESK_S10_SL_SM_SN_EUlS10_E0_NS1_11comp_targetILNS1_3genE3ELNS1_11target_archE908ELNS1_3gpuE7ELNS1_3repE0EEENS1_38merge_mergepath_config_static_selectorELNS0_4arch9wavefront6targetE1EEEvSM_.private_seg_size, 0
	.set _ZN7rocprim17ROCPRIM_400000_NS6detail17trampoline_kernelINS0_14default_configENS1_38merge_sort_block_merge_config_selectorIlNS0_10empty_typeEEEZZNS1_27merge_sort_block_merge_implIS3_PlPS5_mZN2at6native12_GLOBAL__N_124unique_dim_cuda_templateIaEESt5tupleIJNSA_6TensorESF_SF_EERKSF_lbbbEUlllE_EE10hipError_tT0_T1_T2_jT3_P12ihipStream_tbPNSt15iterator_traitsISL_E10value_typeEPNSR_ISM_E10value_typeEPSN_NS1_7vsmem_tEENKUlT_SL_SM_SN_E_clIS8_S8_S9_S9_EESK_S10_SL_SM_SN_EUlS10_E0_NS1_11comp_targetILNS1_3genE3ELNS1_11target_archE908ELNS1_3gpuE7ELNS1_3repE0EEENS1_38merge_mergepath_config_static_selectorELNS0_4arch9wavefront6targetE1EEEvSM_.uses_vcc, 0
	.set _ZN7rocprim17ROCPRIM_400000_NS6detail17trampoline_kernelINS0_14default_configENS1_38merge_sort_block_merge_config_selectorIlNS0_10empty_typeEEEZZNS1_27merge_sort_block_merge_implIS3_PlPS5_mZN2at6native12_GLOBAL__N_124unique_dim_cuda_templateIaEESt5tupleIJNSA_6TensorESF_SF_EERKSF_lbbbEUlllE_EE10hipError_tT0_T1_T2_jT3_P12ihipStream_tbPNSt15iterator_traitsISL_E10value_typeEPNSR_ISM_E10value_typeEPSN_NS1_7vsmem_tEENKUlT_SL_SM_SN_E_clIS8_S8_S9_S9_EESK_S10_SL_SM_SN_EUlS10_E0_NS1_11comp_targetILNS1_3genE3ELNS1_11target_archE908ELNS1_3gpuE7ELNS1_3repE0EEENS1_38merge_mergepath_config_static_selectorELNS0_4arch9wavefront6targetE1EEEvSM_.uses_flat_scratch, 0
	.set _ZN7rocprim17ROCPRIM_400000_NS6detail17trampoline_kernelINS0_14default_configENS1_38merge_sort_block_merge_config_selectorIlNS0_10empty_typeEEEZZNS1_27merge_sort_block_merge_implIS3_PlPS5_mZN2at6native12_GLOBAL__N_124unique_dim_cuda_templateIaEESt5tupleIJNSA_6TensorESF_SF_EERKSF_lbbbEUlllE_EE10hipError_tT0_T1_T2_jT3_P12ihipStream_tbPNSt15iterator_traitsISL_E10value_typeEPNSR_ISM_E10value_typeEPSN_NS1_7vsmem_tEENKUlT_SL_SM_SN_E_clIS8_S8_S9_S9_EESK_S10_SL_SM_SN_EUlS10_E0_NS1_11comp_targetILNS1_3genE3ELNS1_11target_archE908ELNS1_3gpuE7ELNS1_3repE0EEENS1_38merge_mergepath_config_static_selectorELNS0_4arch9wavefront6targetE1EEEvSM_.has_dyn_sized_stack, 0
	.set _ZN7rocprim17ROCPRIM_400000_NS6detail17trampoline_kernelINS0_14default_configENS1_38merge_sort_block_merge_config_selectorIlNS0_10empty_typeEEEZZNS1_27merge_sort_block_merge_implIS3_PlPS5_mZN2at6native12_GLOBAL__N_124unique_dim_cuda_templateIaEESt5tupleIJNSA_6TensorESF_SF_EERKSF_lbbbEUlllE_EE10hipError_tT0_T1_T2_jT3_P12ihipStream_tbPNSt15iterator_traitsISL_E10value_typeEPNSR_ISM_E10value_typeEPSN_NS1_7vsmem_tEENKUlT_SL_SM_SN_E_clIS8_S8_S9_S9_EESK_S10_SL_SM_SN_EUlS10_E0_NS1_11comp_targetILNS1_3genE3ELNS1_11target_archE908ELNS1_3gpuE7ELNS1_3repE0EEENS1_38merge_mergepath_config_static_selectorELNS0_4arch9wavefront6targetE1EEEvSM_.has_recursion, 0
	.set _ZN7rocprim17ROCPRIM_400000_NS6detail17trampoline_kernelINS0_14default_configENS1_38merge_sort_block_merge_config_selectorIlNS0_10empty_typeEEEZZNS1_27merge_sort_block_merge_implIS3_PlPS5_mZN2at6native12_GLOBAL__N_124unique_dim_cuda_templateIaEESt5tupleIJNSA_6TensorESF_SF_EERKSF_lbbbEUlllE_EE10hipError_tT0_T1_T2_jT3_P12ihipStream_tbPNSt15iterator_traitsISL_E10value_typeEPNSR_ISM_E10value_typeEPSN_NS1_7vsmem_tEENKUlT_SL_SM_SN_E_clIS8_S8_S9_S9_EESK_S10_SL_SM_SN_EUlS10_E0_NS1_11comp_targetILNS1_3genE3ELNS1_11target_archE908ELNS1_3gpuE7ELNS1_3repE0EEENS1_38merge_mergepath_config_static_selectorELNS0_4arch9wavefront6targetE1EEEvSM_.has_indirect_call, 0
	.section	.AMDGPU.csdata,"",@progbits
; Kernel info:
; codeLenInByte = 0
; TotalNumSgprs: 6
; NumVgprs: 0
; NumAgprs: 0
; TotalNumVgprs: 0
; ScratchSize: 0
; MemoryBound: 0
; FloatMode: 240
; IeeeMode: 1
; LDSByteSize: 0 bytes/workgroup (compile time only)
; SGPRBlocks: 0
; VGPRBlocks: 0
; NumSGPRsForWavesPerEU: 6
; NumVGPRsForWavesPerEU: 1
; AccumOffset: 4
; Occupancy: 8
; WaveLimiterHint : 0
; COMPUTE_PGM_RSRC2:SCRATCH_EN: 0
; COMPUTE_PGM_RSRC2:USER_SGPR: 2
; COMPUTE_PGM_RSRC2:TRAP_HANDLER: 0
; COMPUTE_PGM_RSRC2:TGID_X_EN: 1
; COMPUTE_PGM_RSRC2:TGID_Y_EN: 0
; COMPUTE_PGM_RSRC2:TGID_Z_EN: 0
; COMPUTE_PGM_RSRC2:TIDIG_COMP_CNT: 0
; COMPUTE_PGM_RSRC3_GFX90A:ACCUM_OFFSET: 0
; COMPUTE_PGM_RSRC3_GFX90A:TG_SPLIT: 0
	.section	.text._ZN7rocprim17ROCPRIM_400000_NS6detail17trampoline_kernelINS0_14default_configENS1_38merge_sort_block_merge_config_selectorIlNS0_10empty_typeEEEZZNS1_27merge_sort_block_merge_implIS3_PlPS5_mZN2at6native12_GLOBAL__N_124unique_dim_cuda_templateIaEESt5tupleIJNSA_6TensorESF_SF_EERKSF_lbbbEUlllE_EE10hipError_tT0_T1_T2_jT3_P12ihipStream_tbPNSt15iterator_traitsISL_E10value_typeEPNSR_ISM_E10value_typeEPSN_NS1_7vsmem_tEENKUlT_SL_SM_SN_E_clIS8_S8_S9_S9_EESK_S10_SL_SM_SN_EUlS10_E0_NS1_11comp_targetILNS1_3genE2ELNS1_11target_archE906ELNS1_3gpuE6ELNS1_3repE0EEENS1_38merge_mergepath_config_static_selectorELNS0_4arch9wavefront6targetE1EEEvSM_,"axG",@progbits,_ZN7rocprim17ROCPRIM_400000_NS6detail17trampoline_kernelINS0_14default_configENS1_38merge_sort_block_merge_config_selectorIlNS0_10empty_typeEEEZZNS1_27merge_sort_block_merge_implIS3_PlPS5_mZN2at6native12_GLOBAL__N_124unique_dim_cuda_templateIaEESt5tupleIJNSA_6TensorESF_SF_EERKSF_lbbbEUlllE_EE10hipError_tT0_T1_T2_jT3_P12ihipStream_tbPNSt15iterator_traitsISL_E10value_typeEPNSR_ISM_E10value_typeEPSN_NS1_7vsmem_tEENKUlT_SL_SM_SN_E_clIS8_S8_S9_S9_EESK_S10_SL_SM_SN_EUlS10_E0_NS1_11comp_targetILNS1_3genE2ELNS1_11target_archE906ELNS1_3gpuE6ELNS1_3repE0EEENS1_38merge_mergepath_config_static_selectorELNS0_4arch9wavefront6targetE1EEEvSM_,comdat
	.globl	_ZN7rocprim17ROCPRIM_400000_NS6detail17trampoline_kernelINS0_14default_configENS1_38merge_sort_block_merge_config_selectorIlNS0_10empty_typeEEEZZNS1_27merge_sort_block_merge_implIS3_PlPS5_mZN2at6native12_GLOBAL__N_124unique_dim_cuda_templateIaEESt5tupleIJNSA_6TensorESF_SF_EERKSF_lbbbEUlllE_EE10hipError_tT0_T1_T2_jT3_P12ihipStream_tbPNSt15iterator_traitsISL_E10value_typeEPNSR_ISM_E10value_typeEPSN_NS1_7vsmem_tEENKUlT_SL_SM_SN_E_clIS8_S8_S9_S9_EESK_S10_SL_SM_SN_EUlS10_E0_NS1_11comp_targetILNS1_3genE2ELNS1_11target_archE906ELNS1_3gpuE6ELNS1_3repE0EEENS1_38merge_mergepath_config_static_selectorELNS0_4arch9wavefront6targetE1EEEvSM_ ; -- Begin function _ZN7rocprim17ROCPRIM_400000_NS6detail17trampoline_kernelINS0_14default_configENS1_38merge_sort_block_merge_config_selectorIlNS0_10empty_typeEEEZZNS1_27merge_sort_block_merge_implIS3_PlPS5_mZN2at6native12_GLOBAL__N_124unique_dim_cuda_templateIaEESt5tupleIJNSA_6TensorESF_SF_EERKSF_lbbbEUlllE_EE10hipError_tT0_T1_T2_jT3_P12ihipStream_tbPNSt15iterator_traitsISL_E10value_typeEPNSR_ISM_E10value_typeEPSN_NS1_7vsmem_tEENKUlT_SL_SM_SN_E_clIS8_S8_S9_S9_EESK_S10_SL_SM_SN_EUlS10_E0_NS1_11comp_targetILNS1_3genE2ELNS1_11target_archE906ELNS1_3gpuE6ELNS1_3repE0EEENS1_38merge_mergepath_config_static_selectorELNS0_4arch9wavefront6targetE1EEEvSM_
	.p2align	8
	.type	_ZN7rocprim17ROCPRIM_400000_NS6detail17trampoline_kernelINS0_14default_configENS1_38merge_sort_block_merge_config_selectorIlNS0_10empty_typeEEEZZNS1_27merge_sort_block_merge_implIS3_PlPS5_mZN2at6native12_GLOBAL__N_124unique_dim_cuda_templateIaEESt5tupleIJNSA_6TensorESF_SF_EERKSF_lbbbEUlllE_EE10hipError_tT0_T1_T2_jT3_P12ihipStream_tbPNSt15iterator_traitsISL_E10value_typeEPNSR_ISM_E10value_typeEPSN_NS1_7vsmem_tEENKUlT_SL_SM_SN_E_clIS8_S8_S9_S9_EESK_S10_SL_SM_SN_EUlS10_E0_NS1_11comp_targetILNS1_3genE2ELNS1_11target_archE906ELNS1_3gpuE6ELNS1_3repE0EEENS1_38merge_mergepath_config_static_selectorELNS0_4arch9wavefront6targetE1EEEvSM_,@function
_ZN7rocprim17ROCPRIM_400000_NS6detail17trampoline_kernelINS0_14default_configENS1_38merge_sort_block_merge_config_selectorIlNS0_10empty_typeEEEZZNS1_27merge_sort_block_merge_implIS3_PlPS5_mZN2at6native12_GLOBAL__N_124unique_dim_cuda_templateIaEESt5tupleIJNSA_6TensorESF_SF_EERKSF_lbbbEUlllE_EE10hipError_tT0_T1_T2_jT3_P12ihipStream_tbPNSt15iterator_traitsISL_E10value_typeEPNSR_ISM_E10value_typeEPSN_NS1_7vsmem_tEENKUlT_SL_SM_SN_E_clIS8_S8_S9_S9_EESK_S10_SL_SM_SN_EUlS10_E0_NS1_11comp_targetILNS1_3genE2ELNS1_11target_archE906ELNS1_3gpuE6ELNS1_3repE0EEENS1_38merge_mergepath_config_static_selectorELNS0_4arch9wavefront6targetE1EEEvSM_: ; @_ZN7rocprim17ROCPRIM_400000_NS6detail17trampoline_kernelINS0_14default_configENS1_38merge_sort_block_merge_config_selectorIlNS0_10empty_typeEEEZZNS1_27merge_sort_block_merge_implIS3_PlPS5_mZN2at6native12_GLOBAL__N_124unique_dim_cuda_templateIaEESt5tupleIJNSA_6TensorESF_SF_EERKSF_lbbbEUlllE_EE10hipError_tT0_T1_T2_jT3_P12ihipStream_tbPNSt15iterator_traitsISL_E10value_typeEPNSR_ISM_E10value_typeEPSN_NS1_7vsmem_tEENKUlT_SL_SM_SN_E_clIS8_S8_S9_S9_EESK_S10_SL_SM_SN_EUlS10_E0_NS1_11comp_targetILNS1_3genE2ELNS1_11target_archE906ELNS1_3gpuE6ELNS1_3repE0EEENS1_38merge_mergepath_config_static_selectorELNS0_4arch9wavefront6targetE1EEEvSM_
; %bb.0:
	.section	.rodata,"a",@progbits
	.p2align	6, 0x0
	.amdhsa_kernel _ZN7rocprim17ROCPRIM_400000_NS6detail17trampoline_kernelINS0_14default_configENS1_38merge_sort_block_merge_config_selectorIlNS0_10empty_typeEEEZZNS1_27merge_sort_block_merge_implIS3_PlPS5_mZN2at6native12_GLOBAL__N_124unique_dim_cuda_templateIaEESt5tupleIJNSA_6TensorESF_SF_EERKSF_lbbbEUlllE_EE10hipError_tT0_T1_T2_jT3_P12ihipStream_tbPNSt15iterator_traitsISL_E10value_typeEPNSR_ISM_E10value_typeEPSN_NS1_7vsmem_tEENKUlT_SL_SM_SN_E_clIS8_S8_S9_S9_EESK_S10_SL_SM_SN_EUlS10_E0_NS1_11comp_targetILNS1_3genE2ELNS1_11target_archE906ELNS1_3gpuE6ELNS1_3repE0EEENS1_38merge_mergepath_config_static_selectorELNS0_4arch9wavefront6targetE1EEEvSM_
		.amdhsa_group_segment_fixed_size 0
		.amdhsa_private_segment_fixed_size 0
		.amdhsa_kernarg_size 88
		.amdhsa_user_sgpr_count 2
		.amdhsa_user_sgpr_dispatch_ptr 0
		.amdhsa_user_sgpr_queue_ptr 0
		.amdhsa_user_sgpr_kernarg_segment_ptr 1
		.amdhsa_user_sgpr_dispatch_id 0
		.amdhsa_user_sgpr_kernarg_preload_length 0
		.amdhsa_user_sgpr_kernarg_preload_offset 0
		.amdhsa_user_sgpr_private_segment_size 0
		.amdhsa_uses_dynamic_stack 0
		.amdhsa_enable_private_segment 0
		.amdhsa_system_sgpr_workgroup_id_x 1
		.amdhsa_system_sgpr_workgroup_id_y 0
		.amdhsa_system_sgpr_workgroup_id_z 0
		.amdhsa_system_sgpr_workgroup_info 0
		.amdhsa_system_vgpr_workitem_id 0
		.amdhsa_next_free_vgpr 1
		.amdhsa_next_free_sgpr 0
		.amdhsa_accum_offset 4
		.amdhsa_reserve_vcc 0
		.amdhsa_float_round_mode_32 0
		.amdhsa_float_round_mode_16_64 0
		.amdhsa_float_denorm_mode_32 3
		.amdhsa_float_denorm_mode_16_64 3
		.amdhsa_dx10_clamp 1
		.amdhsa_ieee_mode 1
		.amdhsa_fp16_overflow 0
		.amdhsa_tg_split 0
		.amdhsa_exception_fp_ieee_invalid_op 0
		.amdhsa_exception_fp_denorm_src 0
		.amdhsa_exception_fp_ieee_div_zero 0
		.amdhsa_exception_fp_ieee_overflow 0
		.amdhsa_exception_fp_ieee_underflow 0
		.amdhsa_exception_fp_ieee_inexact 0
		.amdhsa_exception_int_div_zero 0
	.end_amdhsa_kernel
	.section	.text._ZN7rocprim17ROCPRIM_400000_NS6detail17trampoline_kernelINS0_14default_configENS1_38merge_sort_block_merge_config_selectorIlNS0_10empty_typeEEEZZNS1_27merge_sort_block_merge_implIS3_PlPS5_mZN2at6native12_GLOBAL__N_124unique_dim_cuda_templateIaEESt5tupleIJNSA_6TensorESF_SF_EERKSF_lbbbEUlllE_EE10hipError_tT0_T1_T2_jT3_P12ihipStream_tbPNSt15iterator_traitsISL_E10value_typeEPNSR_ISM_E10value_typeEPSN_NS1_7vsmem_tEENKUlT_SL_SM_SN_E_clIS8_S8_S9_S9_EESK_S10_SL_SM_SN_EUlS10_E0_NS1_11comp_targetILNS1_3genE2ELNS1_11target_archE906ELNS1_3gpuE6ELNS1_3repE0EEENS1_38merge_mergepath_config_static_selectorELNS0_4arch9wavefront6targetE1EEEvSM_,"axG",@progbits,_ZN7rocprim17ROCPRIM_400000_NS6detail17trampoline_kernelINS0_14default_configENS1_38merge_sort_block_merge_config_selectorIlNS0_10empty_typeEEEZZNS1_27merge_sort_block_merge_implIS3_PlPS5_mZN2at6native12_GLOBAL__N_124unique_dim_cuda_templateIaEESt5tupleIJNSA_6TensorESF_SF_EERKSF_lbbbEUlllE_EE10hipError_tT0_T1_T2_jT3_P12ihipStream_tbPNSt15iterator_traitsISL_E10value_typeEPNSR_ISM_E10value_typeEPSN_NS1_7vsmem_tEENKUlT_SL_SM_SN_E_clIS8_S8_S9_S9_EESK_S10_SL_SM_SN_EUlS10_E0_NS1_11comp_targetILNS1_3genE2ELNS1_11target_archE906ELNS1_3gpuE6ELNS1_3repE0EEENS1_38merge_mergepath_config_static_selectorELNS0_4arch9wavefront6targetE1EEEvSM_,comdat
.Lfunc_end283:
	.size	_ZN7rocprim17ROCPRIM_400000_NS6detail17trampoline_kernelINS0_14default_configENS1_38merge_sort_block_merge_config_selectorIlNS0_10empty_typeEEEZZNS1_27merge_sort_block_merge_implIS3_PlPS5_mZN2at6native12_GLOBAL__N_124unique_dim_cuda_templateIaEESt5tupleIJNSA_6TensorESF_SF_EERKSF_lbbbEUlllE_EE10hipError_tT0_T1_T2_jT3_P12ihipStream_tbPNSt15iterator_traitsISL_E10value_typeEPNSR_ISM_E10value_typeEPSN_NS1_7vsmem_tEENKUlT_SL_SM_SN_E_clIS8_S8_S9_S9_EESK_S10_SL_SM_SN_EUlS10_E0_NS1_11comp_targetILNS1_3genE2ELNS1_11target_archE906ELNS1_3gpuE6ELNS1_3repE0EEENS1_38merge_mergepath_config_static_selectorELNS0_4arch9wavefront6targetE1EEEvSM_, .Lfunc_end283-_ZN7rocprim17ROCPRIM_400000_NS6detail17trampoline_kernelINS0_14default_configENS1_38merge_sort_block_merge_config_selectorIlNS0_10empty_typeEEEZZNS1_27merge_sort_block_merge_implIS3_PlPS5_mZN2at6native12_GLOBAL__N_124unique_dim_cuda_templateIaEESt5tupleIJNSA_6TensorESF_SF_EERKSF_lbbbEUlllE_EE10hipError_tT0_T1_T2_jT3_P12ihipStream_tbPNSt15iterator_traitsISL_E10value_typeEPNSR_ISM_E10value_typeEPSN_NS1_7vsmem_tEENKUlT_SL_SM_SN_E_clIS8_S8_S9_S9_EESK_S10_SL_SM_SN_EUlS10_E0_NS1_11comp_targetILNS1_3genE2ELNS1_11target_archE906ELNS1_3gpuE6ELNS1_3repE0EEENS1_38merge_mergepath_config_static_selectorELNS0_4arch9wavefront6targetE1EEEvSM_
                                        ; -- End function
	.set _ZN7rocprim17ROCPRIM_400000_NS6detail17trampoline_kernelINS0_14default_configENS1_38merge_sort_block_merge_config_selectorIlNS0_10empty_typeEEEZZNS1_27merge_sort_block_merge_implIS3_PlPS5_mZN2at6native12_GLOBAL__N_124unique_dim_cuda_templateIaEESt5tupleIJNSA_6TensorESF_SF_EERKSF_lbbbEUlllE_EE10hipError_tT0_T1_T2_jT3_P12ihipStream_tbPNSt15iterator_traitsISL_E10value_typeEPNSR_ISM_E10value_typeEPSN_NS1_7vsmem_tEENKUlT_SL_SM_SN_E_clIS8_S8_S9_S9_EESK_S10_SL_SM_SN_EUlS10_E0_NS1_11comp_targetILNS1_3genE2ELNS1_11target_archE906ELNS1_3gpuE6ELNS1_3repE0EEENS1_38merge_mergepath_config_static_selectorELNS0_4arch9wavefront6targetE1EEEvSM_.num_vgpr, 0
	.set _ZN7rocprim17ROCPRIM_400000_NS6detail17trampoline_kernelINS0_14default_configENS1_38merge_sort_block_merge_config_selectorIlNS0_10empty_typeEEEZZNS1_27merge_sort_block_merge_implIS3_PlPS5_mZN2at6native12_GLOBAL__N_124unique_dim_cuda_templateIaEESt5tupleIJNSA_6TensorESF_SF_EERKSF_lbbbEUlllE_EE10hipError_tT0_T1_T2_jT3_P12ihipStream_tbPNSt15iterator_traitsISL_E10value_typeEPNSR_ISM_E10value_typeEPSN_NS1_7vsmem_tEENKUlT_SL_SM_SN_E_clIS8_S8_S9_S9_EESK_S10_SL_SM_SN_EUlS10_E0_NS1_11comp_targetILNS1_3genE2ELNS1_11target_archE906ELNS1_3gpuE6ELNS1_3repE0EEENS1_38merge_mergepath_config_static_selectorELNS0_4arch9wavefront6targetE1EEEvSM_.num_agpr, 0
	.set _ZN7rocprim17ROCPRIM_400000_NS6detail17trampoline_kernelINS0_14default_configENS1_38merge_sort_block_merge_config_selectorIlNS0_10empty_typeEEEZZNS1_27merge_sort_block_merge_implIS3_PlPS5_mZN2at6native12_GLOBAL__N_124unique_dim_cuda_templateIaEESt5tupleIJNSA_6TensorESF_SF_EERKSF_lbbbEUlllE_EE10hipError_tT0_T1_T2_jT3_P12ihipStream_tbPNSt15iterator_traitsISL_E10value_typeEPNSR_ISM_E10value_typeEPSN_NS1_7vsmem_tEENKUlT_SL_SM_SN_E_clIS8_S8_S9_S9_EESK_S10_SL_SM_SN_EUlS10_E0_NS1_11comp_targetILNS1_3genE2ELNS1_11target_archE906ELNS1_3gpuE6ELNS1_3repE0EEENS1_38merge_mergepath_config_static_selectorELNS0_4arch9wavefront6targetE1EEEvSM_.numbered_sgpr, 0
	.set _ZN7rocprim17ROCPRIM_400000_NS6detail17trampoline_kernelINS0_14default_configENS1_38merge_sort_block_merge_config_selectorIlNS0_10empty_typeEEEZZNS1_27merge_sort_block_merge_implIS3_PlPS5_mZN2at6native12_GLOBAL__N_124unique_dim_cuda_templateIaEESt5tupleIJNSA_6TensorESF_SF_EERKSF_lbbbEUlllE_EE10hipError_tT0_T1_T2_jT3_P12ihipStream_tbPNSt15iterator_traitsISL_E10value_typeEPNSR_ISM_E10value_typeEPSN_NS1_7vsmem_tEENKUlT_SL_SM_SN_E_clIS8_S8_S9_S9_EESK_S10_SL_SM_SN_EUlS10_E0_NS1_11comp_targetILNS1_3genE2ELNS1_11target_archE906ELNS1_3gpuE6ELNS1_3repE0EEENS1_38merge_mergepath_config_static_selectorELNS0_4arch9wavefront6targetE1EEEvSM_.num_named_barrier, 0
	.set _ZN7rocprim17ROCPRIM_400000_NS6detail17trampoline_kernelINS0_14default_configENS1_38merge_sort_block_merge_config_selectorIlNS0_10empty_typeEEEZZNS1_27merge_sort_block_merge_implIS3_PlPS5_mZN2at6native12_GLOBAL__N_124unique_dim_cuda_templateIaEESt5tupleIJNSA_6TensorESF_SF_EERKSF_lbbbEUlllE_EE10hipError_tT0_T1_T2_jT3_P12ihipStream_tbPNSt15iterator_traitsISL_E10value_typeEPNSR_ISM_E10value_typeEPSN_NS1_7vsmem_tEENKUlT_SL_SM_SN_E_clIS8_S8_S9_S9_EESK_S10_SL_SM_SN_EUlS10_E0_NS1_11comp_targetILNS1_3genE2ELNS1_11target_archE906ELNS1_3gpuE6ELNS1_3repE0EEENS1_38merge_mergepath_config_static_selectorELNS0_4arch9wavefront6targetE1EEEvSM_.private_seg_size, 0
	.set _ZN7rocprim17ROCPRIM_400000_NS6detail17trampoline_kernelINS0_14default_configENS1_38merge_sort_block_merge_config_selectorIlNS0_10empty_typeEEEZZNS1_27merge_sort_block_merge_implIS3_PlPS5_mZN2at6native12_GLOBAL__N_124unique_dim_cuda_templateIaEESt5tupleIJNSA_6TensorESF_SF_EERKSF_lbbbEUlllE_EE10hipError_tT0_T1_T2_jT3_P12ihipStream_tbPNSt15iterator_traitsISL_E10value_typeEPNSR_ISM_E10value_typeEPSN_NS1_7vsmem_tEENKUlT_SL_SM_SN_E_clIS8_S8_S9_S9_EESK_S10_SL_SM_SN_EUlS10_E0_NS1_11comp_targetILNS1_3genE2ELNS1_11target_archE906ELNS1_3gpuE6ELNS1_3repE0EEENS1_38merge_mergepath_config_static_selectorELNS0_4arch9wavefront6targetE1EEEvSM_.uses_vcc, 0
	.set _ZN7rocprim17ROCPRIM_400000_NS6detail17trampoline_kernelINS0_14default_configENS1_38merge_sort_block_merge_config_selectorIlNS0_10empty_typeEEEZZNS1_27merge_sort_block_merge_implIS3_PlPS5_mZN2at6native12_GLOBAL__N_124unique_dim_cuda_templateIaEESt5tupleIJNSA_6TensorESF_SF_EERKSF_lbbbEUlllE_EE10hipError_tT0_T1_T2_jT3_P12ihipStream_tbPNSt15iterator_traitsISL_E10value_typeEPNSR_ISM_E10value_typeEPSN_NS1_7vsmem_tEENKUlT_SL_SM_SN_E_clIS8_S8_S9_S9_EESK_S10_SL_SM_SN_EUlS10_E0_NS1_11comp_targetILNS1_3genE2ELNS1_11target_archE906ELNS1_3gpuE6ELNS1_3repE0EEENS1_38merge_mergepath_config_static_selectorELNS0_4arch9wavefront6targetE1EEEvSM_.uses_flat_scratch, 0
	.set _ZN7rocprim17ROCPRIM_400000_NS6detail17trampoline_kernelINS0_14default_configENS1_38merge_sort_block_merge_config_selectorIlNS0_10empty_typeEEEZZNS1_27merge_sort_block_merge_implIS3_PlPS5_mZN2at6native12_GLOBAL__N_124unique_dim_cuda_templateIaEESt5tupleIJNSA_6TensorESF_SF_EERKSF_lbbbEUlllE_EE10hipError_tT0_T1_T2_jT3_P12ihipStream_tbPNSt15iterator_traitsISL_E10value_typeEPNSR_ISM_E10value_typeEPSN_NS1_7vsmem_tEENKUlT_SL_SM_SN_E_clIS8_S8_S9_S9_EESK_S10_SL_SM_SN_EUlS10_E0_NS1_11comp_targetILNS1_3genE2ELNS1_11target_archE906ELNS1_3gpuE6ELNS1_3repE0EEENS1_38merge_mergepath_config_static_selectorELNS0_4arch9wavefront6targetE1EEEvSM_.has_dyn_sized_stack, 0
	.set _ZN7rocprim17ROCPRIM_400000_NS6detail17trampoline_kernelINS0_14default_configENS1_38merge_sort_block_merge_config_selectorIlNS0_10empty_typeEEEZZNS1_27merge_sort_block_merge_implIS3_PlPS5_mZN2at6native12_GLOBAL__N_124unique_dim_cuda_templateIaEESt5tupleIJNSA_6TensorESF_SF_EERKSF_lbbbEUlllE_EE10hipError_tT0_T1_T2_jT3_P12ihipStream_tbPNSt15iterator_traitsISL_E10value_typeEPNSR_ISM_E10value_typeEPSN_NS1_7vsmem_tEENKUlT_SL_SM_SN_E_clIS8_S8_S9_S9_EESK_S10_SL_SM_SN_EUlS10_E0_NS1_11comp_targetILNS1_3genE2ELNS1_11target_archE906ELNS1_3gpuE6ELNS1_3repE0EEENS1_38merge_mergepath_config_static_selectorELNS0_4arch9wavefront6targetE1EEEvSM_.has_recursion, 0
	.set _ZN7rocprim17ROCPRIM_400000_NS6detail17trampoline_kernelINS0_14default_configENS1_38merge_sort_block_merge_config_selectorIlNS0_10empty_typeEEEZZNS1_27merge_sort_block_merge_implIS3_PlPS5_mZN2at6native12_GLOBAL__N_124unique_dim_cuda_templateIaEESt5tupleIJNSA_6TensorESF_SF_EERKSF_lbbbEUlllE_EE10hipError_tT0_T1_T2_jT3_P12ihipStream_tbPNSt15iterator_traitsISL_E10value_typeEPNSR_ISM_E10value_typeEPSN_NS1_7vsmem_tEENKUlT_SL_SM_SN_E_clIS8_S8_S9_S9_EESK_S10_SL_SM_SN_EUlS10_E0_NS1_11comp_targetILNS1_3genE2ELNS1_11target_archE906ELNS1_3gpuE6ELNS1_3repE0EEENS1_38merge_mergepath_config_static_selectorELNS0_4arch9wavefront6targetE1EEEvSM_.has_indirect_call, 0
	.section	.AMDGPU.csdata,"",@progbits
; Kernel info:
; codeLenInByte = 0
; TotalNumSgprs: 6
; NumVgprs: 0
; NumAgprs: 0
; TotalNumVgprs: 0
; ScratchSize: 0
; MemoryBound: 0
; FloatMode: 240
; IeeeMode: 1
; LDSByteSize: 0 bytes/workgroup (compile time only)
; SGPRBlocks: 0
; VGPRBlocks: 0
; NumSGPRsForWavesPerEU: 6
; NumVGPRsForWavesPerEU: 1
; AccumOffset: 4
; Occupancy: 8
; WaveLimiterHint : 0
; COMPUTE_PGM_RSRC2:SCRATCH_EN: 0
; COMPUTE_PGM_RSRC2:USER_SGPR: 2
; COMPUTE_PGM_RSRC2:TRAP_HANDLER: 0
; COMPUTE_PGM_RSRC2:TGID_X_EN: 1
; COMPUTE_PGM_RSRC2:TGID_Y_EN: 0
; COMPUTE_PGM_RSRC2:TGID_Z_EN: 0
; COMPUTE_PGM_RSRC2:TIDIG_COMP_CNT: 0
; COMPUTE_PGM_RSRC3_GFX90A:ACCUM_OFFSET: 0
; COMPUTE_PGM_RSRC3_GFX90A:TG_SPLIT: 0
	.section	.text._ZN7rocprim17ROCPRIM_400000_NS6detail17trampoline_kernelINS0_14default_configENS1_38merge_sort_block_merge_config_selectorIlNS0_10empty_typeEEEZZNS1_27merge_sort_block_merge_implIS3_PlPS5_mZN2at6native12_GLOBAL__N_124unique_dim_cuda_templateIaEESt5tupleIJNSA_6TensorESF_SF_EERKSF_lbbbEUlllE_EE10hipError_tT0_T1_T2_jT3_P12ihipStream_tbPNSt15iterator_traitsISL_E10value_typeEPNSR_ISM_E10value_typeEPSN_NS1_7vsmem_tEENKUlT_SL_SM_SN_E_clIS8_S8_S9_S9_EESK_S10_SL_SM_SN_EUlS10_E0_NS1_11comp_targetILNS1_3genE9ELNS1_11target_archE1100ELNS1_3gpuE3ELNS1_3repE0EEENS1_38merge_mergepath_config_static_selectorELNS0_4arch9wavefront6targetE1EEEvSM_,"axG",@progbits,_ZN7rocprim17ROCPRIM_400000_NS6detail17trampoline_kernelINS0_14default_configENS1_38merge_sort_block_merge_config_selectorIlNS0_10empty_typeEEEZZNS1_27merge_sort_block_merge_implIS3_PlPS5_mZN2at6native12_GLOBAL__N_124unique_dim_cuda_templateIaEESt5tupleIJNSA_6TensorESF_SF_EERKSF_lbbbEUlllE_EE10hipError_tT0_T1_T2_jT3_P12ihipStream_tbPNSt15iterator_traitsISL_E10value_typeEPNSR_ISM_E10value_typeEPSN_NS1_7vsmem_tEENKUlT_SL_SM_SN_E_clIS8_S8_S9_S9_EESK_S10_SL_SM_SN_EUlS10_E0_NS1_11comp_targetILNS1_3genE9ELNS1_11target_archE1100ELNS1_3gpuE3ELNS1_3repE0EEENS1_38merge_mergepath_config_static_selectorELNS0_4arch9wavefront6targetE1EEEvSM_,comdat
	.globl	_ZN7rocprim17ROCPRIM_400000_NS6detail17trampoline_kernelINS0_14default_configENS1_38merge_sort_block_merge_config_selectorIlNS0_10empty_typeEEEZZNS1_27merge_sort_block_merge_implIS3_PlPS5_mZN2at6native12_GLOBAL__N_124unique_dim_cuda_templateIaEESt5tupleIJNSA_6TensorESF_SF_EERKSF_lbbbEUlllE_EE10hipError_tT0_T1_T2_jT3_P12ihipStream_tbPNSt15iterator_traitsISL_E10value_typeEPNSR_ISM_E10value_typeEPSN_NS1_7vsmem_tEENKUlT_SL_SM_SN_E_clIS8_S8_S9_S9_EESK_S10_SL_SM_SN_EUlS10_E0_NS1_11comp_targetILNS1_3genE9ELNS1_11target_archE1100ELNS1_3gpuE3ELNS1_3repE0EEENS1_38merge_mergepath_config_static_selectorELNS0_4arch9wavefront6targetE1EEEvSM_ ; -- Begin function _ZN7rocprim17ROCPRIM_400000_NS6detail17trampoline_kernelINS0_14default_configENS1_38merge_sort_block_merge_config_selectorIlNS0_10empty_typeEEEZZNS1_27merge_sort_block_merge_implIS3_PlPS5_mZN2at6native12_GLOBAL__N_124unique_dim_cuda_templateIaEESt5tupleIJNSA_6TensorESF_SF_EERKSF_lbbbEUlllE_EE10hipError_tT0_T1_T2_jT3_P12ihipStream_tbPNSt15iterator_traitsISL_E10value_typeEPNSR_ISM_E10value_typeEPSN_NS1_7vsmem_tEENKUlT_SL_SM_SN_E_clIS8_S8_S9_S9_EESK_S10_SL_SM_SN_EUlS10_E0_NS1_11comp_targetILNS1_3genE9ELNS1_11target_archE1100ELNS1_3gpuE3ELNS1_3repE0EEENS1_38merge_mergepath_config_static_selectorELNS0_4arch9wavefront6targetE1EEEvSM_
	.p2align	8
	.type	_ZN7rocprim17ROCPRIM_400000_NS6detail17trampoline_kernelINS0_14default_configENS1_38merge_sort_block_merge_config_selectorIlNS0_10empty_typeEEEZZNS1_27merge_sort_block_merge_implIS3_PlPS5_mZN2at6native12_GLOBAL__N_124unique_dim_cuda_templateIaEESt5tupleIJNSA_6TensorESF_SF_EERKSF_lbbbEUlllE_EE10hipError_tT0_T1_T2_jT3_P12ihipStream_tbPNSt15iterator_traitsISL_E10value_typeEPNSR_ISM_E10value_typeEPSN_NS1_7vsmem_tEENKUlT_SL_SM_SN_E_clIS8_S8_S9_S9_EESK_S10_SL_SM_SN_EUlS10_E0_NS1_11comp_targetILNS1_3genE9ELNS1_11target_archE1100ELNS1_3gpuE3ELNS1_3repE0EEENS1_38merge_mergepath_config_static_selectorELNS0_4arch9wavefront6targetE1EEEvSM_,@function
_ZN7rocprim17ROCPRIM_400000_NS6detail17trampoline_kernelINS0_14default_configENS1_38merge_sort_block_merge_config_selectorIlNS0_10empty_typeEEEZZNS1_27merge_sort_block_merge_implIS3_PlPS5_mZN2at6native12_GLOBAL__N_124unique_dim_cuda_templateIaEESt5tupleIJNSA_6TensorESF_SF_EERKSF_lbbbEUlllE_EE10hipError_tT0_T1_T2_jT3_P12ihipStream_tbPNSt15iterator_traitsISL_E10value_typeEPNSR_ISM_E10value_typeEPSN_NS1_7vsmem_tEENKUlT_SL_SM_SN_E_clIS8_S8_S9_S9_EESK_S10_SL_SM_SN_EUlS10_E0_NS1_11comp_targetILNS1_3genE9ELNS1_11target_archE1100ELNS1_3gpuE3ELNS1_3repE0EEENS1_38merge_mergepath_config_static_selectorELNS0_4arch9wavefront6targetE1EEEvSM_: ; @_ZN7rocprim17ROCPRIM_400000_NS6detail17trampoline_kernelINS0_14default_configENS1_38merge_sort_block_merge_config_selectorIlNS0_10empty_typeEEEZZNS1_27merge_sort_block_merge_implIS3_PlPS5_mZN2at6native12_GLOBAL__N_124unique_dim_cuda_templateIaEESt5tupleIJNSA_6TensorESF_SF_EERKSF_lbbbEUlllE_EE10hipError_tT0_T1_T2_jT3_P12ihipStream_tbPNSt15iterator_traitsISL_E10value_typeEPNSR_ISM_E10value_typeEPSN_NS1_7vsmem_tEENKUlT_SL_SM_SN_E_clIS8_S8_S9_S9_EESK_S10_SL_SM_SN_EUlS10_E0_NS1_11comp_targetILNS1_3genE9ELNS1_11target_archE1100ELNS1_3gpuE3ELNS1_3repE0EEENS1_38merge_mergepath_config_static_selectorELNS0_4arch9wavefront6targetE1EEEvSM_
; %bb.0:
	.section	.rodata,"a",@progbits
	.p2align	6, 0x0
	.amdhsa_kernel _ZN7rocprim17ROCPRIM_400000_NS6detail17trampoline_kernelINS0_14default_configENS1_38merge_sort_block_merge_config_selectorIlNS0_10empty_typeEEEZZNS1_27merge_sort_block_merge_implIS3_PlPS5_mZN2at6native12_GLOBAL__N_124unique_dim_cuda_templateIaEESt5tupleIJNSA_6TensorESF_SF_EERKSF_lbbbEUlllE_EE10hipError_tT0_T1_T2_jT3_P12ihipStream_tbPNSt15iterator_traitsISL_E10value_typeEPNSR_ISM_E10value_typeEPSN_NS1_7vsmem_tEENKUlT_SL_SM_SN_E_clIS8_S8_S9_S9_EESK_S10_SL_SM_SN_EUlS10_E0_NS1_11comp_targetILNS1_3genE9ELNS1_11target_archE1100ELNS1_3gpuE3ELNS1_3repE0EEENS1_38merge_mergepath_config_static_selectorELNS0_4arch9wavefront6targetE1EEEvSM_
		.amdhsa_group_segment_fixed_size 0
		.amdhsa_private_segment_fixed_size 0
		.amdhsa_kernarg_size 88
		.amdhsa_user_sgpr_count 2
		.amdhsa_user_sgpr_dispatch_ptr 0
		.amdhsa_user_sgpr_queue_ptr 0
		.amdhsa_user_sgpr_kernarg_segment_ptr 1
		.amdhsa_user_sgpr_dispatch_id 0
		.amdhsa_user_sgpr_kernarg_preload_length 0
		.amdhsa_user_sgpr_kernarg_preload_offset 0
		.amdhsa_user_sgpr_private_segment_size 0
		.amdhsa_uses_dynamic_stack 0
		.amdhsa_enable_private_segment 0
		.amdhsa_system_sgpr_workgroup_id_x 1
		.amdhsa_system_sgpr_workgroup_id_y 0
		.amdhsa_system_sgpr_workgroup_id_z 0
		.amdhsa_system_sgpr_workgroup_info 0
		.amdhsa_system_vgpr_workitem_id 0
		.amdhsa_next_free_vgpr 1
		.amdhsa_next_free_sgpr 0
		.amdhsa_accum_offset 4
		.amdhsa_reserve_vcc 0
		.amdhsa_float_round_mode_32 0
		.amdhsa_float_round_mode_16_64 0
		.amdhsa_float_denorm_mode_32 3
		.amdhsa_float_denorm_mode_16_64 3
		.amdhsa_dx10_clamp 1
		.amdhsa_ieee_mode 1
		.amdhsa_fp16_overflow 0
		.amdhsa_tg_split 0
		.amdhsa_exception_fp_ieee_invalid_op 0
		.amdhsa_exception_fp_denorm_src 0
		.amdhsa_exception_fp_ieee_div_zero 0
		.amdhsa_exception_fp_ieee_overflow 0
		.amdhsa_exception_fp_ieee_underflow 0
		.amdhsa_exception_fp_ieee_inexact 0
		.amdhsa_exception_int_div_zero 0
	.end_amdhsa_kernel
	.section	.text._ZN7rocprim17ROCPRIM_400000_NS6detail17trampoline_kernelINS0_14default_configENS1_38merge_sort_block_merge_config_selectorIlNS0_10empty_typeEEEZZNS1_27merge_sort_block_merge_implIS3_PlPS5_mZN2at6native12_GLOBAL__N_124unique_dim_cuda_templateIaEESt5tupleIJNSA_6TensorESF_SF_EERKSF_lbbbEUlllE_EE10hipError_tT0_T1_T2_jT3_P12ihipStream_tbPNSt15iterator_traitsISL_E10value_typeEPNSR_ISM_E10value_typeEPSN_NS1_7vsmem_tEENKUlT_SL_SM_SN_E_clIS8_S8_S9_S9_EESK_S10_SL_SM_SN_EUlS10_E0_NS1_11comp_targetILNS1_3genE9ELNS1_11target_archE1100ELNS1_3gpuE3ELNS1_3repE0EEENS1_38merge_mergepath_config_static_selectorELNS0_4arch9wavefront6targetE1EEEvSM_,"axG",@progbits,_ZN7rocprim17ROCPRIM_400000_NS6detail17trampoline_kernelINS0_14default_configENS1_38merge_sort_block_merge_config_selectorIlNS0_10empty_typeEEEZZNS1_27merge_sort_block_merge_implIS3_PlPS5_mZN2at6native12_GLOBAL__N_124unique_dim_cuda_templateIaEESt5tupleIJNSA_6TensorESF_SF_EERKSF_lbbbEUlllE_EE10hipError_tT0_T1_T2_jT3_P12ihipStream_tbPNSt15iterator_traitsISL_E10value_typeEPNSR_ISM_E10value_typeEPSN_NS1_7vsmem_tEENKUlT_SL_SM_SN_E_clIS8_S8_S9_S9_EESK_S10_SL_SM_SN_EUlS10_E0_NS1_11comp_targetILNS1_3genE9ELNS1_11target_archE1100ELNS1_3gpuE3ELNS1_3repE0EEENS1_38merge_mergepath_config_static_selectorELNS0_4arch9wavefront6targetE1EEEvSM_,comdat
.Lfunc_end284:
	.size	_ZN7rocprim17ROCPRIM_400000_NS6detail17trampoline_kernelINS0_14default_configENS1_38merge_sort_block_merge_config_selectorIlNS0_10empty_typeEEEZZNS1_27merge_sort_block_merge_implIS3_PlPS5_mZN2at6native12_GLOBAL__N_124unique_dim_cuda_templateIaEESt5tupleIJNSA_6TensorESF_SF_EERKSF_lbbbEUlllE_EE10hipError_tT0_T1_T2_jT3_P12ihipStream_tbPNSt15iterator_traitsISL_E10value_typeEPNSR_ISM_E10value_typeEPSN_NS1_7vsmem_tEENKUlT_SL_SM_SN_E_clIS8_S8_S9_S9_EESK_S10_SL_SM_SN_EUlS10_E0_NS1_11comp_targetILNS1_3genE9ELNS1_11target_archE1100ELNS1_3gpuE3ELNS1_3repE0EEENS1_38merge_mergepath_config_static_selectorELNS0_4arch9wavefront6targetE1EEEvSM_, .Lfunc_end284-_ZN7rocprim17ROCPRIM_400000_NS6detail17trampoline_kernelINS0_14default_configENS1_38merge_sort_block_merge_config_selectorIlNS0_10empty_typeEEEZZNS1_27merge_sort_block_merge_implIS3_PlPS5_mZN2at6native12_GLOBAL__N_124unique_dim_cuda_templateIaEESt5tupleIJNSA_6TensorESF_SF_EERKSF_lbbbEUlllE_EE10hipError_tT0_T1_T2_jT3_P12ihipStream_tbPNSt15iterator_traitsISL_E10value_typeEPNSR_ISM_E10value_typeEPSN_NS1_7vsmem_tEENKUlT_SL_SM_SN_E_clIS8_S8_S9_S9_EESK_S10_SL_SM_SN_EUlS10_E0_NS1_11comp_targetILNS1_3genE9ELNS1_11target_archE1100ELNS1_3gpuE3ELNS1_3repE0EEENS1_38merge_mergepath_config_static_selectorELNS0_4arch9wavefront6targetE1EEEvSM_
                                        ; -- End function
	.set _ZN7rocprim17ROCPRIM_400000_NS6detail17trampoline_kernelINS0_14default_configENS1_38merge_sort_block_merge_config_selectorIlNS0_10empty_typeEEEZZNS1_27merge_sort_block_merge_implIS3_PlPS5_mZN2at6native12_GLOBAL__N_124unique_dim_cuda_templateIaEESt5tupleIJNSA_6TensorESF_SF_EERKSF_lbbbEUlllE_EE10hipError_tT0_T1_T2_jT3_P12ihipStream_tbPNSt15iterator_traitsISL_E10value_typeEPNSR_ISM_E10value_typeEPSN_NS1_7vsmem_tEENKUlT_SL_SM_SN_E_clIS8_S8_S9_S9_EESK_S10_SL_SM_SN_EUlS10_E0_NS1_11comp_targetILNS1_3genE9ELNS1_11target_archE1100ELNS1_3gpuE3ELNS1_3repE0EEENS1_38merge_mergepath_config_static_selectorELNS0_4arch9wavefront6targetE1EEEvSM_.num_vgpr, 0
	.set _ZN7rocprim17ROCPRIM_400000_NS6detail17trampoline_kernelINS0_14default_configENS1_38merge_sort_block_merge_config_selectorIlNS0_10empty_typeEEEZZNS1_27merge_sort_block_merge_implIS3_PlPS5_mZN2at6native12_GLOBAL__N_124unique_dim_cuda_templateIaEESt5tupleIJNSA_6TensorESF_SF_EERKSF_lbbbEUlllE_EE10hipError_tT0_T1_T2_jT3_P12ihipStream_tbPNSt15iterator_traitsISL_E10value_typeEPNSR_ISM_E10value_typeEPSN_NS1_7vsmem_tEENKUlT_SL_SM_SN_E_clIS8_S8_S9_S9_EESK_S10_SL_SM_SN_EUlS10_E0_NS1_11comp_targetILNS1_3genE9ELNS1_11target_archE1100ELNS1_3gpuE3ELNS1_3repE0EEENS1_38merge_mergepath_config_static_selectorELNS0_4arch9wavefront6targetE1EEEvSM_.num_agpr, 0
	.set _ZN7rocprim17ROCPRIM_400000_NS6detail17trampoline_kernelINS0_14default_configENS1_38merge_sort_block_merge_config_selectorIlNS0_10empty_typeEEEZZNS1_27merge_sort_block_merge_implIS3_PlPS5_mZN2at6native12_GLOBAL__N_124unique_dim_cuda_templateIaEESt5tupleIJNSA_6TensorESF_SF_EERKSF_lbbbEUlllE_EE10hipError_tT0_T1_T2_jT3_P12ihipStream_tbPNSt15iterator_traitsISL_E10value_typeEPNSR_ISM_E10value_typeEPSN_NS1_7vsmem_tEENKUlT_SL_SM_SN_E_clIS8_S8_S9_S9_EESK_S10_SL_SM_SN_EUlS10_E0_NS1_11comp_targetILNS1_3genE9ELNS1_11target_archE1100ELNS1_3gpuE3ELNS1_3repE0EEENS1_38merge_mergepath_config_static_selectorELNS0_4arch9wavefront6targetE1EEEvSM_.numbered_sgpr, 0
	.set _ZN7rocprim17ROCPRIM_400000_NS6detail17trampoline_kernelINS0_14default_configENS1_38merge_sort_block_merge_config_selectorIlNS0_10empty_typeEEEZZNS1_27merge_sort_block_merge_implIS3_PlPS5_mZN2at6native12_GLOBAL__N_124unique_dim_cuda_templateIaEESt5tupleIJNSA_6TensorESF_SF_EERKSF_lbbbEUlllE_EE10hipError_tT0_T1_T2_jT3_P12ihipStream_tbPNSt15iterator_traitsISL_E10value_typeEPNSR_ISM_E10value_typeEPSN_NS1_7vsmem_tEENKUlT_SL_SM_SN_E_clIS8_S8_S9_S9_EESK_S10_SL_SM_SN_EUlS10_E0_NS1_11comp_targetILNS1_3genE9ELNS1_11target_archE1100ELNS1_3gpuE3ELNS1_3repE0EEENS1_38merge_mergepath_config_static_selectorELNS0_4arch9wavefront6targetE1EEEvSM_.num_named_barrier, 0
	.set _ZN7rocprim17ROCPRIM_400000_NS6detail17trampoline_kernelINS0_14default_configENS1_38merge_sort_block_merge_config_selectorIlNS0_10empty_typeEEEZZNS1_27merge_sort_block_merge_implIS3_PlPS5_mZN2at6native12_GLOBAL__N_124unique_dim_cuda_templateIaEESt5tupleIJNSA_6TensorESF_SF_EERKSF_lbbbEUlllE_EE10hipError_tT0_T1_T2_jT3_P12ihipStream_tbPNSt15iterator_traitsISL_E10value_typeEPNSR_ISM_E10value_typeEPSN_NS1_7vsmem_tEENKUlT_SL_SM_SN_E_clIS8_S8_S9_S9_EESK_S10_SL_SM_SN_EUlS10_E0_NS1_11comp_targetILNS1_3genE9ELNS1_11target_archE1100ELNS1_3gpuE3ELNS1_3repE0EEENS1_38merge_mergepath_config_static_selectorELNS0_4arch9wavefront6targetE1EEEvSM_.private_seg_size, 0
	.set _ZN7rocprim17ROCPRIM_400000_NS6detail17trampoline_kernelINS0_14default_configENS1_38merge_sort_block_merge_config_selectorIlNS0_10empty_typeEEEZZNS1_27merge_sort_block_merge_implIS3_PlPS5_mZN2at6native12_GLOBAL__N_124unique_dim_cuda_templateIaEESt5tupleIJNSA_6TensorESF_SF_EERKSF_lbbbEUlllE_EE10hipError_tT0_T1_T2_jT3_P12ihipStream_tbPNSt15iterator_traitsISL_E10value_typeEPNSR_ISM_E10value_typeEPSN_NS1_7vsmem_tEENKUlT_SL_SM_SN_E_clIS8_S8_S9_S9_EESK_S10_SL_SM_SN_EUlS10_E0_NS1_11comp_targetILNS1_3genE9ELNS1_11target_archE1100ELNS1_3gpuE3ELNS1_3repE0EEENS1_38merge_mergepath_config_static_selectorELNS0_4arch9wavefront6targetE1EEEvSM_.uses_vcc, 0
	.set _ZN7rocprim17ROCPRIM_400000_NS6detail17trampoline_kernelINS0_14default_configENS1_38merge_sort_block_merge_config_selectorIlNS0_10empty_typeEEEZZNS1_27merge_sort_block_merge_implIS3_PlPS5_mZN2at6native12_GLOBAL__N_124unique_dim_cuda_templateIaEESt5tupleIJNSA_6TensorESF_SF_EERKSF_lbbbEUlllE_EE10hipError_tT0_T1_T2_jT3_P12ihipStream_tbPNSt15iterator_traitsISL_E10value_typeEPNSR_ISM_E10value_typeEPSN_NS1_7vsmem_tEENKUlT_SL_SM_SN_E_clIS8_S8_S9_S9_EESK_S10_SL_SM_SN_EUlS10_E0_NS1_11comp_targetILNS1_3genE9ELNS1_11target_archE1100ELNS1_3gpuE3ELNS1_3repE0EEENS1_38merge_mergepath_config_static_selectorELNS0_4arch9wavefront6targetE1EEEvSM_.uses_flat_scratch, 0
	.set _ZN7rocprim17ROCPRIM_400000_NS6detail17trampoline_kernelINS0_14default_configENS1_38merge_sort_block_merge_config_selectorIlNS0_10empty_typeEEEZZNS1_27merge_sort_block_merge_implIS3_PlPS5_mZN2at6native12_GLOBAL__N_124unique_dim_cuda_templateIaEESt5tupleIJNSA_6TensorESF_SF_EERKSF_lbbbEUlllE_EE10hipError_tT0_T1_T2_jT3_P12ihipStream_tbPNSt15iterator_traitsISL_E10value_typeEPNSR_ISM_E10value_typeEPSN_NS1_7vsmem_tEENKUlT_SL_SM_SN_E_clIS8_S8_S9_S9_EESK_S10_SL_SM_SN_EUlS10_E0_NS1_11comp_targetILNS1_3genE9ELNS1_11target_archE1100ELNS1_3gpuE3ELNS1_3repE0EEENS1_38merge_mergepath_config_static_selectorELNS0_4arch9wavefront6targetE1EEEvSM_.has_dyn_sized_stack, 0
	.set _ZN7rocprim17ROCPRIM_400000_NS6detail17trampoline_kernelINS0_14default_configENS1_38merge_sort_block_merge_config_selectorIlNS0_10empty_typeEEEZZNS1_27merge_sort_block_merge_implIS3_PlPS5_mZN2at6native12_GLOBAL__N_124unique_dim_cuda_templateIaEESt5tupleIJNSA_6TensorESF_SF_EERKSF_lbbbEUlllE_EE10hipError_tT0_T1_T2_jT3_P12ihipStream_tbPNSt15iterator_traitsISL_E10value_typeEPNSR_ISM_E10value_typeEPSN_NS1_7vsmem_tEENKUlT_SL_SM_SN_E_clIS8_S8_S9_S9_EESK_S10_SL_SM_SN_EUlS10_E0_NS1_11comp_targetILNS1_3genE9ELNS1_11target_archE1100ELNS1_3gpuE3ELNS1_3repE0EEENS1_38merge_mergepath_config_static_selectorELNS0_4arch9wavefront6targetE1EEEvSM_.has_recursion, 0
	.set _ZN7rocprim17ROCPRIM_400000_NS6detail17trampoline_kernelINS0_14default_configENS1_38merge_sort_block_merge_config_selectorIlNS0_10empty_typeEEEZZNS1_27merge_sort_block_merge_implIS3_PlPS5_mZN2at6native12_GLOBAL__N_124unique_dim_cuda_templateIaEESt5tupleIJNSA_6TensorESF_SF_EERKSF_lbbbEUlllE_EE10hipError_tT0_T1_T2_jT3_P12ihipStream_tbPNSt15iterator_traitsISL_E10value_typeEPNSR_ISM_E10value_typeEPSN_NS1_7vsmem_tEENKUlT_SL_SM_SN_E_clIS8_S8_S9_S9_EESK_S10_SL_SM_SN_EUlS10_E0_NS1_11comp_targetILNS1_3genE9ELNS1_11target_archE1100ELNS1_3gpuE3ELNS1_3repE0EEENS1_38merge_mergepath_config_static_selectorELNS0_4arch9wavefront6targetE1EEEvSM_.has_indirect_call, 0
	.section	.AMDGPU.csdata,"",@progbits
; Kernel info:
; codeLenInByte = 0
; TotalNumSgprs: 6
; NumVgprs: 0
; NumAgprs: 0
; TotalNumVgprs: 0
; ScratchSize: 0
; MemoryBound: 0
; FloatMode: 240
; IeeeMode: 1
; LDSByteSize: 0 bytes/workgroup (compile time only)
; SGPRBlocks: 0
; VGPRBlocks: 0
; NumSGPRsForWavesPerEU: 6
; NumVGPRsForWavesPerEU: 1
; AccumOffset: 4
; Occupancy: 8
; WaveLimiterHint : 0
; COMPUTE_PGM_RSRC2:SCRATCH_EN: 0
; COMPUTE_PGM_RSRC2:USER_SGPR: 2
; COMPUTE_PGM_RSRC2:TRAP_HANDLER: 0
; COMPUTE_PGM_RSRC2:TGID_X_EN: 1
; COMPUTE_PGM_RSRC2:TGID_Y_EN: 0
; COMPUTE_PGM_RSRC2:TGID_Z_EN: 0
; COMPUTE_PGM_RSRC2:TIDIG_COMP_CNT: 0
; COMPUTE_PGM_RSRC3_GFX90A:ACCUM_OFFSET: 0
; COMPUTE_PGM_RSRC3_GFX90A:TG_SPLIT: 0
	.section	.text._ZN7rocprim17ROCPRIM_400000_NS6detail17trampoline_kernelINS0_14default_configENS1_38merge_sort_block_merge_config_selectorIlNS0_10empty_typeEEEZZNS1_27merge_sort_block_merge_implIS3_PlPS5_mZN2at6native12_GLOBAL__N_124unique_dim_cuda_templateIaEESt5tupleIJNSA_6TensorESF_SF_EERKSF_lbbbEUlllE_EE10hipError_tT0_T1_T2_jT3_P12ihipStream_tbPNSt15iterator_traitsISL_E10value_typeEPNSR_ISM_E10value_typeEPSN_NS1_7vsmem_tEENKUlT_SL_SM_SN_E_clIS8_S8_S9_S9_EESK_S10_SL_SM_SN_EUlS10_E0_NS1_11comp_targetILNS1_3genE8ELNS1_11target_archE1030ELNS1_3gpuE2ELNS1_3repE0EEENS1_38merge_mergepath_config_static_selectorELNS0_4arch9wavefront6targetE1EEEvSM_,"axG",@progbits,_ZN7rocprim17ROCPRIM_400000_NS6detail17trampoline_kernelINS0_14default_configENS1_38merge_sort_block_merge_config_selectorIlNS0_10empty_typeEEEZZNS1_27merge_sort_block_merge_implIS3_PlPS5_mZN2at6native12_GLOBAL__N_124unique_dim_cuda_templateIaEESt5tupleIJNSA_6TensorESF_SF_EERKSF_lbbbEUlllE_EE10hipError_tT0_T1_T2_jT3_P12ihipStream_tbPNSt15iterator_traitsISL_E10value_typeEPNSR_ISM_E10value_typeEPSN_NS1_7vsmem_tEENKUlT_SL_SM_SN_E_clIS8_S8_S9_S9_EESK_S10_SL_SM_SN_EUlS10_E0_NS1_11comp_targetILNS1_3genE8ELNS1_11target_archE1030ELNS1_3gpuE2ELNS1_3repE0EEENS1_38merge_mergepath_config_static_selectorELNS0_4arch9wavefront6targetE1EEEvSM_,comdat
	.globl	_ZN7rocprim17ROCPRIM_400000_NS6detail17trampoline_kernelINS0_14default_configENS1_38merge_sort_block_merge_config_selectorIlNS0_10empty_typeEEEZZNS1_27merge_sort_block_merge_implIS3_PlPS5_mZN2at6native12_GLOBAL__N_124unique_dim_cuda_templateIaEESt5tupleIJNSA_6TensorESF_SF_EERKSF_lbbbEUlllE_EE10hipError_tT0_T1_T2_jT3_P12ihipStream_tbPNSt15iterator_traitsISL_E10value_typeEPNSR_ISM_E10value_typeEPSN_NS1_7vsmem_tEENKUlT_SL_SM_SN_E_clIS8_S8_S9_S9_EESK_S10_SL_SM_SN_EUlS10_E0_NS1_11comp_targetILNS1_3genE8ELNS1_11target_archE1030ELNS1_3gpuE2ELNS1_3repE0EEENS1_38merge_mergepath_config_static_selectorELNS0_4arch9wavefront6targetE1EEEvSM_ ; -- Begin function _ZN7rocprim17ROCPRIM_400000_NS6detail17trampoline_kernelINS0_14default_configENS1_38merge_sort_block_merge_config_selectorIlNS0_10empty_typeEEEZZNS1_27merge_sort_block_merge_implIS3_PlPS5_mZN2at6native12_GLOBAL__N_124unique_dim_cuda_templateIaEESt5tupleIJNSA_6TensorESF_SF_EERKSF_lbbbEUlllE_EE10hipError_tT0_T1_T2_jT3_P12ihipStream_tbPNSt15iterator_traitsISL_E10value_typeEPNSR_ISM_E10value_typeEPSN_NS1_7vsmem_tEENKUlT_SL_SM_SN_E_clIS8_S8_S9_S9_EESK_S10_SL_SM_SN_EUlS10_E0_NS1_11comp_targetILNS1_3genE8ELNS1_11target_archE1030ELNS1_3gpuE2ELNS1_3repE0EEENS1_38merge_mergepath_config_static_selectorELNS0_4arch9wavefront6targetE1EEEvSM_
	.p2align	8
	.type	_ZN7rocprim17ROCPRIM_400000_NS6detail17trampoline_kernelINS0_14default_configENS1_38merge_sort_block_merge_config_selectorIlNS0_10empty_typeEEEZZNS1_27merge_sort_block_merge_implIS3_PlPS5_mZN2at6native12_GLOBAL__N_124unique_dim_cuda_templateIaEESt5tupleIJNSA_6TensorESF_SF_EERKSF_lbbbEUlllE_EE10hipError_tT0_T1_T2_jT3_P12ihipStream_tbPNSt15iterator_traitsISL_E10value_typeEPNSR_ISM_E10value_typeEPSN_NS1_7vsmem_tEENKUlT_SL_SM_SN_E_clIS8_S8_S9_S9_EESK_S10_SL_SM_SN_EUlS10_E0_NS1_11comp_targetILNS1_3genE8ELNS1_11target_archE1030ELNS1_3gpuE2ELNS1_3repE0EEENS1_38merge_mergepath_config_static_selectorELNS0_4arch9wavefront6targetE1EEEvSM_,@function
_ZN7rocprim17ROCPRIM_400000_NS6detail17trampoline_kernelINS0_14default_configENS1_38merge_sort_block_merge_config_selectorIlNS0_10empty_typeEEEZZNS1_27merge_sort_block_merge_implIS3_PlPS5_mZN2at6native12_GLOBAL__N_124unique_dim_cuda_templateIaEESt5tupleIJNSA_6TensorESF_SF_EERKSF_lbbbEUlllE_EE10hipError_tT0_T1_T2_jT3_P12ihipStream_tbPNSt15iterator_traitsISL_E10value_typeEPNSR_ISM_E10value_typeEPSN_NS1_7vsmem_tEENKUlT_SL_SM_SN_E_clIS8_S8_S9_S9_EESK_S10_SL_SM_SN_EUlS10_E0_NS1_11comp_targetILNS1_3genE8ELNS1_11target_archE1030ELNS1_3gpuE2ELNS1_3repE0EEENS1_38merge_mergepath_config_static_selectorELNS0_4arch9wavefront6targetE1EEEvSM_: ; @_ZN7rocprim17ROCPRIM_400000_NS6detail17trampoline_kernelINS0_14default_configENS1_38merge_sort_block_merge_config_selectorIlNS0_10empty_typeEEEZZNS1_27merge_sort_block_merge_implIS3_PlPS5_mZN2at6native12_GLOBAL__N_124unique_dim_cuda_templateIaEESt5tupleIJNSA_6TensorESF_SF_EERKSF_lbbbEUlllE_EE10hipError_tT0_T1_T2_jT3_P12ihipStream_tbPNSt15iterator_traitsISL_E10value_typeEPNSR_ISM_E10value_typeEPSN_NS1_7vsmem_tEENKUlT_SL_SM_SN_E_clIS8_S8_S9_S9_EESK_S10_SL_SM_SN_EUlS10_E0_NS1_11comp_targetILNS1_3genE8ELNS1_11target_archE1030ELNS1_3gpuE2ELNS1_3repE0EEENS1_38merge_mergepath_config_static_selectorELNS0_4arch9wavefront6targetE1EEEvSM_
; %bb.0:
	.section	.rodata,"a",@progbits
	.p2align	6, 0x0
	.amdhsa_kernel _ZN7rocprim17ROCPRIM_400000_NS6detail17trampoline_kernelINS0_14default_configENS1_38merge_sort_block_merge_config_selectorIlNS0_10empty_typeEEEZZNS1_27merge_sort_block_merge_implIS3_PlPS5_mZN2at6native12_GLOBAL__N_124unique_dim_cuda_templateIaEESt5tupleIJNSA_6TensorESF_SF_EERKSF_lbbbEUlllE_EE10hipError_tT0_T1_T2_jT3_P12ihipStream_tbPNSt15iterator_traitsISL_E10value_typeEPNSR_ISM_E10value_typeEPSN_NS1_7vsmem_tEENKUlT_SL_SM_SN_E_clIS8_S8_S9_S9_EESK_S10_SL_SM_SN_EUlS10_E0_NS1_11comp_targetILNS1_3genE8ELNS1_11target_archE1030ELNS1_3gpuE2ELNS1_3repE0EEENS1_38merge_mergepath_config_static_selectorELNS0_4arch9wavefront6targetE1EEEvSM_
		.amdhsa_group_segment_fixed_size 0
		.amdhsa_private_segment_fixed_size 0
		.amdhsa_kernarg_size 88
		.amdhsa_user_sgpr_count 2
		.amdhsa_user_sgpr_dispatch_ptr 0
		.amdhsa_user_sgpr_queue_ptr 0
		.amdhsa_user_sgpr_kernarg_segment_ptr 1
		.amdhsa_user_sgpr_dispatch_id 0
		.amdhsa_user_sgpr_kernarg_preload_length 0
		.amdhsa_user_sgpr_kernarg_preload_offset 0
		.amdhsa_user_sgpr_private_segment_size 0
		.amdhsa_uses_dynamic_stack 0
		.amdhsa_enable_private_segment 0
		.amdhsa_system_sgpr_workgroup_id_x 1
		.amdhsa_system_sgpr_workgroup_id_y 0
		.amdhsa_system_sgpr_workgroup_id_z 0
		.amdhsa_system_sgpr_workgroup_info 0
		.amdhsa_system_vgpr_workitem_id 0
		.amdhsa_next_free_vgpr 1
		.amdhsa_next_free_sgpr 0
		.amdhsa_accum_offset 4
		.amdhsa_reserve_vcc 0
		.amdhsa_float_round_mode_32 0
		.amdhsa_float_round_mode_16_64 0
		.amdhsa_float_denorm_mode_32 3
		.amdhsa_float_denorm_mode_16_64 3
		.amdhsa_dx10_clamp 1
		.amdhsa_ieee_mode 1
		.amdhsa_fp16_overflow 0
		.amdhsa_tg_split 0
		.amdhsa_exception_fp_ieee_invalid_op 0
		.amdhsa_exception_fp_denorm_src 0
		.amdhsa_exception_fp_ieee_div_zero 0
		.amdhsa_exception_fp_ieee_overflow 0
		.amdhsa_exception_fp_ieee_underflow 0
		.amdhsa_exception_fp_ieee_inexact 0
		.amdhsa_exception_int_div_zero 0
	.end_amdhsa_kernel
	.section	.text._ZN7rocprim17ROCPRIM_400000_NS6detail17trampoline_kernelINS0_14default_configENS1_38merge_sort_block_merge_config_selectorIlNS0_10empty_typeEEEZZNS1_27merge_sort_block_merge_implIS3_PlPS5_mZN2at6native12_GLOBAL__N_124unique_dim_cuda_templateIaEESt5tupleIJNSA_6TensorESF_SF_EERKSF_lbbbEUlllE_EE10hipError_tT0_T1_T2_jT3_P12ihipStream_tbPNSt15iterator_traitsISL_E10value_typeEPNSR_ISM_E10value_typeEPSN_NS1_7vsmem_tEENKUlT_SL_SM_SN_E_clIS8_S8_S9_S9_EESK_S10_SL_SM_SN_EUlS10_E0_NS1_11comp_targetILNS1_3genE8ELNS1_11target_archE1030ELNS1_3gpuE2ELNS1_3repE0EEENS1_38merge_mergepath_config_static_selectorELNS0_4arch9wavefront6targetE1EEEvSM_,"axG",@progbits,_ZN7rocprim17ROCPRIM_400000_NS6detail17trampoline_kernelINS0_14default_configENS1_38merge_sort_block_merge_config_selectorIlNS0_10empty_typeEEEZZNS1_27merge_sort_block_merge_implIS3_PlPS5_mZN2at6native12_GLOBAL__N_124unique_dim_cuda_templateIaEESt5tupleIJNSA_6TensorESF_SF_EERKSF_lbbbEUlllE_EE10hipError_tT0_T1_T2_jT3_P12ihipStream_tbPNSt15iterator_traitsISL_E10value_typeEPNSR_ISM_E10value_typeEPSN_NS1_7vsmem_tEENKUlT_SL_SM_SN_E_clIS8_S8_S9_S9_EESK_S10_SL_SM_SN_EUlS10_E0_NS1_11comp_targetILNS1_3genE8ELNS1_11target_archE1030ELNS1_3gpuE2ELNS1_3repE0EEENS1_38merge_mergepath_config_static_selectorELNS0_4arch9wavefront6targetE1EEEvSM_,comdat
.Lfunc_end285:
	.size	_ZN7rocprim17ROCPRIM_400000_NS6detail17trampoline_kernelINS0_14default_configENS1_38merge_sort_block_merge_config_selectorIlNS0_10empty_typeEEEZZNS1_27merge_sort_block_merge_implIS3_PlPS5_mZN2at6native12_GLOBAL__N_124unique_dim_cuda_templateIaEESt5tupleIJNSA_6TensorESF_SF_EERKSF_lbbbEUlllE_EE10hipError_tT0_T1_T2_jT3_P12ihipStream_tbPNSt15iterator_traitsISL_E10value_typeEPNSR_ISM_E10value_typeEPSN_NS1_7vsmem_tEENKUlT_SL_SM_SN_E_clIS8_S8_S9_S9_EESK_S10_SL_SM_SN_EUlS10_E0_NS1_11comp_targetILNS1_3genE8ELNS1_11target_archE1030ELNS1_3gpuE2ELNS1_3repE0EEENS1_38merge_mergepath_config_static_selectorELNS0_4arch9wavefront6targetE1EEEvSM_, .Lfunc_end285-_ZN7rocprim17ROCPRIM_400000_NS6detail17trampoline_kernelINS0_14default_configENS1_38merge_sort_block_merge_config_selectorIlNS0_10empty_typeEEEZZNS1_27merge_sort_block_merge_implIS3_PlPS5_mZN2at6native12_GLOBAL__N_124unique_dim_cuda_templateIaEESt5tupleIJNSA_6TensorESF_SF_EERKSF_lbbbEUlllE_EE10hipError_tT0_T1_T2_jT3_P12ihipStream_tbPNSt15iterator_traitsISL_E10value_typeEPNSR_ISM_E10value_typeEPSN_NS1_7vsmem_tEENKUlT_SL_SM_SN_E_clIS8_S8_S9_S9_EESK_S10_SL_SM_SN_EUlS10_E0_NS1_11comp_targetILNS1_3genE8ELNS1_11target_archE1030ELNS1_3gpuE2ELNS1_3repE0EEENS1_38merge_mergepath_config_static_selectorELNS0_4arch9wavefront6targetE1EEEvSM_
                                        ; -- End function
	.set _ZN7rocprim17ROCPRIM_400000_NS6detail17trampoline_kernelINS0_14default_configENS1_38merge_sort_block_merge_config_selectorIlNS0_10empty_typeEEEZZNS1_27merge_sort_block_merge_implIS3_PlPS5_mZN2at6native12_GLOBAL__N_124unique_dim_cuda_templateIaEESt5tupleIJNSA_6TensorESF_SF_EERKSF_lbbbEUlllE_EE10hipError_tT0_T1_T2_jT3_P12ihipStream_tbPNSt15iterator_traitsISL_E10value_typeEPNSR_ISM_E10value_typeEPSN_NS1_7vsmem_tEENKUlT_SL_SM_SN_E_clIS8_S8_S9_S9_EESK_S10_SL_SM_SN_EUlS10_E0_NS1_11comp_targetILNS1_3genE8ELNS1_11target_archE1030ELNS1_3gpuE2ELNS1_3repE0EEENS1_38merge_mergepath_config_static_selectorELNS0_4arch9wavefront6targetE1EEEvSM_.num_vgpr, 0
	.set _ZN7rocprim17ROCPRIM_400000_NS6detail17trampoline_kernelINS0_14default_configENS1_38merge_sort_block_merge_config_selectorIlNS0_10empty_typeEEEZZNS1_27merge_sort_block_merge_implIS3_PlPS5_mZN2at6native12_GLOBAL__N_124unique_dim_cuda_templateIaEESt5tupleIJNSA_6TensorESF_SF_EERKSF_lbbbEUlllE_EE10hipError_tT0_T1_T2_jT3_P12ihipStream_tbPNSt15iterator_traitsISL_E10value_typeEPNSR_ISM_E10value_typeEPSN_NS1_7vsmem_tEENKUlT_SL_SM_SN_E_clIS8_S8_S9_S9_EESK_S10_SL_SM_SN_EUlS10_E0_NS1_11comp_targetILNS1_3genE8ELNS1_11target_archE1030ELNS1_3gpuE2ELNS1_3repE0EEENS1_38merge_mergepath_config_static_selectorELNS0_4arch9wavefront6targetE1EEEvSM_.num_agpr, 0
	.set _ZN7rocprim17ROCPRIM_400000_NS6detail17trampoline_kernelINS0_14default_configENS1_38merge_sort_block_merge_config_selectorIlNS0_10empty_typeEEEZZNS1_27merge_sort_block_merge_implIS3_PlPS5_mZN2at6native12_GLOBAL__N_124unique_dim_cuda_templateIaEESt5tupleIJNSA_6TensorESF_SF_EERKSF_lbbbEUlllE_EE10hipError_tT0_T1_T2_jT3_P12ihipStream_tbPNSt15iterator_traitsISL_E10value_typeEPNSR_ISM_E10value_typeEPSN_NS1_7vsmem_tEENKUlT_SL_SM_SN_E_clIS8_S8_S9_S9_EESK_S10_SL_SM_SN_EUlS10_E0_NS1_11comp_targetILNS1_3genE8ELNS1_11target_archE1030ELNS1_3gpuE2ELNS1_3repE0EEENS1_38merge_mergepath_config_static_selectorELNS0_4arch9wavefront6targetE1EEEvSM_.numbered_sgpr, 0
	.set _ZN7rocprim17ROCPRIM_400000_NS6detail17trampoline_kernelINS0_14default_configENS1_38merge_sort_block_merge_config_selectorIlNS0_10empty_typeEEEZZNS1_27merge_sort_block_merge_implIS3_PlPS5_mZN2at6native12_GLOBAL__N_124unique_dim_cuda_templateIaEESt5tupleIJNSA_6TensorESF_SF_EERKSF_lbbbEUlllE_EE10hipError_tT0_T1_T2_jT3_P12ihipStream_tbPNSt15iterator_traitsISL_E10value_typeEPNSR_ISM_E10value_typeEPSN_NS1_7vsmem_tEENKUlT_SL_SM_SN_E_clIS8_S8_S9_S9_EESK_S10_SL_SM_SN_EUlS10_E0_NS1_11comp_targetILNS1_3genE8ELNS1_11target_archE1030ELNS1_3gpuE2ELNS1_3repE0EEENS1_38merge_mergepath_config_static_selectorELNS0_4arch9wavefront6targetE1EEEvSM_.num_named_barrier, 0
	.set _ZN7rocprim17ROCPRIM_400000_NS6detail17trampoline_kernelINS0_14default_configENS1_38merge_sort_block_merge_config_selectorIlNS0_10empty_typeEEEZZNS1_27merge_sort_block_merge_implIS3_PlPS5_mZN2at6native12_GLOBAL__N_124unique_dim_cuda_templateIaEESt5tupleIJNSA_6TensorESF_SF_EERKSF_lbbbEUlllE_EE10hipError_tT0_T1_T2_jT3_P12ihipStream_tbPNSt15iterator_traitsISL_E10value_typeEPNSR_ISM_E10value_typeEPSN_NS1_7vsmem_tEENKUlT_SL_SM_SN_E_clIS8_S8_S9_S9_EESK_S10_SL_SM_SN_EUlS10_E0_NS1_11comp_targetILNS1_3genE8ELNS1_11target_archE1030ELNS1_3gpuE2ELNS1_3repE0EEENS1_38merge_mergepath_config_static_selectorELNS0_4arch9wavefront6targetE1EEEvSM_.private_seg_size, 0
	.set _ZN7rocprim17ROCPRIM_400000_NS6detail17trampoline_kernelINS0_14default_configENS1_38merge_sort_block_merge_config_selectorIlNS0_10empty_typeEEEZZNS1_27merge_sort_block_merge_implIS3_PlPS5_mZN2at6native12_GLOBAL__N_124unique_dim_cuda_templateIaEESt5tupleIJNSA_6TensorESF_SF_EERKSF_lbbbEUlllE_EE10hipError_tT0_T1_T2_jT3_P12ihipStream_tbPNSt15iterator_traitsISL_E10value_typeEPNSR_ISM_E10value_typeEPSN_NS1_7vsmem_tEENKUlT_SL_SM_SN_E_clIS8_S8_S9_S9_EESK_S10_SL_SM_SN_EUlS10_E0_NS1_11comp_targetILNS1_3genE8ELNS1_11target_archE1030ELNS1_3gpuE2ELNS1_3repE0EEENS1_38merge_mergepath_config_static_selectorELNS0_4arch9wavefront6targetE1EEEvSM_.uses_vcc, 0
	.set _ZN7rocprim17ROCPRIM_400000_NS6detail17trampoline_kernelINS0_14default_configENS1_38merge_sort_block_merge_config_selectorIlNS0_10empty_typeEEEZZNS1_27merge_sort_block_merge_implIS3_PlPS5_mZN2at6native12_GLOBAL__N_124unique_dim_cuda_templateIaEESt5tupleIJNSA_6TensorESF_SF_EERKSF_lbbbEUlllE_EE10hipError_tT0_T1_T2_jT3_P12ihipStream_tbPNSt15iterator_traitsISL_E10value_typeEPNSR_ISM_E10value_typeEPSN_NS1_7vsmem_tEENKUlT_SL_SM_SN_E_clIS8_S8_S9_S9_EESK_S10_SL_SM_SN_EUlS10_E0_NS1_11comp_targetILNS1_3genE8ELNS1_11target_archE1030ELNS1_3gpuE2ELNS1_3repE0EEENS1_38merge_mergepath_config_static_selectorELNS0_4arch9wavefront6targetE1EEEvSM_.uses_flat_scratch, 0
	.set _ZN7rocprim17ROCPRIM_400000_NS6detail17trampoline_kernelINS0_14default_configENS1_38merge_sort_block_merge_config_selectorIlNS0_10empty_typeEEEZZNS1_27merge_sort_block_merge_implIS3_PlPS5_mZN2at6native12_GLOBAL__N_124unique_dim_cuda_templateIaEESt5tupleIJNSA_6TensorESF_SF_EERKSF_lbbbEUlllE_EE10hipError_tT0_T1_T2_jT3_P12ihipStream_tbPNSt15iterator_traitsISL_E10value_typeEPNSR_ISM_E10value_typeEPSN_NS1_7vsmem_tEENKUlT_SL_SM_SN_E_clIS8_S8_S9_S9_EESK_S10_SL_SM_SN_EUlS10_E0_NS1_11comp_targetILNS1_3genE8ELNS1_11target_archE1030ELNS1_3gpuE2ELNS1_3repE0EEENS1_38merge_mergepath_config_static_selectorELNS0_4arch9wavefront6targetE1EEEvSM_.has_dyn_sized_stack, 0
	.set _ZN7rocprim17ROCPRIM_400000_NS6detail17trampoline_kernelINS0_14default_configENS1_38merge_sort_block_merge_config_selectorIlNS0_10empty_typeEEEZZNS1_27merge_sort_block_merge_implIS3_PlPS5_mZN2at6native12_GLOBAL__N_124unique_dim_cuda_templateIaEESt5tupleIJNSA_6TensorESF_SF_EERKSF_lbbbEUlllE_EE10hipError_tT0_T1_T2_jT3_P12ihipStream_tbPNSt15iterator_traitsISL_E10value_typeEPNSR_ISM_E10value_typeEPSN_NS1_7vsmem_tEENKUlT_SL_SM_SN_E_clIS8_S8_S9_S9_EESK_S10_SL_SM_SN_EUlS10_E0_NS1_11comp_targetILNS1_3genE8ELNS1_11target_archE1030ELNS1_3gpuE2ELNS1_3repE0EEENS1_38merge_mergepath_config_static_selectorELNS0_4arch9wavefront6targetE1EEEvSM_.has_recursion, 0
	.set _ZN7rocprim17ROCPRIM_400000_NS6detail17trampoline_kernelINS0_14default_configENS1_38merge_sort_block_merge_config_selectorIlNS0_10empty_typeEEEZZNS1_27merge_sort_block_merge_implIS3_PlPS5_mZN2at6native12_GLOBAL__N_124unique_dim_cuda_templateIaEESt5tupleIJNSA_6TensorESF_SF_EERKSF_lbbbEUlllE_EE10hipError_tT0_T1_T2_jT3_P12ihipStream_tbPNSt15iterator_traitsISL_E10value_typeEPNSR_ISM_E10value_typeEPSN_NS1_7vsmem_tEENKUlT_SL_SM_SN_E_clIS8_S8_S9_S9_EESK_S10_SL_SM_SN_EUlS10_E0_NS1_11comp_targetILNS1_3genE8ELNS1_11target_archE1030ELNS1_3gpuE2ELNS1_3repE0EEENS1_38merge_mergepath_config_static_selectorELNS0_4arch9wavefront6targetE1EEEvSM_.has_indirect_call, 0
	.section	.AMDGPU.csdata,"",@progbits
; Kernel info:
; codeLenInByte = 0
; TotalNumSgprs: 6
; NumVgprs: 0
; NumAgprs: 0
; TotalNumVgprs: 0
; ScratchSize: 0
; MemoryBound: 0
; FloatMode: 240
; IeeeMode: 1
; LDSByteSize: 0 bytes/workgroup (compile time only)
; SGPRBlocks: 0
; VGPRBlocks: 0
; NumSGPRsForWavesPerEU: 6
; NumVGPRsForWavesPerEU: 1
; AccumOffset: 4
; Occupancy: 8
; WaveLimiterHint : 0
; COMPUTE_PGM_RSRC2:SCRATCH_EN: 0
; COMPUTE_PGM_RSRC2:USER_SGPR: 2
; COMPUTE_PGM_RSRC2:TRAP_HANDLER: 0
; COMPUTE_PGM_RSRC2:TGID_X_EN: 1
; COMPUTE_PGM_RSRC2:TGID_Y_EN: 0
; COMPUTE_PGM_RSRC2:TGID_Z_EN: 0
; COMPUTE_PGM_RSRC2:TIDIG_COMP_CNT: 0
; COMPUTE_PGM_RSRC3_GFX90A:ACCUM_OFFSET: 0
; COMPUTE_PGM_RSRC3_GFX90A:TG_SPLIT: 0
	.section	.text._ZN7rocprim17ROCPRIM_400000_NS6detail17trampoline_kernelINS0_14default_configENS1_38merge_sort_block_merge_config_selectorIlNS0_10empty_typeEEEZZNS1_27merge_sort_block_merge_implIS3_PlPS5_mZN2at6native12_GLOBAL__N_124unique_dim_cuda_templateIaEESt5tupleIJNSA_6TensorESF_SF_EERKSF_lbbbEUlllE_EE10hipError_tT0_T1_T2_jT3_P12ihipStream_tbPNSt15iterator_traitsISL_E10value_typeEPNSR_ISM_E10value_typeEPSN_NS1_7vsmem_tEENKUlT_SL_SM_SN_E_clIS8_S8_S9_S9_EESK_S10_SL_SM_SN_EUlS10_E1_NS1_11comp_targetILNS1_3genE0ELNS1_11target_archE4294967295ELNS1_3gpuE0ELNS1_3repE0EEENS1_36merge_oddeven_config_static_selectorELNS0_4arch9wavefront6targetE1EEEvSM_,"axG",@progbits,_ZN7rocprim17ROCPRIM_400000_NS6detail17trampoline_kernelINS0_14default_configENS1_38merge_sort_block_merge_config_selectorIlNS0_10empty_typeEEEZZNS1_27merge_sort_block_merge_implIS3_PlPS5_mZN2at6native12_GLOBAL__N_124unique_dim_cuda_templateIaEESt5tupleIJNSA_6TensorESF_SF_EERKSF_lbbbEUlllE_EE10hipError_tT0_T1_T2_jT3_P12ihipStream_tbPNSt15iterator_traitsISL_E10value_typeEPNSR_ISM_E10value_typeEPSN_NS1_7vsmem_tEENKUlT_SL_SM_SN_E_clIS8_S8_S9_S9_EESK_S10_SL_SM_SN_EUlS10_E1_NS1_11comp_targetILNS1_3genE0ELNS1_11target_archE4294967295ELNS1_3gpuE0ELNS1_3repE0EEENS1_36merge_oddeven_config_static_selectorELNS0_4arch9wavefront6targetE1EEEvSM_,comdat
	.globl	_ZN7rocprim17ROCPRIM_400000_NS6detail17trampoline_kernelINS0_14default_configENS1_38merge_sort_block_merge_config_selectorIlNS0_10empty_typeEEEZZNS1_27merge_sort_block_merge_implIS3_PlPS5_mZN2at6native12_GLOBAL__N_124unique_dim_cuda_templateIaEESt5tupleIJNSA_6TensorESF_SF_EERKSF_lbbbEUlllE_EE10hipError_tT0_T1_T2_jT3_P12ihipStream_tbPNSt15iterator_traitsISL_E10value_typeEPNSR_ISM_E10value_typeEPSN_NS1_7vsmem_tEENKUlT_SL_SM_SN_E_clIS8_S8_S9_S9_EESK_S10_SL_SM_SN_EUlS10_E1_NS1_11comp_targetILNS1_3genE0ELNS1_11target_archE4294967295ELNS1_3gpuE0ELNS1_3repE0EEENS1_36merge_oddeven_config_static_selectorELNS0_4arch9wavefront6targetE1EEEvSM_ ; -- Begin function _ZN7rocprim17ROCPRIM_400000_NS6detail17trampoline_kernelINS0_14default_configENS1_38merge_sort_block_merge_config_selectorIlNS0_10empty_typeEEEZZNS1_27merge_sort_block_merge_implIS3_PlPS5_mZN2at6native12_GLOBAL__N_124unique_dim_cuda_templateIaEESt5tupleIJNSA_6TensorESF_SF_EERKSF_lbbbEUlllE_EE10hipError_tT0_T1_T2_jT3_P12ihipStream_tbPNSt15iterator_traitsISL_E10value_typeEPNSR_ISM_E10value_typeEPSN_NS1_7vsmem_tEENKUlT_SL_SM_SN_E_clIS8_S8_S9_S9_EESK_S10_SL_SM_SN_EUlS10_E1_NS1_11comp_targetILNS1_3genE0ELNS1_11target_archE4294967295ELNS1_3gpuE0ELNS1_3repE0EEENS1_36merge_oddeven_config_static_selectorELNS0_4arch9wavefront6targetE1EEEvSM_
	.p2align	8
	.type	_ZN7rocprim17ROCPRIM_400000_NS6detail17trampoline_kernelINS0_14default_configENS1_38merge_sort_block_merge_config_selectorIlNS0_10empty_typeEEEZZNS1_27merge_sort_block_merge_implIS3_PlPS5_mZN2at6native12_GLOBAL__N_124unique_dim_cuda_templateIaEESt5tupleIJNSA_6TensorESF_SF_EERKSF_lbbbEUlllE_EE10hipError_tT0_T1_T2_jT3_P12ihipStream_tbPNSt15iterator_traitsISL_E10value_typeEPNSR_ISM_E10value_typeEPSN_NS1_7vsmem_tEENKUlT_SL_SM_SN_E_clIS8_S8_S9_S9_EESK_S10_SL_SM_SN_EUlS10_E1_NS1_11comp_targetILNS1_3genE0ELNS1_11target_archE4294967295ELNS1_3gpuE0ELNS1_3repE0EEENS1_36merge_oddeven_config_static_selectorELNS0_4arch9wavefront6targetE1EEEvSM_,@function
_ZN7rocprim17ROCPRIM_400000_NS6detail17trampoline_kernelINS0_14default_configENS1_38merge_sort_block_merge_config_selectorIlNS0_10empty_typeEEEZZNS1_27merge_sort_block_merge_implIS3_PlPS5_mZN2at6native12_GLOBAL__N_124unique_dim_cuda_templateIaEESt5tupleIJNSA_6TensorESF_SF_EERKSF_lbbbEUlllE_EE10hipError_tT0_T1_T2_jT3_P12ihipStream_tbPNSt15iterator_traitsISL_E10value_typeEPNSR_ISM_E10value_typeEPSN_NS1_7vsmem_tEENKUlT_SL_SM_SN_E_clIS8_S8_S9_S9_EESK_S10_SL_SM_SN_EUlS10_E1_NS1_11comp_targetILNS1_3genE0ELNS1_11target_archE4294967295ELNS1_3gpuE0ELNS1_3repE0EEENS1_36merge_oddeven_config_static_selectorELNS0_4arch9wavefront6targetE1EEEvSM_: ; @_ZN7rocprim17ROCPRIM_400000_NS6detail17trampoline_kernelINS0_14default_configENS1_38merge_sort_block_merge_config_selectorIlNS0_10empty_typeEEEZZNS1_27merge_sort_block_merge_implIS3_PlPS5_mZN2at6native12_GLOBAL__N_124unique_dim_cuda_templateIaEESt5tupleIJNSA_6TensorESF_SF_EERKSF_lbbbEUlllE_EE10hipError_tT0_T1_T2_jT3_P12ihipStream_tbPNSt15iterator_traitsISL_E10value_typeEPNSR_ISM_E10value_typeEPSN_NS1_7vsmem_tEENKUlT_SL_SM_SN_E_clIS8_S8_S9_S9_EESK_S10_SL_SM_SN_EUlS10_E1_NS1_11comp_targetILNS1_3genE0ELNS1_11target_archE4294967295ELNS1_3gpuE0ELNS1_3repE0EEENS1_36merge_oddeven_config_static_selectorELNS0_4arch9wavefront6targetE1EEEvSM_
; %bb.0:
	s_load_dword s22, s[0:1], 0x20
	s_waitcnt lgkmcnt(0)
	s_lshr_b32 s3, s22, 8
	s_cmp_lg_u32 s2, s3
	s_cselect_b64 s[12:13], -1, 0
	s_cmp_eq_u32 s2, s3
	s_cselect_b64 s[20:21], -1, 0
	s_lshl_b32 s18, s2, 8
	s_sub_i32 s3, s22, s18
	v_cmp_gt_u32_e64 s[4:5], s3, v0
	s_or_b64 s[6:7], s[12:13], s[4:5]
	s_and_saveexec_b64 s[8:9], s[6:7]
	s_cbranch_execz .LBB286_54
; %bb.1:
	s_load_dwordx4 s[8:11], s[0:1], 0x0
	s_load_dword s23, s[0:1], 0x28
	s_mov_b32 s19, 0
	s_lshl_b64 s[6:7], s[18:19], 3
	v_lshlrev_b32_e32 v1, 3, v0
	s_waitcnt lgkmcnt(0)
	s_add_u32 s6, s8, s6
	s_addc_u32 s7, s9, s7
	global_load_dwordx2 v[2:3], v1, s[6:7]
	s_lshr_b32 s3, s23, 8
	s_sub_i32 s6, 0, s3
	s_and_b32 s2, s2, s6
	s_and_b32 s3, s2, s3
	s_cmp_lg_u32 s3, 0
	s_cselect_b64 s[6:7], -1, 0
	s_lshl_b32 s19, s2, 8
	s_sub_i32 s2, 0, s23
	s_cmp_eq_u32 s3, 0
	s_cselect_b32 s33, s23, s2
	s_add_i32 s33, s33, s19
	s_cmp_lt_u32 s33, s22
	s_cbranch_scc1 .LBB286_3
; %bb.2:
	v_add_u32_e32 v4, s18, v0
	v_cmp_gt_u32_e32 vcc, s22, v4
	s_or_b64 s[12:13], vcc, s[12:13]
	s_and_b64 s[16:17], s[12:13], exec
	s_cbranch_execz .LBB286_4
	s_branch .LBB286_52
.LBB286_3:
	s_mov_b64 s[16:17], 0
                                        ; implicit-def: $vgpr4
.LBB286_4:
	s_load_dwordx4 s[12:15], s[0:1], 0x30
	s_min_u32 s40, s33, s22
	s_add_i32 s0, s40, s23
	s_min_u32 s41, s0, s22
	s_min_u32 s0, s19, s40
	v_add_u32_e32 v0, s18, v0
	s_add_i32 s19, s19, s40
	v_subrev_u32_e32 v0, s19, v0
	v_add_u32_e32 v14, s0, v0
	s_waitcnt vmcnt(0) lgkmcnt(0)
	v_mul_lo_u32 v4, v3, s12
	v_mul_lo_u32 v5, v2, s13
	v_mad_u64_u32 v[0:1], s[0:1], v2, s12, 0
	v_add3_u32 v1, v1, v5, v4
	v_cmp_gt_i64_e64 s[18:19], s[12:13], 0
	s_and_b64 vcc, exec, s[20:21]
	s_cbranch_vccz .LBB286_26
; %bb.5:
                                        ; implicit-def: $vgpr4
	s_and_saveexec_b64 s[20:21], s[4:5]
	s_cbranch_execz .LBB286_29
; %bb.6:
	s_cmp_ge_u32 s33, s41
	v_mov_b32_e32 v15, s40
	s_cbranch_scc1 .LBB286_28
; %bb.7:
	v_cndmask_b32_e64 v6, 0, 1, s[6:7]
	v_cmp_ne_u32_e64 s[0:1], 1, v6
	v_cndmask_b32_e64 v6, 0, 1, s[18:19]
	v_lshl_add_u64 v[4:5], s[14:15], 0, v[0:1]
	s_mov_b64 s[4:5], 0
	v_mov_b32_e32 v16, s41
	v_mov_b32_e32 v15, s40
	;; [unrolled: 1-line block ×3, first 2 shown]
	v_cmp_ne_u32_e64 s[2:3], 1, v6
	s_branch .LBB286_10
.LBB286_8:                              ;   in Loop: Header=BB286_10 Depth=1
	s_or_b64 exec, exec, s[24:25]
.LBB286_9:                              ;   in Loop: Header=BB286_10 Depth=1
	s_waitcnt vmcnt(0)
	v_add_u32_e32 v8, 1, v6
	v_cndmask_b32_e64 v16, v6, v16, s[22:23]
	v_cndmask_b32_e64 v15, v15, v8, s[22:23]
	v_cmp_ge_u32_e32 vcc, v15, v16
	s_or_b64 s[4:5], vcc, s[4:5]
	s_andn2_b64 exec, exec, s[4:5]
	s_cbranch_execz .LBB286_27
.LBB286_10:                             ; =>This Loop Header: Depth=1
                                        ;     Child Loop BB286_14 Depth 2
                                        ;     Child Loop BB286_23 Depth 2
	v_add_u32_e32 v6, v15, v16
	v_lshrrev_b32_e32 v6, 1, v6
	v_lshl_add_u64 v[8:9], v[6:7], 3, s[8:9]
	global_load_dwordx2 v[8:9], v[8:9], off
	s_and_b64 vcc, exec, s[0:1]
	s_mov_b64 s[24:25], -1
                                        ; implicit-def: $sgpr22_sgpr23
	s_cbranch_vccnz .LBB286_19
; %bb.11:                               ;   in Loop: Header=BB286_10 Depth=1
	s_and_b64 vcc, exec, s[2:3]
	s_cbranch_vccnz .LBB286_17
; %bb.12:                               ;   in Loop: Header=BB286_10 Depth=1
	v_mov_b64_e32 v[10:11], s[14:15]
	s_waitcnt vmcnt(0)
	v_mad_u64_u32 v[10:11], s[22:23], v8, s12, v[10:11]
	v_mul_lo_u32 v12, v8, s13
	v_mul_lo_u32 v13, v9, s12
	v_add3_u32 v11, v13, v11, v12
	s_mov_b64 s[22:23], 0
	s_mov_b64 s[28:29], s[12:13]
	v_mov_b64_e32 v[12:13], v[4:5]
                                        ; implicit-def: $sgpr24_sgpr25
                                        ; implicit-def: $sgpr26_sgpr27
                                        ; implicit-def: $sgpr30_sgpr31
                                        ; implicit-def: $sgpr34_sgpr35
	s_branch .LBB286_14
.LBB286_13:                             ;   in Loop: Header=BB286_14 Depth=2
	s_or_b64 exec, exec, s[38:39]
	s_and_b64 s[38:39], exec, s[26:27]
	s_or_b64 s[22:23], s[38:39], s[22:23]
	s_andn2_b64 s[34:35], s[34:35], exec
	s_and_b64 s[36:37], s[36:37], exec
	s_or_b64 s[34:35], s[34:35], s[36:37]
	s_andn2_b64 s[24:25], s[24:25], exec
	s_and_b64 s[36:37], s[30:31], exec
	s_or_b64 s[24:25], s[24:25], s[36:37]
	s_andn2_b64 exec, exec, s[22:23]
	s_cbranch_execz .LBB286_16
.LBB286_14:                             ;   Parent Loop BB286_10 Depth=1
                                        ; =>  This Inner Loop Header: Depth=2
	global_load_ubyte v17, v[12:13], off
	global_load_ubyte v18, v[10:11], off
	s_andn2_b64 s[30:31], s[30:31], exec
	s_or_b64 s[26:27], s[26:27], exec
	s_waitcnt vmcnt(0)
	v_cmp_le_i16_sdwa s[38:39], sext(v17), sext(v18) src0_sel:BYTE_0 src1_sel:BYTE_0
	v_cmp_lt_i16_sdwa s[36:37], sext(v17), sext(v18) src0_sel:BYTE_0 src1_sel:BYTE_0
	s_and_b64 s[38:39], s[38:39], s[34:35]
	s_or_b64 s[36:37], s[36:37], s[38:39]
	s_and_b64 s[38:39], s[36:37], exec
	v_cmp_eq_u16_sdwa s[42:43], v17, v18 src0_sel:BYTE_0 src1_sel:BYTE_0
	s_or_b64 s[30:31], s[30:31], s[38:39]
	s_and_saveexec_b64 s[38:39], s[42:43]
	s_cbranch_execz .LBB286_13
; %bb.15:                               ;   in Loop: Header=BB286_14 Depth=2
	s_add_u32 s28, s28, -1
	s_addc_u32 s29, s29, -1
	s_cmp_eq_u64 s[28:29], 0
	s_cselect_b64 s[34:35], -1, 0
	s_andn2_b64 s[26:27], s[26:27], exec
	s_and_b64 s[34:35], s[34:35], exec
	v_lshl_add_u64 v[12:13], v[12:13], 0, 1
	v_lshl_add_u64 v[10:11], v[10:11], 0, 1
	s_andn2_b64 s[30:31], s[30:31], exec
	s_or_b64 s[26:27], s[26:27], s[34:35]
                                        ; implicit-def: $sgpr34_sgpr35
	s_branch .LBB286_13
.LBB286_16:                             ;   in Loop: Header=BB286_10 Depth=1
	s_or_b64 exec, exec, s[22:23]
	s_xor_b64 s[22:23], s[24:25], -1
	s_branch .LBB286_18
.LBB286_17:                             ;   in Loop: Header=BB286_10 Depth=1
	s_mov_b64 s[22:23], -1
.LBB286_18:                             ;   in Loop: Header=BB286_10 Depth=1
	s_mov_b64 s[24:25], 0
.LBB286_19:                             ;   in Loop: Header=BB286_10 Depth=1
	s_andn2_b64 vcc, exec, s[24:25]
	s_cbranch_vccnz .LBB286_9
; %bb.20:                               ;   in Loop: Header=BB286_10 Depth=1
	s_and_b64 vcc, exec, s[2:3]
	s_cbranch_vccnz .LBB286_25
; %bb.21:                               ;   in Loop: Header=BB286_10 Depth=1
	v_mov_b64_e32 v[10:11], s[14:15]
	s_waitcnt vmcnt(0)
	v_mad_u64_u32 v[10:11], s[22:23], v8, s12, v[10:11]
	v_mul_lo_u32 v8, v8, s13
	v_mul_lo_u32 v9, v9, s12
	v_add3_u32 v11, v9, v11, v8
	s_mov_b64 s[24:25], 0
	s_mov_b64 s[28:29], s[12:13]
	v_mov_b64_e32 v[8:9], v[4:5]
                                        ; implicit-def: $sgpr22_sgpr23
                                        ; implicit-def: $sgpr26_sgpr27
                                        ; implicit-def: $sgpr30_sgpr31
                                        ; implicit-def: $sgpr34_sgpr35
	s_branch .LBB286_23
.LBB286_22:                             ;   in Loop: Header=BB286_23 Depth=2
	s_or_b64 exec, exec, s[38:39]
	s_and_b64 s[38:39], exec, s[26:27]
	s_or_b64 s[24:25], s[38:39], s[24:25]
	s_andn2_b64 s[34:35], s[34:35], exec
	s_and_b64 s[36:37], s[36:37], exec
	s_or_b64 s[34:35], s[34:35], s[36:37]
	s_andn2_b64 s[22:23], s[22:23], exec
	s_and_b64 s[36:37], s[30:31], exec
	s_or_b64 s[22:23], s[22:23], s[36:37]
	s_andn2_b64 exec, exec, s[24:25]
	s_cbranch_execz .LBB286_8
.LBB286_23:                             ;   Parent Loop BB286_10 Depth=1
                                        ; =>  This Inner Loop Header: Depth=2
	global_load_ubyte v12, v[10:11], off
	global_load_ubyte v13, v[8:9], off
	s_andn2_b64 s[30:31], s[30:31], exec
	s_or_b64 s[26:27], s[26:27], exec
	s_waitcnt vmcnt(0)
	v_cmp_le_i16_sdwa s[38:39], sext(v12), sext(v13) src0_sel:BYTE_0 src1_sel:BYTE_0
	v_cmp_lt_i16_sdwa s[36:37], sext(v12), sext(v13) src0_sel:BYTE_0 src1_sel:BYTE_0
	s_and_b64 s[38:39], s[38:39], s[34:35]
	s_or_b64 s[36:37], s[36:37], s[38:39]
	s_and_b64 s[38:39], s[36:37], exec
	v_cmp_eq_u16_sdwa s[42:43], v12, v13 src0_sel:BYTE_0 src1_sel:BYTE_0
	s_or_b64 s[30:31], s[30:31], s[38:39]
	s_and_saveexec_b64 s[38:39], s[42:43]
	s_cbranch_execz .LBB286_22
; %bb.24:                               ;   in Loop: Header=BB286_23 Depth=2
	s_add_u32 s28, s28, -1
	s_addc_u32 s29, s29, -1
	s_cmp_eq_u64 s[28:29], 0
	s_cselect_b64 s[34:35], -1, 0
	s_andn2_b64 s[26:27], s[26:27], exec
	s_and_b64 s[34:35], s[34:35], exec
	v_lshl_add_u64 v[10:11], v[10:11], 0, 1
	v_lshl_add_u64 v[8:9], v[8:9], 0, 1
	s_andn2_b64 s[30:31], s[30:31], exec
	s_or_b64 s[26:27], s[26:27], s[34:35]
                                        ; implicit-def: $sgpr34_sgpr35
	s_branch .LBB286_22
.LBB286_25:                             ;   in Loop: Header=BB286_10 Depth=1
	s_mov_b64 s[22:23], 0
	s_branch .LBB286_9
.LBB286_26:
                                        ; implicit-def: $vgpr4
	s_cbranch_execnz .LBB286_30
	s_branch .LBB286_52
.LBB286_27:
	s_or_b64 exec, exec, s[4:5]
.LBB286_28:
	v_add_u32_e32 v4, v15, v14
	s_or_b64 s[16:17], s[16:17], exec
.LBB286_29:
	s_or_b64 exec, exec, s[20:21]
	s_branch .LBB286_52
.LBB286_30:
	s_cmp_ge_u32 s33, s41
	v_mov_b32_e32 v12, s40
	s_cbranch_scc1 .LBB286_51
; %bb.31:
	v_cndmask_b32_e64 v4, 0, 1, s[6:7]
	v_cmp_ne_u32_e64 s[0:1], 1, v4
	v_cndmask_b32_e64 v4, 0, 1, s[18:19]
	v_lshl_add_u64 v[0:1], s[14:15], 0, v[0:1]
	s_mov_b64 s[4:5], 0
	v_mov_b32_e32 v13, s41
	v_mov_b32_e32 v12, s40
	;; [unrolled: 1-line block ×3, first 2 shown]
	v_cmp_ne_u32_e64 s[2:3], 1, v4
	s_branch .LBB286_34
.LBB286_32:                             ;   in Loop: Header=BB286_34 Depth=1
	s_or_b64 exec, exec, s[16:17]
.LBB286_33:                             ;   in Loop: Header=BB286_34 Depth=1
	s_waitcnt vmcnt(0)
	v_add_u32_e32 v6, 1, v4
	v_cndmask_b32_e64 v13, v4, v13, s[6:7]
	v_cndmask_b32_e64 v12, v12, v6, s[6:7]
	v_cmp_ge_u32_e32 vcc, v12, v13
	s_or_b64 s[4:5], vcc, s[4:5]
	s_andn2_b64 exec, exec, s[4:5]
	s_cbranch_execz .LBB286_50
.LBB286_34:                             ; =>This Loop Header: Depth=1
                                        ;     Child Loop BB286_38 Depth 2
                                        ;     Child Loop BB286_47 Depth 2
	v_add_u32_e32 v4, v12, v13
	v_lshrrev_b32_e32 v4, 1, v4
	v_lshl_add_u64 v[6:7], v[4:5], 3, s[8:9]
	global_load_dwordx2 v[6:7], v[6:7], off
	s_and_b64 vcc, exec, s[0:1]
	s_mov_b64 s[16:17], -1
                                        ; implicit-def: $sgpr6_sgpr7
	s_cbranch_vccnz .LBB286_43
; %bb.35:                               ;   in Loop: Header=BB286_34 Depth=1
	s_and_b64 vcc, exec, s[2:3]
	s_cbranch_vccnz .LBB286_41
; %bb.36:                               ;   in Loop: Header=BB286_34 Depth=1
	v_mov_b64_e32 v[8:9], s[14:15]
	s_waitcnt vmcnt(0)
	v_mad_u64_u32 v[8:9], s[6:7], v6, s12, v[8:9]
	v_mul_lo_u32 v10, v6, s13
	v_mul_lo_u32 v11, v7, s12
	v_add3_u32 v9, v11, v9, v10
	s_mov_b64 s[6:7], 0
	s_mov_b64 s[20:21], s[12:13]
	v_mov_b64_e32 v[10:11], v[0:1]
                                        ; implicit-def: $sgpr16_sgpr17
                                        ; implicit-def: $sgpr18_sgpr19
                                        ; implicit-def: $sgpr22_sgpr23
                                        ; implicit-def: $sgpr24_sgpr25
	s_branch .LBB286_38
.LBB286_37:                             ;   in Loop: Header=BB286_38 Depth=2
	s_or_b64 exec, exec, s[28:29]
	s_and_b64 s[28:29], exec, s[18:19]
	s_or_b64 s[6:7], s[28:29], s[6:7]
	s_andn2_b64 s[24:25], s[24:25], exec
	s_and_b64 s[26:27], s[26:27], exec
	s_or_b64 s[24:25], s[24:25], s[26:27]
	s_andn2_b64 s[16:17], s[16:17], exec
	s_and_b64 s[26:27], s[22:23], exec
	s_or_b64 s[16:17], s[16:17], s[26:27]
	s_andn2_b64 exec, exec, s[6:7]
	s_cbranch_execz .LBB286_40
.LBB286_38:                             ;   Parent Loop BB286_34 Depth=1
                                        ; =>  This Inner Loop Header: Depth=2
	global_load_ubyte v15, v[10:11], off
	global_load_ubyte v16, v[8:9], off
	s_andn2_b64 s[22:23], s[22:23], exec
	s_or_b64 s[18:19], s[18:19], exec
	s_waitcnt vmcnt(0)
	v_cmp_le_i16_sdwa s[28:29], sext(v15), sext(v16) src0_sel:BYTE_0 src1_sel:BYTE_0
	v_cmp_lt_i16_sdwa s[26:27], sext(v15), sext(v16) src0_sel:BYTE_0 src1_sel:BYTE_0
	s_and_b64 s[28:29], s[28:29], s[24:25]
	s_or_b64 s[26:27], s[26:27], s[28:29]
	s_and_b64 s[28:29], s[26:27], exec
	v_cmp_eq_u16_sdwa s[30:31], v15, v16 src0_sel:BYTE_0 src1_sel:BYTE_0
	s_or_b64 s[22:23], s[22:23], s[28:29]
	s_and_saveexec_b64 s[28:29], s[30:31]
	s_cbranch_execz .LBB286_37
; %bb.39:                               ;   in Loop: Header=BB286_38 Depth=2
	s_add_u32 s20, s20, -1
	s_addc_u32 s21, s21, -1
	s_cmp_eq_u64 s[20:21], 0
	s_cselect_b64 s[24:25], -1, 0
	s_andn2_b64 s[18:19], s[18:19], exec
	s_and_b64 s[24:25], s[24:25], exec
	v_lshl_add_u64 v[10:11], v[10:11], 0, 1
	v_lshl_add_u64 v[8:9], v[8:9], 0, 1
	s_andn2_b64 s[22:23], s[22:23], exec
	s_or_b64 s[18:19], s[18:19], s[24:25]
                                        ; implicit-def: $sgpr24_sgpr25
	s_branch .LBB286_37
.LBB286_40:                             ;   in Loop: Header=BB286_34 Depth=1
	s_or_b64 exec, exec, s[6:7]
	s_xor_b64 s[6:7], s[16:17], -1
	s_branch .LBB286_42
.LBB286_41:                             ;   in Loop: Header=BB286_34 Depth=1
	s_mov_b64 s[6:7], -1
.LBB286_42:                             ;   in Loop: Header=BB286_34 Depth=1
	s_mov_b64 s[16:17], 0
.LBB286_43:                             ;   in Loop: Header=BB286_34 Depth=1
	s_andn2_b64 vcc, exec, s[16:17]
	s_cbranch_vccnz .LBB286_33
; %bb.44:                               ;   in Loop: Header=BB286_34 Depth=1
	s_and_b64 vcc, exec, s[2:3]
	s_cbranch_vccnz .LBB286_49
; %bb.45:                               ;   in Loop: Header=BB286_34 Depth=1
	v_mov_b64_e32 v[8:9], s[14:15]
	s_waitcnt vmcnt(0)
	v_mad_u64_u32 v[8:9], s[6:7], v6, s12, v[8:9]
	v_mul_lo_u32 v6, v6, s13
	v_mul_lo_u32 v7, v7, s12
	v_add3_u32 v9, v7, v9, v6
	s_mov_b64 s[16:17], 0
	s_mov_b64 s[20:21], s[12:13]
	v_mov_b64_e32 v[6:7], v[0:1]
                                        ; implicit-def: $sgpr6_sgpr7
                                        ; implicit-def: $sgpr18_sgpr19
                                        ; implicit-def: $sgpr22_sgpr23
                                        ; implicit-def: $sgpr24_sgpr25
	s_branch .LBB286_47
.LBB286_46:                             ;   in Loop: Header=BB286_47 Depth=2
	s_or_b64 exec, exec, s[28:29]
	s_and_b64 s[28:29], exec, s[18:19]
	s_or_b64 s[16:17], s[28:29], s[16:17]
	s_andn2_b64 s[24:25], s[24:25], exec
	s_and_b64 s[26:27], s[26:27], exec
	s_or_b64 s[24:25], s[24:25], s[26:27]
	s_andn2_b64 s[6:7], s[6:7], exec
	s_and_b64 s[26:27], s[22:23], exec
	s_or_b64 s[6:7], s[6:7], s[26:27]
	s_andn2_b64 exec, exec, s[16:17]
	s_cbranch_execz .LBB286_32
.LBB286_47:                             ;   Parent Loop BB286_34 Depth=1
                                        ; =>  This Inner Loop Header: Depth=2
	global_load_ubyte v10, v[8:9], off
	global_load_ubyte v11, v[6:7], off
	s_andn2_b64 s[22:23], s[22:23], exec
	s_or_b64 s[18:19], s[18:19], exec
	s_waitcnt vmcnt(0)
	v_cmp_le_i16_sdwa s[28:29], sext(v10), sext(v11) src0_sel:BYTE_0 src1_sel:BYTE_0
	v_cmp_lt_i16_sdwa s[26:27], sext(v10), sext(v11) src0_sel:BYTE_0 src1_sel:BYTE_0
	s_and_b64 s[28:29], s[28:29], s[24:25]
	s_or_b64 s[26:27], s[26:27], s[28:29]
	s_and_b64 s[28:29], s[26:27], exec
	v_cmp_eq_u16_sdwa s[30:31], v10, v11 src0_sel:BYTE_0 src1_sel:BYTE_0
	s_or_b64 s[22:23], s[22:23], s[28:29]
	s_and_saveexec_b64 s[28:29], s[30:31]
	s_cbranch_execz .LBB286_46
; %bb.48:                               ;   in Loop: Header=BB286_47 Depth=2
	s_add_u32 s20, s20, -1
	s_addc_u32 s21, s21, -1
	s_cmp_eq_u64 s[20:21], 0
	s_cselect_b64 s[24:25], -1, 0
	s_andn2_b64 s[18:19], s[18:19], exec
	s_and_b64 s[24:25], s[24:25], exec
	v_lshl_add_u64 v[8:9], v[8:9], 0, 1
	v_lshl_add_u64 v[6:7], v[6:7], 0, 1
	s_andn2_b64 s[22:23], s[22:23], exec
	s_or_b64 s[18:19], s[18:19], s[24:25]
                                        ; implicit-def: $sgpr24_sgpr25
	s_branch .LBB286_46
.LBB286_49:                             ;   in Loop: Header=BB286_34 Depth=1
	s_mov_b64 s[6:7], 0
	s_branch .LBB286_33
.LBB286_50:
	s_or_b64 exec, exec, s[4:5]
.LBB286_51:
	v_add_u32_e32 v4, v12, v14
	s_mov_b64 s[16:17], -1
.LBB286_52:
	s_and_b64 exec, exec, s[16:17]
	s_cbranch_execz .LBB286_54
; %bb.53:
	v_mov_b32_e32 v0, s10
	v_mov_b32_e32 v1, s11
	v_mov_b32_e32 v5, 0
	v_lshl_add_u64 v[0:1], v[4:5], 3, v[0:1]
	s_waitcnt vmcnt(0)
	global_store_dwordx2 v[0:1], v[2:3], off
.LBB286_54:
	s_endpgm
	.section	.rodata,"a",@progbits
	.p2align	6, 0x0
	.amdhsa_kernel _ZN7rocprim17ROCPRIM_400000_NS6detail17trampoline_kernelINS0_14default_configENS1_38merge_sort_block_merge_config_selectorIlNS0_10empty_typeEEEZZNS1_27merge_sort_block_merge_implIS3_PlPS5_mZN2at6native12_GLOBAL__N_124unique_dim_cuda_templateIaEESt5tupleIJNSA_6TensorESF_SF_EERKSF_lbbbEUlllE_EE10hipError_tT0_T1_T2_jT3_P12ihipStream_tbPNSt15iterator_traitsISL_E10value_typeEPNSR_ISM_E10value_typeEPSN_NS1_7vsmem_tEENKUlT_SL_SM_SN_E_clIS8_S8_S9_S9_EESK_S10_SL_SM_SN_EUlS10_E1_NS1_11comp_targetILNS1_3genE0ELNS1_11target_archE4294967295ELNS1_3gpuE0ELNS1_3repE0EEENS1_36merge_oddeven_config_static_selectorELNS0_4arch9wavefront6targetE1EEEvSM_
		.amdhsa_group_segment_fixed_size 0
		.amdhsa_private_segment_fixed_size 0
		.amdhsa_kernarg_size 64
		.amdhsa_user_sgpr_count 2
		.amdhsa_user_sgpr_dispatch_ptr 0
		.amdhsa_user_sgpr_queue_ptr 0
		.amdhsa_user_sgpr_kernarg_segment_ptr 1
		.amdhsa_user_sgpr_dispatch_id 0
		.amdhsa_user_sgpr_kernarg_preload_length 0
		.amdhsa_user_sgpr_kernarg_preload_offset 0
		.amdhsa_user_sgpr_private_segment_size 0
		.amdhsa_uses_dynamic_stack 0
		.amdhsa_enable_private_segment 0
		.amdhsa_system_sgpr_workgroup_id_x 1
		.amdhsa_system_sgpr_workgroup_id_y 0
		.amdhsa_system_sgpr_workgroup_id_z 0
		.amdhsa_system_sgpr_workgroup_info 0
		.amdhsa_system_vgpr_workitem_id 0
		.amdhsa_next_free_vgpr 19
		.amdhsa_next_free_sgpr 44
		.amdhsa_accum_offset 20
		.amdhsa_reserve_vcc 1
		.amdhsa_float_round_mode_32 0
		.amdhsa_float_round_mode_16_64 0
		.amdhsa_float_denorm_mode_32 3
		.amdhsa_float_denorm_mode_16_64 3
		.amdhsa_dx10_clamp 1
		.amdhsa_ieee_mode 1
		.amdhsa_fp16_overflow 0
		.amdhsa_tg_split 0
		.amdhsa_exception_fp_ieee_invalid_op 0
		.amdhsa_exception_fp_denorm_src 0
		.amdhsa_exception_fp_ieee_div_zero 0
		.amdhsa_exception_fp_ieee_overflow 0
		.amdhsa_exception_fp_ieee_underflow 0
		.amdhsa_exception_fp_ieee_inexact 0
		.amdhsa_exception_int_div_zero 0
	.end_amdhsa_kernel
	.section	.text._ZN7rocprim17ROCPRIM_400000_NS6detail17trampoline_kernelINS0_14default_configENS1_38merge_sort_block_merge_config_selectorIlNS0_10empty_typeEEEZZNS1_27merge_sort_block_merge_implIS3_PlPS5_mZN2at6native12_GLOBAL__N_124unique_dim_cuda_templateIaEESt5tupleIJNSA_6TensorESF_SF_EERKSF_lbbbEUlllE_EE10hipError_tT0_T1_T2_jT3_P12ihipStream_tbPNSt15iterator_traitsISL_E10value_typeEPNSR_ISM_E10value_typeEPSN_NS1_7vsmem_tEENKUlT_SL_SM_SN_E_clIS8_S8_S9_S9_EESK_S10_SL_SM_SN_EUlS10_E1_NS1_11comp_targetILNS1_3genE0ELNS1_11target_archE4294967295ELNS1_3gpuE0ELNS1_3repE0EEENS1_36merge_oddeven_config_static_selectorELNS0_4arch9wavefront6targetE1EEEvSM_,"axG",@progbits,_ZN7rocprim17ROCPRIM_400000_NS6detail17trampoline_kernelINS0_14default_configENS1_38merge_sort_block_merge_config_selectorIlNS0_10empty_typeEEEZZNS1_27merge_sort_block_merge_implIS3_PlPS5_mZN2at6native12_GLOBAL__N_124unique_dim_cuda_templateIaEESt5tupleIJNSA_6TensorESF_SF_EERKSF_lbbbEUlllE_EE10hipError_tT0_T1_T2_jT3_P12ihipStream_tbPNSt15iterator_traitsISL_E10value_typeEPNSR_ISM_E10value_typeEPSN_NS1_7vsmem_tEENKUlT_SL_SM_SN_E_clIS8_S8_S9_S9_EESK_S10_SL_SM_SN_EUlS10_E1_NS1_11comp_targetILNS1_3genE0ELNS1_11target_archE4294967295ELNS1_3gpuE0ELNS1_3repE0EEENS1_36merge_oddeven_config_static_selectorELNS0_4arch9wavefront6targetE1EEEvSM_,comdat
.Lfunc_end286:
	.size	_ZN7rocprim17ROCPRIM_400000_NS6detail17trampoline_kernelINS0_14default_configENS1_38merge_sort_block_merge_config_selectorIlNS0_10empty_typeEEEZZNS1_27merge_sort_block_merge_implIS3_PlPS5_mZN2at6native12_GLOBAL__N_124unique_dim_cuda_templateIaEESt5tupleIJNSA_6TensorESF_SF_EERKSF_lbbbEUlllE_EE10hipError_tT0_T1_T2_jT3_P12ihipStream_tbPNSt15iterator_traitsISL_E10value_typeEPNSR_ISM_E10value_typeEPSN_NS1_7vsmem_tEENKUlT_SL_SM_SN_E_clIS8_S8_S9_S9_EESK_S10_SL_SM_SN_EUlS10_E1_NS1_11comp_targetILNS1_3genE0ELNS1_11target_archE4294967295ELNS1_3gpuE0ELNS1_3repE0EEENS1_36merge_oddeven_config_static_selectorELNS0_4arch9wavefront6targetE1EEEvSM_, .Lfunc_end286-_ZN7rocprim17ROCPRIM_400000_NS6detail17trampoline_kernelINS0_14default_configENS1_38merge_sort_block_merge_config_selectorIlNS0_10empty_typeEEEZZNS1_27merge_sort_block_merge_implIS3_PlPS5_mZN2at6native12_GLOBAL__N_124unique_dim_cuda_templateIaEESt5tupleIJNSA_6TensorESF_SF_EERKSF_lbbbEUlllE_EE10hipError_tT0_T1_T2_jT3_P12ihipStream_tbPNSt15iterator_traitsISL_E10value_typeEPNSR_ISM_E10value_typeEPSN_NS1_7vsmem_tEENKUlT_SL_SM_SN_E_clIS8_S8_S9_S9_EESK_S10_SL_SM_SN_EUlS10_E1_NS1_11comp_targetILNS1_3genE0ELNS1_11target_archE4294967295ELNS1_3gpuE0ELNS1_3repE0EEENS1_36merge_oddeven_config_static_selectorELNS0_4arch9wavefront6targetE1EEEvSM_
                                        ; -- End function
	.set _ZN7rocprim17ROCPRIM_400000_NS6detail17trampoline_kernelINS0_14default_configENS1_38merge_sort_block_merge_config_selectorIlNS0_10empty_typeEEEZZNS1_27merge_sort_block_merge_implIS3_PlPS5_mZN2at6native12_GLOBAL__N_124unique_dim_cuda_templateIaEESt5tupleIJNSA_6TensorESF_SF_EERKSF_lbbbEUlllE_EE10hipError_tT0_T1_T2_jT3_P12ihipStream_tbPNSt15iterator_traitsISL_E10value_typeEPNSR_ISM_E10value_typeEPSN_NS1_7vsmem_tEENKUlT_SL_SM_SN_E_clIS8_S8_S9_S9_EESK_S10_SL_SM_SN_EUlS10_E1_NS1_11comp_targetILNS1_3genE0ELNS1_11target_archE4294967295ELNS1_3gpuE0ELNS1_3repE0EEENS1_36merge_oddeven_config_static_selectorELNS0_4arch9wavefront6targetE1EEEvSM_.num_vgpr, 19
	.set _ZN7rocprim17ROCPRIM_400000_NS6detail17trampoline_kernelINS0_14default_configENS1_38merge_sort_block_merge_config_selectorIlNS0_10empty_typeEEEZZNS1_27merge_sort_block_merge_implIS3_PlPS5_mZN2at6native12_GLOBAL__N_124unique_dim_cuda_templateIaEESt5tupleIJNSA_6TensorESF_SF_EERKSF_lbbbEUlllE_EE10hipError_tT0_T1_T2_jT3_P12ihipStream_tbPNSt15iterator_traitsISL_E10value_typeEPNSR_ISM_E10value_typeEPSN_NS1_7vsmem_tEENKUlT_SL_SM_SN_E_clIS8_S8_S9_S9_EESK_S10_SL_SM_SN_EUlS10_E1_NS1_11comp_targetILNS1_3genE0ELNS1_11target_archE4294967295ELNS1_3gpuE0ELNS1_3repE0EEENS1_36merge_oddeven_config_static_selectorELNS0_4arch9wavefront6targetE1EEEvSM_.num_agpr, 0
	.set _ZN7rocprim17ROCPRIM_400000_NS6detail17trampoline_kernelINS0_14default_configENS1_38merge_sort_block_merge_config_selectorIlNS0_10empty_typeEEEZZNS1_27merge_sort_block_merge_implIS3_PlPS5_mZN2at6native12_GLOBAL__N_124unique_dim_cuda_templateIaEESt5tupleIJNSA_6TensorESF_SF_EERKSF_lbbbEUlllE_EE10hipError_tT0_T1_T2_jT3_P12ihipStream_tbPNSt15iterator_traitsISL_E10value_typeEPNSR_ISM_E10value_typeEPSN_NS1_7vsmem_tEENKUlT_SL_SM_SN_E_clIS8_S8_S9_S9_EESK_S10_SL_SM_SN_EUlS10_E1_NS1_11comp_targetILNS1_3genE0ELNS1_11target_archE4294967295ELNS1_3gpuE0ELNS1_3repE0EEENS1_36merge_oddeven_config_static_selectorELNS0_4arch9wavefront6targetE1EEEvSM_.numbered_sgpr, 44
	.set _ZN7rocprim17ROCPRIM_400000_NS6detail17trampoline_kernelINS0_14default_configENS1_38merge_sort_block_merge_config_selectorIlNS0_10empty_typeEEEZZNS1_27merge_sort_block_merge_implIS3_PlPS5_mZN2at6native12_GLOBAL__N_124unique_dim_cuda_templateIaEESt5tupleIJNSA_6TensorESF_SF_EERKSF_lbbbEUlllE_EE10hipError_tT0_T1_T2_jT3_P12ihipStream_tbPNSt15iterator_traitsISL_E10value_typeEPNSR_ISM_E10value_typeEPSN_NS1_7vsmem_tEENKUlT_SL_SM_SN_E_clIS8_S8_S9_S9_EESK_S10_SL_SM_SN_EUlS10_E1_NS1_11comp_targetILNS1_3genE0ELNS1_11target_archE4294967295ELNS1_3gpuE0ELNS1_3repE0EEENS1_36merge_oddeven_config_static_selectorELNS0_4arch9wavefront6targetE1EEEvSM_.num_named_barrier, 0
	.set _ZN7rocprim17ROCPRIM_400000_NS6detail17trampoline_kernelINS0_14default_configENS1_38merge_sort_block_merge_config_selectorIlNS0_10empty_typeEEEZZNS1_27merge_sort_block_merge_implIS3_PlPS5_mZN2at6native12_GLOBAL__N_124unique_dim_cuda_templateIaEESt5tupleIJNSA_6TensorESF_SF_EERKSF_lbbbEUlllE_EE10hipError_tT0_T1_T2_jT3_P12ihipStream_tbPNSt15iterator_traitsISL_E10value_typeEPNSR_ISM_E10value_typeEPSN_NS1_7vsmem_tEENKUlT_SL_SM_SN_E_clIS8_S8_S9_S9_EESK_S10_SL_SM_SN_EUlS10_E1_NS1_11comp_targetILNS1_3genE0ELNS1_11target_archE4294967295ELNS1_3gpuE0ELNS1_3repE0EEENS1_36merge_oddeven_config_static_selectorELNS0_4arch9wavefront6targetE1EEEvSM_.private_seg_size, 0
	.set _ZN7rocprim17ROCPRIM_400000_NS6detail17trampoline_kernelINS0_14default_configENS1_38merge_sort_block_merge_config_selectorIlNS0_10empty_typeEEEZZNS1_27merge_sort_block_merge_implIS3_PlPS5_mZN2at6native12_GLOBAL__N_124unique_dim_cuda_templateIaEESt5tupleIJNSA_6TensorESF_SF_EERKSF_lbbbEUlllE_EE10hipError_tT0_T1_T2_jT3_P12ihipStream_tbPNSt15iterator_traitsISL_E10value_typeEPNSR_ISM_E10value_typeEPSN_NS1_7vsmem_tEENKUlT_SL_SM_SN_E_clIS8_S8_S9_S9_EESK_S10_SL_SM_SN_EUlS10_E1_NS1_11comp_targetILNS1_3genE0ELNS1_11target_archE4294967295ELNS1_3gpuE0ELNS1_3repE0EEENS1_36merge_oddeven_config_static_selectorELNS0_4arch9wavefront6targetE1EEEvSM_.uses_vcc, 1
	.set _ZN7rocprim17ROCPRIM_400000_NS6detail17trampoline_kernelINS0_14default_configENS1_38merge_sort_block_merge_config_selectorIlNS0_10empty_typeEEEZZNS1_27merge_sort_block_merge_implIS3_PlPS5_mZN2at6native12_GLOBAL__N_124unique_dim_cuda_templateIaEESt5tupleIJNSA_6TensorESF_SF_EERKSF_lbbbEUlllE_EE10hipError_tT0_T1_T2_jT3_P12ihipStream_tbPNSt15iterator_traitsISL_E10value_typeEPNSR_ISM_E10value_typeEPSN_NS1_7vsmem_tEENKUlT_SL_SM_SN_E_clIS8_S8_S9_S9_EESK_S10_SL_SM_SN_EUlS10_E1_NS1_11comp_targetILNS1_3genE0ELNS1_11target_archE4294967295ELNS1_3gpuE0ELNS1_3repE0EEENS1_36merge_oddeven_config_static_selectorELNS0_4arch9wavefront6targetE1EEEvSM_.uses_flat_scratch, 0
	.set _ZN7rocprim17ROCPRIM_400000_NS6detail17trampoline_kernelINS0_14default_configENS1_38merge_sort_block_merge_config_selectorIlNS0_10empty_typeEEEZZNS1_27merge_sort_block_merge_implIS3_PlPS5_mZN2at6native12_GLOBAL__N_124unique_dim_cuda_templateIaEESt5tupleIJNSA_6TensorESF_SF_EERKSF_lbbbEUlllE_EE10hipError_tT0_T1_T2_jT3_P12ihipStream_tbPNSt15iterator_traitsISL_E10value_typeEPNSR_ISM_E10value_typeEPSN_NS1_7vsmem_tEENKUlT_SL_SM_SN_E_clIS8_S8_S9_S9_EESK_S10_SL_SM_SN_EUlS10_E1_NS1_11comp_targetILNS1_3genE0ELNS1_11target_archE4294967295ELNS1_3gpuE0ELNS1_3repE0EEENS1_36merge_oddeven_config_static_selectorELNS0_4arch9wavefront6targetE1EEEvSM_.has_dyn_sized_stack, 0
	.set _ZN7rocprim17ROCPRIM_400000_NS6detail17trampoline_kernelINS0_14default_configENS1_38merge_sort_block_merge_config_selectorIlNS0_10empty_typeEEEZZNS1_27merge_sort_block_merge_implIS3_PlPS5_mZN2at6native12_GLOBAL__N_124unique_dim_cuda_templateIaEESt5tupleIJNSA_6TensorESF_SF_EERKSF_lbbbEUlllE_EE10hipError_tT0_T1_T2_jT3_P12ihipStream_tbPNSt15iterator_traitsISL_E10value_typeEPNSR_ISM_E10value_typeEPSN_NS1_7vsmem_tEENKUlT_SL_SM_SN_E_clIS8_S8_S9_S9_EESK_S10_SL_SM_SN_EUlS10_E1_NS1_11comp_targetILNS1_3genE0ELNS1_11target_archE4294967295ELNS1_3gpuE0ELNS1_3repE0EEENS1_36merge_oddeven_config_static_selectorELNS0_4arch9wavefront6targetE1EEEvSM_.has_recursion, 0
	.set _ZN7rocprim17ROCPRIM_400000_NS6detail17trampoline_kernelINS0_14default_configENS1_38merge_sort_block_merge_config_selectorIlNS0_10empty_typeEEEZZNS1_27merge_sort_block_merge_implIS3_PlPS5_mZN2at6native12_GLOBAL__N_124unique_dim_cuda_templateIaEESt5tupleIJNSA_6TensorESF_SF_EERKSF_lbbbEUlllE_EE10hipError_tT0_T1_T2_jT3_P12ihipStream_tbPNSt15iterator_traitsISL_E10value_typeEPNSR_ISM_E10value_typeEPSN_NS1_7vsmem_tEENKUlT_SL_SM_SN_E_clIS8_S8_S9_S9_EESK_S10_SL_SM_SN_EUlS10_E1_NS1_11comp_targetILNS1_3genE0ELNS1_11target_archE4294967295ELNS1_3gpuE0ELNS1_3repE0EEENS1_36merge_oddeven_config_static_selectorELNS0_4arch9wavefront6targetE1EEEvSM_.has_indirect_call, 0
	.section	.AMDGPU.csdata,"",@progbits
; Kernel info:
; codeLenInByte = 1692
; TotalNumSgprs: 50
; NumVgprs: 19
; NumAgprs: 0
; TotalNumVgprs: 19
; ScratchSize: 0
; MemoryBound: 0
; FloatMode: 240
; IeeeMode: 1
; LDSByteSize: 0 bytes/workgroup (compile time only)
; SGPRBlocks: 6
; VGPRBlocks: 2
; NumSGPRsForWavesPerEU: 50
; NumVGPRsForWavesPerEU: 19
; AccumOffset: 20
; Occupancy: 8
; WaveLimiterHint : 0
; COMPUTE_PGM_RSRC2:SCRATCH_EN: 0
; COMPUTE_PGM_RSRC2:USER_SGPR: 2
; COMPUTE_PGM_RSRC2:TRAP_HANDLER: 0
; COMPUTE_PGM_RSRC2:TGID_X_EN: 1
; COMPUTE_PGM_RSRC2:TGID_Y_EN: 0
; COMPUTE_PGM_RSRC2:TGID_Z_EN: 0
; COMPUTE_PGM_RSRC2:TIDIG_COMP_CNT: 0
; COMPUTE_PGM_RSRC3_GFX90A:ACCUM_OFFSET: 4
; COMPUTE_PGM_RSRC3_GFX90A:TG_SPLIT: 0
	.section	.text._ZN7rocprim17ROCPRIM_400000_NS6detail17trampoline_kernelINS0_14default_configENS1_38merge_sort_block_merge_config_selectorIlNS0_10empty_typeEEEZZNS1_27merge_sort_block_merge_implIS3_PlPS5_mZN2at6native12_GLOBAL__N_124unique_dim_cuda_templateIaEESt5tupleIJNSA_6TensorESF_SF_EERKSF_lbbbEUlllE_EE10hipError_tT0_T1_T2_jT3_P12ihipStream_tbPNSt15iterator_traitsISL_E10value_typeEPNSR_ISM_E10value_typeEPSN_NS1_7vsmem_tEENKUlT_SL_SM_SN_E_clIS8_S8_S9_S9_EESK_S10_SL_SM_SN_EUlS10_E1_NS1_11comp_targetILNS1_3genE10ELNS1_11target_archE1201ELNS1_3gpuE5ELNS1_3repE0EEENS1_36merge_oddeven_config_static_selectorELNS0_4arch9wavefront6targetE1EEEvSM_,"axG",@progbits,_ZN7rocprim17ROCPRIM_400000_NS6detail17trampoline_kernelINS0_14default_configENS1_38merge_sort_block_merge_config_selectorIlNS0_10empty_typeEEEZZNS1_27merge_sort_block_merge_implIS3_PlPS5_mZN2at6native12_GLOBAL__N_124unique_dim_cuda_templateIaEESt5tupleIJNSA_6TensorESF_SF_EERKSF_lbbbEUlllE_EE10hipError_tT0_T1_T2_jT3_P12ihipStream_tbPNSt15iterator_traitsISL_E10value_typeEPNSR_ISM_E10value_typeEPSN_NS1_7vsmem_tEENKUlT_SL_SM_SN_E_clIS8_S8_S9_S9_EESK_S10_SL_SM_SN_EUlS10_E1_NS1_11comp_targetILNS1_3genE10ELNS1_11target_archE1201ELNS1_3gpuE5ELNS1_3repE0EEENS1_36merge_oddeven_config_static_selectorELNS0_4arch9wavefront6targetE1EEEvSM_,comdat
	.globl	_ZN7rocprim17ROCPRIM_400000_NS6detail17trampoline_kernelINS0_14default_configENS1_38merge_sort_block_merge_config_selectorIlNS0_10empty_typeEEEZZNS1_27merge_sort_block_merge_implIS3_PlPS5_mZN2at6native12_GLOBAL__N_124unique_dim_cuda_templateIaEESt5tupleIJNSA_6TensorESF_SF_EERKSF_lbbbEUlllE_EE10hipError_tT0_T1_T2_jT3_P12ihipStream_tbPNSt15iterator_traitsISL_E10value_typeEPNSR_ISM_E10value_typeEPSN_NS1_7vsmem_tEENKUlT_SL_SM_SN_E_clIS8_S8_S9_S9_EESK_S10_SL_SM_SN_EUlS10_E1_NS1_11comp_targetILNS1_3genE10ELNS1_11target_archE1201ELNS1_3gpuE5ELNS1_3repE0EEENS1_36merge_oddeven_config_static_selectorELNS0_4arch9wavefront6targetE1EEEvSM_ ; -- Begin function _ZN7rocprim17ROCPRIM_400000_NS6detail17trampoline_kernelINS0_14default_configENS1_38merge_sort_block_merge_config_selectorIlNS0_10empty_typeEEEZZNS1_27merge_sort_block_merge_implIS3_PlPS5_mZN2at6native12_GLOBAL__N_124unique_dim_cuda_templateIaEESt5tupleIJNSA_6TensorESF_SF_EERKSF_lbbbEUlllE_EE10hipError_tT0_T1_T2_jT3_P12ihipStream_tbPNSt15iterator_traitsISL_E10value_typeEPNSR_ISM_E10value_typeEPSN_NS1_7vsmem_tEENKUlT_SL_SM_SN_E_clIS8_S8_S9_S9_EESK_S10_SL_SM_SN_EUlS10_E1_NS1_11comp_targetILNS1_3genE10ELNS1_11target_archE1201ELNS1_3gpuE5ELNS1_3repE0EEENS1_36merge_oddeven_config_static_selectorELNS0_4arch9wavefront6targetE1EEEvSM_
	.p2align	8
	.type	_ZN7rocprim17ROCPRIM_400000_NS6detail17trampoline_kernelINS0_14default_configENS1_38merge_sort_block_merge_config_selectorIlNS0_10empty_typeEEEZZNS1_27merge_sort_block_merge_implIS3_PlPS5_mZN2at6native12_GLOBAL__N_124unique_dim_cuda_templateIaEESt5tupleIJNSA_6TensorESF_SF_EERKSF_lbbbEUlllE_EE10hipError_tT0_T1_T2_jT3_P12ihipStream_tbPNSt15iterator_traitsISL_E10value_typeEPNSR_ISM_E10value_typeEPSN_NS1_7vsmem_tEENKUlT_SL_SM_SN_E_clIS8_S8_S9_S9_EESK_S10_SL_SM_SN_EUlS10_E1_NS1_11comp_targetILNS1_3genE10ELNS1_11target_archE1201ELNS1_3gpuE5ELNS1_3repE0EEENS1_36merge_oddeven_config_static_selectorELNS0_4arch9wavefront6targetE1EEEvSM_,@function
_ZN7rocprim17ROCPRIM_400000_NS6detail17trampoline_kernelINS0_14default_configENS1_38merge_sort_block_merge_config_selectorIlNS0_10empty_typeEEEZZNS1_27merge_sort_block_merge_implIS3_PlPS5_mZN2at6native12_GLOBAL__N_124unique_dim_cuda_templateIaEESt5tupleIJNSA_6TensorESF_SF_EERKSF_lbbbEUlllE_EE10hipError_tT0_T1_T2_jT3_P12ihipStream_tbPNSt15iterator_traitsISL_E10value_typeEPNSR_ISM_E10value_typeEPSN_NS1_7vsmem_tEENKUlT_SL_SM_SN_E_clIS8_S8_S9_S9_EESK_S10_SL_SM_SN_EUlS10_E1_NS1_11comp_targetILNS1_3genE10ELNS1_11target_archE1201ELNS1_3gpuE5ELNS1_3repE0EEENS1_36merge_oddeven_config_static_selectorELNS0_4arch9wavefront6targetE1EEEvSM_: ; @_ZN7rocprim17ROCPRIM_400000_NS6detail17trampoline_kernelINS0_14default_configENS1_38merge_sort_block_merge_config_selectorIlNS0_10empty_typeEEEZZNS1_27merge_sort_block_merge_implIS3_PlPS5_mZN2at6native12_GLOBAL__N_124unique_dim_cuda_templateIaEESt5tupleIJNSA_6TensorESF_SF_EERKSF_lbbbEUlllE_EE10hipError_tT0_T1_T2_jT3_P12ihipStream_tbPNSt15iterator_traitsISL_E10value_typeEPNSR_ISM_E10value_typeEPSN_NS1_7vsmem_tEENKUlT_SL_SM_SN_E_clIS8_S8_S9_S9_EESK_S10_SL_SM_SN_EUlS10_E1_NS1_11comp_targetILNS1_3genE10ELNS1_11target_archE1201ELNS1_3gpuE5ELNS1_3repE0EEENS1_36merge_oddeven_config_static_selectorELNS0_4arch9wavefront6targetE1EEEvSM_
; %bb.0:
	.section	.rodata,"a",@progbits
	.p2align	6, 0x0
	.amdhsa_kernel _ZN7rocprim17ROCPRIM_400000_NS6detail17trampoline_kernelINS0_14default_configENS1_38merge_sort_block_merge_config_selectorIlNS0_10empty_typeEEEZZNS1_27merge_sort_block_merge_implIS3_PlPS5_mZN2at6native12_GLOBAL__N_124unique_dim_cuda_templateIaEESt5tupleIJNSA_6TensorESF_SF_EERKSF_lbbbEUlllE_EE10hipError_tT0_T1_T2_jT3_P12ihipStream_tbPNSt15iterator_traitsISL_E10value_typeEPNSR_ISM_E10value_typeEPSN_NS1_7vsmem_tEENKUlT_SL_SM_SN_E_clIS8_S8_S9_S9_EESK_S10_SL_SM_SN_EUlS10_E1_NS1_11comp_targetILNS1_3genE10ELNS1_11target_archE1201ELNS1_3gpuE5ELNS1_3repE0EEENS1_36merge_oddeven_config_static_selectorELNS0_4arch9wavefront6targetE1EEEvSM_
		.amdhsa_group_segment_fixed_size 0
		.amdhsa_private_segment_fixed_size 0
		.amdhsa_kernarg_size 64
		.amdhsa_user_sgpr_count 2
		.amdhsa_user_sgpr_dispatch_ptr 0
		.amdhsa_user_sgpr_queue_ptr 0
		.amdhsa_user_sgpr_kernarg_segment_ptr 1
		.amdhsa_user_sgpr_dispatch_id 0
		.amdhsa_user_sgpr_kernarg_preload_length 0
		.amdhsa_user_sgpr_kernarg_preload_offset 0
		.amdhsa_user_sgpr_private_segment_size 0
		.amdhsa_uses_dynamic_stack 0
		.amdhsa_enable_private_segment 0
		.amdhsa_system_sgpr_workgroup_id_x 1
		.amdhsa_system_sgpr_workgroup_id_y 0
		.amdhsa_system_sgpr_workgroup_id_z 0
		.amdhsa_system_sgpr_workgroup_info 0
		.amdhsa_system_vgpr_workitem_id 0
		.amdhsa_next_free_vgpr 1
		.amdhsa_next_free_sgpr 0
		.amdhsa_accum_offset 4
		.amdhsa_reserve_vcc 0
		.amdhsa_float_round_mode_32 0
		.amdhsa_float_round_mode_16_64 0
		.amdhsa_float_denorm_mode_32 3
		.amdhsa_float_denorm_mode_16_64 3
		.amdhsa_dx10_clamp 1
		.amdhsa_ieee_mode 1
		.amdhsa_fp16_overflow 0
		.amdhsa_tg_split 0
		.amdhsa_exception_fp_ieee_invalid_op 0
		.amdhsa_exception_fp_denorm_src 0
		.amdhsa_exception_fp_ieee_div_zero 0
		.amdhsa_exception_fp_ieee_overflow 0
		.amdhsa_exception_fp_ieee_underflow 0
		.amdhsa_exception_fp_ieee_inexact 0
		.amdhsa_exception_int_div_zero 0
	.end_amdhsa_kernel
	.section	.text._ZN7rocprim17ROCPRIM_400000_NS6detail17trampoline_kernelINS0_14default_configENS1_38merge_sort_block_merge_config_selectorIlNS0_10empty_typeEEEZZNS1_27merge_sort_block_merge_implIS3_PlPS5_mZN2at6native12_GLOBAL__N_124unique_dim_cuda_templateIaEESt5tupleIJNSA_6TensorESF_SF_EERKSF_lbbbEUlllE_EE10hipError_tT0_T1_T2_jT3_P12ihipStream_tbPNSt15iterator_traitsISL_E10value_typeEPNSR_ISM_E10value_typeEPSN_NS1_7vsmem_tEENKUlT_SL_SM_SN_E_clIS8_S8_S9_S9_EESK_S10_SL_SM_SN_EUlS10_E1_NS1_11comp_targetILNS1_3genE10ELNS1_11target_archE1201ELNS1_3gpuE5ELNS1_3repE0EEENS1_36merge_oddeven_config_static_selectorELNS0_4arch9wavefront6targetE1EEEvSM_,"axG",@progbits,_ZN7rocprim17ROCPRIM_400000_NS6detail17trampoline_kernelINS0_14default_configENS1_38merge_sort_block_merge_config_selectorIlNS0_10empty_typeEEEZZNS1_27merge_sort_block_merge_implIS3_PlPS5_mZN2at6native12_GLOBAL__N_124unique_dim_cuda_templateIaEESt5tupleIJNSA_6TensorESF_SF_EERKSF_lbbbEUlllE_EE10hipError_tT0_T1_T2_jT3_P12ihipStream_tbPNSt15iterator_traitsISL_E10value_typeEPNSR_ISM_E10value_typeEPSN_NS1_7vsmem_tEENKUlT_SL_SM_SN_E_clIS8_S8_S9_S9_EESK_S10_SL_SM_SN_EUlS10_E1_NS1_11comp_targetILNS1_3genE10ELNS1_11target_archE1201ELNS1_3gpuE5ELNS1_3repE0EEENS1_36merge_oddeven_config_static_selectorELNS0_4arch9wavefront6targetE1EEEvSM_,comdat
.Lfunc_end287:
	.size	_ZN7rocprim17ROCPRIM_400000_NS6detail17trampoline_kernelINS0_14default_configENS1_38merge_sort_block_merge_config_selectorIlNS0_10empty_typeEEEZZNS1_27merge_sort_block_merge_implIS3_PlPS5_mZN2at6native12_GLOBAL__N_124unique_dim_cuda_templateIaEESt5tupleIJNSA_6TensorESF_SF_EERKSF_lbbbEUlllE_EE10hipError_tT0_T1_T2_jT3_P12ihipStream_tbPNSt15iterator_traitsISL_E10value_typeEPNSR_ISM_E10value_typeEPSN_NS1_7vsmem_tEENKUlT_SL_SM_SN_E_clIS8_S8_S9_S9_EESK_S10_SL_SM_SN_EUlS10_E1_NS1_11comp_targetILNS1_3genE10ELNS1_11target_archE1201ELNS1_3gpuE5ELNS1_3repE0EEENS1_36merge_oddeven_config_static_selectorELNS0_4arch9wavefront6targetE1EEEvSM_, .Lfunc_end287-_ZN7rocprim17ROCPRIM_400000_NS6detail17trampoline_kernelINS0_14default_configENS1_38merge_sort_block_merge_config_selectorIlNS0_10empty_typeEEEZZNS1_27merge_sort_block_merge_implIS3_PlPS5_mZN2at6native12_GLOBAL__N_124unique_dim_cuda_templateIaEESt5tupleIJNSA_6TensorESF_SF_EERKSF_lbbbEUlllE_EE10hipError_tT0_T1_T2_jT3_P12ihipStream_tbPNSt15iterator_traitsISL_E10value_typeEPNSR_ISM_E10value_typeEPSN_NS1_7vsmem_tEENKUlT_SL_SM_SN_E_clIS8_S8_S9_S9_EESK_S10_SL_SM_SN_EUlS10_E1_NS1_11comp_targetILNS1_3genE10ELNS1_11target_archE1201ELNS1_3gpuE5ELNS1_3repE0EEENS1_36merge_oddeven_config_static_selectorELNS0_4arch9wavefront6targetE1EEEvSM_
                                        ; -- End function
	.set _ZN7rocprim17ROCPRIM_400000_NS6detail17trampoline_kernelINS0_14default_configENS1_38merge_sort_block_merge_config_selectorIlNS0_10empty_typeEEEZZNS1_27merge_sort_block_merge_implIS3_PlPS5_mZN2at6native12_GLOBAL__N_124unique_dim_cuda_templateIaEESt5tupleIJNSA_6TensorESF_SF_EERKSF_lbbbEUlllE_EE10hipError_tT0_T1_T2_jT3_P12ihipStream_tbPNSt15iterator_traitsISL_E10value_typeEPNSR_ISM_E10value_typeEPSN_NS1_7vsmem_tEENKUlT_SL_SM_SN_E_clIS8_S8_S9_S9_EESK_S10_SL_SM_SN_EUlS10_E1_NS1_11comp_targetILNS1_3genE10ELNS1_11target_archE1201ELNS1_3gpuE5ELNS1_3repE0EEENS1_36merge_oddeven_config_static_selectorELNS0_4arch9wavefront6targetE1EEEvSM_.num_vgpr, 0
	.set _ZN7rocprim17ROCPRIM_400000_NS6detail17trampoline_kernelINS0_14default_configENS1_38merge_sort_block_merge_config_selectorIlNS0_10empty_typeEEEZZNS1_27merge_sort_block_merge_implIS3_PlPS5_mZN2at6native12_GLOBAL__N_124unique_dim_cuda_templateIaEESt5tupleIJNSA_6TensorESF_SF_EERKSF_lbbbEUlllE_EE10hipError_tT0_T1_T2_jT3_P12ihipStream_tbPNSt15iterator_traitsISL_E10value_typeEPNSR_ISM_E10value_typeEPSN_NS1_7vsmem_tEENKUlT_SL_SM_SN_E_clIS8_S8_S9_S9_EESK_S10_SL_SM_SN_EUlS10_E1_NS1_11comp_targetILNS1_3genE10ELNS1_11target_archE1201ELNS1_3gpuE5ELNS1_3repE0EEENS1_36merge_oddeven_config_static_selectorELNS0_4arch9wavefront6targetE1EEEvSM_.num_agpr, 0
	.set _ZN7rocprim17ROCPRIM_400000_NS6detail17trampoline_kernelINS0_14default_configENS1_38merge_sort_block_merge_config_selectorIlNS0_10empty_typeEEEZZNS1_27merge_sort_block_merge_implIS3_PlPS5_mZN2at6native12_GLOBAL__N_124unique_dim_cuda_templateIaEESt5tupleIJNSA_6TensorESF_SF_EERKSF_lbbbEUlllE_EE10hipError_tT0_T1_T2_jT3_P12ihipStream_tbPNSt15iterator_traitsISL_E10value_typeEPNSR_ISM_E10value_typeEPSN_NS1_7vsmem_tEENKUlT_SL_SM_SN_E_clIS8_S8_S9_S9_EESK_S10_SL_SM_SN_EUlS10_E1_NS1_11comp_targetILNS1_3genE10ELNS1_11target_archE1201ELNS1_3gpuE5ELNS1_3repE0EEENS1_36merge_oddeven_config_static_selectorELNS0_4arch9wavefront6targetE1EEEvSM_.numbered_sgpr, 0
	.set _ZN7rocprim17ROCPRIM_400000_NS6detail17trampoline_kernelINS0_14default_configENS1_38merge_sort_block_merge_config_selectorIlNS0_10empty_typeEEEZZNS1_27merge_sort_block_merge_implIS3_PlPS5_mZN2at6native12_GLOBAL__N_124unique_dim_cuda_templateIaEESt5tupleIJNSA_6TensorESF_SF_EERKSF_lbbbEUlllE_EE10hipError_tT0_T1_T2_jT3_P12ihipStream_tbPNSt15iterator_traitsISL_E10value_typeEPNSR_ISM_E10value_typeEPSN_NS1_7vsmem_tEENKUlT_SL_SM_SN_E_clIS8_S8_S9_S9_EESK_S10_SL_SM_SN_EUlS10_E1_NS1_11comp_targetILNS1_3genE10ELNS1_11target_archE1201ELNS1_3gpuE5ELNS1_3repE0EEENS1_36merge_oddeven_config_static_selectorELNS0_4arch9wavefront6targetE1EEEvSM_.num_named_barrier, 0
	.set _ZN7rocprim17ROCPRIM_400000_NS6detail17trampoline_kernelINS0_14default_configENS1_38merge_sort_block_merge_config_selectorIlNS0_10empty_typeEEEZZNS1_27merge_sort_block_merge_implIS3_PlPS5_mZN2at6native12_GLOBAL__N_124unique_dim_cuda_templateIaEESt5tupleIJNSA_6TensorESF_SF_EERKSF_lbbbEUlllE_EE10hipError_tT0_T1_T2_jT3_P12ihipStream_tbPNSt15iterator_traitsISL_E10value_typeEPNSR_ISM_E10value_typeEPSN_NS1_7vsmem_tEENKUlT_SL_SM_SN_E_clIS8_S8_S9_S9_EESK_S10_SL_SM_SN_EUlS10_E1_NS1_11comp_targetILNS1_3genE10ELNS1_11target_archE1201ELNS1_3gpuE5ELNS1_3repE0EEENS1_36merge_oddeven_config_static_selectorELNS0_4arch9wavefront6targetE1EEEvSM_.private_seg_size, 0
	.set _ZN7rocprim17ROCPRIM_400000_NS6detail17trampoline_kernelINS0_14default_configENS1_38merge_sort_block_merge_config_selectorIlNS0_10empty_typeEEEZZNS1_27merge_sort_block_merge_implIS3_PlPS5_mZN2at6native12_GLOBAL__N_124unique_dim_cuda_templateIaEESt5tupleIJNSA_6TensorESF_SF_EERKSF_lbbbEUlllE_EE10hipError_tT0_T1_T2_jT3_P12ihipStream_tbPNSt15iterator_traitsISL_E10value_typeEPNSR_ISM_E10value_typeEPSN_NS1_7vsmem_tEENKUlT_SL_SM_SN_E_clIS8_S8_S9_S9_EESK_S10_SL_SM_SN_EUlS10_E1_NS1_11comp_targetILNS1_3genE10ELNS1_11target_archE1201ELNS1_3gpuE5ELNS1_3repE0EEENS1_36merge_oddeven_config_static_selectorELNS0_4arch9wavefront6targetE1EEEvSM_.uses_vcc, 0
	.set _ZN7rocprim17ROCPRIM_400000_NS6detail17trampoline_kernelINS0_14default_configENS1_38merge_sort_block_merge_config_selectorIlNS0_10empty_typeEEEZZNS1_27merge_sort_block_merge_implIS3_PlPS5_mZN2at6native12_GLOBAL__N_124unique_dim_cuda_templateIaEESt5tupleIJNSA_6TensorESF_SF_EERKSF_lbbbEUlllE_EE10hipError_tT0_T1_T2_jT3_P12ihipStream_tbPNSt15iterator_traitsISL_E10value_typeEPNSR_ISM_E10value_typeEPSN_NS1_7vsmem_tEENKUlT_SL_SM_SN_E_clIS8_S8_S9_S9_EESK_S10_SL_SM_SN_EUlS10_E1_NS1_11comp_targetILNS1_3genE10ELNS1_11target_archE1201ELNS1_3gpuE5ELNS1_3repE0EEENS1_36merge_oddeven_config_static_selectorELNS0_4arch9wavefront6targetE1EEEvSM_.uses_flat_scratch, 0
	.set _ZN7rocprim17ROCPRIM_400000_NS6detail17trampoline_kernelINS0_14default_configENS1_38merge_sort_block_merge_config_selectorIlNS0_10empty_typeEEEZZNS1_27merge_sort_block_merge_implIS3_PlPS5_mZN2at6native12_GLOBAL__N_124unique_dim_cuda_templateIaEESt5tupleIJNSA_6TensorESF_SF_EERKSF_lbbbEUlllE_EE10hipError_tT0_T1_T2_jT3_P12ihipStream_tbPNSt15iterator_traitsISL_E10value_typeEPNSR_ISM_E10value_typeEPSN_NS1_7vsmem_tEENKUlT_SL_SM_SN_E_clIS8_S8_S9_S9_EESK_S10_SL_SM_SN_EUlS10_E1_NS1_11comp_targetILNS1_3genE10ELNS1_11target_archE1201ELNS1_3gpuE5ELNS1_3repE0EEENS1_36merge_oddeven_config_static_selectorELNS0_4arch9wavefront6targetE1EEEvSM_.has_dyn_sized_stack, 0
	.set _ZN7rocprim17ROCPRIM_400000_NS6detail17trampoline_kernelINS0_14default_configENS1_38merge_sort_block_merge_config_selectorIlNS0_10empty_typeEEEZZNS1_27merge_sort_block_merge_implIS3_PlPS5_mZN2at6native12_GLOBAL__N_124unique_dim_cuda_templateIaEESt5tupleIJNSA_6TensorESF_SF_EERKSF_lbbbEUlllE_EE10hipError_tT0_T1_T2_jT3_P12ihipStream_tbPNSt15iterator_traitsISL_E10value_typeEPNSR_ISM_E10value_typeEPSN_NS1_7vsmem_tEENKUlT_SL_SM_SN_E_clIS8_S8_S9_S9_EESK_S10_SL_SM_SN_EUlS10_E1_NS1_11comp_targetILNS1_3genE10ELNS1_11target_archE1201ELNS1_3gpuE5ELNS1_3repE0EEENS1_36merge_oddeven_config_static_selectorELNS0_4arch9wavefront6targetE1EEEvSM_.has_recursion, 0
	.set _ZN7rocprim17ROCPRIM_400000_NS6detail17trampoline_kernelINS0_14default_configENS1_38merge_sort_block_merge_config_selectorIlNS0_10empty_typeEEEZZNS1_27merge_sort_block_merge_implIS3_PlPS5_mZN2at6native12_GLOBAL__N_124unique_dim_cuda_templateIaEESt5tupleIJNSA_6TensorESF_SF_EERKSF_lbbbEUlllE_EE10hipError_tT0_T1_T2_jT3_P12ihipStream_tbPNSt15iterator_traitsISL_E10value_typeEPNSR_ISM_E10value_typeEPSN_NS1_7vsmem_tEENKUlT_SL_SM_SN_E_clIS8_S8_S9_S9_EESK_S10_SL_SM_SN_EUlS10_E1_NS1_11comp_targetILNS1_3genE10ELNS1_11target_archE1201ELNS1_3gpuE5ELNS1_3repE0EEENS1_36merge_oddeven_config_static_selectorELNS0_4arch9wavefront6targetE1EEEvSM_.has_indirect_call, 0
	.section	.AMDGPU.csdata,"",@progbits
; Kernel info:
; codeLenInByte = 0
; TotalNumSgprs: 6
; NumVgprs: 0
; NumAgprs: 0
; TotalNumVgprs: 0
; ScratchSize: 0
; MemoryBound: 0
; FloatMode: 240
; IeeeMode: 1
; LDSByteSize: 0 bytes/workgroup (compile time only)
; SGPRBlocks: 0
; VGPRBlocks: 0
; NumSGPRsForWavesPerEU: 6
; NumVGPRsForWavesPerEU: 1
; AccumOffset: 4
; Occupancy: 8
; WaveLimiterHint : 0
; COMPUTE_PGM_RSRC2:SCRATCH_EN: 0
; COMPUTE_PGM_RSRC2:USER_SGPR: 2
; COMPUTE_PGM_RSRC2:TRAP_HANDLER: 0
; COMPUTE_PGM_RSRC2:TGID_X_EN: 1
; COMPUTE_PGM_RSRC2:TGID_Y_EN: 0
; COMPUTE_PGM_RSRC2:TGID_Z_EN: 0
; COMPUTE_PGM_RSRC2:TIDIG_COMP_CNT: 0
; COMPUTE_PGM_RSRC3_GFX90A:ACCUM_OFFSET: 0
; COMPUTE_PGM_RSRC3_GFX90A:TG_SPLIT: 0
	.section	.text._ZN7rocprim17ROCPRIM_400000_NS6detail17trampoline_kernelINS0_14default_configENS1_38merge_sort_block_merge_config_selectorIlNS0_10empty_typeEEEZZNS1_27merge_sort_block_merge_implIS3_PlPS5_mZN2at6native12_GLOBAL__N_124unique_dim_cuda_templateIaEESt5tupleIJNSA_6TensorESF_SF_EERKSF_lbbbEUlllE_EE10hipError_tT0_T1_T2_jT3_P12ihipStream_tbPNSt15iterator_traitsISL_E10value_typeEPNSR_ISM_E10value_typeEPSN_NS1_7vsmem_tEENKUlT_SL_SM_SN_E_clIS8_S8_S9_S9_EESK_S10_SL_SM_SN_EUlS10_E1_NS1_11comp_targetILNS1_3genE5ELNS1_11target_archE942ELNS1_3gpuE9ELNS1_3repE0EEENS1_36merge_oddeven_config_static_selectorELNS0_4arch9wavefront6targetE1EEEvSM_,"axG",@progbits,_ZN7rocprim17ROCPRIM_400000_NS6detail17trampoline_kernelINS0_14default_configENS1_38merge_sort_block_merge_config_selectorIlNS0_10empty_typeEEEZZNS1_27merge_sort_block_merge_implIS3_PlPS5_mZN2at6native12_GLOBAL__N_124unique_dim_cuda_templateIaEESt5tupleIJNSA_6TensorESF_SF_EERKSF_lbbbEUlllE_EE10hipError_tT0_T1_T2_jT3_P12ihipStream_tbPNSt15iterator_traitsISL_E10value_typeEPNSR_ISM_E10value_typeEPSN_NS1_7vsmem_tEENKUlT_SL_SM_SN_E_clIS8_S8_S9_S9_EESK_S10_SL_SM_SN_EUlS10_E1_NS1_11comp_targetILNS1_3genE5ELNS1_11target_archE942ELNS1_3gpuE9ELNS1_3repE0EEENS1_36merge_oddeven_config_static_selectorELNS0_4arch9wavefront6targetE1EEEvSM_,comdat
	.globl	_ZN7rocprim17ROCPRIM_400000_NS6detail17trampoline_kernelINS0_14default_configENS1_38merge_sort_block_merge_config_selectorIlNS0_10empty_typeEEEZZNS1_27merge_sort_block_merge_implIS3_PlPS5_mZN2at6native12_GLOBAL__N_124unique_dim_cuda_templateIaEESt5tupleIJNSA_6TensorESF_SF_EERKSF_lbbbEUlllE_EE10hipError_tT0_T1_T2_jT3_P12ihipStream_tbPNSt15iterator_traitsISL_E10value_typeEPNSR_ISM_E10value_typeEPSN_NS1_7vsmem_tEENKUlT_SL_SM_SN_E_clIS8_S8_S9_S9_EESK_S10_SL_SM_SN_EUlS10_E1_NS1_11comp_targetILNS1_3genE5ELNS1_11target_archE942ELNS1_3gpuE9ELNS1_3repE0EEENS1_36merge_oddeven_config_static_selectorELNS0_4arch9wavefront6targetE1EEEvSM_ ; -- Begin function _ZN7rocprim17ROCPRIM_400000_NS6detail17trampoline_kernelINS0_14default_configENS1_38merge_sort_block_merge_config_selectorIlNS0_10empty_typeEEEZZNS1_27merge_sort_block_merge_implIS3_PlPS5_mZN2at6native12_GLOBAL__N_124unique_dim_cuda_templateIaEESt5tupleIJNSA_6TensorESF_SF_EERKSF_lbbbEUlllE_EE10hipError_tT0_T1_T2_jT3_P12ihipStream_tbPNSt15iterator_traitsISL_E10value_typeEPNSR_ISM_E10value_typeEPSN_NS1_7vsmem_tEENKUlT_SL_SM_SN_E_clIS8_S8_S9_S9_EESK_S10_SL_SM_SN_EUlS10_E1_NS1_11comp_targetILNS1_3genE5ELNS1_11target_archE942ELNS1_3gpuE9ELNS1_3repE0EEENS1_36merge_oddeven_config_static_selectorELNS0_4arch9wavefront6targetE1EEEvSM_
	.p2align	8
	.type	_ZN7rocprim17ROCPRIM_400000_NS6detail17trampoline_kernelINS0_14default_configENS1_38merge_sort_block_merge_config_selectorIlNS0_10empty_typeEEEZZNS1_27merge_sort_block_merge_implIS3_PlPS5_mZN2at6native12_GLOBAL__N_124unique_dim_cuda_templateIaEESt5tupleIJNSA_6TensorESF_SF_EERKSF_lbbbEUlllE_EE10hipError_tT0_T1_T2_jT3_P12ihipStream_tbPNSt15iterator_traitsISL_E10value_typeEPNSR_ISM_E10value_typeEPSN_NS1_7vsmem_tEENKUlT_SL_SM_SN_E_clIS8_S8_S9_S9_EESK_S10_SL_SM_SN_EUlS10_E1_NS1_11comp_targetILNS1_3genE5ELNS1_11target_archE942ELNS1_3gpuE9ELNS1_3repE0EEENS1_36merge_oddeven_config_static_selectorELNS0_4arch9wavefront6targetE1EEEvSM_,@function
_ZN7rocprim17ROCPRIM_400000_NS6detail17trampoline_kernelINS0_14default_configENS1_38merge_sort_block_merge_config_selectorIlNS0_10empty_typeEEEZZNS1_27merge_sort_block_merge_implIS3_PlPS5_mZN2at6native12_GLOBAL__N_124unique_dim_cuda_templateIaEESt5tupleIJNSA_6TensorESF_SF_EERKSF_lbbbEUlllE_EE10hipError_tT0_T1_T2_jT3_P12ihipStream_tbPNSt15iterator_traitsISL_E10value_typeEPNSR_ISM_E10value_typeEPSN_NS1_7vsmem_tEENKUlT_SL_SM_SN_E_clIS8_S8_S9_S9_EESK_S10_SL_SM_SN_EUlS10_E1_NS1_11comp_targetILNS1_3genE5ELNS1_11target_archE942ELNS1_3gpuE9ELNS1_3repE0EEENS1_36merge_oddeven_config_static_selectorELNS0_4arch9wavefront6targetE1EEEvSM_: ; @_ZN7rocprim17ROCPRIM_400000_NS6detail17trampoline_kernelINS0_14default_configENS1_38merge_sort_block_merge_config_selectorIlNS0_10empty_typeEEEZZNS1_27merge_sort_block_merge_implIS3_PlPS5_mZN2at6native12_GLOBAL__N_124unique_dim_cuda_templateIaEESt5tupleIJNSA_6TensorESF_SF_EERKSF_lbbbEUlllE_EE10hipError_tT0_T1_T2_jT3_P12ihipStream_tbPNSt15iterator_traitsISL_E10value_typeEPNSR_ISM_E10value_typeEPSN_NS1_7vsmem_tEENKUlT_SL_SM_SN_E_clIS8_S8_S9_S9_EESK_S10_SL_SM_SN_EUlS10_E1_NS1_11comp_targetILNS1_3genE5ELNS1_11target_archE942ELNS1_3gpuE9ELNS1_3repE0EEENS1_36merge_oddeven_config_static_selectorELNS0_4arch9wavefront6targetE1EEEvSM_
; %bb.0:
	.section	.rodata,"a",@progbits
	.p2align	6, 0x0
	.amdhsa_kernel _ZN7rocprim17ROCPRIM_400000_NS6detail17trampoline_kernelINS0_14default_configENS1_38merge_sort_block_merge_config_selectorIlNS0_10empty_typeEEEZZNS1_27merge_sort_block_merge_implIS3_PlPS5_mZN2at6native12_GLOBAL__N_124unique_dim_cuda_templateIaEESt5tupleIJNSA_6TensorESF_SF_EERKSF_lbbbEUlllE_EE10hipError_tT0_T1_T2_jT3_P12ihipStream_tbPNSt15iterator_traitsISL_E10value_typeEPNSR_ISM_E10value_typeEPSN_NS1_7vsmem_tEENKUlT_SL_SM_SN_E_clIS8_S8_S9_S9_EESK_S10_SL_SM_SN_EUlS10_E1_NS1_11comp_targetILNS1_3genE5ELNS1_11target_archE942ELNS1_3gpuE9ELNS1_3repE0EEENS1_36merge_oddeven_config_static_selectorELNS0_4arch9wavefront6targetE1EEEvSM_
		.amdhsa_group_segment_fixed_size 0
		.amdhsa_private_segment_fixed_size 0
		.amdhsa_kernarg_size 64
		.amdhsa_user_sgpr_count 2
		.amdhsa_user_sgpr_dispatch_ptr 0
		.amdhsa_user_sgpr_queue_ptr 0
		.amdhsa_user_sgpr_kernarg_segment_ptr 1
		.amdhsa_user_sgpr_dispatch_id 0
		.amdhsa_user_sgpr_kernarg_preload_length 0
		.amdhsa_user_sgpr_kernarg_preload_offset 0
		.amdhsa_user_sgpr_private_segment_size 0
		.amdhsa_uses_dynamic_stack 0
		.amdhsa_enable_private_segment 0
		.amdhsa_system_sgpr_workgroup_id_x 1
		.amdhsa_system_sgpr_workgroup_id_y 0
		.amdhsa_system_sgpr_workgroup_id_z 0
		.amdhsa_system_sgpr_workgroup_info 0
		.amdhsa_system_vgpr_workitem_id 0
		.amdhsa_next_free_vgpr 1
		.amdhsa_next_free_sgpr 0
		.amdhsa_accum_offset 4
		.amdhsa_reserve_vcc 0
		.amdhsa_float_round_mode_32 0
		.amdhsa_float_round_mode_16_64 0
		.amdhsa_float_denorm_mode_32 3
		.amdhsa_float_denorm_mode_16_64 3
		.amdhsa_dx10_clamp 1
		.amdhsa_ieee_mode 1
		.amdhsa_fp16_overflow 0
		.amdhsa_tg_split 0
		.amdhsa_exception_fp_ieee_invalid_op 0
		.amdhsa_exception_fp_denorm_src 0
		.amdhsa_exception_fp_ieee_div_zero 0
		.amdhsa_exception_fp_ieee_overflow 0
		.amdhsa_exception_fp_ieee_underflow 0
		.amdhsa_exception_fp_ieee_inexact 0
		.amdhsa_exception_int_div_zero 0
	.end_amdhsa_kernel
	.section	.text._ZN7rocprim17ROCPRIM_400000_NS6detail17trampoline_kernelINS0_14default_configENS1_38merge_sort_block_merge_config_selectorIlNS0_10empty_typeEEEZZNS1_27merge_sort_block_merge_implIS3_PlPS5_mZN2at6native12_GLOBAL__N_124unique_dim_cuda_templateIaEESt5tupleIJNSA_6TensorESF_SF_EERKSF_lbbbEUlllE_EE10hipError_tT0_T1_T2_jT3_P12ihipStream_tbPNSt15iterator_traitsISL_E10value_typeEPNSR_ISM_E10value_typeEPSN_NS1_7vsmem_tEENKUlT_SL_SM_SN_E_clIS8_S8_S9_S9_EESK_S10_SL_SM_SN_EUlS10_E1_NS1_11comp_targetILNS1_3genE5ELNS1_11target_archE942ELNS1_3gpuE9ELNS1_3repE0EEENS1_36merge_oddeven_config_static_selectorELNS0_4arch9wavefront6targetE1EEEvSM_,"axG",@progbits,_ZN7rocprim17ROCPRIM_400000_NS6detail17trampoline_kernelINS0_14default_configENS1_38merge_sort_block_merge_config_selectorIlNS0_10empty_typeEEEZZNS1_27merge_sort_block_merge_implIS3_PlPS5_mZN2at6native12_GLOBAL__N_124unique_dim_cuda_templateIaEESt5tupleIJNSA_6TensorESF_SF_EERKSF_lbbbEUlllE_EE10hipError_tT0_T1_T2_jT3_P12ihipStream_tbPNSt15iterator_traitsISL_E10value_typeEPNSR_ISM_E10value_typeEPSN_NS1_7vsmem_tEENKUlT_SL_SM_SN_E_clIS8_S8_S9_S9_EESK_S10_SL_SM_SN_EUlS10_E1_NS1_11comp_targetILNS1_3genE5ELNS1_11target_archE942ELNS1_3gpuE9ELNS1_3repE0EEENS1_36merge_oddeven_config_static_selectorELNS0_4arch9wavefront6targetE1EEEvSM_,comdat
.Lfunc_end288:
	.size	_ZN7rocprim17ROCPRIM_400000_NS6detail17trampoline_kernelINS0_14default_configENS1_38merge_sort_block_merge_config_selectorIlNS0_10empty_typeEEEZZNS1_27merge_sort_block_merge_implIS3_PlPS5_mZN2at6native12_GLOBAL__N_124unique_dim_cuda_templateIaEESt5tupleIJNSA_6TensorESF_SF_EERKSF_lbbbEUlllE_EE10hipError_tT0_T1_T2_jT3_P12ihipStream_tbPNSt15iterator_traitsISL_E10value_typeEPNSR_ISM_E10value_typeEPSN_NS1_7vsmem_tEENKUlT_SL_SM_SN_E_clIS8_S8_S9_S9_EESK_S10_SL_SM_SN_EUlS10_E1_NS1_11comp_targetILNS1_3genE5ELNS1_11target_archE942ELNS1_3gpuE9ELNS1_3repE0EEENS1_36merge_oddeven_config_static_selectorELNS0_4arch9wavefront6targetE1EEEvSM_, .Lfunc_end288-_ZN7rocprim17ROCPRIM_400000_NS6detail17trampoline_kernelINS0_14default_configENS1_38merge_sort_block_merge_config_selectorIlNS0_10empty_typeEEEZZNS1_27merge_sort_block_merge_implIS3_PlPS5_mZN2at6native12_GLOBAL__N_124unique_dim_cuda_templateIaEESt5tupleIJNSA_6TensorESF_SF_EERKSF_lbbbEUlllE_EE10hipError_tT0_T1_T2_jT3_P12ihipStream_tbPNSt15iterator_traitsISL_E10value_typeEPNSR_ISM_E10value_typeEPSN_NS1_7vsmem_tEENKUlT_SL_SM_SN_E_clIS8_S8_S9_S9_EESK_S10_SL_SM_SN_EUlS10_E1_NS1_11comp_targetILNS1_3genE5ELNS1_11target_archE942ELNS1_3gpuE9ELNS1_3repE0EEENS1_36merge_oddeven_config_static_selectorELNS0_4arch9wavefront6targetE1EEEvSM_
                                        ; -- End function
	.set _ZN7rocprim17ROCPRIM_400000_NS6detail17trampoline_kernelINS0_14default_configENS1_38merge_sort_block_merge_config_selectorIlNS0_10empty_typeEEEZZNS1_27merge_sort_block_merge_implIS3_PlPS5_mZN2at6native12_GLOBAL__N_124unique_dim_cuda_templateIaEESt5tupleIJNSA_6TensorESF_SF_EERKSF_lbbbEUlllE_EE10hipError_tT0_T1_T2_jT3_P12ihipStream_tbPNSt15iterator_traitsISL_E10value_typeEPNSR_ISM_E10value_typeEPSN_NS1_7vsmem_tEENKUlT_SL_SM_SN_E_clIS8_S8_S9_S9_EESK_S10_SL_SM_SN_EUlS10_E1_NS1_11comp_targetILNS1_3genE5ELNS1_11target_archE942ELNS1_3gpuE9ELNS1_3repE0EEENS1_36merge_oddeven_config_static_selectorELNS0_4arch9wavefront6targetE1EEEvSM_.num_vgpr, 0
	.set _ZN7rocprim17ROCPRIM_400000_NS6detail17trampoline_kernelINS0_14default_configENS1_38merge_sort_block_merge_config_selectorIlNS0_10empty_typeEEEZZNS1_27merge_sort_block_merge_implIS3_PlPS5_mZN2at6native12_GLOBAL__N_124unique_dim_cuda_templateIaEESt5tupleIJNSA_6TensorESF_SF_EERKSF_lbbbEUlllE_EE10hipError_tT0_T1_T2_jT3_P12ihipStream_tbPNSt15iterator_traitsISL_E10value_typeEPNSR_ISM_E10value_typeEPSN_NS1_7vsmem_tEENKUlT_SL_SM_SN_E_clIS8_S8_S9_S9_EESK_S10_SL_SM_SN_EUlS10_E1_NS1_11comp_targetILNS1_3genE5ELNS1_11target_archE942ELNS1_3gpuE9ELNS1_3repE0EEENS1_36merge_oddeven_config_static_selectorELNS0_4arch9wavefront6targetE1EEEvSM_.num_agpr, 0
	.set _ZN7rocprim17ROCPRIM_400000_NS6detail17trampoline_kernelINS0_14default_configENS1_38merge_sort_block_merge_config_selectorIlNS0_10empty_typeEEEZZNS1_27merge_sort_block_merge_implIS3_PlPS5_mZN2at6native12_GLOBAL__N_124unique_dim_cuda_templateIaEESt5tupleIJNSA_6TensorESF_SF_EERKSF_lbbbEUlllE_EE10hipError_tT0_T1_T2_jT3_P12ihipStream_tbPNSt15iterator_traitsISL_E10value_typeEPNSR_ISM_E10value_typeEPSN_NS1_7vsmem_tEENKUlT_SL_SM_SN_E_clIS8_S8_S9_S9_EESK_S10_SL_SM_SN_EUlS10_E1_NS1_11comp_targetILNS1_3genE5ELNS1_11target_archE942ELNS1_3gpuE9ELNS1_3repE0EEENS1_36merge_oddeven_config_static_selectorELNS0_4arch9wavefront6targetE1EEEvSM_.numbered_sgpr, 0
	.set _ZN7rocprim17ROCPRIM_400000_NS6detail17trampoline_kernelINS0_14default_configENS1_38merge_sort_block_merge_config_selectorIlNS0_10empty_typeEEEZZNS1_27merge_sort_block_merge_implIS3_PlPS5_mZN2at6native12_GLOBAL__N_124unique_dim_cuda_templateIaEESt5tupleIJNSA_6TensorESF_SF_EERKSF_lbbbEUlllE_EE10hipError_tT0_T1_T2_jT3_P12ihipStream_tbPNSt15iterator_traitsISL_E10value_typeEPNSR_ISM_E10value_typeEPSN_NS1_7vsmem_tEENKUlT_SL_SM_SN_E_clIS8_S8_S9_S9_EESK_S10_SL_SM_SN_EUlS10_E1_NS1_11comp_targetILNS1_3genE5ELNS1_11target_archE942ELNS1_3gpuE9ELNS1_3repE0EEENS1_36merge_oddeven_config_static_selectorELNS0_4arch9wavefront6targetE1EEEvSM_.num_named_barrier, 0
	.set _ZN7rocprim17ROCPRIM_400000_NS6detail17trampoline_kernelINS0_14default_configENS1_38merge_sort_block_merge_config_selectorIlNS0_10empty_typeEEEZZNS1_27merge_sort_block_merge_implIS3_PlPS5_mZN2at6native12_GLOBAL__N_124unique_dim_cuda_templateIaEESt5tupleIJNSA_6TensorESF_SF_EERKSF_lbbbEUlllE_EE10hipError_tT0_T1_T2_jT3_P12ihipStream_tbPNSt15iterator_traitsISL_E10value_typeEPNSR_ISM_E10value_typeEPSN_NS1_7vsmem_tEENKUlT_SL_SM_SN_E_clIS8_S8_S9_S9_EESK_S10_SL_SM_SN_EUlS10_E1_NS1_11comp_targetILNS1_3genE5ELNS1_11target_archE942ELNS1_3gpuE9ELNS1_3repE0EEENS1_36merge_oddeven_config_static_selectorELNS0_4arch9wavefront6targetE1EEEvSM_.private_seg_size, 0
	.set _ZN7rocprim17ROCPRIM_400000_NS6detail17trampoline_kernelINS0_14default_configENS1_38merge_sort_block_merge_config_selectorIlNS0_10empty_typeEEEZZNS1_27merge_sort_block_merge_implIS3_PlPS5_mZN2at6native12_GLOBAL__N_124unique_dim_cuda_templateIaEESt5tupleIJNSA_6TensorESF_SF_EERKSF_lbbbEUlllE_EE10hipError_tT0_T1_T2_jT3_P12ihipStream_tbPNSt15iterator_traitsISL_E10value_typeEPNSR_ISM_E10value_typeEPSN_NS1_7vsmem_tEENKUlT_SL_SM_SN_E_clIS8_S8_S9_S9_EESK_S10_SL_SM_SN_EUlS10_E1_NS1_11comp_targetILNS1_3genE5ELNS1_11target_archE942ELNS1_3gpuE9ELNS1_3repE0EEENS1_36merge_oddeven_config_static_selectorELNS0_4arch9wavefront6targetE1EEEvSM_.uses_vcc, 0
	.set _ZN7rocprim17ROCPRIM_400000_NS6detail17trampoline_kernelINS0_14default_configENS1_38merge_sort_block_merge_config_selectorIlNS0_10empty_typeEEEZZNS1_27merge_sort_block_merge_implIS3_PlPS5_mZN2at6native12_GLOBAL__N_124unique_dim_cuda_templateIaEESt5tupleIJNSA_6TensorESF_SF_EERKSF_lbbbEUlllE_EE10hipError_tT0_T1_T2_jT3_P12ihipStream_tbPNSt15iterator_traitsISL_E10value_typeEPNSR_ISM_E10value_typeEPSN_NS1_7vsmem_tEENKUlT_SL_SM_SN_E_clIS8_S8_S9_S9_EESK_S10_SL_SM_SN_EUlS10_E1_NS1_11comp_targetILNS1_3genE5ELNS1_11target_archE942ELNS1_3gpuE9ELNS1_3repE0EEENS1_36merge_oddeven_config_static_selectorELNS0_4arch9wavefront6targetE1EEEvSM_.uses_flat_scratch, 0
	.set _ZN7rocprim17ROCPRIM_400000_NS6detail17trampoline_kernelINS0_14default_configENS1_38merge_sort_block_merge_config_selectorIlNS0_10empty_typeEEEZZNS1_27merge_sort_block_merge_implIS3_PlPS5_mZN2at6native12_GLOBAL__N_124unique_dim_cuda_templateIaEESt5tupleIJNSA_6TensorESF_SF_EERKSF_lbbbEUlllE_EE10hipError_tT0_T1_T2_jT3_P12ihipStream_tbPNSt15iterator_traitsISL_E10value_typeEPNSR_ISM_E10value_typeEPSN_NS1_7vsmem_tEENKUlT_SL_SM_SN_E_clIS8_S8_S9_S9_EESK_S10_SL_SM_SN_EUlS10_E1_NS1_11comp_targetILNS1_3genE5ELNS1_11target_archE942ELNS1_3gpuE9ELNS1_3repE0EEENS1_36merge_oddeven_config_static_selectorELNS0_4arch9wavefront6targetE1EEEvSM_.has_dyn_sized_stack, 0
	.set _ZN7rocprim17ROCPRIM_400000_NS6detail17trampoline_kernelINS0_14default_configENS1_38merge_sort_block_merge_config_selectorIlNS0_10empty_typeEEEZZNS1_27merge_sort_block_merge_implIS3_PlPS5_mZN2at6native12_GLOBAL__N_124unique_dim_cuda_templateIaEESt5tupleIJNSA_6TensorESF_SF_EERKSF_lbbbEUlllE_EE10hipError_tT0_T1_T2_jT3_P12ihipStream_tbPNSt15iterator_traitsISL_E10value_typeEPNSR_ISM_E10value_typeEPSN_NS1_7vsmem_tEENKUlT_SL_SM_SN_E_clIS8_S8_S9_S9_EESK_S10_SL_SM_SN_EUlS10_E1_NS1_11comp_targetILNS1_3genE5ELNS1_11target_archE942ELNS1_3gpuE9ELNS1_3repE0EEENS1_36merge_oddeven_config_static_selectorELNS0_4arch9wavefront6targetE1EEEvSM_.has_recursion, 0
	.set _ZN7rocprim17ROCPRIM_400000_NS6detail17trampoline_kernelINS0_14default_configENS1_38merge_sort_block_merge_config_selectorIlNS0_10empty_typeEEEZZNS1_27merge_sort_block_merge_implIS3_PlPS5_mZN2at6native12_GLOBAL__N_124unique_dim_cuda_templateIaEESt5tupleIJNSA_6TensorESF_SF_EERKSF_lbbbEUlllE_EE10hipError_tT0_T1_T2_jT3_P12ihipStream_tbPNSt15iterator_traitsISL_E10value_typeEPNSR_ISM_E10value_typeEPSN_NS1_7vsmem_tEENKUlT_SL_SM_SN_E_clIS8_S8_S9_S9_EESK_S10_SL_SM_SN_EUlS10_E1_NS1_11comp_targetILNS1_3genE5ELNS1_11target_archE942ELNS1_3gpuE9ELNS1_3repE0EEENS1_36merge_oddeven_config_static_selectorELNS0_4arch9wavefront6targetE1EEEvSM_.has_indirect_call, 0
	.section	.AMDGPU.csdata,"",@progbits
; Kernel info:
; codeLenInByte = 0
; TotalNumSgprs: 6
; NumVgprs: 0
; NumAgprs: 0
; TotalNumVgprs: 0
; ScratchSize: 0
; MemoryBound: 0
; FloatMode: 240
; IeeeMode: 1
; LDSByteSize: 0 bytes/workgroup (compile time only)
; SGPRBlocks: 0
; VGPRBlocks: 0
; NumSGPRsForWavesPerEU: 6
; NumVGPRsForWavesPerEU: 1
; AccumOffset: 4
; Occupancy: 8
; WaveLimiterHint : 0
; COMPUTE_PGM_RSRC2:SCRATCH_EN: 0
; COMPUTE_PGM_RSRC2:USER_SGPR: 2
; COMPUTE_PGM_RSRC2:TRAP_HANDLER: 0
; COMPUTE_PGM_RSRC2:TGID_X_EN: 1
; COMPUTE_PGM_RSRC2:TGID_Y_EN: 0
; COMPUTE_PGM_RSRC2:TGID_Z_EN: 0
; COMPUTE_PGM_RSRC2:TIDIG_COMP_CNT: 0
; COMPUTE_PGM_RSRC3_GFX90A:ACCUM_OFFSET: 0
; COMPUTE_PGM_RSRC3_GFX90A:TG_SPLIT: 0
	.section	.text._ZN7rocprim17ROCPRIM_400000_NS6detail17trampoline_kernelINS0_14default_configENS1_38merge_sort_block_merge_config_selectorIlNS0_10empty_typeEEEZZNS1_27merge_sort_block_merge_implIS3_PlPS5_mZN2at6native12_GLOBAL__N_124unique_dim_cuda_templateIaEESt5tupleIJNSA_6TensorESF_SF_EERKSF_lbbbEUlllE_EE10hipError_tT0_T1_T2_jT3_P12ihipStream_tbPNSt15iterator_traitsISL_E10value_typeEPNSR_ISM_E10value_typeEPSN_NS1_7vsmem_tEENKUlT_SL_SM_SN_E_clIS8_S8_S9_S9_EESK_S10_SL_SM_SN_EUlS10_E1_NS1_11comp_targetILNS1_3genE4ELNS1_11target_archE910ELNS1_3gpuE8ELNS1_3repE0EEENS1_36merge_oddeven_config_static_selectorELNS0_4arch9wavefront6targetE1EEEvSM_,"axG",@progbits,_ZN7rocprim17ROCPRIM_400000_NS6detail17trampoline_kernelINS0_14default_configENS1_38merge_sort_block_merge_config_selectorIlNS0_10empty_typeEEEZZNS1_27merge_sort_block_merge_implIS3_PlPS5_mZN2at6native12_GLOBAL__N_124unique_dim_cuda_templateIaEESt5tupleIJNSA_6TensorESF_SF_EERKSF_lbbbEUlllE_EE10hipError_tT0_T1_T2_jT3_P12ihipStream_tbPNSt15iterator_traitsISL_E10value_typeEPNSR_ISM_E10value_typeEPSN_NS1_7vsmem_tEENKUlT_SL_SM_SN_E_clIS8_S8_S9_S9_EESK_S10_SL_SM_SN_EUlS10_E1_NS1_11comp_targetILNS1_3genE4ELNS1_11target_archE910ELNS1_3gpuE8ELNS1_3repE0EEENS1_36merge_oddeven_config_static_selectorELNS0_4arch9wavefront6targetE1EEEvSM_,comdat
	.globl	_ZN7rocprim17ROCPRIM_400000_NS6detail17trampoline_kernelINS0_14default_configENS1_38merge_sort_block_merge_config_selectorIlNS0_10empty_typeEEEZZNS1_27merge_sort_block_merge_implIS3_PlPS5_mZN2at6native12_GLOBAL__N_124unique_dim_cuda_templateIaEESt5tupleIJNSA_6TensorESF_SF_EERKSF_lbbbEUlllE_EE10hipError_tT0_T1_T2_jT3_P12ihipStream_tbPNSt15iterator_traitsISL_E10value_typeEPNSR_ISM_E10value_typeEPSN_NS1_7vsmem_tEENKUlT_SL_SM_SN_E_clIS8_S8_S9_S9_EESK_S10_SL_SM_SN_EUlS10_E1_NS1_11comp_targetILNS1_3genE4ELNS1_11target_archE910ELNS1_3gpuE8ELNS1_3repE0EEENS1_36merge_oddeven_config_static_selectorELNS0_4arch9wavefront6targetE1EEEvSM_ ; -- Begin function _ZN7rocprim17ROCPRIM_400000_NS6detail17trampoline_kernelINS0_14default_configENS1_38merge_sort_block_merge_config_selectorIlNS0_10empty_typeEEEZZNS1_27merge_sort_block_merge_implIS3_PlPS5_mZN2at6native12_GLOBAL__N_124unique_dim_cuda_templateIaEESt5tupleIJNSA_6TensorESF_SF_EERKSF_lbbbEUlllE_EE10hipError_tT0_T1_T2_jT3_P12ihipStream_tbPNSt15iterator_traitsISL_E10value_typeEPNSR_ISM_E10value_typeEPSN_NS1_7vsmem_tEENKUlT_SL_SM_SN_E_clIS8_S8_S9_S9_EESK_S10_SL_SM_SN_EUlS10_E1_NS1_11comp_targetILNS1_3genE4ELNS1_11target_archE910ELNS1_3gpuE8ELNS1_3repE0EEENS1_36merge_oddeven_config_static_selectorELNS0_4arch9wavefront6targetE1EEEvSM_
	.p2align	8
	.type	_ZN7rocprim17ROCPRIM_400000_NS6detail17trampoline_kernelINS0_14default_configENS1_38merge_sort_block_merge_config_selectorIlNS0_10empty_typeEEEZZNS1_27merge_sort_block_merge_implIS3_PlPS5_mZN2at6native12_GLOBAL__N_124unique_dim_cuda_templateIaEESt5tupleIJNSA_6TensorESF_SF_EERKSF_lbbbEUlllE_EE10hipError_tT0_T1_T2_jT3_P12ihipStream_tbPNSt15iterator_traitsISL_E10value_typeEPNSR_ISM_E10value_typeEPSN_NS1_7vsmem_tEENKUlT_SL_SM_SN_E_clIS8_S8_S9_S9_EESK_S10_SL_SM_SN_EUlS10_E1_NS1_11comp_targetILNS1_3genE4ELNS1_11target_archE910ELNS1_3gpuE8ELNS1_3repE0EEENS1_36merge_oddeven_config_static_selectorELNS0_4arch9wavefront6targetE1EEEvSM_,@function
_ZN7rocprim17ROCPRIM_400000_NS6detail17trampoline_kernelINS0_14default_configENS1_38merge_sort_block_merge_config_selectorIlNS0_10empty_typeEEEZZNS1_27merge_sort_block_merge_implIS3_PlPS5_mZN2at6native12_GLOBAL__N_124unique_dim_cuda_templateIaEESt5tupleIJNSA_6TensorESF_SF_EERKSF_lbbbEUlllE_EE10hipError_tT0_T1_T2_jT3_P12ihipStream_tbPNSt15iterator_traitsISL_E10value_typeEPNSR_ISM_E10value_typeEPSN_NS1_7vsmem_tEENKUlT_SL_SM_SN_E_clIS8_S8_S9_S9_EESK_S10_SL_SM_SN_EUlS10_E1_NS1_11comp_targetILNS1_3genE4ELNS1_11target_archE910ELNS1_3gpuE8ELNS1_3repE0EEENS1_36merge_oddeven_config_static_selectorELNS0_4arch9wavefront6targetE1EEEvSM_: ; @_ZN7rocprim17ROCPRIM_400000_NS6detail17trampoline_kernelINS0_14default_configENS1_38merge_sort_block_merge_config_selectorIlNS0_10empty_typeEEEZZNS1_27merge_sort_block_merge_implIS3_PlPS5_mZN2at6native12_GLOBAL__N_124unique_dim_cuda_templateIaEESt5tupleIJNSA_6TensorESF_SF_EERKSF_lbbbEUlllE_EE10hipError_tT0_T1_T2_jT3_P12ihipStream_tbPNSt15iterator_traitsISL_E10value_typeEPNSR_ISM_E10value_typeEPSN_NS1_7vsmem_tEENKUlT_SL_SM_SN_E_clIS8_S8_S9_S9_EESK_S10_SL_SM_SN_EUlS10_E1_NS1_11comp_targetILNS1_3genE4ELNS1_11target_archE910ELNS1_3gpuE8ELNS1_3repE0EEENS1_36merge_oddeven_config_static_selectorELNS0_4arch9wavefront6targetE1EEEvSM_
; %bb.0:
	.section	.rodata,"a",@progbits
	.p2align	6, 0x0
	.amdhsa_kernel _ZN7rocprim17ROCPRIM_400000_NS6detail17trampoline_kernelINS0_14default_configENS1_38merge_sort_block_merge_config_selectorIlNS0_10empty_typeEEEZZNS1_27merge_sort_block_merge_implIS3_PlPS5_mZN2at6native12_GLOBAL__N_124unique_dim_cuda_templateIaEESt5tupleIJNSA_6TensorESF_SF_EERKSF_lbbbEUlllE_EE10hipError_tT0_T1_T2_jT3_P12ihipStream_tbPNSt15iterator_traitsISL_E10value_typeEPNSR_ISM_E10value_typeEPSN_NS1_7vsmem_tEENKUlT_SL_SM_SN_E_clIS8_S8_S9_S9_EESK_S10_SL_SM_SN_EUlS10_E1_NS1_11comp_targetILNS1_3genE4ELNS1_11target_archE910ELNS1_3gpuE8ELNS1_3repE0EEENS1_36merge_oddeven_config_static_selectorELNS0_4arch9wavefront6targetE1EEEvSM_
		.amdhsa_group_segment_fixed_size 0
		.amdhsa_private_segment_fixed_size 0
		.amdhsa_kernarg_size 64
		.amdhsa_user_sgpr_count 2
		.amdhsa_user_sgpr_dispatch_ptr 0
		.amdhsa_user_sgpr_queue_ptr 0
		.amdhsa_user_sgpr_kernarg_segment_ptr 1
		.amdhsa_user_sgpr_dispatch_id 0
		.amdhsa_user_sgpr_kernarg_preload_length 0
		.amdhsa_user_sgpr_kernarg_preload_offset 0
		.amdhsa_user_sgpr_private_segment_size 0
		.amdhsa_uses_dynamic_stack 0
		.amdhsa_enable_private_segment 0
		.amdhsa_system_sgpr_workgroup_id_x 1
		.amdhsa_system_sgpr_workgroup_id_y 0
		.amdhsa_system_sgpr_workgroup_id_z 0
		.amdhsa_system_sgpr_workgroup_info 0
		.amdhsa_system_vgpr_workitem_id 0
		.amdhsa_next_free_vgpr 1
		.amdhsa_next_free_sgpr 0
		.amdhsa_accum_offset 4
		.amdhsa_reserve_vcc 0
		.amdhsa_float_round_mode_32 0
		.amdhsa_float_round_mode_16_64 0
		.amdhsa_float_denorm_mode_32 3
		.amdhsa_float_denorm_mode_16_64 3
		.amdhsa_dx10_clamp 1
		.amdhsa_ieee_mode 1
		.amdhsa_fp16_overflow 0
		.amdhsa_tg_split 0
		.amdhsa_exception_fp_ieee_invalid_op 0
		.amdhsa_exception_fp_denorm_src 0
		.amdhsa_exception_fp_ieee_div_zero 0
		.amdhsa_exception_fp_ieee_overflow 0
		.amdhsa_exception_fp_ieee_underflow 0
		.amdhsa_exception_fp_ieee_inexact 0
		.amdhsa_exception_int_div_zero 0
	.end_amdhsa_kernel
	.section	.text._ZN7rocprim17ROCPRIM_400000_NS6detail17trampoline_kernelINS0_14default_configENS1_38merge_sort_block_merge_config_selectorIlNS0_10empty_typeEEEZZNS1_27merge_sort_block_merge_implIS3_PlPS5_mZN2at6native12_GLOBAL__N_124unique_dim_cuda_templateIaEESt5tupleIJNSA_6TensorESF_SF_EERKSF_lbbbEUlllE_EE10hipError_tT0_T1_T2_jT3_P12ihipStream_tbPNSt15iterator_traitsISL_E10value_typeEPNSR_ISM_E10value_typeEPSN_NS1_7vsmem_tEENKUlT_SL_SM_SN_E_clIS8_S8_S9_S9_EESK_S10_SL_SM_SN_EUlS10_E1_NS1_11comp_targetILNS1_3genE4ELNS1_11target_archE910ELNS1_3gpuE8ELNS1_3repE0EEENS1_36merge_oddeven_config_static_selectorELNS0_4arch9wavefront6targetE1EEEvSM_,"axG",@progbits,_ZN7rocprim17ROCPRIM_400000_NS6detail17trampoline_kernelINS0_14default_configENS1_38merge_sort_block_merge_config_selectorIlNS0_10empty_typeEEEZZNS1_27merge_sort_block_merge_implIS3_PlPS5_mZN2at6native12_GLOBAL__N_124unique_dim_cuda_templateIaEESt5tupleIJNSA_6TensorESF_SF_EERKSF_lbbbEUlllE_EE10hipError_tT0_T1_T2_jT3_P12ihipStream_tbPNSt15iterator_traitsISL_E10value_typeEPNSR_ISM_E10value_typeEPSN_NS1_7vsmem_tEENKUlT_SL_SM_SN_E_clIS8_S8_S9_S9_EESK_S10_SL_SM_SN_EUlS10_E1_NS1_11comp_targetILNS1_3genE4ELNS1_11target_archE910ELNS1_3gpuE8ELNS1_3repE0EEENS1_36merge_oddeven_config_static_selectorELNS0_4arch9wavefront6targetE1EEEvSM_,comdat
.Lfunc_end289:
	.size	_ZN7rocprim17ROCPRIM_400000_NS6detail17trampoline_kernelINS0_14default_configENS1_38merge_sort_block_merge_config_selectorIlNS0_10empty_typeEEEZZNS1_27merge_sort_block_merge_implIS3_PlPS5_mZN2at6native12_GLOBAL__N_124unique_dim_cuda_templateIaEESt5tupleIJNSA_6TensorESF_SF_EERKSF_lbbbEUlllE_EE10hipError_tT0_T1_T2_jT3_P12ihipStream_tbPNSt15iterator_traitsISL_E10value_typeEPNSR_ISM_E10value_typeEPSN_NS1_7vsmem_tEENKUlT_SL_SM_SN_E_clIS8_S8_S9_S9_EESK_S10_SL_SM_SN_EUlS10_E1_NS1_11comp_targetILNS1_3genE4ELNS1_11target_archE910ELNS1_3gpuE8ELNS1_3repE0EEENS1_36merge_oddeven_config_static_selectorELNS0_4arch9wavefront6targetE1EEEvSM_, .Lfunc_end289-_ZN7rocprim17ROCPRIM_400000_NS6detail17trampoline_kernelINS0_14default_configENS1_38merge_sort_block_merge_config_selectorIlNS0_10empty_typeEEEZZNS1_27merge_sort_block_merge_implIS3_PlPS5_mZN2at6native12_GLOBAL__N_124unique_dim_cuda_templateIaEESt5tupleIJNSA_6TensorESF_SF_EERKSF_lbbbEUlllE_EE10hipError_tT0_T1_T2_jT3_P12ihipStream_tbPNSt15iterator_traitsISL_E10value_typeEPNSR_ISM_E10value_typeEPSN_NS1_7vsmem_tEENKUlT_SL_SM_SN_E_clIS8_S8_S9_S9_EESK_S10_SL_SM_SN_EUlS10_E1_NS1_11comp_targetILNS1_3genE4ELNS1_11target_archE910ELNS1_3gpuE8ELNS1_3repE0EEENS1_36merge_oddeven_config_static_selectorELNS0_4arch9wavefront6targetE1EEEvSM_
                                        ; -- End function
	.set _ZN7rocprim17ROCPRIM_400000_NS6detail17trampoline_kernelINS0_14default_configENS1_38merge_sort_block_merge_config_selectorIlNS0_10empty_typeEEEZZNS1_27merge_sort_block_merge_implIS3_PlPS5_mZN2at6native12_GLOBAL__N_124unique_dim_cuda_templateIaEESt5tupleIJNSA_6TensorESF_SF_EERKSF_lbbbEUlllE_EE10hipError_tT0_T1_T2_jT3_P12ihipStream_tbPNSt15iterator_traitsISL_E10value_typeEPNSR_ISM_E10value_typeEPSN_NS1_7vsmem_tEENKUlT_SL_SM_SN_E_clIS8_S8_S9_S9_EESK_S10_SL_SM_SN_EUlS10_E1_NS1_11comp_targetILNS1_3genE4ELNS1_11target_archE910ELNS1_3gpuE8ELNS1_3repE0EEENS1_36merge_oddeven_config_static_selectorELNS0_4arch9wavefront6targetE1EEEvSM_.num_vgpr, 0
	.set _ZN7rocprim17ROCPRIM_400000_NS6detail17trampoline_kernelINS0_14default_configENS1_38merge_sort_block_merge_config_selectorIlNS0_10empty_typeEEEZZNS1_27merge_sort_block_merge_implIS3_PlPS5_mZN2at6native12_GLOBAL__N_124unique_dim_cuda_templateIaEESt5tupleIJNSA_6TensorESF_SF_EERKSF_lbbbEUlllE_EE10hipError_tT0_T1_T2_jT3_P12ihipStream_tbPNSt15iterator_traitsISL_E10value_typeEPNSR_ISM_E10value_typeEPSN_NS1_7vsmem_tEENKUlT_SL_SM_SN_E_clIS8_S8_S9_S9_EESK_S10_SL_SM_SN_EUlS10_E1_NS1_11comp_targetILNS1_3genE4ELNS1_11target_archE910ELNS1_3gpuE8ELNS1_3repE0EEENS1_36merge_oddeven_config_static_selectorELNS0_4arch9wavefront6targetE1EEEvSM_.num_agpr, 0
	.set _ZN7rocprim17ROCPRIM_400000_NS6detail17trampoline_kernelINS0_14default_configENS1_38merge_sort_block_merge_config_selectorIlNS0_10empty_typeEEEZZNS1_27merge_sort_block_merge_implIS3_PlPS5_mZN2at6native12_GLOBAL__N_124unique_dim_cuda_templateIaEESt5tupleIJNSA_6TensorESF_SF_EERKSF_lbbbEUlllE_EE10hipError_tT0_T1_T2_jT3_P12ihipStream_tbPNSt15iterator_traitsISL_E10value_typeEPNSR_ISM_E10value_typeEPSN_NS1_7vsmem_tEENKUlT_SL_SM_SN_E_clIS8_S8_S9_S9_EESK_S10_SL_SM_SN_EUlS10_E1_NS1_11comp_targetILNS1_3genE4ELNS1_11target_archE910ELNS1_3gpuE8ELNS1_3repE0EEENS1_36merge_oddeven_config_static_selectorELNS0_4arch9wavefront6targetE1EEEvSM_.numbered_sgpr, 0
	.set _ZN7rocprim17ROCPRIM_400000_NS6detail17trampoline_kernelINS0_14default_configENS1_38merge_sort_block_merge_config_selectorIlNS0_10empty_typeEEEZZNS1_27merge_sort_block_merge_implIS3_PlPS5_mZN2at6native12_GLOBAL__N_124unique_dim_cuda_templateIaEESt5tupleIJNSA_6TensorESF_SF_EERKSF_lbbbEUlllE_EE10hipError_tT0_T1_T2_jT3_P12ihipStream_tbPNSt15iterator_traitsISL_E10value_typeEPNSR_ISM_E10value_typeEPSN_NS1_7vsmem_tEENKUlT_SL_SM_SN_E_clIS8_S8_S9_S9_EESK_S10_SL_SM_SN_EUlS10_E1_NS1_11comp_targetILNS1_3genE4ELNS1_11target_archE910ELNS1_3gpuE8ELNS1_3repE0EEENS1_36merge_oddeven_config_static_selectorELNS0_4arch9wavefront6targetE1EEEvSM_.num_named_barrier, 0
	.set _ZN7rocprim17ROCPRIM_400000_NS6detail17trampoline_kernelINS0_14default_configENS1_38merge_sort_block_merge_config_selectorIlNS0_10empty_typeEEEZZNS1_27merge_sort_block_merge_implIS3_PlPS5_mZN2at6native12_GLOBAL__N_124unique_dim_cuda_templateIaEESt5tupleIJNSA_6TensorESF_SF_EERKSF_lbbbEUlllE_EE10hipError_tT0_T1_T2_jT3_P12ihipStream_tbPNSt15iterator_traitsISL_E10value_typeEPNSR_ISM_E10value_typeEPSN_NS1_7vsmem_tEENKUlT_SL_SM_SN_E_clIS8_S8_S9_S9_EESK_S10_SL_SM_SN_EUlS10_E1_NS1_11comp_targetILNS1_3genE4ELNS1_11target_archE910ELNS1_3gpuE8ELNS1_3repE0EEENS1_36merge_oddeven_config_static_selectorELNS0_4arch9wavefront6targetE1EEEvSM_.private_seg_size, 0
	.set _ZN7rocprim17ROCPRIM_400000_NS6detail17trampoline_kernelINS0_14default_configENS1_38merge_sort_block_merge_config_selectorIlNS0_10empty_typeEEEZZNS1_27merge_sort_block_merge_implIS3_PlPS5_mZN2at6native12_GLOBAL__N_124unique_dim_cuda_templateIaEESt5tupleIJNSA_6TensorESF_SF_EERKSF_lbbbEUlllE_EE10hipError_tT0_T1_T2_jT3_P12ihipStream_tbPNSt15iterator_traitsISL_E10value_typeEPNSR_ISM_E10value_typeEPSN_NS1_7vsmem_tEENKUlT_SL_SM_SN_E_clIS8_S8_S9_S9_EESK_S10_SL_SM_SN_EUlS10_E1_NS1_11comp_targetILNS1_3genE4ELNS1_11target_archE910ELNS1_3gpuE8ELNS1_3repE0EEENS1_36merge_oddeven_config_static_selectorELNS0_4arch9wavefront6targetE1EEEvSM_.uses_vcc, 0
	.set _ZN7rocprim17ROCPRIM_400000_NS6detail17trampoline_kernelINS0_14default_configENS1_38merge_sort_block_merge_config_selectorIlNS0_10empty_typeEEEZZNS1_27merge_sort_block_merge_implIS3_PlPS5_mZN2at6native12_GLOBAL__N_124unique_dim_cuda_templateIaEESt5tupleIJNSA_6TensorESF_SF_EERKSF_lbbbEUlllE_EE10hipError_tT0_T1_T2_jT3_P12ihipStream_tbPNSt15iterator_traitsISL_E10value_typeEPNSR_ISM_E10value_typeEPSN_NS1_7vsmem_tEENKUlT_SL_SM_SN_E_clIS8_S8_S9_S9_EESK_S10_SL_SM_SN_EUlS10_E1_NS1_11comp_targetILNS1_3genE4ELNS1_11target_archE910ELNS1_3gpuE8ELNS1_3repE0EEENS1_36merge_oddeven_config_static_selectorELNS0_4arch9wavefront6targetE1EEEvSM_.uses_flat_scratch, 0
	.set _ZN7rocprim17ROCPRIM_400000_NS6detail17trampoline_kernelINS0_14default_configENS1_38merge_sort_block_merge_config_selectorIlNS0_10empty_typeEEEZZNS1_27merge_sort_block_merge_implIS3_PlPS5_mZN2at6native12_GLOBAL__N_124unique_dim_cuda_templateIaEESt5tupleIJNSA_6TensorESF_SF_EERKSF_lbbbEUlllE_EE10hipError_tT0_T1_T2_jT3_P12ihipStream_tbPNSt15iterator_traitsISL_E10value_typeEPNSR_ISM_E10value_typeEPSN_NS1_7vsmem_tEENKUlT_SL_SM_SN_E_clIS8_S8_S9_S9_EESK_S10_SL_SM_SN_EUlS10_E1_NS1_11comp_targetILNS1_3genE4ELNS1_11target_archE910ELNS1_3gpuE8ELNS1_3repE0EEENS1_36merge_oddeven_config_static_selectorELNS0_4arch9wavefront6targetE1EEEvSM_.has_dyn_sized_stack, 0
	.set _ZN7rocprim17ROCPRIM_400000_NS6detail17trampoline_kernelINS0_14default_configENS1_38merge_sort_block_merge_config_selectorIlNS0_10empty_typeEEEZZNS1_27merge_sort_block_merge_implIS3_PlPS5_mZN2at6native12_GLOBAL__N_124unique_dim_cuda_templateIaEESt5tupleIJNSA_6TensorESF_SF_EERKSF_lbbbEUlllE_EE10hipError_tT0_T1_T2_jT3_P12ihipStream_tbPNSt15iterator_traitsISL_E10value_typeEPNSR_ISM_E10value_typeEPSN_NS1_7vsmem_tEENKUlT_SL_SM_SN_E_clIS8_S8_S9_S9_EESK_S10_SL_SM_SN_EUlS10_E1_NS1_11comp_targetILNS1_3genE4ELNS1_11target_archE910ELNS1_3gpuE8ELNS1_3repE0EEENS1_36merge_oddeven_config_static_selectorELNS0_4arch9wavefront6targetE1EEEvSM_.has_recursion, 0
	.set _ZN7rocprim17ROCPRIM_400000_NS6detail17trampoline_kernelINS0_14default_configENS1_38merge_sort_block_merge_config_selectorIlNS0_10empty_typeEEEZZNS1_27merge_sort_block_merge_implIS3_PlPS5_mZN2at6native12_GLOBAL__N_124unique_dim_cuda_templateIaEESt5tupleIJNSA_6TensorESF_SF_EERKSF_lbbbEUlllE_EE10hipError_tT0_T1_T2_jT3_P12ihipStream_tbPNSt15iterator_traitsISL_E10value_typeEPNSR_ISM_E10value_typeEPSN_NS1_7vsmem_tEENKUlT_SL_SM_SN_E_clIS8_S8_S9_S9_EESK_S10_SL_SM_SN_EUlS10_E1_NS1_11comp_targetILNS1_3genE4ELNS1_11target_archE910ELNS1_3gpuE8ELNS1_3repE0EEENS1_36merge_oddeven_config_static_selectorELNS0_4arch9wavefront6targetE1EEEvSM_.has_indirect_call, 0
	.section	.AMDGPU.csdata,"",@progbits
; Kernel info:
; codeLenInByte = 0
; TotalNumSgprs: 6
; NumVgprs: 0
; NumAgprs: 0
; TotalNumVgprs: 0
; ScratchSize: 0
; MemoryBound: 0
; FloatMode: 240
; IeeeMode: 1
; LDSByteSize: 0 bytes/workgroup (compile time only)
; SGPRBlocks: 0
; VGPRBlocks: 0
; NumSGPRsForWavesPerEU: 6
; NumVGPRsForWavesPerEU: 1
; AccumOffset: 4
; Occupancy: 8
; WaveLimiterHint : 0
; COMPUTE_PGM_RSRC2:SCRATCH_EN: 0
; COMPUTE_PGM_RSRC2:USER_SGPR: 2
; COMPUTE_PGM_RSRC2:TRAP_HANDLER: 0
; COMPUTE_PGM_RSRC2:TGID_X_EN: 1
; COMPUTE_PGM_RSRC2:TGID_Y_EN: 0
; COMPUTE_PGM_RSRC2:TGID_Z_EN: 0
; COMPUTE_PGM_RSRC2:TIDIG_COMP_CNT: 0
; COMPUTE_PGM_RSRC3_GFX90A:ACCUM_OFFSET: 0
; COMPUTE_PGM_RSRC3_GFX90A:TG_SPLIT: 0
	.section	.text._ZN7rocprim17ROCPRIM_400000_NS6detail17trampoline_kernelINS0_14default_configENS1_38merge_sort_block_merge_config_selectorIlNS0_10empty_typeEEEZZNS1_27merge_sort_block_merge_implIS3_PlPS5_mZN2at6native12_GLOBAL__N_124unique_dim_cuda_templateIaEESt5tupleIJNSA_6TensorESF_SF_EERKSF_lbbbEUlllE_EE10hipError_tT0_T1_T2_jT3_P12ihipStream_tbPNSt15iterator_traitsISL_E10value_typeEPNSR_ISM_E10value_typeEPSN_NS1_7vsmem_tEENKUlT_SL_SM_SN_E_clIS8_S8_S9_S9_EESK_S10_SL_SM_SN_EUlS10_E1_NS1_11comp_targetILNS1_3genE3ELNS1_11target_archE908ELNS1_3gpuE7ELNS1_3repE0EEENS1_36merge_oddeven_config_static_selectorELNS0_4arch9wavefront6targetE1EEEvSM_,"axG",@progbits,_ZN7rocprim17ROCPRIM_400000_NS6detail17trampoline_kernelINS0_14default_configENS1_38merge_sort_block_merge_config_selectorIlNS0_10empty_typeEEEZZNS1_27merge_sort_block_merge_implIS3_PlPS5_mZN2at6native12_GLOBAL__N_124unique_dim_cuda_templateIaEESt5tupleIJNSA_6TensorESF_SF_EERKSF_lbbbEUlllE_EE10hipError_tT0_T1_T2_jT3_P12ihipStream_tbPNSt15iterator_traitsISL_E10value_typeEPNSR_ISM_E10value_typeEPSN_NS1_7vsmem_tEENKUlT_SL_SM_SN_E_clIS8_S8_S9_S9_EESK_S10_SL_SM_SN_EUlS10_E1_NS1_11comp_targetILNS1_3genE3ELNS1_11target_archE908ELNS1_3gpuE7ELNS1_3repE0EEENS1_36merge_oddeven_config_static_selectorELNS0_4arch9wavefront6targetE1EEEvSM_,comdat
	.globl	_ZN7rocprim17ROCPRIM_400000_NS6detail17trampoline_kernelINS0_14default_configENS1_38merge_sort_block_merge_config_selectorIlNS0_10empty_typeEEEZZNS1_27merge_sort_block_merge_implIS3_PlPS5_mZN2at6native12_GLOBAL__N_124unique_dim_cuda_templateIaEESt5tupleIJNSA_6TensorESF_SF_EERKSF_lbbbEUlllE_EE10hipError_tT0_T1_T2_jT3_P12ihipStream_tbPNSt15iterator_traitsISL_E10value_typeEPNSR_ISM_E10value_typeEPSN_NS1_7vsmem_tEENKUlT_SL_SM_SN_E_clIS8_S8_S9_S9_EESK_S10_SL_SM_SN_EUlS10_E1_NS1_11comp_targetILNS1_3genE3ELNS1_11target_archE908ELNS1_3gpuE7ELNS1_3repE0EEENS1_36merge_oddeven_config_static_selectorELNS0_4arch9wavefront6targetE1EEEvSM_ ; -- Begin function _ZN7rocprim17ROCPRIM_400000_NS6detail17trampoline_kernelINS0_14default_configENS1_38merge_sort_block_merge_config_selectorIlNS0_10empty_typeEEEZZNS1_27merge_sort_block_merge_implIS3_PlPS5_mZN2at6native12_GLOBAL__N_124unique_dim_cuda_templateIaEESt5tupleIJNSA_6TensorESF_SF_EERKSF_lbbbEUlllE_EE10hipError_tT0_T1_T2_jT3_P12ihipStream_tbPNSt15iterator_traitsISL_E10value_typeEPNSR_ISM_E10value_typeEPSN_NS1_7vsmem_tEENKUlT_SL_SM_SN_E_clIS8_S8_S9_S9_EESK_S10_SL_SM_SN_EUlS10_E1_NS1_11comp_targetILNS1_3genE3ELNS1_11target_archE908ELNS1_3gpuE7ELNS1_3repE0EEENS1_36merge_oddeven_config_static_selectorELNS0_4arch9wavefront6targetE1EEEvSM_
	.p2align	8
	.type	_ZN7rocprim17ROCPRIM_400000_NS6detail17trampoline_kernelINS0_14default_configENS1_38merge_sort_block_merge_config_selectorIlNS0_10empty_typeEEEZZNS1_27merge_sort_block_merge_implIS3_PlPS5_mZN2at6native12_GLOBAL__N_124unique_dim_cuda_templateIaEESt5tupleIJNSA_6TensorESF_SF_EERKSF_lbbbEUlllE_EE10hipError_tT0_T1_T2_jT3_P12ihipStream_tbPNSt15iterator_traitsISL_E10value_typeEPNSR_ISM_E10value_typeEPSN_NS1_7vsmem_tEENKUlT_SL_SM_SN_E_clIS8_S8_S9_S9_EESK_S10_SL_SM_SN_EUlS10_E1_NS1_11comp_targetILNS1_3genE3ELNS1_11target_archE908ELNS1_3gpuE7ELNS1_3repE0EEENS1_36merge_oddeven_config_static_selectorELNS0_4arch9wavefront6targetE1EEEvSM_,@function
_ZN7rocprim17ROCPRIM_400000_NS6detail17trampoline_kernelINS0_14default_configENS1_38merge_sort_block_merge_config_selectorIlNS0_10empty_typeEEEZZNS1_27merge_sort_block_merge_implIS3_PlPS5_mZN2at6native12_GLOBAL__N_124unique_dim_cuda_templateIaEESt5tupleIJNSA_6TensorESF_SF_EERKSF_lbbbEUlllE_EE10hipError_tT0_T1_T2_jT3_P12ihipStream_tbPNSt15iterator_traitsISL_E10value_typeEPNSR_ISM_E10value_typeEPSN_NS1_7vsmem_tEENKUlT_SL_SM_SN_E_clIS8_S8_S9_S9_EESK_S10_SL_SM_SN_EUlS10_E1_NS1_11comp_targetILNS1_3genE3ELNS1_11target_archE908ELNS1_3gpuE7ELNS1_3repE0EEENS1_36merge_oddeven_config_static_selectorELNS0_4arch9wavefront6targetE1EEEvSM_: ; @_ZN7rocprim17ROCPRIM_400000_NS6detail17trampoline_kernelINS0_14default_configENS1_38merge_sort_block_merge_config_selectorIlNS0_10empty_typeEEEZZNS1_27merge_sort_block_merge_implIS3_PlPS5_mZN2at6native12_GLOBAL__N_124unique_dim_cuda_templateIaEESt5tupleIJNSA_6TensorESF_SF_EERKSF_lbbbEUlllE_EE10hipError_tT0_T1_T2_jT3_P12ihipStream_tbPNSt15iterator_traitsISL_E10value_typeEPNSR_ISM_E10value_typeEPSN_NS1_7vsmem_tEENKUlT_SL_SM_SN_E_clIS8_S8_S9_S9_EESK_S10_SL_SM_SN_EUlS10_E1_NS1_11comp_targetILNS1_3genE3ELNS1_11target_archE908ELNS1_3gpuE7ELNS1_3repE0EEENS1_36merge_oddeven_config_static_selectorELNS0_4arch9wavefront6targetE1EEEvSM_
; %bb.0:
	.section	.rodata,"a",@progbits
	.p2align	6, 0x0
	.amdhsa_kernel _ZN7rocprim17ROCPRIM_400000_NS6detail17trampoline_kernelINS0_14default_configENS1_38merge_sort_block_merge_config_selectorIlNS0_10empty_typeEEEZZNS1_27merge_sort_block_merge_implIS3_PlPS5_mZN2at6native12_GLOBAL__N_124unique_dim_cuda_templateIaEESt5tupleIJNSA_6TensorESF_SF_EERKSF_lbbbEUlllE_EE10hipError_tT0_T1_T2_jT3_P12ihipStream_tbPNSt15iterator_traitsISL_E10value_typeEPNSR_ISM_E10value_typeEPSN_NS1_7vsmem_tEENKUlT_SL_SM_SN_E_clIS8_S8_S9_S9_EESK_S10_SL_SM_SN_EUlS10_E1_NS1_11comp_targetILNS1_3genE3ELNS1_11target_archE908ELNS1_3gpuE7ELNS1_3repE0EEENS1_36merge_oddeven_config_static_selectorELNS0_4arch9wavefront6targetE1EEEvSM_
		.amdhsa_group_segment_fixed_size 0
		.amdhsa_private_segment_fixed_size 0
		.amdhsa_kernarg_size 64
		.amdhsa_user_sgpr_count 2
		.amdhsa_user_sgpr_dispatch_ptr 0
		.amdhsa_user_sgpr_queue_ptr 0
		.amdhsa_user_sgpr_kernarg_segment_ptr 1
		.amdhsa_user_sgpr_dispatch_id 0
		.amdhsa_user_sgpr_kernarg_preload_length 0
		.amdhsa_user_sgpr_kernarg_preload_offset 0
		.amdhsa_user_sgpr_private_segment_size 0
		.amdhsa_uses_dynamic_stack 0
		.amdhsa_enable_private_segment 0
		.amdhsa_system_sgpr_workgroup_id_x 1
		.amdhsa_system_sgpr_workgroup_id_y 0
		.amdhsa_system_sgpr_workgroup_id_z 0
		.amdhsa_system_sgpr_workgroup_info 0
		.amdhsa_system_vgpr_workitem_id 0
		.amdhsa_next_free_vgpr 1
		.amdhsa_next_free_sgpr 0
		.amdhsa_accum_offset 4
		.amdhsa_reserve_vcc 0
		.amdhsa_float_round_mode_32 0
		.amdhsa_float_round_mode_16_64 0
		.amdhsa_float_denorm_mode_32 3
		.amdhsa_float_denorm_mode_16_64 3
		.amdhsa_dx10_clamp 1
		.amdhsa_ieee_mode 1
		.amdhsa_fp16_overflow 0
		.amdhsa_tg_split 0
		.amdhsa_exception_fp_ieee_invalid_op 0
		.amdhsa_exception_fp_denorm_src 0
		.amdhsa_exception_fp_ieee_div_zero 0
		.amdhsa_exception_fp_ieee_overflow 0
		.amdhsa_exception_fp_ieee_underflow 0
		.amdhsa_exception_fp_ieee_inexact 0
		.amdhsa_exception_int_div_zero 0
	.end_amdhsa_kernel
	.section	.text._ZN7rocprim17ROCPRIM_400000_NS6detail17trampoline_kernelINS0_14default_configENS1_38merge_sort_block_merge_config_selectorIlNS0_10empty_typeEEEZZNS1_27merge_sort_block_merge_implIS3_PlPS5_mZN2at6native12_GLOBAL__N_124unique_dim_cuda_templateIaEESt5tupleIJNSA_6TensorESF_SF_EERKSF_lbbbEUlllE_EE10hipError_tT0_T1_T2_jT3_P12ihipStream_tbPNSt15iterator_traitsISL_E10value_typeEPNSR_ISM_E10value_typeEPSN_NS1_7vsmem_tEENKUlT_SL_SM_SN_E_clIS8_S8_S9_S9_EESK_S10_SL_SM_SN_EUlS10_E1_NS1_11comp_targetILNS1_3genE3ELNS1_11target_archE908ELNS1_3gpuE7ELNS1_3repE0EEENS1_36merge_oddeven_config_static_selectorELNS0_4arch9wavefront6targetE1EEEvSM_,"axG",@progbits,_ZN7rocprim17ROCPRIM_400000_NS6detail17trampoline_kernelINS0_14default_configENS1_38merge_sort_block_merge_config_selectorIlNS0_10empty_typeEEEZZNS1_27merge_sort_block_merge_implIS3_PlPS5_mZN2at6native12_GLOBAL__N_124unique_dim_cuda_templateIaEESt5tupleIJNSA_6TensorESF_SF_EERKSF_lbbbEUlllE_EE10hipError_tT0_T1_T2_jT3_P12ihipStream_tbPNSt15iterator_traitsISL_E10value_typeEPNSR_ISM_E10value_typeEPSN_NS1_7vsmem_tEENKUlT_SL_SM_SN_E_clIS8_S8_S9_S9_EESK_S10_SL_SM_SN_EUlS10_E1_NS1_11comp_targetILNS1_3genE3ELNS1_11target_archE908ELNS1_3gpuE7ELNS1_3repE0EEENS1_36merge_oddeven_config_static_selectorELNS0_4arch9wavefront6targetE1EEEvSM_,comdat
.Lfunc_end290:
	.size	_ZN7rocprim17ROCPRIM_400000_NS6detail17trampoline_kernelINS0_14default_configENS1_38merge_sort_block_merge_config_selectorIlNS0_10empty_typeEEEZZNS1_27merge_sort_block_merge_implIS3_PlPS5_mZN2at6native12_GLOBAL__N_124unique_dim_cuda_templateIaEESt5tupleIJNSA_6TensorESF_SF_EERKSF_lbbbEUlllE_EE10hipError_tT0_T1_T2_jT3_P12ihipStream_tbPNSt15iterator_traitsISL_E10value_typeEPNSR_ISM_E10value_typeEPSN_NS1_7vsmem_tEENKUlT_SL_SM_SN_E_clIS8_S8_S9_S9_EESK_S10_SL_SM_SN_EUlS10_E1_NS1_11comp_targetILNS1_3genE3ELNS1_11target_archE908ELNS1_3gpuE7ELNS1_3repE0EEENS1_36merge_oddeven_config_static_selectorELNS0_4arch9wavefront6targetE1EEEvSM_, .Lfunc_end290-_ZN7rocprim17ROCPRIM_400000_NS6detail17trampoline_kernelINS0_14default_configENS1_38merge_sort_block_merge_config_selectorIlNS0_10empty_typeEEEZZNS1_27merge_sort_block_merge_implIS3_PlPS5_mZN2at6native12_GLOBAL__N_124unique_dim_cuda_templateIaEESt5tupleIJNSA_6TensorESF_SF_EERKSF_lbbbEUlllE_EE10hipError_tT0_T1_T2_jT3_P12ihipStream_tbPNSt15iterator_traitsISL_E10value_typeEPNSR_ISM_E10value_typeEPSN_NS1_7vsmem_tEENKUlT_SL_SM_SN_E_clIS8_S8_S9_S9_EESK_S10_SL_SM_SN_EUlS10_E1_NS1_11comp_targetILNS1_3genE3ELNS1_11target_archE908ELNS1_3gpuE7ELNS1_3repE0EEENS1_36merge_oddeven_config_static_selectorELNS0_4arch9wavefront6targetE1EEEvSM_
                                        ; -- End function
	.set _ZN7rocprim17ROCPRIM_400000_NS6detail17trampoline_kernelINS0_14default_configENS1_38merge_sort_block_merge_config_selectorIlNS0_10empty_typeEEEZZNS1_27merge_sort_block_merge_implIS3_PlPS5_mZN2at6native12_GLOBAL__N_124unique_dim_cuda_templateIaEESt5tupleIJNSA_6TensorESF_SF_EERKSF_lbbbEUlllE_EE10hipError_tT0_T1_T2_jT3_P12ihipStream_tbPNSt15iterator_traitsISL_E10value_typeEPNSR_ISM_E10value_typeEPSN_NS1_7vsmem_tEENKUlT_SL_SM_SN_E_clIS8_S8_S9_S9_EESK_S10_SL_SM_SN_EUlS10_E1_NS1_11comp_targetILNS1_3genE3ELNS1_11target_archE908ELNS1_3gpuE7ELNS1_3repE0EEENS1_36merge_oddeven_config_static_selectorELNS0_4arch9wavefront6targetE1EEEvSM_.num_vgpr, 0
	.set _ZN7rocprim17ROCPRIM_400000_NS6detail17trampoline_kernelINS0_14default_configENS1_38merge_sort_block_merge_config_selectorIlNS0_10empty_typeEEEZZNS1_27merge_sort_block_merge_implIS3_PlPS5_mZN2at6native12_GLOBAL__N_124unique_dim_cuda_templateIaEESt5tupleIJNSA_6TensorESF_SF_EERKSF_lbbbEUlllE_EE10hipError_tT0_T1_T2_jT3_P12ihipStream_tbPNSt15iterator_traitsISL_E10value_typeEPNSR_ISM_E10value_typeEPSN_NS1_7vsmem_tEENKUlT_SL_SM_SN_E_clIS8_S8_S9_S9_EESK_S10_SL_SM_SN_EUlS10_E1_NS1_11comp_targetILNS1_3genE3ELNS1_11target_archE908ELNS1_3gpuE7ELNS1_3repE0EEENS1_36merge_oddeven_config_static_selectorELNS0_4arch9wavefront6targetE1EEEvSM_.num_agpr, 0
	.set _ZN7rocprim17ROCPRIM_400000_NS6detail17trampoline_kernelINS0_14default_configENS1_38merge_sort_block_merge_config_selectorIlNS0_10empty_typeEEEZZNS1_27merge_sort_block_merge_implIS3_PlPS5_mZN2at6native12_GLOBAL__N_124unique_dim_cuda_templateIaEESt5tupleIJNSA_6TensorESF_SF_EERKSF_lbbbEUlllE_EE10hipError_tT0_T1_T2_jT3_P12ihipStream_tbPNSt15iterator_traitsISL_E10value_typeEPNSR_ISM_E10value_typeEPSN_NS1_7vsmem_tEENKUlT_SL_SM_SN_E_clIS8_S8_S9_S9_EESK_S10_SL_SM_SN_EUlS10_E1_NS1_11comp_targetILNS1_3genE3ELNS1_11target_archE908ELNS1_3gpuE7ELNS1_3repE0EEENS1_36merge_oddeven_config_static_selectorELNS0_4arch9wavefront6targetE1EEEvSM_.numbered_sgpr, 0
	.set _ZN7rocprim17ROCPRIM_400000_NS6detail17trampoline_kernelINS0_14default_configENS1_38merge_sort_block_merge_config_selectorIlNS0_10empty_typeEEEZZNS1_27merge_sort_block_merge_implIS3_PlPS5_mZN2at6native12_GLOBAL__N_124unique_dim_cuda_templateIaEESt5tupleIJNSA_6TensorESF_SF_EERKSF_lbbbEUlllE_EE10hipError_tT0_T1_T2_jT3_P12ihipStream_tbPNSt15iterator_traitsISL_E10value_typeEPNSR_ISM_E10value_typeEPSN_NS1_7vsmem_tEENKUlT_SL_SM_SN_E_clIS8_S8_S9_S9_EESK_S10_SL_SM_SN_EUlS10_E1_NS1_11comp_targetILNS1_3genE3ELNS1_11target_archE908ELNS1_3gpuE7ELNS1_3repE0EEENS1_36merge_oddeven_config_static_selectorELNS0_4arch9wavefront6targetE1EEEvSM_.num_named_barrier, 0
	.set _ZN7rocprim17ROCPRIM_400000_NS6detail17trampoline_kernelINS0_14default_configENS1_38merge_sort_block_merge_config_selectorIlNS0_10empty_typeEEEZZNS1_27merge_sort_block_merge_implIS3_PlPS5_mZN2at6native12_GLOBAL__N_124unique_dim_cuda_templateIaEESt5tupleIJNSA_6TensorESF_SF_EERKSF_lbbbEUlllE_EE10hipError_tT0_T1_T2_jT3_P12ihipStream_tbPNSt15iterator_traitsISL_E10value_typeEPNSR_ISM_E10value_typeEPSN_NS1_7vsmem_tEENKUlT_SL_SM_SN_E_clIS8_S8_S9_S9_EESK_S10_SL_SM_SN_EUlS10_E1_NS1_11comp_targetILNS1_3genE3ELNS1_11target_archE908ELNS1_3gpuE7ELNS1_3repE0EEENS1_36merge_oddeven_config_static_selectorELNS0_4arch9wavefront6targetE1EEEvSM_.private_seg_size, 0
	.set _ZN7rocprim17ROCPRIM_400000_NS6detail17trampoline_kernelINS0_14default_configENS1_38merge_sort_block_merge_config_selectorIlNS0_10empty_typeEEEZZNS1_27merge_sort_block_merge_implIS3_PlPS5_mZN2at6native12_GLOBAL__N_124unique_dim_cuda_templateIaEESt5tupleIJNSA_6TensorESF_SF_EERKSF_lbbbEUlllE_EE10hipError_tT0_T1_T2_jT3_P12ihipStream_tbPNSt15iterator_traitsISL_E10value_typeEPNSR_ISM_E10value_typeEPSN_NS1_7vsmem_tEENKUlT_SL_SM_SN_E_clIS8_S8_S9_S9_EESK_S10_SL_SM_SN_EUlS10_E1_NS1_11comp_targetILNS1_3genE3ELNS1_11target_archE908ELNS1_3gpuE7ELNS1_3repE0EEENS1_36merge_oddeven_config_static_selectorELNS0_4arch9wavefront6targetE1EEEvSM_.uses_vcc, 0
	.set _ZN7rocprim17ROCPRIM_400000_NS6detail17trampoline_kernelINS0_14default_configENS1_38merge_sort_block_merge_config_selectorIlNS0_10empty_typeEEEZZNS1_27merge_sort_block_merge_implIS3_PlPS5_mZN2at6native12_GLOBAL__N_124unique_dim_cuda_templateIaEESt5tupleIJNSA_6TensorESF_SF_EERKSF_lbbbEUlllE_EE10hipError_tT0_T1_T2_jT3_P12ihipStream_tbPNSt15iterator_traitsISL_E10value_typeEPNSR_ISM_E10value_typeEPSN_NS1_7vsmem_tEENKUlT_SL_SM_SN_E_clIS8_S8_S9_S9_EESK_S10_SL_SM_SN_EUlS10_E1_NS1_11comp_targetILNS1_3genE3ELNS1_11target_archE908ELNS1_3gpuE7ELNS1_3repE0EEENS1_36merge_oddeven_config_static_selectorELNS0_4arch9wavefront6targetE1EEEvSM_.uses_flat_scratch, 0
	.set _ZN7rocprim17ROCPRIM_400000_NS6detail17trampoline_kernelINS0_14default_configENS1_38merge_sort_block_merge_config_selectorIlNS0_10empty_typeEEEZZNS1_27merge_sort_block_merge_implIS3_PlPS5_mZN2at6native12_GLOBAL__N_124unique_dim_cuda_templateIaEESt5tupleIJNSA_6TensorESF_SF_EERKSF_lbbbEUlllE_EE10hipError_tT0_T1_T2_jT3_P12ihipStream_tbPNSt15iterator_traitsISL_E10value_typeEPNSR_ISM_E10value_typeEPSN_NS1_7vsmem_tEENKUlT_SL_SM_SN_E_clIS8_S8_S9_S9_EESK_S10_SL_SM_SN_EUlS10_E1_NS1_11comp_targetILNS1_3genE3ELNS1_11target_archE908ELNS1_3gpuE7ELNS1_3repE0EEENS1_36merge_oddeven_config_static_selectorELNS0_4arch9wavefront6targetE1EEEvSM_.has_dyn_sized_stack, 0
	.set _ZN7rocprim17ROCPRIM_400000_NS6detail17trampoline_kernelINS0_14default_configENS1_38merge_sort_block_merge_config_selectorIlNS0_10empty_typeEEEZZNS1_27merge_sort_block_merge_implIS3_PlPS5_mZN2at6native12_GLOBAL__N_124unique_dim_cuda_templateIaEESt5tupleIJNSA_6TensorESF_SF_EERKSF_lbbbEUlllE_EE10hipError_tT0_T1_T2_jT3_P12ihipStream_tbPNSt15iterator_traitsISL_E10value_typeEPNSR_ISM_E10value_typeEPSN_NS1_7vsmem_tEENKUlT_SL_SM_SN_E_clIS8_S8_S9_S9_EESK_S10_SL_SM_SN_EUlS10_E1_NS1_11comp_targetILNS1_3genE3ELNS1_11target_archE908ELNS1_3gpuE7ELNS1_3repE0EEENS1_36merge_oddeven_config_static_selectorELNS0_4arch9wavefront6targetE1EEEvSM_.has_recursion, 0
	.set _ZN7rocprim17ROCPRIM_400000_NS6detail17trampoline_kernelINS0_14default_configENS1_38merge_sort_block_merge_config_selectorIlNS0_10empty_typeEEEZZNS1_27merge_sort_block_merge_implIS3_PlPS5_mZN2at6native12_GLOBAL__N_124unique_dim_cuda_templateIaEESt5tupleIJNSA_6TensorESF_SF_EERKSF_lbbbEUlllE_EE10hipError_tT0_T1_T2_jT3_P12ihipStream_tbPNSt15iterator_traitsISL_E10value_typeEPNSR_ISM_E10value_typeEPSN_NS1_7vsmem_tEENKUlT_SL_SM_SN_E_clIS8_S8_S9_S9_EESK_S10_SL_SM_SN_EUlS10_E1_NS1_11comp_targetILNS1_3genE3ELNS1_11target_archE908ELNS1_3gpuE7ELNS1_3repE0EEENS1_36merge_oddeven_config_static_selectorELNS0_4arch9wavefront6targetE1EEEvSM_.has_indirect_call, 0
	.section	.AMDGPU.csdata,"",@progbits
; Kernel info:
; codeLenInByte = 0
; TotalNumSgprs: 6
; NumVgprs: 0
; NumAgprs: 0
; TotalNumVgprs: 0
; ScratchSize: 0
; MemoryBound: 0
; FloatMode: 240
; IeeeMode: 1
; LDSByteSize: 0 bytes/workgroup (compile time only)
; SGPRBlocks: 0
; VGPRBlocks: 0
; NumSGPRsForWavesPerEU: 6
; NumVGPRsForWavesPerEU: 1
; AccumOffset: 4
; Occupancy: 8
; WaveLimiterHint : 0
; COMPUTE_PGM_RSRC2:SCRATCH_EN: 0
; COMPUTE_PGM_RSRC2:USER_SGPR: 2
; COMPUTE_PGM_RSRC2:TRAP_HANDLER: 0
; COMPUTE_PGM_RSRC2:TGID_X_EN: 1
; COMPUTE_PGM_RSRC2:TGID_Y_EN: 0
; COMPUTE_PGM_RSRC2:TGID_Z_EN: 0
; COMPUTE_PGM_RSRC2:TIDIG_COMP_CNT: 0
; COMPUTE_PGM_RSRC3_GFX90A:ACCUM_OFFSET: 0
; COMPUTE_PGM_RSRC3_GFX90A:TG_SPLIT: 0
	.section	.text._ZN7rocprim17ROCPRIM_400000_NS6detail17trampoline_kernelINS0_14default_configENS1_38merge_sort_block_merge_config_selectorIlNS0_10empty_typeEEEZZNS1_27merge_sort_block_merge_implIS3_PlPS5_mZN2at6native12_GLOBAL__N_124unique_dim_cuda_templateIaEESt5tupleIJNSA_6TensorESF_SF_EERKSF_lbbbEUlllE_EE10hipError_tT0_T1_T2_jT3_P12ihipStream_tbPNSt15iterator_traitsISL_E10value_typeEPNSR_ISM_E10value_typeEPSN_NS1_7vsmem_tEENKUlT_SL_SM_SN_E_clIS8_S8_S9_S9_EESK_S10_SL_SM_SN_EUlS10_E1_NS1_11comp_targetILNS1_3genE2ELNS1_11target_archE906ELNS1_3gpuE6ELNS1_3repE0EEENS1_36merge_oddeven_config_static_selectorELNS0_4arch9wavefront6targetE1EEEvSM_,"axG",@progbits,_ZN7rocprim17ROCPRIM_400000_NS6detail17trampoline_kernelINS0_14default_configENS1_38merge_sort_block_merge_config_selectorIlNS0_10empty_typeEEEZZNS1_27merge_sort_block_merge_implIS3_PlPS5_mZN2at6native12_GLOBAL__N_124unique_dim_cuda_templateIaEESt5tupleIJNSA_6TensorESF_SF_EERKSF_lbbbEUlllE_EE10hipError_tT0_T1_T2_jT3_P12ihipStream_tbPNSt15iterator_traitsISL_E10value_typeEPNSR_ISM_E10value_typeEPSN_NS1_7vsmem_tEENKUlT_SL_SM_SN_E_clIS8_S8_S9_S9_EESK_S10_SL_SM_SN_EUlS10_E1_NS1_11comp_targetILNS1_3genE2ELNS1_11target_archE906ELNS1_3gpuE6ELNS1_3repE0EEENS1_36merge_oddeven_config_static_selectorELNS0_4arch9wavefront6targetE1EEEvSM_,comdat
	.globl	_ZN7rocprim17ROCPRIM_400000_NS6detail17trampoline_kernelINS0_14default_configENS1_38merge_sort_block_merge_config_selectorIlNS0_10empty_typeEEEZZNS1_27merge_sort_block_merge_implIS3_PlPS5_mZN2at6native12_GLOBAL__N_124unique_dim_cuda_templateIaEESt5tupleIJNSA_6TensorESF_SF_EERKSF_lbbbEUlllE_EE10hipError_tT0_T1_T2_jT3_P12ihipStream_tbPNSt15iterator_traitsISL_E10value_typeEPNSR_ISM_E10value_typeEPSN_NS1_7vsmem_tEENKUlT_SL_SM_SN_E_clIS8_S8_S9_S9_EESK_S10_SL_SM_SN_EUlS10_E1_NS1_11comp_targetILNS1_3genE2ELNS1_11target_archE906ELNS1_3gpuE6ELNS1_3repE0EEENS1_36merge_oddeven_config_static_selectorELNS0_4arch9wavefront6targetE1EEEvSM_ ; -- Begin function _ZN7rocprim17ROCPRIM_400000_NS6detail17trampoline_kernelINS0_14default_configENS1_38merge_sort_block_merge_config_selectorIlNS0_10empty_typeEEEZZNS1_27merge_sort_block_merge_implIS3_PlPS5_mZN2at6native12_GLOBAL__N_124unique_dim_cuda_templateIaEESt5tupleIJNSA_6TensorESF_SF_EERKSF_lbbbEUlllE_EE10hipError_tT0_T1_T2_jT3_P12ihipStream_tbPNSt15iterator_traitsISL_E10value_typeEPNSR_ISM_E10value_typeEPSN_NS1_7vsmem_tEENKUlT_SL_SM_SN_E_clIS8_S8_S9_S9_EESK_S10_SL_SM_SN_EUlS10_E1_NS1_11comp_targetILNS1_3genE2ELNS1_11target_archE906ELNS1_3gpuE6ELNS1_3repE0EEENS1_36merge_oddeven_config_static_selectorELNS0_4arch9wavefront6targetE1EEEvSM_
	.p2align	8
	.type	_ZN7rocprim17ROCPRIM_400000_NS6detail17trampoline_kernelINS0_14default_configENS1_38merge_sort_block_merge_config_selectorIlNS0_10empty_typeEEEZZNS1_27merge_sort_block_merge_implIS3_PlPS5_mZN2at6native12_GLOBAL__N_124unique_dim_cuda_templateIaEESt5tupleIJNSA_6TensorESF_SF_EERKSF_lbbbEUlllE_EE10hipError_tT0_T1_T2_jT3_P12ihipStream_tbPNSt15iterator_traitsISL_E10value_typeEPNSR_ISM_E10value_typeEPSN_NS1_7vsmem_tEENKUlT_SL_SM_SN_E_clIS8_S8_S9_S9_EESK_S10_SL_SM_SN_EUlS10_E1_NS1_11comp_targetILNS1_3genE2ELNS1_11target_archE906ELNS1_3gpuE6ELNS1_3repE0EEENS1_36merge_oddeven_config_static_selectorELNS0_4arch9wavefront6targetE1EEEvSM_,@function
_ZN7rocprim17ROCPRIM_400000_NS6detail17trampoline_kernelINS0_14default_configENS1_38merge_sort_block_merge_config_selectorIlNS0_10empty_typeEEEZZNS1_27merge_sort_block_merge_implIS3_PlPS5_mZN2at6native12_GLOBAL__N_124unique_dim_cuda_templateIaEESt5tupleIJNSA_6TensorESF_SF_EERKSF_lbbbEUlllE_EE10hipError_tT0_T1_T2_jT3_P12ihipStream_tbPNSt15iterator_traitsISL_E10value_typeEPNSR_ISM_E10value_typeEPSN_NS1_7vsmem_tEENKUlT_SL_SM_SN_E_clIS8_S8_S9_S9_EESK_S10_SL_SM_SN_EUlS10_E1_NS1_11comp_targetILNS1_3genE2ELNS1_11target_archE906ELNS1_3gpuE6ELNS1_3repE0EEENS1_36merge_oddeven_config_static_selectorELNS0_4arch9wavefront6targetE1EEEvSM_: ; @_ZN7rocprim17ROCPRIM_400000_NS6detail17trampoline_kernelINS0_14default_configENS1_38merge_sort_block_merge_config_selectorIlNS0_10empty_typeEEEZZNS1_27merge_sort_block_merge_implIS3_PlPS5_mZN2at6native12_GLOBAL__N_124unique_dim_cuda_templateIaEESt5tupleIJNSA_6TensorESF_SF_EERKSF_lbbbEUlllE_EE10hipError_tT0_T1_T2_jT3_P12ihipStream_tbPNSt15iterator_traitsISL_E10value_typeEPNSR_ISM_E10value_typeEPSN_NS1_7vsmem_tEENKUlT_SL_SM_SN_E_clIS8_S8_S9_S9_EESK_S10_SL_SM_SN_EUlS10_E1_NS1_11comp_targetILNS1_3genE2ELNS1_11target_archE906ELNS1_3gpuE6ELNS1_3repE0EEENS1_36merge_oddeven_config_static_selectorELNS0_4arch9wavefront6targetE1EEEvSM_
; %bb.0:
	.section	.rodata,"a",@progbits
	.p2align	6, 0x0
	.amdhsa_kernel _ZN7rocprim17ROCPRIM_400000_NS6detail17trampoline_kernelINS0_14default_configENS1_38merge_sort_block_merge_config_selectorIlNS0_10empty_typeEEEZZNS1_27merge_sort_block_merge_implIS3_PlPS5_mZN2at6native12_GLOBAL__N_124unique_dim_cuda_templateIaEESt5tupleIJNSA_6TensorESF_SF_EERKSF_lbbbEUlllE_EE10hipError_tT0_T1_T2_jT3_P12ihipStream_tbPNSt15iterator_traitsISL_E10value_typeEPNSR_ISM_E10value_typeEPSN_NS1_7vsmem_tEENKUlT_SL_SM_SN_E_clIS8_S8_S9_S9_EESK_S10_SL_SM_SN_EUlS10_E1_NS1_11comp_targetILNS1_3genE2ELNS1_11target_archE906ELNS1_3gpuE6ELNS1_3repE0EEENS1_36merge_oddeven_config_static_selectorELNS0_4arch9wavefront6targetE1EEEvSM_
		.amdhsa_group_segment_fixed_size 0
		.amdhsa_private_segment_fixed_size 0
		.amdhsa_kernarg_size 64
		.amdhsa_user_sgpr_count 2
		.amdhsa_user_sgpr_dispatch_ptr 0
		.amdhsa_user_sgpr_queue_ptr 0
		.amdhsa_user_sgpr_kernarg_segment_ptr 1
		.amdhsa_user_sgpr_dispatch_id 0
		.amdhsa_user_sgpr_kernarg_preload_length 0
		.amdhsa_user_sgpr_kernarg_preload_offset 0
		.amdhsa_user_sgpr_private_segment_size 0
		.amdhsa_uses_dynamic_stack 0
		.amdhsa_enable_private_segment 0
		.amdhsa_system_sgpr_workgroup_id_x 1
		.amdhsa_system_sgpr_workgroup_id_y 0
		.amdhsa_system_sgpr_workgroup_id_z 0
		.amdhsa_system_sgpr_workgroup_info 0
		.amdhsa_system_vgpr_workitem_id 0
		.amdhsa_next_free_vgpr 1
		.amdhsa_next_free_sgpr 0
		.amdhsa_accum_offset 4
		.amdhsa_reserve_vcc 0
		.amdhsa_float_round_mode_32 0
		.amdhsa_float_round_mode_16_64 0
		.amdhsa_float_denorm_mode_32 3
		.amdhsa_float_denorm_mode_16_64 3
		.amdhsa_dx10_clamp 1
		.amdhsa_ieee_mode 1
		.amdhsa_fp16_overflow 0
		.amdhsa_tg_split 0
		.amdhsa_exception_fp_ieee_invalid_op 0
		.amdhsa_exception_fp_denorm_src 0
		.amdhsa_exception_fp_ieee_div_zero 0
		.amdhsa_exception_fp_ieee_overflow 0
		.amdhsa_exception_fp_ieee_underflow 0
		.amdhsa_exception_fp_ieee_inexact 0
		.amdhsa_exception_int_div_zero 0
	.end_amdhsa_kernel
	.section	.text._ZN7rocprim17ROCPRIM_400000_NS6detail17trampoline_kernelINS0_14default_configENS1_38merge_sort_block_merge_config_selectorIlNS0_10empty_typeEEEZZNS1_27merge_sort_block_merge_implIS3_PlPS5_mZN2at6native12_GLOBAL__N_124unique_dim_cuda_templateIaEESt5tupleIJNSA_6TensorESF_SF_EERKSF_lbbbEUlllE_EE10hipError_tT0_T1_T2_jT3_P12ihipStream_tbPNSt15iterator_traitsISL_E10value_typeEPNSR_ISM_E10value_typeEPSN_NS1_7vsmem_tEENKUlT_SL_SM_SN_E_clIS8_S8_S9_S9_EESK_S10_SL_SM_SN_EUlS10_E1_NS1_11comp_targetILNS1_3genE2ELNS1_11target_archE906ELNS1_3gpuE6ELNS1_3repE0EEENS1_36merge_oddeven_config_static_selectorELNS0_4arch9wavefront6targetE1EEEvSM_,"axG",@progbits,_ZN7rocprim17ROCPRIM_400000_NS6detail17trampoline_kernelINS0_14default_configENS1_38merge_sort_block_merge_config_selectorIlNS0_10empty_typeEEEZZNS1_27merge_sort_block_merge_implIS3_PlPS5_mZN2at6native12_GLOBAL__N_124unique_dim_cuda_templateIaEESt5tupleIJNSA_6TensorESF_SF_EERKSF_lbbbEUlllE_EE10hipError_tT0_T1_T2_jT3_P12ihipStream_tbPNSt15iterator_traitsISL_E10value_typeEPNSR_ISM_E10value_typeEPSN_NS1_7vsmem_tEENKUlT_SL_SM_SN_E_clIS8_S8_S9_S9_EESK_S10_SL_SM_SN_EUlS10_E1_NS1_11comp_targetILNS1_3genE2ELNS1_11target_archE906ELNS1_3gpuE6ELNS1_3repE0EEENS1_36merge_oddeven_config_static_selectorELNS0_4arch9wavefront6targetE1EEEvSM_,comdat
.Lfunc_end291:
	.size	_ZN7rocprim17ROCPRIM_400000_NS6detail17trampoline_kernelINS0_14default_configENS1_38merge_sort_block_merge_config_selectorIlNS0_10empty_typeEEEZZNS1_27merge_sort_block_merge_implIS3_PlPS5_mZN2at6native12_GLOBAL__N_124unique_dim_cuda_templateIaEESt5tupleIJNSA_6TensorESF_SF_EERKSF_lbbbEUlllE_EE10hipError_tT0_T1_T2_jT3_P12ihipStream_tbPNSt15iterator_traitsISL_E10value_typeEPNSR_ISM_E10value_typeEPSN_NS1_7vsmem_tEENKUlT_SL_SM_SN_E_clIS8_S8_S9_S9_EESK_S10_SL_SM_SN_EUlS10_E1_NS1_11comp_targetILNS1_3genE2ELNS1_11target_archE906ELNS1_3gpuE6ELNS1_3repE0EEENS1_36merge_oddeven_config_static_selectorELNS0_4arch9wavefront6targetE1EEEvSM_, .Lfunc_end291-_ZN7rocprim17ROCPRIM_400000_NS6detail17trampoline_kernelINS0_14default_configENS1_38merge_sort_block_merge_config_selectorIlNS0_10empty_typeEEEZZNS1_27merge_sort_block_merge_implIS3_PlPS5_mZN2at6native12_GLOBAL__N_124unique_dim_cuda_templateIaEESt5tupleIJNSA_6TensorESF_SF_EERKSF_lbbbEUlllE_EE10hipError_tT0_T1_T2_jT3_P12ihipStream_tbPNSt15iterator_traitsISL_E10value_typeEPNSR_ISM_E10value_typeEPSN_NS1_7vsmem_tEENKUlT_SL_SM_SN_E_clIS8_S8_S9_S9_EESK_S10_SL_SM_SN_EUlS10_E1_NS1_11comp_targetILNS1_3genE2ELNS1_11target_archE906ELNS1_3gpuE6ELNS1_3repE0EEENS1_36merge_oddeven_config_static_selectorELNS0_4arch9wavefront6targetE1EEEvSM_
                                        ; -- End function
	.set _ZN7rocprim17ROCPRIM_400000_NS6detail17trampoline_kernelINS0_14default_configENS1_38merge_sort_block_merge_config_selectorIlNS0_10empty_typeEEEZZNS1_27merge_sort_block_merge_implIS3_PlPS5_mZN2at6native12_GLOBAL__N_124unique_dim_cuda_templateIaEESt5tupleIJNSA_6TensorESF_SF_EERKSF_lbbbEUlllE_EE10hipError_tT0_T1_T2_jT3_P12ihipStream_tbPNSt15iterator_traitsISL_E10value_typeEPNSR_ISM_E10value_typeEPSN_NS1_7vsmem_tEENKUlT_SL_SM_SN_E_clIS8_S8_S9_S9_EESK_S10_SL_SM_SN_EUlS10_E1_NS1_11comp_targetILNS1_3genE2ELNS1_11target_archE906ELNS1_3gpuE6ELNS1_3repE0EEENS1_36merge_oddeven_config_static_selectorELNS0_4arch9wavefront6targetE1EEEvSM_.num_vgpr, 0
	.set _ZN7rocprim17ROCPRIM_400000_NS6detail17trampoline_kernelINS0_14default_configENS1_38merge_sort_block_merge_config_selectorIlNS0_10empty_typeEEEZZNS1_27merge_sort_block_merge_implIS3_PlPS5_mZN2at6native12_GLOBAL__N_124unique_dim_cuda_templateIaEESt5tupleIJNSA_6TensorESF_SF_EERKSF_lbbbEUlllE_EE10hipError_tT0_T1_T2_jT3_P12ihipStream_tbPNSt15iterator_traitsISL_E10value_typeEPNSR_ISM_E10value_typeEPSN_NS1_7vsmem_tEENKUlT_SL_SM_SN_E_clIS8_S8_S9_S9_EESK_S10_SL_SM_SN_EUlS10_E1_NS1_11comp_targetILNS1_3genE2ELNS1_11target_archE906ELNS1_3gpuE6ELNS1_3repE0EEENS1_36merge_oddeven_config_static_selectorELNS0_4arch9wavefront6targetE1EEEvSM_.num_agpr, 0
	.set _ZN7rocprim17ROCPRIM_400000_NS6detail17trampoline_kernelINS0_14default_configENS1_38merge_sort_block_merge_config_selectorIlNS0_10empty_typeEEEZZNS1_27merge_sort_block_merge_implIS3_PlPS5_mZN2at6native12_GLOBAL__N_124unique_dim_cuda_templateIaEESt5tupleIJNSA_6TensorESF_SF_EERKSF_lbbbEUlllE_EE10hipError_tT0_T1_T2_jT3_P12ihipStream_tbPNSt15iterator_traitsISL_E10value_typeEPNSR_ISM_E10value_typeEPSN_NS1_7vsmem_tEENKUlT_SL_SM_SN_E_clIS8_S8_S9_S9_EESK_S10_SL_SM_SN_EUlS10_E1_NS1_11comp_targetILNS1_3genE2ELNS1_11target_archE906ELNS1_3gpuE6ELNS1_3repE0EEENS1_36merge_oddeven_config_static_selectorELNS0_4arch9wavefront6targetE1EEEvSM_.numbered_sgpr, 0
	.set _ZN7rocprim17ROCPRIM_400000_NS6detail17trampoline_kernelINS0_14default_configENS1_38merge_sort_block_merge_config_selectorIlNS0_10empty_typeEEEZZNS1_27merge_sort_block_merge_implIS3_PlPS5_mZN2at6native12_GLOBAL__N_124unique_dim_cuda_templateIaEESt5tupleIJNSA_6TensorESF_SF_EERKSF_lbbbEUlllE_EE10hipError_tT0_T1_T2_jT3_P12ihipStream_tbPNSt15iterator_traitsISL_E10value_typeEPNSR_ISM_E10value_typeEPSN_NS1_7vsmem_tEENKUlT_SL_SM_SN_E_clIS8_S8_S9_S9_EESK_S10_SL_SM_SN_EUlS10_E1_NS1_11comp_targetILNS1_3genE2ELNS1_11target_archE906ELNS1_3gpuE6ELNS1_3repE0EEENS1_36merge_oddeven_config_static_selectorELNS0_4arch9wavefront6targetE1EEEvSM_.num_named_barrier, 0
	.set _ZN7rocprim17ROCPRIM_400000_NS6detail17trampoline_kernelINS0_14default_configENS1_38merge_sort_block_merge_config_selectorIlNS0_10empty_typeEEEZZNS1_27merge_sort_block_merge_implIS3_PlPS5_mZN2at6native12_GLOBAL__N_124unique_dim_cuda_templateIaEESt5tupleIJNSA_6TensorESF_SF_EERKSF_lbbbEUlllE_EE10hipError_tT0_T1_T2_jT3_P12ihipStream_tbPNSt15iterator_traitsISL_E10value_typeEPNSR_ISM_E10value_typeEPSN_NS1_7vsmem_tEENKUlT_SL_SM_SN_E_clIS8_S8_S9_S9_EESK_S10_SL_SM_SN_EUlS10_E1_NS1_11comp_targetILNS1_3genE2ELNS1_11target_archE906ELNS1_3gpuE6ELNS1_3repE0EEENS1_36merge_oddeven_config_static_selectorELNS0_4arch9wavefront6targetE1EEEvSM_.private_seg_size, 0
	.set _ZN7rocprim17ROCPRIM_400000_NS6detail17trampoline_kernelINS0_14default_configENS1_38merge_sort_block_merge_config_selectorIlNS0_10empty_typeEEEZZNS1_27merge_sort_block_merge_implIS3_PlPS5_mZN2at6native12_GLOBAL__N_124unique_dim_cuda_templateIaEESt5tupleIJNSA_6TensorESF_SF_EERKSF_lbbbEUlllE_EE10hipError_tT0_T1_T2_jT3_P12ihipStream_tbPNSt15iterator_traitsISL_E10value_typeEPNSR_ISM_E10value_typeEPSN_NS1_7vsmem_tEENKUlT_SL_SM_SN_E_clIS8_S8_S9_S9_EESK_S10_SL_SM_SN_EUlS10_E1_NS1_11comp_targetILNS1_3genE2ELNS1_11target_archE906ELNS1_3gpuE6ELNS1_3repE0EEENS1_36merge_oddeven_config_static_selectorELNS0_4arch9wavefront6targetE1EEEvSM_.uses_vcc, 0
	.set _ZN7rocprim17ROCPRIM_400000_NS6detail17trampoline_kernelINS0_14default_configENS1_38merge_sort_block_merge_config_selectorIlNS0_10empty_typeEEEZZNS1_27merge_sort_block_merge_implIS3_PlPS5_mZN2at6native12_GLOBAL__N_124unique_dim_cuda_templateIaEESt5tupleIJNSA_6TensorESF_SF_EERKSF_lbbbEUlllE_EE10hipError_tT0_T1_T2_jT3_P12ihipStream_tbPNSt15iterator_traitsISL_E10value_typeEPNSR_ISM_E10value_typeEPSN_NS1_7vsmem_tEENKUlT_SL_SM_SN_E_clIS8_S8_S9_S9_EESK_S10_SL_SM_SN_EUlS10_E1_NS1_11comp_targetILNS1_3genE2ELNS1_11target_archE906ELNS1_3gpuE6ELNS1_3repE0EEENS1_36merge_oddeven_config_static_selectorELNS0_4arch9wavefront6targetE1EEEvSM_.uses_flat_scratch, 0
	.set _ZN7rocprim17ROCPRIM_400000_NS6detail17trampoline_kernelINS0_14default_configENS1_38merge_sort_block_merge_config_selectorIlNS0_10empty_typeEEEZZNS1_27merge_sort_block_merge_implIS3_PlPS5_mZN2at6native12_GLOBAL__N_124unique_dim_cuda_templateIaEESt5tupleIJNSA_6TensorESF_SF_EERKSF_lbbbEUlllE_EE10hipError_tT0_T1_T2_jT3_P12ihipStream_tbPNSt15iterator_traitsISL_E10value_typeEPNSR_ISM_E10value_typeEPSN_NS1_7vsmem_tEENKUlT_SL_SM_SN_E_clIS8_S8_S9_S9_EESK_S10_SL_SM_SN_EUlS10_E1_NS1_11comp_targetILNS1_3genE2ELNS1_11target_archE906ELNS1_3gpuE6ELNS1_3repE0EEENS1_36merge_oddeven_config_static_selectorELNS0_4arch9wavefront6targetE1EEEvSM_.has_dyn_sized_stack, 0
	.set _ZN7rocprim17ROCPRIM_400000_NS6detail17trampoline_kernelINS0_14default_configENS1_38merge_sort_block_merge_config_selectorIlNS0_10empty_typeEEEZZNS1_27merge_sort_block_merge_implIS3_PlPS5_mZN2at6native12_GLOBAL__N_124unique_dim_cuda_templateIaEESt5tupleIJNSA_6TensorESF_SF_EERKSF_lbbbEUlllE_EE10hipError_tT0_T1_T2_jT3_P12ihipStream_tbPNSt15iterator_traitsISL_E10value_typeEPNSR_ISM_E10value_typeEPSN_NS1_7vsmem_tEENKUlT_SL_SM_SN_E_clIS8_S8_S9_S9_EESK_S10_SL_SM_SN_EUlS10_E1_NS1_11comp_targetILNS1_3genE2ELNS1_11target_archE906ELNS1_3gpuE6ELNS1_3repE0EEENS1_36merge_oddeven_config_static_selectorELNS0_4arch9wavefront6targetE1EEEvSM_.has_recursion, 0
	.set _ZN7rocprim17ROCPRIM_400000_NS6detail17trampoline_kernelINS0_14default_configENS1_38merge_sort_block_merge_config_selectorIlNS0_10empty_typeEEEZZNS1_27merge_sort_block_merge_implIS3_PlPS5_mZN2at6native12_GLOBAL__N_124unique_dim_cuda_templateIaEESt5tupleIJNSA_6TensorESF_SF_EERKSF_lbbbEUlllE_EE10hipError_tT0_T1_T2_jT3_P12ihipStream_tbPNSt15iterator_traitsISL_E10value_typeEPNSR_ISM_E10value_typeEPSN_NS1_7vsmem_tEENKUlT_SL_SM_SN_E_clIS8_S8_S9_S9_EESK_S10_SL_SM_SN_EUlS10_E1_NS1_11comp_targetILNS1_3genE2ELNS1_11target_archE906ELNS1_3gpuE6ELNS1_3repE0EEENS1_36merge_oddeven_config_static_selectorELNS0_4arch9wavefront6targetE1EEEvSM_.has_indirect_call, 0
	.section	.AMDGPU.csdata,"",@progbits
; Kernel info:
; codeLenInByte = 0
; TotalNumSgprs: 6
; NumVgprs: 0
; NumAgprs: 0
; TotalNumVgprs: 0
; ScratchSize: 0
; MemoryBound: 0
; FloatMode: 240
; IeeeMode: 1
; LDSByteSize: 0 bytes/workgroup (compile time only)
; SGPRBlocks: 0
; VGPRBlocks: 0
; NumSGPRsForWavesPerEU: 6
; NumVGPRsForWavesPerEU: 1
; AccumOffset: 4
; Occupancy: 8
; WaveLimiterHint : 0
; COMPUTE_PGM_RSRC2:SCRATCH_EN: 0
; COMPUTE_PGM_RSRC2:USER_SGPR: 2
; COMPUTE_PGM_RSRC2:TRAP_HANDLER: 0
; COMPUTE_PGM_RSRC2:TGID_X_EN: 1
; COMPUTE_PGM_RSRC2:TGID_Y_EN: 0
; COMPUTE_PGM_RSRC2:TGID_Z_EN: 0
; COMPUTE_PGM_RSRC2:TIDIG_COMP_CNT: 0
; COMPUTE_PGM_RSRC3_GFX90A:ACCUM_OFFSET: 0
; COMPUTE_PGM_RSRC3_GFX90A:TG_SPLIT: 0
	.section	.text._ZN7rocprim17ROCPRIM_400000_NS6detail17trampoline_kernelINS0_14default_configENS1_38merge_sort_block_merge_config_selectorIlNS0_10empty_typeEEEZZNS1_27merge_sort_block_merge_implIS3_PlPS5_mZN2at6native12_GLOBAL__N_124unique_dim_cuda_templateIaEESt5tupleIJNSA_6TensorESF_SF_EERKSF_lbbbEUlllE_EE10hipError_tT0_T1_T2_jT3_P12ihipStream_tbPNSt15iterator_traitsISL_E10value_typeEPNSR_ISM_E10value_typeEPSN_NS1_7vsmem_tEENKUlT_SL_SM_SN_E_clIS8_S8_S9_S9_EESK_S10_SL_SM_SN_EUlS10_E1_NS1_11comp_targetILNS1_3genE9ELNS1_11target_archE1100ELNS1_3gpuE3ELNS1_3repE0EEENS1_36merge_oddeven_config_static_selectorELNS0_4arch9wavefront6targetE1EEEvSM_,"axG",@progbits,_ZN7rocprim17ROCPRIM_400000_NS6detail17trampoline_kernelINS0_14default_configENS1_38merge_sort_block_merge_config_selectorIlNS0_10empty_typeEEEZZNS1_27merge_sort_block_merge_implIS3_PlPS5_mZN2at6native12_GLOBAL__N_124unique_dim_cuda_templateIaEESt5tupleIJNSA_6TensorESF_SF_EERKSF_lbbbEUlllE_EE10hipError_tT0_T1_T2_jT3_P12ihipStream_tbPNSt15iterator_traitsISL_E10value_typeEPNSR_ISM_E10value_typeEPSN_NS1_7vsmem_tEENKUlT_SL_SM_SN_E_clIS8_S8_S9_S9_EESK_S10_SL_SM_SN_EUlS10_E1_NS1_11comp_targetILNS1_3genE9ELNS1_11target_archE1100ELNS1_3gpuE3ELNS1_3repE0EEENS1_36merge_oddeven_config_static_selectorELNS0_4arch9wavefront6targetE1EEEvSM_,comdat
	.globl	_ZN7rocprim17ROCPRIM_400000_NS6detail17trampoline_kernelINS0_14default_configENS1_38merge_sort_block_merge_config_selectorIlNS0_10empty_typeEEEZZNS1_27merge_sort_block_merge_implIS3_PlPS5_mZN2at6native12_GLOBAL__N_124unique_dim_cuda_templateIaEESt5tupleIJNSA_6TensorESF_SF_EERKSF_lbbbEUlllE_EE10hipError_tT0_T1_T2_jT3_P12ihipStream_tbPNSt15iterator_traitsISL_E10value_typeEPNSR_ISM_E10value_typeEPSN_NS1_7vsmem_tEENKUlT_SL_SM_SN_E_clIS8_S8_S9_S9_EESK_S10_SL_SM_SN_EUlS10_E1_NS1_11comp_targetILNS1_3genE9ELNS1_11target_archE1100ELNS1_3gpuE3ELNS1_3repE0EEENS1_36merge_oddeven_config_static_selectorELNS0_4arch9wavefront6targetE1EEEvSM_ ; -- Begin function _ZN7rocprim17ROCPRIM_400000_NS6detail17trampoline_kernelINS0_14default_configENS1_38merge_sort_block_merge_config_selectorIlNS0_10empty_typeEEEZZNS1_27merge_sort_block_merge_implIS3_PlPS5_mZN2at6native12_GLOBAL__N_124unique_dim_cuda_templateIaEESt5tupleIJNSA_6TensorESF_SF_EERKSF_lbbbEUlllE_EE10hipError_tT0_T1_T2_jT3_P12ihipStream_tbPNSt15iterator_traitsISL_E10value_typeEPNSR_ISM_E10value_typeEPSN_NS1_7vsmem_tEENKUlT_SL_SM_SN_E_clIS8_S8_S9_S9_EESK_S10_SL_SM_SN_EUlS10_E1_NS1_11comp_targetILNS1_3genE9ELNS1_11target_archE1100ELNS1_3gpuE3ELNS1_3repE0EEENS1_36merge_oddeven_config_static_selectorELNS0_4arch9wavefront6targetE1EEEvSM_
	.p2align	8
	.type	_ZN7rocprim17ROCPRIM_400000_NS6detail17trampoline_kernelINS0_14default_configENS1_38merge_sort_block_merge_config_selectorIlNS0_10empty_typeEEEZZNS1_27merge_sort_block_merge_implIS3_PlPS5_mZN2at6native12_GLOBAL__N_124unique_dim_cuda_templateIaEESt5tupleIJNSA_6TensorESF_SF_EERKSF_lbbbEUlllE_EE10hipError_tT0_T1_T2_jT3_P12ihipStream_tbPNSt15iterator_traitsISL_E10value_typeEPNSR_ISM_E10value_typeEPSN_NS1_7vsmem_tEENKUlT_SL_SM_SN_E_clIS8_S8_S9_S9_EESK_S10_SL_SM_SN_EUlS10_E1_NS1_11comp_targetILNS1_3genE9ELNS1_11target_archE1100ELNS1_3gpuE3ELNS1_3repE0EEENS1_36merge_oddeven_config_static_selectorELNS0_4arch9wavefront6targetE1EEEvSM_,@function
_ZN7rocprim17ROCPRIM_400000_NS6detail17trampoline_kernelINS0_14default_configENS1_38merge_sort_block_merge_config_selectorIlNS0_10empty_typeEEEZZNS1_27merge_sort_block_merge_implIS3_PlPS5_mZN2at6native12_GLOBAL__N_124unique_dim_cuda_templateIaEESt5tupleIJNSA_6TensorESF_SF_EERKSF_lbbbEUlllE_EE10hipError_tT0_T1_T2_jT3_P12ihipStream_tbPNSt15iterator_traitsISL_E10value_typeEPNSR_ISM_E10value_typeEPSN_NS1_7vsmem_tEENKUlT_SL_SM_SN_E_clIS8_S8_S9_S9_EESK_S10_SL_SM_SN_EUlS10_E1_NS1_11comp_targetILNS1_3genE9ELNS1_11target_archE1100ELNS1_3gpuE3ELNS1_3repE0EEENS1_36merge_oddeven_config_static_selectorELNS0_4arch9wavefront6targetE1EEEvSM_: ; @_ZN7rocprim17ROCPRIM_400000_NS6detail17trampoline_kernelINS0_14default_configENS1_38merge_sort_block_merge_config_selectorIlNS0_10empty_typeEEEZZNS1_27merge_sort_block_merge_implIS3_PlPS5_mZN2at6native12_GLOBAL__N_124unique_dim_cuda_templateIaEESt5tupleIJNSA_6TensorESF_SF_EERKSF_lbbbEUlllE_EE10hipError_tT0_T1_T2_jT3_P12ihipStream_tbPNSt15iterator_traitsISL_E10value_typeEPNSR_ISM_E10value_typeEPSN_NS1_7vsmem_tEENKUlT_SL_SM_SN_E_clIS8_S8_S9_S9_EESK_S10_SL_SM_SN_EUlS10_E1_NS1_11comp_targetILNS1_3genE9ELNS1_11target_archE1100ELNS1_3gpuE3ELNS1_3repE0EEENS1_36merge_oddeven_config_static_selectorELNS0_4arch9wavefront6targetE1EEEvSM_
; %bb.0:
	.section	.rodata,"a",@progbits
	.p2align	6, 0x0
	.amdhsa_kernel _ZN7rocprim17ROCPRIM_400000_NS6detail17trampoline_kernelINS0_14default_configENS1_38merge_sort_block_merge_config_selectorIlNS0_10empty_typeEEEZZNS1_27merge_sort_block_merge_implIS3_PlPS5_mZN2at6native12_GLOBAL__N_124unique_dim_cuda_templateIaEESt5tupleIJNSA_6TensorESF_SF_EERKSF_lbbbEUlllE_EE10hipError_tT0_T1_T2_jT3_P12ihipStream_tbPNSt15iterator_traitsISL_E10value_typeEPNSR_ISM_E10value_typeEPSN_NS1_7vsmem_tEENKUlT_SL_SM_SN_E_clIS8_S8_S9_S9_EESK_S10_SL_SM_SN_EUlS10_E1_NS1_11comp_targetILNS1_3genE9ELNS1_11target_archE1100ELNS1_3gpuE3ELNS1_3repE0EEENS1_36merge_oddeven_config_static_selectorELNS0_4arch9wavefront6targetE1EEEvSM_
		.amdhsa_group_segment_fixed_size 0
		.amdhsa_private_segment_fixed_size 0
		.amdhsa_kernarg_size 64
		.amdhsa_user_sgpr_count 2
		.amdhsa_user_sgpr_dispatch_ptr 0
		.amdhsa_user_sgpr_queue_ptr 0
		.amdhsa_user_sgpr_kernarg_segment_ptr 1
		.amdhsa_user_sgpr_dispatch_id 0
		.amdhsa_user_sgpr_kernarg_preload_length 0
		.amdhsa_user_sgpr_kernarg_preload_offset 0
		.amdhsa_user_sgpr_private_segment_size 0
		.amdhsa_uses_dynamic_stack 0
		.amdhsa_enable_private_segment 0
		.amdhsa_system_sgpr_workgroup_id_x 1
		.amdhsa_system_sgpr_workgroup_id_y 0
		.amdhsa_system_sgpr_workgroup_id_z 0
		.amdhsa_system_sgpr_workgroup_info 0
		.amdhsa_system_vgpr_workitem_id 0
		.amdhsa_next_free_vgpr 1
		.amdhsa_next_free_sgpr 0
		.amdhsa_accum_offset 4
		.amdhsa_reserve_vcc 0
		.amdhsa_float_round_mode_32 0
		.amdhsa_float_round_mode_16_64 0
		.amdhsa_float_denorm_mode_32 3
		.amdhsa_float_denorm_mode_16_64 3
		.amdhsa_dx10_clamp 1
		.amdhsa_ieee_mode 1
		.amdhsa_fp16_overflow 0
		.amdhsa_tg_split 0
		.amdhsa_exception_fp_ieee_invalid_op 0
		.amdhsa_exception_fp_denorm_src 0
		.amdhsa_exception_fp_ieee_div_zero 0
		.amdhsa_exception_fp_ieee_overflow 0
		.amdhsa_exception_fp_ieee_underflow 0
		.amdhsa_exception_fp_ieee_inexact 0
		.amdhsa_exception_int_div_zero 0
	.end_amdhsa_kernel
	.section	.text._ZN7rocprim17ROCPRIM_400000_NS6detail17trampoline_kernelINS0_14default_configENS1_38merge_sort_block_merge_config_selectorIlNS0_10empty_typeEEEZZNS1_27merge_sort_block_merge_implIS3_PlPS5_mZN2at6native12_GLOBAL__N_124unique_dim_cuda_templateIaEESt5tupleIJNSA_6TensorESF_SF_EERKSF_lbbbEUlllE_EE10hipError_tT0_T1_T2_jT3_P12ihipStream_tbPNSt15iterator_traitsISL_E10value_typeEPNSR_ISM_E10value_typeEPSN_NS1_7vsmem_tEENKUlT_SL_SM_SN_E_clIS8_S8_S9_S9_EESK_S10_SL_SM_SN_EUlS10_E1_NS1_11comp_targetILNS1_3genE9ELNS1_11target_archE1100ELNS1_3gpuE3ELNS1_3repE0EEENS1_36merge_oddeven_config_static_selectorELNS0_4arch9wavefront6targetE1EEEvSM_,"axG",@progbits,_ZN7rocprim17ROCPRIM_400000_NS6detail17trampoline_kernelINS0_14default_configENS1_38merge_sort_block_merge_config_selectorIlNS0_10empty_typeEEEZZNS1_27merge_sort_block_merge_implIS3_PlPS5_mZN2at6native12_GLOBAL__N_124unique_dim_cuda_templateIaEESt5tupleIJNSA_6TensorESF_SF_EERKSF_lbbbEUlllE_EE10hipError_tT0_T1_T2_jT3_P12ihipStream_tbPNSt15iterator_traitsISL_E10value_typeEPNSR_ISM_E10value_typeEPSN_NS1_7vsmem_tEENKUlT_SL_SM_SN_E_clIS8_S8_S9_S9_EESK_S10_SL_SM_SN_EUlS10_E1_NS1_11comp_targetILNS1_3genE9ELNS1_11target_archE1100ELNS1_3gpuE3ELNS1_3repE0EEENS1_36merge_oddeven_config_static_selectorELNS0_4arch9wavefront6targetE1EEEvSM_,comdat
.Lfunc_end292:
	.size	_ZN7rocprim17ROCPRIM_400000_NS6detail17trampoline_kernelINS0_14default_configENS1_38merge_sort_block_merge_config_selectorIlNS0_10empty_typeEEEZZNS1_27merge_sort_block_merge_implIS3_PlPS5_mZN2at6native12_GLOBAL__N_124unique_dim_cuda_templateIaEESt5tupleIJNSA_6TensorESF_SF_EERKSF_lbbbEUlllE_EE10hipError_tT0_T1_T2_jT3_P12ihipStream_tbPNSt15iterator_traitsISL_E10value_typeEPNSR_ISM_E10value_typeEPSN_NS1_7vsmem_tEENKUlT_SL_SM_SN_E_clIS8_S8_S9_S9_EESK_S10_SL_SM_SN_EUlS10_E1_NS1_11comp_targetILNS1_3genE9ELNS1_11target_archE1100ELNS1_3gpuE3ELNS1_3repE0EEENS1_36merge_oddeven_config_static_selectorELNS0_4arch9wavefront6targetE1EEEvSM_, .Lfunc_end292-_ZN7rocprim17ROCPRIM_400000_NS6detail17trampoline_kernelINS0_14default_configENS1_38merge_sort_block_merge_config_selectorIlNS0_10empty_typeEEEZZNS1_27merge_sort_block_merge_implIS3_PlPS5_mZN2at6native12_GLOBAL__N_124unique_dim_cuda_templateIaEESt5tupleIJNSA_6TensorESF_SF_EERKSF_lbbbEUlllE_EE10hipError_tT0_T1_T2_jT3_P12ihipStream_tbPNSt15iterator_traitsISL_E10value_typeEPNSR_ISM_E10value_typeEPSN_NS1_7vsmem_tEENKUlT_SL_SM_SN_E_clIS8_S8_S9_S9_EESK_S10_SL_SM_SN_EUlS10_E1_NS1_11comp_targetILNS1_3genE9ELNS1_11target_archE1100ELNS1_3gpuE3ELNS1_3repE0EEENS1_36merge_oddeven_config_static_selectorELNS0_4arch9wavefront6targetE1EEEvSM_
                                        ; -- End function
	.set _ZN7rocprim17ROCPRIM_400000_NS6detail17trampoline_kernelINS0_14default_configENS1_38merge_sort_block_merge_config_selectorIlNS0_10empty_typeEEEZZNS1_27merge_sort_block_merge_implIS3_PlPS5_mZN2at6native12_GLOBAL__N_124unique_dim_cuda_templateIaEESt5tupleIJNSA_6TensorESF_SF_EERKSF_lbbbEUlllE_EE10hipError_tT0_T1_T2_jT3_P12ihipStream_tbPNSt15iterator_traitsISL_E10value_typeEPNSR_ISM_E10value_typeEPSN_NS1_7vsmem_tEENKUlT_SL_SM_SN_E_clIS8_S8_S9_S9_EESK_S10_SL_SM_SN_EUlS10_E1_NS1_11comp_targetILNS1_3genE9ELNS1_11target_archE1100ELNS1_3gpuE3ELNS1_3repE0EEENS1_36merge_oddeven_config_static_selectorELNS0_4arch9wavefront6targetE1EEEvSM_.num_vgpr, 0
	.set _ZN7rocprim17ROCPRIM_400000_NS6detail17trampoline_kernelINS0_14default_configENS1_38merge_sort_block_merge_config_selectorIlNS0_10empty_typeEEEZZNS1_27merge_sort_block_merge_implIS3_PlPS5_mZN2at6native12_GLOBAL__N_124unique_dim_cuda_templateIaEESt5tupleIJNSA_6TensorESF_SF_EERKSF_lbbbEUlllE_EE10hipError_tT0_T1_T2_jT3_P12ihipStream_tbPNSt15iterator_traitsISL_E10value_typeEPNSR_ISM_E10value_typeEPSN_NS1_7vsmem_tEENKUlT_SL_SM_SN_E_clIS8_S8_S9_S9_EESK_S10_SL_SM_SN_EUlS10_E1_NS1_11comp_targetILNS1_3genE9ELNS1_11target_archE1100ELNS1_3gpuE3ELNS1_3repE0EEENS1_36merge_oddeven_config_static_selectorELNS0_4arch9wavefront6targetE1EEEvSM_.num_agpr, 0
	.set _ZN7rocprim17ROCPRIM_400000_NS6detail17trampoline_kernelINS0_14default_configENS1_38merge_sort_block_merge_config_selectorIlNS0_10empty_typeEEEZZNS1_27merge_sort_block_merge_implIS3_PlPS5_mZN2at6native12_GLOBAL__N_124unique_dim_cuda_templateIaEESt5tupleIJNSA_6TensorESF_SF_EERKSF_lbbbEUlllE_EE10hipError_tT0_T1_T2_jT3_P12ihipStream_tbPNSt15iterator_traitsISL_E10value_typeEPNSR_ISM_E10value_typeEPSN_NS1_7vsmem_tEENKUlT_SL_SM_SN_E_clIS8_S8_S9_S9_EESK_S10_SL_SM_SN_EUlS10_E1_NS1_11comp_targetILNS1_3genE9ELNS1_11target_archE1100ELNS1_3gpuE3ELNS1_3repE0EEENS1_36merge_oddeven_config_static_selectorELNS0_4arch9wavefront6targetE1EEEvSM_.numbered_sgpr, 0
	.set _ZN7rocprim17ROCPRIM_400000_NS6detail17trampoline_kernelINS0_14default_configENS1_38merge_sort_block_merge_config_selectorIlNS0_10empty_typeEEEZZNS1_27merge_sort_block_merge_implIS3_PlPS5_mZN2at6native12_GLOBAL__N_124unique_dim_cuda_templateIaEESt5tupleIJNSA_6TensorESF_SF_EERKSF_lbbbEUlllE_EE10hipError_tT0_T1_T2_jT3_P12ihipStream_tbPNSt15iterator_traitsISL_E10value_typeEPNSR_ISM_E10value_typeEPSN_NS1_7vsmem_tEENKUlT_SL_SM_SN_E_clIS8_S8_S9_S9_EESK_S10_SL_SM_SN_EUlS10_E1_NS1_11comp_targetILNS1_3genE9ELNS1_11target_archE1100ELNS1_3gpuE3ELNS1_3repE0EEENS1_36merge_oddeven_config_static_selectorELNS0_4arch9wavefront6targetE1EEEvSM_.num_named_barrier, 0
	.set _ZN7rocprim17ROCPRIM_400000_NS6detail17trampoline_kernelINS0_14default_configENS1_38merge_sort_block_merge_config_selectorIlNS0_10empty_typeEEEZZNS1_27merge_sort_block_merge_implIS3_PlPS5_mZN2at6native12_GLOBAL__N_124unique_dim_cuda_templateIaEESt5tupleIJNSA_6TensorESF_SF_EERKSF_lbbbEUlllE_EE10hipError_tT0_T1_T2_jT3_P12ihipStream_tbPNSt15iterator_traitsISL_E10value_typeEPNSR_ISM_E10value_typeEPSN_NS1_7vsmem_tEENKUlT_SL_SM_SN_E_clIS8_S8_S9_S9_EESK_S10_SL_SM_SN_EUlS10_E1_NS1_11comp_targetILNS1_3genE9ELNS1_11target_archE1100ELNS1_3gpuE3ELNS1_3repE0EEENS1_36merge_oddeven_config_static_selectorELNS0_4arch9wavefront6targetE1EEEvSM_.private_seg_size, 0
	.set _ZN7rocprim17ROCPRIM_400000_NS6detail17trampoline_kernelINS0_14default_configENS1_38merge_sort_block_merge_config_selectorIlNS0_10empty_typeEEEZZNS1_27merge_sort_block_merge_implIS3_PlPS5_mZN2at6native12_GLOBAL__N_124unique_dim_cuda_templateIaEESt5tupleIJNSA_6TensorESF_SF_EERKSF_lbbbEUlllE_EE10hipError_tT0_T1_T2_jT3_P12ihipStream_tbPNSt15iterator_traitsISL_E10value_typeEPNSR_ISM_E10value_typeEPSN_NS1_7vsmem_tEENKUlT_SL_SM_SN_E_clIS8_S8_S9_S9_EESK_S10_SL_SM_SN_EUlS10_E1_NS1_11comp_targetILNS1_3genE9ELNS1_11target_archE1100ELNS1_3gpuE3ELNS1_3repE0EEENS1_36merge_oddeven_config_static_selectorELNS0_4arch9wavefront6targetE1EEEvSM_.uses_vcc, 0
	.set _ZN7rocprim17ROCPRIM_400000_NS6detail17trampoline_kernelINS0_14default_configENS1_38merge_sort_block_merge_config_selectorIlNS0_10empty_typeEEEZZNS1_27merge_sort_block_merge_implIS3_PlPS5_mZN2at6native12_GLOBAL__N_124unique_dim_cuda_templateIaEESt5tupleIJNSA_6TensorESF_SF_EERKSF_lbbbEUlllE_EE10hipError_tT0_T1_T2_jT3_P12ihipStream_tbPNSt15iterator_traitsISL_E10value_typeEPNSR_ISM_E10value_typeEPSN_NS1_7vsmem_tEENKUlT_SL_SM_SN_E_clIS8_S8_S9_S9_EESK_S10_SL_SM_SN_EUlS10_E1_NS1_11comp_targetILNS1_3genE9ELNS1_11target_archE1100ELNS1_3gpuE3ELNS1_3repE0EEENS1_36merge_oddeven_config_static_selectorELNS0_4arch9wavefront6targetE1EEEvSM_.uses_flat_scratch, 0
	.set _ZN7rocprim17ROCPRIM_400000_NS6detail17trampoline_kernelINS0_14default_configENS1_38merge_sort_block_merge_config_selectorIlNS0_10empty_typeEEEZZNS1_27merge_sort_block_merge_implIS3_PlPS5_mZN2at6native12_GLOBAL__N_124unique_dim_cuda_templateIaEESt5tupleIJNSA_6TensorESF_SF_EERKSF_lbbbEUlllE_EE10hipError_tT0_T1_T2_jT3_P12ihipStream_tbPNSt15iterator_traitsISL_E10value_typeEPNSR_ISM_E10value_typeEPSN_NS1_7vsmem_tEENKUlT_SL_SM_SN_E_clIS8_S8_S9_S9_EESK_S10_SL_SM_SN_EUlS10_E1_NS1_11comp_targetILNS1_3genE9ELNS1_11target_archE1100ELNS1_3gpuE3ELNS1_3repE0EEENS1_36merge_oddeven_config_static_selectorELNS0_4arch9wavefront6targetE1EEEvSM_.has_dyn_sized_stack, 0
	.set _ZN7rocprim17ROCPRIM_400000_NS6detail17trampoline_kernelINS0_14default_configENS1_38merge_sort_block_merge_config_selectorIlNS0_10empty_typeEEEZZNS1_27merge_sort_block_merge_implIS3_PlPS5_mZN2at6native12_GLOBAL__N_124unique_dim_cuda_templateIaEESt5tupleIJNSA_6TensorESF_SF_EERKSF_lbbbEUlllE_EE10hipError_tT0_T1_T2_jT3_P12ihipStream_tbPNSt15iterator_traitsISL_E10value_typeEPNSR_ISM_E10value_typeEPSN_NS1_7vsmem_tEENKUlT_SL_SM_SN_E_clIS8_S8_S9_S9_EESK_S10_SL_SM_SN_EUlS10_E1_NS1_11comp_targetILNS1_3genE9ELNS1_11target_archE1100ELNS1_3gpuE3ELNS1_3repE0EEENS1_36merge_oddeven_config_static_selectorELNS0_4arch9wavefront6targetE1EEEvSM_.has_recursion, 0
	.set _ZN7rocprim17ROCPRIM_400000_NS6detail17trampoline_kernelINS0_14default_configENS1_38merge_sort_block_merge_config_selectorIlNS0_10empty_typeEEEZZNS1_27merge_sort_block_merge_implIS3_PlPS5_mZN2at6native12_GLOBAL__N_124unique_dim_cuda_templateIaEESt5tupleIJNSA_6TensorESF_SF_EERKSF_lbbbEUlllE_EE10hipError_tT0_T1_T2_jT3_P12ihipStream_tbPNSt15iterator_traitsISL_E10value_typeEPNSR_ISM_E10value_typeEPSN_NS1_7vsmem_tEENKUlT_SL_SM_SN_E_clIS8_S8_S9_S9_EESK_S10_SL_SM_SN_EUlS10_E1_NS1_11comp_targetILNS1_3genE9ELNS1_11target_archE1100ELNS1_3gpuE3ELNS1_3repE0EEENS1_36merge_oddeven_config_static_selectorELNS0_4arch9wavefront6targetE1EEEvSM_.has_indirect_call, 0
	.section	.AMDGPU.csdata,"",@progbits
; Kernel info:
; codeLenInByte = 0
; TotalNumSgprs: 6
; NumVgprs: 0
; NumAgprs: 0
; TotalNumVgprs: 0
; ScratchSize: 0
; MemoryBound: 0
; FloatMode: 240
; IeeeMode: 1
; LDSByteSize: 0 bytes/workgroup (compile time only)
; SGPRBlocks: 0
; VGPRBlocks: 0
; NumSGPRsForWavesPerEU: 6
; NumVGPRsForWavesPerEU: 1
; AccumOffset: 4
; Occupancy: 8
; WaveLimiterHint : 0
; COMPUTE_PGM_RSRC2:SCRATCH_EN: 0
; COMPUTE_PGM_RSRC2:USER_SGPR: 2
; COMPUTE_PGM_RSRC2:TRAP_HANDLER: 0
; COMPUTE_PGM_RSRC2:TGID_X_EN: 1
; COMPUTE_PGM_RSRC2:TGID_Y_EN: 0
; COMPUTE_PGM_RSRC2:TGID_Z_EN: 0
; COMPUTE_PGM_RSRC2:TIDIG_COMP_CNT: 0
; COMPUTE_PGM_RSRC3_GFX90A:ACCUM_OFFSET: 0
; COMPUTE_PGM_RSRC3_GFX90A:TG_SPLIT: 0
	.section	.text._ZN7rocprim17ROCPRIM_400000_NS6detail17trampoline_kernelINS0_14default_configENS1_38merge_sort_block_merge_config_selectorIlNS0_10empty_typeEEEZZNS1_27merge_sort_block_merge_implIS3_PlPS5_mZN2at6native12_GLOBAL__N_124unique_dim_cuda_templateIaEESt5tupleIJNSA_6TensorESF_SF_EERKSF_lbbbEUlllE_EE10hipError_tT0_T1_T2_jT3_P12ihipStream_tbPNSt15iterator_traitsISL_E10value_typeEPNSR_ISM_E10value_typeEPSN_NS1_7vsmem_tEENKUlT_SL_SM_SN_E_clIS8_S8_S9_S9_EESK_S10_SL_SM_SN_EUlS10_E1_NS1_11comp_targetILNS1_3genE8ELNS1_11target_archE1030ELNS1_3gpuE2ELNS1_3repE0EEENS1_36merge_oddeven_config_static_selectorELNS0_4arch9wavefront6targetE1EEEvSM_,"axG",@progbits,_ZN7rocprim17ROCPRIM_400000_NS6detail17trampoline_kernelINS0_14default_configENS1_38merge_sort_block_merge_config_selectorIlNS0_10empty_typeEEEZZNS1_27merge_sort_block_merge_implIS3_PlPS5_mZN2at6native12_GLOBAL__N_124unique_dim_cuda_templateIaEESt5tupleIJNSA_6TensorESF_SF_EERKSF_lbbbEUlllE_EE10hipError_tT0_T1_T2_jT3_P12ihipStream_tbPNSt15iterator_traitsISL_E10value_typeEPNSR_ISM_E10value_typeEPSN_NS1_7vsmem_tEENKUlT_SL_SM_SN_E_clIS8_S8_S9_S9_EESK_S10_SL_SM_SN_EUlS10_E1_NS1_11comp_targetILNS1_3genE8ELNS1_11target_archE1030ELNS1_3gpuE2ELNS1_3repE0EEENS1_36merge_oddeven_config_static_selectorELNS0_4arch9wavefront6targetE1EEEvSM_,comdat
	.globl	_ZN7rocprim17ROCPRIM_400000_NS6detail17trampoline_kernelINS0_14default_configENS1_38merge_sort_block_merge_config_selectorIlNS0_10empty_typeEEEZZNS1_27merge_sort_block_merge_implIS3_PlPS5_mZN2at6native12_GLOBAL__N_124unique_dim_cuda_templateIaEESt5tupleIJNSA_6TensorESF_SF_EERKSF_lbbbEUlllE_EE10hipError_tT0_T1_T2_jT3_P12ihipStream_tbPNSt15iterator_traitsISL_E10value_typeEPNSR_ISM_E10value_typeEPSN_NS1_7vsmem_tEENKUlT_SL_SM_SN_E_clIS8_S8_S9_S9_EESK_S10_SL_SM_SN_EUlS10_E1_NS1_11comp_targetILNS1_3genE8ELNS1_11target_archE1030ELNS1_3gpuE2ELNS1_3repE0EEENS1_36merge_oddeven_config_static_selectorELNS0_4arch9wavefront6targetE1EEEvSM_ ; -- Begin function _ZN7rocprim17ROCPRIM_400000_NS6detail17trampoline_kernelINS0_14default_configENS1_38merge_sort_block_merge_config_selectorIlNS0_10empty_typeEEEZZNS1_27merge_sort_block_merge_implIS3_PlPS5_mZN2at6native12_GLOBAL__N_124unique_dim_cuda_templateIaEESt5tupleIJNSA_6TensorESF_SF_EERKSF_lbbbEUlllE_EE10hipError_tT0_T1_T2_jT3_P12ihipStream_tbPNSt15iterator_traitsISL_E10value_typeEPNSR_ISM_E10value_typeEPSN_NS1_7vsmem_tEENKUlT_SL_SM_SN_E_clIS8_S8_S9_S9_EESK_S10_SL_SM_SN_EUlS10_E1_NS1_11comp_targetILNS1_3genE8ELNS1_11target_archE1030ELNS1_3gpuE2ELNS1_3repE0EEENS1_36merge_oddeven_config_static_selectorELNS0_4arch9wavefront6targetE1EEEvSM_
	.p2align	8
	.type	_ZN7rocprim17ROCPRIM_400000_NS6detail17trampoline_kernelINS0_14default_configENS1_38merge_sort_block_merge_config_selectorIlNS0_10empty_typeEEEZZNS1_27merge_sort_block_merge_implIS3_PlPS5_mZN2at6native12_GLOBAL__N_124unique_dim_cuda_templateIaEESt5tupleIJNSA_6TensorESF_SF_EERKSF_lbbbEUlllE_EE10hipError_tT0_T1_T2_jT3_P12ihipStream_tbPNSt15iterator_traitsISL_E10value_typeEPNSR_ISM_E10value_typeEPSN_NS1_7vsmem_tEENKUlT_SL_SM_SN_E_clIS8_S8_S9_S9_EESK_S10_SL_SM_SN_EUlS10_E1_NS1_11comp_targetILNS1_3genE8ELNS1_11target_archE1030ELNS1_3gpuE2ELNS1_3repE0EEENS1_36merge_oddeven_config_static_selectorELNS0_4arch9wavefront6targetE1EEEvSM_,@function
_ZN7rocprim17ROCPRIM_400000_NS6detail17trampoline_kernelINS0_14default_configENS1_38merge_sort_block_merge_config_selectorIlNS0_10empty_typeEEEZZNS1_27merge_sort_block_merge_implIS3_PlPS5_mZN2at6native12_GLOBAL__N_124unique_dim_cuda_templateIaEESt5tupleIJNSA_6TensorESF_SF_EERKSF_lbbbEUlllE_EE10hipError_tT0_T1_T2_jT3_P12ihipStream_tbPNSt15iterator_traitsISL_E10value_typeEPNSR_ISM_E10value_typeEPSN_NS1_7vsmem_tEENKUlT_SL_SM_SN_E_clIS8_S8_S9_S9_EESK_S10_SL_SM_SN_EUlS10_E1_NS1_11comp_targetILNS1_3genE8ELNS1_11target_archE1030ELNS1_3gpuE2ELNS1_3repE0EEENS1_36merge_oddeven_config_static_selectorELNS0_4arch9wavefront6targetE1EEEvSM_: ; @_ZN7rocprim17ROCPRIM_400000_NS6detail17trampoline_kernelINS0_14default_configENS1_38merge_sort_block_merge_config_selectorIlNS0_10empty_typeEEEZZNS1_27merge_sort_block_merge_implIS3_PlPS5_mZN2at6native12_GLOBAL__N_124unique_dim_cuda_templateIaEESt5tupleIJNSA_6TensorESF_SF_EERKSF_lbbbEUlllE_EE10hipError_tT0_T1_T2_jT3_P12ihipStream_tbPNSt15iterator_traitsISL_E10value_typeEPNSR_ISM_E10value_typeEPSN_NS1_7vsmem_tEENKUlT_SL_SM_SN_E_clIS8_S8_S9_S9_EESK_S10_SL_SM_SN_EUlS10_E1_NS1_11comp_targetILNS1_3genE8ELNS1_11target_archE1030ELNS1_3gpuE2ELNS1_3repE0EEENS1_36merge_oddeven_config_static_selectorELNS0_4arch9wavefront6targetE1EEEvSM_
; %bb.0:
	.section	.rodata,"a",@progbits
	.p2align	6, 0x0
	.amdhsa_kernel _ZN7rocprim17ROCPRIM_400000_NS6detail17trampoline_kernelINS0_14default_configENS1_38merge_sort_block_merge_config_selectorIlNS0_10empty_typeEEEZZNS1_27merge_sort_block_merge_implIS3_PlPS5_mZN2at6native12_GLOBAL__N_124unique_dim_cuda_templateIaEESt5tupleIJNSA_6TensorESF_SF_EERKSF_lbbbEUlllE_EE10hipError_tT0_T1_T2_jT3_P12ihipStream_tbPNSt15iterator_traitsISL_E10value_typeEPNSR_ISM_E10value_typeEPSN_NS1_7vsmem_tEENKUlT_SL_SM_SN_E_clIS8_S8_S9_S9_EESK_S10_SL_SM_SN_EUlS10_E1_NS1_11comp_targetILNS1_3genE8ELNS1_11target_archE1030ELNS1_3gpuE2ELNS1_3repE0EEENS1_36merge_oddeven_config_static_selectorELNS0_4arch9wavefront6targetE1EEEvSM_
		.amdhsa_group_segment_fixed_size 0
		.amdhsa_private_segment_fixed_size 0
		.amdhsa_kernarg_size 64
		.amdhsa_user_sgpr_count 2
		.amdhsa_user_sgpr_dispatch_ptr 0
		.amdhsa_user_sgpr_queue_ptr 0
		.amdhsa_user_sgpr_kernarg_segment_ptr 1
		.amdhsa_user_sgpr_dispatch_id 0
		.amdhsa_user_sgpr_kernarg_preload_length 0
		.amdhsa_user_sgpr_kernarg_preload_offset 0
		.amdhsa_user_sgpr_private_segment_size 0
		.amdhsa_uses_dynamic_stack 0
		.amdhsa_enable_private_segment 0
		.amdhsa_system_sgpr_workgroup_id_x 1
		.amdhsa_system_sgpr_workgroup_id_y 0
		.amdhsa_system_sgpr_workgroup_id_z 0
		.amdhsa_system_sgpr_workgroup_info 0
		.amdhsa_system_vgpr_workitem_id 0
		.amdhsa_next_free_vgpr 1
		.amdhsa_next_free_sgpr 0
		.amdhsa_accum_offset 4
		.amdhsa_reserve_vcc 0
		.amdhsa_float_round_mode_32 0
		.amdhsa_float_round_mode_16_64 0
		.amdhsa_float_denorm_mode_32 3
		.amdhsa_float_denorm_mode_16_64 3
		.amdhsa_dx10_clamp 1
		.amdhsa_ieee_mode 1
		.amdhsa_fp16_overflow 0
		.amdhsa_tg_split 0
		.amdhsa_exception_fp_ieee_invalid_op 0
		.amdhsa_exception_fp_denorm_src 0
		.amdhsa_exception_fp_ieee_div_zero 0
		.amdhsa_exception_fp_ieee_overflow 0
		.amdhsa_exception_fp_ieee_underflow 0
		.amdhsa_exception_fp_ieee_inexact 0
		.amdhsa_exception_int_div_zero 0
	.end_amdhsa_kernel
	.section	.text._ZN7rocprim17ROCPRIM_400000_NS6detail17trampoline_kernelINS0_14default_configENS1_38merge_sort_block_merge_config_selectorIlNS0_10empty_typeEEEZZNS1_27merge_sort_block_merge_implIS3_PlPS5_mZN2at6native12_GLOBAL__N_124unique_dim_cuda_templateIaEESt5tupleIJNSA_6TensorESF_SF_EERKSF_lbbbEUlllE_EE10hipError_tT0_T1_T2_jT3_P12ihipStream_tbPNSt15iterator_traitsISL_E10value_typeEPNSR_ISM_E10value_typeEPSN_NS1_7vsmem_tEENKUlT_SL_SM_SN_E_clIS8_S8_S9_S9_EESK_S10_SL_SM_SN_EUlS10_E1_NS1_11comp_targetILNS1_3genE8ELNS1_11target_archE1030ELNS1_3gpuE2ELNS1_3repE0EEENS1_36merge_oddeven_config_static_selectorELNS0_4arch9wavefront6targetE1EEEvSM_,"axG",@progbits,_ZN7rocprim17ROCPRIM_400000_NS6detail17trampoline_kernelINS0_14default_configENS1_38merge_sort_block_merge_config_selectorIlNS0_10empty_typeEEEZZNS1_27merge_sort_block_merge_implIS3_PlPS5_mZN2at6native12_GLOBAL__N_124unique_dim_cuda_templateIaEESt5tupleIJNSA_6TensorESF_SF_EERKSF_lbbbEUlllE_EE10hipError_tT0_T1_T2_jT3_P12ihipStream_tbPNSt15iterator_traitsISL_E10value_typeEPNSR_ISM_E10value_typeEPSN_NS1_7vsmem_tEENKUlT_SL_SM_SN_E_clIS8_S8_S9_S9_EESK_S10_SL_SM_SN_EUlS10_E1_NS1_11comp_targetILNS1_3genE8ELNS1_11target_archE1030ELNS1_3gpuE2ELNS1_3repE0EEENS1_36merge_oddeven_config_static_selectorELNS0_4arch9wavefront6targetE1EEEvSM_,comdat
.Lfunc_end293:
	.size	_ZN7rocprim17ROCPRIM_400000_NS6detail17trampoline_kernelINS0_14default_configENS1_38merge_sort_block_merge_config_selectorIlNS0_10empty_typeEEEZZNS1_27merge_sort_block_merge_implIS3_PlPS5_mZN2at6native12_GLOBAL__N_124unique_dim_cuda_templateIaEESt5tupleIJNSA_6TensorESF_SF_EERKSF_lbbbEUlllE_EE10hipError_tT0_T1_T2_jT3_P12ihipStream_tbPNSt15iterator_traitsISL_E10value_typeEPNSR_ISM_E10value_typeEPSN_NS1_7vsmem_tEENKUlT_SL_SM_SN_E_clIS8_S8_S9_S9_EESK_S10_SL_SM_SN_EUlS10_E1_NS1_11comp_targetILNS1_3genE8ELNS1_11target_archE1030ELNS1_3gpuE2ELNS1_3repE0EEENS1_36merge_oddeven_config_static_selectorELNS0_4arch9wavefront6targetE1EEEvSM_, .Lfunc_end293-_ZN7rocprim17ROCPRIM_400000_NS6detail17trampoline_kernelINS0_14default_configENS1_38merge_sort_block_merge_config_selectorIlNS0_10empty_typeEEEZZNS1_27merge_sort_block_merge_implIS3_PlPS5_mZN2at6native12_GLOBAL__N_124unique_dim_cuda_templateIaEESt5tupleIJNSA_6TensorESF_SF_EERKSF_lbbbEUlllE_EE10hipError_tT0_T1_T2_jT3_P12ihipStream_tbPNSt15iterator_traitsISL_E10value_typeEPNSR_ISM_E10value_typeEPSN_NS1_7vsmem_tEENKUlT_SL_SM_SN_E_clIS8_S8_S9_S9_EESK_S10_SL_SM_SN_EUlS10_E1_NS1_11comp_targetILNS1_3genE8ELNS1_11target_archE1030ELNS1_3gpuE2ELNS1_3repE0EEENS1_36merge_oddeven_config_static_selectorELNS0_4arch9wavefront6targetE1EEEvSM_
                                        ; -- End function
	.set _ZN7rocprim17ROCPRIM_400000_NS6detail17trampoline_kernelINS0_14default_configENS1_38merge_sort_block_merge_config_selectorIlNS0_10empty_typeEEEZZNS1_27merge_sort_block_merge_implIS3_PlPS5_mZN2at6native12_GLOBAL__N_124unique_dim_cuda_templateIaEESt5tupleIJNSA_6TensorESF_SF_EERKSF_lbbbEUlllE_EE10hipError_tT0_T1_T2_jT3_P12ihipStream_tbPNSt15iterator_traitsISL_E10value_typeEPNSR_ISM_E10value_typeEPSN_NS1_7vsmem_tEENKUlT_SL_SM_SN_E_clIS8_S8_S9_S9_EESK_S10_SL_SM_SN_EUlS10_E1_NS1_11comp_targetILNS1_3genE8ELNS1_11target_archE1030ELNS1_3gpuE2ELNS1_3repE0EEENS1_36merge_oddeven_config_static_selectorELNS0_4arch9wavefront6targetE1EEEvSM_.num_vgpr, 0
	.set _ZN7rocprim17ROCPRIM_400000_NS6detail17trampoline_kernelINS0_14default_configENS1_38merge_sort_block_merge_config_selectorIlNS0_10empty_typeEEEZZNS1_27merge_sort_block_merge_implIS3_PlPS5_mZN2at6native12_GLOBAL__N_124unique_dim_cuda_templateIaEESt5tupleIJNSA_6TensorESF_SF_EERKSF_lbbbEUlllE_EE10hipError_tT0_T1_T2_jT3_P12ihipStream_tbPNSt15iterator_traitsISL_E10value_typeEPNSR_ISM_E10value_typeEPSN_NS1_7vsmem_tEENKUlT_SL_SM_SN_E_clIS8_S8_S9_S9_EESK_S10_SL_SM_SN_EUlS10_E1_NS1_11comp_targetILNS1_3genE8ELNS1_11target_archE1030ELNS1_3gpuE2ELNS1_3repE0EEENS1_36merge_oddeven_config_static_selectorELNS0_4arch9wavefront6targetE1EEEvSM_.num_agpr, 0
	.set _ZN7rocprim17ROCPRIM_400000_NS6detail17trampoline_kernelINS0_14default_configENS1_38merge_sort_block_merge_config_selectorIlNS0_10empty_typeEEEZZNS1_27merge_sort_block_merge_implIS3_PlPS5_mZN2at6native12_GLOBAL__N_124unique_dim_cuda_templateIaEESt5tupleIJNSA_6TensorESF_SF_EERKSF_lbbbEUlllE_EE10hipError_tT0_T1_T2_jT3_P12ihipStream_tbPNSt15iterator_traitsISL_E10value_typeEPNSR_ISM_E10value_typeEPSN_NS1_7vsmem_tEENKUlT_SL_SM_SN_E_clIS8_S8_S9_S9_EESK_S10_SL_SM_SN_EUlS10_E1_NS1_11comp_targetILNS1_3genE8ELNS1_11target_archE1030ELNS1_3gpuE2ELNS1_3repE0EEENS1_36merge_oddeven_config_static_selectorELNS0_4arch9wavefront6targetE1EEEvSM_.numbered_sgpr, 0
	.set _ZN7rocprim17ROCPRIM_400000_NS6detail17trampoline_kernelINS0_14default_configENS1_38merge_sort_block_merge_config_selectorIlNS0_10empty_typeEEEZZNS1_27merge_sort_block_merge_implIS3_PlPS5_mZN2at6native12_GLOBAL__N_124unique_dim_cuda_templateIaEESt5tupleIJNSA_6TensorESF_SF_EERKSF_lbbbEUlllE_EE10hipError_tT0_T1_T2_jT3_P12ihipStream_tbPNSt15iterator_traitsISL_E10value_typeEPNSR_ISM_E10value_typeEPSN_NS1_7vsmem_tEENKUlT_SL_SM_SN_E_clIS8_S8_S9_S9_EESK_S10_SL_SM_SN_EUlS10_E1_NS1_11comp_targetILNS1_3genE8ELNS1_11target_archE1030ELNS1_3gpuE2ELNS1_3repE0EEENS1_36merge_oddeven_config_static_selectorELNS0_4arch9wavefront6targetE1EEEvSM_.num_named_barrier, 0
	.set _ZN7rocprim17ROCPRIM_400000_NS6detail17trampoline_kernelINS0_14default_configENS1_38merge_sort_block_merge_config_selectorIlNS0_10empty_typeEEEZZNS1_27merge_sort_block_merge_implIS3_PlPS5_mZN2at6native12_GLOBAL__N_124unique_dim_cuda_templateIaEESt5tupleIJNSA_6TensorESF_SF_EERKSF_lbbbEUlllE_EE10hipError_tT0_T1_T2_jT3_P12ihipStream_tbPNSt15iterator_traitsISL_E10value_typeEPNSR_ISM_E10value_typeEPSN_NS1_7vsmem_tEENKUlT_SL_SM_SN_E_clIS8_S8_S9_S9_EESK_S10_SL_SM_SN_EUlS10_E1_NS1_11comp_targetILNS1_3genE8ELNS1_11target_archE1030ELNS1_3gpuE2ELNS1_3repE0EEENS1_36merge_oddeven_config_static_selectorELNS0_4arch9wavefront6targetE1EEEvSM_.private_seg_size, 0
	.set _ZN7rocprim17ROCPRIM_400000_NS6detail17trampoline_kernelINS0_14default_configENS1_38merge_sort_block_merge_config_selectorIlNS0_10empty_typeEEEZZNS1_27merge_sort_block_merge_implIS3_PlPS5_mZN2at6native12_GLOBAL__N_124unique_dim_cuda_templateIaEESt5tupleIJNSA_6TensorESF_SF_EERKSF_lbbbEUlllE_EE10hipError_tT0_T1_T2_jT3_P12ihipStream_tbPNSt15iterator_traitsISL_E10value_typeEPNSR_ISM_E10value_typeEPSN_NS1_7vsmem_tEENKUlT_SL_SM_SN_E_clIS8_S8_S9_S9_EESK_S10_SL_SM_SN_EUlS10_E1_NS1_11comp_targetILNS1_3genE8ELNS1_11target_archE1030ELNS1_3gpuE2ELNS1_3repE0EEENS1_36merge_oddeven_config_static_selectorELNS0_4arch9wavefront6targetE1EEEvSM_.uses_vcc, 0
	.set _ZN7rocprim17ROCPRIM_400000_NS6detail17trampoline_kernelINS0_14default_configENS1_38merge_sort_block_merge_config_selectorIlNS0_10empty_typeEEEZZNS1_27merge_sort_block_merge_implIS3_PlPS5_mZN2at6native12_GLOBAL__N_124unique_dim_cuda_templateIaEESt5tupleIJNSA_6TensorESF_SF_EERKSF_lbbbEUlllE_EE10hipError_tT0_T1_T2_jT3_P12ihipStream_tbPNSt15iterator_traitsISL_E10value_typeEPNSR_ISM_E10value_typeEPSN_NS1_7vsmem_tEENKUlT_SL_SM_SN_E_clIS8_S8_S9_S9_EESK_S10_SL_SM_SN_EUlS10_E1_NS1_11comp_targetILNS1_3genE8ELNS1_11target_archE1030ELNS1_3gpuE2ELNS1_3repE0EEENS1_36merge_oddeven_config_static_selectorELNS0_4arch9wavefront6targetE1EEEvSM_.uses_flat_scratch, 0
	.set _ZN7rocprim17ROCPRIM_400000_NS6detail17trampoline_kernelINS0_14default_configENS1_38merge_sort_block_merge_config_selectorIlNS0_10empty_typeEEEZZNS1_27merge_sort_block_merge_implIS3_PlPS5_mZN2at6native12_GLOBAL__N_124unique_dim_cuda_templateIaEESt5tupleIJNSA_6TensorESF_SF_EERKSF_lbbbEUlllE_EE10hipError_tT0_T1_T2_jT3_P12ihipStream_tbPNSt15iterator_traitsISL_E10value_typeEPNSR_ISM_E10value_typeEPSN_NS1_7vsmem_tEENKUlT_SL_SM_SN_E_clIS8_S8_S9_S9_EESK_S10_SL_SM_SN_EUlS10_E1_NS1_11comp_targetILNS1_3genE8ELNS1_11target_archE1030ELNS1_3gpuE2ELNS1_3repE0EEENS1_36merge_oddeven_config_static_selectorELNS0_4arch9wavefront6targetE1EEEvSM_.has_dyn_sized_stack, 0
	.set _ZN7rocprim17ROCPRIM_400000_NS6detail17trampoline_kernelINS0_14default_configENS1_38merge_sort_block_merge_config_selectorIlNS0_10empty_typeEEEZZNS1_27merge_sort_block_merge_implIS3_PlPS5_mZN2at6native12_GLOBAL__N_124unique_dim_cuda_templateIaEESt5tupleIJNSA_6TensorESF_SF_EERKSF_lbbbEUlllE_EE10hipError_tT0_T1_T2_jT3_P12ihipStream_tbPNSt15iterator_traitsISL_E10value_typeEPNSR_ISM_E10value_typeEPSN_NS1_7vsmem_tEENKUlT_SL_SM_SN_E_clIS8_S8_S9_S9_EESK_S10_SL_SM_SN_EUlS10_E1_NS1_11comp_targetILNS1_3genE8ELNS1_11target_archE1030ELNS1_3gpuE2ELNS1_3repE0EEENS1_36merge_oddeven_config_static_selectorELNS0_4arch9wavefront6targetE1EEEvSM_.has_recursion, 0
	.set _ZN7rocprim17ROCPRIM_400000_NS6detail17trampoline_kernelINS0_14default_configENS1_38merge_sort_block_merge_config_selectorIlNS0_10empty_typeEEEZZNS1_27merge_sort_block_merge_implIS3_PlPS5_mZN2at6native12_GLOBAL__N_124unique_dim_cuda_templateIaEESt5tupleIJNSA_6TensorESF_SF_EERKSF_lbbbEUlllE_EE10hipError_tT0_T1_T2_jT3_P12ihipStream_tbPNSt15iterator_traitsISL_E10value_typeEPNSR_ISM_E10value_typeEPSN_NS1_7vsmem_tEENKUlT_SL_SM_SN_E_clIS8_S8_S9_S9_EESK_S10_SL_SM_SN_EUlS10_E1_NS1_11comp_targetILNS1_3genE8ELNS1_11target_archE1030ELNS1_3gpuE2ELNS1_3repE0EEENS1_36merge_oddeven_config_static_selectorELNS0_4arch9wavefront6targetE1EEEvSM_.has_indirect_call, 0
	.section	.AMDGPU.csdata,"",@progbits
; Kernel info:
; codeLenInByte = 0
; TotalNumSgprs: 6
; NumVgprs: 0
; NumAgprs: 0
; TotalNumVgprs: 0
; ScratchSize: 0
; MemoryBound: 0
; FloatMode: 240
; IeeeMode: 1
; LDSByteSize: 0 bytes/workgroup (compile time only)
; SGPRBlocks: 0
; VGPRBlocks: 0
; NumSGPRsForWavesPerEU: 6
; NumVGPRsForWavesPerEU: 1
; AccumOffset: 4
; Occupancy: 8
; WaveLimiterHint : 0
; COMPUTE_PGM_RSRC2:SCRATCH_EN: 0
; COMPUTE_PGM_RSRC2:USER_SGPR: 2
; COMPUTE_PGM_RSRC2:TRAP_HANDLER: 0
; COMPUTE_PGM_RSRC2:TGID_X_EN: 1
; COMPUTE_PGM_RSRC2:TGID_Y_EN: 0
; COMPUTE_PGM_RSRC2:TGID_Z_EN: 0
; COMPUTE_PGM_RSRC2:TIDIG_COMP_CNT: 0
; COMPUTE_PGM_RSRC3_GFX90A:ACCUM_OFFSET: 0
; COMPUTE_PGM_RSRC3_GFX90A:TG_SPLIT: 0
	.section	.text._ZN7rocprim17ROCPRIM_400000_NS6detail17trampoline_kernelINS0_14default_configENS1_35adjacent_difference_config_selectorILb0ElEEZNS1_24adjacent_difference_implIS3_Lb0ELb0EPlS7_ZN2at6native12_GLOBAL__N_124unique_dim_cuda_templateIaEESt5tupleIJNS8_6TensorESD_SD_EERKSD_lbbbEUlllE1_EE10hipError_tPvRmT2_T3_mT4_P12ihipStream_tbEUlT_E_NS1_11comp_targetILNS1_3genE0ELNS1_11target_archE4294967295ELNS1_3gpuE0ELNS1_3repE0EEENS1_30default_config_static_selectorELNS0_4arch9wavefront6targetE1EEEvT1_,"axG",@progbits,_ZN7rocprim17ROCPRIM_400000_NS6detail17trampoline_kernelINS0_14default_configENS1_35adjacent_difference_config_selectorILb0ElEEZNS1_24adjacent_difference_implIS3_Lb0ELb0EPlS7_ZN2at6native12_GLOBAL__N_124unique_dim_cuda_templateIaEESt5tupleIJNS8_6TensorESD_SD_EERKSD_lbbbEUlllE1_EE10hipError_tPvRmT2_T3_mT4_P12ihipStream_tbEUlT_E_NS1_11comp_targetILNS1_3genE0ELNS1_11target_archE4294967295ELNS1_3gpuE0ELNS1_3repE0EEENS1_30default_config_static_selectorELNS0_4arch9wavefront6targetE1EEEvT1_,comdat
	.globl	_ZN7rocprim17ROCPRIM_400000_NS6detail17trampoline_kernelINS0_14default_configENS1_35adjacent_difference_config_selectorILb0ElEEZNS1_24adjacent_difference_implIS3_Lb0ELb0EPlS7_ZN2at6native12_GLOBAL__N_124unique_dim_cuda_templateIaEESt5tupleIJNS8_6TensorESD_SD_EERKSD_lbbbEUlllE1_EE10hipError_tPvRmT2_T3_mT4_P12ihipStream_tbEUlT_E_NS1_11comp_targetILNS1_3genE0ELNS1_11target_archE4294967295ELNS1_3gpuE0ELNS1_3repE0EEENS1_30default_config_static_selectorELNS0_4arch9wavefront6targetE1EEEvT1_ ; -- Begin function _ZN7rocprim17ROCPRIM_400000_NS6detail17trampoline_kernelINS0_14default_configENS1_35adjacent_difference_config_selectorILb0ElEEZNS1_24adjacent_difference_implIS3_Lb0ELb0EPlS7_ZN2at6native12_GLOBAL__N_124unique_dim_cuda_templateIaEESt5tupleIJNS8_6TensorESD_SD_EERKSD_lbbbEUlllE1_EE10hipError_tPvRmT2_T3_mT4_P12ihipStream_tbEUlT_E_NS1_11comp_targetILNS1_3genE0ELNS1_11target_archE4294967295ELNS1_3gpuE0ELNS1_3repE0EEENS1_30default_config_static_selectorELNS0_4arch9wavefront6targetE1EEEvT1_
	.p2align	8
	.type	_ZN7rocprim17ROCPRIM_400000_NS6detail17trampoline_kernelINS0_14default_configENS1_35adjacent_difference_config_selectorILb0ElEEZNS1_24adjacent_difference_implIS3_Lb0ELb0EPlS7_ZN2at6native12_GLOBAL__N_124unique_dim_cuda_templateIaEESt5tupleIJNS8_6TensorESD_SD_EERKSD_lbbbEUlllE1_EE10hipError_tPvRmT2_T3_mT4_P12ihipStream_tbEUlT_E_NS1_11comp_targetILNS1_3genE0ELNS1_11target_archE4294967295ELNS1_3gpuE0ELNS1_3repE0EEENS1_30default_config_static_selectorELNS0_4arch9wavefront6targetE1EEEvT1_,@function
_ZN7rocprim17ROCPRIM_400000_NS6detail17trampoline_kernelINS0_14default_configENS1_35adjacent_difference_config_selectorILb0ElEEZNS1_24adjacent_difference_implIS3_Lb0ELb0EPlS7_ZN2at6native12_GLOBAL__N_124unique_dim_cuda_templateIaEESt5tupleIJNS8_6TensorESD_SD_EERKSD_lbbbEUlllE1_EE10hipError_tPvRmT2_T3_mT4_P12ihipStream_tbEUlT_E_NS1_11comp_targetILNS1_3genE0ELNS1_11target_archE4294967295ELNS1_3gpuE0ELNS1_3repE0EEENS1_30default_config_static_selectorELNS0_4arch9wavefront6targetE1EEEvT1_: ; @_ZN7rocprim17ROCPRIM_400000_NS6detail17trampoline_kernelINS0_14default_configENS1_35adjacent_difference_config_selectorILb0ElEEZNS1_24adjacent_difference_implIS3_Lb0ELb0EPlS7_ZN2at6native12_GLOBAL__N_124unique_dim_cuda_templateIaEESt5tupleIJNS8_6TensorESD_SD_EERKSD_lbbbEUlllE1_EE10hipError_tPvRmT2_T3_mT4_P12ihipStream_tbEUlT_E_NS1_11comp_targetILNS1_3genE0ELNS1_11target_archE4294967295ELNS1_3gpuE0ELNS1_3repE0EEENS1_30default_config_static_selectorELNS0_4arch9wavefront6targetE1EEEvT1_
; %bb.0:
	s_load_dwordx8 s[4:11], s[0:1], 0x0
	s_load_dwordx4 s[12:15], s[0:1], 0x20
	s_load_dwordx2 s[16:17], s[0:1], 0x38
	s_mov_b32 s19, 0
	s_mov_b64 s[20:21], -1
	s_waitcnt lgkmcnt(0)
	s_lshl_b64 s[6:7], s[6:7], 3
	s_add_u32 s22, s4, s6
	s_addc_u32 s23, s5, s7
	s_lshl_b32 s4, s2, 7
	s_lshr_b64 s[0:1], s[10:11], 7
	s_and_b32 s18, s10, 0x7f
	s_cmp_lg_u64 s[18:19], 0
	s_cselect_b64 s[18:19], -1, 0
	v_cndmask_b32_e64 v1, 0, 1, s[18:19]
	s_nop 0
	v_readfirstlane_b32 s3, v1
	s_add_u32 s18, s0, s3
	s_addc_u32 s19, s1, 0
	s_add_u32 s2, s16, s2
	s_addc_u32 s3, s17, 0
	s_add_u32 s16, s18, -1
	s_addc_u32 s17, s19, -1
	v_mov_b64_e32 v[2:3], s[16:17]
	v_cmp_ge_u64_e64 s[0:1], s[2:3], v[2:3]
	s_and_b64 vcc, exec, s[0:1]
                                        ; implicit-def: $vgpr1
	s_cbranch_vccz .LBB294_4
; %bb.1:
	s_lshl_b32 s5, s16, 7
	s_sub_i32 s5, s10, s5
	v_cmp_gt_u32_e32 vcc, s5, v0
                                        ; implicit-def: $vgpr2_vgpr3
	s_and_saveexec_b64 s[20:21], vcc
	s_cbranch_execz .LBB294_3
; %bb.2:
	s_mov_b32 s5, 0
	s_lshl_b64 s[24:25], s[4:5], 3
	s_add_u32 s24, s22, s24
	s_addc_u32 s25, s23, s25
	v_lshlrev_b32_e32 v1, 3, v0
	global_load_dwordx2 v[2:3], v1, s[24:25]
.LBB294_3:
	s_or_b64 exec, exec, s[20:21]
	v_lshlrev_b32_e32 v1, 3, v0
	s_mov_b64 s[20:21], 0
	s_waitcnt vmcnt(0)
	ds_write_b64 v1, v[2:3]
	s_waitcnt lgkmcnt(0)
	s_barrier
.LBB294_4:
	s_and_b64 vcc, exec, s[20:21]
	s_cbranch_vccz .LBB294_6
; %bb.5:
	s_mov_b32 s5, 0
	s_lshl_b64 s[20:21], s[4:5], 3
	s_add_u32 s20, s22, s20
	s_addc_u32 s21, s23, s21
	v_lshlrev_b32_e32 v1, 3, v0
	global_load_dwordx2 v[2:3], v1, s[20:21]
	s_waitcnt vmcnt(0)
	ds_write_b64 v1, v[2:3]
	s_waitcnt lgkmcnt(0)
	s_barrier
.LBB294_6:
	ds_read_b64 v[2:3], v1
	s_cmp_eq_u64 s[2:3], 0
	s_waitcnt lgkmcnt(0)
	s_barrier
	s_cbranch_scc1 .LBB294_15
; %bb.7:
	s_mov_b32 s5, 0
	s_lshl_b64 s[20:21], s[4:5], 3
	s_add_u32 s5, s22, s20
	s_addc_u32 s11, s23, s21
	s_add_u32 s20, s5, -8
	s_addc_u32 s21, s11, -1
	s_load_dwordx2 s[20:21], s[20:21], 0x0
	s_cmp_eq_u64 s[2:3], s[16:17]
	s_cbranch_scc1 .LBB294_16
; %bb.8:
	v_lshlrev_b32_e32 v1, 3, v0
	v_cmp_ne_u32_e32 vcc, 0, v0
	s_waitcnt lgkmcnt(0)
	v_mov_b64_e32 v[8:9], s[20:21]
	ds_write_b64 v1, v[2:3]
	s_waitcnt lgkmcnt(0)
	s_barrier
	s_and_saveexec_b64 s[22:23], vcc
; %bb.9:
	v_add_u32_e32 v1, -8, v1
	ds_read_b64 v[8:9], v1
; %bb.10:
	s_or_b64 exec, exec, s[22:23]
	v_cmp_lt_i64_e64 s[22:23], s[12:13], 1
	s_and_b64 vcc, exec, s[22:23]
	s_cbranch_vccnz .LBB294_18
; %bb.11:
	v_mov_b64_e32 v[6:7], s[14:15]
	v_mad_u64_u32 v[4:5], s[22:23], v2, s12, v[6:7]
	v_mul_lo_u32 v1, v2, s13
	v_mul_lo_u32 v10, v3, s12
	v_add3_u32 v5, v10, v5, v1
	s_waitcnt lgkmcnt(0)
	v_mad_u64_u32 v[6:7], s[22:23], v8, s12, v[6:7]
	v_mul_lo_u32 v1, v8, s13
	v_mul_lo_u32 v8, v9, s12
	v_add3_u32 v7, v8, v7, v1
	s_mov_b64 s[22:23], 0
	s_mov_b64 s[24:25], s[12:13]
                                        ; implicit-def: $sgpr26_sgpr27
	s_branch .LBB294_13
.LBB294_12:                             ;   in Loop: Header=BB294_13 Depth=1
	s_or_b64 exec, exec, s[28:29]
	s_and_b64 s[28:29], exec, s[26:27]
	s_or_b64 s[22:23], s[28:29], s[22:23]
	s_andn2_b64 exec, exec, s[22:23]
	s_cbranch_execz .LBB294_17
.LBB294_13:                             ; =>This Inner Loop Header: Depth=1
	global_load_ubyte v1, v[4:5], off
	global_load_ubyte v8, v[6:7], off
	v_mov_b64_e32 v[10:11], 1
	s_or_b64 s[26:27], s[26:27], exec
	s_waitcnt vmcnt(0)
	v_cmp_eq_u16_e32 vcc, v1, v8
	s_and_saveexec_b64 s[28:29], vcc
	s_cbranch_execz .LBB294_12
; %bb.14:                               ;   in Loop: Header=BB294_13 Depth=1
	s_add_u32 s24, s24, -1
	s_addc_u32 s25, s25, -1
	s_cmp_eq_u64 s[24:25], 0
	s_cselect_b64 s[30:31], -1, 0
	s_andn2_b64 s[26:27], s[26:27], exec
	s_and_b64 s[30:31], s[30:31], exec
	v_lshl_add_u64 v[4:5], v[4:5], 0, 1
	v_lshl_add_u64 v[6:7], v[6:7], 0, 1
	v_mov_b64_e32 v[10:11], 0
	s_or_b64 s[26:27], s[26:27], s[30:31]
	s_branch .LBB294_12
.LBB294_15:
                                        ; implicit-def: $vgpr10_vgpr11
	s_branch .LBB294_31
.LBB294_16:
                                        ; implicit-def: $vgpr10_vgpr11
	s_cbranch_execnz .LBB294_19
	s_branch .LBB294_30
.LBB294_17:
	s_or_b64 exec, exec, s[22:23]
	s_branch .LBB294_30
.LBB294_18:
	v_mov_b64_e32 v[10:11], 0
	s_branch .LBB294_30
.LBB294_19:
	v_lshlrev_b32_e32 v1, 3, v0
	v_cmp_ne_u32_e32 vcc, 0, v0
	s_waitcnt lgkmcnt(0)
	v_mov_b64_e32 v[8:9], s[20:21]
	ds_write_b64 v1, v[2:3]
	s_waitcnt lgkmcnt(0)
	s_barrier
	s_and_saveexec_b64 s[20:21], vcc
; %bb.20:
	v_add_u32_e32 v1, -8, v1
	ds_read_b64 v[8:9], v1
; %bb.21:
	s_or_b64 exec, exec, s[20:21]
	s_lshl_b32 s2, s2, 7
	s_sub_i32 s2, s10, s2
	v_cmp_gt_u32_e32 vcc, s2, v0
	v_mov_b64_e32 v[10:11], v[2:3]
	s_and_saveexec_b64 s[2:3], vcc
	s_cbranch_execz .LBB294_29
; %bb.22:
	v_cmp_lt_i64_e64 s[20:21], s[12:13], 1
	s_and_b64 vcc, exec, s[20:21]
	s_cbranch_vccnz .LBB294_28
; %bb.23:
	v_mov_b64_e32 v[6:7], s[14:15]
	v_mad_u64_u32 v[4:5], s[20:21], v2, s12, v[6:7]
	v_mul_lo_u32 v1, v2, s13
	v_mul_lo_u32 v10, v3, s12
	v_add3_u32 v5, v10, v5, v1
	s_waitcnt lgkmcnt(0)
	v_mad_u64_u32 v[6:7], s[20:21], v8, s12, v[6:7]
	v_mul_lo_u32 v1, v8, s13
	v_mul_lo_u32 v8, v9, s12
	v_add3_u32 v7, v8, v7, v1
	s_mov_b64 s[20:21], 0
	s_mov_b64 s[22:23], s[12:13]
                                        ; implicit-def: $sgpr24_sgpr25
	s_branch .LBB294_25
.LBB294_24:                             ;   in Loop: Header=BB294_25 Depth=1
	s_or_b64 exec, exec, s[26:27]
	s_and_b64 s[26:27], exec, s[24:25]
	s_or_b64 s[20:21], s[26:27], s[20:21]
	s_andn2_b64 exec, exec, s[20:21]
	s_cbranch_execz .LBB294_27
.LBB294_25:                             ; =>This Inner Loop Header: Depth=1
	global_load_ubyte v1, v[4:5], off
	global_load_ubyte v8, v[6:7], off
	v_mov_b64_e32 v[10:11], 1
	s_or_b64 s[24:25], s[24:25], exec
	s_waitcnt vmcnt(0)
	v_cmp_eq_u16_e32 vcc, v1, v8
	s_and_saveexec_b64 s[26:27], vcc
	s_cbranch_execz .LBB294_24
; %bb.26:                               ;   in Loop: Header=BB294_25 Depth=1
	s_add_u32 s22, s22, -1
	s_addc_u32 s23, s23, -1
	s_cmp_eq_u64 s[22:23], 0
	s_cselect_b64 s[28:29], -1, 0
	s_andn2_b64 s[24:25], s[24:25], exec
	s_and_b64 s[28:29], s[28:29], exec
	v_lshl_add_u64 v[4:5], v[4:5], 0, 1
	v_lshl_add_u64 v[6:7], v[6:7], 0, 1
	v_mov_b64_e32 v[10:11], 0
	s_or_b64 s[24:25], s[24:25], s[28:29]
	s_branch .LBB294_24
.LBB294_27:
	s_or_b64 exec, exec, s[20:21]
	s_branch .LBB294_29
.LBB294_28:
	v_mov_b64_e32 v[10:11], 0
.LBB294_29:
	s_or_b64 exec, exec, s[2:3]
.LBB294_30:
	s_cbranch_execnz .LBB294_51
.LBB294_31:
	s_cmp_eq_u64 s[18:19], 1
	v_cmp_ne_u32_e32 vcc, 0, v0
	s_cbranch_scc1 .LBB294_38
; %bb.32:
	v_lshlrev_b32_e32 v1, 3, v0
	v_mov_b64_e32 v[10:11], v[2:3]
	ds_write_b64 v1, v[2:3]
	s_waitcnt lgkmcnt(0)
	s_barrier
	s_and_saveexec_b64 s[2:3], vcc
	s_cbranch_execz .LBB294_41
; %bb.33:
	v_cmp_lt_i64_e64 s[18:19], s[12:13], 1
	s_and_b64 vcc, exec, s[18:19]
	s_cbranch_vccnz .LBB294_40
; %bb.34:
	v_add_u32_e32 v1, -8, v1
	ds_read_b64 v[6:7], v1
	v_mov_b64_e32 v[8:9], s[14:15]
	v_mad_u64_u32 v[4:5], s[18:19], v2, s12, v[8:9]
	v_mul_lo_u32 v1, v2, s13
	v_mul_lo_u32 v10, v3, s12
	v_add3_u32 v5, v10, v5, v1
	s_waitcnt lgkmcnt(0)
	v_mul_lo_u32 v1, v6, s13
	v_mul_lo_u32 v10, v7, s12
	v_mad_u64_u32 v[6:7], s[18:19], v6, s12, v[8:9]
	v_add3_u32 v7, v10, v7, v1
	s_mov_b64 s[18:19], 0
	s_mov_b64 s[20:21], s[12:13]
                                        ; implicit-def: $sgpr22_sgpr23
	s_branch .LBB294_36
.LBB294_35:                             ;   in Loop: Header=BB294_36 Depth=1
	s_or_b64 exec, exec, s[24:25]
	s_and_b64 s[24:25], exec, s[22:23]
	s_or_b64 s[18:19], s[24:25], s[18:19]
	s_andn2_b64 exec, exec, s[18:19]
	s_cbranch_execz .LBB294_39
.LBB294_36:                             ; =>This Inner Loop Header: Depth=1
	global_load_ubyte v1, v[4:5], off
	global_load_ubyte v8, v[6:7], off
	v_mov_b64_e32 v[10:11], 1
	s_or_b64 s[22:23], s[22:23], exec
	s_waitcnt vmcnt(0)
	v_cmp_eq_u16_e32 vcc, v1, v8
	s_and_saveexec_b64 s[24:25], vcc
	s_cbranch_execz .LBB294_35
; %bb.37:                               ;   in Loop: Header=BB294_36 Depth=1
	s_add_u32 s20, s20, -1
	s_addc_u32 s21, s21, -1
	s_cmp_eq_u64 s[20:21], 0
	s_cselect_b64 s[26:27], -1, 0
	s_andn2_b64 s[22:23], s[22:23], exec
	s_and_b64 s[26:27], s[26:27], exec
	v_lshl_add_u64 v[4:5], v[4:5], 0, 1
	v_lshl_add_u64 v[6:7], v[6:7], 0, 1
	v_mov_b64_e32 v[10:11], 0
	s_or_b64 s[22:23], s[22:23], s[26:27]
	s_branch .LBB294_35
.LBB294_38:
                                        ; implicit-def: $vgpr10_vgpr11
	s_branch .LBB294_42
.LBB294_39:
	s_or_b64 exec, exec, s[18:19]
	s_branch .LBB294_41
.LBB294_40:
	v_mov_b64_e32 v[10:11], 0
.LBB294_41:
	s_or_b64 exec, exec, s[2:3]
	s_cbranch_execnz .LBB294_51
.LBB294_42:
	v_cmp_ne_u32_e32 vcc, 0, v0
	v_cmp_gt_u32_e64 s[2:3], s10, v0
	v_lshlrev_b32_e32 v1, 3, v0
	s_and_b64 s[18:19], vcc, s[2:3]
	ds_write_b64 v1, v[2:3]
	s_waitcnt lgkmcnt(0)
	s_barrier
	s_and_saveexec_b64 s[2:3], s[18:19]
	s_cbranch_execz .LBB294_50
; %bb.43:
	v_cmp_lt_i64_e64 s[18:19], s[12:13], 1
	s_and_b64 vcc, exec, s[18:19]
	s_cbranch_vccnz .LBB294_49
; %bb.44:
	v_add_u32_e32 v1, -8, v1
	ds_read_b64 v[6:7], v1
	v_mov_b64_e32 v[8:9], s[14:15]
	v_mad_u64_u32 v[4:5], s[14:15], v2, s12, v[8:9]
	v_mul_lo_u32 v1, v2, s13
	v_mul_lo_u32 v2, v3, s12
	v_add3_u32 v5, v2, v5, v1
	s_waitcnt lgkmcnt(0)
	v_mul_lo_u32 v1, v6, s13
	v_mul_lo_u32 v2, v7, s12
	v_mad_u64_u32 v[6:7], s[14:15], v6, s12, v[8:9]
	v_add3_u32 v7, v2, v7, v1
	s_mov_b64 s[14:15], 0
                                        ; implicit-def: $sgpr18_sgpr19
	s_branch .LBB294_46
.LBB294_45:                             ;   in Loop: Header=BB294_46 Depth=1
	s_or_b64 exec, exec, s[20:21]
	s_and_b64 s[20:21], exec, s[18:19]
	s_or_b64 s[14:15], s[20:21], s[14:15]
	s_andn2_b64 exec, exec, s[14:15]
	s_cbranch_execz .LBB294_48
.LBB294_46:                             ; =>This Inner Loop Header: Depth=1
	global_load_ubyte v1, v[4:5], off
	global_load_ubyte v8, v[6:7], off
	v_mov_b64_e32 v[2:3], 1
	s_or_b64 s[18:19], s[18:19], exec
	s_waitcnt vmcnt(0)
	v_cmp_eq_u16_e32 vcc, v1, v8
	s_and_saveexec_b64 s[20:21], vcc
	s_cbranch_execz .LBB294_45
; %bb.47:                               ;   in Loop: Header=BB294_46 Depth=1
	s_add_u32 s12, s12, -1
	s_addc_u32 s13, s13, -1
	s_cmp_eq_u64 s[12:13], 0
	s_cselect_b64 s[22:23], -1, 0
	s_andn2_b64 s[18:19], s[18:19], exec
	s_and_b64 s[22:23], s[22:23], exec
	v_lshl_add_u64 v[4:5], v[4:5], 0, 1
	v_lshl_add_u64 v[6:7], v[6:7], 0, 1
	v_mov_b64_e32 v[2:3], 0
	s_or_b64 s[18:19], s[18:19], s[22:23]
	s_branch .LBB294_45
.LBB294_48:
	s_or_b64 exec, exec, s[14:15]
	s_branch .LBB294_50
.LBB294_49:
	v_mov_b64_e32 v[2:3], 0
.LBB294_50:
	s_or_b64 exec, exec, s[2:3]
	v_mov_b64_e32 v[10:11], v[2:3]
.LBB294_51:
	s_add_u32 s6, s8, s6
	s_addc_u32 s7, s9, s7
	s_mov_b64 s[2:3], -1
	s_and_b64 vcc, exec, s[0:1]
	s_waitcnt lgkmcnt(0)
	s_barrier
	s_cbranch_vccnz .LBB294_54
; %bb.52:
	s_andn2_b64 vcc, exec, s[2:3]
	s_cbranch_vccz .LBB294_57
.LBB294_53:
	s_endpgm
.LBB294_54:
	s_lshl_b32 s0, s16, 7
	s_sub_i32 s0, s10, s0
	v_lshlrev_b32_e32 v1, 3, v0
	v_cmp_gt_u32_e32 vcc, s0, v0
	ds_write_b64 v1, v[10:11]
	s_waitcnt lgkmcnt(0)
	s_barrier
	s_and_saveexec_b64 s[0:1], vcc
	s_cbranch_execz .LBB294_56
; %bb.55:
	ds_read_b64 v[2:3], v1
	s_mov_b32 s5, 0
	s_lshl_b64 s[2:3], s[4:5], 3
	s_add_u32 s2, s6, s2
	s_addc_u32 s3, s7, s3
	s_waitcnt lgkmcnt(0)
	global_store_dwordx2 v1, v[2:3], s[2:3]
.LBB294_56:
	s_or_b64 exec, exec, s[0:1]
	s_cbranch_execnz .LBB294_53
.LBB294_57:
	v_lshlrev_b32_e32 v2, 3, v0
	ds_write_b64 v2, v[10:11]
	s_waitcnt lgkmcnt(0)
	s_barrier
	ds_read_b64 v[0:1], v2
	s_mov_b32 s5, 0
	s_lshl_b64 s[0:1], s[4:5], 3
	s_add_u32 s0, s6, s0
	s_addc_u32 s1, s7, s1
	s_waitcnt lgkmcnt(0)
	global_store_dwordx2 v2, v[0:1], s[0:1]
	s_endpgm
	.section	.rodata,"a",@progbits
	.p2align	6, 0x0
	.amdhsa_kernel _ZN7rocprim17ROCPRIM_400000_NS6detail17trampoline_kernelINS0_14default_configENS1_35adjacent_difference_config_selectorILb0ElEEZNS1_24adjacent_difference_implIS3_Lb0ELb0EPlS7_ZN2at6native12_GLOBAL__N_124unique_dim_cuda_templateIaEESt5tupleIJNS8_6TensorESD_SD_EERKSD_lbbbEUlllE1_EE10hipError_tPvRmT2_T3_mT4_P12ihipStream_tbEUlT_E_NS1_11comp_targetILNS1_3genE0ELNS1_11target_archE4294967295ELNS1_3gpuE0ELNS1_3repE0EEENS1_30default_config_static_selectorELNS0_4arch9wavefront6targetE1EEEvT1_
		.amdhsa_group_segment_fixed_size 2048
		.amdhsa_private_segment_fixed_size 0
		.amdhsa_kernarg_size 64
		.amdhsa_user_sgpr_count 2
		.amdhsa_user_sgpr_dispatch_ptr 0
		.amdhsa_user_sgpr_queue_ptr 0
		.amdhsa_user_sgpr_kernarg_segment_ptr 1
		.amdhsa_user_sgpr_dispatch_id 0
		.amdhsa_user_sgpr_kernarg_preload_length 0
		.amdhsa_user_sgpr_kernarg_preload_offset 0
		.amdhsa_user_sgpr_private_segment_size 0
		.amdhsa_uses_dynamic_stack 0
		.amdhsa_enable_private_segment 0
		.amdhsa_system_sgpr_workgroup_id_x 1
		.amdhsa_system_sgpr_workgroup_id_y 0
		.amdhsa_system_sgpr_workgroup_id_z 0
		.amdhsa_system_sgpr_workgroup_info 0
		.amdhsa_system_vgpr_workitem_id 0
		.amdhsa_next_free_vgpr 12
		.amdhsa_next_free_sgpr 32
		.amdhsa_accum_offset 12
		.amdhsa_reserve_vcc 1
		.amdhsa_float_round_mode_32 0
		.amdhsa_float_round_mode_16_64 0
		.amdhsa_float_denorm_mode_32 3
		.amdhsa_float_denorm_mode_16_64 3
		.amdhsa_dx10_clamp 1
		.amdhsa_ieee_mode 1
		.amdhsa_fp16_overflow 0
		.amdhsa_tg_split 0
		.amdhsa_exception_fp_ieee_invalid_op 0
		.amdhsa_exception_fp_denorm_src 0
		.amdhsa_exception_fp_ieee_div_zero 0
		.amdhsa_exception_fp_ieee_overflow 0
		.amdhsa_exception_fp_ieee_underflow 0
		.amdhsa_exception_fp_ieee_inexact 0
		.amdhsa_exception_int_div_zero 0
	.end_amdhsa_kernel
	.section	.text._ZN7rocprim17ROCPRIM_400000_NS6detail17trampoline_kernelINS0_14default_configENS1_35adjacent_difference_config_selectorILb0ElEEZNS1_24adjacent_difference_implIS3_Lb0ELb0EPlS7_ZN2at6native12_GLOBAL__N_124unique_dim_cuda_templateIaEESt5tupleIJNS8_6TensorESD_SD_EERKSD_lbbbEUlllE1_EE10hipError_tPvRmT2_T3_mT4_P12ihipStream_tbEUlT_E_NS1_11comp_targetILNS1_3genE0ELNS1_11target_archE4294967295ELNS1_3gpuE0ELNS1_3repE0EEENS1_30default_config_static_selectorELNS0_4arch9wavefront6targetE1EEEvT1_,"axG",@progbits,_ZN7rocprim17ROCPRIM_400000_NS6detail17trampoline_kernelINS0_14default_configENS1_35adjacent_difference_config_selectorILb0ElEEZNS1_24adjacent_difference_implIS3_Lb0ELb0EPlS7_ZN2at6native12_GLOBAL__N_124unique_dim_cuda_templateIaEESt5tupleIJNS8_6TensorESD_SD_EERKSD_lbbbEUlllE1_EE10hipError_tPvRmT2_T3_mT4_P12ihipStream_tbEUlT_E_NS1_11comp_targetILNS1_3genE0ELNS1_11target_archE4294967295ELNS1_3gpuE0ELNS1_3repE0EEENS1_30default_config_static_selectorELNS0_4arch9wavefront6targetE1EEEvT1_,comdat
.Lfunc_end294:
	.size	_ZN7rocprim17ROCPRIM_400000_NS6detail17trampoline_kernelINS0_14default_configENS1_35adjacent_difference_config_selectorILb0ElEEZNS1_24adjacent_difference_implIS3_Lb0ELb0EPlS7_ZN2at6native12_GLOBAL__N_124unique_dim_cuda_templateIaEESt5tupleIJNS8_6TensorESD_SD_EERKSD_lbbbEUlllE1_EE10hipError_tPvRmT2_T3_mT4_P12ihipStream_tbEUlT_E_NS1_11comp_targetILNS1_3genE0ELNS1_11target_archE4294967295ELNS1_3gpuE0ELNS1_3repE0EEENS1_30default_config_static_selectorELNS0_4arch9wavefront6targetE1EEEvT1_, .Lfunc_end294-_ZN7rocprim17ROCPRIM_400000_NS6detail17trampoline_kernelINS0_14default_configENS1_35adjacent_difference_config_selectorILb0ElEEZNS1_24adjacent_difference_implIS3_Lb0ELb0EPlS7_ZN2at6native12_GLOBAL__N_124unique_dim_cuda_templateIaEESt5tupleIJNS8_6TensorESD_SD_EERKSD_lbbbEUlllE1_EE10hipError_tPvRmT2_T3_mT4_P12ihipStream_tbEUlT_E_NS1_11comp_targetILNS1_3genE0ELNS1_11target_archE4294967295ELNS1_3gpuE0ELNS1_3repE0EEENS1_30default_config_static_selectorELNS0_4arch9wavefront6targetE1EEEvT1_
                                        ; -- End function
	.set _ZN7rocprim17ROCPRIM_400000_NS6detail17trampoline_kernelINS0_14default_configENS1_35adjacent_difference_config_selectorILb0ElEEZNS1_24adjacent_difference_implIS3_Lb0ELb0EPlS7_ZN2at6native12_GLOBAL__N_124unique_dim_cuda_templateIaEESt5tupleIJNS8_6TensorESD_SD_EERKSD_lbbbEUlllE1_EE10hipError_tPvRmT2_T3_mT4_P12ihipStream_tbEUlT_E_NS1_11comp_targetILNS1_3genE0ELNS1_11target_archE4294967295ELNS1_3gpuE0ELNS1_3repE0EEENS1_30default_config_static_selectorELNS0_4arch9wavefront6targetE1EEEvT1_.num_vgpr, 12
	.set _ZN7rocprim17ROCPRIM_400000_NS6detail17trampoline_kernelINS0_14default_configENS1_35adjacent_difference_config_selectorILb0ElEEZNS1_24adjacent_difference_implIS3_Lb0ELb0EPlS7_ZN2at6native12_GLOBAL__N_124unique_dim_cuda_templateIaEESt5tupleIJNS8_6TensorESD_SD_EERKSD_lbbbEUlllE1_EE10hipError_tPvRmT2_T3_mT4_P12ihipStream_tbEUlT_E_NS1_11comp_targetILNS1_3genE0ELNS1_11target_archE4294967295ELNS1_3gpuE0ELNS1_3repE0EEENS1_30default_config_static_selectorELNS0_4arch9wavefront6targetE1EEEvT1_.num_agpr, 0
	.set _ZN7rocprim17ROCPRIM_400000_NS6detail17trampoline_kernelINS0_14default_configENS1_35adjacent_difference_config_selectorILb0ElEEZNS1_24adjacent_difference_implIS3_Lb0ELb0EPlS7_ZN2at6native12_GLOBAL__N_124unique_dim_cuda_templateIaEESt5tupleIJNS8_6TensorESD_SD_EERKSD_lbbbEUlllE1_EE10hipError_tPvRmT2_T3_mT4_P12ihipStream_tbEUlT_E_NS1_11comp_targetILNS1_3genE0ELNS1_11target_archE4294967295ELNS1_3gpuE0ELNS1_3repE0EEENS1_30default_config_static_selectorELNS0_4arch9wavefront6targetE1EEEvT1_.numbered_sgpr, 32
	.set _ZN7rocprim17ROCPRIM_400000_NS6detail17trampoline_kernelINS0_14default_configENS1_35adjacent_difference_config_selectorILb0ElEEZNS1_24adjacent_difference_implIS3_Lb0ELb0EPlS7_ZN2at6native12_GLOBAL__N_124unique_dim_cuda_templateIaEESt5tupleIJNS8_6TensorESD_SD_EERKSD_lbbbEUlllE1_EE10hipError_tPvRmT2_T3_mT4_P12ihipStream_tbEUlT_E_NS1_11comp_targetILNS1_3genE0ELNS1_11target_archE4294967295ELNS1_3gpuE0ELNS1_3repE0EEENS1_30default_config_static_selectorELNS0_4arch9wavefront6targetE1EEEvT1_.num_named_barrier, 0
	.set _ZN7rocprim17ROCPRIM_400000_NS6detail17trampoline_kernelINS0_14default_configENS1_35adjacent_difference_config_selectorILb0ElEEZNS1_24adjacent_difference_implIS3_Lb0ELb0EPlS7_ZN2at6native12_GLOBAL__N_124unique_dim_cuda_templateIaEESt5tupleIJNS8_6TensorESD_SD_EERKSD_lbbbEUlllE1_EE10hipError_tPvRmT2_T3_mT4_P12ihipStream_tbEUlT_E_NS1_11comp_targetILNS1_3genE0ELNS1_11target_archE4294967295ELNS1_3gpuE0ELNS1_3repE0EEENS1_30default_config_static_selectorELNS0_4arch9wavefront6targetE1EEEvT1_.private_seg_size, 0
	.set _ZN7rocprim17ROCPRIM_400000_NS6detail17trampoline_kernelINS0_14default_configENS1_35adjacent_difference_config_selectorILb0ElEEZNS1_24adjacent_difference_implIS3_Lb0ELb0EPlS7_ZN2at6native12_GLOBAL__N_124unique_dim_cuda_templateIaEESt5tupleIJNS8_6TensorESD_SD_EERKSD_lbbbEUlllE1_EE10hipError_tPvRmT2_T3_mT4_P12ihipStream_tbEUlT_E_NS1_11comp_targetILNS1_3genE0ELNS1_11target_archE4294967295ELNS1_3gpuE0ELNS1_3repE0EEENS1_30default_config_static_selectorELNS0_4arch9wavefront6targetE1EEEvT1_.uses_vcc, 1
	.set _ZN7rocprim17ROCPRIM_400000_NS6detail17trampoline_kernelINS0_14default_configENS1_35adjacent_difference_config_selectorILb0ElEEZNS1_24adjacent_difference_implIS3_Lb0ELb0EPlS7_ZN2at6native12_GLOBAL__N_124unique_dim_cuda_templateIaEESt5tupleIJNS8_6TensorESD_SD_EERKSD_lbbbEUlllE1_EE10hipError_tPvRmT2_T3_mT4_P12ihipStream_tbEUlT_E_NS1_11comp_targetILNS1_3genE0ELNS1_11target_archE4294967295ELNS1_3gpuE0ELNS1_3repE0EEENS1_30default_config_static_selectorELNS0_4arch9wavefront6targetE1EEEvT1_.uses_flat_scratch, 0
	.set _ZN7rocprim17ROCPRIM_400000_NS6detail17trampoline_kernelINS0_14default_configENS1_35adjacent_difference_config_selectorILb0ElEEZNS1_24adjacent_difference_implIS3_Lb0ELb0EPlS7_ZN2at6native12_GLOBAL__N_124unique_dim_cuda_templateIaEESt5tupleIJNS8_6TensorESD_SD_EERKSD_lbbbEUlllE1_EE10hipError_tPvRmT2_T3_mT4_P12ihipStream_tbEUlT_E_NS1_11comp_targetILNS1_3genE0ELNS1_11target_archE4294967295ELNS1_3gpuE0ELNS1_3repE0EEENS1_30default_config_static_selectorELNS0_4arch9wavefront6targetE1EEEvT1_.has_dyn_sized_stack, 0
	.set _ZN7rocprim17ROCPRIM_400000_NS6detail17trampoline_kernelINS0_14default_configENS1_35adjacent_difference_config_selectorILb0ElEEZNS1_24adjacent_difference_implIS3_Lb0ELb0EPlS7_ZN2at6native12_GLOBAL__N_124unique_dim_cuda_templateIaEESt5tupleIJNS8_6TensorESD_SD_EERKSD_lbbbEUlllE1_EE10hipError_tPvRmT2_T3_mT4_P12ihipStream_tbEUlT_E_NS1_11comp_targetILNS1_3genE0ELNS1_11target_archE4294967295ELNS1_3gpuE0ELNS1_3repE0EEENS1_30default_config_static_selectorELNS0_4arch9wavefront6targetE1EEEvT1_.has_recursion, 0
	.set _ZN7rocprim17ROCPRIM_400000_NS6detail17trampoline_kernelINS0_14default_configENS1_35adjacent_difference_config_selectorILb0ElEEZNS1_24adjacent_difference_implIS3_Lb0ELb0EPlS7_ZN2at6native12_GLOBAL__N_124unique_dim_cuda_templateIaEESt5tupleIJNS8_6TensorESD_SD_EERKSD_lbbbEUlllE1_EE10hipError_tPvRmT2_T3_mT4_P12ihipStream_tbEUlT_E_NS1_11comp_targetILNS1_3genE0ELNS1_11target_archE4294967295ELNS1_3gpuE0ELNS1_3repE0EEENS1_30default_config_static_selectorELNS0_4arch9wavefront6targetE1EEEvT1_.has_indirect_call, 0
	.section	.AMDGPU.csdata,"",@progbits
; Kernel info:
; codeLenInByte = 1692
; TotalNumSgprs: 38
; NumVgprs: 12
; NumAgprs: 0
; TotalNumVgprs: 12
; ScratchSize: 0
; MemoryBound: 0
; FloatMode: 240
; IeeeMode: 1
; LDSByteSize: 2048 bytes/workgroup (compile time only)
; SGPRBlocks: 4
; VGPRBlocks: 1
; NumSGPRsForWavesPerEU: 38
; NumVGPRsForWavesPerEU: 12
; AccumOffset: 12
; Occupancy: 8
; WaveLimiterHint : 0
; COMPUTE_PGM_RSRC2:SCRATCH_EN: 0
; COMPUTE_PGM_RSRC2:USER_SGPR: 2
; COMPUTE_PGM_RSRC2:TRAP_HANDLER: 0
; COMPUTE_PGM_RSRC2:TGID_X_EN: 1
; COMPUTE_PGM_RSRC2:TGID_Y_EN: 0
; COMPUTE_PGM_RSRC2:TGID_Z_EN: 0
; COMPUTE_PGM_RSRC2:TIDIG_COMP_CNT: 0
; COMPUTE_PGM_RSRC3_GFX90A:ACCUM_OFFSET: 2
; COMPUTE_PGM_RSRC3_GFX90A:TG_SPLIT: 0
	.section	.text._ZN7rocprim17ROCPRIM_400000_NS6detail17trampoline_kernelINS0_14default_configENS1_35adjacent_difference_config_selectorILb0ElEEZNS1_24adjacent_difference_implIS3_Lb0ELb0EPlS7_ZN2at6native12_GLOBAL__N_124unique_dim_cuda_templateIaEESt5tupleIJNS8_6TensorESD_SD_EERKSD_lbbbEUlllE1_EE10hipError_tPvRmT2_T3_mT4_P12ihipStream_tbEUlT_E_NS1_11comp_targetILNS1_3genE10ELNS1_11target_archE1201ELNS1_3gpuE5ELNS1_3repE0EEENS1_30default_config_static_selectorELNS0_4arch9wavefront6targetE1EEEvT1_,"axG",@progbits,_ZN7rocprim17ROCPRIM_400000_NS6detail17trampoline_kernelINS0_14default_configENS1_35adjacent_difference_config_selectorILb0ElEEZNS1_24adjacent_difference_implIS3_Lb0ELb0EPlS7_ZN2at6native12_GLOBAL__N_124unique_dim_cuda_templateIaEESt5tupleIJNS8_6TensorESD_SD_EERKSD_lbbbEUlllE1_EE10hipError_tPvRmT2_T3_mT4_P12ihipStream_tbEUlT_E_NS1_11comp_targetILNS1_3genE10ELNS1_11target_archE1201ELNS1_3gpuE5ELNS1_3repE0EEENS1_30default_config_static_selectorELNS0_4arch9wavefront6targetE1EEEvT1_,comdat
	.globl	_ZN7rocprim17ROCPRIM_400000_NS6detail17trampoline_kernelINS0_14default_configENS1_35adjacent_difference_config_selectorILb0ElEEZNS1_24adjacent_difference_implIS3_Lb0ELb0EPlS7_ZN2at6native12_GLOBAL__N_124unique_dim_cuda_templateIaEESt5tupleIJNS8_6TensorESD_SD_EERKSD_lbbbEUlllE1_EE10hipError_tPvRmT2_T3_mT4_P12ihipStream_tbEUlT_E_NS1_11comp_targetILNS1_3genE10ELNS1_11target_archE1201ELNS1_3gpuE5ELNS1_3repE0EEENS1_30default_config_static_selectorELNS0_4arch9wavefront6targetE1EEEvT1_ ; -- Begin function _ZN7rocprim17ROCPRIM_400000_NS6detail17trampoline_kernelINS0_14default_configENS1_35adjacent_difference_config_selectorILb0ElEEZNS1_24adjacent_difference_implIS3_Lb0ELb0EPlS7_ZN2at6native12_GLOBAL__N_124unique_dim_cuda_templateIaEESt5tupleIJNS8_6TensorESD_SD_EERKSD_lbbbEUlllE1_EE10hipError_tPvRmT2_T3_mT4_P12ihipStream_tbEUlT_E_NS1_11comp_targetILNS1_3genE10ELNS1_11target_archE1201ELNS1_3gpuE5ELNS1_3repE0EEENS1_30default_config_static_selectorELNS0_4arch9wavefront6targetE1EEEvT1_
	.p2align	8
	.type	_ZN7rocprim17ROCPRIM_400000_NS6detail17trampoline_kernelINS0_14default_configENS1_35adjacent_difference_config_selectorILb0ElEEZNS1_24adjacent_difference_implIS3_Lb0ELb0EPlS7_ZN2at6native12_GLOBAL__N_124unique_dim_cuda_templateIaEESt5tupleIJNS8_6TensorESD_SD_EERKSD_lbbbEUlllE1_EE10hipError_tPvRmT2_T3_mT4_P12ihipStream_tbEUlT_E_NS1_11comp_targetILNS1_3genE10ELNS1_11target_archE1201ELNS1_3gpuE5ELNS1_3repE0EEENS1_30default_config_static_selectorELNS0_4arch9wavefront6targetE1EEEvT1_,@function
_ZN7rocprim17ROCPRIM_400000_NS6detail17trampoline_kernelINS0_14default_configENS1_35adjacent_difference_config_selectorILb0ElEEZNS1_24adjacent_difference_implIS3_Lb0ELb0EPlS7_ZN2at6native12_GLOBAL__N_124unique_dim_cuda_templateIaEESt5tupleIJNS8_6TensorESD_SD_EERKSD_lbbbEUlllE1_EE10hipError_tPvRmT2_T3_mT4_P12ihipStream_tbEUlT_E_NS1_11comp_targetILNS1_3genE10ELNS1_11target_archE1201ELNS1_3gpuE5ELNS1_3repE0EEENS1_30default_config_static_selectorELNS0_4arch9wavefront6targetE1EEEvT1_: ; @_ZN7rocprim17ROCPRIM_400000_NS6detail17trampoline_kernelINS0_14default_configENS1_35adjacent_difference_config_selectorILb0ElEEZNS1_24adjacent_difference_implIS3_Lb0ELb0EPlS7_ZN2at6native12_GLOBAL__N_124unique_dim_cuda_templateIaEESt5tupleIJNS8_6TensorESD_SD_EERKSD_lbbbEUlllE1_EE10hipError_tPvRmT2_T3_mT4_P12ihipStream_tbEUlT_E_NS1_11comp_targetILNS1_3genE10ELNS1_11target_archE1201ELNS1_3gpuE5ELNS1_3repE0EEENS1_30default_config_static_selectorELNS0_4arch9wavefront6targetE1EEEvT1_
; %bb.0:
	.section	.rodata,"a",@progbits
	.p2align	6, 0x0
	.amdhsa_kernel _ZN7rocprim17ROCPRIM_400000_NS6detail17trampoline_kernelINS0_14default_configENS1_35adjacent_difference_config_selectorILb0ElEEZNS1_24adjacent_difference_implIS3_Lb0ELb0EPlS7_ZN2at6native12_GLOBAL__N_124unique_dim_cuda_templateIaEESt5tupleIJNS8_6TensorESD_SD_EERKSD_lbbbEUlllE1_EE10hipError_tPvRmT2_T3_mT4_P12ihipStream_tbEUlT_E_NS1_11comp_targetILNS1_3genE10ELNS1_11target_archE1201ELNS1_3gpuE5ELNS1_3repE0EEENS1_30default_config_static_selectorELNS0_4arch9wavefront6targetE1EEEvT1_
		.amdhsa_group_segment_fixed_size 0
		.amdhsa_private_segment_fixed_size 0
		.amdhsa_kernarg_size 64
		.amdhsa_user_sgpr_count 2
		.amdhsa_user_sgpr_dispatch_ptr 0
		.amdhsa_user_sgpr_queue_ptr 0
		.amdhsa_user_sgpr_kernarg_segment_ptr 1
		.amdhsa_user_sgpr_dispatch_id 0
		.amdhsa_user_sgpr_kernarg_preload_length 0
		.amdhsa_user_sgpr_kernarg_preload_offset 0
		.amdhsa_user_sgpr_private_segment_size 0
		.amdhsa_uses_dynamic_stack 0
		.amdhsa_enable_private_segment 0
		.amdhsa_system_sgpr_workgroup_id_x 1
		.amdhsa_system_sgpr_workgroup_id_y 0
		.amdhsa_system_sgpr_workgroup_id_z 0
		.amdhsa_system_sgpr_workgroup_info 0
		.amdhsa_system_vgpr_workitem_id 0
		.amdhsa_next_free_vgpr 1
		.amdhsa_next_free_sgpr 0
		.amdhsa_accum_offset 4
		.amdhsa_reserve_vcc 0
		.amdhsa_float_round_mode_32 0
		.amdhsa_float_round_mode_16_64 0
		.amdhsa_float_denorm_mode_32 3
		.amdhsa_float_denorm_mode_16_64 3
		.amdhsa_dx10_clamp 1
		.amdhsa_ieee_mode 1
		.amdhsa_fp16_overflow 0
		.amdhsa_tg_split 0
		.amdhsa_exception_fp_ieee_invalid_op 0
		.amdhsa_exception_fp_denorm_src 0
		.amdhsa_exception_fp_ieee_div_zero 0
		.amdhsa_exception_fp_ieee_overflow 0
		.amdhsa_exception_fp_ieee_underflow 0
		.amdhsa_exception_fp_ieee_inexact 0
		.amdhsa_exception_int_div_zero 0
	.end_amdhsa_kernel
	.section	.text._ZN7rocprim17ROCPRIM_400000_NS6detail17trampoline_kernelINS0_14default_configENS1_35adjacent_difference_config_selectorILb0ElEEZNS1_24adjacent_difference_implIS3_Lb0ELb0EPlS7_ZN2at6native12_GLOBAL__N_124unique_dim_cuda_templateIaEESt5tupleIJNS8_6TensorESD_SD_EERKSD_lbbbEUlllE1_EE10hipError_tPvRmT2_T3_mT4_P12ihipStream_tbEUlT_E_NS1_11comp_targetILNS1_3genE10ELNS1_11target_archE1201ELNS1_3gpuE5ELNS1_3repE0EEENS1_30default_config_static_selectorELNS0_4arch9wavefront6targetE1EEEvT1_,"axG",@progbits,_ZN7rocprim17ROCPRIM_400000_NS6detail17trampoline_kernelINS0_14default_configENS1_35adjacent_difference_config_selectorILb0ElEEZNS1_24adjacent_difference_implIS3_Lb0ELb0EPlS7_ZN2at6native12_GLOBAL__N_124unique_dim_cuda_templateIaEESt5tupleIJNS8_6TensorESD_SD_EERKSD_lbbbEUlllE1_EE10hipError_tPvRmT2_T3_mT4_P12ihipStream_tbEUlT_E_NS1_11comp_targetILNS1_3genE10ELNS1_11target_archE1201ELNS1_3gpuE5ELNS1_3repE0EEENS1_30default_config_static_selectorELNS0_4arch9wavefront6targetE1EEEvT1_,comdat
.Lfunc_end295:
	.size	_ZN7rocprim17ROCPRIM_400000_NS6detail17trampoline_kernelINS0_14default_configENS1_35adjacent_difference_config_selectorILb0ElEEZNS1_24adjacent_difference_implIS3_Lb0ELb0EPlS7_ZN2at6native12_GLOBAL__N_124unique_dim_cuda_templateIaEESt5tupleIJNS8_6TensorESD_SD_EERKSD_lbbbEUlllE1_EE10hipError_tPvRmT2_T3_mT4_P12ihipStream_tbEUlT_E_NS1_11comp_targetILNS1_3genE10ELNS1_11target_archE1201ELNS1_3gpuE5ELNS1_3repE0EEENS1_30default_config_static_selectorELNS0_4arch9wavefront6targetE1EEEvT1_, .Lfunc_end295-_ZN7rocprim17ROCPRIM_400000_NS6detail17trampoline_kernelINS0_14default_configENS1_35adjacent_difference_config_selectorILb0ElEEZNS1_24adjacent_difference_implIS3_Lb0ELb0EPlS7_ZN2at6native12_GLOBAL__N_124unique_dim_cuda_templateIaEESt5tupleIJNS8_6TensorESD_SD_EERKSD_lbbbEUlllE1_EE10hipError_tPvRmT2_T3_mT4_P12ihipStream_tbEUlT_E_NS1_11comp_targetILNS1_3genE10ELNS1_11target_archE1201ELNS1_3gpuE5ELNS1_3repE0EEENS1_30default_config_static_selectorELNS0_4arch9wavefront6targetE1EEEvT1_
                                        ; -- End function
	.set _ZN7rocprim17ROCPRIM_400000_NS6detail17trampoline_kernelINS0_14default_configENS1_35adjacent_difference_config_selectorILb0ElEEZNS1_24adjacent_difference_implIS3_Lb0ELb0EPlS7_ZN2at6native12_GLOBAL__N_124unique_dim_cuda_templateIaEESt5tupleIJNS8_6TensorESD_SD_EERKSD_lbbbEUlllE1_EE10hipError_tPvRmT2_T3_mT4_P12ihipStream_tbEUlT_E_NS1_11comp_targetILNS1_3genE10ELNS1_11target_archE1201ELNS1_3gpuE5ELNS1_3repE0EEENS1_30default_config_static_selectorELNS0_4arch9wavefront6targetE1EEEvT1_.num_vgpr, 0
	.set _ZN7rocprim17ROCPRIM_400000_NS6detail17trampoline_kernelINS0_14default_configENS1_35adjacent_difference_config_selectorILb0ElEEZNS1_24adjacent_difference_implIS3_Lb0ELb0EPlS7_ZN2at6native12_GLOBAL__N_124unique_dim_cuda_templateIaEESt5tupleIJNS8_6TensorESD_SD_EERKSD_lbbbEUlllE1_EE10hipError_tPvRmT2_T3_mT4_P12ihipStream_tbEUlT_E_NS1_11comp_targetILNS1_3genE10ELNS1_11target_archE1201ELNS1_3gpuE5ELNS1_3repE0EEENS1_30default_config_static_selectorELNS0_4arch9wavefront6targetE1EEEvT1_.num_agpr, 0
	.set _ZN7rocprim17ROCPRIM_400000_NS6detail17trampoline_kernelINS0_14default_configENS1_35adjacent_difference_config_selectorILb0ElEEZNS1_24adjacent_difference_implIS3_Lb0ELb0EPlS7_ZN2at6native12_GLOBAL__N_124unique_dim_cuda_templateIaEESt5tupleIJNS8_6TensorESD_SD_EERKSD_lbbbEUlllE1_EE10hipError_tPvRmT2_T3_mT4_P12ihipStream_tbEUlT_E_NS1_11comp_targetILNS1_3genE10ELNS1_11target_archE1201ELNS1_3gpuE5ELNS1_3repE0EEENS1_30default_config_static_selectorELNS0_4arch9wavefront6targetE1EEEvT1_.numbered_sgpr, 0
	.set _ZN7rocprim17ROCPRIM_400000_NS6detail17trampoline_kernelINS0_14default_configENS1_35adjacent_difference_config_selectorILb0ElEEZNS1_24adjacent_difference_implIS3_Lb0ELb0EPlS7_ZN2at6native12_GLOBAL__N_124unique_dim_cuda_templateIaEESt5tupleIJNS8_6TensorESD_SD_EERKSD_lbbbEUlllE1_EE10hipError_tPvRmT2_T3_mT4_P12ihipStream_tbEUlT_E_NS1_11comp_targetILNS1_3genE10ELNS1_11target_archE1201ELNS1_3gpuE5ELNS1_3repE0EEENS1_30default_config_static_selectorELNS0_4arch9wavefront6targetE1EEEvT1_.num_named_barrier, 0
	.set _ZN7rocprim17ROCPRIM_400000_NS6detail17trampoline_kernelINS0_14default_configENS1_35adjacent_difference_config_selectorILb0ElEEZNS1_24adjacent_difference_implIS3_Lb0ELb0EPlS7_ZN2at6native12_GLOBAL__N_124unique_dim_cuda_templateIaEESt5tupleIJNS8_6TensorESD_SD_EERKSD_lbbbEUlllE1_EE10hipError_tPvRmT2_T3_mT4_P12ihipStream_tbEUlT_E_NS1_11comp_targetILNS1_3genE10ELNS1_11target_archE1201ELNS1_3gpuE5ELNS1_3repE0EEENS1_30default_config_static_selectorELNS0_4arch9wavefront6targetE1EEEvT1_.private_seg_size, 0
	.set _ZN7rocprim17ROCPRIM_400000_NS6detail17trampoline_kernelINS0_14default_configENS1_35adjacent_difference_config_selectorILb0ElEEZNS1_24adjacent_difference_implIS3_Lb0ELb0EPlS7_ZN2at6native12_GLOBAL__N_124unique_dim_cuda_templateIaEESt5tupleIJNS8_6TensorESD_SD_EERKSD_lbbbEUlllE1_EE10hipError_tPvRmT2_T3_mT4_P12ihipStream_tbEUlT_E_NS1_11comp_targetILNS1_3genE10ELNS1_11target_archE1201ELNS1_3gpuE5ELNS1_3repE0EEENS1_30default_config_static_selectorELNS0_4arch9wavefront6targetE1EEEvT1_.uses_vcc, 0
	.set _ZN7rocprim17ROCPRIM_400000_NS6detail17trampoline_kernelINS0_14default_configENS1_35adjacent_difference_config_selectorILb0ElEEZNS1_24adjacent_difference_implIS3_Lb0ELb0EPlS7_ZN2at6native12_GLOBAL__N_124unique_dim_cuda_templateIaEESt5tupleIJNS8_6TensorESD_SD_EERKSD_lbbbEUlllE1_EE10hipError_tPvRmT2_T3_mT4_P12ihipStream_tbEUlT_E_NS1_11comp_targetILNS1_3genE10ELNS1_11target_archE1201ELNS1_3gpuE5ELNS1_3repE0EEENS1_30default_config_static_selectorELNS0_4arch9wavefront6targetE1EEEvT1_.uses_flat_scratch, 0
	.set _ZN7rocprim17ROCPRIM_400000_NS6detail17trampoline_kernelINS0_14default_configENS1_35adjacent_difference_config_selectorILb0ElEEZNS1_24adjacent_difference_implIS3_Lb0ELb0EPlS7_ZN2at6native12_GLOBAL__N_124unique_dim_cuda_templateIaEESt5tupleIJNS8_6TensorESD_SD_EERKSD_lbbbEUlllE1_EE10hipError_tPvRmT2_T3_mT4_P12ihipStream_tbEUlT_E_NS1_11comp_targetILNS1_3genE10ELNS1_11target_archE1201ELNS1_3gpuE5ELNS1_3repE0EEENS1_30default_config_static_selectorELNS0_4arch9wavefront6targetE1EEEvT1_.has_dyn_sized_stack, 0
	.set _ZN7rocprim17ROCPRIM_400000_NS6detail17trampoline_kernelINS0_14default_configENS1_35adjacent_difference_config_selectorILb0ElEEZNS1_24adjacent_difference_implIS3_Lb0ELb0EPlS7_ZN2at6native12_GLOBAL__N_124unique_dim_cuda_templateIaEESt5tupleIJNS8_6TensorESD_SD_EERKSD_lbbbEUlllE1_EE10hipError_tPvRmT2_T3_mT4_P12ihipStream_tbEUlT_E_NS1_11comp_targetILNS1_3genE10ELNS1_11target_archE1201ELNS1_3gpuE5ELNS1_3repE0EEENS1_30default_config_static_selectorELNS0_4arch9wavefront6targetE1EEEvT1_.has_recursion, 0
	.set _ZN7rocprim17ROCPRIM_400000_NS6detail17trampoline_kernelINS0_14default_configENS1_35adjacent_difference_config_selectorILb0ElEEZNS1_24adjacent_difference_implIS3_Lb0ELb0EPlS7_ZN2at6native12_GLOBAL__N_124unique_dim_cuda_templateIaEESt5tupleIJNS8_6TensorESD_SD_EERKSD_lbbbEUlllE1_EE10hipError_tPvRmT2_T3_mT4_P12ihipStream_tbEUlT_E_NS1_11comp_targetILNS1_3genE10ELNS1_11target_archE1201ELNS1_3gpuE5ELNS1_3repE0EEENS1_30default_config_static_selectorELNS0_4arch9wavefront6targetE1EEEvT1_.has_indirect_call, 0
	.section	.AMDGPU.csdata,"",@progbits
; Kernel info:
; codeLenInByte = 0
; TotalNumSgprs: 6
; NumVgprs: 0
; NumAgprs: 0
; TotalNumVgprs: 0
; ScratchSize: 0
; MemoryBound: 0
; FloatMode: 240
; IeeeMode: 1
; LDSByteSize: 0 bytes/workgroup (compile time only)
; SGPRBlocks: 0
; VGPRBlocks: 0
; NumSGPRsForWavesPerEU: 6
; NumVGPRsForWavesPerEU: 1
; AccumOffset: 4
; Occupancy: 8
; WaveLimiterHint : 0
; COMPUTE_PGM_RSRC2:SCRATCH_EN: 0
; COMPUTE_PGM_RSRC2:USER_SGPR: 2
; COMPUTE_PGM_RSRC2:TRAP_HANDLER: 0
; COMPUTE_PGM_RSRC2:TGID_X_EN: 1
; COMPUTE_PGM_RSRC2:TGID_Y_EN: 0
; COMPUTE_PGM_RSRC2:TGID_Z_EN: 0
; COMPUTE_PGM_RSRC2:TIDIG_COMP_CNT: 0
; COMPUTE_PGM_RSRC3_GFX90A:ACCUM_OFFSET: 0
; COMPUTE_PGM_RSRC3_GFX90A:TG_SPLIT: 0
	.section	.text._ZN7rocprim17ROCPRIM_400000_NS6detail17trampoline_kernelINS0_14default_configENS1_35adjacent_difference_config_selectorILb0ElEEZNS1_24adjacent_difference_implIS3_Lb0ELb0EPlS7_ZN2at6native12_GLOBAL__N_124unique_dim_cuda_templateIaEESt5tupleIJNS8_6TensorESD_SD_EERKSD_lbbbEUlllE1_EE10hipError_tPvRmT2_T3_mT4_P12ihipStream_tbEUlT_E_NS1_11comp_targetILNS1_3genE5ELNS1_11target_archE942ELNS1_3gpuE9ELNS1_3repE0EEENS1_30default_config_static_selectorELNS0_4arch9wavefront6targetE1EEEvT1_,"axG",@progbits,_ZN7rocprim17ROCPRIM_400000_NS6detail17trampoline_kernelINS0_14default_configENS1_35adjacent_difference_config_selectorILb0ElEEZNS1_24adjacent_difference_implIS3_Lb0ELb0EPlS7_ZN2at6native12_GLOBAL__N_124unique_dim_cuda_templateIaEESt5tupleIJNS8_6TensorESD_SD_EERKSD_lbbbEUlllE1_EE10hipError_tPvRmT2_T3_mT4_P12ihipStream_tbEUlT_E_NS1_11comp_targetILNS1_3genE5ELNS1_11target_archE942ELNS1_3gpuE9ELNS1_3repE0EEENS1_30default_config_static_selectorELNS0_4arch9wavefront6targetE1EEEvT1_,comdat
	.globl	_ZN7rocprim17ROCPRIM_400000_NS6detail17trampoline_kernelINS0_14default_configENS1_35adjacent_difference_config_selectorILb0ElEEZNS1_24adjacent_difference_implIS3_Lb0ELb0EPlS7_ZN2at6native12_GLOBAL__N_124unique_dim_cuda_templateIaEESt5tupleIJNS8_6TensorESD_SD_EERKSD_lbbbEUlllE1_EE10hipError_tPvRmT2_T3_mT4_P12ihipStream_tbEUlT_E_NS1_11comp_targetILNS1_3genE5ELNS1_11target_archE942ELNS1_3gpuE9ELNS1_3repE0EEENS1_30default_config_static_selectorELNS0_4arch9wavefront6targetE1EEEvT1_ ; -- Begin function _ZN7rocprim17ROCPRIM_400000_NS6detail17trampoline_kernelINS0_14default_configENS1_35adjacent_difference_config_selectorILb0ElEEZNS1_24adjacent_difference_implIS3_Lb0ELb0EPlS7_ZN2at6native12_GLOBAL__N_124unique_dim_cuda_templateIaEESt5tupleIJNS8_6TensorESD_SD_EERKSD_lbbbEUlllE1_EE10hipError_tPvRmT2_T3_mT4_P12ihipStream_tbEUlT_E_NS1_11comp_targetILNS1_3genE5ELNS1_11target_archE942ELNS1_3gpuE9ELNS1_3repE0EEENS1_30default_config_static_selectorELNS0_4arch9wavefront6targetE1EEEvT1_
	.p2align	8
	.type	_ZN7rocprim17ROCPRIM_400000_NS6detail17trampoline_kernelINS0_14default_configENS1_35adjacent_difference_config_selectorILb0ElEEZNS1_24adjacent_difference_implIS3_Lb0ELb0EPlS7_ZN2at6native12_GLOBAL__N_124unique_dim_cuda_templateIaEESt5tupleIJNS8_6TensorESD_SD_EERKSD_lbbbEUlllE1_EE10hipError_tPvRmT2_T3_mT4_P12ihipStream_tbEUlT_E_NS1_11comp_targetILNS1_3genE5ELNS1_11target_archE942ELNS1_3gpuE9ELNS1_3repE0EEENS1_30default_config_static_selectorELNS0_4arch9wavefront6targetE1EEEvT1_,@function
_ZN7rocprim17ROCPRIM_400000_NS6detail17trampoline_kernelINS0_14default_configENS1_35adjacent_difference_config_selectorILb0ElEEZNS1_24adjacent_difference_implIS3_Lb0ELb0EPlS7_ZN2at6native12_GLOBAL__N_124unique_dim_cuda_templateIaEESt5tupleIJNS8_6TensorESD_SD_EERKSD_lbbbEUlllE1_EE10hipError_tPvRmT2_T3_mT4_P12ihipStream_tbEUlT_E_NS1_11comp_targetILNS1_3genE5ELNS1_11target_archE942ELNS1_3gpuE9ELNS1_3repE0EEENS1_30default_config_static_selectorELNS0_4arch9wavefront6targetE1EEEvT1_: ; @_ZN7rocprim17ROCPRIM_400000_NS6detail17trampoline_kernelINS0_14default_configENS1_35adjacent_difference_config_selectorILb0ElEEZNS1_24adjacent_difference_implIS3_Lb0ELb0EPlS7_ZN2at6native12_GLOBAL__N_124unique_dim_cuda_templateIaEESt5tupleIJNS8_6TensorESD_SD_EERKSD_lbbbEUlllE1_EE10hipError_tPvRmT2_T3_mT4_P12ihipStream_tbEUlT_E_NS1_11comp_targetILNS1_3genE5ELNS1_11target_archE942ELNS1_3gpuE9ELNS1_3repE0EEENS1_30default_config_static_selectorELNS0_4arch9wavefront6targetE1EEEvT1_
; %bb.0:
	.section	.rodata,"a",@progbits
	.p2align	6, 0x0
	.amdhsa_kernel _ZN7rocprim17ROCPRIM_400000_NS6detail17trampoline_kernelINS0_14default_configENS1_35adjacent_difference_config_selectorILb0ElEEZNS1_24adjacent_difference_implIS3_Lb0ELb0EPlS7_ZN2at6native12_GLOBAL__N_124unique_dim_cuda_templateIaEESt5tupleIJNS8_6TensorESD_SD_EERKSD_lbbbEUlllE1_EE10hipError_tPvRmT2_T3_mT4_P12ihipStream_tbEUlT_E_NS1_11comp_targetILNS1_3genE5ELNS1_11target_archE942ELNS1_3gpuE9ELNS1_3repE0EEENS1_30default_config_static_selectorELNS0_4arch9wavefront6targetE1EEEvT1_
		.amdhsa_group_segment_fixed_size 0
		.amdhsa_private_segment_fixed_size 0
		.amdhsa_kernarg_size 64
		.amdhsa_user_sgpr_count 2
		.amdhsa_user_sgpr_dispatch_ptr 0
		.amdhsa_user_sgpr_queue_ptr 0
		.amdhsa_user_sgpr_kernarg_segment_ptr 1
		.amdhsa_user_sgpr_dispatch_id 0
		.amdhsa_user_sgpr_kernarg_preload_length 0
		.amdhsa_user_sgpr_kernarg_preload_offset 0
		.amdhsa_user_sgpr_private_segment_size 0
		.amdhsa_uses_dynamic_stack 0
		.amdhsa_enable_private_segment 0
		.amdhsa_system_sgpr_workgroup_id_x 1
		.amdhsa_system_sgpr_workgroup_id_y 0
		.amdhsa_system_sgpr_workgroup_id_z 0
		.amdhsa_system_sgpr_workgroup_info 0
		.amdhsa_system_vgpr_workitem_id 0
		.amdhsa_next_free_vgpr 1
		.amdhsa_next_free_sgpr 0
		.amdhsa_accum_offset 4
		.amdhsa_reserve_vcc 0
		.amdhsa_float_round_mode_32 0
		.amdhsa_float_round_mode_16_64 0
		.amdhsa_float_denorm_mode_32 3
		.amdhsa_float_denorm_mode_16_64 3
		.amdhsa_dx10_clamp 1
		.amdhsa_ieee_mode 1
		.amdhsa_fp16_overflow 0
		.amdhsa_tg_split 0
		.amdhsa_exception_fp_ieee_invalid_op 0
		.amdhsa_exception_fp_denorm_src 0
		.amdhsa_exception_fp_ieee_div_zero 0
		.amdhsa_exception_fp_ieee_overflow 0
		.amdhsa_exception_fp_ieee_underflow 0
		.amdhsa_exception_fp_ieee_inexact 0
		.amdhsa_exception_int_div_zero 0
	.end_amdhsa_kernel
	.section	.text._ZN7rocprim17ROCPRIM_400000_NS6detail17trampoline_kernelINS0_14default_configENS1_35adjacent_difference_config_selectorILb0ElEEZNS1_24adjacent_difference_implIS3_Lb0ELb0EPlS7_ZN2at6native12_GLOBAL__N_124unique_dim_cuda_templateIaEESt5tupleIJNS8_6TensorESD_SD_EERKSD_lbbbEUlllE1_EE10hipError_tPvRmT2_T3_mT4_P12ihipStream_tbEUlT_E_NS1_11comp_targetILNS1_3genE5ELNS1_11target_archE942ELNS1_3gpuE9ELNS1_3repE0EEENS1_30default_config_static_selectorELNS0_4arch9wavefront6targetE1EEEvT1_,"axG",@progbits,_ZN7rocprim17ROCPRIM_400000_NS6detail17trampoline_kernelINS0_14default_configENS1_35adjacent_difference_config_selectorILb0ElEEZNS1_24adjacent_difference_implIS3_Lb0ELb0EPlS7_ZN2at6native12_GLOBAL__N_124unique_dim_cuda_templateIaEESt5tupleIJNS8_6TensorESD_SD_EERKSD_lbbbEUlllE1_EE10hipError_tPvRmT2_T3_mT4_P12ihipStream_tbEUlT_E_NS1_11comp_targetILNS1_3genE5ELNS1_11target_archE942ELNS1_3gpuE9ELNS1_3repE0EEENS1_30default_config_static_selectorELNS0_4arch9wavefront6targetE1EEEvT1_,comdat
.Lfunc_end296:
	.size	_ZN7rocprim17ROCPRIM_400000_NS6detail17trampoline_kernelINS0_14default_configENS1_35adjacent_difference_config_selectorILb0ElEEZNS1_24adjacent_difference_implIS3_Lb0ELb0EPlS7_ZN2at6native12_GLOBAL__N_124unique_dim_cuda_templateIaEESt5tupleIJNS8_6TensorESD_SD_EERKSD_lbbbEUlllE1_EE10hipError_tPvRmT2_T3_mT4_P12ihipStream_tbEUlT_E_NS1_11comp_targetILNS1_3genE5ELNS1_11target_archE942ELNS1_3gpuE9ELNS1_3repE0EEENS1_30default_config_static_selectorELNS0_4arch9wavefront6targetE1EEEvT1_, .Lfunc_end296-_ZN7rocprim17ROCPRIM_400000_NS6detail17trampoline_kernelINS0_14default_configENS1_35adjacent_difference_config_selectorILb0ElEEZNS1_24adjacent_difference_implIS3_Lb0ELb0EPlS7_ZN2at6native12_GLOBAL__N_124unique_dim_cuda_templateIaEESt5tupleIJNS8_6TensorESD_SD_EERKSD_lbbbEUlllE1_EE10hipError_tPvRmT2_T3_mT4_P12ihipStream_tbEUlT_E_NS1_11comp_targetILNS1_3genE5ELNS1_11target_archE942ELNS1_3gpuE9ELNS1_3repE0EEENS1_30default_config_static_selectorELNS0_4arch9wavefront6targetE1EEEvT1_
                                        ; -- End function
	.set _ZN7rocprim17ROCPRIM_400000_NS6detail17trampoline_kernelINS0_14default_configENS1_35adjacent_difference_config_selectorILb0ElEEZNS1_24adjacent_difference_implIS3_Lb0ELb0EPlS7_ZN2at6native12_GLOBAL__N_124unique_dim_cuda_templateIaEESt5tupleIJNS8_6TensorESD_SD_EERKSD_lbbbEUlllE1_EE10hipError_tPvRmT2_T3_mT4_P12ihipStream_tbEUlT_E_NS1_11comp_targetILNS1_3genE5ELNS1_11target_archE942ELNS1_3gpuE9ELNS1_3repE0EEENS1_30default_config_static_selectorELNS0_4arch9wavefront6targetE1EEEvT1_.num_vgpr, 0
	.set _ZN7rocprim17ROCPRIM_400000_NS6detail17trampoline_kernelINS0_14default_configENS1_35adjacent_difference_config_selectorILb0ElEEZNS1_24adjacent_difference_implIS3_Lb0ELb0EPlS7_ZN2at6native12_GLOBAL__N_124unique_dim_cuda_templateIaEESt5tupleIJNS8_6TensorESD_SD_EERKSD_lbbbEUlllE1_EE10hipError_tPvRmT2_T3_mT4_P12ihipStream_tbEUlT_E_NS1_11comp_targetILNS1_3genE5ELNS1_11target_archE942ELNS1_3gpuE9ELNS1_3repE0EEENS1_30default_config_static_selectorELNS0_4arch9wavefront6targetE1EEEvT1_.num_agpr, 0
	.set _ZN7rocprim17ROCPRIM_400000_NS6detail17trampoline_kernelINS0_14default_configENS1_35adjacent_difference_config_selectorILb0ElEEZNS1_24adjacent_difference_implIS3_Lb0ELb0EPlS7_ZN2at6native12_GLOBAL__N_124unique_dim_cuda_templateIaEESt5tupleIJNS8_6TensorESD_SD_EERKSD_lbbbEUlllE1_EE10hipError_tPvRmT2_T3_mT4_P12ihipStream_tbEUlT_E_NS1_11comp_targetILNS1_3genE5ELNS1_11target_archE942ELNS1_3gpuE9ELNS1_3repE0EEENS1_30default_config_static_selectorELNS0_4arch9wavefront6targetE1EEEvT1_.numbered_sgpr, 0
	.set _ZN7rocprim17ROCPRIM_400000_NS6detail17trampoline_kernelINS0_14default_configENS1_35adjacent_difference_config_selectorILb0ElEEZNS1_24adjacent_difference_implIS3_Lb0ELb0EPlS7_ZN2at6native12_GLOBAL__N_124unique_dim_cuda_templateIaEESt5tupleIJNS8_6TensorESD_SD_EERKSD_lbbbEUlllE1_EE10hipError_tPvRmT2_T3_mT4_P12ihipStream_tbEUlT_E_NS1_11comp_targetILNS1_3genE5ELNS1_11target_archE942ELNS1_3gpuE9ELNS1_3repE0EEENS1_30default_config_static_selectorELNS0_4arch9wavefront6targetE1EEEvT1_.num_named_barrier, 0
	.set _ZN7rocprim17ROCPRIM_400000_NS6detail17trampoline_kernelINS0_14default_configENS1_35adjacent_difference_config_selectorILb0ElEEZNS1_24adjacent_difference_implIS3_Lb0ELb0EPlS7_ZN2at6native12_GLOBAL__N_124unique_dim_cuda_templateIaEESt5tupleIJNS8_6TensorESD_SD_EERKSD_lbbbEUlllE1_EE10hipError_tPvRmT2_T3_mT4_P12ihipStream_tbEUlT_E_NS1_11comp_targetILNS1_3genE5ELNS1_11target_archE942ELNS1_3gpuE9ELNS1_3repE0EEENS1_30default_config_static_selectorELNS0_4arch9wavefront6targetE1EEEvT1_.private_seg_size, 0
	.set _ZN7rocprim17ROCPRIM_400000_NS6detail17trampoline_kernelINS0_14default_configENS1_35adjacent_difference_config_selectorILb0ElEEZNS1_24adjacent_difference_implIS3_Lb0ELb0EPlS7_ZN2at6native12_GLOBAL__N_124unique_dim_cuda_templateIaEESt5tupleIJNS8_6TensorESD_SD_EERKSD_lbbbEUlllE1_EE10hipError_tPvRmT2_T3_mT4_P12ihipStream_tbEUlT_E_NS1_11comp_targetILNS1_3genE5ELNS1_11target_archE942ELNS1_3gpuE9ELNS1_3repE0EEENS1_30default_config_static_selectorELNS0_4arch9wavefront6targetE1EEEvT1_.uses_vcc, 0
	.set _ZN7rocprim17ROCPRIM_400000_NS6detail17trampoline_kernelINS0_14default_configENS1_35adjacent_difference_config_selectorILb0ElEEZNS1_24adjacent_difference_implIS3_Lb0ELb0EPlS7_ZN2at6native12_GLOBAL__N_124unique_dim_cuda_templateIaEESt5tupleIJNS8_6TensorESD_SD_EERKSD_lbbbEUlllE1_EE10hipError_tPvRmT2_T3_mT4_P12ihipStream_tbEUlT_E_NS1_11comp_targetILNS1_3genE5ELNS1_11target_archE942ELNS1_3gpuE9ELNS1_3repE0EEENS1_30default_config_static_selectorELNS0_4arch9wavefront6targetE1EEEvT1_.uses_flat_scratch, 0
	.set _ZN7rocprim17ROCPRIM_400000_NS6detail17trampoline_kernelINS0_14default_configENS1_35adjacent_difference_config_selectorILb0ElEEZNS1_24adjacent_difference_implIS3_Lb0ELb0EPlS7_ZN2at6native12_GLOBAL__N_124unique_dim_cuda_templateIaEESt5tupleIJNS8_6TensorESD_SD_EERKSD_lbbbEUlllE1_EE10hipError_tPvRmT2_T3_mT4_P12ihipStream_tbEUlT_E_NS1_11comp_targetILNS1_3genE5ELNS1_11target_archE942ELNS1_3gpuE9ELNS1_3repE0EEENS1_30default_config_static_selectorELNS0_4arch9wavefront6targetE1EEEvT1_.has_dyn_sized_stack, 0
	.set _ZN7rocprim17ROCPRIM_400000_NS6detail17trampoline_kernelINS0_14default_configENS1_35adjacent_difference_config_selectorILb0ElEEZNS1_24adjacent_difference_implIS3_Lb0ELb0EPlS7_ZN2at6native12_GLOBAL__N_124unique_dim_cuda_templateIaEESt5tupleIJNS8_6TensorESD_SD_EERKSD_lbbbEUlllE1_EE10hipError_tPvRmT2_T3_mT4_P12ihipStream_tbEUlT_E_NS1_11comp_targetILNS1_3genE5ELNS1_11target_archE942ELNS1_3gpuE9ELNS1_3repE0EEENS1_30default_config_static_selectorELNS0_4arch9wavefront6targetE1EEEvT1_.has_recursion, 0
	.set _ZN7rocprim17ROCPRIM_400000_NS6detail17trampoline_kernelINS0_14default_configENS1_35adjacent_difference_config_selectorILb0ElEEZNS1_24adjacent_difference_implIS3_Lb0ELb0EPlS7_ZN2at6native12_GLOBAL__N_124unique_dim_cuda_templateIaEESt5tupleIJNS8_6TensorESD_SD_EERKSD_lbbbEUlllE1_EE10hipError_tPvRmT2_T3_mT4_P12ihipStream_tbEUlT_E_NS1_11comp_targetILNS1_3genE5ELNS1_11target_archE942ELNS1_3gpuE9ELNS1_3repE0EEENS1_30default_config_static_selectorELNS0_4arch9wavefront6targetE1EEEvT1_.has_indirect_call, 0
	.section	.AMDGPU.csdata,"",@progbits
; Kernel info:
; codeLenInByte = 0
; TotalNumSgprs: 6
; NumVgprs: 0
; NumAgprs: 0
; TotalNumVgprs: 0
; ScratchSize: 0
; MemoryBound: 0
; FloatMode: 240
; IeeeMode: 1
; LDSByteSize: 0 bytes/workgroup (compile time only)
; SGPRBlocks: 0
; VGPRBlocks: 0
; NumSGPRsForWavesPerEU: 6
; NumVGPRsForWavesPerEU: 1
; AccumOffset: 4
; Occupancy: 8
; WaveLimiterHint : 0
; COMPUTE_PGM_RSRC2:SCRATCH_EN: 0
; COMPUTE_PGM_RSRC2:USER_SGPR: 2
; COMPUTE_PGM_RSRC2:TRAP_HANDLER: 0
; COMPUTE_PGM_RSRC2:TGID_X_EN: 1
; COMPUTE_PGM_RSRC2:TGID_Y_EN: 0
; COMPUTE_PGM_RSRC2:TGID_Z_EN: 0
; COMPUTE_PGM_RSRC2:TIDIG_COMP_CNT: 0
; COMPUTE_PGM_RSRC3_GFX90A:ACCUM_OFFSET: 0
; COMPUTE_PGM_RSRC3_GFX90A:TG_SPLIT: 0
	.section	.text._ZN7rocprim17ROCPRIM_400000_NS6detail17trampoline_kernelINS0_14default_configENS1_35adjacent_difference_config_selectorILb0ElEEZNS1_24adjacent_difference_implIS3_Lb0ELb0EPlS7_ZN2at6native12_GLOBAL__N_124unique_dim_cuda_templateIaEESt5tupleIJNS8_6TensorESD_SD_EERKSD_lbbbEUlllE1_EE10hipError_tPvRmT2_T3_mT4_P12ihipStream_tbEUlT_E_NS1_11comp_targetILNS1_3genE4ELNS1_11target_archE910ELNS1_3gpuE8ELNS1_3repE0EEENS1_30default_config_static_selectorELNS0_4arch9wavefront6targetE1EEEvT1_,"axG",@progbits,_ZN7rocprim17ROCPRIM_400000_NS6detail17trampoline_kernelINS0_14default_configENS1_35adjacent_difference_config_selectorILb0ElEEZNS1_24adjacent_difference_implIS3_Lb0ELb0EPlS7_ZN2at6native12_GLOBAL__N_124unique_dim_cuda_templateIaEESt5tupleIJNS8_6TensorESD_SD_EERKSD_lbbbEUlllE1_EE10hipError_tPvRmT2_T3_mT4_P12ihipStream_tbEUlT_E_NS1_11comp_targetILNS1_3genE4ELNS1_11target_archE910ELNS1_3gpuE8ELNS1_3repE0EEENS1_30default_config_static_selectorELNS0_4arch9wavefront6targetE1EEEvT1_,comdat
	.globl	_ZN7rocprim17ROCPRIM_400000_NS6detail17trampoline_kernelINS0_14default_configENS1_35adjacent_difference_config_selectorILb0ElEEZNS1_24adjacent_difference_implIS3_Lb0ELb0EPlS7_ZN2at6native12_GLOBAL__N_124unique_dim_cuda_templateIaEESt5tupleIJNS8_6TensorESD_SD_EERKSD_lbbbEUlllE1_EE10hipError_tPvRmT2_T3_mT4_P12ihipStream_tbEUlT_E_NS1_11comp_targetILNS1_3genE4ELNS1_11target_archE910ELNS1_3gpuE8ELNS1_3repE0EEENS1_30default_config_static_selectorELNS0_4arch9wavefront6targetE1EEEvT1_ ; -- Begin function _ZN7rocprim17ROCPRIM_400000_NS6detail17trampoline_kernelINS0_14default_configENS1_35adjacent_difference_config_selectorILb0ElEEZNS1_24adjacent_difference_implIS3_Lb0ELb0EPlS7_ZN2at6native12_GLOBAL__N_124unique_dim_cuda_templateIaEESt5tupleIJNS8_6TensorESD_SD_EERKSD_lbbbEUlllE1_EE10hipError_tPvRmT2_T3_mT4_P12ihipStream_tbEUlT_E_NS1_11comp_targetILNS1_3genE4ELNS1_11target_archE910ELNS1_3gpuE8ELNS1_3repE0EEENS1_30default_config_static_selectorELNS0_4arch9wavefront6targetE1EEEvT1_
	.p2align	8
	.type	_ZN7rocprim17ROCPRIM_400000_NS6detail17trampoline_kernelINS0_14default_configENS1_35adjacent_difference_config_selectorILb0ElEEZNS1_24adjacent_difference_implIS3_Lb0ELb0EPlS7_ZN2at6native12_GLOBAL__N_124unique_dim_cuda_templateIaEESt5tupleIJNS8_6TensorESD_SD_EERKSD_lbbbEUlllE1_EE10hipError_tPvRmT2_T3_mT4_P12ihipStream_tbEUlT_E_NS1_11comp_targetILNS1_3genE4ELNS1_11target_archE910ELNS1_3gpuE8ELNS1_3repE0EEENS1_30default_config_static_selectorELNS0_4arch9wavefront6targetE1EEEvT1_,@function
_ZN7rocprim17ROCPRIM_400000_NS6detail17trampoline_kernelINS0_14default_configENS1_35adjacent_difference_config_selectorILb0ElEEZNS1_24adjacent_difference_implIS3_Lb0ELb0EPlS7_ZN2at6native12_GLOBAL__N_124unique_dim_cuda_templateIaEESt5tupleIJNS8_6TensorESD_SD_EERKSD_lbbbEUlllE1_EE10hipError_tPvRmT2_T3_mT4_P12ihipStream_tbEUlT_E_NS1_11comp_targetILNS1_3genE4ELNS1_11target_archE910ELNS1_3gpuE8ELNS1_3repE0EEENS1_30default_config_static_selectorELNS0_4arch9wavefront6targetE1EEEvT1_: ; @_ZN7rocprim17ROCPRIM_400000_NS6detail17trampoline_kernelINS0_14default_configENS1_35adjacent_difference_config_selectorILb0ElEEZNS1_24adjacent_difference_implIS3_Lb0ELb0EPlS7_ZN2at6native12_GLOBAL__N_124unique_dim_cuda_templateIaEESt5tupleIJNS8_6TensorESD_SD_EERKSD_lbbbEUlllE1_EE10hipError_tPvRmT2_T3_mT4_P12ihipStream_tbEUlT_E_NS1_11comp_targetILNS1_3genE4ELNS1_11target_archE910ELNS1_3gpuE8ELNS1_3repE0EEENS1_30default_config_static_selectorELNS0_4arch9wavefront6targetE1EEEvT1_
; %bb.0:
	.section	.rodata,"a",@progbits
	.p2align	6, 0x0
	.amdhsa_kernel _ZN7rocprim17ROCPRIM_400000_NS6detail17trampoline_kernelINS0_14default_configENS1_35adjacent_difference_config_selectorILb0ElEEZNS1_24adjacent_difference_implIS3_Lb0ELb0EPlS7_ZN2at6native12_GLOBAL__N_124unique_dim_cuda_templateIaEESt5tupleIJNS8_6TensorESD_SD_EERKSD_lbbbEUlllE1_EE10hipError_tPvRmT2_T3_mT4_P12ihipStream_tbEUlT_E_NS1_11comp_targetILNS1_3genE4ELNS1_11target_archE910ELNS1_3gpuE8ELNS1_3repE0EEENS1_30default_config_static_selectorELNS0_4arch9wavefront6targetE1EEEvT1_
		.amdhsa_group_segment_fixed_size 0
		.amdhsa_private_segment_fixed_size 0
		.amdhsa_kernarg_size 64
		.amdhsa_user_sgpr_count 2
		.amdhsa_user_sgpr_dispatch_ptr 0
		.amdhsa_user_sgpr_queue_ptr 0
		.amdhsa_user_sgpr_kernarg_segment_ptr 1
		.amdhsa_user_sgpr_dispatch_id 0
		.amdhsa_user_sgpr_kernarg_preload_length 0
		.amdhsa_user_sgpr_kernarg_preload_offset 0
		.amdhsa_user_sgpr_private_segment_size 0
		.amdhsa_uses_dynamic_stack 0
		.amdhsa_enable_private_segment 0
		.amdhsa_system_sgpr_workgroup_id_x 1
		.amdhsa_system_sgpr_workgroup_id_y 0
		.amdhsa_system_sgpr_workgroup_id_z 0
		.amdhsa_system_sgpr_workgroup_info 0
		.amdhsa_system_vgpr_workitem_id 0
		.amdhsa_next_free_vgpr 1
		.amdhsa_next_free_sgpr 0
		.amdhsa_accum_offset 4
		.amdhsa_reserve_vcc 0
		.amdhsa_float_round_mode_32 0
		.amdhsa_float_round_mode_16_64 0
		.amdhsa_float_denorm_mode_32 3
		.amdhsa_float_denorm_mode_16_64 3
		.amdhsa_dx10_clamp 1
		.amdhsa_ieee_mode 1
		.amdhsa_fp16_overflow 0
		.amdhsa_tg_split 0
		.amdhsa_exception_fp_ieee_invalid_op 0
		.amdhsa_exception_fp_denorm_src 0
		.amdhsa_exception_fp_ieee_div_zero 0
		.amdhsa_exception_fp_ieee_overflow 0
		.amdhsa_exception_fp_ieee_underflow 0
		.amdhsa_exception_fp_ieee_inexact 0
		.amdhsa_exception_int_div_zero 0
	.end_amdhsa_kernel
	.section	.text._ZN7rocprim17ROCPRIM_400000_NS6detail17trampoline_kernelINS0_14default_configENS1_35adjacent_difference_config_selectorILb0ElEEZNS1_24adjacent_difference_implIS3_Lb0ELb0EPlS7_ZN2at6native12_GLOBAL__N_124unique_dim_cuda_templateIaEESt5tupleIJNS8_6TensorESD_SD_EERKSD_lbbbEUlllE1_EE10hipError_tPvRmT2_T3_mT4_P12ihipStream_tbEUlT_E_NS1_11comp_targetILNS1_3genE4ELNS1_11target_archE910ELNS1_3gpuE8ELNS1_3repE0EEENS1_30default_config_static_selectorELNS0_4arch9wavefront6targetE1EEEvT1_,"axG",@progbits,_ZN7rocprim17ROCPRIM_400000_NS6detail17trampoline_kernelINS0_14default_configENS1_35adjacent_difference_config_selectorILb0ElEEZNS1_24adjacent_difference_implIS3_Lb0ELb0EPlS7_ZN2at6native12_GLOBAL__N_124unique_dim_cuda_templateIaEESt5tupleIJNS8_6TensorESD_SD_EERKSD_lbbbEUlllE1_EE10hipError_tPvRmT2_T3_mT4_P12ihipStream_tbEUlT_E_NS1_11comp_targetILNS1_3genE4ELNS1_11target_archE910ELNS1_3gpuE8ELNS1_3repE0EEENS1_30default_config_static_selectorELNS0_4arch9wavefront6targetE1EEEvT1_,comdat
.Lfunc_end297:
	.size	_ZN7rocprim17ROCPRIM_400000_NS6detail17trampoline_kernelINS0_14default_configENS1_35adjacent_difference_config_selectorILb0ElEEZNS1_24adjacent_difference_implIS3_Lb0ELb0EPlS7_ZN2at6native12_GLOBAL__N_124unique_dim_cuda_templateIaEESt5tupleIJNS8_6TensorESD_SD_EERKSD_lbbbEUlllE1_EE10hipError_tPvRmT2_T3_mT4_P12ihipStream_tbEUlT_E_NS1_11comp_targetILNS1_3genE4ELNS1_11target_archE910ELNS1_3gpuE8ELNS1_3repE0EEENS1_30default_config_static_selectorELNS0_4arch9wavefront6targetE1EEEvT1_, .Lfunc_end297-_ZN7rocprim17ROCPRIM_400000_NS6detail17trampoline_kernelINS0_14default_configENS1_35adjacent_difference_config_selectorILb0ElEEZNS1_24adjacent_difference_implIS3_Lb0ELb0EPlS7_ZN2at6native12_GLOBAL__N_124unique_dim_cuda_templateIaEESt5tupleIJNS8_6TensorESD_SD_EERKSD_lbbbEUlllE1_EE10hipError_tPvRmT2_T3_mT4_P12ihipStream_tbEUlT_E_NS1_11comp_targetILNS1_3genE4ELNS1_11target_archE910ELNS1_3gpuE8ELNS1_3repE0EEENS1_30default_config_static_selectorELNS0_4arch9wavefront6targetE1EEEvT1_
                                        ; -- End function
	.set _ZN7rocprim17ROCPRIM_400000_NS6detail17trampoline_kernelINS0_14default_configENS1_35adjacent_difference_config_selectorILb0ElEEZNS1_24adjacent_difference_implIS3_Lb0ELb0EPlS7_ZN2at6native12_GLOBAL__N_124unique_dim_cuda_templateIaEESt5tupleIJNS8_6TensorESD_SD_EERKSD_lbbbEUlllE1_EE10hipError_tPvRmT2_T3_mT4_P12ihipStream_tbEUlT_E_NS1_11comp_targetILNS1_3genE4ELNS1_11target_archE910ELNS1_3gpuE8ELNS1_3repE0EEENS1_30default_config_static_selectorELNS0_4arch9wavefront6targetE1EEEvT1_.num_vgpr, 0
	.set _ZN7rocprim17ROCPRIM_400000_NS6detail17trampoline_kernelINS0_14default_configENS1_35adjacent_difference_config_selectorILb0ElEEZNS1_24adjacent_difference_implIS3_Lb0ELb0EPlS7_ZN2at6native12_GLOBAL__N_124unique_dim_cuda_templateIaEESt5tupleIJNS8_6TensorESD_SD_EERKSD_lbbbEUlllE1_EE10hipError_tPvRmT2_T3_mT4_P12ihipStream_tbEUlT_E_NS1_11comp_targetILNS1_3genE4ELNS1_11target_archE910ELNS1_3gpuE8ELNS1_3repE0EEENS1_30default_config_static_selectorELNS0_4arch9wavefront6targetE1EEEvT1_.num_agpr, 0
	.set _ZN7rocprim17ROCPRIM_400000_NS6detail17trampoline_kernelINS0_14default_configENS1_35adjacent_difference_config_selectorILb0ElEEZNS1_24adjacent_difference_implIS3_Lb0ELb0EPlS7_ZN2at6native12_GLOBAL__N_124unique_dim_cuda_templateIaEESt5tupleIJNS8_6TensorESD_SD_EERKSD_lbbbEUlllE1_EE10hipError_tPvRmT2_T3_mT4_P12ihipStream_tbEUlT_E_NS1_11comp_targetILNS1_3genE4ELNS1_11target_archE910ELNS1_3gpuE8ELNS1_3repE0EEENS1_30default_config_static_selectorELNS0_4arch9wavefront6targetE1EEEvT1_.numbered_sgpr, 0
	.set _ZN7rocprim17ROCPRIM_400000_NS6detail17trampoline_kernelINS0_14default_configENS1_35adjacent_difference_config_selectorILb0ElEEZNS1_24adjacent_difference_implIS3_Lb0ELb0EPlS7_ZN2at6native12_GLOBAL__N_124unique_dim_cuda_templateIaEESt5tupleIJNS8_6TensorESD_SD_EERKSD_lbbbEUlllE1_EE10hipError_tPvRmT2_T3_mT4_P12ihipStream_tbEUlT_E_NS1_11comp_targetILNS1_3genE4ELNS1_11target_archE910ELNS1_3gpuE8ELNS1_3repE0EEENS1_30default_config_static_selectorELNS0_4arch9wavefront6targetE1EEEvT1_.num_named_barrier, 0
	.set _ZN7rocprim17ROCPRIM_400000_NS6detail17trampoline_kernelINS0_14default_configENS1_35adjacent_difference_config_selectorILb0ElEEZNS1_24adjacent_difference_implIS3_Lb0ELb0EPlS7_ZN2at6native12_GLOBAL__N_124unique_dim_cuda_templateIaEESt5tupleIJNS8_6TensorESD_SD_EERKSD_lbbbEUlllE1_EE10hipError_tPvRmT2_T3_mT4_P12ihipStream_tbEUlT_E_NS1_11comp_targetILNS1_3genE4ELNS1_11target_archE910ELNS1_3gpuE8ELNS1_3repE0EEENS1_30default_config_static_selectorELNS0_4arch9wavefront6targetE1EEEvT1_.private_seg_size, 0
	.set _ZN7rocprim17ROCPRIM_400000_NS6detail17trampoline_kernelINS0_14default_configENS1_35adjacent_difference_config_selectorILb0ElEEZNS1_24adjacent_difference_implIS3_Lb0ELb0EPlS7_ZN2at6native12_GLOBAL__N_124unique_dim_cuda_templateIaEESt5tupleIJNS8_6TensorESD_SD_EERKSD_lbbbEUlllE1_EE10hipError_tPvRmT2_T3_mT4_P12ihipStream_tbEUlT_E_NS1_11comp_targetILNS1_3genE4ELNS1_11target_archE910ELNS1_3gpuE8ELNS1_3repE0EEENS1_30default_config_static_selectorELNS0_4arch9wavefront6targetE1EEEvT1_.uses_vcc, 0
	.set _ZN7rocprim17ROCPRIM_400000_NS6detail17trampoline_kernelINS0_14default_configENS1_35adjacent_difference_config_selectorILb0ElEEZNS1_24adjacent_difference_implIS3_Lb0ELb0EPlS7_ZN2at6native12_GLOBAL__N_124unique_dim_cuda_templateIaEESt5tupleIJNS8_6TensorESD_SD_EERKSD_lbbbEUlllE1_EE10hipError_tPvRmT2_T3_mT4_P12ihipStream_tbEUlT_E_NS1_11comp_targetILNS1_3genE4ELNS1_11target_archE910ELNS1_3gpuE8ELNS1_3repE0EEENS1_30default_config_static_selectorELNS0_4arch9wavefront6targetE1EEEvT1_.uses_flat_scratch, 0
	.set _ZN7rocprim17ROCPRIM_400000_NS6detail17trampoline_kernelINS0_14default_configENS1_35adjacent_difference_config_selectorILb0ElEEZNS1_24adjacent_difference_implIS3_Lb0ELb0EPlS7_ZN2at6native12_GLOBAL__N_124unique_dim_cuda_templateIaEESt5tupleIJNS8_6TensorESD_SD_EERKSD_lbbbEUlllE1_EE10hipError_tPvRmT2_T3_mT4_P12ihipStream_tbEUlT_E_NS1_11comp_targetILNS1_3genE4ELNS1_11target_archE910ELNS1_3gpuE8ELNS1_3repE0EEENS1_30default_config_static_selectorELNS0_4arch9wavefront6targetE1EEEvT1_.has_dyn_sized_stack, 0
	.set _ZN7rocprim17ROCPRIM_400000_NS6detail17trampoline_kernelINS0_14default_configENS1_35adjacent_difference_config_selectorILb0ElEEZNS1_24adjacent_difference_implIS3_Lb0ELb0EPlS7_ZN2at6native12_GLOBAL__N_124unique_dim_cuda_templateIaEESt5tupleIJNS8_6TensorESD_SD_EERKSD_lbbbEUlllE1_EE10hipError_tPvRmT2_T3_mT4_P12ihipStream_tbEUlT_E_NS1_11comp_targetILNS1_3genE4ELNS1_11target_archE910ELNS1_3gpuE8ELNS1_3repE0EEENS1_30default_config_static_selectorELNS0_4arch9wavefront6targetE1EEEvT1_.has_recursion, 0
	.set _ZN7rocprim17ROCPRIM_400000_NS6detail17trampoline_kernelINS0_14default_configENS1_35adjacent_difference_config_selectorILb0ElEEZNS1_24adjacent_difference_implIS3_Lb0ELb0EPlS7_ZN2at6native12_GLOBAL__N_124unique_dim_cuda_templateIaEESt5tupleIJNS8_6TensorESD_SD_EERKSD_lbbbEUlllE1_EE10hipError_tPvRmT2_T3_mT4_P12ihipStream_tbEUlT_E_NS1_11comp_targetILNS1_3genE4ELNS1_11target_archE910ELNS1_3gpuE8ELNS1_3repE0EEENS1_30default_config_static_selectorELNS0_4arch9wavefront6targetE1EEEvT1_.has_indirect_call, 0
	.section	.AMDGPU.csdata,"",@progbits
; Kernel info:
; codeLenInByte = 0
; TotalNumSgprs: 6
; NumVgprs: 0
; NumAgprs: 0
; TotalNumVgprs: 0
; ScratchSize: 0
; MemoryBound: 0
; FloatMode: 240
; IeeeMode: 1
; LDSByteSize: 0 bytes/workgroup (compile time only)
; SGPRBlocks: 0
; VGPRBlocks: 0
; NumSGPRsForWavesPerEU: 6
; NumVGPRsForWavesPerEU: 1
; AccumOffset: 4
; Occupancy: 8
; WaveLimiterHint : 0
; COMPUTE_PGM_RSRC2:SCRATCH_EN: 0
; COMPUTE_PGM_RSRC2:USER_SGPR: 2
; COMPUTE_PGM_RSRC2:TRAP_HANDLER: 0
; COMPUTE_PGM_RSRC2:TGID_X_EN: 1
; COMPUTE_PGM_RSRC2:TGID_Y_EN: 0
; COMPUTE_PGM_RSRC2:TGID_Z_EN: 0
; COMPUTE_PGM_RSRC2:TIDIG_COMP_CNT: 0
; COMPUTE_PGM_RSRC3_GFX90A:ACCUM_OFFSET: 0
; COMPUTE_PGM_RSRC3_GFX90A:TG_SPLIT: 0
	.section	.text._ZN7rocprim17ROCPRIM_400000_NS6detail17trampoline_kernelINS0_14default_configENS1_35adjacent_difference_config_selectorILb0ElEEZNS1_24adjacent_difference_implIS3_Lb0ELb0EPlS7_ZN2at6native12_GLOBAL__N_124unique_dim_cuda_templateIaEESt5tupleIJNS8_6TensorESD_SD_EERKSD_lbbbEUlllE1_EE10hipError_tPvRmT2_T3_mT4_P12ihipStream_tbEUlT_E_NS1_11comp_targetILNS1_3genE3ELNS1_11target_archE908ELNS1_3gpuE7ELNS1_3repE0EEENS1_30default_config_static_selectorELNS0_4arch9wavefront6targetE1EEEvT1_,"axG",@progbits,_ZN7rocprim17ROCPRIM_400000_NS6detail17trampoline_kernelINS0_14default_configENS1_35adjacent_difference_config_selectorILb0ElEEZNS1_24adjacent_difference_implIS3_Lb0ELb0EPlS7_ZN2at6native12_GLOBAL__N_124unique_dim_cuda_templateIaEESt5tupleIJNS8_6TensorESD_SD_EERKSD_lbbbEUlllE1_EE10hipError_tPvRmT2_T3_mT4_P12ihipStream_tbEUlT_E_NS1_11comp_targetILNS1_3genE3ELNS1_11target_archE908ELNS1_3gpuE7ELNS1_3repE0EEENS1_30default_config_static_selectorELNS0_4arch9wavefront6targetE1EEEvT1_,comdat
	.globl	_ZN7rocprim17ROCPRIM_400000_NS6detail17trampoline_kernelINS0_14default_configENS1_35adjacent_difference_config_selectorILb0ElEEZNS1_24adjacent_difference_implIS3_Lb0ELb0EPlS7_ZN2at6native12_GLOBAL__N_124unique_dim_cuda_templateIaEESt5tupleIJNS8_6TensorESD_SD_EERKSD_lbbbEUlllE1_EE10hipError_tPvRmT2_T3_mT4_P12ihipStream_tbEUlT_E_NS1_11comp_targetILNS1_3genE3ELNS1_11target_archE908ELNS1_3gpuE7ELNS1_3repE0EEENS1_30default_config_static_selectorELNS0_4arch9wavefront6targetE1EEEvT1_ ; -- Begin function _ZN7rocprim17ROCPRIM_400000_NS6detail17trampoline_kernelINS0_14default_configENS1_35adjacent_difference_config_selectorILb0ElEEZNS1_24adjacent_difference_implIS3_Lb0ELb0EPlS7_ZN2at6native12_GLOBAL__N_124unique_dim_cuda_templateIaEESt5tupleIJNS8_6TensorESD_SD_EERKSD_lbbbEUlllE1_EE10hipError_tPvRmT2_T3_mT4_P12ihipStream_tbEUlT_E_NS1_11comp_targetILNS1_3genE3ELNS1_11target_archE908ELNS1_3gpuE7ELNS1_3repE0EEENS1_30default_config_static_selectorELNS0_4arch9wavefront6targetE1EEEvT1_
	.p2align	8
	.type	_ZN7rocprim17ROCPRIM_400000_NS6detail17trampoline_kernelINS0_14default_configENS1_35adjacent_difference_config_selectorILb0ElEEZNS1_24adjacent_difference_implIS3_Lb0ELb0EPlS7_ZN2at6native12_GLOBAL__N_124unique_dim_cuda_templateIaEESt5tupleIJNS8_6TensorESD_SD_EERKSD_lbbbEUlllE1_EE10hipError_tPvRmT2_T3_mT4_P12ihipStream_tbEUlT_E_NS1_11comp_targetILNS1_3genE3ELNS1_11target_archE908ELNS1_3gpuE7ELNS1_3repE0EEENS1_30default_config_static_selectorELNS0_4arch9wavefront6targetE1EEEvT1_,@function
_ZN7rocprim17ROCPRIM_400000_NS6detail17trampoline_kernelINS0_14default_configENS1_35adjacent_difference_config_selectorILb0ElEEZNS1_24adjacent_difference_implIS3_Lb0ELb0EPlS7_ZN2at6native12_GLOBAL__N_124unique_dim_cuda_templateIaEESt5tupleIJNS8_6TensorESD_SD_EERKSD_lbbbEUlllE1_EE10hipError_tPvRmT2_T3_mT4_P12ihipStream_tbEUlT_E_NS1_11comp_targetILNS1_3genE3ELNS1_11target_archE908ELNS1_3gpuE7ELNS1_3repE0EEENS1_30default_config_static_selectorELNS0_4arch9wavefront6targetE1EEEvT1_: ; @_ZN7rocprim17ROCPRIM_400000_NS6detail17trampoline_kernelINS0_14default_configENS1_35adjacent_difference_config_selectorILb0ElEEZNS1_24adjacent_difference_implIS3_Lb0ELb0EPlS7_ZN2at6native12_GLOBAL__N_124unique_dim_cuda_templateIaEESt5tupleIJNS8_6TensorESD_SD_EERKSD_lbbbEUlllE1_EE10hipError_tPvRmT2_T3_mT4_P12ihipStream_tbEUlT_E_NS1_11comp_targetILNS1_3genE3ELNS1_11target_archE908ELNS1_3gpuE7ELNS1_3repE0EEENS1_30default_config_static_selectorELNS0_4arch9wavefront6targetE1EEEvT1_
; %bb.0:
	.section	.rodata,"a",@progbits
	.p2align	6, 0x0
	.amdhsa_kernel _ZN7rocprim17ROCPRIM_400000_NS6detail17trampoline_kernelINS0_14default_configENS1_35adjacent_difference_config_selectorILb0ElEEZNS1_24adjacent_difference_implIS3_Lb0ELb0EPlS7_ZN2at6native12_GLOBAL__N_124unique_dim_cuda_templateIaEESt5tupleIJNS8_6TensorESD_SD_EERKSD_lbbbEUlllE1_EE10hipError_tPvRmT2_T3_mT4_P12ihipStream_tbEUlT_E_NS1_11comp_targetILNS1_3genE3ELNS1_11target_archE908ELNS1_3gpuE7ELNS1_3repE0EEENS1_30default_config_static_selectorELNS0_4arch9wavefront6targetE1EEEvT1_
		.amdhsa_group_segment_fixed_size 0
		.amdhsa_private_segment_fixed_size 0
		.amdhsa_kernarg_size 64
		.amdhsa_user_sgpr_count 2
		.amdhsa_user_sgpr_dispatch_ptr 0
		.amdhsa_user_sgpr_queue_ptr 0
		.amdhsa_user_sgpr_kernarg_segment_ptr 1
		.amdhsa_user_sgpr_dispatch_id 0
		.amdhsa_user_sgpr_kernarg_preload_length 0
		.amdhsa_user_sgpr_kernarg_preload_offset 0
		.amdhsa_user_sgpr_private_segment_size 0
		.amdhsa_uses_dynamic_stack 0
		.amdhsa_enable_private_segment 0
		.amdhsa_system_sgpr_workgroup_id_x 1
		.amdhsa_system_sgpr_workgroup_id_y 0
		.amdhsa_system_sgpr_workgroup_id_z 0
		.amdhsa_system_sgpr_workgroup_info 0
		.amdhsa_system_vgpr_workitem_id 0
		.amdhsa_next_free_vgpr 1
		.amdhsa_next_free_sgpr 0
		.amdhsa_accum_offset 4
		.amdhsa_reserve_vcc 0
		.amdhsa_float_round_mode_32 0
		.amdhsa_float_round_mode_16_64 0
		.amdhsa_float_denorm_mode_32 3
		.amdhsa_float_denorm_mode_16_64 3
		.amdhsa_dx10_clamp 1
		.amdhsa_ieee_mode 1
		.amdhsa_fp16_overflow 0
		.amdhsa_tg_split 0
		.amdhsa_exception_fp_ieee_invalid_op 0
		.amdhsa_exception_fp_denorm_src 0
		.amdhsa_exception_fp_ieee_div_zero 0
		.amdhsa_exception_fp_ieee_overflow 0
		.amdhsa_exception_fp_ieee_underflow 0
		.amdhsa_exception_fp_ieee_inexact 0
		.amdhsa_exception_int_div_zero 0
	.end_amdhsa_kernel
	.section	.text._ZN7rocprim17ROCPRIM_400000_NS6detail17trampoline_kernelINS0_14default_configENS1_35adjacent_difference_config_selectorILb0ElEEZNS1_24adjacent_difference_implIS3_Lb0ELb0EPlS7_ZN2at6native12_GLOBAL__N_124unique_dim_cuda_templateIaEESt5tupleIJNS8_6TensorESD_SD_EERKSD_lbbbEUlllE1_EE10hipError_tPvRmT2_T3_mT4_P12ihipStream_tbEUlT_E_NS1_11comp_targetILNS1_3genE3ELNS1_11target_archE908ELNS1_3gpuE7ELNS1_3repE0EEENS1_30default_config_static_selectorELNS0_4arch9wavefront6targetE1EEEvT1_,"axG",@progbits,_ZN7rocprim17ROCPRIM_400000_NS6detail17trampoline_kernelINS0_14default_configENS1_35adjacent_difference_config_selectorILb0ElEEZNS1_24adjacent_difference_implIS3_Lb0ELb0EPlS7_ZN2at6native12_GLOBAL__N_124unique_dim_cuda_templateIaEESt5tupleIJNS8_6TensorESD_SD_EERKSD_lbbbEUlllE1_EE10hipError_tPvRmT2_T3_mT4_P12ihipStream_tbEUlT_E_NS1_11comp_targetILNS1_3genE3ELNS1_11target_archE908ELNS1_3gpuE7ELNS1_3repE0EEENS1_30default_config_static_selectorELNS0_4arch9wavefront6targetE1EEEvT1_,comdat
.Lfunc_end298:
	.size	_ZN7rocprim17ROCPRIM_400000_NS6detail17trampoline_kernelINS0_14default_configENS1_35adjacent_difference_config_selectorILb0ElEEZNS1_24adjacent_difference_implIS3_Lb0ELb0EPlS7_ZN2at6native12_GLOBAL__N_124unique_dim_cuda_templateIaEESt5tupleIJNS8_6TensorESD_SD_EERKSD_lbbbEUlllE1_EE10hipError_tPvRmT2_T3_mT4_P12ihipStream_tbEUlT_E_NS1_11comp_targetILNS1_3genE3ELNS1_11target_archE908ELNS1_3gpuE7ELNS1_3repE0EEENS1_30default_config_static_selectorELNS0_4arch9wavefront6targetE1EEEvT1_, .Lfunc_end298-_ZN7rocprim17ROCPRIM_400000_NS6detail17trampoline_kernelINS0_14default_configENS1_35adjacent_difference_config_selectorILb0ElEEZNS1_24adjacent_difference_implIS3_Lb0ELb0EPlS7_ZN2at6native12_GLOBAL__N_124unique_dim_cuda_templateIaEESt5tupleIJNS8_6TensorESD_SD_EERKSD_lbbbEUlllE1_EE10hipError_tPvRmT2_T3_mT4_P12ihipStream_tbEUlT_E_NS1_11comp_targetILNS1_3genE3ELNS1_11target_archE908ELNS1_3gpuE7ELNS1_3repE0EEENS1_30default_config_static_selectorELNS0_4arch9wavefront6targetE1EEEvT1_
                                        ; -- End function
	.set _ZN7rocprim17ROCPRIM_400000_NS6detail17trampoline_kernelINS0_14default_configENS1_35adjacent_difference_config_selectorILb0ElEEZNS1_24adjacent_difference_implIS3_Lb0ELb0EPlS7_ZN2at6native12_GLOBAL__N_124unique_dim_cuda_templateIaEESt5tupleIJNS8_6TensorESD_SD_EERKSD_lbbbEUlllE1_EE10hipError_tPvRmT2_T3_mT4_P12ihipStream_tbEUlT_E_NS1_11comp_targetILNS1_3genE3ELNS1_11target_archE908ELNS1_3gpuE7ELNS1_3repE0EEENS1_30default_config_static_selectorELNS0_4arch9wavefront6targetE1EEEvT1_.num_vgpr, 0
	.set _ZN7rocprim17ROCPRIM_400000_NS6detail17trampoline_kernelINS0_14default_configENS1_35adjacent_difference_config_selectorILb0ElEEZNS1_24adjacent_difference_implIS3_Lb0ELb0EPlS7_ZN2at6native12_GLOBAL__N_124unique_dim_cuda_templateIaEESt5tupleIJNS8_6TensorESD_SD_EERKSD_lbbbEUlllE1_EE10hipError_tPvRmT2_T3_mT4_P12ihipStream_tbEUlT_E_NS1_11comp_targetILNS1_3genE3ELNS1_11target_archE908ELNS1_3gpuE7ELNS1_3repE0EEENS1_30default_config_static_selectorELNS0_4arch9wavefront6targetE1EEEvT1_.num_agpr, 0
	.set _ZN7rocprim17ROCPRIM_400000_NS6detail17trampoline_kernelINS0_14default_configENS1_35adjacent_difference_config_selectorILb0ElEEZNS1_24adjacent_difference_implIS3_Lb0ELb0EPlS7_ZN2at6native12_GLOBAL__N_124unique_dim_cuda_templateIaEESt5tupleIJNS8_6TensorESD_SD_EERKSD_lbbbEUlllE1_EE10hipError_tPvRmT2_T3_mT4_P12ihipStream_tbEUlT_E_NS1_11comp_targetILNS1_3genE3ELNS1_11target_archE908ELNS1_3gpuE7ELNS1_3repE0EEENS1_30default_config_static_selectorELNS0_4arch9wavefront6targetE1EEEvT1_.numbered_sgpr, 0
	.set _ZN7rocprim17ROCPRIM_400000_NS6detail17trampoline_kernelINS0_14default_configENS1_35adjacent_difference_config_selectorILb0ElEEZNS1_24adjacent_difference_implIS3_Lb0ELb0EPlS7_ZN2at6native12_GLOBAL__N_124unique_dim_cuda_templateIaEESt5tupleIJNS8_6TensorESD_SD_EERKSD_lbbbEUlllE1_EE10hipError_tPvRmT2_T3_mT4_P12ihipStream_tbEUlT_E_NS1_11comp_targetILNS1_3genE3ELNS1_11target_archE908ELNS1_3gpuE7ELNS1_3repE0EEENS1_30default_config_static_selectorELNS0_4arch9wavefront6targetE1EEEvT1_.num_named_barrier, 0
	.set _ZN7rocprim17ROCPRIM_400000_NS6detail17trampoline_kernelINS0_14default_configENS1_35adjacent_difference_config_selectorILb0ElEEZNS1_24adjacent_difference_implIS3_Lb0ELb0EPlS7_ZN2at6native12_GLOBAL__N_124unique_dim_cuda_templateIaEESt5tupleIJNS8_6TensorESD_SD_EERKSD_lbbbEUlllE1_EE10hipError_tPvRmT2_T3_mT4_P12ihipStream_tbEUlT_E_NS1_11comp_targetILNS1_3genE3ELNS1_11target_archE908ELNS1_3gpuE7ELNS1_3repE0EEENS1_30default_config_static_selectorELNS0_4arch9wavefront6targetE1EEEvT1_.private_seg_size, 0
	.set _ZN7rocprim17ROCPRIM_400000_NS6detail17trampoline_kernelINS0_14default_configENS1_35adjacent_difference_config_selectorILb0ElEEZNS1_24adjacent_difference_implIS3_Lb0ELb0EPlS7_ZN2at6native12_GLOBAL__N_124unique_dim_cuda_templateIaEESt5tupleIJNS8_6TensorESD_SD_EERKSD_lbbbEUlllE1_EE10hipError_tPvRmT2_T3_mT4_P12ihipStream_tbEUlT_E_NS1_11comp_targetILNS1_3genE3ELNS1_11target_archE908ELNS1_3gpuE7ELNS1_3repE0EEENS1_30default_config_static_selectorELNS0_4arch9wavefront6targetE1EEEvT1_.uses_vcc, 0
	.set _ZN7rocprim17ROCPRIM_400000_NS6detail17trampoline_kernelINS0_14default_configENS1_35adjacent_difference_config_selectorILb0ElEEZNS1_24adjacent_difference_implIS3_Lb0ELb0EPlS7_ZN2at6native12_GLOBAL__N_124unique_dim_cuda_templateIaEESt5tupleIJNS8_6TensorESD_SD_EERKSD_lbbbEUlllE1_EE10hipError_tPvRmT2_T3_mT4_P12ihipStream_tbEUlT_E_NS1_11comp_targetILNS1_3genE3ELNS1_11target_archE908ELNS1_3gpuE7ELNS1_3repE0EEENS1_30default_config_static_selectorELNS0_4arch9wavefront6targetE1EEEvT1_.uses_flat_scratch, 0
	.set _ZN7rocprim17ROCPRIM_400000_NS6detail17trampoline_kernelINS0_14default_configENS1_35adjacent_difference_config_selectorILb0ElEEZNS1_24adjacent_difference_implIS3_Lb0ELb0EPlS7_ZN2at6native12_GLOBAL__N_124unique_dim_cuda_templateIaEESt5tupleIJNS8_6TensorESD_SD_EERKSD_lbbbEUlllE1_EE10hipError_tPvRmT2_T3_mT4_P12ihipStream_tbEUlT_E_NS1_11comp_targetILNS1_3genE3ELNS1_11target_archE908ELNS1_3gpuE7ELNS1_3repE0EEENS1_30default_config_static_selectorELNS0_4arch9wavefront6targetE1EEEvT1_.has_dyn_sized_stack, 0
	.set _ZN7rocprim17ROCPRIM_400000_NS6detail17trampoline_kernelINS0_14default_configENS1_35adjacent_difference_config_selectorILb0ElEEZNS1_24adjacent_difference_implIS3_Lb0ELb0EPlS7_ZN2at6native12_GLOBAL__N_124unique_dim_cuda_templateIaEESt5tupleIJNS8_6TensorESD_SD_EERKSD_lbbbEUlllE1_EE10hipError_tPvRmT2_T3_mT4_P12ihipStream_tbEUlT_E_NS1_11comp_targetILNS1_3genE3ELNS1_11target_archE908ELNS1_3gpuE7ELNS1_3repE0EEENS1_30default_config_static_selectorELNS0_4arch9wavefront6targetE1EEEvT1_.has_recursion, 0
	.set _ZN7rocprim17ROCPRIM_400000_NS6detail17trampoline_kernelINS0_14default_configENS1_35adjacent_difference_config_selectorILb0ElEEZNS1_24adjacent_difference_implIS3_Lb0ELb0EPlS7_ZN2at6native12_GLOBAL__N_124unique_dim_cuda_templateIaEESt5tupleIJNS8_6TensorESD_SD_EERKSD_lbbbEUlllE1_EE10hipError_tPvRmT2_T3_mT4_P12ihipStream_tbEUlT_E_NS1_11comp_targetILNS1_3genE3ELNS1_11target_archE908ELNS1_3gpuE7ELNS1_3repE0EEENS1_30default_config_static_selectorELNS0_4arch9wavefront6targetE1EEEvT1_.has_indirect_call, 0
	.section	.AMDGPU.csdata,"",@progbits
; Kernel info:
; codeLenInByte = 0
; TotalNumSgprs: 6
; NumVgprs: 0
; NumAgprs: 0
; TotalNumVgprs: 0
; ScratchSize: 0
; MemoryBound: 0
; FloatMode: 240
; IeeeMode: 1
; LDSByteSize: 0 bytes/workgroup (compile time only)
; SGPRBlocks: 0
; VGPRBlocks: 0
; NumSGPRsForWavesPerEU: 6
; NumVGPRsForWavesPerEU: 1
; AccumOffset: 4
; Occupancy: 8
; WaveLimiterHint : 0
; COMPUTE_PGM_RSRC2:SCRATCH_EN: 0
; COMPUTE_PGM_RSRC2:USER_SGPR: 2
; COMPUTE_PGM_RSRC2:TRAP_HANDLER: 0
; COMPUTE_PGM_RSRC2:TGID_X_EN: 1
; COMPUTE_PGM_RSRC2:TGID_Y_EN: 0
; COMPUTE_PGM_RSRC2:TGID_Z_EN: 0
; COMPUTE_PGM_RSRC2:TIDIG_COMP_CNT: 0
; COMPUTE_PGM_RSRC3_GFX90A:ACCUM_OFFSET: 0
; COMPUTE_PGM_RSRC3_GFX90A:TG_SPLIT: 0
	.section	.text._ZN7rocprim17ROCPRIM_400000_NS6detail17trampoline_kernelINS0_14default_configENS1_35adjacent_difference_config_selectorILb0ElEEZNS1_24adjacent_difference_implIS3_Lb0ELb0EPlS7_ZN2at6native12_GLOBAL__N_124unique_dim_cuda_templateIaEESt5tupleIJNS8_6TensorESD_SD_EERKSD_lbbbEUlllE1_EE10hipError_tPvRmT2_T3_mT4_P12ihipStream_tbEUlT_E_NS1_11comp_targetILNS1_3genE2ELNS1_11target_archE906ELNS1_3gpuE6ELNS1_3repE0EEENS1_30default_config_static_selectorELNS0_4arch9wavefront6targetE1EEEvT1_,"axG",@progbits,_ZN7rocprim17ROCPRIM_400000_NS6detail17trampoline_kernelINS0_14default_configENS1_35adjacent_difference_config_selectorILb0ElEEZNS1_24adjacent_difference_implIS3_Lb0ELb0EPlS7_ZN2at6native12_GLOBAL__N_124unique_dim_cuda_templateIaEESt5tupleIJNS8_6TensorESD_SD_EERKSD_lbbbEUlllE1_EE10hipError_tPvRmT2_T3_mT4_P12ihipStream_tbEUlT_E_NS1_11comp_targetILNS1_3genE2ELNS1_11target_archE906ELNS1_3gpuE6ELNS1_3repE0EEENS1_30default_config_static_selectorELNS0_4arch9wavefront6targetE1EEEvT1_,comdat
	.globl	_ZN7rocprim17ROCPRIM_400000_NS6detail17trampoline_kernelINS0_14default_configENS1_35adjacent_difference_config_selectorILb0ElEEZNS1_24adjacent_difference_implIS3_Lb0ELb0EPlS7_ZN2at6native12_GLOBAL__N_124unique_dim_cuda_templateIaEESt5tupleIJNS8_6TensorESD_SD_EERKSD_lbbbEUlllE1_EE10hipError_tPvRmT2_T3_mT4_P12ihipStream_tbEUlT_E_NS1_11comp_targetILNS1_3genE2ELNS1_11target_archE906ELNS1_3gpuE6ELNS1_3repE0EEENS1_30default_config_static_selectorELNS0_4arch9wavefront6targetE1EEEvT1_ ; -- Begin function _ZN7rocprim17ROCPRIM_400000_NS6detail17trampoline_kernelINS0_14default_configENS1_35adjacent_difference_config_selectorILb0ElEEZNS1_24adjacent_difference_implIS3_Lb0ELb0EPlS7_ZN2at6native12_GLOBAL__N_124unique_dim_cuda_templateIaEESt5tupleIJNS8_6TensorESD_SD_EERKSD_lbbbEUlllE1_EE10hipError_tPvRmT2_T3_mT4_P12ihipStream_tbEUlT_E_NS1_11comp_targetILNS1_3genE2ELNS1_11target_archE906ELNS1_3gpuE6ELNS1_3repE0EEENS1_30default_config_static_selectorELNS0_4arch9wavefront6targetE1EEEvT1_
	.p2align	8
	.type	_ZN7rocprim17ROCPRIM_400000_NS6detail17trampoline_kernelINS0_14default_configENS1_35adjacent_difference_config_selectorILb0ElEEZNS1_24adjacent_difference_implIS3_Lb0ELb0EPlS7_ZN2at6native12_GLOBAL__N_124unique_dim_cuda_templateIaEESt5tupleIJNS8_6TensorESD_SD_EERKSD_lbbbEUlllE1_EE10hipError_tPvRmT2_T3_mT4_P12ihipStream_tbEUlT_E_NS1_11comp_targetILNS1_3genE2ELNS1_11target_archE906ELNS1_3gpuE6ELNS1_3repE0EEENS1_30default_config_static_selectorELNS0_4arch9wavefront6targetE1EEEvT1_,@function
_ZN7rocprim17ROCPRIM_400000_NS6detail17trampoline_kernelINS0_14default_configENS1_35adjacent_difference_config_selectorILb0ElEEZNS1_24adjacent_difference_implIS3_Lb0ELb0EPlS7_ZN2at6native12_GLOBAL__N_124unique_dim_cuda_templateIaEESt5tupleIJNS8_6TensorESD_SD_EERKSD_lbbbEUlllE1_EE10hipError_tPvRmT2_T3_mT4_P12ihipStream_tbEUlT_E_NS1_11comp_targetILNS1_3genE2ELNS1_11target_archE906ELNS1_3gpuE6ELNS1_3repE0EEENS1_30default_config_static_selectorELNS0_4arch9wavefront6targetE1EEEvT1_: ; @_ZN7rocprim17ROCPRIM_400000_NS6detail17trampoline_kernelINS0_14default_configENS1_35adjacent_difference_config_selectorILb0ElEEZNS1_24adjacent_difference_implIS3_Lb0ELb0EPlS7_ZN2at6native12_GLOBAL__N_124unique_dim_cuda_templateIaEESt5tupleIJNS8_6TensorESD_SD_EERKSD_lbbbEUlllE1_EE10hipError_tPvRmT2_T3_mT4_P12ihipStream_tbEUlT_E_NS1_11comp_targetILNS1_3genE2ELNS1_11target_archE906ELNS1_3gpuE6ELNS1_3repE0EEENS1_30default_config_static_selectorELNS0_4arch9wavefront6targetE1EEEvT1_
; %bb.0:
	.section	.rodata,"a",@progbits
	.p2align	6, 0x0
	.amdhsa_kernel _ZN7rocprim17ROCPRIM_400000_NS6detail17trampoline_kernelINS0_14default_configENS1_35adjacent_difference_config_selectorILb0ElEEZNS1_24adjacent_difference_implIS3_Lb0ELb0EPlS7_ZN2at6native12_GLOBAL__N_124unique_dim_cuda_templateIaEESt5tupleIJNS8_6TensorESD_SD_EERKSD_lbbbEUlllE1_EE10hipError_tPvRmT2_T3_mT4_P12ihipStream_tbEUlT_E_NS1_11comp_targetILNS1_3genE2ELNS1_11target_archE906ELNS1_3gpuE6ELNS1_3repE0EEENS1_30default_config_static_selectorELNS0_4arch9wavefront6targetE1EEEvT1_
		.amdhsa_group_segment_fixed_size 0
		.amdhsa_private_segment_fixed_size 0
		.amdhsa_kernarg_size 64
		.amdhsa_user_sgpr_count 2
		.amdhsa_user_sgpr_dispatch_ptr 0
		.amdhsa_user_sgpr_queue_ptr 0
		.amdhsa_user_sgpr_kernarg_segment_ptr 1
		.amdhsa_user_sgpr_dispatch_id 0
		.amdhsa_user_sgpr_kernarg_preload_length 0
		.amdhsa_user_sgpr_kernarg_preload_offset 0
		.amdhsa_user_sgpr_private_segment_size 0
		.amdhsa_uses_dynamic_stack 0
		.amdhsa_enable_private_segment 0
		.amdhsa_system_sgpr_workgroup_id_x 1
		.amdhsa_system_sgpr_workgroup_id_y 0
		.amdhsa_system_sgpr_workgroup_id_z 0
		.amdhsa_system_sgpr_workgroup_info 0
		.amdhsa_system_vgpr_workitem_id 0
		.amdhsa_next_free_vgpr 1
		.amdhsa_next_free_sgpr 0
		.amdhsa_accum_offset 4
		.amdhsa_reserve_vcc 0
		.amdhsa_float_round_mode_32 0
		.amdhsa_float_round_mode_16_64 0
		.amdhsa_float_denorm_mode_32 3
		.amdhsa_float_denorm_mode_16_64 3
		.amdhsa_dx10_clamp 1
		.amdhsa_ieee_mode 1
		.amdhsa_fp16_overflow 0
		.amdhsa_tg_split 0
		.amdhsa_exception_fp_ieee_invalid_op 0
		.amdhsa_exception_fp_denorm_src 0
		.amdhsa_exception_fp_ieee_div_zero 0
		.amdhsa_exception_fp_ieee_overflow 0
		.amdhsa_exception_fp_ieee_underflow 0
		.amdhsa_exception_fp_ieee_inexact 0
		.amdhsa_exception_int_div_zero 0
	.end_amdhsa_kernel
	.section	.text._ZN7rocprim17ROCPRIM_400000_NS6detail17trampoline_kernelINS0_14default_configENS1_35adjacent_difference_config_selectorILb0ElEEZNS1_24adjacent_difference_implIS3_Lb0ELb0EPlS7_ZN2at6native12_GLOBAL__N_124unique_dim_cuda_templateIaEESt5tupleIJNS8_6TensorESD_SD_EERKSD_lbbbEUlllE1_EE10hipError_tPvRmT2_T3_mT4_P12ihipStream_tbEUlT_E_NS1_11comp_targetILNS1_3genE2ELNS1_11target_archE906ELNS1_3gpuE6ELNS1_3repE0EEENS1_30default_config_static_selectorELNS0_4arch9wavefront6targetE1EEEvT1_,"axG",@progbits,_ZN7rocprim17ROCPRIM_400000_NS6detail17trampoline_kernelINS0_14default_configENS1_35adjacent_difference_config_selectorILb0ElEEZNS1_24adjacent_difference_implIS3_Lb0ELb0EPlS7_ZN2at6native12_GLOBAL__N_124unique_dim_cuda_templateIaEESt5tupleIJNS8_6TensorESD_SD_EERKSD_lbbbEUlllE1_EE10hipError_tPvRmT2_T3_mT4_P12ihipStream_tbEUlT_E_NS1_11comp_targetILNS1_3genE2ELNS1_11target_archE906ELNS1_3gpuE6ELNS1_3repE0EEENS1_30default_config_static_selectorELNS0_4arch9wavefront6targetE1EEEvT1_,comdat
.Lfunc_end299:
	.size	_ZN7rocprim17ROCPRIM_400000_NS6detail17trampoline_kernelINS0_14default_configENS1_35adjacent_difference_config_selectorILb0ElEEZNS1_24adjacent_difference_implIS3_Lb0ELb0EPlS7_ZN2at6native12_GLOBAL__N_124unique_dim_cuda_templateIaEESt5tupleIJNS8_6TensorESD_SD_EERKSD_lbbbEUlllE1_EE10hipError_tPvRmT2_T3_mT4_P12ihipStream_tbEUlT_E_NS1_11comp_targetILNS1_3genE2ELNS1_11target_archE906ELNS1_3gpuE6ELNS1_3repE0EEENS1_30default_config_static_selectorELNS0_4arch9wavefront6targetE1EEEvT1_, .Lfunc_end299-_ZN7rocprim17ROCPRIM_400000_NS6detail17trampoline_kernelINS0_14default_configENS1_35adjacent_difference_config_selectorILb0ElEEZNS1_24adjacent_difference_implIS3_Lb0ELb0EPlS7_ZN2at6native12_GLOBAL__N_124unique_dim_cuda_templateIaEESt5tupleIJNS8_6TensorESD_SD_EERKSD_lbbbEUlllE1_EE10hipError_tPvRmT2_T3_mT4_P12ihipStream_tbEUlT_E_NS1_11comp_targetILNS1_3genE2ELNS1_11target_archE906ELNS1_3gpuE6ELNS1_3repE0EEENS1_30default_config_static_selectorELNS0_4arch9wavefront6targetE1EEEvT1_
                                        ; -- End function
	.set _ZN7rocprim17ROCPRIM_400000_NS6detail17trampoline_kernelINS0_14default_configENS1_35adjacent_difference_config_selectorILb0ElEEZNS1_24adjacent_difference_implIS3_Lb0ELb0EPlS7_ZN2at6native12_GLOBAL__N_124unique_dim_cuda_templateIaEESt5tupleIJNS8_6TensorESD_SD_EERKSD_lbbbEUlllE1_EE10hipError_tPvRmT2_T3_mT4_P12ihipStream_tbEUlT_E_NS1_11comp_targetILNS1_3genE2ELNS1_11target_archE906ELNS1_3gpuE6ELNS1_3repE0EEENS1_30default_config_static_selectorELNS0_4arch9wavefront6targetE1EEEvT1_.num_vgpr, 0
	.set _ZN7rocprim17ROCPRIM_400000_NS6detail17trampoline_kernelINS0_14default_configENS1_35adjacent_difference_config_selectorILb0ElEEZNS1_24adjacent_difference_implIS3_Lb0ELb0EPlS7_ZN2at6native12_GLOBAL__N_124unique_dim_cuda_templateIaEESt5tupleIJNS8_6TensorESD_SD_EERKSD_lbbbEUlllE1_EE10hipError_tPvRmT2_T3_mT4_P12ihipStream_tbEUlT_E_NS1_11comp_targetILNS1_3genE2ELNS1_11target_archE906ELNS1_3gpuE6ELNS1_3repE0EEENS1_30default_config_static_selectorELNS0_4arch9wavefront6targetE1EEEvT1_.num_agpr, 0
	.set _ZN7rocprim17ROCPRIM_400000_NS6detail17trampoline_kernelINS0_14default_configENS1_35adjacent_difference_config_selectorILb0ElEEZNS1_24adjacent_difference_implIS3_Lb0ELb0EPlS7_ZN2at6native12_GLOBAL__N_124unique_dim_cuda_templateIaEESt5tupleIJNS8_6TensorESD_SD_EERKSD_lbbbEUlllE1_EE10hipError_tPvRmT2_T3_mT4_P12ihipStream_tbEUlT_E_NS1_11comp_targetILNS1_3genE2ELNS1_11target_archE906ELNS1_3gpuE6ELNS1_3repE0EEENS1_30default_config_static_selectorELNS0_4arch9wavefront6targetE1EEEvT1_.numbered_sgpr, 0
	.set _ZN7rocprim17ROCPRIM_400000_NS6detail17trampoline_kernelINS0_14default_configENS1_35adjacent_difference_config_selectorILb0ElEEZNS1_24adjacent_difference_implIS3_Lb0ELb0EPlS7_ZN2at6native12_GLOBAL__N_124unique_dim_cuda_templateIaEESt5tupleIJNS8_6TensorESD_SD_EERKSD_lbbbEUlllE1_EE10hipError_tPvRmT2_T3_mT4_P12ihipStream_tbEUlT_E_NS1_11comp_targetILNS1_3genE2ELNS1_11target_archE906ELNS1_3gpuE6ELNS1_3repE0EEENS1_30default_config_static_selectorELNS0_4arch9wavefront6targetE1EEEvT1_.num_named_barrier, 0
	.set _ZN7rocprim17ROCPRIM_400000_NS6detail17trampoline_kernelINS0_14default_configENS1_35adjacent_difference_config_selectorILb0ElEEZNS1_24adjacent_difference_implIS3_Lb0ELb0EPlS7_ZN2at6native12_GLOBAL__N_124unique_dim_cuda_templateIaEESt5tupleIJNS8_6TensorESD_SD_EERKSD_lbbbEUlllE1_EE10hipError_tPvRmT2_T3_mT4_P12ihipStream_tbEUlT_E_NS1_11comp_targetILNS1_3genE2ELNS1_11target_archE906ELNS1_3gpuE6ELNS1_3repE0EEENS1_30default_config_static_selectorELNS0_4arch9wavefront6targetE1EEEvT1_.private_seg_size, 0
	.set _ZN7rocprim17ROCPRIM_400000_NS6detail17trampoline_kernelINS0_14default_configENS1_35adjacent_difference_config_selectorILb0ElEEZNS1_24adjacent_difference_implIS3_Lb0ELb0EPlS7_ZN2at6native12_GLOBAL__N_124unique_dim_cuda_templateIaEESt5tupleIJNS8_6TensorESD_SD_EERKSD_lbbbEUlllE1_EE10hipError_tPvRmT2_T3_mT4_P12ihipStream_tbEUlT_E_NS1_11comp_targetILNS1_3genE2ELNS1_11target_archE906ELNS1_3gpuE6ELNS1_3repE0EEENS1_30default_config_static_selectorELNS0_4arch9wavefront6targetE1EEEvT1_.uses_vcc, 0
	.set _ZN7rocprim17ROCPRIM_400000_NS6detail17trampoline_kernelINS0_14default_configENS1_35adjacent_difference_config_selectorILb0ElEEZNS1_24adjacent_difference_implIS3_Lb0ELb0EPlS7_ZN2at6native12_GLOBAL__N_124unique_dim_cuda_templateIaEESt5tupleIJNS8_6TensorESD_SD_EERKSD_lbbbEUlllE1_EE10hipError_tPvRmT2_T3_mT4_P12ihipStream_tbEUlT_E_NS1_11comp_targetILNS1_3genE2ELNS1_11target_archE906ELNS1_3gpuE6ELNS1_3repE0EEENS1_30default_config_static_selectorELNS0_4arch9wavefront6targetE1EEEvT1_.uses_flat_scratch, 0
	.set _ZN7rocprim17ROCPRIM_400000_NS6detail17trampoline_kernelINS0_14default_configENS1_35adjacent_difference_config_selectorILb0ElEEZNS1_24adjacent_difference_implIS3_Lb0ELb0EPlS7_ZN2at6native12_GLOBAL__N_124unique_dim_cuda_templateIaEESt5tupleIJNS8_6TensorESD_SD_EERKSD_lbbbEUlllE1_EE10hipError_tPvRmT2_T3_mT4_P12ihipStream_tbEUlT_E_NS1_11comp_targetILNS1_3genE2ELNS1_11target_archE906ELNS1_3gpuE6ELNS1_3repE0EEENS1_30default_config_static_selectorELNS0_4arch9wavefront6targetE1EEEvT1_.has_dyn_sized_stack, 0
	.set _ZN7rocprim17ROCPRIM_400000_NS6detail17trampoline_kernelINS0_14default_configENS1_35adjacent_difference_config_selectorILb0ElEEZNS1_24adjacent_difference_implIS3_Lb0ELb0EPlS7_ZN2at6native12_GLOBAL__N_124unique_dim_cuda_templateIaEESt5tupleIJNS8_6TensorESD_SD_EERKSD_lbbbEUlllE1_EE10hipError_tPvRmT2_T3_mT4_P12ihipStream_tbEUlT_E_NS1_11comp_targetILNS1_3genE2ELNS1_11target_archE906ELNS1_3gpuE6ELNS1_3repE0EEENS1_30default_config_static_selectorELNS0_4arch9wavefront6targetE1EEEvT1_.has_recursion, 0
	.set _ZN7rocprim17ROCPRIM_400000_NS6detail17trampoline_kernelINS0_14default_configENS1_35adjacent_difference_config_selectorILb0ElEEZNS1_24adjacent_difference_implIS3_Lb0ELb0EPlS7_ZN2at6native12_GLOBAL__N_124unique_dim_cuda_templateIaEESt5tupleIJNS8_6TensorESD_SD_EERKSD_lbbbEUlllE1_EE10hipError_tPvRmT2_T3_mT4_P12ihipStream_tbEUlT_E_NS1_11comp_targetILNS1_3genE2ELNS1_11target_archE906ELNS1_3gpuE6ELNS1_3repE0EEENS1_30default_config_static_selectorELNS0_4arch9wavefront6targetE1EEEvT1_.has_indirect_call, 0
	.section	.AMDGPU.csdata,"",@progbits
; Kernel info:
; codeLenInByte = 0
; TotalNumSgprs: 6
; NumVgprs: 0
; NumAgprs: 0
; TotalNumVgprs: 0
; ScratchSize: 0
; MemoryBound: 0
; FloatMode: 240
; IeeeMode: 1
; LDSByteSize: 0 bytes/workgroup (compile time only)
; SGPRBlocks: 0
; VGPRBlocks: 0
; NumSGPRsForWavesPerEU: 6
; NumVGPRsForWavesPerEU: 1
; AccumOffset: 4
; Occupancy: 8
; WaveLimiterHint : 0
; COMPUTE_PGM_RSRC2:SCRATCH_EN: 0
; COMPUTE_PGM_RSRC2:USER_SGPR: 2
; COMPUTE_PGM_RSRC2:TRAP_HANDLER: 0
; COMPUTE_PGM_RSRC2:TGID_X_EN: 1
; COMPUTE_PGM_RSRC2:TGID_Y_EN: 0
; COMPUTE_PGM_RSRC2:TGID_Z_EN: 0
; COMPUTE_PGM_RSRC2:TIDIG_COMP_CNT: 0
; COMPUTE_PGM_RSRC3_GFX90A:ACCUM_OFFSET: 0
; COMPUTE_PGM_RSRC3_GFX90A:TG_SPLIT: 0
	.section	.text._ZN7rocprim17ROCPRIM_400000_NS6detail17trampoline_kernelINS0_14default_configENS1_35adjacent_difference_config_selectorILb0ElEEZNS1_24adjacent_difference_implIS3_Lb0ELb0EPlS7_ZN2at6native12_GLOBAL__N_124unique_dim_cuda_templateIaEESt5tupleIJNS8_6TensorESD_SD_EERKSD_lbbbEUlllE1_EE10hipError_tPvRmT2_T3_mT4_P12ihipStream_tbEUlT_E_NS1_11comp_targetILNS1_3genE9ELNS1_11target_archE1100ELNS1_3gpuE3ELNS1_3repE0EEENS1_30default_config_static_selectorELNS0_4arch9wavefront6targetE1EEEvT1_,"axG",@progbits,_ZN7rocprim17ROCPRIM_400000_NS6detail17trampoline_kernelINS0_14default_configENS1_35adjacent_difference_config_selectorILb0ElEEZNS1_24adjacent_difference_implIS3_Lb0ELb0EPlS7_ZN2at6native12_GLOBAL__N_124unique_dim_cuda_templateIaEESt5tupleIJNS8_6TensorESD_SD_EERKSD_lbbbEUlllE1_EE10hipError_tPvRmT2_T3_mT4_P12ihipStream_tbEUlT_E_NS1_11comp_targetILNS1_3genE9ELNS1_11target_archE1100ELNS1_3gpuE3ELNS1_3repE0EEENS1_30default_config_static_selectorELNS0_4arch9wavefront6targetE1EEEvT1_,comdat
	.globl	_ZN7rocprim17ROCPRIM_400000_NS6detail17trampoline_kernelINS0_14default_configENS1_35adjacent_difference_config_selectorILb0ElEEZNS1_24adjacent_difference_implIS3_Lb0ELb0EPlS7_ZN2at6native12_GLOBAL__N_124unique_dim_cuda_templateIaEESt5tupleIJNS8_6TensorESD_SD_EERKSD_lbbbEUlllE1_EE10hipError_tPvRmT2_T3_mT4_P12ihipStream_tbEUlT_E_NS1_11comp_targetILNS1_3genE9ELNS1_11target_archE1100ELNS1_3gpuE3ELNS1_3repE0EEENS1_30default_config_static_selectorELNS0_4arch9wavefront6targetE1EEEvT1_ ; -- Begin function _ZN7rocprim17ROCPRIM_400000_NS6detail17trampoline_kernelINS0_14default_configENS1_35adjacent_difference_config_selectorILb0ElEEZNS1_24adjacent_difference_implIS3_Lb0ELb0EPlS7_ZN2at6native12_GLOBAL__N_124unique_dim_cuda_templateIaEESt5tupleIJNS8_6TensorESD_SD_EERKSD_lbbbEUlllE1_EE10hipError_tPvRmT2_T3_mT4_P12ihipStream_tbEUlT_E_NS1_11comp_targetILNS1_3genE9ELNS1_11target_archE1100ELNS1_3gpuE3ELNS1_3repE0EEENS1_30default_config_static_selectorELNS0_4arch9wavefront6targetE1EEEvT1_
	.p2align	8
	.type	_ZN7rocprim17ROCPRIM_400000_NS6detail17trampoline_kernelINS0_14default_configENS1_35adjacent_difference_config_selectorILb0ElEEZNS1_24adjacent_difference_implIS3_Lb0ELb0EPlS7_ZN2at6native12_GLOBAL__N_124unique_dim_cuda_templateIaEESt5tupleIJNS8_6TensorESD_SD_EERKSD_lbbbEUlllE1_EE10hipError_tPvRmT2_T3_mT4_P12ihipStream_tbEUlT_E_NS1_11comp_targetILNS1_3genE9ELNS1_11target_archE1100ELNS1_3gpuE3ELNS1_3repE0EEENS1_30default_config_static_selectorELNS0_4arch9wavefront6targetE1EEEvT1_,@function
_ZN7rocprim17ROCPRIM_400000_NS6detail17trampoline_kernelINS0_14default_configENS1_35adjacent_difference_config_selectorILb0ElEEZNS1_24adjacent_difference_implIS3_Lb0ELb0EPlS7_ZN2at6native12_GLOBAL__N_124unique_dim_cuda_templateIaEESt5tupleIJNS8_6TensorESD_SD_EERKSD_lbbbEUlllE1_EE10hipError_tPvRmT2_T3_mT4_P12ihipStream_tbEUlT_E_NS1_11comp_targetILNS1_3genE9ELNS1_11target_archE1100ELNS1_3gpuE3ELNS1_3repE0EEENS1_30default_config_static_selectorELNS0_4arch9wavefront6targetE1EEEvT1_: ; @_ZN7rocprim17ROCPRIM_400000_NS6detail17trampoline_kernelINS0_14default_configENS1_35adjacent_difference_config_selectorILb0ElEEZNS1_24adjacent_difference_implIS3_Lb0ELb0EPlS7_ZN2at6native12_GLOBAL__N_124unique_dim_cuda_templateIaEESt5tupleIJNS8_6TensorESD_SD_EERKSD_lbbbEUlllE1_EE10hipError_tPvRmT2_T3_mT4_P12ihipStream_tbEUlT_E_NS1_11comp_targetILNS1_3genE9ELNS1_11target_archE1100ELNS1_3gpuE3ELNS1_3repE0EEENS1_30default_config_static_selectorELNS0_4arch9wavefront6targetE1EEEvT1_
; %bb.0:
	.section	.rodata,"a",@progbits
	.p2align	6, 0x0
	.amdhsa_kernel _ZN7rocprim17ROCPRIM_400000_NS6detail17trampoline_kernelINS0_14default_configENS1_35adjacent_difference_config_selectorILb0ElEEZNS1_24adjacent_difference_implIS3_Lb0ELb0EPlS7_ZN2at6native12_GLOBAL__N_124unique_dim_cuda_templateIaEESt5tupleIJNS8_6TensorESD_SD_EERKSD_lbbbEUlllE1_EE10hipError_tPvRmT2_T3_mT4_P12ihipStream_tbEUlT_E_NS1_11comp_targetILNS1_3genE9ELNS1_11target_archE1100ELNS1_3gpuE3ELNS1_3repE0EEENS1_30default_config_static_selectorELNS0_4arch9wavefront6targetE1EEEvT1_
		.amdhsa_group_segment_fixed_size 0
		.amdhsa_private_segment_fixed_size 0
		.amdhsa_kernarg_size 64
		.amdhsa_user_sgpr_count 2
		.amdhsa_user_sgpr_dispatch_ptr 0
		.amdhsa_user_sgpr_queue_ptr 0
		.amdhsa_user_sgpr_kernarg_segment_ptr 1
		.amdhsa_user_sgpr_dispatch_id 0
		.amdhsa_user_sgpr_kernarg_preload_length 0
		.amdhsa_user_sgpr_kernarg_preload_offset 0
		.amdhsa_user_sgpr_private_segment_size 0
		.amdhsa_uses_dynamic_stack 0
		.amdhsa_enable_private_segment 0
		.amdhsa_system_sgpr_workgroup_id_x 1
		.amdhsa_system_sgpr_workgroup_id_y 0
		.amdhsa_system_sgpr_workgroup_id_z 0
		.amdhsa_system_sgpr_workgroup_info 0
		.amdhsa_system_vgpr_workitem_id 0
		.amdhsa_next_free_vgpr 1
		.amdhsa_next_free_sgpr 0
		.amdhsa_accum_offset 4
		.amdhsa_reserve_vcc 0
		.amdhsa_float_round_mode_32 0
		.amdhsa_float_round_mode_16_64 0
		.amdhsa_float_denorm_mode_32 3
		.amdhsa_float_denorm_mode_16_64 3
		.amdhsa_dx10_clamp 1
		.amdhsa_ieee_mode 1
		.amdhsa_fp16_overflow 0
		.amdhsa_tg_split 0
		.amdhsa_exception_fp_ieee_invalid_op 0
		.amdhsa_exception_fp_denorm_src 0
		.amdhsa_exception_fp_ieee_div_zero 0
		.amdhsa_exception_fp_ieee_overflow 0
		.amdhsa_exception_fp_ieee_underflow 0
		.amdhsa_exception_fp_ieee_inexact 0
		.amdhsa_exception_int_div_zero 0
	.end_amdhsa_kernel
	.section	.text._ZN7rocprim17ROCPRIM_400000_NS6detail17trampoline_kernelINS0_14default_configENS1_35adjacent_difference_config_selectorILb0ElEEZNS1_24adjacent_difference_implIS3_Lb0ELb0EPlS7_ZN2at6native12_GLOBAL__N_124unique_dim_cuda_templateIaEESt5tupleIJNS8_6TensorESD_SD_EERKSD_lbbbEUlllE1_EE10hipError_tPvRmT2_T3_mT4_P12ihipStream_tbEUlT_E_NS1_11comp_targetILNS1_3genE9ELNS1_11target_archE1100ELNS1_3gpuE3ELNS1_3repE0EEENS1_30default_config_static_selectorELNS0_4arch9wavefront6targetE1EEEvT1_,"axG",@progbits,_ZN7rocprim17ROCPRIM_400000_NS6detail17trampoline_kernelINS0_14default_configENS1_35adjacent_difference_config_selectorILb0ElEEZNS1_24adjacent_difference_implIS3_Lb0ELb0EPlS7_ZN2at6native12_GLOBAL__N_124unique_dim_cuda_templateIaEESt5tupleIJNS8_6TensorESD_SD_EERKSD_lbbbEUlllE1_EE10hipError_tPvRmT2_T3_mT4_P12ihipStream_tbEUlT_E_NS1_11comp_targetILNS1_3genE9ELNS1_11target_archE1100ELNS1_3gpuE3ELNS1_3repE0EEENS1_30default_config_static_selectorELNS0_4arch9wavefront6targetE1EEEvT1_,comdat
.Lfunc_end300:
	.size	_ZN7rocprim17ROCPRIM_400000_NS6detail17trampoline_kernelINS0_14default_configENS1_35adjacent_difference_config_selectorILb0ElEEZNS1_24adjacent_difference_implIS3_Lb0ELb0EPlS7_ZN2at6native12_GLOBAL__N_124unique_dim_cuda_templateIaEESt5tupleIJNS8_6TensorESD_SD_EERKSD_lbbbEUlllE1_EE10hipError_tPvRmT2_T3_mT4_P12ihipStream_tbEUlT_E_NS1_11comp_targetILNS1_3genE9ELNS1_11target_archE1100ELNS1_3gpuE3ELNS1_3repE0EEENS1_30default_config_static_selectorELNS0_4arch9wavefront6targetE1EEEvT1_, .Lfunc_end300-_ZN7rocprim17ROCPRIM_400000_NS6detail17trampoline_kernelINS0_14default_configENS1_35adjacent_difference_config_selectorILb0ElEEZNS1_24adjacent_difference_implIS3_Lb0ELb0EPlS7_ZN2at6native12_GLOBAL__N_124unique_dim_cuda_templateIaEESt5tupleIJNS8_6TensorESD_SD_EERKSD_lbbbEUlllE1_EE10hipError_tPvRmT2_T3_mT4_P12ihipStream_tbEUlT_E_NS1_11comp_targetILNS1_3genE9ELNS1_11target_archE1100ELNS1_3gpuE3ELNS1_3repE0EEENS1_30default_config_static_selectorELNS0_4arch9wavefront6targetE1EEEvT1_
                                        ; -- End function
	.set _ZN7rocprim17ROCPRIM_400000_NS6detail17trampoline_kernelINS0_14default_configENS1_35adjacent_difference_config_selectorILb0ElEEZNS1_24adjacent_difference_implIS3_Lb0ELb0EPlS7_ZN2at6native12_GLOBAL__N_124unique_dim_cuda_templateIaEESt5tupleIJNS8_6TensorESD_SD_EERKSD_lbbbEUlllE1_EE10hipError_tPvRmT2_T3_mT4_P12ihipStream_tbEUlT_E_NS1_11comp_targetILNS1_3genE9ELNS1_11target_archE1100ELNS1_3gpuE3ELNS1_3repE0EEENS1_30default_config_static_selectorELNS0_4arch9wavefront6targetE1EEEvT1_.num_vgpr, 0
	.set _ZN7rocprim17ROCPRIM_400000_NS6detail17trampoline_kernelINS0_14default_configENS1_35adjacent_difference_config_selectorILb0ElEEZNS1_24adjacent_difference_implIS3_Lb0ELb0EPlS7_ZN2at6native12_GLOBAL__N_124unique_dim_cuda_templateIaEESt5tupleIJNS8_6TensorESD_SD_EERKSD_lbbbEUlllE1_EE10hipError_tPvRmT2_T3_mT4_P12ihipStream_tbEUlT_E_NS1_11comp_targetILNS1_3genE9ELNS1_11target_archE1100ELNS1_3gpuE3ELNS1_3repE0EEENS1_30default_config_static_selectorELNS0_4arch9wavefront6targetE1EEEvT1_.num_agpr, 0
	.set _ZN7rocprim17ROCPRIM_400000_NS6detail17trampoline_kernelINS0_14default_configENS1_35adjacent_difference_config_selectorILb0ElEEZNS1_24adjacent_difference_implIS3_Lb0ELb0EPlS7_ZN2at6native12_GLOBAL__N_124unique_dim_cuda_templateIaEESt5tupleIJNS8_6TensorESD_SD_EERKSD_lbbbEUlllE1_EE10hipError_tPvRmT2_T3_mT4_P12ihipStream_tbEUlT_E_NS1_11comp_targetILNS1_3genE9ELNS1_11target_archE1100ELNS1_3gpuE3ELNS1_3repE0EEENS1_30default_config_static_selectorELNS0_4arch9wavefront6targetE1EEEvT1_.numbered_sgpr, 0
	.set _ZN7rocprim17ROCPRIM_400000_NS6detail17trampoline_kernelINS0_14default_configENS1_35adjacent_difference_config_selectorILb0ElEEZNS1_24adjacent_difference_implIS3_Lb0ELb0EPlS7_ZN2at6native12_GLOBAL__N_124unique_dim_cuda_templateIaEESt5tupleIJNS8_6TensorESD_SD_EERKSD_lbbbEUlllE1_EE10hipError_tPvRmT2_T3_mT4_P12ihipStream_tbEUlT_E_NS1_11comp_targetILNS1_3genE9ELNS1_11target_archE1100ELNS1_3gpuE3ELNS1_3repE0EEENS1_30default_config_static_selectorELNS0_4arch9wavefront6targetE1EEEvT1_.num_named_barrier, 0
	.set _ZN7rocprim17ROCPRIM_400000_NS6detail17trampoline_kernelINS0_14default_configENS1_35adjacent_difference_config_selectorILb0ElEEZNS1_24adjacent_difference_implIS3_Lb0ELb0EPlS7_ZN2at6native12_GLOBAL__N_124unique_dim_cuda_templateIaEESt5tupleIJNS8_6TensorESD_SD_EERKSD_lbbbEUlllE1_EE10hipError_tPvRmT2_T3_mT4_P12ihipStream_tbEUlT_E_NS1_11comp_targetILNS1_3genE9ELNS1_11target_archE1100ELNS1_3gpuE3ELNS1_3repE0EEENS1_30default_config_static_selectorELNS0_4arch9wavefront6targetE1EEEvT1_.private_seg_size, 0
	.set _ZN7rocprim17ROCPRIM_400000_NS6detail17trampoline_kernelINS0_14default_configENS1_35adjacent_difference_config_selectorILb0ElEEZNS1_24adjacent_difference_implIS3_Lb0ELb0EPlS7_ZN2at6native12_GLOBAL__N_124unique_dim_cuda_templateIaEESt5tupleIJNS8_6TensorESD_SD_EERKSD_lbbbEUlllE1_EE10hipError_tPvRmT2_T3_mT4_P12ihipStream_tbEUlT_E_NS1_11comp_targetILNS1_3genE9ELNS1_11target_archE1100ELNS1_3gpuE3ELNS1_3repE0EEENS1_30default_config_static_selectorELNS0_4arch9wavefront6targetE1EEEvT1_.uses_vcc, 0
	.set _ZN7rocprim17ROCPRIM_400000_NS6detail17trampoline_kernelINS0_14default_configENS1_35adjacent_difference_config_selectorILb0ElEEZNS1_24adjacent_difference_implIS3_Lb0ELb0EPlS7_ZN2at6native12_GLOBAL__N_124unique_dim_cuda_templateIaEESt5tupleIJNS8_6TensorESD_SD_EERKSD_lbbbEUlllE1_EE10hipError_tPvRmT2_T3_mT4_P12ihipStream_tbEUlT_E_NS1_11comp_targetILNS1_3genE9ELNS1_11target_archE1100ELNS1_3gpuE3ELNS1_3repE0EEENS1_30default_config_static_selectorELNS0_4arch9wavefront6targetE1EEEvT1_.uses_flat_scratch, 0
	.set _ZN7rocprim17ROCPRIM_400000_NS6detail17trampoline_kernelINS0_14default_configENS1_35adjacent_difference_config_selectorILb0ElEEZNS1_24adjacent_difference_implIS3_Lb0ELb0EPlS7_ZN2at6native12_GLOBAL__N_124unique_dim_cuda_templateIaEESt5tupleIJNS8_6TensorESD_SD_EERKSD_lbbbEUlllE1_EE10hipError_tPvRmT2_T3_mT4_P12ihipStream_tbEUlT_E_NS1_11comp_targetILNS1_3genE9ELNS1_11target_archE1100ELNS1_3gpuE3ELNS1_3repE0EEENS1_30default_config_static_selectorELNS0_4arch9wavefront6targetE1EEEvT1_.has_dyn_sized_stack, 0
	.set _ZN7rocprim17ROCPRIM_400000_NS6detail17trampoline_kernelINS0_14default_configENS1_35adjacent_difference_config_selectorILb0ElEEZNS1_24adjacent_difference_implIS3_Lb0ELb0EPlS7_ZN2at6native12_GLOBAL__N_124unique_dim_cuda_templateIaEESt5tupleIJNS8_6TensorESD_SD_EERKSD_lbbbEUlllE1_EE10hipError_tPvRmT2_T3_mT4_P12ihipStream_tbEUlT_E_NS1_11comp_targetILNS1_3genE9ELNS1_11target_archE1100ELNS1_3gpuE3ELNS1_3repE0EEENS1_30default_config_static_selectorELNS0_4arch9wavefront6targetE1EEEvT1_.has_recursion, 0
	.set _ZN7rocprim17ROCPRIM_400000_NS6detail17trampoline_kernelINS0_14default_configENS1_35adjacent_difference_config_selectorILb0ElEEZNS1_24adjacent_difference_implIS3_Lb0ELb0EPlS7_ZN2at6native12_GLOBAL__N_124unique_dim_cuda_templateIaEESt5tupleIJNS8_6TensorESD_SD_EERKSD_lbbbEUlllE1_EE10hipError_tPvRmT2_T3_mT4_P12ihipStream_tbEUlT_E_NS1_11comp_targetILNS1_3genE9ELNS1_11target_archE1100ELNS1_3gpuE3ELNS1_3repE0EEENS1_30default_config_static_selectorELNS0_4arch9wavefront6targetE1EEEvT1_.has_indirect_call, 0
	.section	.AMDGPU.csdata,"",@progbits
; Kernel info:
; codeLenInByte = 0
; TotalNumSgprs: 6
; NumVgprs: 0
; NumAgprs: 0
; TotalNumVgprs: 0
; ScratchSize: 0
; MemoryBound: 0
; FloatMode: 240
; IeeeMode: 1
; LDSByteSize: 0 bytes/workgroup (compile time only)
; SGPRBlocks: 0
; VGPRBlocks: 0
; NumSGPRsForWavesPerEU: 6
; NumVGPRsForWavesPerEU: 1
; AccumOffset: 4
; Occupancy: 8
; WaveLimiterHint : 0
; COMPUTE_PGM_RSRC2:SCRATCH_EN: 0
; COMPUTE_PGM_RSRC2:USER_SGPR: 2
; COMPUTE_PGM_RSRC2:TRAP_HANDLER: 0
; COMPUTE_PGM_RSRC2:TGID_X_EN: 1
; COMPUTE_PGM_RSRC2:TGID_Y_EN: 0
; COMPUTE_PGM_RSRC2:TGID_Z_EN: 0
; COMPUTE_PGM_RSRC2:TIDIG_COMP_CNT: 0
; COMPUTE_PGM_RSRC3_GFX90A:ACCUM_OFFSET: 0
; COMPUTE_PGM_RSRC3_GFX90A:TG_SPLIT: 0
	.section	.text._ZN7rocprim17ROCPRIM_400000_NS6detail17trampoline_kernelINS0_14default_configENS1_35adjacent_difference_config_selectorILb0ElEEZNS1_24adjacent_difference_implIS3_Lb0ELb0EPlS7_ZN2at6native12_GLOBAL__N_124unique_dim_cuda_templateIaEESt5tupleIJNS8_6TensorESD_SD_EERKSD_lbbbEUlllE1_EE10hipError_tPvRmT2_T3_mT4_P12ihipStream_tbEUlT_E_NS1_11comp_targetILNS1_3genE8ELNS1_11target_archE1030ELNS1_3gpuE2ELNS1_3repE0EEENS1_30default_config_static_selectorELNS0_4arch9wavefront6targetE1EEEvT1_,"axG",@progbits,_ZN7rocprim17ROCPRIM_400000_NS6detail17trampoline_kernelINS0_14default_configENS1_35adjacent_difference_config_selectorILb0ElEEZNS1_24adjacent_difference_implIS3_Lb0ELb0EPlS7_ZN2at6native12_GLOBAL__N_124unique_dim_cuda_templateIaEESt5tupleIJNS8_6TensorESD_SD_EERKSD_lbbbEUlllE1_EE10hipError_tPvRmT2_T3_mT4_P12ihipStream_tbEUlT_E_NS1_11comp_targetILNS1_3genE8ELNS1_11target_archE1030ELNS1_3gpuE2ELNS1_3repE0EEENS1_30default_config_static_selectorELNS0_4arch9wavefront6targetE1EEEvT1_,comdat
	.globl	_ZN7rocprim17ROCPRIM_400000_NS6detail17trampoline_kernelINS0_14default_configENS1_35adjacent_difference_config_selectorILb0ElEEZNS1_24adjacent_difference_implIS3_Lb0ELb0EPlS7_ZN2at6native12_GLOBAL__N_124unique_dim_cuda_templateIaEESt5tupleIJNS8_6TensorESD_SD_EERKSD_lbbbEUlllE1_EE10hipError_tPvRmT2_T3_mT4_P12ihipStream_tbEUlT_E_NS1_11comp_targetILNS1_3genE8ELNS1_11target_archE1030ELNS1_3gpuE2ELNS1_3repE0EEENS1_30default_config_static_selectorELNS0_4arch9wavefront6targetE1EEEvT1_ ; -- Begin function _ZN7rocprim17ROCPRIM_400000_NS6detail17trampoline_kernelINS0_14default_configENS1_35adjacent_difference_config_selectorILb0ElEEZNS1_24adjacent_difference_implIS3_Lb0ELb0EPlS7_ZN2at6native12_GLOBAL__N_124unique_dim_cuda_templateIaEESt5tupleIJNS8_6TensorESD_SD_EERKSD_lbbbEUlllE1_EE10hipError_tPvRmT2_T3_mT4_P12ihipStream_tbEUlT_E_NS1_11comp_targetILNS1_3genE8ELNS1_11target_archE1030ELNS1_3gpuE2ELNS1_3repE0EEENS1_30default_config_static_selectorELNS0_4arch9wavefront6targetE1EEEvT1_
	.p2align	8
	.type	_ZN7rocprim17ROCPRIM_400000_NS6detail17trampoline_kernelINS0_14default_configENS1_35adjacent_difference_config_selectorILb0ElEEZNS1_24adjacent_difference_implIS3_Lb0ELb0EPlS7_ZN2at6native12_GLOBAL__N_124unique_dim_cuda_templateIaEESt5tupleIJNS8_6TensorESD_SD_EERKSD_lbbbEUlllE1_EE10hipError_tPvRmT2_T3_mT4_P12ihipStream_tbEUlT_E_NS1_11comp_targetILNS1_3genE8ELNS1_11target_archE1030ELNS1_3gpuE2ELNS1_3repE0EEENS1_30default_config_static_selectorELNS0_4arch9wavefront6targetE1EEEvT1_,@function
_ZN7rocprim17ROCPRIM_400000_NS6detail17trampoline_kernelINS0_14default_configENS1_35adjacent_difference_config_selectorILb0ElEEZNS1_24adjacent_difference_implIS3_Lb0ELb0EPlS7_ZN2at6native12_GLOBAL__N_124unique_dim_cuda_templateIaEESt5tupleIJNS8_6TensorESD_SD_EERKSD_lbbbEUlllE1_EE10hipError_tPvRmT2_T3_mT4_P12ihipStream_tbEUlT_E_NS1_11comp_targetILNS1_3genE8ELNS1_11target_archE1030ELNS1_3gpuE2ELNS1_3repE0EEENS1_30default_config_static_selectorELNS0_4arch9wavefront6targetE1EEEvT1_: ; @_ZN7rocprim17ROCPRIM_400000_NS6detail17trampoline_kernelINS0_14default_configENS1_35adjacent_difference_config_selectorILb0ElEEZNS1_24adjacent_difference_implIS3_Lb0ELb0EPlS7_ZN2at6native12_GLOBAL__N_124unique_dim_cuda_templateIaEESt5tupleIJNS8_6TensorESD_SD_EERKSD_lbbbEUlllE1_EE10hipError_tPvRmT2_T3_mT4_P12ihipStream_tbEUlT_E_NS1_11comp_targetILNS1_3genE8ELNS1_11target_archE1030ELNS1_3gpuE2ELNS1_3repE0EEENS1_30default_config_static_selectorELNS0_4arch9wavefront6targetE1EEEvT1_
; %bb.0:
	.section	.rodata,"a",@progbits
	.p2align	6, 0x0
	.amdhsa_kernel _ZN7rocprim17ROCPRIM_400000_NS6detail17trampoline_kernelINS0_14default_configENS1_35adjacent_difference_config_selectorILb0ElEEZNS1_24adjacent_difference_implIS3_Lb0ELb0EPlS7_ZN2at6native12_GLOBAL__N_124unique_dim_cuda_templateIaEESt5tupleIJNS8_6TensorESD_SD_EERKSD_lbbbEUlllE1_EE10hipError_tPvRmT2_T3_mT4_P12ihipStream_tbEUlT_E_NS1_11comp_targetILNS1_3genE8ELNS1_11target_archE1030ELNS1_3gpuE2ELNS1_3repE0EEENS1_30default_config_static_selectorELNS0_4arch9wavefront6targetE1EEEvT1_
		.amdhsa_group_segment_fixed_size 0
		.amdhsa_private_segment_fixed_size 0
		.amdhsa_kernarg_size 64
		.amdhsa_user_sgpr_count 2
		.amdhsa_user_sgpr_dispatch_ptr 0
		.amdhsa_user_sgpr_queue_ptr 0
		.amdhsa_user_sgpr_kernarg_segment_ptr 1
		.amdhsa_user_sgpr_dispatch_id 0
		.amdhsa_user_sgpr_kernarg_preload_length 0
		.amdhsa_user_sgpr_kernarg_preload_offset 0
		.amdhsa_user_sgpr_private_segment_size 0
		.amdhsa_uses_dynamic_stack 0
		.amdhsa_enable_private_segment 0
		.amdhsa_system_sgpr_workgroup_id_x 1
		.amdhsa_system_sgpr_workgroup_id_y 0
		.amdhsa_system_sgpr_workgroup_id_z 0
		.amdhsa_system_sgpr_workgroup_info 0
		.amdhsa_system_vgpr_workitem_id 0
		.amdhsa_next_free_vgpr 1
		.amdhsa_next_free_sgpr 0
		.amdhsa_accum_offset 4
		.amdhsa_reserve_vcc 0
		.amdhsa_float_round_mode_32 0
		.amdhsa_float_round_mode_16_64 0
		.amdhsa_float_denorm_mode_32 3
		.amdhsa_float_denorm_mode_16_64 3
		.amdhsa_dx10_clamp 1
		.amdhsa_ieee_mode 1
		.amdhsa_fp16_overflow 0
		.amdhsa_tg_split 0
		.amdhsa_exception_fp_ieee_invalid_op 0
		.amdhsa_exception_fp_denorm_src 0
		.amdhsa_exception_fp_ieee_div_zero 0
		.amdhsa_exception_fp_ieee_overflow 0
		.amdhsa_exception_fp_ieee_underflow 0
		.amdhsa_exception_fp_ieee_inexact 0
		.amdhsa_exception_int_div_zero 0
	.end_amdhsa_kernel
	.section	.text._ZN7rocprim17ROCPRIM_400000_NS6detail17trampoline_kernelINS0_14default_configENS1_35adjacent_difference_config_selectorILb0ElEEZNS1_24adjacent_difference_implIS3_Lb0ELb0EPlS7_ZN2at6native12_GLOBAL__N_124unique_dim_cuda_templateIaEESt5tupleIJNS8_6TensorESD_SD_EERKSD_lbbbEUlllE1_EE10hipError_tPvRmT2_T3_mT4_P12ihipStream_tbEUlT_E_NS1_11comp_targetILNS1_3genE8ELNS1_11target_archE1030ELNS1_3gpuE2ELNS1_3repE0EEENS1_30default_config_static_selectorELNS0_4arch9wavefront6targetE1EEEvT1_,"axG",@progbits,_ZN7rocprim17ROCPRIM_400000_NS6detail17trampoline_kernelINS0_14default_configENS1_35adjacent_difference_config_selectorILb0ElEEZNS1_24adjacent_difference_implIS3_Lb0ELb0EPlS7_ZN2at6native12_GLOBAL__N_124unique_dim_cuda_templateIaEESt5tupleIJNS8_6TensorESD_SD_EERKSD_lbbbEUlllE1_EE10hipError_tPvRmT2_T3_mT4_P12ihipStream_tbEUlT_E_NS1_11comp_targetILNS1_3genE8ELNS1_11target_archE1030ELNS1_3gpuE2ELNS1_3repE0EEENS1_30default_config_static_selectorELNS0_4arch9wavefront6targetE1EEEvT1_,comdat
.Lfunc_end301:
	.size	_ZN7rocprim17ROCPRIM_400000_NS6detail17trampoline_kernelINS0_14default_configENS1_35adjacent_difference_config_selectorILb0ElEEZNS1_24adjacent_difference_implIS3_Lb0ELb0EPlS7_ZN2at6native12_GLOBAL__N_124unique_dim_cuda_templateIaEESt5tupleIJNS8_6TensorESD_SD_EERKSD_lbbbEUlllE1_EE10hipError_tPvRmT2_T3_mT4_P12ihipStream_tbEUlT_E_NS1_11comp_targetILNS1_3genE8ELNS1_11target_archE1030ELNS1_3gpuE2ELNS1_3repE0EEENS1_30default_config_static_selectorELNS0_4arch9wavefront6targetE1EEEvT1_, .Lfunc_end301-_ZN7rocprim17ROCPRIM_400000_NS6detail17trampoline_kernelINS0_14default_configENS1_35adjacent_difference_config_selectorILb0ElEEZNS1_24adjacent_difference_implIS3_Lb0ELb0EPlS7_ZN2at6native12_GLOBAL__N_124unique_dim_cuda_templateIaEESt5tupleIJNS8_6TensorESD_SD_EERKSD_lbbbEUlllE1_EE10hipError_tPvRmT2_T3_mT4_P12ihipStream_tbEUlT_E_NS1_11comp_targetILNS1_3genE8ELNS1_11target_archE1030ELNS1_3gpuE2ELNS1_3repE0EEENS1_30default_config_static_selectorELNS0_4arch9wavefront6targetE1EEEvT1_
                                        ; -- End function
	.set _ZN7rocprim17ROCPRIM_400000_NS6detail17trampoline_kernelINS0_14default_configENS1_35adjacent_difference_config_selectorILb0ElEEZNS1_24adjacent_difference_implIS3_Lb0ELb0EPlS7_ZN2at6native12_GLOBAL__N_124unique_dim_cuda_templateIaEESt5tupleIJNS8_6TensorESD_SD_EERKSD_lbbbEUlllE1_EE10hipError_tPvRmT2_T3_mT4_P12ihipStream_tbEUlT_E_NS1_11comp_targetILNS1_3genE8ELNS1_11target_archE1030ELNS1_3gpuE2ELNS1_3repE0EEENS1_30default_config_static_selectorELNS0_4arch9wavefront6targetE1EEEvT1_.num_vgpr, 0
	.set _ZN7rocprim17ROCPRIM_400000_NS6detail17trampoline_kernelINS0_14default_configENS1_35adjacent_difference_config_selectorILb0ElEEZNS1_24adjacent_difference_implIS3_Lb0ELb0EPlS7_ZN2at6native12_GLOBAL__N_124unique_dim_cuda_templateIaEESt5tupleIJNS8_6TensorESD_SD_EERKSD_lbbbEUlllE1_EE10hipError_tPvRmT2_T3_mT4_P12ihipStream_tbEUlT_E_NS1_11comp_targetILNS1_3genE8ELNS1_11target_archE1030ELNS1_3gpuE2ELNS1_3repE0EEENS1_30default_config_static_selectorELNS0_4arch9wavefront6targetE1EEEvT1_.num_agpr, 0
	.set _ZN7rocprim17ROCPRIM_400000_NS6detail17trampoline_kernelINS0_14default_configENS1_35adjacent_difference_config_selectorILb0ElEEZNS1_24adjacent_difference_implIS3_Lb0ELb0EPlS7_ZN2at6native12_GLOBAL__N_124unique_dim_cuda_templateIaEESt5tupleIJNS8_6TensorESD_SD_EERKSD_lbbbEUlllE1_EE10hipError_tPvRmT2_T3_mT4_P12ihipStream_tbEUlT_E_NS1_11comp_targetILNS1_3genE8ELNS1_11target_archE1030ELNS1_3gpuE2ELNS1_3repE0EEENS1_30default_config_static_selectorELNS0_4arch9wavefront6targetE1EEEvT1_.numbered_sgpr, 0
	.set _ZN7rocprim17ROCPRIM_400000_NS6detail17trampoline_kernelINS0_14default_configENS1_35adjacent_difference_config_selectorILb0ElEEZNS1_24adjacent_difference_implIS3_Lb0ELb0EPlS7_ZN2at6native12_GLOBAL__N_124unique_dim_cuda_templateIaEESt5tupleIJNS8_6TensorESD_SD_EERKSD_lbbbEUlllE1_EE10hipError_tPvRmT2_T3_mT4_P12ihipStream_tbEUlT_E_NS1_11comp_targetILNS1_3genE8ELNS1_11target_archE1030ELNS1_3gpuE2ELNS1_3repE0EEENS1_30default_config_static_selectorELNS0_4arch9wavefront6targetE1EEEvT1_.num_named_barrier, 0
	.set _ZN7rocprim17ROCPRIM_400000_NS6detail17trampoline_kernelINS0_14default_configENS1_35adjacent_difference_config_selectorILb0ElEEZNS1_24adjacent_difference_implIS3_Lb0ELb0EPlS7_ZN2at6native12_GLOBAL__N_124unique_dim_cuda_templateIaEESt5tupleIJNS8_6TensorESD_SD_EERKSD_lbbbEUlllE1_EE10hipError_tPvRmT2_T3_mT4_P12ihipStream_tbEUlT_E_NS1_11comp_targetILNS1_3genE8ELNS1_11target_archE1030ELNS1_3gpuE2ELNS1_3repE0EEENS1_30default_config_static_selectorELNS0_4arch9wavefront6targetE1EEEvT1_.private_seg_size, 0
	.set _ZN7rocprim17ROCPRIM_400000_NS6detail17trampoline_kernelINS0_14default_configENS1_35adjacent_difference_config_selectorILb0ElEEZNS1_24adjacent_difference_implIS3_Lb0ELb0EPlS7_ZN2at6native12_GLOBAL__N_124unique_dim_cuda_templateIaEESt5tupleIJNS8_6TensorESD_SD_EERKSD_lbbbEUlllE1_EE10hipError_tPvRmT2_T3_mT4_P12ihipStream_tbEUlT_E_NS1_11comp_targetILNS1_3genE8ELNS1_11target_archE1030ELNS1_3gpuE2ELNS1_3repE0EEENS1_30default_config_static_selectorELNS0_4arch9wavefront6targetE1EEEvT1_.uses_vcc, 0
	.set _ZN7rocprim17ROCPRIM_400000_NS6detail17trampoline_kernelINS0_14default_configENS1_35adjacent_difference_config_selectorILb0ElEEZNS1_24adjacent_difference_implIS3_Lb0ELb0EPlS7_ZN2at6native12_GLOBAL__N_124unique_dim_cuda_templateIaEESt5tupleIJNS8_6TensorESD_SD_EERKSD_lbbbEUlllE1_EE10hipError_tPvRmT2_T3_mT4_P12ihipStream_tbEUlT_E_NS1_11comp_targetILNS1_3genE8ELNS1_11target_archE1030ELNS1_3gpuE2ELNS1_3repE0EEENS1_30default_config_static_selectorELNS0_4arch9wavefront6targetE1EEEvT1_.uses_flat_scratch, 0
	.set _ZN7rocprim17ROCPRIM_400000_NS6detail17trampoline_kernelINS0_14default_configENS1_35adjacent_difference_config_selectorILb0ElEEZNS1_24adjacent_difference_implIS3_Lb0ELb0EPlS7_ZN2at6native12_GLOBAL__N_124unique_dim_cuda_templateIaEESt5tupleIJNS8_6TensorESD_SD_EERKSD_lbbbEUlllE1_EE10hipError_tPvRmT2_T3_mT4_P12ihipStream_tbEUlT_E_NS1_11comp_targetILNS1_3genE8ELNS1_11target_archE1030ELNS1_3gpuE2ELNS1_3repE0EEENS1_30default_config_static_selectorELNS0_4arch9wavefront6targetE1EEEvT1_.has_dyn_sized_stack, 0
	.set _ZN7rocprim17ROCPRIM_400000_NS6detail17trampoline_kernelINS0_14default_configENS1_35adjacent_difference_config_selectorILb0ElEEZNS1_24adjacent_difference_implIS3_Lb0ELb0EPlS7_ZN2at6native12_GLOBAL__N_124unique_dim_cuda_templateIaEESt5tupleIJNS8_6TensorESD_SD_EERKSD_lbbbEUlllE1_EE10hipError_tPvRmT2_T3_mT4_P12ihipStream_tbEUlT_E_NS1_11comp_targetILNS1_3genE8ELNS1_11target_archE1030ELNS1_3gpuE2ELNS1_3repE0EEENS1_30default_config_static_selectorELNS0_4arch9wavefront6targetE1EEEvT1_.has_recursion, 0
	.set _ZN7rocprim17ROCPRIM_400000_NS6detail17trampoline_kernelINS0_14default_configENS1_35adjacent_difference_config_selectorILb0ElEEZNS1_24adjacent_difference_implIS3_Lb0ELb0EPlS7_ZN2at6native12_GLOBAL__N_124unique_dim_cuda_templateIaEESt5tupleIJNS8_6TensorESD_SD_EERKSD_lbbbEUlllE1_EE10hipError_tPvRmT2_T3_mT4_P12ihipStream_tbEUlT_E_NS1_11comp_targetILNS1_3genE8ELNS1_11target_archE1030ELNS1_3gpuE2ELNS1_3repE0EEENS1_30default_config_static_selectorELNS0_4arch9wavefront6targetE1EEEvT1_.has_indirect_call, 0
	.section	.AMDGPU.csdata,"",@progbits
; Kernel info:
; codeLenInByte = 0
; TotalNumSgprs: 6
; NumVgprs: 0
; NumAgprs: 0
; TotalNumVgprs: 0
; ScratchSize: 0
; MemoryBound: 0
; FloatMode: 240
; IeeeMode: 1
; LDSByteSize: 0 bytes/workgroup (compile time only)
; SGPRBlocks: 0
; VGPRBlocks: 0
; NumSGPRsForWavesPerEU: 6
; NumVGPRsForWavesPerEU: 1
; AccumOffset: 4
; Occupancy: 8
; WaveLimiterHint : 0
; COMPUTE_PGM_RSRC2:SCRATCH_EN: 0
; COMPUTE_PGM_RSRC2:USER_SGPR: 2
; COMPUTE_PGM_RSRC2:TRAP_HANDLER: 0
; COMPUTE_PGM_RSRC2:TGID_X_EN: 1
; COMPUTE_PGM_RSRC2:TGID_Y_EN: 0
; COMPUTE_PGM_RSRC2:TGID_Z_EN: 0
; COMPUTE_PGM_RSRC2:TIDIG_COMP_CNT: 0
; COMPUTE_PGM_RSRC3_GFX90A:ACCUM_OFFSET: 0
; COMPUTE_PGM_RSRC3_GFX90A:TG_SPLIT: 0
	.section	.text._ZN7rocprim17ROCPRIM_400000_NS6detail17trampoline_kernelINS0_14default_configENS1_25transform_config_selectorIlLb0EEEZNS1_14transform_implILb0ES3_S5_NS0_18transform_iteratorINS0_17counting_iteratorImlEEZNS1_24adjacent_difference_implIS3_Lb1ELb0EPlSB_ZN2at6native12_GLOBAL__N_124unique_dim_cuda_templateIaEESt5tupleIJNSC_6TensorESH_SH_EERKSH_lbbbEUlllE1_EE10hipError_tPvRmT2_T3_mT4_P12ihipStream_tbEUlmE_lEESB_NS0_8identityIvEEEESM_SP_SQ_mSR_ST_bEUlT_E_NS1_11comp_targetILNS1_3genE0ELNS1_11target_archE4294967295ELNS1_3gpuE0ELNS1_3repE0EEENS1_30default_config_static_selectorELNS0_4arch9wavefront6targetE1EEEvT1_,"axG",@progbits,_ZN7rocprim17ROCPRIM_400000_NS6detail17trampoline_kernelINS0_14default_configENS1_25transform_config_selectorIlLb0EEEZNS1_14transform_implILb0ES3_S5_NS0_18transform_iteratorINS0_17counting_iteratorImlEEZNS1_24adjacent_difference_implIS3_Lb1ELb0EPlSB_ZN2at6native12_GLOBAL__N_124unique_dim_cuda_templateIaEESt5tupleIJNSC_6TensorESH_SH_EERKSH_lbbbEUlllE1_EE10hipError_tPvRmT2_T3_mT4_P12ihipStream_tbEUlmE_lEESB_NS0_8identityIvEEEESM_SP_SQ_mSR_ST_bEUlT_E_NS1_11comp_targetILNS1_3genE0ELNS1_11target_archE4294967295ELNS1_3gpuE0ELNS1_3repE0EEENS1_30default_config_static_selectorELNS0_4arch9wavefront6targetE1EEEvT1_,comdat
	.globl	_ZN7rocprim17ROCPRIM_400000_NS6detail17trampoline_kernelINS0_14default_configENS1_25transform_config_selectorIlLb0EEEZNS1_14transform_implILb0ES3_S5_NS0_18transform_iteratorINS0_17counting_iteratorImlEEZNS1_24adjacent_difference_implIS3_Lb1ELb0EPlSB_ZN2at6native12_GLOBAL__N_124unique_dim_cuda_templateIaEESt5tupleIJNSC_6TensorESH_SH_EERKSH_lbbbEUlllE1_EE10hipError_tPvRmT2_T3_mT4_P12ihipStream_tbEUlmE_lEESB_NS0_8identityIvEEEESM_SP_SQ_mSR_ST_bEUlT_E_NS1_11comp_targetILNS1_3genE0ELNS1_11target_archE4294967295ELNS1_3gpuE0ELNS1_3repE0EEENS1_30default_config_static_selectorELNS0_4arch9wavefront6targetE1EEEvT1_ ; -- Begin function _ZN7rocprim17ROCPRIM_400000_NS6detail17trampoline_kernelINS0_14default_configENS1_25transform_config_selectorIlLb0EEEZNS1_14transform_implILb0ES3_S5_NS0_18transform_iteratorINS0_17counting_iteratorImlEEZNS1_24adjacent_difference_implIS3_Lb1ELb0EPlSB_ZN2at6native12_GLOBAL__N_124unique_dim_cuda_templateIaEESt5tupleIJNSC_6TensorESH_SH_EERKSH_lbbbEUlllE1_EE10hipError_tPvRmT2_T3_mT4_P12ihipStream_tbEUlmE_lEESB_NS0_8identityIvEEEESM_SP_SQ_mSR_ST_bEUlT_E_NS1_11comp_targetILNS1_3genE0ELNS1_11target_archE4294967295ELNS1_3gpuE0ELNS1_3repE0EEENS1_30default_config_static_selectorELNS0_4arch9wavefront6targetE1EEEvT1_
	.p2align	8
	.type	_ZN7rocprim17ROCPRIM_400000_NS6detail17trampoline_kernelINS0_14default_configENS1_25transform_config_selectorIlLb0EEEZNS1_14transform_implILb0ES3_S5_NS0_18transform_iteratorINS0_17counting_iteratorImlEEZNS1_24adjacent_difference_implIS3_Lb1ELb0EPlSB_ZN2at6native12_GLOBAL__N_124unique_dim_cuda_templateIaEESt5tupleIJNSC_6TensorESH_SH_EERKSH_lbbbEUlllE1_EE10hipError_tPvRmT2_T3_mT4_P12ihipStream_tbEUlmE_lEESB_NS0_8identityIvEEEESM_SP_SQ_mSR_ST_bEUlT_E_NS1_11comp_targetILNS1_3genE0ELNS1_11target_archE4294967295ELNS1_3gpuE0ELNS1_3repE0EEENS1_30default_config_static_selectorELNS0_4arch9wavefront6targetE1EEEvT1_,@function
_ZN7rocprim17ROCPRIM_400000_NS6detail17trampoline_kernelINS0_14default_configENS1_25transform_config_selectorIlLb0EEEZNS1_14transform_implILb0ES3_S5_NS0_18transform_iteratorINS0_17counting_iteratorImlEEZNS1_24adjacent_difference_implIS3_Lb1ELb0EPlSB_ZN2at6native12_GLOBAL__N_124unique_dim_cuda_templateIaEESt5tupleIJNSC_6TensorESH_SH_EERKSH_lbbbEUlllE1_EE10hipError_tPvRmT2_T3_mT4_P12ihipStream_tbEUlmE_lEESB_NS0_8identityIvEEEESM_SP_SQ_mSR_ST_bEUlT_E_NS1_11comp_targetILNS1_3genE0ELNS1_11target_archE4294967295ELNS1_3gpuE0ELNS1_3repE0EEENS1_30default_config_static_selectorELNS0_4arch9wavefront6targetE1EEEvT1_: ; @_ZN7rocprim17ROCPRIM_400000_NS6detail17trampoline_kernelINS0_14default_configENS1_25transform_config_selectorIlLb0EEEZNS1_14transform_implILb0ES3_S5_NS0_18transform_iteratorINS0_17counting_iteratorImlEEZNS1_24adjacent_difference_implIS3_Lb1ELb0EPlSB_ZN2at6native12_GLOBAL__N_124unique_dim_cuda_templateIaEESt5tupleIJNSC_6TensorESH_SH_EERKSH_lbbbEUlllE1_EE10hipError_tPvRmT2_T3_mT4_P12ihipStream_tbEUlmE_lEESB_NS0_8identityIvEEEESM_SP_SQ_mSR_ST_bEUlT_E_NS1_11comp_targetILNS1_3genE0ELNS1_11target_archE4294967295ELNS1_3gpuE0ELNS1_3repE0EEENS1_30default_config_static_selectorELNS0_4arch9wavefront6targetE1EEEvT1_
; %bb.0:
	s_load_dword s3, s[0:1], 0x38
	s_load_dword s5, s[0:1], 0x20
	s_lshl_b32 s4, s2, 7
	s_waitcnt lgkmcnt(0)
	s_add_i32 s3, s3, -1
	s_cmp_lg_u32 s2, s3
	s_cselect_b64 s[2:3], -1, 0
	s_sub_i32 s5, s5, s4
	v_cmp_gt_u32_e32 vcc, s5, v0
	s_or_b64 s[2:3], s[2:3], vcc
	s_and_saveexec_b64 s[6:7], s[2:3]
	s_cbranch_execz .LBB302_2
; %bb.1:
	s_load_dwordx2 s[2:3], s[0:1], 0x18
	s_load_dwordx4 s[8:11], s[0:1], 0x0
	s_load_dwordx2 s[6:7], s[0:1], 0x28
	s_load_dword s5, s[0:1], 0x10
	v_mov_b32_e32 v1, 0
	s_waitcnt lgkmcnt(0)
	s_lshl_b64 s[0:1], s[2:3], 3
	v_mov_b32_e32 v2, s10
	s_add_u32 s6, s6, s0
	s_addc_u32 s7, s7, s1
	s_add_u32 s0, s8, s2
	s_addc_u32 s1, s9, s3
	;; [unrolled: 2-line block ×3, first 2 shown]
	v_lshl_add_u64 v[4:5], s[0:1], 0, v[0:1]
	v_mad_u64_u32 v[6:7], s[0:1], v4, s5, 0
	v_mov_b32_e32 v4, v7
	v_mad_u64_u32 v[4:5], s[0:1], v5, s5, v[4:5]
	v_mov_b32_e32 v3, s11
	v_mov_b32_e32 v7, v4
	v_lshl_add_u64 v[2:3], v[6:7], 3, v[2:3]
	global_load_dwordx2 v[2:3], v[2:3], off
	s_mov_b32 s5, 0
	s_lshl_b64 s[0:1], s[4:5], 3
	s_add_u32 s0, s6, s0
	s_addc_u32 s1, s7, s1
	v_lshl_add_u64 v[0:1], v[0:1], 3, s[0:1]
	s_waitcnt vmcnt(0)
	global_store_dwordx2 v[0:1], v[2:3], off
.LBB302_2:
	s_endpgm
	.section	.rodata,"a",@progbits
	.p2align	6, 0x0
	.amdhsa_kernel _ZN7rocprim17ROCPRIM_400000_NS6detail17trampoline_kernelINS0_14default_configENS1_25transform_config_selectorIlLb0EEEZNS1_14transform_implILb0ES3_S5_NS0_18transform_iteratorINS0_17counting_iteratorImlEEZNS1_24adjacent_difference_implIS3_Lb1ELb0EPlSB_ZN2at6native12_GLOBAL__N_124unique_dim_cuda_templateIaEESt5tupleIJNSC_6TensorESH_SH_EERKSH_lbbbEUlllE1_EE10hipError_tPvRmT2_T3_mT4_P12ihipStream_tbEUlmE_lEESB_NS0_8identityIvEEEESM_SP_SQ_mSR_ST_bEUlT_E_NS1_11comp_targetILNS1_3genE0ELNS1_11target_archE4294967295ELNS1_3gpuE0ELNS1_3repE0EEENS1_30default_config_static_selectorELNS0_4arch9wavefront6targetE1EEEvT1_
		.amdhsa_group_segment_fixed_size 0
		.amdhsa_private_segment_fixed_size 0
		.amdhsa_kernarg_size 312
		.amdhsa_user_sgpr_count 2
		.amdhsa_user_sgpr_dispatch_ptr 0
		.amdhsa_user_sgpr_queue_ptr 0
		.amdhsa_user_sgpr_kernarg_segment_ptr 1
		.amdhsa_user_sgpr_dispatch_id 0
		.amdhsa_user_sgpr_kernarg_preload_length 0
		.amdhsa_user_sgpr_kernarg_preload_offset 0
		.amdhsa_user_sgpr_private_segment_size 0
		.amdhsa_uses_dynamic_stack 0
		.amdhsa_enable_private_segment 0
		.amdhsa_system_sgpr_workgroup_id_x 1
		.amdhsa_system_sgpr_workgroup_id_y 0
		.amdhsa_system_sgpr_workgroup_id_z 0
		.amdhsa_system_sgpr_workgroup_info 0
		.amdhsa_system_vgpr_workitem_id 0
		.amdhsa_next_free_vgpr 8
		.amdhsa_next_free_sgpr 12
		.amdhsa_accum_offset 8
		.amdhsa_reserve_vcc 1
		.amdhsa_float_round_mode_32 0
		.amdhsa_float_round_mode_16_64 0
		.amdhsa_float_denorm_mode_32 3
		.amdhsa_float_denorm_mode_16_64 3
		.amdhsa_dx10_clamp 1
		.amdhsa_ieee_mode 1
		.amdhsa_fp16_overflow 0
		.amdhsa_tg_split 0
		.amdhsa_exception_fp_ieee_invalid_op 0
		.amdhsa_exception_fp_denorm_src 0
		.amdhsa_exception_fp_ieee_div_zero 0
		.amdhsa_exception_fp_ieee_overflow 0
		.amdhsa_exception_fp_ieee_underflow 0
		.amdhsa_exception_fp_ieee_inexact 0
		.amdhsa_exception_int_div_zero 0
	.end_amdhsa_kernel
	.section	.text._ZN7rocprim17ROCPRIM_400000_NS6detail17trampoline_kernelINS0_14default_configENS1_25transform_config_selectorIlLb0EEEZNS1_14transform_implILb0ES3_S5_NS0_18transform_iteratorINS0_17counting_iteratorImlEEZNS1_24adjacent_difference_implIS3_Lb1ELb0EPlSB_ZN2at6native12_GLOBAL__N_124unique_dim_cuda_templateIaEESt5tupleIJNSC_6TensorESH_SH_EERKSH_lbbbEUlllE1_EE10hipError_tPvRmT2_T3_mT4_P12ihipStream_tbEUlmE_lEESB_NS0_8identityIvEEEESM_SP_SQ_mSR_ST_bEUlT_E_NS1_11comp_targetILNS1_3genE0ELNS1_11target_archE4294967295ELNS1_3gpuE0ELNS1_3repE0EEENS1_30default_config_static_selectorELNS0_4arch9wavefront6targetE1EEEvT1_,"axG",@progbits,_ZN7rocprim17ROCPRIM_400000_NS6detail17trampoline_kernelINS0_14default_configENS1_25transform_config_selectorIlLb0EEEZNS1_14transform_implILb0ES3_S5_NS0_18transform_iteratorINS0_17counting_iteratorImlEEZNS1_24adjacent_difference_implIS3_Lb1ELb0EPlSB_ZN2at6native12_GLOBAL__N_124unique_dim_cuda_templateIaEESt5tupleIJNSC_6TensorESH_SH_EERKSH_lbbbEUlllE1_EE10hipError_tPvRmT2_T3_mT4_P12ihipStream_tbEUlmE_lEESB_NS0_8identityIvEEEESM_SP_SQ_mSR_ST_bEUlT_E_NS1_11comp_targetILNS1_3genE0ELNS1_11target_archE4294967295ELNS1_3gpuE0ELNS1_3repE0EEENS1_30default_config_static_selectorELNS0_4arch9wavefront6targetE1EEEvT1_,comdat
.Lfunc_end302:
	.size	_ZN7rocprim17ROCPRIM_400000_NS6detail17trampoline_kernelINS0_14default_configENS1_25transform_config_selectorIlLb0EEEZNS1_14transform_implILb0ES3_S5_NS0_18transform_iteratorINS0_17counting_iteratorImlEEZNS1_24adjacent_difference_implIS3_Lb1ELb0EPlSB_ZN2at6native12_GLOBAL__N_124unique_dim_cuda_templateIaEESt5tupleIJNSC_6TensorESH_SH_EERKSH_lbbbEUlllE1_EE10hipError_tPvRmT2_T3_mT4_P12ihipStream_tbEUlmE_lEESB_NS0_8identityIvEEEESM_SP_SQ_mSR_ST_bEUlT_E_NS1_11comp_targetILNS1_3genE0ELNS1_11target_archE4294967295ELNS1_3gpuE0ELNS1_3repE0EEENS1_30default_config_static_selectorELNS0_4arch9wavefront6targetE1EEEvT1_, .Lfunc_end302-_ZN7rocprim17ROCPRIM_400000_NS6detail17trampoline_kernelINS0_14default_configENS1_25transform_config_selectorIlLb0EEEZNS1_14transform_implILb0ES3_S5_NS0_18transform_iteratorINS0_17counting_iteratorImlEEZNS1_24adjacent_difference_implIS3_Lb1ELb0EPlSB_ZN2at6native12_GLOBAL__N_124unique_dim_cuda_templateIaEESt5tupleIJNSC_6TensorESH_SH_EERKSH_lbbbEUlllE1_EE10hipError_tPvRmT2_T3_mT4_P12ihipStream_tbEUlmE_lEESB_NS0_8identityIvEEEESM_SP_SQ_mSR_ST_bEUlT_E_NS1_11comp_targetILNS1_3genE0ELNS1_11target_archE4294967295ELNS1_3gpuE0ELNS1_3repE0EEENS1_30default_config_static_selectorELNS0_4arch9wavefront6targetE1EEEvT1_
                                        ; -- End function
	.set _ZN7rocprim17ROCPRIM_400000_NS6detail17trampoline_kernelINS0_14default_configENS1_25transform_config_selectorIlLb0EEEZNS1_14transform_implILb0ES3_S5_NS0_18transform_iteratorINS0_17counting_iteratorImlEEZNS1_24adjacent_difference_implIS3_Lb1ELb0EPlSB_ZN2at6native12_GLOBAL__N_124unique_dim_cuda_templateIaEESt5tupleIJNSC_6TensorESH_SH_EERKSH_lbbbEUlllE1_EE10hipError_tPvRmT2_T3_mT4_P12ihipStream_tbEUlmE_lEESB_NS0_8identityIvEEEESM_SP_SQ_mSR_ST_bEUlT_E_NS1_11comp_targetILNS1_3genE0ELNS1_11target_archE4294967295ELNS1_3gpuE0ELNS1_3repE0EEENS1_30default_config_static_selectorELNS0_4arch9wavefront6targetE1EEEvT1_.num_vgpr, 8
	.set _ZN7rocprim17ROCPRIM_400000_NS6detail17trampoline_kernelINS0_14default_configENS1_25transform_config_selectorIlLb0EEEZNS1_14transform_implILb0ES3_S5_NS0_18transform_iteratorINS0_17counting_iteratorImlEEZNS1_24adjacent_difference_implIS3_Lb1ELb0EPlSB_ZN2at6native12_GLOBAL__N_124unique_dim_cuda_templateIaEESt5tupleIJNSC_6TensorESH_SH_EERKSH_lbbbEUlllE1_EE10hipError_tPvRmT2_T3_mT4_P12ihipStream_tbEUlmE_lEESB_NS0_8identityIvEEEESM_SP_SQ_mSR_ST_bEUlT_E_NS1_11comp_targetILNS1_3genE0ELNS1_11target_archE4294967295ELNS1_3gpuE0ELNS1_3repE0EEENS1_30default_config_static_selectorELNS0_4arch9wavefront6targetE1EEEvT1_.num_agpr, 0
	.set _ZN7rocprim17ROCPRIM_400000_NS6detail17trampoline_kernelINS0_14default_configENS1_25transform_config_selectorIlLb0EEEZNS1_14transform_implILb0ES3_S5_NS0_18transform_iteratorINS0_17counting_iteratorImlEEZNS1_24adjacent_difference_implIS3_Lb1ELb0EPlSB_ZN2at6native12_GLOBAL__N_124unique_dim_cuda_templateIaEESt5tupleIJNSC_6TensorESH_SH_EERKSH_lbbbEUlllE1_EE10hipError_tPvRmT2_T3_mT4_P12ihipStream_tbEUlmE_lEESB_NS0_8identityIvEEEESM_SP_SQ_mSR_ST_bEUlT_E_NS1_11comp_targetILNS1_3genE0ELNS1_11target_archE4294967295ELNS1_3gpuE0ELNS1_3repE0EEENS1_30default_config_static_selectorELNS0_4arch9wavefront6targetE1EEEvT1_.numbered_sgpr, 12
	.set _ZN7rocprim17ROCPRIM_400000_NS6detail17trampoline_kernelINS0_14default_configENS1_25transform_config_selectorIlLb0EEEZNS1_14transform_implILb0ES3_S5_NS0_18transform_iteratorINS0_17counting_iteratorImlEEZNS1_24adjacent_difference_implIS3_Lb1ELb0EPlSB_ZN2at6native12_GLOBAL__N_124unique_dim_cuda_templateIaEESt5tupleIJNSC_6TensorESH_SH_EERKSH_lbbbEUlllE1_EE10hipError_tPvRmT2_T3_mT4_P12ihipStream_tbEUlmE_lEESB_NS0_8identityIvEEEESM_SP_SQ_mSR_ST_bEUlT_E_NS1_11comp_targetILNS1_3genE0ELNS1_11target_archE4294967295ELNS1_3gpuE0ELNS1_3repE0EEENS1_30default_config_static_selectorELNS0_4arch9wavefront6targetE1EEEvT1_.num_named_barrier, 0
	.set _ZN7rocprim17ROCPRIM_400000_NS6detail17trampoline_kernelINS0_14default_configENS1_25transform_config_selectorIlLb0EEEZNS1_14transform_implILb0ES3_S5_NS0_18transform_iteratorINS0_17counting_iteratorImlEEZNS1_24adjacent_difference_implIS3_Lb1ELb0EPlSB_ZN2at6native12_GLOBAL__N_124unique_dim_cuda_templateIaEESt5tupleIJNSC_6TensorESH_SH_EERKSH_lbbbEUlllE1_EE10hipError_tPvRmT2_T3_mT4_P12ihipStream_tbEUlmE_lEESB_NS0_8identityIvEEEESM_SP_SQ_mSR_ST_bEUlT_E_NS1_11comp_targetILNS1_3genE0ELNS1_11target_archE4294967295ELNS1_3gpuE0ELNS1_3repE0EEENS1_30default_config_static_selectorELNS0_4arch9wavefront6targetE1EEEvT1_.private_seg_size, 0
	.set _ZN7rocprim17ROCPRIM_400000_NS6detail17trampoline_kernelINS0_14default_configENS1_25transform_config_selectorIlLb0EEEZNS1_14transform_implILb0ES3_S5_NS0_18transform_iteratorINS0_17counting_iteratorImlEEZNS1_24adjacent_difference_implIS3_Lb1ELb0EPlSB_ZN2at6native12_GLOBAL__N_124unique_dim_cuda_templateIaEESt5tupleIJNSC_6TensorESH_SH_EERKSH_lbbbEUlllE1_EE10hipError_tPvRmT2_T3_mT4_P12ihipStream_tbEUlmE_lEESB_NS0_8identityIvEEEESM_SP_SQ_mSR_ST_bEUlT_E_NS1_11comp_targetILNS1_3genE0ELNS1_11target_archE4294967295ELNS1_3gpuE0ELNS1_3repE0EEENS1_30default_config_static_selectorELNS0_4arch9wavefront6targetE1EEEvT1_.uses_vcc, 1
	.set _ZN7rocprim17ROCPRIM_400000_NS6detail17trampoline_kernelINS0_14default_configENS1_25transform_config_selectorIlLb0EEEZNS1_14transform_implILb0ES3_S5_NS0_18transform_iteratorINS0_17counting_iteratorImlEEZNS1_24adjacent_difference_implIS3_Lb1ELb0EPlSB_ZN2at6native12_GLOBAL__N_124unique_dim_cuda_templateIaEESt5tupleIJNSC_6TensorESH_SH_EERKSH_lbbbEUlllE1_EE10hipError_tPvRmT2_T3_mT4_P12ihipStream_tbEUlmE_lEESB_NS0_8identityIvEEEESM_SP_SQ_mSR_ST_bEUlT_E_NS1_11comp_targetILNS1_3genE0ELNS1_11target_archE4294967295ELNS1_3gpuE0ELNS1_3repE0EEENS1_30default_config_static_selectorELNS0_4arch9wavefront6targetE1EEEvT1_.uses_flat_scratch, 0
	.set _ZN7rocprim17ROCPRIM_400000_NS6detail17trampoline_kernelINS0_14default_configENS1_25transform_config_selectorIlLb0EEEZNS1_14transform_implILb0ES3_S5_NS0_18transform_iteratorINS0_17counting_iteratorImlEEZNS1_24adjacent_difference_implIS3_Lb1ELb0EPlSB_ZN2at6native12_GLOBAL__N_124unique_dim_cuda_templateIaEESt5tupleIJNSC_6TensorESH_SH_EERKSH_lbbbEUlllE1_EE10hipError_tPvRmT2_T3_mT4_P12ihipStream_tbEUlmE_lEESB_NS0_8identityIvEEEESM_SP_SQ_mSR_ST_bEUlT_E_NS1_11comp_targetILNS1_3genE0ELNS1_11target_archE4294967295ELNS1_3gpuE0ELNS1_3repE0EEENS1_30default_config_static_selectorELNS0_4arch9wavefront6targetE1EEEvT1_.has_dyn_sized_stack, 0
	.set _ZN7rocprim17ROCPRIM_400000_NS6detail17trampoline_kernelINS0_14default_configENS1_25transform_config_selectorIlLb0EEEZNS1_14transform_implILb0ES3_S5_NS0_18transform_iteratorINS0_17counting_iteratorImlEEZNS1_24adjacent_difference_implIS3_Lb1ELb0EPlSB_ZN2at6native12_GLOBAL__N_124unique_dim_cuda_templateIaEESt5tupleIJNSC_6TensorESH_SH_EERKSH_lbbbEUlllE1_EE10hipError_tPvRmT2_T3_mT4_P12ihipStream_tbEUlmE_lEESB_NS0_8identityIvEEEESM_SP_SQ_mSR_ST_bEUlT_E_NS1_11comp_targetILNS1_3genE0ELNS1_11target_archE4294967295ELNS1_3gpuE0ELNS1_3repE0EEENS1_30default_config_static_selectorELNS0_4arch9wavefront6targetE1EEEvT1_.has_recursion, 0
	.set _ZN7rocprim17ROCPRIM_400000_NS6detail17trampoline_kernelINS0_14default_configENS1_25transform_config_selectorIlLb0EEEZNS1_14transform_implILb0ES3_S5_NS0_18transform_iteratorINS0_17counting_iteratorImlEEZNS1_24adjacent_difference_implIS3_Lb1ELb0EPlSB_ZN2at6native12_GLOBAL__N_124unique_dim_cuda_templateIaEESt5tupleIJNSC_6TensorESH_SH_EERKSH_lbbbEUlllE1_EE10hipError_tPvRmT2_T3_mT4_P12ihipStream_tbEUlmE_lEESB_NS0_8identityIvEEEESM_SP_SQ_mSR_ST_bEUlT_E_NS1_11comp_targetILNS1_3genE0ELNS1_11target_archE4294967295ELNS1_3gpuE0ELNS1_3repE0EEENS1_30default_config_static_selectorELNS0_4arch9wavefront6targetE1EEEvT1_.has_indirect_call, 0
	.section	.AMDGPU.csdata,"",@progbits
; Kernel info:
; codeLenInByte = 220
; TotalNumSgprs: 18
; NumVgprs: 8
; NumAgprs: 0
; TotalNumVgprs: 8
; ScratchSize: 0
; MemoryBound: 0
; FloatMode: 240
; IeeeMode: 1
; LDSByteSize: 0 bytes/workgroup (compile time only)
; SGPRBlocks: 2
; VGPRBlocks: 0
; NumSGPRsForWavesPerEU: 18
; NumVGPRsForWavesPerEU: 8
; AccumOffset: 8
; Occupancy: 8
; WaveLimiterHint : 0
; COMPUTE_PGM_RSRC2:SCRATCH_EN: 0
; COMPUTE_PGM_RSRC2:USER_SGPR: 2
; COMPUTE_PGM_RSRC2:TRAP_HANDLER: 0
; COMPUTE_PGM_RSRC2:TGID_X_EN: 1
; COMPUTE_PGM_RSRC2:TGID_Y_EN: 0
; COMPUTE_PGM_RSRC2:TGID_Z_EN: 0
; COMPUTE_PGM_RSRC2:TIDIG_COMP_CNT: 0
; COMPUTE_PGM_RSRC3_GFX90A:ACCUM_OFFSET: 1
; COMPUTE_PGM_RSRC3_GFX90A:TG_SPLIT: 0
	.section	.text._ZN7rocprim17ROCPRIM_400000_NS6detail17trampoline_kernelINS0_14default_configENS1_25transform_config_selectorIlLb0EEEZNS1_14transform_implILb0ES3_S5_NS0_18transform_iteratorINS0_17counting_iteratorImlEEZNS1_24adjacent_difference_implIS3_Lb1ELb0EPlSB_ZN2at6native12_GLOBAL__N_124unique_dim_cuda_templateIaEESt5tupleIJNSC_6TensorESH_SH_EERKSH_lbbbEUlllE1_EE10hipError_tPvRmT2_T3_mT4_P12ihipStream_tbEUlmE_lEESB_NS0_8identityIvEEEESM_SP_SQ_mSR_ST_bEUlT_E_NS1_11comp_targetILNS1_3genE5ELNS1_11target_archE942ELNS1_3gpuE9ELNS1_3repE0EEENS1_30default_config_static_selectorELNS0_4arch9wavefront6targetE1EEEvT1_,"axG",@progbits,_ZN7rocprim17ROCPRIM_400000_NS6detail17trampoline_kernelINS0_14default_configENS1_25transform_config_selectorIlLb0EEEZNS1_14transform_implILb0ES3_S5_NS0_18transform_iteratorINS0_17counting_iteratorImlEEZNS1_24adjacent_difference_implIS3_Lb1ELb0EPlSB_ZN2at6native12_GLOBAL__N_124unique_dim_cuda_templateIaEESt5tupleIJNSC_6TensorESH_SH_EERKSH_lbbbEUlllE1_EE10hipError_tPvRmT2_T3_mT4_P12ihipStream_tbEUlmE_lEESB_NS0_8identityIvEEEESM_SP_SQ_mSR_ST_bEUlT_E_NS1_11comp_targetILNS1_3genE5ELNS1_11target_archE942ELNS1_3gpuE9ELNS1_3repE0EEENS1_30default_config_static_selectorELNS0_4arch9wavefront6targetE1EEEvT1_,comdat
	.globl	_ZN7rocprim17ROCPRIM_400000_NS6detail17trampoline_kernelINS0_14default_configENS1_25transform_config_selectorIlLb0EEEZNS1_14transform_implILb0ES3_S5_NS0_18transform_iteratorINS0_17counting_iteratorImlEEZNS1_24adjacent_difference_implIS3_Lb1ELb0EPlSB_ZN2at6native12_GLOBAL__N_124unique_dim_cuda_templateIaEESt5tupleIJNSC_6TensorESH_SH_EERKSH_lbbbEUlllE1_EE10hipError_tPvRmT2_T3_mT4_P12ihipStream_tbEUlmE_lEESB_NS0_8identityIvEEEESM_SP_SQ_mSR_ST_bEUlT_E_NS1_11comp_targetILNS1_3genE5ELNS1_11target_archE942ELNS1_3gpuE9ELNS1_3repE0EEENS1_30default_config_static_selectorELNS0_4arch9wavefront6targetE1EEEvT1_ ; -- Begin function _ZN7rocprim17ROCPRIM_400000_NS6detail17trampoline_kernelINS0_14default_configENS1_25transform_config_selectorIlLb0EEEZNS1_14transform_implILb0ES3_S5_NS0_18transform_iteratorINS0_17counting_iteratorImlEEZNS1_24adjacent_difference_implIS3_Lb1ELb0EPlSB_ZN2at6native12_GLOBAL__N_124unique_dim_cuda_templateIaEESt5tupleIJNSC_6TensorESH_SH_EERKSH_lbbbEUlllE1_EE10hipError_tPvRmT2_T3_mT4_P12ihipStream_tbEUlmE_lEESB_NS0_8identityIvEEEESM_SP_SQ_mSR_ST_bEUlT_E_NS1_11comp_targetILNS1_3genE5ELNS1_11target_archE942ELNS1_3gpuE9ELNS1_3repE0EEENS1_30default_config_static_selectorELNS0_4arch9wavefront6targetE1EEEvT1_
	.p2align	8
	.type	_ZN7rocprim17ROCPRIM_400000_NS6detail17trampoline_kernelINS0_14default_configENS1_25transform_config_selectorIlLb0EEEZNS1_14transform_implILb0ES3_S5_NS0_18transform_iteratorINS0_17counting_iteratorImlEEZNS1_24adjacent_difference_implIS3_Lb1ELb0EPlSB_ZN2at6native12_GLOBAL__N_124unique_dim_cuda_templateIaEESt5tupleIJNSC_6TensorESH_SH_EERKSH_lbbbEUlllE1_EE10hipError_tPvRmT2_T3_mT4_P12ihipStream_tbEUlmE_lEESB_NS0_8identityIvEEEESM_SP_SQ_mSR_ST_bEUlT_E_NS1_11comp_targetILNS1_3genE5ELNS1_11target_archE942ELNS1_3gpuE9ELNS1_3repE0EEENS1_30default_config_static_selectorELNS0_4arch9wavefront6targetE1EEEvT1_,@function
_ZN7rocprim17ROCPRIM_400000_NS6detail17trampoline_kernelINS0_14default_configENS1_25transform_config_selectorIlLb0EEEZNS1_14transform_implILb0ES3_S5_NS0_18transform_iteratorINS0_17counting_iteratorImlEEZNS1_24adjacent_difference_implIS3_Lb1ELb0EPlSB_ZN2at6native12_GLOBAL__N_124unique_dim_cuda_templateIaEESt5tupleIJNSC_6TensorESH_SH_EERKSH_lbbbEUlllE1_EE10hipError_tPvRmT2_T3_mT4_P12ihipStream_tbEUlmE_lEESB_NS0_8identityIvEEEESM_SP_SQ_mSR_ST_bEUlT_E_NS1_11comp_targetILNS1_3genE5ELNS1_11target_archE942ELNS1_3gpuE9ELNS1_3repE0EEENS1_30default_config_static_selectorELNS0_4arch9wavefront6targetE1EEEvT1_: ; @_ZN7rocprim17ROCPRIM_400000_NS6detail17trampoline_kernelINS0_14default_configENS1_25transform_config_selectorIlLb0EEEZNS1_14transform_implILb0ES3_S5_NS0_18transform_iteratorINS0_17counting_iteratorImlEEZNS1_24adjacent_difference_implIS3_Lb1ELb0EPlSB_ZN2at6native12_GLOBAL__N_124unique_dim_cuda_templateIaEESt5tupleIJNSC_6TensorESH_SH_EERKSH_lbbbEUlllE1_EE10hipError_tPvRmT2_T3_mT4_P12ihipStream_tbEUlmE_lEESB_NS0_8identityIvEEEESM_SP_SQ_mSR_ST_bEUlT_E_NS1_11comp_targetILNS1_3genE5ELNS1_11target_archE942ELNS1_3gpuE9ELNS1_3repE0EEENS1_30default_config_static_selectorELNS0_4arch9wavefront6targetE1EEEvT1_
; %bb.0:
	.section	.rodata,"a",@progbits
	.p2align	6, 0x0
	.amdhsa_kernel _ZN7rocprim17ROCPRIM_400000_NS6detail17trampoline_kernelINS0_14default_configENS1_25transform_config_selectorIlLb0EEEZNS1_14transform_implILb0ES3_S5_NS0_18transform_iteratorINS0_17counting_iteratorImlEEZNS1_24adjacent_difference_implIS3_Lb1ELb0EPlSB_ZN2at6native12_GLOBAL__N_124unique_dim_cuda_templateIaEESt5tupleIJNSC_6TensorESH_SH_EERKSH_lbbbEUlllE1_EE10hipError_tPvRmT2_T3_mT4_P12ihipStream_tbEUlmE_lEESB_NS0_8identityIvEEEESM_SP_SQ_mSR_ST_bEUlT_E_NS1_11comp_targetILNS1_3genE5ELNS1_11target_archE942ELNS1_3gpuE9ELNS1_3repE0EEENS1_30default_config_static_selectorELNS0_4arch9wavefront6targetE1EEEvT1_
		.amdhsa_group_segment_fixed_size 0
		.amdhsa_private_segment_fixed_size 0
		.amdhsa_kernarg_size 56
		.amdhsa_user_sgpr_count 2
		.amdhsa_user_sgpr_dispatch_ptr 0
		.amdhsa_user_sgpr_queue_ptr 0
		.amdhsa_user_sgpr_kernarg_segment_ptr 1
		.amdhsa_user_sgpr_dispatch_id 0
		.amdhsa_user_sgpr_kernarg_preload_length 0
		.amdhsa_user_sgpr_kernarg_preload_offset 0
		.amdhsa_user_sgpr_private_segment_size 0
		.amdhsa_uses_dynamic_stack 0
		.amdhsa_enable_private_segment 0
		.amdhsa_system_sgpr_workgroup_id_x 1
		.amdhsa_system_sgpr_workgroup_id_y 0
		.amdhsa_system_sgpr_workgroup_id_z 0
		.amdhsa_system_sgpr_workgroup_info 0
		.amdhsa_system_vgpr_workitem_id 0
		.amdhsa_next_free_vgpr 1
		.amdhsa_next_free_sgpr 0
		.amdhsa_accum_offset 4
		.amdhsa_reserve_vcc 0
		.amdhsa_float_round_mode_32 0
		.amdhsa_float_round_mode_16_64 0
		.amdhsa_float_denorm_mode_32 3
		.amdhsa_float_denorm_mode_16_64 3
		.amdhsa_dx10_clamp 1
		.amdhsa_ieee_mode 1
		.amdhsa_fp16_overflow 0
		.amdhsa_tg_split 0
		.amdhsa_exception_fp_ieee_invalid_op 0
		.amdhsa_exception_fp_denorm_src 0
		.amdhsa_exception_fp_ieee_div_zero 0
		.amdhsa_exception_fp_ieee_overflow 0
		.amdhsa_exception_fp_ieee_underflow 0
		.amdhsa_exception_fp_ieee_inexact 0
		.amdhsa_exception_int_div_zero 0
	.end_amdhsa_kernel
	.section	.text._ZN7rocprim17ROCPRIM_400000_NS6detail17trampoline_kernelINS0_14default_configENS1_25transform_config_selectorIlLb0EEEZNS1_14transform_implILb0ES3_S5_NS0_18transform_iteratorINS0_17counting_iteratorImlEEZNS1_24adjacent_difference_implIS3_Lb1ELb0EPlSB_ZN2at6native12_GLOBAL__N_124unique_dim_cuda_templateIaEESt5tupleIJNSC_6TensorESH_SH_EERKSH_lbbbEUlllE1_EE10hipError_tPvRmT2_T3_mT4_P12ihipStream_tbEUlmE_lEESB_NS0_8identityIvEEEESM_SP_SQ_mSR_ST_bEUlT_E_NS1_11comp_targetILNS1_3genE5ELNS1_11target_archE942ELNS1_3gpuE9ELNS1_3repE0EEENS1_30default_config_static_selectorELNS0_4arch9wavefront6targetE1EEEvT1_,"axG",@progbits,_ZN7rocprim17ROCPRIM_400000_NS6detail17trampoline_kernelINS0_14default_configENS1_25transform_config_selectorIlLb0EEEZNS1_14transform_implILb0ES3_S5_NS0_18transform_iteratorINS0_17counting_iteratorImlEEZNS1_24adjacent_difference_implIS3_Lb1ELb0EPlSB_ZN2at6native12_GLOBAL__N_124unique_dim_cuda_templateIaEESt5tupleIJNSC_6TensorESH_SH_EERKSH_lbbbEUlllE1_EE10hipError_tPvRmT2_T3_mT4_P12ihipStream_tbEUlmE_lEESB_NS0_8identityIvEEEESM_SP_SQ_mSR_ST_bEUlT_E_NS1_11comp_targetILNS1_3genE5ELNS1_11target_archE942ELNS1_3gpuE9ELNS1_3repE0EEENS1_30default_config_static_selectorELNS0_4arch9wavefront6targetE1EEEvT1_,comdat
.Lfunc_end303:
	.size	_ZN7rocprim17ROCPRIM_400000_NS6detail17trampoline_kernelINS0_14default_configENS1_25transform_config_selectorIlLb0EEEZNS1_14transform_implILb0ES3_S5_NS0_18transform_iteratorINS0_17counting_iteratorImlEEZNS1_24adjacent_difference_implIS3_Lb1ELb0EPlSB_ZN2at6native12_GLOBAL__N_124unique_dim_cuda_templateIaEESt5tupleIJNSC_6TensorESH_SH_EERKSH_lbbbEUlllE1_EE10hipError_tPvRmT2_T3_mT4_P12ihipStream_tbEUlmE_lEESB_NS0_8identityIvEEEESM_SP_SQ_mSR_ST_bEUlT_E_NS1_11comp_targetILNS1_3genE5ELNS1_11target_archE942ELNS1_3gpuE9ELNS1_3repE0EEENS1_30default_config_static_selectorELNS0_4arch9wavefront6targetE1EEEvT1_, .Lfunc_end303-_ZN7rocprim17ROCPRIM_400000_NS6detail17trampoline_kernelINS0_14default_configENS1_25transform_config_selectorIlLb0EEEZNS1_14transform_implILb0ES3_S5_NS0_18transform_iteratorINS0_17counting_iteratorImlEEZNS1_24adjacent_difference_implIS3_Lb1ELb0EPlSB_ZN2at6native12_GLOBAL__N_124unique_dim_cuda_templateIaEESt5tupleIJNSC_6TensorESH_SH_EERKSH_lbbbEUlllE1_EE10hipError_tPvRmT2_T3_mT4_P12ihipStream_tbEUlmE_lEESB_NS0_8identityIvEEEESM_SP_SQ_mSR_ST_bEUlT_E_NS1_11comp_targetILNS1_3genE5ELNS1_11target_archE942ELNS1_3gpuE9ELNS1_3repE0EEENS1_30default_config_static_selectorELNS0_4arch9wavefront6targetE1EEEvT1_
                                        ; -- End function
	.set _ZN7rocprim17ROCPRIM_400000_NS6detail17trampoline_kernelINS0_14default_configENS1_25transform_config_selectorIlLb0EEEZNS1_14transform_implILb0ES3_S5_NS0_18transform_iteratorINS0_17counting_iteratorImlEEZNS1_24adjacent_difference_implIS3_Lb1ELb0EPlSB_ZN2at6native12_GLOBAL__N_124unique_dim_cuda_templateIaEESt5tupleIJNSC_6TensorESH_SH_EERKSH_lbbbEUlllE1_EE10hipError_tPvRmT2_T3_mT4_P12ihipStream_tbEUlmE_lEESB_NS0_8identityIvEEEESM_SP_SQ_mSR_ST_bEUlT_E_NS1_11comp_targetILNS1_3genE5ELNS1_11target_archE942ELNS1_3gpuE9ELNS1_3repE0EEENS1_30default_config_static_selectorELNS0_4arch9wavefront6targetE1EEEvT1_.num_vgpr, 0
	.set _ZN7rocprim17ROCPRIM_400000_NS6detail17trampoline_kernelINS0_14default_configENS1_25transform_config_selectorIlLb0EEEZNS1_14transform_implILb0ES3_S5_NS0_18transform_iteratorINS0_17counting_iteratorImlEEZNS1_24adjacent_difference_implIS3_Lb1ELb0EPlSB_ZN2at6native12_GLOBAL__N_124unique_dim_cuda_templateIaEESt5tupleIJNSC_6TensorESH_SH_EERKSH_lbbbEUlllE1_EE10hipError_tPvRmT2_T3_mT4_P12ihipStream_tbEUlmE_lEESB_NS0_8identityIvEEEESM_SP_SQ_mSR_ST_bEUlT_E_NS1_11comp_targetILNS1_3genE5ELNS1_11target_archE942ELNS1_3gpuE9ELNS1_3repE0EEENS1_30default_config_static_selectorELNS0_4arch9wavefront6targetE1EEEvT1_.num_agpr, 0
	.set _ZN7rocprim17ROCPRIM_400000_NS6detail17trampoline_kernelINS0_14default_configENS1_25transform_config_selectorIlLb0EEEZNS1_14transform_implILb0ES3_S5_NS0_18transform_iteratorINS0_17counting_iteratorImlEEZNS1_24adjacent_difference_implIS3_Lb1ELb0EPlSB_ZN2at6native12_GLOBAL__N_124unique_dim_cuda_templateIaEESt5tupleIJNSC_6TensorESH_SH_EERKSH_lbbbEUlllE1_EE10hipError_tPvRmT2_T3_mT4_P12ihipStream_tbEUlmE_lEESB_NS0_8identityIvEEEESM_SP_SQ_mSR_ST_bEUlT_E_NS1_11comp_targetILNS1_3genE5ELNS1_11target_archE942ELNS1_3gpuE9ELNS1_3repE0EEENS1_30default_config_static_selectorELNS0_4arch9wavefront6targetE1EEEvT1_.numbered_sgpr, 0
	.set _ZN7rocprim17ROCPRIM_400000_NS6detail17trampoline_kernelINS0_14default_configENS1_25transform_config_selectorIlLb0EEEZNS1_14transform_implILb0ES3_S5_NS0_18transform_iteratorINS0_17counting_iteratorImlEEZNS1_24adjacent_difference_implIS3_Lb1ELb0EPlSB_ZN2at6native12_GLOBAL__N_124unique_dim_cuda_templateIaEESt5tupleIJNSC_6TensorESH_SH_EERKSH_lbbbEUlllE1_EE10hipError_tPvRmT2_T3_mT4_P12ihipStream_tbEUlmE_lEESB_NS0_8identityIvEEEESM_SP_SQ_mSR_ST_bEUlT_E_NS1_11comp_targetILNS1_3genE5ELNS1_11target_archE942ELNS1_3gpuE9ELNS1_3repE0EEENS1_30default_config_static_selectorELNS0_4arch9wavefront6targetE1EEEvT1_.num_named_barrier, 0
	.set _ZN7rocprim17ROCPRIM_400000_NS6detail17trampoline_kernelINS0_14default_configENS1_25transform_config_selectorIlLb0EEEZNS1_14transform_implILb0ES3_S5_NS0_18transform_iteratorINS0_17counting_iteratorImlEEZNS1_24adjacent_difference_implIS3_Lb1ELb0EPlSB_ZN2at6native12_GLOBAL__N_124unique_dim_cuda_templateIaEESt5tupleIJNSC_6TensorESH_SH_EERKSH_lbbbEUlllE1_EE10hipError_tPvRmT2_T3_mT4_P12ihipStream_tbEUlmE_lEESB_NS0_8identityIvEEEESM_SP_SQ_mSR_ST_bEUlT_E_NS1_11comp_targetILNS1_3genE5ELNS1_11target_archE942ELNS1_3gpuE9ELNS1_3repE0EEENS1_30default_config_static_selectorELNS0_4arch9wavefront6targetE1EEEvT1_.private_seg_size, 0
	.set _ZN7rocprim17ROCPRIM_400000_NS6detail17trampoline_kernelINS0_14default_configENS1_25transform_config_selectorIlLb0EEEZNS1_14transform_implILb0ES3_S5_NS0_18transform_iteratorINS0_17counting_iteratorImlEEZNS1_24adjacent_difference_implIS3_Lb1ELb0EPlSB_ZN2at6native12_GLOBAL__N_124unique_dim_cuda_templateIaEESt5tupleIJNSC_6TensorESH_SH_EERKSH_lbbbEUlllE1_EE10hipError_tPvRmT2_T3_mT4_P12ihipStream_tbEUlmE_lEESB_NS0_8identityIvEEEESM_SP_SQ_mSR_ST_bEUlT_E_NS1_11comp_targetILNS1_3genE5ELNS1_11target_archE942ELNS1_3gpuE9ELNS1_3repE0EEENS1_30default_config_static_selectorELNS0_4arch9wavefront6targetE1EEEvT1_.uses_vcc, 0
	.set _ZN7rocprim17ROCPRIM_400000_NS6detail17trampoline_kernelINS0_14default_configENS1_25transform_config_selectorIlLb0EEEZNS1_14transform_implILb0ES3_S5_NS0_18transform_iteratorINS0_17counting_iteratorImlEEZNS1_24adjacent_difference_implIS3_Lb1ELb0EPlSB_ZN2at6native12_GLOBAL__N_124unique_dim_cuda_templateIaEESt5tupleIJNSC_6TensorESH_SH_EERKSH_lbbbEUlllE1_EE10hipError_tPvRmT2_T3_mT4_P12ihipStream_tbEUlmE_lEESB_NS0_8identityIvEEEESM_SP_SQ_mSR_ST_bEUlT_E_NS1_11comp_targetILNS1_3genE5ELNS1_11target_archE942ELNS1_3gpuE9ELNS1_3repE0EEENS1_30default_config_static_selectorELNS0_4arch9wavefront6targetE1EEEvT1_.uses_flat_scratch, 0
	.set _ZN7rocprim17ROCPRIM_400000_NS6detail17trampoline_kernelINS0_14default_configENS1_25transform_config_selectorIlLb0EEEZNS1_14transform_implILb0ES3_S5_NS0_18transform_iteratorINS0_17counting_iteratorImlEEZNS1_24adjacent_difference_implIS3_Lb1ELb0EPlSB_ZN2at6native12_GLOBAL__N_124unique_dim_cuda_templateIaEESt5tupleIJNSC_6TensorESH_SH_EERKSH_lbbbEUlllE1_EE10hipError_tPvRmT2_T3_mT4_P12ihipStream_tbEUlmE_lEESB_NS0_8identityIvEEEESM_SP_SQ_mSR_ST_bEUlT_E_NS1_11comp_targetILNS1_3genE5ELNS1_11target_archE942ELNS1_3gpuE9ELNS1_3repE0EEENS1_30default_config_static_selectorELNS0_4arch9wavefront6targetE1EEEvT1_.has_dyn_sized_stack, 0
	.set _ZN7rocprim17ROCPRIM_400000_NS6detail17trampoline_kernelINS0_14default_configENS1_25transform_config_selectorIlLb0EEEZNS1_14transform_implILb0ES3_S5_NS0_18transform_iteratorINS0_17counting_iteratorImlEEZNS1_24adjacent_difference_implIS3_Lb1ELb0EPlSB_ZN2at6native12_GLOBAL__N_124unique_dim_cuda_templateIaEESt5tupleIJNSC_6TensorESH_SH_EERKSH_lbbbEUlllE1_EE10hipError_tPvRmT2_T3_mT4_P12ihipStream_tbEUlmE_lEESB_NS0_8identityIvEEEESM_SP_SQ_mSR_ST_bEUlT_E_NS1_11comp_targetILNS1_3genE5ELNS1_11target_archE942ELNS1_3gpuE9ELNS1_3repE0EEENS1_30default_config_static_selectorELNS0_4arch9wavefront6targetE1EEEvT1_.has_recursion, 0
	.set _ZN7rocprim17ROCPRIM_400000_NS6detail17trampoline_kernelINS0_14default_configENS1_25transform_config_selectorIlLb0EEEZNS1_14transform_implILb0ES3_S5_NS0_18transform_iteratorINS0_17counting_iteratorImlEEZNS1_24adjacent_difference_implIS3_Lb1ELb0EPlSB_ZN2at6native12_GLOBAL__N_124unique_dim_cuda_templateIaEESt5tupleIJNSC_6TensorESH_SH_EERKSH_lbbbEUlllE1_EE10hipError_tPvRmT2_T3_mT4_P12ihipStream_tbEUlmE_lEESB_NS0_8identityIvEEEESM_SP_SQ_mSR_ST_bEUlT_E_NS1_11comp_targetILNS1_3genE5ELNS1_11target_archE942ELNS1_3gpuE9ELNS1_3repE0EEENS1_30default_config_static_selectorELNS0_4arch9wavefront6targetE1EEEvT1_.has_indirect_call, 0
	.section	.AMDGPU.csdata,"",@progbits
; Kernel info:
; codeLenInByte = 0
; TotalNumSgprs: 6
; NumVgprs: 0
; NumAgprs: 0
; TotalNumVgprs: 0
; ScratchSize: 0
; MemoryBound: 0
; FloatMode: 240
; IeeeMode: 1
; LDSByteSize: 0 bytes/workgroup (compile time only)
; SGPRBlocks: 0
; VGPRBlocks: 0
; NumSGPRsForWavesPerEU: 6
; NumVGPRsForWavesPerEU: 1
; AccumOffset: 4
; Occupancy: 8
; WaveLimiterHint : 0
; COMPUTE_PGM_RSRC2:SCRATCH_EN: 0
; COMPUTE_PGM_RSRC2:USER_SGPR: 2
; COMPUTE_PGM_RSRC2:TRAP_HANDLER: 0
; COMPUTE_PGM_RSRC2:TGID_X_EN: 1
; COMPUTE_PGM_RSRC2:TGID_Y_EN: 0
; COMPUTE_PGM_RSRC2:TGID_Z_EN: 0
; COMPUTE_PGM_RSRC2:TIDIG_COMP_CNT: 0
; COMPUTE_PGM_RSRC3_GFX90A:ACCUM_OFFSET: 0
; COMPUTE_PGM_RSRC3_GFX90A:TG_SPLIT: 0
	.section	.text._ZN7rocprim17ROCPRIM_400000_NS6detail17trampoline_kernelINS0_14default_configENS1_25transform_config_selectorIlLb0EEEZNS1_14transform_implILb0ES3_S5_NS0_18transform_iteratorINS0_17counting_iteratorImlEEZNS1_24adjacent_difference_implIS3_Lb1ELb0EPlSB_ZN2at6native12_GLOBAL__N_124unique_dim_cuda_templateIaEESt5tupleIJNSC_6TensorESH_SH_EERKSH_lbbbEUlllE1_EE10hipError_tPvRmT2_T3_mT4_P12ihipStream_tbEUlmE_lEESB_NS0_8identityIvEEEESM_SP_SQ_mSR_ST_bEUlT_E_NS1_11comp_targetILNS1_3genE4ELNS1_11target_archE910ELNS1_3gpuE8ELNS1_3repE0EEENS1_30default_config_static_selectorELNS0_4arch9wavefront6targetE1EEEvT1_,"axG",@progbits,_ZN7rocprim17ROCPRIM_400000_NS6detail17trampoline_kernelINS0_14default_configENS1_25transform_config_selectorIlLb0EEEZNS1_14transform_implILb0ES3_S5_NS0_18transform_iteratorINS0_17counting_iteratorImlEEZNS1_24adjacent_difference_implIS3_Lb1ELb0EPlSB_ZN2at6native12_GLOBAL__N_124unique_dim_cuda_templateIaEESt5tupleIJNSC_6TensorESH_SH_EERKSH_lbbbEUlllE1_EE10hipError_tPvRmT2_T3_mT4_P12ihipStream_tbEUlmE_lEESB_NS0_8identityIvEEEESM_SP_SQ_mSR_ST_bEUlT_E_NS1_11comp_targetILNS1_3genE4ELNS1_11target_archE910ELNS1_3gpuE8ELNS1_3repE0EEENS1_30default_config_static_selectorELNS0_4arch9wavefront6targetE1EEEvT1_,comdat
	.globl	_ZN7rocprim17ROCPRIM_400000_NS6detail17trampoline_kernelINS0_14default_configENS1_25transform_config_selectorIlLb0EEEZNS1_14transform_implILb0ES3_S5_NS0_18transform_iteratorINS0_17counting_iteratorImlEEZNS1_24adjacent_difference_implIS3_Lb1ELb0EPlSB_ZN2at6native12_GLOBAL__N_124unique_dim_cuda_templateIaEESt5tupleIJNSC_6TensorESH_SH_EERKSH_lbbbEUlllE1_EE10hipError_tPvRmT2_T3_mT4_P12ihipStream_tbEUlmE_lEESB_NS0_8identityIvEEEESM_SP_SQ_mSR_ST_bEUlT_E_NS1_11comp_targetILNS1_3genE4ELNS1_11target_archE910ELNS1_3gpuE8ELNS1_3repE0EEENS1_30default_config_static_selectorELNS0_4arch9wavefront6targetE1EEEvT1_ ; -- Begin function _ZN7rocprim17ROCPRIM_400000_NS6detail17trampoline_kernelINS0_14default_configENS1_25transform_config_selectorIlLb0EEEZNS1_14transform_implILb0ES3_S5_NS0_18transform_iteratorINS0_17counting_iteratorImlEEZNS1_24adjacent_difference_implIS3_Lb1ELb0EPlSB_ZN2at6native12_GLOBAL__N_124unique_dim_cuda_templateIaEESt5tupleIJNSC_6TensorESH_SH_EERKSH_lbbbEUlllE1_EE10hipError_tPvRmT2_T3_mT4_P12ihipStream_tbEUlmE_lEESB_NS0_8identityIvEEEESM_SP_SQ_mSR_ST_bEUlT_E_NS1_11comp_targetILNS1_3genE4ELNS1_11target_archE910ELNS1_3gpuE8ELNS1_3repE0EEENS1_30default_config_static_selectorELNS0_4arch9wavefront6targetE1EEEvT1_
	.p2align	8
	.type	_ZN7rocprim17ROCPRIM_400000_NS6detail17trampoline_kernelINS0_14default_configENS1_25transform_config_selectorIlLb0EEEZNS1_14transform_implILb0ES3_S5_NS0_18transform_iteratorINS0_17counting_iteratorImlEEZNS1_24adjacent_difference_implIS3_Lb1ELb0EPlSB_ZN2at6native12_GLOBAL__N_124unique_dim_cuda_templateIaEESt5tupleIJNSC_6TensorESH_SH_EERKSH_lbbbEUlllE1_EE10hipError_tPvRmT2_T3_mT4_P12ihipStream_tbEUlmE_lEESB_NS0_8identityIvEEEESM_SP_SQ_mSR_ST_bEUlT_E_NS1_11comp_targetILNS1_3genE4ELNS1_11target_archE910ELNS1_3gpuE8ELNS1_3repE0EEENS1_30default_config_static_selectorELNS0_4arch9wavefront6targetE1EEEvT1_,@function
_ZN7rocprim17ROCPRIM_400000_NS6detail17trampoline_kernelINS0_14default_configENS1_25transform_config_selectorIlLb0EEEZNS1_14transform_implILb0ES3_S5_NS0_18transform_iteratorINS0_17counting_iteratorImlEEZNS1_24adjacent_difference_implIS3_Lb1ELb0EPlSB_ZN2at6native12_GLOBAL__N_124unique_dim_cuda_templateIaEESt5tupleIJNSC_6TensorESH_SH_EERKSH_lbbbEUlllE1_EE10hipError_tPvRmT2_T3_mT4_P12ihipStream_tbEUlmE_lEESB_NS0_8identityIvEEEESM_SP_SQ_mSR_ST_bEUlT_E_NS1_11comp_targetILNS1_3genE4ELNS1_11target_archE910ELNS1_3gpuE8ELNS1_3repE0EEENS1_30default_config_static_selectorELNS0_4arch9wavefront6targetE1EEEvT1_: ; @_ZN7rocprim17ROCPRIM_400000_NS6detail17trampoline_kernelINS0_14default_configENS1_25transform_config_selectorIlLb0EEEZNS1_14transform_implILb0ES3_S5_NS0_18transform_iteratorINS0_17counting_iteratorImlEEZNS1_24adjacent_difference_implIS3_Lb1ELb0EPlSB_ZN2at6native12_GLOBAL__N_124unique_dim_cuda_templateIaEESt5tupleIJNSC_6TensorESH_SH_EERKSH_lbbbEUlllE1_EE10hipError_tPvRmT2_T3_mT4_P12ihipStream_tbEUlmE_lEESB_NS0_8identityIvEEEESM_SP_SQ_mSR_ST_bEUlT_E_NS1_11comp_targetILNS1_3genE4ELNS1_11target_archE910ELNS1_3gpuE8ELNS1_3repE0EEENS1_30default_config_static_selectorELNS0_4arch9wavefront6targetE1EEEvT1_
; %bb.0:
	.section	.rodata,"a",@progbits
	.p2align	6, 0x0
	.amdhsa_kernel _ZN7rocprim17ROCPRIM_400000_NS6detail17trampoline_kernelINS0_14default_configENS1_25transform_config_selectorIlLb0EEEZNS1_14transform_implILb0ES3_S5_NS0_18transform_iteratorINS0_17counting_iteratorImlEEZNS1_24adjacent_difference_implIS3_Lb1ELb0EPlSB_ZN2at6native12_GLOBAL__N_124unique_dim_cuda_templateIaEESt5tupleIJNSC_6TensorESH_SH_EERKSH_lbbbEUlllE1_EE10hipError_tPvRmT2_T3_mT4_P12ihipStream_tbEUlmE_lEESB_NS0_8identityIvEEEESM_SP_SQ_mSR_ST_bEUlT_E_NS1_11comp_targetILNS1_3genE4ELNS1_11target_archE910ELNS1_3gpuE8ELNS1_3repE0EEENS1_30default_config_static_selectorELNS0_4arch9wavefront6targetE1EEEvT1_
		.amdhsa_group_segment_fixed_size 0
		.amdhsa_private_segment_fixed_size 0
		.amdhsa_kernarg_size 56
		.amdhsa_user_sgpr_count 2
		.amdhsa_user_sgpr_dispatch_ptr 0
		.amdhsa_user_sgpr_queue_ptr 0
		.amdhsa_user_sgpr_kernarg_segment_ptr 1
		.amdhsa_user_sgpr_dispatch_id 0
		.amdhsa_user_sgpr_kernarg_preload_length 0
		.amdhsa_user_sgpr_kernarg_preload_offset 0
		.amdhsa_user_sgpr_private_segment_size 0
		.amdhsa_uses_dynamic_stack 0
		.amdhsa_enable_private_segment 0
		.amdhsa_system_sgpr_workgroup_id_x 1
		.amdhsa_system_sgpr_workgroup_id_y 0
		.amdhsa_system_sgpr_workgroup_id_z 0
		.amdhsa_system_sgpr_workgroup_info 0
		.amdhsa_system_vgpr_workitem_id 0
		.amdhsa_next_free_vgpr 1
		.amdhsa_next_free_sgpr 0
		.amdhsa_accum_offset 4
		.amdhsa_reserve_vcc 0
		.amdhsa_float_round_mode_32 0
		.amdhsa_float_round_mode_16_64 0
		.amdhsa_float_denorm_mode_32 3
		.amdhsa_float_denorm_mode_16_64 3
		.amdhsa_dx10_clamp 1
		.amdhsa_ieee_mode 1
		.amdhsa_fp16_overflow 0
		.amdhsa_tg_split 0
		.amdhsa_exception_fp_ieee_invalid_op 0
		.amdhsa_exception_fp_denorm_src 0
		.amdhsa_exception_fp_ieee_div_zero 0
		.amdhsa_exception_fp_ieee_overflow 0
		.amdhsa_exception_fp_ieee_underflow 0
		.amdhsa_exception_fp_ieee_inexact 0
		.amdhsa_exception_int_div_zero 0
	.end_amdhsa_kernel
	.section	.text._ZN7rocprim17ROCPRIM_400000_NS6detail17trampoline_kernelINS0_14default_configENS1_25transform_config_selectorIlLb0EEEZNS1_14transform_implILb0ES3_S5_NS0_18transform_iteratorINS0_17counting_iteratorImlEEZNS1_24adjacent_difference_implIS3_Lb1ELb0EPlSB_ZN2at6native12_GLOBAL__N_124unique_dim_cuda_templateIaEESt5tupleIJNSC_6TensorESH_SH_EERKSH_lbbbEUlllE1_EE10hipError_tPvRmT2_T3_mT4_P12ihipStream_tbEUlmE_lEESB_NS0_8identityIvEEEESM_SP_SQ_mSR_ST_bEUlT_E_NS1_11comp_targetILNS1_3genE4ELNS1_11target_archE910ELNS1_3gpuE8ELNS1_3repE0EEENS1_30default_config_static_selectorELNS0_4arch9wavefront6targetE1EEEvT1_,"axG",@progbits,_ZN7rocprim17ROCPRIM_400000_NS6detail17trampoline_kernelINS0_14default_configENS1_25transform_config_selectorIlLb0EEEZNS1_14transform_implILb0ES3_S5_NS0_18transform_iteratorINS0_17counting_iteratorImlEEZNS1_24adjacent_difference_implIS3_Lb1ELb0EPlSB_ZN2at6native12_GLOBAL__N_124unique_dim_cuda_templateIaEESt5tupleIJNSC_6TensorESH_SH_EERKSH_lbbbEUlllE1_EE10hipError_tPvRmT2_T3_mT4_P12ihipStream_tbEUlmE_lEESB_NS0_8identityIvEEEESM_SP_SQ_mSR_ST_bEUlT_E_NS1_11comp_targetILNS1_3genE4ELNS1_11target_archE910ELNS1_3gpuE8ELNS1_3repE0EEENS1_30default_config_static_selectorELNS0_4arch9wavefront6targetE1EEEvT1_,comdat
.Lfunc_end304:
	.size	_ZN7rocprim17ROCPRIM_400000_NS6detail17trampoline_kernelINS0_14default_configENS1_25transform_config_selectorIlLb0EEEZNS1_14transform_implILb0ES3_S5_NS0_18transform_iteratorINS0_17counting_iteratorImlEEZNS1_24adjacent_difference_implIS3_Lb1ELb0EPlSB_ZN2at6native12_GLOBAL__N_124unique_dim_cuda_templateIaEESt5tupleIJNSC_6TensorESH_SH_EERKSH_lbbbEUlllE1_EE10hipError_tPvRmT2_T3_mT4_P12ihipStream_tbEUlmE_lEESB_NS0_8identityIvEEEESM_SP_SQ_mSR_ST_bEUlT_E_NS1_11comp_targetILNS1_3genE4ELNS1_11target_archE910ELNS1_3gpuE8ELNS1_3repE0EEENS1_30default_config_static_selectorELNS0_4arch9wavefront6targetE1EEEvT1_, .Lfunc_end304-_ZN7rocprim17ROCPRIM_400000_NS6detail17trampoline_kernelINS0_14default_configENS1_25transform_config_selectorIlLb0EEEZNS1_14transform_implILb0ES3_S5_NS0_18transform_iteratorINS0_17counting_iteratorImlEEZNS1_24adjacent_difference_implIS3_Lb1ELb0EPlSB_ZN2at6native12_GLOBAL__N_124unique_dim_cuda_templateIaEESt5tupleIJNSC_6TensorESH_SH_EERKSH_lbbbEUlllE1_EE10hipError_tPvRmT2_T3_mT4_P12ihipStream_tbEUlmE_lEESB_NS0_8identityIvEEEESM_SP_SQ_mSR_ST_bEUlT_E_NS1_11comp_targetILNS1_3genE4ELNS1_11target_archE910ELNS1_3gpuE8ELNS1_3repE0EEENS1_30default_config_static_selectorELNS0_4arch9wavefront6targetE1EEEvT1_
                                        ; -- End function
	.set _ZN7rocprim17ROCPRIM_400000_NS6detail17trampoline_kernelINS0_14default_configENS1_25transform_config_selectorIlLb0EEEZNS1_14transform_implILb0ES3_S5_NS0_18transform_iteratorINS0_17counting_iteratorImlEEZNS1_24adjacent_difference_implIS3_Lb1ELb0EPlSB_ZN2at6native12_GLOBAL__N_124unique_dim_cuda_templateIaEESt5tupleIJNSC_6TensorESH_SH_EERKSH_lbbbEUlllE1_EE10hipError_tPvRmT2_T3_mT4_P12ihipStream_tbEUlmE_lEESB_NS0_8identityIvEEEESM_SP_SQ_mSR_ST_bEUlT_E_NS1_11comp_targetILNS1_3genE4ELNS1_11target_archE910ELNS1_3gpuE8ELNS1_3repE0EEENS1_30default_config_static_selectorELNS0_4arch9wavefront6targetE1EEEvT1_.num_vgpr, 0
	.set _ZN7rocprim17ROCPRIM_400000_NS6detail17trampoline_kernelINS0_14default_configENS1_25transform_config_selectorIlLb0EEEZNS1_14transform_implILb0ES3_S5_NS0_18transform_iteratorINS0_17counting_iteratorImlEEZNS1_24adjacent_difference_implIS3_Lb1ELb0EPlSB_ZN2at6native12_GLOBAL__N_124unique_dim_cuda_templateIaEESt5tupleIJNSC_6TensorESH_SH_EERKSH_lbbbEUlllE1_EE10hipError_tPvRmT2_T3_mT4_P12ihipStream_tbEUlmE_lEESB_NS0_8identityIvEEEESM_SP_SQ_mSR_ST_bEUlT_E_NS1_11comp_targetILNS1_3genE4ELNS1_11target_archE910ELNS1_3gpuE8ELNS1_3repE0EEENS1_30default_config_static_selectorELNS0_4arch9wavefront6targetE1EEEvT1_.num_agpr, 0
	.set _ZN7rocprim17ROCPRIM_400000_NS6detail17trampoline_kernelINS0_14default_configENS1_25transform_config_selectorIlLb0EEEZNS1_14transform_implILb0ES3_S5_NS0_18transform_iteratorINS0_17counting_iteratorImlEEZNS1_24adjacent_difference_implIS3_Lb1ELb0EPlSB_ZN2at6native12_GLOBAL__N_124unique_dim_cuda_templateIaEESt5tupleIJNSC_6TensorESH_SH_EERKSH_lbbbEUlllE1_EE10hipError_tPvRmT2_T3_mT4_P12ihipStream_tbEUlmE_lEESB_NS0_8identityIvEEEESM_SP_SQ_mSR_ST_bEUlT_E_NS1_11comp_targetILNS1_3genE4ELNS1_11target_archE910ELNS1_3gpuE8ELNS1_3repE0EEENS1_30default_config_static_selectorELNS0_4arch9wavefront6targetE1EEEvT1_.numbered_sgpr, 0
	.set _ZN7rocprim17ROCPRIM_400000_NS6detail17trampoline_kernelINS0_14default_configENS1_25transform_config_selectorIlLb0EEEZNS1_14transform_implILb0ES3_S5_NS0_18transform_iteratorINS0_17counting_iteratorImlEEZNS1_24adjacent_difference_implIS3_Lb1ELb0EPlSB_ZN2at6native12_GLOBAL__N_124unique_dim_cuda_templateIaEESt5tupleIJNSC_6TensorESH_SH_EERKSH_lbbbEUlllE1_EE10hipError_tPvRmT2_T3_mT4_P12ihipStream_tbEUlmE_lEESB_NS0_8identityIvEEEESM_SP_SQ_mSR_ST_bEUlT_E_NS1_11comp_targetILNS1_3genE4ELNS1_11target_archE910ELNS1_3gpuE8ELNS1_3repE0EEENS1_30default_config_static_selectorELNS0_4arch9wavefront6targetE1EEEvT1_.num_named_barrier, 0
	.set _ZN7rocprim17ROCPRIM_400000_NS6detail17trampoline_kernelINS0_14default_configENS1_25transform_config_selectorIlLb0EEEZNS1_14transform_implILb0ES3_S5_NS0_18transform_iteratorINS0_17counting_iteratorImlEEZNS1_24adjacent_difference_implIS3_Lb1ELb0EPlSB_ZN2at6native12_GLOBAL__N_124unique_dim_cuda_templateIaEESt5tupleIJNSC_6TensorESH_SH_EERKSH_lbbbEUlllE1_EE10hipError_tPvRmT2_T3_mT4_P12ihipStream_tbEUlmE_lEESB_NS0_8identityIvEEEESM_SP_SQ_mSR_ST_bEUlT_E_NS1_11comp_targetILNS1_3genE4ELNS1_11target_archE910ELNS1_3gpuE8ELNS1_3repE0EEENS1_30default_config_static_selectorELNS0_4arch9wavefront6targetE1EEEvT1_.private_seg_size, 0
	.set _ZN7rocprim17ROCPRIM_400000_NS6detail17trampoline_kernelINS0_14default_configENS1_25transform_config_selectorIlLb0EEEZNS1_14transform_implILb0ES3_S5_NS0_18transform_iteratorINS0_17counting_iteratorImlEEZNS1_24adjacent_difference_implIS3_Lb1ELb0EPlSB_ZN2at6native12_GLOBAL__N_124unique_dim_cuda_templateIaEESt5tupleIJNSC_6TensorESH_SH_EERKSH_lbbbEUlllE1_EE10hipError_tPvRmT2_T3_mT4_P12ihipStream_tbEUlmE_lEESB_NS0_8identityIvEEEESM_SP_SQ_mSR_ST_bEUlT_E_NS1_11comp_targetILNS1_3genE4ELNS1_11target_archE910ELNS1_3gpuE8ELNS1_3repE0EEENS1_30default_config_static_selectorELNS0_4arch9wavefront6targetE1EEEvT1_.uses_vcc, 0
	.set _ZN7rocprim17ROCPRIM_400000_NS6detail17trampoline_kernelINS0_14default_configENS1_25transform_config_selectorIlLb0EEEZNS1_14transform_implILb0ES3_S5_NS0_18transform_iteratorINS0_17counting_iteratorImlEEZNS1_24adjacent_difference_implIS3_Lb1ELb0EPlSB_ZN2at6native12_GLOBAL__N_124unique_dim_cuda_templateIaEESt5tupleIJNSC_6TensorESH_SH_EERKSH_lbbbEUlllE1_EE10hipError_tPvRmT2_T3_mT4_P12ihipStream_tbEUlmE_lEESB_NS0_8identityIvEEEESM_SP_SQ_mSR_ST_bEUlT_E_NS1_11comp_targetILNS1_3genE4ELNS1_11target_archE910ELNS1_3gpuE8ELNS1_3repE0EEENS1_30default_config_static_selectorELNS0_4arch9wavefront6targetE1EEEvT1_.uses_flat_scratch, 0
	.set _ZN7rocprim17ROCPRIM_400000_NS6detail17trampoline_kernelINS0_14default_configENS1_25transform_config_selectorIlLb0EEEZNS1_14transform_implILb0ES3_S5_NS0_18transform_iteratorINS0_17counting_iteratorImlEEZNS1_24adjacent_difference_implIS3_Lb1ELb0EPlSB_ZN2at6native12_GLOBAL__N_124unique_dim_cuda_templateIaEESt5tupleIJNSC_6TensorESH_SH_EERKSH_lbbbEUlllE1_EE10hipError_tPvRmT2_T3_mT4_P12ihipStream_tbEUlmE_lEESB_NS0_8identityIvEEEESM_SP_SQ_mSR_ST_bEUlT_E_NS1_11comp_targetILNS1_3genE4ELNS1_11target_archE910ELNS1_3gpuE8ELNS1_3repE0EEENS1_30default_config_static_selectorELNS0_4arch9wavefront6targetE1EEEvT1_.has_dyn_sized_stack, 0
	.set _ZN7rocprim17ROCPRIM_400000_NS6detail17trampoline_kernelINS0_14default_configENS1_25transform_config_selectorIlLb0EEEZNS1_14transform_implILb0ES3_S5_NS0_18transform_iteratorINS0_17counting_iteratorImlEEZNS1_24adjacent_difference_implIS3_Lb1ELb0EPlSB_ZN2at6native12_GLOBAL__N_124unique_dim_cuda_templateIaEESt5tupleIJNSC_6TensorESH_SH_EERKSH_lbbbEUlllE1_EE10hipError_tPvRmT2_T3_mT4_P12ihipStream_tbEUlmE_lEESB_NS0_8identityIvEEEESM_SP_SQ_mSR_ST_bEUlT_E_NS1_11comp_targetILNS1_3genE4ELNS1_11target_archE910ELNS1_3gpuE8ELNS1_3repE0EEENS1_30default_config_static_selectorELNS0_4arch9wavefront6targetE1EEEvT1_.has_recursion, 0
	.set _ZN7rocprim17ROCPRIM_400000_NS6detail17trampoline_kernelINS0_14default_configENS1_25transform_config_selectorIlLb0EEEZNS1_14transform_implILb0ES3_S5_NS0_18transform_iteratorINS0_17counting_iteratorImlEEZNS1_24adjacent_difference_implIS3_Lb1ELb0EPlSB_ZN2at6native12_GLOBAL__N_124unique_dim_cuda_templateIaEESt5tupleIJNSC_6TensorESH_SH_EERKSH_lbbbEUlllE1_EE10hipError_tPvRmT2_T3_mT4_P12ihipStream_tbEUlmE_lEESB_NS0_8identityIvEEEESM_SP_SQ_mSR_ST_bEUlT_E_NS1_11comp_targetILNS1_3genE4ELNS1_11target_archE910ELNS1_3gpuE8ELNS1_3repE0EEENS1_30default_config_static_selectorELNS0_4arch9wavefront6targetE1EEEvT1_.has_indirect_call, 0
	.section	.AMDGPU.csdata,"",@progbits
; Kernel info:
; codeLenInByte = 0
; TotalNumSgprs: 6
; NumVgprs: 0
; NumAgprs: 0
; TotalNumVgprs: 0
; ScratchSize: 0
; MemoryBound: 0
; FloatMode: 240
; IeeeMode: 1
; LDSByteSize: 0 bytes/workgroup (compile time only)
; SGPRBlocks: 0
; VGPRBlocks: 0
; NumSGPRsForWavesPerEU: 6
; NumVGPRsForWavesPerEU: 1
; AccumOffset: 4
; Occupancy: 8
; WaveLimiterHint : 0
; COMPUTE_PGM_RSRC2:SCRATCH_EN: 0
; COMPUTE_PGM_RSRC2:USER_SGPR: 2
; COMPUTE_PGM_RSRC2:TRAP_HANDLER: 0
; COMPUTE_PGM_RSRC2:TGID_X_EN: 1
; COMPUTE_PGM_RSRC2:TGID_Y_EN: 0
; COMPUTE_PGM_RSRC2:TGID_Z_EN: 0
; COMPUTE_PGM_RSRC2:TIDIG_COMP_CNT: 0
; COMPUTE_PGM_RSRC3_GFX90A:ACCUM_OFFSET: 0
; COMPUTE_PGM_RSRC3_GFX90A:TG_SPLIT: 0
	.section	.text._ZN7rocprim17ROCPRIM_400000_NS6detail17trampoline_kernelINS0_14default_configENS1_25transform_config_selectorIlLb0EEEZNS1_14transform_implILb0ES3_S5_NS0_18transform_iteratorINS0_17counting_iteratorImlEEZNS1_24adjacent_difference_implIS3_Lb1ELb0EPlSB_ZN2at6native12_GLOBAL__N_124unique_dim_cuda_templateIaEESt5tupleIJNSC_6TensorESH_SH_EERKSH_lbbbEUlllE1_EE10hipError_tPvRmT2_T3_mT4_P12ihipStream_tbEUlmE_lEESB_NS0_8identityIvEEEESM_SP_SQ_mSR_ST_bEUlT_E_NS1_11comp_targetILNS1_3genE3ELNS1_11target_archE908ELNS1_3gpuE7ELNS1_3repE0EEENS1_30default_config_static_selectorELNS0_4arch9wavefront6targetE1EEEvT1_,"axG",@progbits,_ZN7rocprim17ROCPRIM_400000_NS6detail17trampoline_kernelINS0_14default_configENS1_25transform_config_selectorIlLb0EEEZNS1_14transform_implILb0ES3_S5_NS0_18transform_iteratorINS0_17counting_iteratorImlEEZNS1_24adjacent_difference_implIS3_Lb1ELb0EPlSB_ZN2at6native12_GLOBAL__N_124unique_dim_cuda_templateIaEESt5tupleIJNSC_6TensorESH_SH_EERKSH_lbbbEUlllE1_EE10hipError_tPvRmT2_T3_mT4_P12ihipStream_tbEUlmE_lEESB_NS0_8identityIvEEEESM_SP_SQ_mSR_ST_bEUlT_E_NS1_11comp_targetILNS1_3genE3ELNS1_11target_archE908ELNS1_3gpuE7ELNS1_3repE0EEENS1_30default_config_static_selectorELNS0_4arch9wavefront6targetE1EEEvT1_,comdat
	.globl	_ZN7rocprim17ROCPRIM_400000_NS6detail17trampoline_kernelINS0_14default_configENS1_25transform_config_selectorIlLb0EEEZNS1_14transform_implILb0ES3_S5_NS0_18transform_iteratorINS0_17counting_iteratorImlEEZNS1_24adjacent_difference_implIS3_Lb1ELb0EPlSB_ZN2at6native12_GLOBAL__N_124unique_dim_cuda_templateIaEESt5tupleIJNSC_6TensorESH_SH_EERKSH_lbbbEUlllE1_EE10hipError_tPvRmT2_T3_mT4_P12ihipStream_tbEUlmE_lEESB_NS0_8identityIvEEEESM_SP_SQ_mSR_ST_bEUlT_E_NS1_11comp_targetILNS1_3genE3ELNS1_11target_archE908ELNS1_3gpuE7ELNS1_3repE0EEENS1_30default_config_static_selectorELNS0_4arch9wavefront6targetE1EEEvT1_ ; -- Begin function _ZN7rocprim17ROCPRIM_400000_NS6detail17trampoline_kernelINS0_14default_configENS1_25transform_config_selectorIlLb0EEEZNS1_14transform_implILb0ES3_S5_NS0_18transform_iteratorINS0_17counting_iteratorImlEEZNS1_24adjacent_difference_implIS3_Lb1ELb0EPlSB_ZN2at6native12_GLOBAL__N_124unique_dim_cuda_templateIaEESt5tupleIJNSC_6TensorESH_SH_EERKSH_lbbbEUlllE1_EE10hipError_tPvRmT2_T3_mT4_P12ihipStream_tbEUlmE_lEESB_NS0_8identityIvEEEESM_SP_SQ_mSR_ST_bEUlT_E_NS1_11comp_targetILNS1_3genE3ELNS1_11target_archE908ELNS1_3gpuE7ELNS1_3repE0EEENS1_30default_config_static_selectorELNS0_4arch9wavefront6targetE1EEEvT1_
	.p2align	8
	.type	_ZN7rocprim17ROCPRIM_400000_NS6detail17trampoline_kernelINS0_14default_configENS1_25transform_config_selectorIlLb0EEEZNS1_14transform_implILb0ES3_S5_NS0_18transform_iteratorINS0_17counting_iteratorImlEEZNS1_24adjacent_difference_implIS3_Lb1ELb0EPlSB_ZN2at6native12_GLOBAL__N_124unique_dim_cuda_templateIaEESt5tupleIJNSC_6TensorESH_SH_EERKSH_lbbbEUlllE1_EE10hipError_tPvRmT2_T3_mT4_P12ihipStream_tbEUlmE_lEESB_NS0_8identityIvEEEESM_SP_SQ_mSR_ST_bEUlT_E_NS1_11comp_targetILNS1_3genE3ELNS1_11target_archE908ELNS1_3gpuE7ELNS1_3repE0EEENS1_30default_config_static_selectorELNS0_4arch9wavefront6targetE1EEEvT1_,@function
_ZN7rocprim17ROCPRIM_400000_NS6detail17trampoline_kernelINS0_14default_configENS1_25transform_config_selectorIlLb0EEEZNS1_14transform_implILb0ES3_S5_NS0_18transform_iteratorINS0_17counting_iteratorImlEEZNS1_24adjacent_difference_implIS3_Lb1ELb0EPlSB_ZN2at6native12_GLOBAL__N_124unique_dim_cuda_templateIaEESt5tupleIJNSC_6TensorESH_SH_EERKSH_lbbbEUlllE1_EE10hipError_tPvRmT2_T3_mT4_P12ihipStream_tbEUlmE_lEESB_NS0_8identityIvEEEESM_SP_SQ_mSR_ST_bEUlT_E_NS1_11comp_targetILNS1_3genE3ELNS1_11target_archE908ELNS1_3gpuE7ELNS1_3repE0EEENS1_30default_config_static_selectorELNS0_4arch9wavefront6targetE1EEEvT1_: ; @_ZN7rocprim17ROCPRIM_400000_NS6detail17trampoline_kernelINS0_14default_configENS1_25transform_config_selectorIlLb0EEEZNS1_14transform_implILb0ES3_S5_NS0_18transform_iteratorINS0_17counting_iteratorImlEEZNS1_24adjacent_difference_implIS3_Lb1ELb0EPlSB_ZN2at6native12_GLOBAL__N_124unique_dim_cuda_templateIaEESt5tupleIJNSC_6TensorESH_SH_EERKSH_lbbbEUlllE1_EE10hipError_tPvRmT2_T3_mT4_P12ihipStream_tbEUlmE_lEESB_NS0_8identityIvEEEESM_SP_SQ_mSR_ST_bEUlT_E_NS1_11comp_targetILNS1_3genE3ELNS1_11target_archE908ELNS1_3gpuE7ELNS1_3repE0EEENS1_30default_config_static_selectorELNS0_4arch9wavefront6targetE1EEEvT1_
; %bb.0:
	.section	.rodata,"a",@progbits
	.p2align	6, 0x0
	.amdhsa_kernel _ZN7rocprim17ROCPRIM_400000_NS6detail17trampoline_kernelINS0_14default_configENS1_25transform_config_selectorIlLb0EEEZNS1_14transform_implILb0ES3_S5_NS0_18transform_iteratorINS0_17counting_iteratorImlEEZNS1_24adjacent_difference_implIS3_Lb1ELb0EPlSB_ZN2at6native12_GLOBAL__N_124unique_dim_cuda_templateIaEESt5tupleIJNSC_6TensorESH_SH_EERKSH_lbbbEUlllE1_EE10hipError_tPvRmT2_T3_mT4_P12ihipStream_tbEUlmE_lEESB_NS0_8identityIvEEEESM_SP_SQ_mSR_ST_bEUlT_E_NS1_11comp_targetILNS1_3genE3ELNS1_11target_archE908ELNS1_3gpuE7ELNS1_3repE0EEENS1_30default_config_static_selectorELNS0_4arch9wavefront6targetE1EEEvT1_
		.amdhsa_group_segment_fixed_size 0
		.amdhsa_private_segment_fixed_size 0
		.amdhsa_kernarg_size 56
		.amdhsa_user_sgpr_count 2
		.amdhsa_user_sgpr_dispatch_ptr 0
		.amdhsa_user_sgpr_queue_ptr 0
		.amdhsa_user_sgpr_kernarg_segment_ptr 1
		.amdhsa_user_sgpr_dispatch_id 0
		.amdhsa_user_sgpr_kernarg_preload_length 0
		.amdhsa_user_sgpr_kernarg_preload_offset 0
		.amdhsa_user_sgpr_private_segment_size 0
		.amdhsa_uses_dynamic_stack 0
		.amdhsa_enable_private_segment 0
		.amdhsa_system_sgpr_workgroup_id_x 1
		.amdhsa_system_sgpr_workgroup_id_y 0
		.amdhsa_system_sgpr_workgroup_id_z 0
		.amdhsa_system_sgpr_workgroup_info 0
		.amdhsa_system_vgpr_workitem_id 0
		.amdhsa_next_free_vgpr 1
		.amdhsa_next_free_sgpr 0
		.amdhsa_accum_offset 4
		.amdhsa_reserve_vcc 0
		.amdhsa_float_round_mode_32 0
		.amdhsa_float_round_mode_16_64 0
		.amdhsa_float_denorm_mode_32 3
		.amdhsa_float_denorm_mode_16_64 3
		.amdhsa_dx10_clamp 1
		.amdhsa_ieee_mode 1
		.amdhsa_fp16_overflow 0
		.amdhsa_tg_split 0
		.amdhsa_exception_fp_ieee_invalid_op 0
		.amdhsa_exception_fp_denorm_src 0
		.amdhsa_exception_fp_ieee_div_zero 0
		.amdhsa_exception_fp_ieee_overflow 0
		.amdhsa_exception_fp_ieee_underflow 0
		.amdhsa_exception_fp_ieee_inexact 0
		.amdhsa_exception_int_div_zero 0
	.end_amdhsa_kernel
	.section	.text._ZN7rocprim17ROCPRIM_400000_NS6detail17trampoline_kernelINS0_14default_configENS1_25transform_config_selectorIlLb0EEEZNS1_14transform_implILb0ES3_S5_NS0_18transform_iteratorINS0_17counting_iteratorImlEEZNS1_24adjacent_difference_implIS3_Lb1ELb0EPlSB_ZN2at6native12_GLOBAL__N_124unique_dim_cuda_templateIaEESt5tupleIJNSC_6TensorESH_SH_EERKSH_lbbbEUlllE1_EE10hipError_tPvRmT2_T3_mT4_P12ihipStream_tbEUlmE_lEESB_NS0_8identityIvEEEESM_SP_SQ_mSR_ST_bEUlT_E_NS1_11comp_targetILNS1_3genE3ELNS1_11target_archE908ELNS1_3gpuE7ELNS1_3repE0EEENS1_30default_config_static_selectorELNS0_4arch9wavefront6targetE1EEEvT1_,"axG",@progbits,_ZN7rocprim17ROCPRIM_400000_NS6detail17trampoline_kernelINS0_14default_configENS1_25transform_config_selectorIlLb0EEEZNS1_14transform_implILb0ES3_S5_NS0_18transform_iteratorINS0_17counting_iteratorImlEEZNS1_24adjacent_difference_implIS3_Lb1ELb0EPlSB_ZN2at6native12_GLOBAL__N_124unique_dim_cuda_templateIaEESt5tupleIJNSC_6TensorESH_SH_EERKSH_lbbbEUlllE1_EE10hipError_tPvRmT2_T3_mT4_P12ihipStream_tbEUlmE_lEESB_NS0_8identityIvEEEESM_SP_SQ_mSR_ST_bEUlT_E_NS1_11comp_targetILNS1_3genE3ELNS1_11target_archE908ELNS1_3gpuE7ELNS1_3repE0EEENS1_30default_config_static_selectorELNS0_4arch9wavefront6targetE1EEEvT1_,comdat
.Lfunc_end305:
	.size	_ZN7rocprim17ROCPRIM_400000_NS6detail17trampoline_kernelINS0_14default_configENS1_25transform_config_selectorIlLb0EEEZNS1_14transform_implILb0ES3_S5_NS0_18transform_iteratorINS0_17counting_iteratorImlEEZNS1_24adjacent_difference_implIS3_Lb1ELb0EPlSB_ZN2at6native12_GLOBAL__N_124unique_dim_cuda_templateIaEESt5tupleIJNSC_6TensorESH_SH_EERKSH_lbbbEUlllE1_EE10hipError_tPvRmT2_T3_mT4_P12ihipStream_tbEUlmE_lEESB_NS0_8identityIvEEEESM_SP_SQ_mSR_ST_bEUlT_E_NS1_11comp_targetILNS1_3genE3ELNS1_11target_archE908ELNS1_3gpuE7ELNS1_3repE0EEENS1_30default_config_static_selectorELNS0_4arch9wavefront6targetE1EEEvT1_, .Lfunc_end305-_ZN7rocprim17ROCPRIM_400000_NS6detail17trampoline_kernelINS0_14default_configENS1_25transform_config_selectorIlLb0EEEZNS1_14transform_implILb0ES3_S5_NS0_18transform_iteratorINS0_17counting_iteratorImlEEZNS1_24adjacent_difference_implIS3_Lb1ELb0EPlSB_ZN2at6native12_GLOBAL__N_124unique_dim_cuda_templateIaEESt5tupleIJNSC_6TensorESH_SH_EERKSH_lbbbEUlllE1_EE10hipError_tPvRmT2_T3_mT4_P12ihipStream_tbEUlmE_lEESB_NS0_8identityIvEEEESM_SP_SQ_mSR_ST_bEUlT_E_NS1_11comp_targetILNS1_3genE3ELNS1_11target_archE908ELNS1_3gpuE7ELNS1_3repE0EEENS1_30default_config_static_selectorELNS0_4arch9wavefront6targetE1EEEvT1_
                                        ; -- End function
	.set _ZN7rocprim17ROCPRIM_400000_NS6detail17trampoline_kernelINS0_14default_configENS1_25transform_config_selectorIlLb0EEEZNS1_14transform_implILb0ES3_S5_NS0_18transform_iteratorINS0_17counting_iteratorImlEEZNS1_24adjacent_difference_implIS3_Lb1ELb0EPlSB_ZN2at6native12_GLOBAL__N_124unique_dim_cuda_templateIaEESt5tupleIJNSC_6TensorESH_SH_EERKSH_lbbbEUlllE1_EE10hipError_tPvRmT2_T3_mT4_P12ihipStream_tbEUlmE_lEESB_NS0_8identityIvEEEESM_SP_SQ_mSR_ST_bEUlT_E_NS1_11comp_targetILNS1_3genE3ELNS1_11target_archE908ELNS1_3gpuE7ELNS1_3repE0EEENS1_30default_config_static_selectorELNS0_4arch9wavefront6targetE1EEEvT1_.num_vgpr, 0
	.set _ZN7rocprim17ROCPRIM_400000_NS6detail17trampoline_kernelINS0_14default_configENS1_25transform_config_selectorIlLb0EEEZNS1_14transform_implILb0ES3_S5_NS0_18transform_iteratorINS0_17counting_iteratorImlEEZNS1_24adjacent_difference_implIS3_Lb1ELb0EPlSB_ZN2at6native12_GLOBAL__N_124unique_dim_cuda_templateIaEESt5tupleIJNSC_6TensorESH_SH_EERKSH_lbbbEUlllE1_EE10hipError_tPvRmT2_T3_mT4_P12ihipStream_tbEUlmE_lEESB_NS0_8identityIvEEEESM_SP_SQ_mSR_ST_bEUlT_E_NS1_11comp_targetILNS1_3genE3ELNS1_11target_archE908ELNS1_3gpuE7ELNS1_3repE0EEENS1_30default_config_static_selectorELNS0_4arch9wavefront6targetE1EEEvT1_.num_agpr, 0
	.set _ZN7rocprim17ROCPRIM_400000_NS6detail17trampoline_kernelINS0_14default_configENS1_25transform_config_selectorIlLb0EEEZNS1_14transform_implILb0ES3_S5_NS0_18transform_iteratorINS0_17counting_iteratorImlEEZNS1_24adjacent_difference_implIS3_Lb1ELb0EPlSB_ZN2at6native12_GLOBAL__N_124unique_dim_cuda_templateIaEESt5tupleIJNSC_6TensorESH_SH_EERKSH_lbbbEUlllE1_EE10hipError_tPvRmT2_T3_mT4_P12ihipStream_tbEUlmE_lEESB_NS0_8identityIvEEEESM_SP_SQ_mSR_ST_bEUlT_E_NS1_11comp_targetILNS1_3genE3ELNS1_11target_archE908ELNS1_3gpuE7ELNS1_3repE0EEENS1_30default_config_static_selectorELNS0_4arch9wavefront6targetE1EEEvT1_.numbered_sgpr, 0
	.set _ZN7rocprim17ROCPRIM_400000_NS6detail17trampoline_kernelINS0_14default_configENS1_25transform_config_selectorIlLb0EEEZNS1_14transform_implILb0ES3_S5_NS0_18transform_iteratorINS0_17counting_iteratorImlEEZNS1_24adjacent_difference_implIS3_Lb1ELb0EPlSB_ZN2at6native12_GLOBAL__N_124unique_dim_cuda_templateIaEESt5tupleIJNSC_6TensorESH_SH_EERKSH_lbbbEUlllE1_EE10hipError_tPvRmT2_T3_mT4_P12ihipStream_tbEUlmE_lEESB_NS0_8identityIvEEEESM_SP_SQ_mSR_ST_bEUlT_E_NS1_11comp_targetILNS1_3genE3ELNS1_11target_archE908ELNS1_3gpuE7ELNS1_3repE0EEENS1_30default_config_static_selectorELNS0_4arch9wavefront6targetE1EEEvT1_.num_named_barrier, 0
	.set _ZN7rocprim17ROCPRIM_400000_NS6detail17trampoline_kernelINS0_14default_configENS1_25transform_config_selectorIlLb0EEEZNS1_14transform_implILb0ES3_S5_NS0_18transform_iteratorINS0_17counting_iteratorImlEEZNS1_24adjacent_difference_implIS3_Lb1ELb0EPlSB_ZN2at6native12_GLOBAL__N_124unique_dim_cuda_templateIaEESt5tupleIJNSC_6TensorESH_SH_EERKSH_lbbbEUlllE1_EE10hipError_tPvRmT2_T3_mT4_P12ihipStream_tbEUlmE_lEESB_NS0_8identityIvEEEESM_SP_SQ_mSR_ST_bEUlT_E_NS1_11comp_targetILNS1_3genE3ELNS1_11target_archE908ELNS1_3gpuE7ELNS1_3repE0EEENS1_30default_config_static_selectorELNS0_4arch9wavefront6targetE1EEEvT1_.private_seg_size, 0
	.set _ZN7rocprim17ROCPRIM_400000_NS6detail17trampoline_kernelINS0_14default_configENS1_25transform_config_selectorIlLb0EEEZNS1_14transform_implILb0ES3_S5_NS0_18transform_iteratorINS0_17counting_iteratorImlEEZNS1_24adjacent_difference_implIS3_Lb1ELb0EPlSB_ZN2at6native12_GLOBAL__N_124unique_dim_cuda_templateIaEESt5tupleIJNSC_6TensorESH_SH_EERKSH_lbbbEUlllE1_EE10hipError_tPvRmT2_T3_mT4_P12ihipStream_tbEUlmE_lEESB_NS0_8identityIvEEEESM_SP_SQ_mSR_ST_bEUlT_E_NS1_11comp_targetILNS1_3genE3ELNS1_11target_archE908ELNS1_3gpuE7ELNS1_3repE0EEENS1_30default_config_static_selectorELNS0_4arch9wavefront6targetE1EEEvT1_.uses_vcc, 0
	.set _ZN7rocprim17ROCPRIM_400000_NS6detail17trampoline_kernelINS0_14default_configENS1_25transform_config_selectorIlLb0EEEZNS1_14transform_implILb0ES3_S5_NS0_18transform_iteratorINS0_17counting_iteratorImlEEZNS1_24adjacent_difference_implIS3_Lb1ELb0EPlSB_ZN2at6native12_GLOBAL__N_124unique_dim_cuda_templateIaEESt5tupleIJNSC_6TensorESH_SH_EERKSH_lbbbEUlllE1_EE10hipError_tPvRmT2_T3_mT4_P12ihipStream_tbEUlmE_lEESB_NS0_8identityIvEEEESM_SP_SQ_mSR_ST_bEUlT_E_NS1_11comp_targetILNS1_3genE3ELNS1_11target_archE908ELNS1_3gpuE7ELNS1_3repE0EEENS1_30default_config_static_selectorELNS0_4arch9wavefront6targetE1EEEvT1_.uses_flat_scratch, 0
	.set _ZN7rocprim17ROCPRIM_400000_NS6detail17trampoline_kernelINS0_14default_configENS1_25transform_config_selectorIlLb0EEEZNS1_14transform_implILb0ES3_S5_NS0_18transform_iteratorINS0_17counting_iteratorImlEEZNS1_24adjacent_difference_implIS3_Lb1ELb0EPlSB_ZN2at6native12_GLOBAL__N_124unique_dim_cuda_templateIaEESt5tupleIJNSC_6TensorESH_SH_EERKSH_lbbbEUlllE1_EE10hipError_tPvRmT2_T3_mT4_P12ihipStream_tbEUlmE_lEESB_NS0_8identityIvEEEESM_SP_SQ_mSR_ST_bEUlT_E_NS1_11comp_targetILNS1_3genE3ELNS1_11target_archE908ELNS1_3gpuE7ELNS1_3repE0EEENS1_30default_config_static_selectorELNS0_4arch9wavefront6targetE1EEEvT1_.has_dyn_sized_stack, 0
	.set _ZN7rocprim17ROCPRIM_400000_NS6detail17trampoline_kernelINS0_14default_configENS1_25transform_config_selectorIlLb0EEEZNS1_14transform_implILb0ES3_S5_NS0_18transform_iteratorINS0_17counting_iteratorImlEEZNS1_24adjacent_difference_implIS3_Lb1ELb0EPlSB_ZN2at6native12_GLOBAL__N_124unique_dim_cuda_templateIaEESt5tupleIJNSC_6TensorESH_SH_EERKSH_lbbbEUlllE1_EE10hipError_tPvRmT2_T3_mT4_P12ihipStream_tbEUlmE_lEESB_NS0_8identityIvEEEESM_SP_SQ_mSR_ST_bEUlT_E_NS1_11comp_targetILNS1_3genE3ELNS1_11target_archE908ELNS1_3gpuE7ELNS1_3repE0EEENS1_30default_config_static_selectorELNS0_4arch9wavefront6targetE1EEEvT1_.has_recursion, 0
	.set _ZN7rocprim17ROCPRIM_400000_NS6detail17trampoline_kernelINS0_14default_configENS1_25transform_config_selectorIlLb0EEEZNS1_14transform_implILb0ES3_S5_NS0_18transform_iteratorINS0_17counting_iteratorImlEEZNS1_24adjacent_difference_implIS3_Lb1ELb0EPlSB_ZN2at6native12_GLOBAL__N_124unique_dim_cuda_templateIaEESt5tupleIJNSC_6TensorESH_SH_EERKSH_lbbbEUlllE1_EE10hipError_tPvRmT2_T3_mT4_P12ihipStream_tbEUlmE_lEESB_NS0_8identityIvEEEESM_SP_SQ_mSR_ST_bEUlT_E_NS1_11comp_targetILNS1_3genE3ELNS1_11target_archE908ELNS1_3gpuE7ELNS1_3repE0EEENS1_30default_config_static_selectorELNS0_4arch9wavefront6targetE1EEEvT1_.has_indirect_call, 0
	.section	.AMDGPU.csdata,"",@progbits
; Kernel info:
; codeLenInByte = 0
; TotalNumSgprs: 6
; NumVgprs: 0
; NumAgprs: 0
; TotalNumVgprs: 0
; ScratchSize: 0
; MemoryBound: 0
; FloatMode: 240
; IeeeMode: 1
; LDSByteSize: 0 bytes/workgroup (compile time only)
; SGPRBlocks: 0
; VGPRBlocks: 0
; NumSGPRsForWavesPerEU: 6
; NumVGPRsForWavesPerEU: 1
; AccumOffset: 4
; Occupancy: 8
; WaveLimiterHint : 0
; COMPUTE_PGM_RSRC2:SCRATCH_EN: 0
; COMPUTE_PGM_RSRC2:USER_SGPR: 2
; COMPUTE_PGM_RSRC2:TRAP_HANDLER: 0
; COMPUTE_PGM_RSRC2:TGID_X_EN: 1
; COMPUTE_PGM_RSRC2:TGID_Y_EN: 0
; COMPUTE_PGM_RSRC2:TGID_Z_EN: 0
; COMPUTE_PGM_RSRC2:TIDIG_COMP_CNT: 0
; COMPUTE_PGM_RSRC3_GFX90A:ACCUM_OFFSET: 0
; COMPUTE_PGM_RSRC3_GFX90A:TG_SPLIT: 0
	.section	.text._ZN7rocprim17ROCPRIM_400000_NS6detail17trampoline_kernelINS0_14default_configENS1_25transform_config_selectorIlLb0EEEZNS1_14transform_implILb0ES3_S5_NS0_18transform_iteratorINS0_17counting_iteratorImlEEZNS1_24adjacent_difference_implIS3_Lb1ELb0EPlSB_ZN2at6native12_GLOBAL__N_124unique_dim_cuda_templateIaEESt5tupleIJNSC_6TensorESH_SH_EERKSH_lbbbEUlllE1_EE10hipError_tPvRmT2_T3_mT4_P12ihipStream_tbEUlmE_lEESB_NS0_8identityIvEEEESM_SP_SQ_mSR_ST_bEUlT_E_NS1_11comp_targetILNS1_3genE2ELNS1_11target_archE906ELNS1_3gpuE6ELNS1_3repE0EEENS1_30default_config_static_selectorELNS0_4arch9wavefront6targetE1EEEvT1_,"axG",@progbits,_ZN7rocprim17ROCPRIM_400000_NS6detail17trampoline_kernelINS0_14default_configENS1_25transform_config_selectorIlLb0EEEZNS1_14transform_implILb0ES3_S5_NS0_18transform_iteratorINS0_17counting_iteratorImlEEZNS1_24adjacent_difference_implIS3_Lb1ELb0EPlSB_ZN2at6native12_GLOBAL__N_124unique_dim_cuda_templateIaEESt5tupleIJNSC_6TensorESH_SH_EERKSH_lbbbEUlllE1_EE10hipError_tPvRmT2_T3_mT4_P12ihipStream_tbEUlmE_lEESB_NS0_8identityIvEEEESM_SP_SQ_mSR_ST_bEUlT_E_NS1_11comp_targetILNS1_3genE2ELNS1_11target_archE906ELNS1_3gpuE6ELNS1_3repE0EEENS1_30default_config_static_selectorELNS0_4arch9wavefront6targetE1EEEvT1_,comdat
	.globl	_ZN7rocprim17ROCPRIM_400000_NS6detail17trampoline_kernelINS0_14default_configENS1_25transform_config_selectorIlLb0EEEZNS1_14transform_implILb0ES3_S5_NS0_18transform_iteratorINS0_17counting_iteratorImlEEZNS1_24adjacent_difference_implIS3_Lb1ELb0EPlSB_ZN2at6native12_GLOBAL__N_124unique_dim_cuda_templateIaEESt5tupleIJNSC_6TensorESH_SH_EERKSH_lbbbEUlllE1_EE10hipError_tPvRmT2_T3_mT4_P12ihipStream_tbEUlmE_lEESB_NS0_8identityIvEEEESM_SP_SQ_mSR_ST_bEUlT_E_NS1_11comp_targetILNS1_3genE2ELNS1_11target_archE906ELNS1_3gpuE6ELNS1_3repE0EEENS1_30default_config_static_selectorELNS0_4arch9wavefront6targetE1EEEvT1_ ; -- Begin function _ZN7rocprim17ROCPRIM_400000_NS6detail17trampoline_kernelINS0_14default_configENS1_25transform_config_selectorIlLb0EEEZNS1_14transform_implILb0ES3_S5_NS0_18transform_iteratorINS0_17counting_iteratorImlEEZNS1_24adjacent_difference_implIS3_Lb1ELb0EPlSB_ZN2at6native12_GLOBAL__N_124unique_dim_cuda_templateIaEESt5tupleIJNSC_6TensorESH_SH_EERKSH_lbbbEUlllE1_EE10hipError_tPvRmT2_T3_mT4_P12ihipStream_tbEUlmE_lEESB_NS0_8identityIvEEEESM_SP_SQ_mSR_ST_bEUlT_E_NS1_11comp_targetILNS1_3genE2ELNS1_11target_archE906ELNS1_3gpuE6ELNS1_3repE0EEENS1_30default_config_static_selectorELNS0_4arch9wavefront6targetE1EEEvT1_
	.p2align	8
	.type	_ZN7rocprim17ROCPRIM_400000_NS6detail17trampoline_kernelINS0_14default_configENS1_25transform_config_selectorIlLb0EEEZNS1_14transform_implILb0ES3_S5_NS0_18transform_iteratorINS0_17counting_iteratorImlEEZNS1_24adjacent_difference_implIS3_Lb1ELb0EPlSB_ZN2at6native12_GLOBAL__N_124unique_dim_cuda_templateIaEESt5tupleIJNSC_6TensorESH_SH_EERKSH_lbbbEUlllE1_EE10hipError_tPvRmT2_T3_mT4_P12ihipStream_tbEUlmE_lEESB_NS0_8identityIvEEEESM_SP_SQ_mSR_ST_bEUlT_E_NS1_11comp_targetILNS1_3genE2ELNS1_11target_archE906ELNS1_3gpuE6ELNS1_3repE0EEENS1_30default_config_static_selectorELNS0_4arch9wavefront6targetE1EEEvT1_,@function
_ZN7rocprim17ROCPRIM_400000_NS6detail17trampoline_kernelINS0_14default_configENS1_25transform_config_selectorIlLb0EEEZNS1_14transform_implILb0ES3_S5_NS0_18transform_iteratorINS0_17counting_iteratorImlEEZNS1_24adjacent_difference_implIS3_Lb1ELb0EPlSB_ZN2at6native12_GLOBAL__N_124unique_dim_cuda_templateIaEESt5tupleIJNSC_6TensorESH_SH_EERKSH_lbbbEUlllE1_EE10hipError_tPvRmT2_T3_mT4_P12ihipStream_tbEUlmE_lEESB_NS0_8identityIvEEEESM_SP_SQ_mSR_ST_bEUlT_E_NS1_11comp_targetILNS1_3genE2ELNS1_11target_archE906ELNS1_3gpuE6ELNS1_3repE0EEENS1_30default_config_static_selectorELNS0_4arch9wavefront6targetE1EEEvT1_: ; @_ZN7rocprim17ROCPRIM_400000_NS6detail17trampoline_kernelINS0_14default_configENS1_25transform_config_selectorIlLb0EEEZNS1_14transform_implILb0ES3_S5_NS0_18transform_iteratorINS0_17counting_iteratorImlEEZNS1_24adjacent_difference_implIS3_Lb1ELb0EPlSB_ZN2at6native12_GLOBAL__N_124unique_dim_cuda_templateIaEESt5tupleIJNSC_6TensorESH_SH_EERKSH_lbbbEUlllE1_EE10hipError_tPvRmT2_T3_mT4_P12ihipStream_tbEUlmE_lEESB_NS0_8identityIvEEEESM_SP_SQ_mSR_ST_bEUlT_E_NS1_11comp_targetILNS1_3genE2ELNS1_11target_archE906ELNS1_3gpuE6ELNS1_3repE0EEENS1_30default_config_static_selectorELNS0_4arch9wavefront6targetE1EEEvT1_
; %bb.0:
	.section	.rodata,"a",@progbits
	.p2align	6, 0x0
	.amdhsa_kernel _ZN7rocprim17ROCPRIM_400000_NS6detail17trampoline_kernelINS0_14default_configENS1_25transform_config_selectorIlLb0EEEZNS1_14transform_implILb0ES3_S5_NS0_18transform_iteratorINS0_17counting_iteratorImlEEZNS1_24adjacent_difference_implIS3_Lb1ELb0EPlSB_ZN2at6native12_GLOBAL__N_124unique_dim_cuda_templateIaEESt5tupleIJNSC_6TensorESH_SH_EERKSH_lbbbEUlllE1_EE10hipError_tPvRmT2_T3_mT4_P12ihipStream_tbEUlmE_lEESB_NS0_8identityIvEEEESM_SP_SQ_mSR_ST_bEUlT_E_NS1_11comp_targetILNS1_3genE2ELNS1_11target_archE906ELNS1_3gpuE6ELNS1_3repE0EEENS1_30default_config_static_selectorELNS0_4arch9wavefront6targetE1EEEvT1_
		.amdhsa_group_segment_fixed_size 0
		.amdhsa_private_segment_fixed_size 0
		.amdhsa_kernarg_size 56
		.amdhsa_user_sgpr_count 2
		.amdhsa_user_sgpr_dispatch_ptr 0
		.amdhsa_user_sgpr_queue_ptr 0
		.amdhsa_user_sgpr_kernarg_segment_ptr 1
		.amdhsa_user_sgpr_dispatch_id 0
		.amdhsa_user_sgpr_kernarg_preload_length 0
		.amdhsa_user_sgpr_kernarg_preload_offset 0
		.amdhsa_user_sgpr_private_segment_size 0
		.amdhsa_uses_dynamic_stack 0
		.amdhsa_enable_private_segment 0
		.amdhsa_system_sgpr_workgroup_id_x 1
		.amdhsa_system_sgpr_workgroup_id_y 0
		.amdhsa_system_sgpr_workgroup_id_z 0
		.amdhsa_system_sgpr_workgroup_info 0
		.amdhsa_system_vgpr_workitem_id 0
		.amdhsa_next_free_vgpr 1
		.amdhsa_next_free_sgpr 0
		.amdhsa_accum_offset 4
		.amdhsa_reserve_vcc 0
		.amdhsa_float_round_mode_32 0
		.amdhsa_float_round_mode_16_64 0
		.amdhsa_float_denorm_mode_32 3
		.amdhsa_float_denorm_mode_16_64 3
		.amdhsa_dx10_clamp 1
		.amdhsa_ieee_mode 1
		.amdhsa_fp16_overflow 0
		.amdhsa_tg_split 0
		.amdhsa_exception_fp_ieee_invalid_op 0
		.amdhsa_exception_fp_denorm_src 0
		.amdhsa_exception_fp_ieee_div_zero 0
		.amdhsa_exception_fp_ieee_overflow 0
		.amdhsa_exception_fp_ieee_underflow 0
		.amdhsa_exception_fp_ieee_inexact 0
		.amdhsa_exception_int_div_zero 0
	.end_amdhsa_kernel
	.section	.text._ZN7rocprim17ROCPRIM_400000_NS6detail17trampoline_kernelINS0_14default_configENS1_25transform_config_selectorIlLb0EEEZNS1_14transform_implILb0ES3_S5_NS0_18transform_iteratorINS0_17counting_iteratorImlEEZNS1_24adjacent_difference_implIS3_Lb1ELb0EPlSB_ZN2at6native12_GLOBAL__N_124unique_dim_cuda_templateIaEESt5tupleIJNSC_6TensorESH_SH_EERKSH_lbbbEUlllE1_EE10hipError_tPvRmT2_T3_mT4_P12ihipStream_tbEUlmE_lEESB_NS0_8identityIvEEEESM_SP_SQ_mSR_ST_bEUlT_E_NS1_11comp_targetILNS1_3genE2ELNS1_11target_archE906ELNS1_3gpuE6ELNS1_3repE0EEENS1_30default_config_static_selectorELNS0_4arch9wavefront6targetE1EEEvT1_,"axG",@progbits,_ZN7rocprim17ROCPRIM_400000_NS6detail17trampoline_kernelINS0_14default_configENS1_25transform_config_selectorIlLb0EEEZNS1_14transform_implILb0ES3_S5_NS0_18transform_iteratorINS0_17counting_iteratorImlEEZNS1_24adjacent_difference_implIS3_Lb1ELb0EPlSB_ZN2at6native12_GLOBAL__N_124unique_dim_cuda_templateIaEESt5tupleIJNSC_6TensorESH_SH_EERKSH_lbbbEUlllE1_EE10hipError_tPvRmT2_T3_mT4_P12ihipStream_tbEUlmE_lEESB_NS0_8identityIvEEEESM_SP_SQ_mSR_ST_bEUlT_E_NS1_11comp_targetILNS1_3genE2ELNS1_11target_archE906ELNS1_3gpuE6ELNS1_3repE0EEENS1_30default_config_static_selectorELNS0_4arch9wavefront6targetE1EEEvT1_,comdat
.Lfunc_end306:
	.size	_ZN7rocprim17ROCPRIM_400000_NS6detail17trampoline_kernelINS0_14default_configENS1_25transform_config_selectorIlLb0EEEZNS1_14transform_implILb0ES3_S5_NS0_18transform_iteratorINS0_17counting_iteratorImlEEZNS1_24adjacent_difference_implIS3_Lb1ELb0EPlSB_ZN2at6native12_GLOBAL__N_124unique_dim_cuda_templateIaEESt5tupleIJNSC_6TensorESH_SH_EERKSH_lbbbEUlllE1_EE10hipError_tPvRmT2_T3_mT4_P12ihipStream_tbEUlmE_lEESB_NS0_8identityIvEEEESM_SP_SQ_mSR_ST_bEUlT_E_NS1_11comp_targetILNS1_3genE2ELNS1_11target_archE906ELNS1_3gpuE6ELNS1_3repE0EEENS1_30default_config_static_selectorELNS0_4arch9wavefront6targetE1EEEvT1_, .Lfunc_end306-_ZN7rocprim17ROCPRIM_400000_NS6detail17trampoline_kernelINS0_14default_configENS1_25transform_config_selectorIlLb0EEEZNS1_14transform_implILb0ES3_S5_NS0_18transform_iteratorINS0_17counting_iteratorImlEEZNS1_24adjacent_difference_implIS3_Lb1ELb0EPlSB_ZN2at6native12_GLOBAL__N_124unique_dim_cuda_templateIaEESt5tupleIJNSC_6TensorESH_SH_EERKSH_lbbbEUlllE1_EE10hipError_tPvRmT2_T3_mT4_P12ihipStream_tbEUlmE_lEESB_NS0_8identityIvEEEESM_SP_SQ_mSR_ST_bEUlT_E_NS1_11comp_targetILNS1_3genE2ELNS1_11target_archE906ELNS1_3gpuE6ELNS1_3repE0EEENS1_30default_config_static_selectorELNS0_4arch9wavefront6targetE1EEEvT1_
                                        ; -- End function
	.set _ZN7rocprim17ROCPRIM_400000_NS6detail17trampoline_kernelINS0_14default_configENS1_25transform_config_selectorIlLb0EEEZNS1_14transform_implILb0ES3_S5_NS0_18transform_iteratorINS0_17counting_iteratorImlEEZNS1_24adjacent_difference_implIS3_Lb1ELb0EPlSB_ZN2at6native12_GLOBAL__N_124unique_dim_cuda_templateIaEESt5tupleIJNSC_6TensorESH_SH_EERKSH_lbbbEUlllE1_EE10hipError_tPvRmT2_T3_mT4_P12ihipStream_tbEUlmE_lEESB_NS0_8identityIvEEEESM_SP_SQ_mSR_ST_bEUlT_E_NS1_11comp_targetILNS1_3genE2ELNS1_11target_archE906ELNS1_3gpuE6ELNS1_3repE0EEENS1_30default_config_static_selectorELNS0_4arch9wavefront6targetE1EEEvT1_.num_vgpr, 0
	.set _ZN7rocprim17ROCPRIM_400000_NS6detail17trampoline_kernelINS0_14default_configENS1_25transform_config_selectorIlLb0EEEZNS1_14transform_implILb0ES3_S5_NS0_18transform_iteratorINS0_17counting_iteratorImlEEZNS1_24adjacent_difference_implIS3_Lb1ELb0EPlSB_ZN2at6native12_GLOBAL__N_124unique_dim_cuda_templateIaEESt5tupleIJNSC_6TensorESH_SH_EERKSH_lbbbEUlllE1_EE10hipError_tPvRmT2_T3_mT4_P12ihipStream_tbEUlmE_lEESB_NS0_8identityIvEEEESM_SP_SQ_mSR_ST_bEUlT_E_NS1_11comp_targetILNS1_3genE2ELNS1_11target_archE906ELNS1_3gpuE6ELNS1_3repE0EEENS1_30default_config_static_selectorELNS0_4arch9wavefront6targetE1EEEvT1_.num_agpr, 0
	.set _ZN7rocprim17ROCPRIM_400000_NS6detail17trampoline_kernelINS0_14default_configENS1_25transform_config_selectorIlLb0EEEZNS1_14transform_implILb0ES3_S5_NS0_18transform_iteratorINS0_17counting_iteratorImlEEZNS1_24adjacent_difference_implIS3_Lb1ELb0EPlSB_ZN2at6native12_GLOBAL__N_124unique_dim_cuda_templateIaEESt5tupleIJNSC_6TensorESH_SH_EERKSH_lbbbEUlllE1_EE10hipError_tPvRmT2_T3_mT4_P12ihipStream_tbEUlmE_lEESB_NS0_8identityIvEEEESM_SP_SQ_mSR_ST_bEUlT_E_NS1_11comp_targetILNS1_3genE2ELNS1_11target_archE906ELNS1_3gpuE6ELNS1_3repE0EEENS1_30default_config_static_selectorELNS0_4arch9wavefront6targetE1EEEvT1_.numbered_sgpr, 0
	.set _ZN7rocprim17ROCPRIM_400000_NS6detail17trampoline_kernelINS0_14default_configENS1_25transform_config_selectorIlLb0EEEZNS1_14transform_implILb0ES3_S5_NS0_18transform_iteratorINS0_17counting_iteratorImlEEZNS1_24adjacent_difference_implIS3_Lb1ELb0EPlSB_ZN2at6native12_GLOBAL__N_124unique_dim_cuda_templateIaEESt5tupleIJNSC_6TensorESH_SH_EERKSH_lbbbEUlllE1_EE10hipError_tPvRmT2_T3_mT4_P12ihipStream_tbEUlmE_lEESB_NS0_8identityIvEEEESM_SP_SQ_mSR_ST_bEUlT_E_NS1_11comp_targetILNS1_3genE2ELNS1_11target_archE906ELNS1_3gpuE6ELNS1_3repE0EEENS1_30default_config_static_selectorELNS0_4arch9wavefront6targetE1EEEvT1_.num_named_barrier, 0
	.set _ZN7rocprim17ROCPRIM_400000_NS6detail17trampoline_kernelINS0_14default_configENS1_25transform_config_selectorIlLb0EEEZNS1_14transform_implILb0ES3_S5_NS0_18transform_iteratorINS0_17counting_iteratorImlEEZNS1_24adjacent_difference_implIS3_Lb1ELb0EPlSB_ZN2at6native12_GLOBAL__N_124unique_dim_cuda_templateIaEESt5tupleIJNSC_6TensorESH_SH_EERKSH_lbbbEUlllE1_EE10hipError_tPvRmT2_T3_mT4_P12ihipStream_tbEUlmE_lEESB_NS0_8identityIvEEEESM_SP_SQ_mSR_ST_bEUlT_E_NS1_11comp_targetILNS1_3genE2ELNS1_11target_archE906ELNS1_3gpuE6ELNS1_3repE0EEENS1_30default_config_static_selectorELNS0_4arch9wavefront6targetE1EEEvT1_.private_seg_size, 0
	.set _ZN7rocprim17ROCPRIM_400000_NS6detail17trampoline_kernelINS0_14default_configENS1_25transform_config_selectorIlLb0EEEZNS1_14transform_implILb0ES3_S5_NS0_18transform_iteratorINS0_17counting_iteratorImlEEZNS1_24adjacent_difference_implIS3_Lb1ELb0EPlSB_ZN2at6native12_GLOBAL__N_124unique_dim_cuda_templateIaEESt5tupleIJNSC_6TensorESH_SH_EERKSH_lbbbEUlllE1_EE10hipError_tPvRmT2_T3_mT4_P12ihipStream_tbEUlmE_lEESB_NS0_8identityIvEEEESM_SP_SQ_mSR_ST_bEUlT_E_NS1_11comp_targetILNS1_3genE2ELNS1_11target_archE906ELNS1_3gpuE6ELNS1_3repE0EEENS1_30default_config_static_selectorELNS0_4arch9wavefront6targetE1EEEvT1_.uses_vcc, 0
	.set _ZN7rocprim17ROCPRIM_400000_NS6detail17trampoline_kernelINS0_14default_configENS1_25transform_config_selectorIlLb0EEEZNS1_14transform_implILb0ES3_S5_NS0_18transform_iteratorINS0_17counting_iteratorImlEEZNS1_24adjacent_difference_implIS3_Lb1ELb0EPlSB_ZN2at6native12_GLOBAL__N_124unique_dim_cuda_templateIaEESt5tupleIJNSC_6TensorESH_SH_EERKSH_lbbbEUlllE1_EE10hipError_tPvRmT2_T3_mT4_P12ihipStream_tbEUlmE_lEESB_NS0_8identityIvEEEESM_SP_SQ_mSR_ST_bEUlT_E_NS1_11comp_targetILNS1_3genE2ELNS1_11target_archE906ELNS1_3gpuE6ELNS1_3repE0EEENS1_30default_config_static_selectorELNS0_4arch9wavefront6targetE1EEEvT1_.uses_flat_scratch, 0
	.set _ZN7rocprim17ROCPRIM_400000_NS6detail17trampoline_kernelINS0_14default_configENS1_25transform_config_selectorIlLb0EEEZNS1_14transform_implILb0ES3_S5_NS0_18transform_iteratorINS0_17counting_iteratorImlEEZNS1_24adjacent_difference_implIS3_Lb1ELb0EPlSB_ZN2at6native12_GLOBAL__N_124unique_dim_cuda_templateIaEESt5tupleIJNSC_6TensorESH_SH_EERKSH_lbbbEUlllE1_EE10hipError_tPvRmT2_T3_mT4_P12ihipStream_tbEUlmE_lEESB_NS0_8identityIvEEEESM_SP_SQ_mSR_ST_bEUlT_E_NS1_11comp_targetILNS1_3genE2ELNS1_11target_archE906ELNS1_3gpuE6ELNS1_3repE0EEENS1_30default_config_static_selectorELNS0_4arch9wavefront6targetE1EEEvT1_.has_dyn_sized_stack, 0
	.set _ZN7rocprim17ROCPRIM_400000_NS6detail17trampoline_kernelINS0_14default_configENS1_25transform_config_selectorIlLb0EEEZNS1_14transform_implILb0ES3_S5_NS0_18transform_iteratorINS0_17counting_iteratorImlEEZNS1_24adjacent_difference_implIS3_Lb1ELb0EPlSB_ZN2at6native12_GLOBAL__N_124unique_dim_cuda_templateIaEESt5tupleIJNSC_6TensorESH_SH_EERKSH_lbbbEUlllE1_EE10hipError_tPvRmT2_T3_mT4_P12ihipStream_tbEUlmE_lEESB_NS0_8identityIvEEEESM_SP_SQ_mSR_ST_bEUlT_E_NS1_11comp_targetILNS1_3genE2ELNS1_11target_archE906ELNS1_3gpuE6ELNS1_3repE0EEENS1_30default_config_static_selectorELNS0_4arch9wavefront6targetE1EEEvT1_.has_recursion, 0
	.set _ZN7rocprim17ROCPRIM_400000_NS6detail17trampoline_kernelINS0_14default_configENS1_25transform_config_selectorIlLb0EEEZNS1_14transform_implILb0ES3_S5_NS0_18transform_iteratorINS0_17counting_iteratorImlEEZNS1_24adjacent_difference_implIS3_Lb1ELb0EPlSB_ZN2at6native12_GLOBAL__N_124unique_dim_cuda_templateIaEESt5tupleIJNSC_6TensorESH_SH_EERKSH_lbbbEUlllE1_EE10hipError_tPvRmT2_T3_mT4_P12ihipStream_tbEUlmE_lEESB_NS0_8identityIvEEEESM_SP_SQ_mSR_ST_bEUlT_E_NS1_11comp_targetILNS1_3genE2ELNS1_11target_archE906ELNS1_3gpuE6ELNS1_3repE0EEENS1_30default_config_static_selectorELNS0_4arch9wavefront6targetE1EEEvT1_.has_indirect_call, 0
	.section	.AMDGPU.csdata,"",@progbits
; Kernel info:
; codeLenInByte = 0
; TotalNumSgprs: 6
; NumVgprs: 0
; NumAgprs: 0
; TotalNumVgprs: 0
; ScratchSize: 0
; MemoryBound: 0
; FloatMode: 240
; IeeeMode: 1
; LDSByteSize: 0 bytes/workgroup (compile time only)
; SGPRBlocks: 0
; VGPRBlocks: 0
; NumSGPRsForWavesPerEU: 6
; NumVGPRsForWavesPerEU: 1
; AccumOffset: 4
; Occupancy: 8
; WaveLimiterHint : 0
; COMPUTE_PGM_RSRC2:SCRATCH_EN: 0
; COMPUTE_PGM_RSRC2:USER_SGPR: 2
; COMPUTE_PGM_RSRC2:TRAP_HANDLER: 0
; COMPUTE_PGM_RSRC2:TGID_X_EN: 1
; COMPUTE_PGM_RSRC2:TGID_Y_EN: 0
; COMPUTE_PGM_RSRC2:TGID_Z_EN: 0
; COMPUTE_PGM_RSRC2:TIDIG_COMP_CNT: 0
; COMPUTE_PGM_RSRC3_GFX90A:ACCUM_OFFSET: 0
; COMPUTE_PGM_RSRC3_GFX90A:TG_SPLIT: 0
	.section	.text._ZN7rocprim17ROCPRIM_400000_NS6detail17trampoline_kernelINS0_14default_configENS1_25transform_config_selectorIlLb0EEEZNS1_14transform_implILb0ES3_S5_NS0_18transform_iteratorINS0_17counting_iteratorImlEEZNS1_24adjacent_difference_implIS3_Lb1ELb0EPlSB_ZN2at6native12_GLOBAL__N_124unique_dim_cuda_templateIaEESt5tupleIJNSC_6TensorESH_SH_EERKSH_lbbbEUlllE1_EE10hipError_tPvRmT2_T3_mT4_P12ihipStream_tbEUlmE_lEESB_NS0_8identityIvEEEESM_SP_SQ_mSR_ST_bEUlT_E_NS1_11comp_targetILNS1_3genE10ELNS1_11target_archE1201ELNS1_3gpuE5ELNS1_3repE0EEENS1_30default_config_static_selectorELNS0_4arch9wavefront6targetE1EEEvT1_,"axG",@progbits,_ZN7rocprim17ROCPRIM_400000_NS6detail17trampoline_kernelINS0_14default_configENS1_25transform_config_selectorIlLb0EEEZNS1_14transform_implILb0ES3_S5_NS0_18transform_iteratorINS0_17counting_iteratorImlEEZNS1_24adjacent_difference_implIS3_Lb1ELb0EPlSB_ZN2at6native12_GLOBAL__N_124unique_dim_cuda_templateIaEESt5tupleIJNSC_6TensorESH_SH_EERKSH_lbbbEUlllE1_EE10hipError_tPvRmT2_T3_mT4_P12ihipStream_tbEUlmE_lEESB_NS0_8identityIvEEEESM_SP_SQ_mSR_ST_bEUlT_E_NS1_11comp_targetILNS1_3genE10ELNS1_11target_archE1201ELNS1_3gpuE5ELNS1_3repE0EEENS1_30default_config_static_selectorELNS0_4arch9wavefront6targetE1EEEvT1_,comdat
	.globl	_ZN7rocprim17ROCPRIM_400000_NS6detail17trampoline_kernelINS0_14default_configENS1_25transform_config_selectorIlLb0EEEZNS1_14transform_implILb0ES3_S5_NS0_18transform_iteratorINS0_17counting_iteratorImlEEZNS1_24adjacent_difference_implIS3_Lb1ELb0EPlSB_ZN2at6native12_GLOBAL__N_124unique_dim_cuda_templateIaEESt5tupleIJNSC_6TensorESH_SH_EERKSH_lbbbEUlllE1_EE10hipError_tPvRmT2_T3_mT4_P12ihipStream_tbEUlmE_lEESB_NS0_8identityIvEEEESM_SP_SQ_mSR_ST_bEUlT_E_NS1_11comp_targetILNS1_3genE10ELNS1_11target_archE1201ELNS1_3gpuE5ELNS1_3repE0EEENS1_30default_config_static_selectorELNS0_4arch9wavefront6targetE1EEEvT1_ ; -- Begin function _ZN7rocprim17ROCPRIM_400000_NS6detail17trampoline_kernelINS0_14default_configENS1_25transform_config_selectorIlLb0EEEZNS1_14transform_implILb0ES3_S5_NS0_18transform_iteratorINS0_17counting_iteratorImlEEZNS1_24adjacent_difference_implIS3_Lb1ELb0EPlSB_ZN2at6native12_GLOBAL__N_124unique_dim_cuda_templateIaEESt5tupleIJNSC_6TensorESH_SH_EERKSH_lbbbEUlllE1_EE10hipError_tPvRmT2_T3_mT4_P12ihipStream_tbEUlmE_lEESB_NS0_8identityIvEEEESM_SP_SQ_mSR_ST_bEUlT_E_NS1_11comp_targetILNS1_3genE10ELNS1_11target_archE1201ELNS1_3gpuE5ELNS1_3repE0EEENS1_30default_config_static_selectorELNS0_4arch9wavefront6targetE1EEEvT1_
	.p2align	8
	.type	_ZN7rocprim17ROCPRIM_400000_NS6detail17trampoline_kernelINS0_14default_configENS1_25transform_config_selectorIlLb0EEEZNS1_14transform_implILb0ES3_S5_NS0_18transform_iteratorINS0_17counting_iteratorImlEEZNS1_24adjacent_difference_implIS3_Lb1ELb0EPlSB_ZN2at6native12_GLOBAL__N_124unique_dim_cuda_templateIaEESt5tupleIJNSC_6TensorESH_SH_EERKSH_lbbbEUlllE1_EE10hipError_tPvRmT2_T3_mT4_P12ihipStream_tbEUlmE_lEESB_NS0_8identityIvEEEESM_SP_SQ_mSR_ST_bEUlT_E_NS1_11comp_targetILNS1_3genE10ELNS1_11target_archE1201ELNS1_3gpuE5ELNS1_3repE0EEENS1_30default_config_static_selectorELNS0_4arch9wavefront6targetE1EEEvT1_,@function
_ZN7rocprim17ROCPRIM_400000_NS6detail17trampoline_kernelINS0_14default_configENS1_25transform_config_selectorIlLb0EEEZNS1_14transform_implILb0ES3_S5_NS0_18transform_iteratorINS0_17counting_iteratorImlEEZNS1_24adjacent_difference_implIS3_Lb1ELb0EPlSB_ZN2at6native12_GLOBAL__N_124unique_dim_cuda_templateIaEESt5tupleIJNSC_6TensorESH_SH_EERKSH_lbbbEUlllE1_EE10hipError_tPvRmT2_T3_mT4_P12ihipStream_tbEUlmE_lEESB_NS0_8identityIvEEEESM_SP_SQ_mSR_ST_bEUlT_E_NS1_11comp_targetILNS1_3genE10ELNS1_11target_archE1201ELNS1_3gpuE5ELNS1_3repE0EEENS1_30default_config_static_selectorELNS0_4arch9wavefront6targetE1EEEvT1_: ; @_ZN7rocprim17ROCPRIM_400000_NS6detail17trampoline_kernelINS0_14default_configENS1_25transform_config_selectorIlLb0EEEZNS1_14transform_implILb0ES3_S5_NS0_18transform_iteratorINS0_17counting_iteratorImlEEZNS1_24adjacent_difference_implIS3_Lb1ELb0EPlSB_ZN2at6native12_GLOBAL__N_124unique_dim_cuda_templateIaEESt5tupleIJNSC_6TensorESH_SH_EERKSH_lbbbEUlllE1_EE10hipError_tPvRmT2_T3_mT4_P12ihipStream_tbEUlmE_lEESB_NS0_8identityIvEEEESM_SP_SQ_mSR_ST_bEUlT_E_NS1_11comp_targetILNS1_3genE10ELNS1_11target_archE1201ELNS1_3gpuE5ELNS1_3repE0EEENS1_30default_config_static_selectorELNS0_4arch9wavefront6targetE1EEEvT1_
; %bb.0:
	.section	.rodata,"a",@progbits
	.p2align	6, 0x0
	.amdhsa_kernel _ZN7rocprim17ROCPRIM_400000_NS6detail17trampoline_kernelINS0_14default_configENS1_25transform_config_selectorIlLb0EEEZNS1_14transform_implILb0ES3_S5_NS0_18transform_iteratorINS0_17counting_iteratorImlEEZNS1_24adjacent_difference_implIS3_Lb1ELb0EPlSB_ZN2at6native12_GLOBAL__N_124unique_dim_cuda_templateIaEESt5tupleIJNSC_6TensorESH_SH_EERKSH_lbbbEUlllE1_EE10hipError_tPvRmT2_T3_mT4_P12ihipStream_tbEUlmE_lEESB_NS0_8identityIvEEEESM_SP_SQ_mSR_ST_bEUlT_E_NS1_11comp_targetILNS1_3genE10ELNS1_11target_archE1201ELNS1_3gpuE5ELNS1_3repE0EEENS1_30default_config_static_selectorELNS0_4arch9wavefront6targetE1EEEvT1_
		.amdhsa_group_segment_fixed_size 0
		.amdhsa_private_segment_fixed_size 0
		.amdhsa_kernarg_size 56
		.amdhsa_user_sgpr_count 2
		.amdhsa_user_sgpr_dispatch_ptr 0
		.amdhsa_user_sgpr_queue_ptr 0
		.amdhsa_user_sgpr_kernarg_segment_ptr 1
		.amdhsa_user_sgpr_dispatch_id 0
		.amdhsa_user_sgpr_kernarg_preload_length 0
		.amdhsa_user_sgpr_kernarg_preload_offset 0
		.amdhsa_user_sgpr_private_segment_size 0
		.amdhsa_uses_dynamic_stack 0
		.amdhsa_enable_private_segment 0
		.amdhsa_system_sgpr_workgroup_id_x 1
		.amdhsa_system_sgpr_workgroup_id_y 0
		.amdhsa_system_sgpr_workgroup_id_z 0
		.amdhsa_system_sgpr_workgroup_info 0
		.amdhsa_system_vgpr_workitem_id 0
		.amdhsa_next_free_vgpr 1
		.amdhsa_next_free_sgpr 0
		.amdhsa_accum_offset 4
		.amdhsa_reserve_vcc 0
		.amdhsa_float_round_mode_32 0
		.amdhsa_float_round_mode_16_64 0
		.amdhsa_float_denorm_mode_32 3
		.amdhsa_float_denorm_mode_16_64 3
		.amdhsa_dx10_clamp 1
		.amdhsa_ieee_mode 1
		.amdhsa_fp16_overflow 0
		.amdhsa_tg_split 0
		.amdhsa_exception_fp_ieee_invalid_op 0
		.amdhsa_exception_fp_denorm_src 0
		.amdhsa_exception_fp_ieee_div_zero 0
		.amdhsa_exception_fp_ieee_overflow 0
		.amdhsa_exception_fp_ieee_underflow 0
		.amdhsa_exception_fp_ieee_inexact 0
		.amdhsa_exception_int_div_zero 0
	.end_amdhsa_kernel
	.section	.text._ZN7rocprim17ROCPRIM_400000_NS6detail17trampoline_kernelINS0_14default_configENS1_25transform_config_selectorIlLb0EEEZNS1_14transform_implILb0ES3_S5_NS0_18transform_iteratorINS0_17counting_iteratorImlEEZNS1_24adjacent_difference_implIS3_Lb1ELb0EPlSB_ZN2at6native12_GLOBAL__N_124unique_dim_cuda_templateIaEESt5tupleIJNSC_6TensorESH_SH_EERKSH_lbbbEUlllE1_EE10hipError_tPvRmT2_T3_mT4_P12ihipStream_tbEUlmE_lEESB_NS0_8identityIvEEEESM_SP_SQ_mSR_ST_bEUlT_E_NS1_11comp_targetILNS1_3genE10ELNS1_11target_archE1201ELNS1_3gpuE5ELNS1_3repE0EEENS1_30default_config_static_selectorELNS0_4arch9wavefront6targetE1EEEvT1_,"axG",@progbits,_ZN7rocprim17ROCPRIM_400000_NS6detail17trampoline_kernelINS0_14default_configENS1_25transform_config_selectorIlLb0EEEZNS1_14transform_implILb0ES3_S5_NS0_18transform_iteratorINS0_17counting_iteratorImlEEZNS1_24adjacent_difference_implIS3_Lb1ELb0EPlSB_ZN2at6native12_GLOBAL__N_124unique_dim_cuda_templateIaEESt5tupleIJNSC_6TensorESH_SH_EERKSH_lbbbEUlllE1_EE10hipError_tPvRmT2_T3_mT4_P12ihipStream_tbEUlmE_lEESB_NS0_8identityIvEEEESM_SP_SQ_mSR_ST_bEUlT_E_NS1_11comp_targetILNS1_3genE10ELNS1_11target_archE1201ELNS1_3gpuE5ELNS1_3repE0EEENS1_30default_config_static_selectorELNS0_4arch9wavefront6targetE1EEEvT1_,comdat
.Lfunc_end307:
	.size	_ZN7rocprim17ROCPRIM_400000_NS6detail17trampoline_kernelINS0_14default_configENS1_25transform_config_selectorIlLb0EEEZNS1_14transform_implILb0ES3_S5_NS0_18transform_iteratorINS0_17counting_iteratorImlEEZNS1_24adjacent_difference_implIS3_Lb1ELb0EPlSB_ZN2at6native12_GLOBAL__N_124unique_dim_cuda_templateIaEESt5tupleIJNSC_6TensorESH_SH_EERKSH_lbbbEUlllE1_EE10hipError_tPvRmT2_T3_mT4_P12ihipStream_tbEUlmE_lEESB_NS0_8identityIvEEEESM_SP_SQ_mSR_ST_bEUlT_E_NS1_11comp_targetILNS1_3genE10ELNS1_11target_archE1201ELNS1_3gpuE5ELNS1_3repE0EEENS1_30default_config_static_selectorELNS0_4arch9wavefront6targetE1EEEvT1_, .Lfunc_end307-_ZN7rocprim17ROCPRIM_400000_NS6detail17trampoline_kernelINS0_14default_configENS1_25transform_config_selectorIlLb0EEEZNS1_14transform_implILb0ES3_S5_NS0_18transform_iteratorINS0_17counting_iteratorImlEEZNS1_24adjacent_difference_implIS3_Lb1ELb0EPlSB_ZN2at6native12_GLOBAL__N_124unique_dim_cuda_templateIaEESt5tupleIJNSC_6TensorESH_SH_EERKSH_lbbbEUlllE1_EE10hipError_tPvRmT2_T3_mT4_P12ihipStream_tbEUlmE_lEESB_NS0_8identityIvEEEESM_SP_SQ_mSR_ST_bEUlT_E_NS1_11comp_targetILNS1_3genE10ELNS1_11target_archE1201ELNS1_3gpuE5ELNS1_3repE0EEENS1_30default_config_static_selectorELNS0_4arch9wavefront6targetE1EEEvT1_
                                        ; -- End function
	.set _ZN7rocprim17ROCPRIM_400000_NS6detail17trampoline_kernelINS0_14default_configENS1_25transform_config_selectorIlLb0EEEZNS1_14transform_implILb0ES3_S5_NS0_18transform_iteratorINS0_17counting_iteratorImlEEZNS1_24adjacent_difference_implIS3_Lb1ELb0EPlSB_ZN2at6native12_GLOBAL__N_124unique_dim_cuda_templateIaEESt5tupleIJNSC_6TensorESH_SH_EERKSH_lbbbEUlllE1_EE10hipError_tPvRmT2_T3_mT4_P12ihipStream_tbEUlmE_lEESB_NS0_8identityIvEEEESM_SP_SQ_mSR_ST_bEUlT_E_NS1_11comp_targetILNS1_3genE10ELNS1_11target_archE1201ELNS1_3gpuE5ELNS1_3repE0EEENS1_30default_config_static_selectorELNS0_4arch9wavefront6targetE1EEEvT1_.num_vgpr, 0
	.set _ZN7rocprim17ROCPRIM_400000_NS6detail17trampoline_kernelINS0_14default_configENS1_25transform_config_selectorIlLb0EEEZNS1_14transform_implILb0ES3_S5_NS0_18transform_iteratorINS0_17counting_iteratorImlEEZNS1_24adjacent_difference_implIS3_Lb1ELb0EPlSB_ZN2at6native12_GLOBAL__N_124unique_dim_cuda_templateIaEESt5tupleIJNSC_6TensorESH_SH_EERKSH_lbbbEUlllE1_EE10hipError_tPvRmT2_T3_mT4_P12ihipStream_tbEUlmE_lEESB_NS0_8identityIvEEEESM_SP_SQ_mSR_ST_bEUlT_E_NS1_11comp_targetILNS1_3genE10ELNS1_11target_archE1201ELNS1_3gpuE5ELNS1_3repE0EEENS1_30default_config_static_selectorELNS0_4arch9wavefront6targetE1EEEvT1_.num_agpr, 0
	.set _ZN7rocprim17ROCPRIM_400000_NS6detail17trampoline_kernelINS0_14default_configENS1_25transform_config_selectorIlLb0EEEZNS1_14transform_implILb0ES3_S5_NS0_18transform_iteratorINS0_17counting_iteratorImlEEZNS1_24adjacent_difference_implIS3_Lb1ELb0EPlSB_ZN2at6native12_GLOBAL__N_124unique_dim_cuda_templateIaEESt5tupleIJNSC_6TensorESH_SH_EERKSH_lbbbEUlllE1_EE10hipError_tPvRmT2_T3_mT4_P12ihipStream_tbEUlmE_lEESB_NS0_8identityIvEEEESM_SP_SQ_mSR_ST_bEUlT_E_NS1_11comp_targetILNS1_3genE10ELNS1_11target_archE1201ELNS1_3gpuE5ELNS1_3repE0EEENS1_30default_config_static_selectorELNS0_4arch9wavefront6targetE1EEEvT1_.numbered_sgpr, 0
	.set _ZN7rocprim17ROCPRIM_400000_NS6detail17trampoline_kernelINS0_14default_configENS1_25transform_config_selectorIlLb0EEEZNS1_14transform_implILb0ES3_S5_NS0_18transform_iteratorINS0_17counting_iteratorImlEEZNS1_24adjacent_difference_implIS3_Lb1ELb0EPlSB_ZN2at6native12_GLOBAL__N_124unique_dim_cuda_templateIaEESt5tupleIJNSC_6TensorESH_SH_EERKSH_lbbbEUlllE1_EE10hipError_tPvRmT2_T3_mT4_P12ihipStream_tbEUlmE_lEESB_NS0_8identityIvEEEESM_SP_SQ_mSR_ST_bEUlT_E_NS1_11comp_targetILNS1_3genE10ELNS1_11target_archE1201ELNS1_3gpuE5ELNS1_3repE0EEENS1_30default_config_static_selectorELNS0_4arch9wavefront6targetE1EEEvT1_.num_named_barrier, 0
	.set _ZN7rocprim17ROCPRIM_400000_NS6detail17trampoline_kernelINS0_14default_configENS1_25transform_config_selectorIlLb0EEEZNS1_14transform_implILb0ES3_S5_NS0_18transform_iteratorINS0_17counting_iteratorImlEEZNS1_24adjacent_difference_implIS3_Lb1ELb0EPlSB_ZN2at6native12_GLOBAL__N_124unique_dim_cuda_templateIaEESt5tupleIJNSC_6TensorESH_SH_EERKSH_lbbbEUlllE1_EE10hipError_tPvRmT2_T3_mT4_P12ihipStream_tbEUlmE_lEESB_NS0_8identityIvEEEESM_SP_SQ_mSR_ST_bEUlT_E_NS1_11comp_targetILNS1_3genE10ELNS1_11target_archE1201ELNS1_3gpuE5ELNS1_3repE0EEENS1_30default_config_static_selectorELNS0_4arch9wavefront6targetE1EEEvT1_.private_seg_size, 0
	.set _ZN7rocprim17ROCPRIM_400000_NS6detail17trampoline_kernelINS0_14default_configENS1_25transform_config_selectorIlLb0EEEZNS1_14transform_implILb0ES3_S5_NS0_18transform_iteratorINS0_17counting_iteratorImlEEZNS1_24adjacent_difference_implIS3_Lb1ELb0EPlSB_ZN2at6native12_GLOBAL__N_124unique_dim_cuda_templateIaEESt5tupleIJNSC_6TensorESH_SH_EERKSH_lbbbEUlllE1_EE10hipError_tPvRmT2_T3_mT4_P12ihipStream_tbEUlmE_lEESB_NS0_8identityIvEEEESM_SP_SQ_mSR_ST_bEUlT_E_NS1_11comp_targetILNS1_3genE10ELNS1_11target_archE1201ELNS1_3gpuE5ELNS1_3repE0EEENS1_30default_config_static_selectorELNS0_4arch9wavefront6targetE1EEEvT1_.uses_vcc, 0
	.set _ZN7rocprim17ROCPRIM_400000_NS6detail17trampoline_kernelINS0_14default_configENS1_25transform_config_selectorIlLb0EEEZNS1_14transform_implILb0ES3_S5_NS0_18transform_iteratorINS0_17counting_iteratorImlEEZNS1_24adjacent_difference_implIS3_Lb1ELb0EPlSB_ZN2at6native12_GLOBAL__N_124unique_dim_cuda_templateIaEESt5tupleIJNSC_6TensorESH_SH_EERKSH_lbbbEUlllE1_EE10hipError_tPvRmT2_T3_mT4_P12ihipStream_tbEUlmE_lEESB_NS0_8identityIvEEEESM_SP_SQ_mSR_ST_bEUlT_E_NS1_11comp_targetILNS1_3genE10ELNS1_11target_archE1201ELNS1_3gpuE5ELNS1_3repE0EEENS1_30default_config_static_selectorELNS0_4arch9wavefront6targetE1EEEvT1_.uses_flat_scratch, 0
	.set _ZN7rocprim17ROCPRIM_400000_NS6detail17trampoline_kernelINS0_14default_configENS1_25transform_config_selectorIlLb0EEEZNS1_14transform_implILb0ES3_S5_NS0_18transform_iteratorINS0_17counting_iteratorImlEEZNS1_24adjacent_difference_implIS3_Lb1ELb0EPlSB_ZN2at6native12_GLOBAL__N_124unique_dim_cuda_templateIaEESt5tupleIJNSC_6TensorESH_SH_EERKSH_lbbbEUlllE1_EE10hipError_tPvRmT2_T3_mT4_P12ihipStream_tbEUlmE_lEESB_NS0_8identityIvEEEESM_SP_SQ_mSR_ST_bEUlT_E_NS1_11comp_targetILNS1_3genE10ELNS1_11target_archE1201ELNS1_3gpuE5ELNS1_3repE0EEENS1_30default_config_static_selectorELNS0_4arch9wavefront6targetE1EEEvT1_.has_dyn_sized_stack, 0
	.set _ZN7rocprim17ROCPRIM_400000_NS6detail17trampoline_kernelINS0_14default_configENS1_25transform_config_selectorIlLb0EEEZNS1_14transform_implILb0ES3_S5_NS0_18transform_iteratorINS0_17counting_iteratorImlEEZNS1_24adjacent_difference_implIS3_Lb1ELb0EPlSB_ZN2at6native12_GLOBAL__N_124unique_dim_cuda_templateIaEESt5tupleIJNSC_6TensorESH_SH_EERKSH_lbbbEUlllE1_EE10hipError_tPvRmT2_T3_mT4_P12ihipStream_tbEUlmE_lEESB_NS0_8identityIvEEEESM_SP_SQ_mSR_ST_bEUlT_E_NS1_11comp_targetILNS1_3genE10ELNS1_11target_archE1201ELNS1_3gpuE5ELNS1_3repE0EEENS1_30default_config_static_selectorELNS0_4arch9wavefront6targetE1EEEvT1_.has_recursion, 0
	.set _ZN7rocprim17ROCPRIM_400000_NS6detail17trampoline_kernelINS0_14default_configENS1_25transform_config_selectorIlLb0EEEZNS1_14transform_implILb0ES3_S5_NS0_18transform_iteratorINS0_17counting_iteratorImlEEZNS1_24adjacent_difference_implIS3_Lb1ELb0EPlSB_ZN2at6native12_GLOBAL__N_124unique_dim_cuda_templateIaEESt5tupleIJNSC_6TensorESH_SH_EERKSH_lbbbEUlllE1_EE10hipError_tPvRmT2_T3_mT4_P12ihipStream_tbEUlmE_lEESB_NS0_8identityIvEEEESM_SP_SQ_mSR_ST_bEUlT_E_NS1_11comp_targetILNS1_3genE10ELNS1_11target_archE1201ELNS1_3gpuE5ELNS1_3repE0EEENS1_30default_config_static_selectorELNS0_4arch9wavefront6targetE1EEEvT1_.has_indirect_call, 0
	.section	.AMDGPU.csdata,"",@progbits
; Kernel info:
; codeLenInByte = 0
; TotalNumSgprs: 6
; NumVgprs: 0
; NumAgprs: 0
; TotalNumVgprs: 0
; ScratchSize: 0
; MemoryBound: 0
; FloatMode: 240
; IeeeMode: 1
; LDSByteSize: 0 bytes/workgroup (compile time only)
; SGPRBlocks: 0
; VGPRBlocks: 0
; NumSGPRsForWavesPerEU: 6
; NumVGPRsForWavesPerEU: 1
; AccumOffset: 4
; Occupancy: 8
; WaveLimiterHint : 0
; COMPUTE_PGM_RSRC2:SCRATCH_EN: 0
; COMPUTE_PGM_RSRC2:USER_SGPR: 2
; COMPUTE_PGM_RSRC2:TRAP_HANDLER: 0
; COMPUTE_PGM_RSRC2:TGID_X_EN: 1
; COMPUTE_PGM_RSRC2:TGID_Y_EN: 0
; COMPUTE_PGM_RSRC2:TGID_Z_EN: 0
; COMPUTE_PGM_RSRC2:TIDIG_COMP_CNT: 0
; COMPUTE_PGM_RSRC3_GFX90A:ACCUM_OFFSET: 0
; COMPUTE_PGM_RSRC3_GFX90A:TG_SPLIT: 0
	.section	.text._ZN7rocprim17ROCPRIM_400000_NS6detail17trampoline_kernelINS0_14default_configENS1_25transform_config_selectorIlLb0EEEZNS1_14transform_implILb0ES3_S5_NS0_18transform_iteratorINS0_17counting_iteratorImlEEZNS1_24adjacent_difference_implIS3_Lb1ELb0EPlSB_ZN2at6native12_GLOBAL__N_124unique_dim_cuda_templateIaEESt5tupleIJNSC_6TensorESH_SH_EERKSH_lbbbEUlllE1_EE10hipError_tPvRmT2_T3_mT4_P12ihipStream_tbEUlmE_lEESB_NS0_8identityIvEEEESM_SP_SQ_mSR_ST_bEUlT_E_NS1_11comp_targetILNS1_3genE10ELNS1_11target_archE1200ELNS1_3gpuE4ELNS1_3repE0EEENS1_30default_config_static_selectorELNS0_4arch9wavefront6targetE1EEEvT1_,"axG",@progbits,_ZN7rocprim17ROCPRIM_400000_NS6detail17trampoline_kernelINS0_14default_configENS1_25transform_config_selectorIlLb0EEEZNS1_14transform_implILb0ES3_S5_NS0_18transform_iteratorINS0_17counting_iteratorImlEEZNS1_24adjacent_difference_implIS3_Lb1ELb0EPlSB_ZN2at6native12_GLOBAL__N_124unique_dim_cuda_templateIaEESt5tupleIJNSC_6TensorESH_SH_EERKSH_lbbbEUlllE1_EE10hipError_tPvRmT2_T3_mT4_P12ihipStream_tbEUlmE_lEESB_NS0_8identityIvEEEESM_SP_SQ_mSR_ST_bEUlT_E_NS1_11comp_targetILNS1_3genE10ELNS1_11target_archE1200ELNS1_3gpuE4ELNS1_3repE0EEENS1_30default_config_static_selectorELNS0_4arch9wavefront6targetE1EEEvT1_,comdat
	.globl	_ZN7rocprim17ROCPRIM_400000_NS6detail17trampoline_kernelINS0_14default_configENS1_25transform_config_selectorIlLb0EEEZNS1_14transform_implILb0ES3_S5_NS0_18transform_iteratorINS0_17counting_iteratorImlEEZNS1_24adjacent_difference_implIS3_Lb1ELb0EPlSB_ZN2at6native12_GLOBAL__N_124unique_dim_cuda_templateIaEESt5tupleIJNSC_6TensorESH_SH_EERKSH_lbbbEUlllE1_EE10hipError_tPvRmT2_T3_mT4_P12ihipStream_tbEUlmE_lEESB_NS0_8identityIvEEEESM_SP_SQ_mSR_ST_bEUlT_E_NS1_11comp_targetILNS1_3genE10ELNS1_11target_archE1200ELNS1_3gpuE4ELNS1_3repE0EEENS1_30default_config_static_selectorELNS0_4arch9wavefront6targetE1EEEvT1_ ; -- Begin function _ZN7rocprim17ROCPRIM_400000_NS6detail17trampoline_kernelINS0_14default_configENS1_25transform_config_selectorIlLb0EEEZNS1_14transform_implILb0ES3_S5_NS0_18transform_iteratorINS0_17counting_iteratorImlEEZNS1_24adjacent_difference_implIS3_Lb1ELb0EPlSB_ZN2at6native12_GLOBAL__N_124unique_dim_cuda_templateIaEESt5tupleIJNSC_6TensorESH_SH_EERKSH_lbbbEUlllE1_EE10hipError_tPvRmT2_T3_mT4_P12ihipStream_tbEUlmE_lEESB_NS0_8identityIvEEEESM_SP_SQ_mSR_ST_bEUlT_E_NS1_11comp_targetILNS1_3genE10ELNS1_11target_archE1200ELNS1_3gpuE4ELNS1_3repE0EEENS1_30default_config_static_selectorELNS0_4arch9wavefront6targetE1EEEvT1_
	.p2align	8
	.type	_ZN7rocprim17ROCPRIM_400000_NS6detail17trampoline_kernelINS0_14default_configENS1_25transform_config_selectorIlLb0EEEZNS1_14transform_implILb0ES3_S5_NS0_18transform_iteratorINS0_17counting_iteratorImlEEZNS1_24adjacent_difference_implIS3_Lb1ELb0EPlSB_ZN2at6native12_GLOBAL__N_124unique_dim_cuda_templateIaEESt5tupleIJNSC_6TensorESH_SH_EERKSH_lbbbEUlllE1_EE10hipError_tPvRmT2_T3_mT4_P12ihipStream_tbEUlmE_lEESB_NS0_8identityIvEEEESM_SP_SQ_mSR_ST_bEUlT_E_NS1_11comp_targetILNS1_3genE10ELNS1_11target_archE1200ELNS1_3gpuE4ELNS1_3repE0EEENS1_30default_config_static_selectorELNS0_4arch9wavefront6targetE1EEEvT1_,@function
_ZN7rocprim17ROCPRIM_400000_NS6detail17trampoline_kernelINS0_14default_configENS1_25transform_config_selectorIlLb0EEEZNS1_14transform_implILb0ES3_S5_NS0_18transform_iteratorINS0_17counting_iteratorImlEEZNS1_24adjacent_difference_implIS3_Lb1ELb0EPlSB_ZN2at6native12_GLOBAL__N_124unique_dim_cuda_templateIaEESt5tupleIJNSC_6TensorESH_SH_EERKSH_lbbbEUlllE1_EE10hipError_tPvRmT2_T3_mT4_P12ihipStream_tbEUlmE_lEESB_NS0_8identityIvEEEESM_SP_SQ_mSR_ST_bEUlT_E_NS1_11comp_targetILNS1_3genE10ELNS1_11target_archE1200ELNS1_3gpuE4ELNS1_3repE0EEENS1_30default_config_static_selectorELNS0_4arch9wavefront6targetE1EEEvT1_: ; @_ZN7rocprim17ROCPRIM_400000_NS6detail17trampoline_kernelINS0_14default_configENS1_25transform_config_selectorIlLb0EEEZNS1_14transform_implILb0ES3_S5_NS0_18transform_iteratorINS0_17counting_iteratorImlEEZNS1_24adjacent_difference_implIS3_Lb1ELb0EPlSB_ZN2at6native12_GLOBAL__N_124unique_dim_cuda_templateIaEESt5tupleIJNSC_6TensorESH_SH_EERKSH_lbbbEUlllE1_EE10hipError_tPvRmT2_T3_mT4_P12ihipStream_tbEUlmE_lEESB_NS0_8identityIvEEEESM_SP_SQ_mSR_ST_bEUlT_E_NS1_11comp_targetILNS1_3genE10ELNS1_11target_archE1200ELNS1_3gpuE4ELNS1_3repE0EEENS1_30default_config_static_selectorELNS0_4arch9wavefront6targetE1EEEvT1_
; %bb.0:
	.section	.rodata,"a",@progbits
	.p2align	6, 0x0
	.amdhsa_kernel _ZN7rocprim17ROCPRIM_400000_NS6detail17trampoline_kernelINS0_14default_configENS1_25transform_config_selectorIlLb0EEEZNS1_14transform_implILb0ES3_S5_NS0_18transform_iteratorINS0_17counting_iteratorImlEEZNS1_24adjacent_difference_implIS3_Lb1ELb0EPlSB_ZN2at6native12_GLOBAL__N_124unique_dim_cuda_templateIaEESt5tupleIJNSC_6TensorESH_SH_EERKSH_lbbbEUlllE1_EE10hipError_tPvRmT2_T3_mT4_P12ihipStream_tbEUlmE_lEESB_NS0_8identityIvEEEESM_SP_SQ_mSR_ST_bEUlT_E_NS1_11comp_targetILNS1_3genE10ELNS1_11target_archE1200ELNS1_3gpuE4ELNS1_3repE0EEENS1_30default_config_static_selectorELNS0_4arch9wavefront6targetE1EEEvT1_
		.amdhsa_group_segment_fixed_size 0
		.amdhsa_private_segment_fixed_size 0
		.amdhsa_kernarg_size 56
		.amdhsa_user_sgpr_count 2
		.amdhsa_user_sgpr_dispatch_ptr 0
		.amdhsa_user_sgpr_queue_ptr 0
		.amdhsa_user_sgpr_kernarg_segment_ptr 1
		.amdhsa_user_sgpr_dispatch_id 0
		.amdhsa_user_sgpr_kernarg_preload_length 0
		.amdhsa_user_sgpr_kernarg_preload_offset 0
		.amdhsa_user_sgpr_private_segment_size 0
		.amdhsa_uses_dynamic_stack 0
		.amdhsa_enable_private_segment 0
		.amdhsa_system_sgpr_workgroup_id_x 1
		.amdhsa_system_sgpr_workgroup_id_y 0
		.amdhsa_system_sgpr_workgroup_id_z 0
		.amdhsa_system_sgpr_workgroup_info 0
		.amdhsa_system_vgpr_workitem_id 0
		.amdhsa_next_free_vgpr 1
		.amdhsa_next_free_sgpr 0
		.amdhsa_accum_offset 4
		.amdhsa_reserve_vcc 0
		.amdhsa_float_round_mode_32 0
		.amdhsa_float_round_mode_16_64 0
		.amdhsa_float_denorm_mode_32 3
		.amdhsa_float_denorm_mode_16_64 3
		.amdhsa_dx10_clamp 1
		.amdhsa_ieee_mode 1
		.amdhsa_fp16_overflow 0
		.amdhsa_tg_split 0
		.amdhsa_exception_fp_ieee_invalid_op 0
		.amdhsa_exception_fp_denorm_src 0
		.amdhsa_exception_fp_ieee_div_zero 0
		.amdhsa_exception_fp_ieee_overflow 0
		.amdhsa_exception_fp_ieee_underflow 0
		.amdhsa_exception_fp_ieee_inexact 0
		.amdhsa_exception_int_div_zero 0
	.end_amdhsa_kernel
	.section	.text._ZN7rocprim17ROCPRIM_400000_NS6detail17trampoline_kernelINS0_14default_configENS1_25transform_config_selectorIlLb0EEEZNS1_14transform_implILb0ES3_S5_NS0_18transform_iteratorINS0_17counting_iteratorImlEEZNS1_24adjacent_difference_implIS3_Lb1ELb0EPlSB_ZN2at6native12_GLOBAL__N_124unique_dim_cuda_templateIaEESt5tupleIJNSC_6TensorESH_SH_EERKSH_lbbbEUlllE1_EE10hipError_tPvRmT2_T3_mT4_P12ihipStream_tbEUlmE_lEESB_NS0_8identityIvEEEESM_SP_SQ_mSR_ST_bEUlT_E_NS1_11comp_targetILNS1_3genE10ELNS1_11target_archE1200ELNS1_3gpuE4ELNS1_3repE0EEENS1_30default_config_static_selectorELNS0_4arch9wavefront6targetE1EEEvT1_,"axG",@progbits,_ZN7rocprim17ROCPRIM_400000_NS6detail17trampoline_kernelINS0_14default_configENS1_25transform_config_selectorIlLb0EEEZNS1_14transform_implILb0ES3_S5_NS0_18transform_iteratorINS0_17counting_iteratorImlEEZNS1_24adjacent_difference_implIS3_Lb1ELb0EPlSB_ZN2at6native12_GLOBAL__N_124unique_dim_cuda_templateIaEESt5tupleIJNSC_6TensorESH_SH_EERKSH_lbbbEUlllE1_EE10hipError_tPvRmT2_T3_mT4_P12ihipStream_tbEUlmE_lEESB_NS0_8identityIvEEEESM_SP_SQ_mSR_ST_bEUlT_E_NS1_11comp_targetILNS1_3genE10ELNS1_11target_archE1200ELNS1_3gpuE4ELNS1_3repE0EEENS1_30default_config_static_selectorELNS0_4arch9wavefront6targetE1EEEvT1_,comdat
.Lfunc_end308:
	.size	_ZN7rocprim17ROCPRIM_400000_NS6detail17trampoline_kernelINS0_14default_configENS1_25transform_config_selectorIlLb0EEEZNS1_14transform_implILb0ES3_S5_NS0_18transform_iteratorINS0_17counting_iteratorImlEEZNS1_24adjacent_difference_implIS3_Lb1ELb0EPlSB_ZN2at6native12_GLOBAL__N_124unique_dim_cuda_templateIaEESt5tupleIJNSC_6TensorESH_SH_EERKSH_lbbbEUlllE1_EE10hipError_tPvRmT2_T3_mT4_P12ihipStream_tbEUlmE_lEESB_NS0_8identityIvEEEESM_SP_SQ_mSR_ST_bEUlT_E_NS1_11comp_targetILNS1_3genE10ELNS1_11target_archE1200ELNS1_3gpuE4ELNS1_3repE0EEENS1_30default_config_static_selectorELNS0_4arch9wavefront6targetE1EEEvT1_, .Lfunc_end308-_ZN7rocprim17ROCPRIM_400000_NS6detail17trampoline_kernelINS0_14default_configENS1_25transform_config_selectorIlLb0EEEZNS1_14transform_implILb0ES3_S5_NS0_18transform_iteratorINS0_17counting_iteratorImlEEZNS1_24adjacent_difference_implIS3_Lb1ELb0EPlSB_ZN2at6native12_GLOBAL__N_124unique_dim_cuda_templateIaEESt5tupleIJNSC_6TensorESH_SH_EERKSH_lbbbEUlllE1_EE10hipError_tPvRmT2_T3_mT4_P12ihipStream_tbEUlmE_lEESB_NS0_8identityIvEEEESM_SP_SQ_mSR_ST_bEUlT_E_NS1_11comp_targetILNS1_3genE10ELNS1_11target_archE1200ELNS1_3gpuE4ELNS1_3repE0EEENS1_30default_config_static_selectorELNS0_4arch9wavefront6targetE1EEEvT1_
                                        ; -- End function
	.set _ZN7rocprim17ROCPRIM_400000_NS6detail17trampoline_kernelINS0_14default_configENS1_25transform_config_selectorIlLb0EEEZNS1_14transform_implILb0ES3_S5_NS0_18transform_iteratorINS0_17counting_iteratorImlEEZNS1_24adjacent_difference_implIS3_Lb1ELb0EPlSB_ZN2at6native12_GLOBAL__N_124unique_dim_cuda_templateIaEESt5tupleIJNSC_6TensorESH_SH_EERKSH_lbbbEUlllE1_EE10hipError_tPvRmT2_T3_mT4_P12ihipStream_tbEUlmE_lEESB_NS0_8identityIvEEEESM_SP_SQ_mSR_ST_bEUlT_E_NS1_11comp_targetILNS1_3genE10ELNS1_11target_archE1200ELNS1_3gpuE4ELNS1_3repE0EEENS1_30default_config_static_selectorELNS0_4arch9wavefront6targetE1EEEvT1_.num_vgpr, 0
	.set _ZN7rocprim17ROCPRIM_400000_NS6detail17trampoline_kernelINS0_14default_configENS1_25transform_config_selectorIlLb0EEEZNS1_14transform_implILb0ES3_S5_NS0_18transform_iteratorINS0_17counting_iteratorImlEEZNS1_24adjacent_difference_implIS3_Lb1ELb0EPlSB_ZN2at6native12_GLOBAL__N_124unique_dim_cuda_templateIaEESt5tupleIJNSC_6TensorESH_SH_EERKSH_lbbbEUlllE1_EE10hipError_tPvRmT2_T3_mT4_P12ihipStream_tbEUlmE_lEESB_NS0_8identityIvEEEESM_SP_SQ_mSR_ST_bEUlT_E_NS1_11comp_targetILNS1_3genE10ELNS1_11target_archE1200ELNS1_3gpuE4ELNS1_3repE0EEENS1_30default_config_static_selectorELNS0_4arch9wavefront6targetE1EEEvT1_.num_agpr, 0
	.set _ZN7rocprim17ROCPRIM_400000_NS6detail17trampoline_kernelINS0_14default_configENS1_25transform_config_selectorIlLb0EEEZNS1_14transform_implILb0ES3_S5_NS0_18transform_iteratorINS0_17counting_iteratorImlEEZNS1_24adjacent_difference_implIS3_Lb1ELb0EPlSB_ZN2at6native12_GLOBAL__N_124unique_dim_cuda_templateIaEESt5tupleIJNSC_6TensorESH_SH_EERKSH_lbbbEUlllE1_EE10hipError_tPvRmT2_T3_mT4_P12ihipStream_tbEUlmE_lEESB_NS0_8identityIvEEEESM_SP_SQ_mSR_ST_bEUlT_E_NS1_11comp_targetILNS1_3genE10ELNS1_11target_archE1200ELNS1_3gpuE4ELNS1_3repE0EEENS1_30default_config_static_selectorELNS0_4arch9wavefront6targetE1EEEvT1_.numbered_sgpr, 0
	.set _ZN7rocprim17ROCPRIM_400000_NS6detail17trampoline_kernelINS0_14default_configENS1_25transform_config_selectorIlLb0EEEZNS1_14transform_implILb0ES3_S5_NS0_18transform_iteratorINS0_17counting_iteratorImlEEZNS1_24adjacent_difference_implIS3_Lb1ELb0EPlSB_ZN2at6native12_GLOBAL__N_124unique_dim_cuda_templateIaEESt5tupleIJNSC_6TensorESH_SH_EERKSH_lbbbEUlllE1_EE10hipError_tPvRmT2_T3_mT4_P12ihipStream_tbEUlmE_lEESB_NS0_8identityIvEEEESM_SP_SQ_mSR_ST_bEUlT_E_NS1_11comp_targetILNS1_3genE10ELNS1_11target_archE1200ELNS1_3gpuE4ELNS1_3repE0EEENS1_30default_config_static_selectorELNS0_4arch9wavefront6targetE1EEEvT1_.num_named_barrier, 0
	.set _ZN7rocprim17ROCPRIM_400000_NS6detail17trampoline_kernelINS0_14default_configENS1_25transform_config_selectorIlLb0EEEZNS1_14transform_implILb0ES3_S5_NS0_18transform_iteratorINS0_17counting_iteratorImlEEZNS1_24adjacent_difference_implIS3_Lb1ELb0EPlSB_ZN2at6native12_GLOBAL__N_124unique_dim_cuda_templateIaEESt5tupleIJNSC_6TensorESH_SH_EERKSH_lbbbEUlllE1_EE10hipError_tPvRmT2_T3_mT4_P12ihipStream_tbEUlmE_lEESB_NS0_8identityIvEEEESM_SP_SQ_mSR_ST_bEUlT_E_NS1_11comp_targetILNS1_3genE10ELNS1_11target_archE1200ELNS1_3gpuE4ELNS1_3repE0EEENS1_30default_config_static_selectorELNS0_4arch9wavefront6targetE1EEEvT1_.private_seg_size, 0
	.set _ZN7rocprim17ROCPRIM_400000_NS6detail17trampoline_kernelINS0_14default_configENS1_25transform_config_selectorIlLb0EEEZNS1_14transform_implILb0ES3_S5_NS0_18transform_iteratorINS0_17counting_iteratorImlEEZNS1_24adjacent_difference_implIS3_Lb1ELb0EPlSB_ZN2at6native12_GLOBAL__N_124unique_dim_cuda_templateIaEESt5tupleIJNSC_6TensorESH_SH_EERKSH_lbbbEUlllE1_EE10hipError_tPvRmT2_T3_mT4_P12ihipStream_tbEUlmE_lEESB_NS0_8identityIvEEEESM_SP_SQ_mSR_ST_bEUlT_E_NS1_11comp_targetILNS1_3genE10ELNS1_11target_archE1200ELNS1_3gpuE4ELNS1_3repE0EEENS1_30default_config_static_selectorELNS0_4arch9wavefront6targetE1EEEvT1_.uses_vcc, 0
	.set _ZN7rocprim17ROCPRIM_400000_NS6detail17trampoline_kernelINS0_14default_configENS1_25transform_config_selectorIlLb0EEEZNS1_14transform_implILb0ES3_S5_NS0_18transform_iteratorINS0_17counting_iteratorImlEEZNS1_24adjacent_difference_implIS3_Lb1ELb0EPlSB_ZN2at6native12_GLOBAL__N_124unique_dim_cuda_templateIaEESt5tupleIJNSC_6TensorESH_SH_EERKSH_lbbbEUlllE1_EE10hipError_tPvRmT2_T3_mT4_P12ihipStream_tbEUlmE_lEESB_NS0_8identityIvEEEESM_SP_SQ_mSR_ST_bEUlT_E_NS1_11comp_targetILNS1_3genE10ELNS1_11target_archE1200ELNS1_3gpuE4ELNS1_3repE0EEENS1_30default_config_static_selectorELNS0_4arch9wavefront6targetE1EEEvT1_.uses_flat_scratch, 0
	.set _ZN7rocprim17ROCPRIM_400000_NS6detail17trampoline_kernelINS0_14default_configENS1_25transform_config_selectorIlLb0EEEZNS1_14transform_implILb0ES3_S5_NS0_18transform_iteratorINS0_17counting_iteratorImlEEZNS1_24adjacent_difference_implIS3_Lb1ELb0EPlSB_ZN2at6native12_GLOBAL__N_124unique_dim_cuda_templateIaEESt5tupleIJNSC_6TensorESH_SH_EERKSH_lbbbEUlllE1_EE10hipError_tPvRmT2_T3_mT4_P12ihipStream_tbEUlmE_lEESB_NS0_8identityIvEEEESM_SP_SQ_mSR_ST_bEUlT_E_NS1_11comp_targetILNS1_3genE10ELNS1_11target_archE1200ELNS1_3gpuE4ELNS1_3repE0EEENS1_30default_config_static_selectorELNS0_4arch9wavefront6targetE1EEEvT1_.has_dyn_sized_stack, 0
	.set _ZN7rocprim17ROCPRIM_400000_NS6detail17trampoline_kernelINS0_14default_configENS1_25transform_config_selectorIlLb0EEEZNS1_14transform_implILb0ES3_S5_NS0_18transform_iteratorINS0_17counting_iteratorImlEEZNS1_24adjacent_difference_implIS3_Lb1ELb0EPlSB_ZN2at6native12_GLOBAL__N_124unique_dim_cuda_templateIaEESt5tupleIJNSC_6TensorESH_SH_EERKSH_lbbbEUlllE1_EE10hipError_tPvRmT2_T3_mT4_P12ihipStream_tbEUlmE_lEESB_NS0_8identityIvEEEESM_SP_SQ_mSR_ST_bEUlT_E_NS1_11comp_targetILNS1_3genE10ELNS1_11target_archE1200ELNS1_3gpuE4ELNS1_3repE0EEENS1_30default_config_static_selectorELNS0_4arch9wavefront6targetE1EEEvT1_.has_recursion, 0
	.set _ZN7rocprim17ROCPRIM_400000_NS6detail17trampoline_kernelINS0_14default_configENS1_25transform_config_selectorIlLb0EEEZNS1_14transform_implILb0ES3_S5_NS0_18transform_iteratorINS0_17counting_iteratorImlEEZNS1_24adjacent_difference_implIS3_Lb1ELb0EPlSB_ZN2at6native12_GLOBAL__N_124unique_dim_cuda_templateIaEESt5tupleIJNSC_6TensorESH_SH_EERKSH_lbbbEUlllE1_EE10hipError_tPvRmT2_T3_mT4_P12ihipStream_tbEUlmE_lEESB_NS0_8identityIvEEEESM_SP_SQ_mSR_ST_bEUlT_E_NS1_11comp_targetILNS1_3genE10ELNS1_11target_archE1200ELNS1_3gpuE4ELNS1_3repE0EEENS1_30default_config_static_selectorELNS0_4arch9wavefront6targetE1EEEvT1_.has_indirect_call, 0
	.section	.AMDGPU.csdata,"",@progbits
; Kernel info:
; codeLenInByte = 0
; TotalNumSgprs: 6
; NumVgprs: 0
; NumAgprs: 0
; TotalNumVgprs: 0
; ScratchSize: 0
; MemoryBound: 0
; FloatMode: 240
; IeeeMode: 1
; LDSByteSize: 0 bytes/workgroup (compile time only)
; SGPRBlocks: 0
; VGPRBlocks: 0
; NumSGPRsForWavesPerEU: 6
; NumVGPRsForWavesPerEU: 1
; AccumOffset: 4
; Occupancy: 8
; WaveLimiterHint : 0
; COMPUTE_PGM_RSRC2:SCRATCH_EN: 0
; COMPUTE_PGM_RSRC2:USER_SGPR: 2
; COMPUTE_PGM_RSRC2:TRAP_HANDLER: 0
; COMPUTE_PGM_RSRC2:TGID_X_EN: 1
; COMPUTE_PGM_RSRC2:TGID_Y_EN: 0
; COMPUTE_PGM_RSRC2:TGID_Z_EN: 0
; COMPUTE_PGM_RSRC2:TIDIG_COMP_CNT: 0
; COMPUTE_PGM_RSRC3_GFX90A:ACCUM_OFFSET: 0
; COMPUTE_PGM_RSRC3_GFX90A:TG_SPLIT: 0
	.section	.text._ZN7rocprim17ROCPRIM_400000_NS6detail17trampoline_kernelINS0_14default_configENS1_25transform_config_selectorIlLb0EEEZNS1_14transform_implILb0ES3_S5_NS0_18transform_iteratorINS0_17counting_iteratorImlEEZNS1_24adjacent_difference_implIS3_Lb1ELb0EPlSB_ZN2at6native12_GLOBAL__N_124unique_dim_cuda_templateIaEESt5tupleIJNSC_6TensorESH_SH_EERKSH_lbbbEUlllE1_EE10hipError_tPvRmT2_T3_mT4_P12ihipStream_tbEUlmE_lEESB_NS0_8identityIvEEEESM_SP_SQ_mSR_ST_bEUlT_E_NS1_11comp_targetILNS1_3genE9ELNS1_11target_archE1100ELNS1_3gpuE3ELNS1_3repE0EEENS1_30default_config_static_selectorELNS0_4arch9wavefront6targetE1EEEvT1_,"axG",@progbits,_ZN7rocprim17ROCPRIM_400000_NS6detail17trampoline_kernelINS0_14default_configENS1_25transform_config_selectorIlLb0EEEZNS1_14transform_implILb0ES3_S5_NS0_18transform_iteratorINS0_17counting_iteratorImlEEZNS1_24adjacent_difference_implIS3_Lb1ELb0EPlSB_ZN2at6native12_GLOBAL__N_124unique_dim_cuda_templateIaEESt5tupleIJNSC_6TensorESH_SH_EERKSH_lbbbEUlllE1_EE10hipError_tPvRmT2_T3_mT4_P12ihipStream_tbEUlmE_lEESB_NS0_8identityIvEEEESM_SP_SQ_mSR_ST_bEUlT_E_NS1_11comp_targetILNS1_3genE9ELNS1_11target_archE1100ELNS1_3gpuE3ELNS1_3repE0EEENS1_30default_config_static_selectorELNS0_4arch9wavefront6targetE1EEEvT1_,comdat
	.globl	_ZN7rocprim17ROCPRIM_400000_NS6detail17trampoline_kernelINS0_14default_configENS1_25transform_config_selectorIlLb0EEEZNS1_14transform_implILb0ES3_S5_NS0_18transform_iteratorINS0_17counting_iteratorImlEEZNS1_24adjacent_difference_implIS3_Lb1ELb0EPlSB_ZN2at6native12_GLOBAL__N_124unique_dim_cuda_templateIaEESt5tupleIJNSC_6TensorESH_SH_EERKSH_lbbbEUlllE1_EE10hipError_tPvRmT2_T3_mT4_P12ihipStream_tbEUlmE_lEESB_NS0_8identityIvEEEESM_SP_SQ_mSR_ST_bEUlT_E_NS1_11comp_targetILNS1_3genE9ELNS1_11target_archE1100ELNS1_3gpuE3ELNS1_3repE0EEENS1_30default_config_static_selectorELNS0_4arch9wavefront6targetE1EEEvT1_ ; -- Begin function _ZN7rocprim17ROCPRIM_400000_NS6detail17trampoline_kernelINS0_14default_configENS1_25transform_config_selectorIlLb0EEEZNS1_14transform_implILb0ES3_S5_NS0_18transform_iteratorINS0_17counting_iteratorImlEEZNS1_24adjacent_difference_implIS3_Lb1ELb0EPlSB_ZN2at6native12_GLOBAL__N_124unique_dim_cuda_templateIaEESt5tupleIJNSC_6TensorESH_SH_EERKSH_lbbbEUlllE1_EE10hipError_tPvRmT2_T3_mT4_P12ihipStream_tbEUlmE_lEESB_NS0_8identityIvEEEESM_SP_SQ_mSR_ST_bEUlT_E_NS1_11comp_targetILNS1_3genE9ELNS1_11target_archE1100ELNS1_3gpuE3ELNS1_3repE0EEENS1_30default_config_static_selectorELNS0_4arch9wavefront6targetE1EEEvT1_
	.p2align	8
	.type	_ZN7rocprim17ROCPRIM_400000_NS6detail17trampoline_kernelINS0_14default_configENS1_25transform_config_selectorIlLb0EEEZNS1_14transform_implILb0ES3_S5_NS0_18transform_iteratorINS0_17counting_iteratorImlEEZNS1_24adjacent_difference_implIS3_Lb1ELb0EPlSB_ZN2at6native12_GLOBAL__N_124unique_dim_cuda_templateIaEESt5tupleIJNSC_6TensorESH_SH_EERKSH_lbbbEUlllE1_EE10hipError_tPvRmT2_T3_mT4_P12ihipStream_tbEUlmE_lEESB_NS0_8identityIvEEEESM_SP_SQ_mSR_ST_bEUlT_E_NS1_11comp_targetILNS1_3genE9ELNS1_11target_archE1100ELNS1_3gpuE3ELNS1_3repE0EEENS1_30default_config_static_selectorELNS0_4arch9wavefront6targetE1EEEvT1_,@function
_ZN7rocprim17ROCPRIM_400000_NS6detail17trampoline_kernelINS0_14default_configENS1_25transform_config_selectorIlLb0EEEZNS1_14transform_implILb0ES3_S5_NS0_18transform_iteratorINS0_17counting_iteratorImlEEZNS1_24adjacent_difference_implIS3_Lb1ELb0EPlSB_ZN2at6native12_GLOBAL__N_124unique_dim_cuda_templateIaEESt5tupleIJNSC_6TensorESH_SH_EERKSH_lbbbEUlllE1_EE10hipError_tPvRmT2_T3_mT4_P12ihipStream_tbEUlmE_lEESB_NS0_8identityIvEEEESM_SP_SQ_mSR_ST_bEUlT_E_NS1_11comp_targetILNS1_3genE9ELNS1_11target_archE1100ELNS1_3gpuE3ELNS1_3repE0EEENS1_30default_config_static_selectorELNS0_4arch9wavefront6targetE1EEEvT1_: ; @_ZN7rocprim17ROCPRIM_400000_NS6detail17trampoline_kernelINS0_14default_configENS1_25transform_config_selectorIlLb0EEEZNS1_14transform_implILb0ES3_S5_NS0_18transform_iteratorINS0_17counting_iteratorImlEEZNS1_24adjacent_difference_implIS3_Lb1ELb0EPlSB_ZN2at6native12_GLOBAL__N_124unique_dim_cuda_templateIaEESt5tupleIJNSC_6TensorESH_SH_EERKSH_lbbbEUlllE1_EE10hipError_tPvRmT2_T3_mT4_P12ihipStream_tbEUlmE_lEESB_NS0_8identityIvEEEESM_SP_SQ_mSR_ST_bEUlT_E_NS1_11comp_targetILNS1_3genE9ELNS1_11target_archE1100ELNS1_3gpuE3ELNS1_3repE0EEENS1_30default_config_static_selectorELNS0_4arch9wavefront6targetE1EEEvT1_
; %bb.0:
	.section	.rodata,"a",@progbits
	.p2align	6, 0x0
	.amdhsa_kernel _ZN7rocprim17ROCPRIM_400000_NS6detail17trampoline_kernelINS0_14default_configENS1_25transform_config_selectorIlLb0EEEZNS1_14transform_implILb0ES3_S5_NS0_18transform_iteratorINS0_17counting_iteratorImlEEZNS1_24adjacent_difference_implIS3_Lb1ELb0EPlSB_ZN2at6native12_GLOBAL__N_124unique_dim_cuda_templateIaEESt5tupleIJNSC_6TensorESH_SH_EERKSH_lbbbEUlllE1_EE10hipError_tPvRmT2_T3_mT4_P12ihipStream_tbEUlmE_lEESB_NS0_8identityIvEEEESM_SP_SQ_mSR_ST_bEUlT_E_NS1_11comp_targetILNS1_3genE9ELNS1_11target_archE1100ELNS1_3gpuE3ELNS1_3repE0EEENS1_30default_config_static_selectorELNS0_4arch9wavefront6targetE1EEEvT1_
		.amdhsa_group_segment_fixed_size 0
		.amdhsa_private_segment_fixed_size 0
		.amdhsa_kernarg_size 56
		.amdhsa_user_sgpr_count 2
		.amdhsa_user_sgpr_dispatch_ptr 0
		.amdhsa_user_sgpr_queue_ptr 0
		.amdhsa_user_sgpr_kernarg_segment_ptr 1
		.amdhsa_user_sgpr_dispatch_id 0
		.amdhsa_user_sgpr_kernarg_preload_length 0
		.amdhsa_user_sgpr_kernarg_preload_offset 0
		.amdhsa_user_sgpr_private_segment_size 0
		.amdhsa_uses_dynamic_stack 0
		.amdhsa_enable_private_segment 0
		.amdhsa_system_sgpr_workgroup_id_x 1
		.amdhsa_system_sgpr_workgroup_id_y 0
		.amdhsa_system_sgpr_workgroup_id_z 0
		.amdhsa_system_sgpr_workgroup_info 0
		.amdhsa_system_vgpr_workitem_id 0
		.amdhsa_next_free_vgpr 1
		.amdhsa_next_free_sgpr 0
		.amdhsa_accum_offset 4
		.amdhsa_reserve_vcc 0
		.amdhsa_float_round_mode_32 0
		.amdhsa_float_round_mode_16_64 0
		.amdhsa_float_denorm_mode_32 3
		.amdhsa_float_denorm_mode_16_64 3
		.amdhsa_dx10_clamp 1
		.amdhsa_ieee_mode 1
		.amdhsa_fp16_overflow 0
		.amdhsa_tg_split 0
		.amdhsa_exception_fp_ieee_invalid_op 0
		.amdhsa_exception_fp_denorm_src 0
		.amdhsa_exception_fp_ieee_div_zero 0
		.amdhsa_exception_fp_ieee_overflow 0
		.amdhsa_exception_fp_ieee_underflow 0
		.amdhsa_exception_fp_ieee_inexact 0
		.amdhsa_exception_int_div_zero 0
	.end_amdhsa_kernel
	.section	.text._ZN7rocprim17ROCPRIM_400000_NS6detail17trampoline_kernelINS0_14default_configENS1_25transform_config_selectorIlLb0EEEZNS1_14transform_implILb0ES3_S5_NS0_18transform_iteratorINS0_17counting_iteratorImlEEZNS1_24adjacent_difference_implIS3_Lb1ELb0EPlSB_ZN2at6native12_GLOBAL__N_124unique_dim_cuda_templateIaEESt5tupleIJNSC_6TensorESH_SH_EERKSH_lbbbEUlllE1_EE10hipError_tPvRmT2_T3_mT4_P12ihipStream_tbEUlmE_lEESB_NS0_8identityIvEEEESM_SP_SQ_mSR_ST_bEUlT_E_NS1_11comp_targetILNS1_3genE9ELNS1_11target_archE1100ELNS1_3gpuE3ELNS1_3repE0EEENS1_30default_config_static_selectorELNS0_4arch9wavefront6targetE1EEEvT1_,"axG",@progbits,_ZN7rocprim17ROCPRIM_400000_NS6detail17trampoline_kernelINS0_14default_configENS1_25transform_config_selectorIlLb0EEEZNS1_14transform_implILb0ES3_S5_NS0_18transform_iteratorINS0_17counting_iteratorImlEEZNS1_24adjacent_difference_implIS3_Lb1ELb0EPlSB_ZN2at6native12_GLOBAL__N_124unique_dim_cuda_templateIaEESt5tupleIJNSC_6TensorESH_SH_EERKSH_lbbbEUlllE1_EE10hipError_tPvRmT2_T3_mT4_P12ihipStream_tbEUlmE_lEESB_NS0_8identityIvEEEESM_SP_SQ_mSR_ST_bEUlT_E_NS1_11comp_targetILNS1_3genE9ELNS1_11target_archE1100ELNS1_3gpuE3ELNS1_3repE0EEENS1_30default_config_static_selectorELNS0_4arch9wavefront6targetE1EEEvT1_,comdat
.Lfunc_end309:
	.size	_ZN7rocprim17ROCPRIM_400000_NS6detail17trampoline_kernelINS0_14default_configENS1_25transform_config_selectorIlLb0EEEZNS1_14transform_implILb0ES3_S5_NS0_18transform_iteratorINS0_17counting_iteratorImlEEZNS1_24adjacent_difference_implIS3_Lb1ELb0EPlSB_ZN2at6native12_GLOBAL__N_124unique_dim_cuda_templateIaEESt5tupleIJNSC_6TensorESH_SH_EERKSH_lbbbEUlllE1_EE10hipError_tPvRmT2_T3_mT4_P12ihipStream_tbEUlmE_lEESB_NS0_8identityIvEEEESM_SP_SQ_mSR_ST_bEUlT_E_NS1_11comp_targetILNS1_3genE9ELNS1_11target_archE1100ELNS1_3gpuE3ELNS1_3repE0EEENS1_30default_config_static_selectorELNS0_4arch9wavefront6targetE1EEEvT1_, .Lfunc_end309-_ZN7rocprim17ROCPRIM_400000_NS6detail17trampoline_kernelINS0_14default_configENS1_25transform_config_selectorIlLb0EEEZNS1_14transform_implILb0ES3_S5_NS0_18transform_iteratorINS0_17counting_iteratorImlEEZNS1_24adjacent_difference_implIS3_Lb1ELb0EPlSB_ZN2at6native12_GLOBAL__N_124unique_dim_cuda_templateIaEESt5tupleIJNSC_6TensorESH_SH_EERKSH_lbbbEUlllE1_EE10hipError_tPvRmT2_T3_mT4_P12ihipStream_tbEUlmE_lEESB_NS0_8identityIvEEEESM_SP_SQ_mSR_ST_bEUlT_E_NS1_11comp_targetILNS1_3genE9ELNS1_11target_archE1100ELNS1_3gpuE3ELNS1_3repE0EEENS1_30default_config_static_selectorELNS0_4arch9wavefront6targetE1EEEvT1_
                                        ; -- End function
	.set _ZN7rocprim17ROCPRIM_400000_NS6detail17trampoline_kernelINS0_14default_configENS1_25transform_config_selectorIlLb0EEEZNS1_14transform_implILb0ES3_S5_NS0_18transform_iteratorINS0_17counting_iteratorImlEEZNS1_24adjacent_difference_implIS3_Lb1ELb0EPlSB_ZN2at6native12_GLOBAL__N_124unique_dim_cuda_templateIaEESt5tupleIJNSC_6TensorESH_SH_EERKSH_lbbbEUlllE1_EE10hipError_tPvRmT2_T3_mT4_P12ihipStream_tbEUlmE_lEESB_NS0_8identityIvEEEESM_SP_SQ_mSR_ST_bEUlT_E_NS1_11comp_targetILNS1_3genE9ELNS1_11target_archE1100ELNS1_3gpuE3ELNS1_3repE0EEENS1_30default_config_static_selectorELNS0_4arch9wavefront6targetE1EEEvT1_.num_vgpr, 0
	.set _ZN7rocprim17ROCPRIM_400000_NS6detail17trampoline_kernelINS0_14default_configENS1_25transform_config_selectorIlLb0EEEZNS1_14transform_implILb0ES3_S5_NS0_18transform_iteratorINS0_17counting_iteratorImlEEZNS1_24adjacent_difference_implIS3_Lb1ELb0EPlSB_ZN2at6native12_GLOBAL__N_124unique_dim_cuda_templateIaEESt5tupleIJNSC_6TensorESH_SH_EERKSH_lbbbEUlllE1_EE10hipError_tPvRmT2_T3_mT4_P12ihipStream_tbEUlmE_lEESB_NS0_8identityIvEEEESM_SP_SQ_mSR_ST_bEUlT_E_NS1_11comp_targetILNS1_3genE9ELNS1_11target_archE1100ELNS1_3gpuE3ELNS1_3repE0EEENS1_30default_config_static_selectorELNS0_4arch9wavefront6targetE1EEEvT1_.num_agpr, 0
	.set _ZN7rocprim17ROCPRIM_400000_NS6detail17trampoline_kernelINS0_14default_configENS1_25transform_config_selectorIlLb0EEEZNS1_14transform_implILb0ES3_S5_NS0_18transform_iteratorINS0_17counting_iteratorImlEEZNS1_24adjacent_difference_implIS3_Lb1ELb0EPlSB_ZN2at6native12_GLOBAL__N_124unique_dim_cuda_templateIaEESt5tupleIJNSC_6TensorESH_SH_EERKSH_lbbbEUlllE1_EE10hipError_tPvRmT2_T3_mT4_P12ihipStream_tbEUlmE_lEESB_NS0_8identityIvEEEESM_SP_SQ_mSR_ST_bEUlT_E_NS1_11comp_targetILNS1_3genE9ELNS1_11target_archE1100ELNS1_3gpuE3ELNS1_3repE0EEENS1_30default_config_static_selectorELNS0_4arch9wavefront6targetE1EEEvT1_.numbered_sgpr, 0
	.set _ZN7rocprim17ROCPRIM_400000_NS6detail17trampoline_kernelINS0_14default_configENS1_25transform_config_selectorIlLb0EEEZNS1_14transform_implILb0ES3_S5_NS0_18transform_iteratorINS0_17counting_iteratorImlEEZNS1_24adjacent_difference_implIS3_Lb1ELb0EPlSB_ZN2at6native12_GLOBAL__N_124unique_dim_cuda_templateIaEESt5tupleIJNSC_6TensorESH_SH_EERKSH_lbbbEUlllE1_EE10hipError_tPvRmT2_T3_mT4_P12ihipStream_tbEUlmE_lEESB_NS0_8identityIvEEEESM_SP_SQ_mSR_ST_bEUlT_E_NS1_11comp_targetILNS1_3genE9ELNS1_11target_archE1100ELNS1_3gpuE3ELNS1_3repE0EEENS1_30default_config_static_selectorELNS0_4arch9wavefront6targetE1EEEvT1_.num_named_barrier, 0
	.set _ZN7rocprim17ROCPRIM_400000_NS6detail17trampoline_kernelINS0_14default_configENS1_25transform_config_selectorIlLb0EEEZNS1_14transform_implILb0ES3_S5_NS0_18transform_iteratorINS0_17counting_iteratorImlEEZNS1_24adjacent_difference_implIS3_Lb1ELb0EPlSB_ZN2at6native12_GLOBAL__N_124unique_dim_cuda_templateIaEESt5tupleIJNSC_6TensorESH_SH_EERKSH_lbbbEUlllE1_EE10hipError_tPvRmT2_T3_mT4_P12ihipStream_tbEUlmE_lEESB_NS0_8identityIvEEEESM_SP_SQ_mSR_ST_bEUlT_E_NS1_11comp_targetILNS1_3genE9ELNS1_11target_archE1100ELNS1_3gpuE3ELNS1_3repE0EEENS1_30default_config_static_selectorELNS0_4arch9wavefront6targetE1EEEvT1_.private_seg_size, 0
	.set _ZN7rocprim17ROCPRIM_400000_NS6detail17trampoline_kernelINS0_14default_configENS1_25transform_config_selectorIlLb0EEEZNS1_14transform_implILb0ES3_S5_NS0_18transform_iteratorINS0_17counting_iteratorImlEEZNS1_24adjacent_difference_implIS3_Lb1ELb0EPlSB_ZN2at6native12_GLOBAL__N_124unique_dim_cuda_templateIaEESt5tupleIJNSC_6TensorESH_SH_EERKSH_lbbbEUlllE1_EE10hipError_tPvRmT2_T3_mT4_P12ihipStream_tbEUlmE_lEESB_NS0_8identityIvEEEESM_SP_SQ_mSR_ST_bEUlT_E_NS1_11comp_targetILNS1_3genE9ELNS1_11target_archE1100ELNS1_3gpuE3ELNS1_3repE0EEENS1_30default_config_static_selectorELNS0_4arch9wavefront6targetE1EEEvT1_.uses_vcc, 0
	.set _ZN7rocprim17ROCPRIM_400000_NS6detail17trampoline_kernelINS0_14default_configENS1_25transform_config_selectorIlLb0EEEZNS1_14transform_implILb0ES3_S5_NS0_18transform_iteratorINS0_17counting_iteratorImlEEZNS1_24adjacent_difference_implIS3_Lb1ELb0EPlSB_ZN2at6native12_GLOBAL__N_124unique_dim_cuda_templateIaEESt5tupleIJNSC_6TensorESH_SH_EERKSH_lbbbEUlllE1_EE10hipError_tPvRmT2_T3_mT4_P12ihipStream_tbEUlmE_lEESB_NS0_8identityIvEEEESM_SP_SQ_mSR_ST_bEUlT_E_NS1_11comp_targetILNS1_3genE9ELNS1_11target_archE1100ELNS1_3gpuE3ELNS1_3repE0EEENS1_30default_config_static_selectorELNS0_4arch9wavefront6targetE1EEEvT1_.uses_flat_scratch, 0
	.set _ZN7rocprim17ROCPRIM_400000_NS6detail17trampoline_kernelINS0_14default_configENS1_25transform_config_selectorIlLb0EEEZNS1_14transform_implILb0ES3_S5_NS0_18transform_iteratorINS0_17counting_iteratorImlEEZNS1_24adjacent_difference_implIS3_Lb1ELb0EPlSB_ZN2at6native12_GLOBAL__N_124unique_dim_cuda_templateIaEESt5tupleIJNSC_6TensorESH_SH_EERKSH_lbbbEUlllE1_EE10hipError_tPvRmT2_T3_mT4_P12ihipStream_tbEUlmE_lEESB_NS0_8identityIvEEEESM_SP_SQ_mSR_ST_bEUlT_E_NS1_11comp_targetILNS1_3genE9ELNS1_11target_archE1100ELNS1_3gpuE3ELNS1_3repE0EEENS1_30default_config_static_selectorELNS0_4arch9wavefront6targetE1EEEvT1_.has_dyn_sized_stack, 0
	.set _ZN7rocprim17ROCPRIM_400000_NS6detail17trampoline_kernelINS0_14default_configENS1_25transform_config_selectorIlLb0EEEZNS1_14transform_implILb0ES3_S5_NS0_18transform_iteratorINS0_17counting_iteratorImlEEZNS1_24adjacent_difference_implIS3_Lb1ELb0EPlSB_ZN2at6native12_GLOBAL__N_124unique_dim_cuda_templateIaEESt5tupleIJNSC_6TensorESH_SH_EERKSH_lbbbEUlllE1_EE10hipError_tPvRmT2_T3_mT4_P12ihipStream_tbEUlmE_lEESB_NS0_8identityIvEEEESM_SP_SQ_mSR_ST_bEUlT_E_NS1_11comp_targetILNS1_3genE9ELNS1_11target_archE1100ELNS1_3gpuE3ELNS1_3repE0EEENS1_30default_config_static_selectorELNS0_4arch9wavefront6targetE1EEEvT1_.has_recursion, 0
	.set _ZN7rocprim17ROCPRIM_400000_NS6detail17trampoline_kernelINS0_14default_configENS1_25transform_config_selectorIlLb0EEEZNS1_14transform_implILb0ES3_S5_NS0_18transform_iteratorINS0_17counting_iteratorImlEEZNS1_24adjacent_difference_implIS3_Lb1ELb0EPlSB_ZN2at6native12_GLOBAL__N_124unique_dim_cuda_templateIaEESt5tupleIJNSC_6TensorESH_SH_EERKSH_lbbbEUlllE1_EE10hipError_tPvRmT2_T3_mT4_P12ihipStream_tbEUlmE_lEESB_NS0_8identityIvEEEESM_SP_SQ_mSR_ST_bEUlT_E_NS1_11comp_targetILNS1_3genE9ELNS1_11target_archE1100ELNS1_3gpuE3ELNS1_3repE0EEENS1_30default_config_static_selectorELNS0_4arch9wavefront6targetE1EEEvT1_.has_indirect_call, 0
	.section	.AMDGPU.csdata,"",@progbits
; Kernel info:
; codeLenInByte = 0
; TotalNumSgprs: 6
; NumVgprs: 0
; NumAgprs: 0
; TotalNumVgprs: 0
; ScratchSize: 0
; MemoryBound: 0
; FloatMode: 240
; IeeeMode: 1
; LDSByteSize: 0 bytes/workgroup (compile time only)
; SGPRBlocks: 0
; VGPRBlocks: 0
; NumSGPRsForWavesPerEU: 6
; NumVGPRsForWavesPerEU: 1
; AccumOffset: 4
; Occupancy: 8
; WaveLimiterHint : 0
; COMPUTE_PGM_RSRC2:SCRATCH_EN: 0
; COMPUTE_PGM_RSRC2:USER_SGPR: 2
; COMPUTE_PGM_RSRC2:TRAP_HANDLER: 0
; COMPUTE_PGM_RSRC2:TGID_X_EN: 1
; COMPUTE_PGM_RSRC2:TGID_Y_EN: 0
; COMPUTE_PGM_RSRC2:TGID_Z_EN: 0
; COMPUTE_PGM_RSRC2:TIDIG_COMP_CNT: 0
; COMPUTE_PGM_RSRC3_GFX90A:ACCUM_OFFSET: 0
; COMPUTE_PGM_RSRC3_GFX90A:TG_SPLIT: 0
	.section	.text._ZN7rocprim17ROCPRIM_400000_NS6detail17trampoline_kernelINS0_14default_configENS1_25transform_config_selectorIlLb0EEEZNS1_14transform_implILb0ES3_S5_NS0_18transform_iteratorINS0_17counting_iteratorImlEEZNS1_24adjacent_difference_implIS3_Lb1ELb0EPlSB_ZN2at6native12_GLOBAL__N_124unique_dim_cuda_templateIaEESt5tupleIJNSC_6TensorESH_SH_EERKSH_lbbbEUlllE1_EE10hipError_tPvRmT2_T3_mT4_P12ihipStream_tbEUlmE_lEESB_NS0_8identityIvEEEESM_SP_SQ_mSR_ST_bEUlT_E_NS1_11comp_targetILNS1_3genE8ELNS1_11target_archE1030ELNS1_3gpuE2ELNS1_3repE0EEENS1_30default_config_static_selectorELNS0_4arch9wavefront6targetE1EEEvT1_,"axG",@progbits,_ZN7rocprim17ROCPRIM_400000_NS6detail17trampoline_kernelINS0_14default_configENS1_25transform_config_selectorIlLb0EEEZNS1_14transform_implILb0ES3_S5_NS0_18transform_iteratorINS0_17counting_iteratorImlEEZNS1_24adjacent_difference_implIS3_Lb1ELb0EPlSB_ZN2at6native12_GLOBAL__N_124unique_dim_cuda_templateIaEESt5tupleIJNSC_6TensorESH_SH_EERKSH_lbbbEUlllE1_EE10hipError_tPvRmT2_T3_mT4_P12ihipStream_tbEUlmE_lEESB_NS0_8identityIvEEEESM_SP_SQ_mSR_ST_bEUlT_E_NS1_11comp_targetILNS1_3genE8ELNS1_11target_archE1030ELNS1_3gpuE2ELNS1_3repE0EEENS1_30default_config_static_selectorELNS0_4arch9wavefront6targetE1EEEvT1_,comdat
	.globl	_ZN7rocprim17ROCPRIM_400000_NS6detail17trampoline_kernelINS0_14default_configENS1_25transform_config_selectorIlLb0EEEZNS1_14transform_implILb0ES3_S5_NS0_18transform_iteratorINS0_17counting_iteratorImlEEZNS1_24adjacent_difference_implIS3_Lb1ELb0EPlSB_ZN2at6native12_GLOBAL__N_124unique_dim_cuda_templateIaEESt5tupleIJNSC_6TensorESH_SH_EERKSH_lbbbEUlllE1_EE10hipError_tPvRmT2_T3_mT4_P12ihipStream_tbEUlmE_lEESB_NS0_8identityIvEEEESM_SP_SQ_mSR_ST_bEUlT_E_NS1_11comp_targetILNS1_3genE8ELNS1_11target_archE1030ELNS1_3gpuE2ELNS1_3repE0EEENS1_30default_config_static_selectorELNS0_4arch9wavefront6targetE1EEEvT1_ ; -- Begin function _ZN7rocprim17ROCPRIM_400000_NS6detail17trampoline_kernelINS0_14default_configENS1_25transform_config_selectorIlLb0EEEZNS1_14transform_implILb0ES3_S5_NS0_18transform_iteratorINS0_17counting_iteratorImlEEZNS1_24adjacent_difference_implIS3_Lb1ELb0EPlSB_ZN2at6native12_GLOBAL__N_124unique_dim_cuda_templateIaEESt5tupleIJNSC_6TensorESH_SH_EERKSH_lbbbEUlllE1_EE10hipError_tPvRmT2_T3_mT4_P12ihipStream_tbEUlmE_lEESB_NS0_8identityIvEEEESM_SP_SQ_mSR_ST_bEUlT_E_NS1_11comp_targetILNS1_3genE8ELNS1_11target_archE1030ELNS1_3gpuE2ELNS1_3repE0EEENS1_30default_config_static_selectorELNS0_4arch9wavefront6targetE1EEEvT1_
	.p2align	8
	.type	_ZN7rocprim17ROCPRIM_400000_NS6detail17trampoline_kernelINS0_14default_configENS1_25transform_config_selectorIlLb0EEEZNS1_14transform_implILb0ES3_S5_NS0_18transform_iteratorINS0_17counting_iteratorImlEEZNS1_24adjacent_difference_implIS3_Lb1ELb0EPlSB_ZN2at6native12_GLOBAL__N_124unique_dim_cuda_templateIaEESt5tupleIJNSC_6TensorESH_SH_EERKSH_lbbbEUlllE1_EE10hipError_tPvRmT2_T3_mT4_P12ihipStream_tbEUlmE_lEESB_NS0_8identityIvEEEESM_SP_SQ_mSR_ST_bEUlT_E_NS1_11comp_targetILNS1_3genE8ELNS1_11target_archE1030ELNS1_3gpuE2ELNS1_3repE0EEENS1_30default_config_static_selectorELNS0_4arch9wavefront6targetE1EEEvT1_,@function
_ZN7rocprim17ROCPRIM_400000_NS6detail17trampoline_kernelINS0_14default_configENS1_25transform_config_selectorIlLb0EEEZNS1_14transform_implILb0ES3_S5_NS0_18transform_iteratorINS0_17counting_iteratorImlEEZNS1_24adjacent_difference_implIS3_Lb1ELb0EPlSB_ZN2at6native12_GLOBAL__N_124unique_dim_cuda_templateIaEESt5tupleIJNSC_6TensorESH_SH_EERKSH_lbbbEUlllE1_EE10hipError_tPvRmT2_T3_mT4_P12ihipStream_tbEUlmE_lEESB_NS0_8identityIvEEEESM_SP_SQ_mSR_ST_bEUlT_E_NS1_11comp_targetILNS1_3genE8ELNS1_11target_archE1030ELNS1_3gpuE2ELNS1_3repE0EEENS1_30default_config_static_selectorELNS0_4arch9wavefront6targetE1EEEvT1_: ; @_ZN7rocprim17ROCPRIM_400000_NS6detail17trampoline_kernelINS0_14default_configENS1_25transform_config_selectorIlLb0EEEZNS1_14transform_implILb0ES3_S5_NS0_18transform_iteratorINS0_17counting_iteratorImlEEZNS1_24adjacent_difference_implIS3_Lb1ELb0EPlSB_ZN2at6native12_GLOBAL__N_124unique_dim_cuda_templateIaEESt5tupleIJNSC_6TensorESH_SH_EERKSH_lbbbEUlllE1_EE10hipError_tPvRmT2_T3_mT4_P12ihipStream_tbEUlmE_lEESB_NS0_8identityIvEEEESM_SP_SQ_mSR_ST_bEUlT_E_NS1_11comp_targetILNS1_3genE8ELNS1_11target_archE1030ELNS1_3gpuE2ELNS1_3repE0EEENS1_30default_config_static_selectorELNS0_4arch9wavefront6targetE1EEEvT1_
; %bb.0:
	.section	.rodata,"a",@progbits
	.p2align	6, 0x0
	.amdhsa_kernel _ZN7rocprim17ROCPRIM_400000_NS6detail17trampoline_kernelINS0_14default_configENS1_25transform_config_selectorIlLb0EEEZNS1_14transform_implILb0ES3_S5_NS0_18transform_iteratorINS0_17counting_iteratorImlEEZNS1_24adjacent_difference_implIS3_Lb1ELb0EPlSB_ZN2at6native12_GLOBAL__N_124unique_dim_cuda_templateIaEESt5tupleIJNSC_6TensorESH_SH_EERKSH_lbbbEUlllE1_EE10hipError_tPvRmT2_T3_mT4_P12ihipStream_tbEUlmE_lEESB_NS0_8identityIvEEEESM_SP_SQ_mSR_ST_bEUlT_E_NS1_11comp_targetILNS1_3genE8ELNS1_11target_archE1030ELNS1_3gpuE2ELNS1_3repE0EEENS1_30default_config_static_selectorELNS0_4arch9wavefront6targetE1EEEvT1_
		.amdhsa_group_segment_fixed_size 0
		.amdhsa_private_segment_fixed_size 0
		.amdhsa_kernarg_size 56
		.amdhsa_user_sgpr_count 2
		.amdhsa_user_sgpr_dispatch_ptr 0
		.amdhsa_user_sgpr_queue_ptr 0
		.amdhsa_user_sgpr_kernarg_segment_ptr 1
		.amdhsa_user_sgpr_dispatch_id 0
		.amdhsa_user_sgpr_kernarg_preload_length 0
		.amdhsa_user_sgpr_kernarg_preload_offset 0
		.amdhsa_user_sgpr_private_segment_size 0
		.amdhsa_uses_dynamic_stack 0
		.amdhsa_enable_private_segment 0
		.amdhsa_system_sgpr_workgroup_id_x 1
		.amdhsa_system_sgpr_workgroup_id_y 0
		.amdhsa_system_sgpr_workgroup_id_z 0
		.amdhsa_system_sgpr_workgroup_info 0
		.amdhsa_system_vgpr_workitem_id 0
		.amdhsa_next_free_vgpr 1
		.amdhsa_next_free_sgpr 0
		.amdhsa_accum_offset 4
		.amdhsa_reserve_vcc 0
		.amdhsa_float_round_mode_32 0
		.amdhsa_float_round_mode_16_64 0
		.amdhsa_float_denorm_mode_32 3
		.amdhsa_float_denorm_mode_16_64 3
		.amdhsa_dx10_clamp 1
		.amdhsa_ieee_mode 1
		.amdhsa_fp16_overflow 0
		.amdhsa_tg_split 0
		.amdhsa_exception_fp_ieee_invalid_op 0
		.amdhsa_exception_fp_denorm_src 0
		.amdhsa_exception_fp_ieee_div_zero 0
		.amdhsa_exception_fp_ieee_overflow 0
		.amdhsa_exception_fp_ieee_underflow 0
		.amdhsa_exception_fp_ieee_inexact 0
		.amdhsa_exception_int_div_zero 0
	.end_amdhsa_kernel
	.section	.text._ZN7rocprim17ROCPRIM_400000_NS6detail17trampoline_kernelINS0_14default_configENS1_25transform_config_selectorIlLb0EEEZNS1_14transform_implILb0ES3_S5_NS0_18transform_iteratorINS0_17counting_iteratorImlEEZNS1_24adjacent_difference_implIS3_Lb1ELb0EPlSB_ZN2at6native12_GLOBAL__N_124unique_dim_cuda_templateIaEESt5tupleIJNSC_6TensorESH_SH_EERKSH_lbbbEUlllE1_EE10hipError_tPvRmT2_T3_mT4_P12ihipStream_tbEUlmE_lEESB_NS0_8identityIvEEEESM_SP_SQ_mSR_ST_bEUlT_E_NS1_11comp_targetILNS1_3genE8ELNS1_11target_archE1030ELNS1_3gpuE2ELNS1_3repE0EEENS1_30default_config_static_selectorELNS0_4arch9wavefront6targetE1EEEvT1_,"axG",@progbits,_ZN7rocprim17ROCPRIM_400000_NS6detail17trampoline_kernelINS0_14default_configENS1_25transform_config_selectorIlLb0EEEZNS1_14transform_implILb0ES3_S5_NS0_18transform_iteratorINS0_17counting_iteratorImlEEZNS1_24adjacent_difference_implIS3_Lb1ELb0EPlSB_ZN2at6native12_GLOBAL__N_124unique_dim_cuda_templateIaEESt5tupleIJNSC_6TensorESH_SH_EERKSH_lbbbEUlllE1_EE10hipError_tPvRmT2_T3_mT4_P12ihipStream_tbEUlmE_lEESB_NS0_8identityIvEEEESM_SP_SQ_mSR_ST_bEUlT_E_NS1_11comp_targetILNS1_3genE8ELNS1_11target_archE1030ELNS1_3gpuE2ELNS1_3repE0EEENS1_30default_config_static_selectorELNS0_4arch9wavefront6targetE1EEEvT1_,comdat
.Lfunc_end310:
	.size	_ZN7rocprim17ROCPRIM_400000_NS6detail17trampoline_kernelINS0_14default_configENS1_25transform_config_selectorIlLb0EEEZNS1_14transform_implILb0ES3_S5_NS0_18transform_iteratorINS0_17counting_iteratorImlEEZNS1_24adjacent_difference_implIS3_Lb1ELb0EPlSB_ZN2at6native12_GLOBAL__N_124unique_dim_cuda_templateIaEESt5tupleIJNSC_6TensorESH_SH_EERKSH_lbbbEUlllE1_EE10hipError_tPvRmT2_T3_mT4_P12ihipStream_tbEUlmE_lEESB_NS0_8identityIvEEEESM_SP_SQ_mSR_ST_bEUlT_E_NS1_11comp_targetILNS1_3genE8ELNS1_11target_archE1030ELNS1_3gpuE2ELNS1_3repE0EEENS1_30default_config_static_selectorELNS0_4arch9wavefront6targetE1EEEvT1_, .Lfunc_end310-_ZN7rocprim17ROCPRIM_400000_NS6detail17trampoline_kernelINS0_14default_configENS1_25transform_config_selectorIlLb0EEEZNS1_14transform_implILb0ES3_S5_NS0_18transform_iteratorINS0_17counting_iteratorImlEEZNS1_24adjacent_difference_implIS3_Lb1ELb0EPlSB_ZN2at6native12_GLOBAL__N_124unique_dim_cuda_templateIaEESt5tupleIJNSC_6TensorESH_SH_EERKSH_lbbbEUlllE1_EE10hipError_tPvRmT2_T3_mT4_P12ihipStream_tbEUlmE_lEESB_NS0_8identityIvEEEESM_SP_SQ_mSR_ST_bEUlT_E_NS1_11comp_targetILNS1_3genE8ELNS1_11target_archE1030ELNS1_3gpuE2ELNS1_3repE0EEENS1_30default_config_static_selectorELNS0_4arch9wavefront6targetE1EEEvT1_
                                        ; -- End function
	.set _ZN7rocprim17ROCPRIM_400000_NS6detail17trampoline_kernelINS0_14default_configENS1_25transform_config_selectorIlLb0EEEZNS1_14transform_implILb0ES3_S5_NS0_18transform_iteratorINS0_17counting_iteratorImlEEZNS1_24adjacent_difference_implIS3_Lb1ELb0EPlSB_ZN2at6native12_GLOBAL__N_124unique_dim_cuda_templateIaEESt5tupleIJNSC_6TensorESH_SH_EERKSH_lbbbEUlllE1_EE10hipError_tPvRmT2_T3_mT4_P12ihipStream_tbEUlmE_lEESB_NS0_8identityIvEEEESM_SP_SQ_mSR_ST_bEUlT_E_NS1_11comp_targetILNS1_3genE8ELNS1_11target_archE1030ELNS1_3gpuE2ELNS1_3repE0EEENS1_30default_config_static_selectorELNS0_4arch9wavefront6targetE1EEEvT1_.num_vgpr, 0
	.set _ZN7rocprim17ROCPRIM_400000_NS6detail17trampoline_kernelINS0_14default_configENS1_25transform_config_selectorIlLb0EEEZNS1_14transform_implILb0ES3_S5_NS0_18transform_iteratorINS0_17counting_iteratorImlEEZNS1_24adjacent_difference_implIS3_Lb1ELb0EPlSB_ZN2at6native12_GLOBAL__N_124unique_dim_cuda_templateIaEESt5tupleIJNSC_6TensorESH_SH_EERKSH_lbbbEUlllE1_EE10hipError_tPvRmT2_T3_mT4_P12ihipStream_tbEUlmE_lEESB_NS0_8identityIvEEEESM_SP_SQ_mSR_ST_bEUlT_E_NS1_11comp_targetILNS1_3genE8ELNS1_11target_archE1030ELNS1_3gpuE2ELNS1_3repE0EEENS1_30default_config_static_selectorELNS0_4arch9wavefront6targetE1EEEvT1_.num_agpr, 0
	.set _ZN7rocprim17ROCPRIM_400000_NS6detail17trampoline_kernelINS0_14default_configENS1_25transform_config_selectorIlLb0EEEZNS1_14transform_implILb0ES3_S5_NS0_18transform_iteratorINS0_17counting_iteratorImlEEZNS1_24adjacent_difference_implIS3_Lb1ELb0EPlSB_ZN2at6native12_GLOBAL__N_124unique_dim_cuda_templateIaEESt5tupleIJNSC_6TensorESH_SH_EERKSH_lbbbEUlllE1_EE10hipError_tPvRmT2_T3_mT4_P12ihipStream_tbEUlmE_lEESB_NS0_8identityIvEEEESM_SP_SQ_mSR_ST_bEUlT_E_NS1_11comp_targetILNS1_3genE8ELNS1_11target_archE1030ELNS1_3gpuE2ELNS1_3repE0EEENS1_30default_config_static_selectorELNS0_4arch9wavefront6targetE1EEEvT1_.numbered_sgpr, 0
	.set _ZN7rocprim17ROCPRIM_400000_NS6detail17trampoline_kernelINS0_14default_configENS1_25transform_config_selectorIlLb0EEEZNS1_14transform_implILb0ES3_S5_NS0_18transform_iteratorINS0_17counting_iteratorImlEEZNS1_24adjacent_difference_implIS3_Lb1ELb0EPlSB_ZN2at6native12_GLOBAL__N_124unique_dim_cuda_templateIaEESt5tupleIJNSC_6TensorESH_SH_EERKSH_lbbbEUlllE1_EE10hipError_tPvRmT2_T3_mT4_P12ihipStream_tbEUlmE_lEESB_NS0_8identityIvEEEESM_SP_SQ_mSR_ST_bEUlT_E_NS1_11comp_targetILNS1_3genE8ELNS1_11target_archE1030ELNS1_3gpuE2ELNS1_3repE0EEENS1_30default_config_static_selectorELNS0_4arch9wavefront6targetE1EEEvT1_.num_named_barrier, 0
	.set _ZN7rocprim17ROCPRIM_400000_NS6detail17trampoline_kernelINS0_14default_configENS1_25transform_config_selectorIlLb0EEEZNS1_14transform_implILb0ES3_S5_NS0_18transform_iteratorINS0_17counting_iteratorImlEEZNS1_24adjacent_difference_implIS3_Lb1ELb0EPlSB_ZN2at6native12_GLOBAL__N_124unique_dim_cuda_templateIaEESt5tupleIJNSC_6TensorESH_SH_EERKSH_lbbbEUlllE1_EE10hipError_tPvRmT2_T3_mT4_P12ihipStream_tbEUlmE_lEESB_NS0_8identityIvEEEESM_SP_SQ_mSR_ST_bEUlT_E_NS1_11comp_targetILNS1_3genE8ELNS1_11target_archE1030ELNS1_3gpuE2ELNS1_3repE0EEENS1_30default_config_static_selectorELNS0_4arch9wavefront6targetE1EEEvT1_.private_seg_size, 0
	.set _ZN7rocprim17ROCPRIM_400000_NS6detail17trampoline_kernelINS0_14default_configENS1_25transform_config_selectorIlLb0EEEZNS1_14transform_implILb0ES3_S5_NS0_18transform_iteratorINS0_17counting_iteratorImlEEZNS1_24adjacent_difference_implIS3_Lb1ELb0EPlSB_ZN2at6native12_GLOBAL__N_124unique_dim_cuda_templateIaEESt5tupleIJNSC_6TensorESH_SH_EERKSH_lbbbEUlllE1_EE10hipError_tPvRmT2_T3_mT4_P12ihipStream_tbEUlmE_lEESB_NS0_8identityIvEEEESM_SP_SQ_mSR_ST_bEUlT_E_NS1_11comp_targetILNS1_3genE8ELNS1_11target_archE1030ELNS1_3gpuE2ELNS1_3repE0EEENS1_30default_config_static_selectorELNS0_4arch9wavefront6targetE1EEEvT1_.uses_vcc, 0
	.set _ZN7rocprim17ROCPRIM_400000_NS6detail17trampoline_kernelINS0_14default_configENS1_25transform_config_selectorIlLb0EEEZNS1_14transform_implILb0ES3_S5_NS0_18transform_iteratorINS0_17counting_iteratorImlEEZNS1_24adjacent_difference_implIS3_Lb1ELb0EPlSB_ZN2at6native12_GLOBAL__N_124unique_dim_cuda_templateIaEESt5tupleIJNSC_6TensorESH_SH_EERKSH_lbbbEUlllE1_EE10hipError_tPvRmT2_T3_mT4_P12ihipStream_tbEUlmE_lEESB_NS0_8identityIvEEEESM_SP_SQ_mSR_ST_bEUlT_E_NS1_11comp_targetILNS1_3genE8ELNS1_11target_archE1030ELNS1_3gpuE2ELNS1_3repE0EEENS1_30default_config_static_selectorELNS0_4arch9wavefront6targetE1EEEvT1_.uses_flat_scratch, 0
	.set _ZN7rocprim17ROCPRIM_400000_NS6detail17trampoline_kernelINS0_14default_configENS1_25transform_config_selectorIlLb0EEEZNS1_14transform_implILb0ES3_S5_NS0_18transform_iteratorINS0_17counting_iteratorImlEEZNS1_24adjacent_difference_implIS3_Lb1ELb0EPlSB_ZN2at6native12_GLOBAL__N_124unique_dim_cuda_templateIaEESt5tupleIJNSC_6TensorESH_SH_EERKSH_lbbbEUlllE1_EE10hipError_tPvRmT2_T3_mT4_P12ihipStream_tbEUlmE_lEESB_NS0_8identityIvEEEESM_SP_SQ_mSR_ST_bEUlT_E_NS1_11comp_targetILNS1_3genE8ELNS1_11target_archE1030ELNS1_3gpuE2ELNS1_3repE0EEENS1_30default_config_static_selectorELNS0_4arch9wavefront6targetE1EEEvT1_.has_dyn_sized_stack, 0
	.set _ZN7rocprim17ROCPRIM_400000_NS6detail17trampoline_kernelINS0_14default_configENS1_25transform_config_selectorIlLb0EEEZNS1_14transform_implILb0ES3_S5_NS0_18transform_iteratorINS0_17counting_iteratorImlEEZNS1_24adjacent_difference_implIS3_Lb1ELb0EPlSB_ZN2at6native12_GLOBAL__N_124unique_dim_cuda_templateIaEESt5tupleIJNSC_6TensorESH_SH_EERKSH_lbbbEUlllE1_EE10hipError_tPvRmT2_T3_mT4_P12ihipStream_tbEUlmE_lEESB_NS0_8identityIvEEEESM_SP_SQ_mSR_ST_bEUlT_E_NS1_11comp_targetILNS1_3genE8ELNS1_11target_archE1030ELNS1_3gpuE2ELNS1_3repE0EEENS1_30default_config_static_selectorELNS0_4arch9wavefront6targetE1EEEvT1_.has_recursion, 0
	.set _ZN7rocprim17ROCPRIM_400000_NS6detail17trampoline_kernelINS0_14default_configENS1_25transform_config_selectorIlLb0EEEZNS1_14transform_implILb0ES3_S5_NS0_18transform_iteratorINS0_17counting_iteratorImlEEZNS1_24adjacent_difference_implIS3_Lb1ELb0EPlSB_ZN2at6native12_GLOBAL__N_124unique_dim_cuda_templateIaEESt5tupleIJNSC_6TensorESH_SH_EERKSH_lbbbEUlllE1_EE10hipError_tPvRmT2_T3_mT4_P12ihipStream_tbEUlmE_lEESB_NS0_8identityIvEEEESM_SP_SQ_mSR_ST_bEUlT_E_NS1_11comp_targetILNS1_3genE8ELNS1_11target_archE1030ELNS1_3gpuE2ELNS1_3repE0EEENS1_30default_config_static_selectorELNS0_4arch9wavefront6targetE1EEEvT1_.has_indirect_call, 0
	.section	.AMDGPU.csdata,"",@progbits
; Kernel info:
; codeLenInByte = 0
; TotalNumSgprs: 6
; NumVgprs: 0
; NumAgprs: 0
; TotalNumVgprs: 0
; ScratchSize: 0
; MemoryBound: 0
; FloatMode: 240
; IeeeMode: 1
; LDSByteSize: 0 bytes/workgroup (compile time only)
; SGPRBlocks: 0
; VGPRBlocks: 0
; NumSGPRsForWavesPerEU: 6
; NumVGPRsForWavesPerEU: 1
; AccumOffset: 4
; Occupancy: 8
; WaveLimiterHint : 0
; COMPUTE_PGM_RSRC2:SCRATCH_EN: 0
; COMPUTE_PGM_RSRC2:USER_SGPR: 2
; COMPUTE_PGM_RSRC2:TRAP_HANDLER: 0
; COMPUTE_PGM_RSRC2:TGID_X_EN: 1
; COMPUTE_PGM_RSRC2:TGID_Y_EN: 0
; COMPUTE_PGM_RSRC2:TGID_Z_EN: 0
; COMPUTE_PGM_RSRC2:TIDIG_COMP_CNT: 0
; COMPUTE_PGM_RSRC3_GFX90A:ACCUM_OFFSET: 0
; COMPUTE_PGM_RSRC3_GFX90A:TG_SPLIT: 0
	.section	.text._ZN7rocprim17ROCPRIM_400000_NS6detail17trampoline_kernelINS0_14default_configENS1_35adjacent_difference_config_selectorILb1ElEEZNS1_24adjacent_difference_implIS3_Lb1ELb0EPlS7_ZN2at6native12_GLOBAL__N_124unique_dim_cuda_templateIaEESt5tupleIJNS8_6TensorESD_SD_EERKSD_lbbbEUlllE1_EE10hipError_tPvRmT2_T3_mT4_P12ihipStream_tbEUlT_E_NS1_11comp_targetILNS1_3genE0ELNS1_11target_archE4294967295ELNS1_3gpuE0ELNS1_3repE0EEENS1_30default_config_static_selectorELNS0_4arch9wavefront6targetE1EEEvT1_,"axG",@progbits,_ZN7rocprim17ROCPRIM_400000_NS6detail17trampoline_kernelINS0_14default_configENS1_35adjacent_difference_config_selectorILb1ElEEZNS1_24adjacent_difference_implIS3_Lb1ELb0EPlS7_ZN2at6native12_GLOBAL__N_124unique_dim_cuda_templateIaEESt5tupleIJNS8_6TensorESD_SD_EERKSD_lbbbEUlllE1_EE10hipError_tPvRmT2_T3_mT4_P12ihipStream_tbEUlT_E_NS1_11comp_targetILNS1_3genE0ELNS1_11target_archE4294967295ELNS1_3gpuE0ELNS1_3repE0EEENS1_30default_config_static_selectorELNS0_4arch9wavefront6targetE1EEEvT1_,comdat
	.globl	_ZN7rocprim17ROCPRIM_400000_NS6detail17trampoline_kernelINS0_14default_configENS1_35adjacent_difference_config_selectorILb1ElEEZNS1_24adjacent_difference_implIS3_Lb1ELb0EPlS7_ZN2at6native12_GLOBAL__N_124unique_dim_cuda_templateIaEESt5tupleIJNS8_6TensorESD_SD_EERKSD_lbbbEUlllE1_EE10hipError_tPvRmT2_T3_mT4_P12ihipStream_tbEUlT_E_NS1_11comp_targetILNS1_3genE0ELNS1_11target_archE4294967295ELNS1_3gpuE0ELNS1_3repE0EEENS1_30default_config_static_selectorELNS0_4arch9wavefront6targetE1EEEvT1_ ; -- Begin function _ZN7rocprim17ROCPRIM_400000_NS6detail17trampoline_kernelINS0_14default_configENS1_35adjacent_difference_config_selectorILb1ElEEZNS1_24adjacent_difference_implIS3_Lb1ELb0EPlS7_ZN2at6native12_GLOBAL__N_124unique_dim_cuda_templateIaEESt5tupleIJNS8_6TensorESD_SD_EERKSD_lbbbEUlllE1_EE10hipError_tPvRmT2_T3_mT4_P12ihipStream_tbEUlT_E_NS1_11comp_targetILNS1_3genE0ELNS1_11target_archE4294967295ELNS1_3gpuE0ELNS1_3repE0EEENS1_30default_config_static_selectorELNS0_4arch9wavefront6targetE1EEEvT1_
	.p2align	8
	.type	_ZN7rocprim17ROCPRIM_400000_NS6detail17trampoline_kernelINS0_14default_configENS1_35adjacent_difference_config_selectorILb1ElEEZNS1_24adjacent_difference_implIS3_Lb1ELb0EPlS7_ZN2at6native12_GLOBAL__N_124unique_dim_cuda_templateIaEESt5tupleIJNS8_6TensorESD_SD_EERKSD_lbbbEUlllE1_EE10hipError_tPvRmT2_T3_mT4_P12ihipStream_tbEUlT_E_NS1_11comp_targetILNS1_3genE0ELNS1_11target_archE4294967295ELNS1_3gpuE0ELNS1_3repE0EEENS1_30default_config_static_selectorELNS0_4arch9wavefront6targetE1EEEvT1_,@function
_ZN7rocprim17ROCPRIM_400000_NS6detail17trampoline_kernelINS0_14default_configENS1_35adjacent_difference_config_selectorILb1ElEEZNS1_24adjacent_difference_implIS3_Lb1ELb0EPlS7_ZN2at6native12_GLOBAL__N_124unique_dim_cuda_templateIaEESt5tupleIJNS8_6TensorESD_SD_EERKSD_lbbbEUlllE1_EE10hipError_tPvRmT2_T3_mT4_P12ihipStream_tbEUlT_E_NS1_11comp_targetILNS1_3genE0ELNS1_11target_archE4294967295ELNS1_3gpuE0ELNS1_3repE0EEENS1_30default_config_static_selectorELNS0_4arch9wavefront6targetE1EEEvT1_: ; @_ZN7rocprim17ROCPRIM_400000_NS6detail17trampoline_kernelINS0_14default_configENS1_35adjacent_difference_config_selectorILb1ElEEZNS1_24adjacent_difference_implIS3_Lb1ELb0EPlS7_ZN2at6native12_GLOBAL__N_124unique_dim_cuda_templateIaEESt5tupleIJNS8_6TensorESD_SD_EERKSD_lbbbEUlllE1_EE10hipError_tPvRmT2_T3_mT4_P12ihipStream_tbEUlT_E_NS1_11comp_targetILNS1_3genE0ELNS1_11target_archE4294967295ELNS1_3gpuE0ELNS1_3repE0EEENS1_30default_config_static_selectorELNS0_4arch9wavefront6targetE1EEEvT1_
; %bb.0:
	s_load_dwordx16 s[4:19], s[0:1], 0x0
	s_mov_b32 s25, 0
	s_mov_b64 s[26:27], -1
	s_waitcnt lgkmcnt(0)
	s_lshl_b64 s[6:7], s[6:7], 3
	s_add_u32 s30, s4, s6
	s_addc_u32 s31, s5, s7
	s_lshl_b32 s4, s2, 10
	s_lshr_b64 s[0:1], s[10:11], 10
	s_and_b32 s24, s10, 0x3ff
	s_cmp_lg_u64 s[24:25], 0
	s_cselect_b64 s[20:21], -1, 0
	v_cndmask_b32_e64 v1, 0, 1, s[20:21]
	s_mov_b32 s24, s2
	v_readfirstlane_b32 s3, v1
	s_add_u32 s22, s0, s3
	s_addc_u32 s23, s1, 0
	s_add_u32 s2, s18, s2
	s_addc_u32 s3, s19, 0
	s_add_u32 s20, s22, -1
	s_addc_u32 s21, s23, -1
	v_mov_b64_e32 v[2:3], s[20:21]
	v_cmp_ge_u64_e64 s[0:1], s[2:3], v[2:3]
	s_and_b64 vcc, exec, s[0:1]
	s_cbranch_vccz .LBB311_6
; %bb.1:
	s_lshl_b32 s5, s20, 10
	s_sub_i32 s11, s10, s5
	s_mov_b32 s5, s25
	s_lshl_b64 s[26:27], s[4:5], 3
	s_add_u32 s26, s30, s26
	v_mov_b32_e32 v2, 0
	s_addc_u32 s27, s31, s27
	v_cmp_gt_u32_e32 vcc, s11, v0
	v_mov_b32_e32 v3, v2
	v_mov_b32_e32 v4, v2
	;; [unrolled: 1-line block ×3, first 2 shown]
	s_and_saveexec_b64 s[28:29], vcc
	s_cbranch_execz .LBB311_3
; %bb.2:
	v_lshlrev_b32_e32 v1, 3, v0
	global_load_dwordx2 v[4:5], v1, s[26:27]
	v_mov_b32_e32 v6, v2
	v_mov_b32_e32 v7, v2
	s_waitcnt vmcnt(0)
	v_mov_b64_e32 v[2:3], v[4:5]
	v_mov_b64_e32 v[4:5], v[6:7]
.LBB311_3:
	s_or_b64 exec, exec, s[28:29]
	v_or_b32_e32 v1, 0x200, v0
	v_cmp_gt_u32_e32 vcc, s11, v1
	s_and_saveexec_b64 s[28:29], vcc
	s_cbranch_execz .LBB311_5
; %bb.4:
	v_lshlrev_b32_e32 v4, 3, v1
	global_load_dwordx2 v[4:5], v4, s[26:27]
.LBB311_5:
	s_or_b64 exec, exec, s[28:29]
	v_lshrrev_b32_e32 v6, 2, v0
	v_lshrrev_b32_e32 v1, 2, v1
	v_and_b32_e32 v6, 0x78, v6
	v_lshlrev_b32_e32 v7, 3, v0
	v_and_b32_e32 v1, 0xf8, v1
	v_add_u32_e32 v6, v6, v7
	v_add_u32_e32 v1, v1, v7
	s_mov_b64 s[26:27], 0
	ds_write_b64 v6, v[2:3]
	s_waitcnt vmcnt(0)
	ds_write_b64 v1, v[4:5] offset:4096
	s_waitcnt lgkmcnt(0)
	s_barrier
.LBB311_6:
	s_and_b64 vcc, exec, s[26:27]
	s_cbranch_vccz .LBB311_8
; %bb.7:
	s_mov_b32 s5, 0
	s_lshl_b64 s[26:27], s[4:5], 3
	s_add_u32 s26, s30, s26
	s_addc_u32 s27, s31, s27
	v_lshlrev_b32_e32 v2, 3, v0
	v_mov_b32_e32 v3, 0
	v_lshl_add_u64 v[4:5], s[26:27], 0, v[2:3]
	v_add_co_u32_e32 v4, vcc, 0x1000, v4
	v_lshrrev_b32_e32 v1, 2, v0
	s_nop 0
	v_addc_co_u32_e32 v5, vcc, 0, v5, vcc
	global_load_dwordx2 v[6:7], v2, s[26:27]
	global_load_dwordx2 v[8:9], v[4:5], off
	v_or_b32_e32 v3, 0x200, v0
	v_and_b32_e32 v1, 0x78, v1
	v_lshrrev_b32_e32 v3, 2, v3
	v_add_u32_e32 v1, v1, v2
	v_and_b32_e32 v3, 0xf8, v3
	v_add_u32_e32 v2, v3, v2
	s_waitcnt vmcnt(1)
	ds_write_b64 v1, v[6:7]
	s_waitcnt vmcnt(0)
	ds_write_b64 v2, v[8:9] offset:4096
	s_waitcnt lgkmcnt(0)
	s_barrier
.LBB311_8:
	v_lshrrev_b32_e32 v1, 1, v0
	v_and_b32_e32 v2, 0xf8, v1
	v_lshl_add_u32 v2, v0, 4, v2
	ds_read2_b64 v[2:5], v2 offset1:1
	s_cmp_eq_u64 s[2:3], 0
	s_waitcnt lgkmcnt(0)
	s_barrier
	s_cbranch_scc1 .LBB311_15
; %bb.9:
	s_lshl_b64 s[18:19], s[18:19], 3
	s_add_u32 s5, s16, s18
	s_addc_u32 s11, s17, s19
	s_lshl_b64 s[16:17], s[24:25], 3
	s_add_u32 s5, s5, s16
	s_addc_u32 s11, s11, s17
	s_add_u32 s16, s5, -8
	s_addc_u32 s17, s11, -1
	s_load_dwordx2 s[16:17], s[16:17], 0x0
	s_cmp_eq_u64 s[2:3], s[20:21]
	s_cbranch_scc1 .LBB311_16
; %bb.10:
	v_cmp_lt_i64_e64 s[24:25], s[12:13], 1
	v_lshlrev_b32_e32 v12, 3, v0
	v_mov_b64_e32 v[8:9], 0
	v_cmp_gt_i64_e64 s[18:19], s[12:13], 0
	s_and_b64 vcc, exec, s[24:25]
	ds_write_b64 v12, v[4:5]
	s_cbranch_vccnz .LBB311_18
; %bb.11:
	v_mov_b64_e32 v[8:9], s[14:15]
	v_mad_u64_u32 v[6:7], s[24:25], v4, s12, v[8:9]
	v_mul_lo_u32 v10, v4, s13
	v_mul_lo_u32 v11, v5, s12
	v_add3_u32 v7, v11, v7, v10
	v_mad_u64_u32 v[10:11], s[24:25], v2, s12, v[8:9]
	v_mul_lo_u32 v8, v2, s13
	v_mul_lo_u32 v9, v3, s12
	v_add3_u32 v11, v9, v11, v8
	s_mov_b64 s[24:25], 0
	s_mov_b64 s[26:27], s[12:13]
                                        ; implicit-def: $sgpr28_sgpr29
	s_branch .LBB311_13
.LBB311_12:                             ;   in Loop: Header=BB311_13 Depth=1
	s_or_b64 exec, exec, s[30:31]
	s_and_b64 s[30:31], exec, s[28:29]
	s_or_b64 s[24:25], s[30:31], s[24:25]
	s_andn2_b64 exec, exec, s[24:25]
	s_cbranch_execz .LBB311_17
.LBB311_13:                             ; =>This Inner Loop Header: Depth=1
	global_load_ubyte v13, v[6:7], off
	global_load_ubyte v14, v[10:11], off
	v_mov_b64_e32 v[8:9], 1
	s_or_b64 s[28:29], s[28:29], exec
	s_waitcnt vmcnt(0)
	v_cmp_eq_u16_e32 vcc, v13, v14
	s_and_saveexec_b64 s[30:31], vcc
	s_cbranch_execz .LBB311_12
; %bb.14:                               ;   in Loop: Header=BB311_13 Depth=1
	s_add_u32 s26, s26, -1
	s_addc_u32 s27, s27, -1
	s_cmp_eq_u64 s[26:27], 0
	s_cselect_b64 s[34:35], -1, 0
	s_andn2_b64 s[28:29], s[28:29], exec
	s_and_b64 s[34:35], s[34:35], exec
	v_lshl_add_u64 v[6:7], v[6:7], 0, 1
	v_lshl_add_u64 v[10:11], v[10:11], 0, 1
	v_mov_b64_e32 v[8:9], 0
	s_or_b64 s[28:29], s[28:29], s[34:35]
	s_branch .LBB311_12
.LBB311_15:
                                        ; implicit-def: $vgpr8_vgpr9
                                        ; implicit-def: $vgpr6_vgpr7
	s_branch .LBB311_47
.LBB311_16:
                                        ; implicit-def: $vgpr8_vgpr9
                                        ; implicit-def: $vgpr6_vgpr7
	s_cbranch_execnz .LBB311_27
	s_branch .LBB311_46
.LBB311_17:
	s_or_b64 exec, exec, s[24:25]
.LBB311_18:
	v_cmp_ne_u32_e32 vcc, 0, v0
	s_waitcnt lgkmcnt(0)
	v_mov_b64_e32 v[6:7], s[16:17]
	s_barrier
	s_and_saveexec_b64 s[24:25], vcc
; %bb.19:
	v_add_u32_e32 v6, -8, v12
	ds_read_b64 v[6:7], v6
; %bb.20:
	s_or_b64 exec, exec, s[24:25]
	s_andn2_b64 vcc, exec, s[18:19]
	s_cbranch_vccnz .LBB311_26
; %bb.21:
	v_mov_b64_e32 v[12:13], s[14:15]
	v_mad_u64_u32 v[10:11], s[18:19], v2, s12, v[12:13]
	v_mul_lo_u32 v14, v2, s13
	v_mul_lo_u32 v15, v3, s12
	s_waitcnt lgkmcnt(0)
	v_mad_u64_u32 v[12:13], s[18:19], v6, s12, v[12:13]
	v_mul_lo_u32 v6, v6, s13
	v_mul_lo_u32 v7, v7, s12
	v_add3_u32 v11, v15, v11, v14
	v_add3_u32 v13, v7, v13, v6
	s_mov_b64 s[18:19], 0
	s_mov_b64 s[24:25], s[12:13]
                                        ; implicit-def: $sgpr26_sgpr27
	s_branch .LBB311_23
.LBB311_22:                             ;   in Loop: Header=BB311_23 Depth=1
	s_or_b64 exec, exec, s[28:29]
	s_and_b64 s[28:29], exec, s[26:27]
	s_or_b64 s[18:19], s[28:29], s[18:19]
	s_andn2_b64 exec, exec, s[18:19]
	s_cbranch_execz .LBB311_25
.LBB311_23:                             ; =>This Inner Loop Header: Depth=1
	global_load_ubyte v14, v[10:11], off
	global_load_ubyte v15, v[12:13], off
	v_mov_b64_e32 v[6:7], 1
	s_or_b64 s[26:27], s[26:27], exec
	s_waitcnt vmcnt(0)
	v_cmp_eq_u16_e32 vcc, v14, v15
	s_and_saveexec_b64 s[28:29], vcc
	s_cbranch_execz .LBB311_22
; %bb.24:                               ;   in Loop: Header=BB311_23 Depth=1
	s_add_u32 s24, s24, -1
	s_addc_u32 s25, s25, -1
	s_cmp_eq_u64 s[24:25], 0
	s_cselect_b64 s[30:31], -1, 0
	s_andn2_b64 s[26:27], s[26:27], exec
	s_and_b64 s[30:31], s[30:31], exec
	v_lshl_add_u64 v[10:11], v[10:11], 0, 1
	v_lshl_add_u64 v[12:13], v[12:13], 0, 1
	v_mov_b64_e32 v[6:7], 0
	s_or_b64 s[26:27], s[26:27], s[30:31]
	s_branch .LBB311_22
.LBB311_25:
	s_or_b64 exec, exec, s[18:19]
	s_branch .LBB311_46
.LBB311_26:
	s_waitcnt lgkmcnt(0)
	v_mov_b64_e32 v[6:7], 0
	s_branch .LBB311_46
.LBB311_27:
	s_lshl_b32 s2, s2, 10
	v_lshlrev_b32_e32 v12, 1, v0
	s_sub_i32 s5, s10, s2
	v_or_b32_e32 v6, 1, v12
	v_lshlrev_b32_e32 v13, 3, v0
	v_cmp_gt_u32_e32 vcc, s5, v6
	v_mov_b64_e32 v[8:9], v[4:5]
	ds_write_b64 v13, v[4:5]
	v_mov_b64_e32 v[6:7], v[2:3]
	s_and_saveexec_b64 s[2:3], vcc
	s_cbranch_execz .LBB311_35
; %bb.28:
	v_cmp_lt_i64_e64 s[18:19], s[12:13], 1
	s_and_b64 vcc, exec, s[18:19]
	s_cbranch_vccnz .LBB311_34
; %bb.29:
	v_mov_b64_e32 v[8:9], s[14:15]
	v_mad_u64_u32 v[6:7], s[18:19], v4, s12, v[8:9]
	v_mul_lo_u32 v10, v4, s13
	v_mul_lo_u32 v11, v5, s12
	v_add3_u32 v7, v11, v7, v10
	v_mad_u64_u32 v[10:11], s[18:19], v2, s12, v[8:9]
	v_mul_lo_u32 v8, v2, s13
	v_mul_lo_u32 v9, v3, s12
	v_add3_u32 v11, v9, v11, v8
	s_mov_b64 s[18:19], 0
	s_mov_b64 s[24:25], s[12:13]
                                        ; implicit-def: $sgpr26_sgpr27
	s_branch .LBB311_31
.LBB311_30:                             ;   in Loop: Header=BB311_31 Depth=1
	s_or_b64 exec, exec, s[28:29]
	s_and_b64 s[28:29], exec, s[26:27]
	s_or_b64 s[18:19], s[28:29], s[18:19]
	s_andn2_b64 exec, exec, s[18:19]
	s_cbranch_execz .LBB311_33
.LBB311_31:                             ; =>This Inner Loop Header: Depth=1
	global_load_ubyte v14, v[6:7], off
	global_load_ubyte v15, v[10:11], off
	v_mov_b64_e32 v[8:9], 1
	s_or_b64 s[26:27], s[26:27], exec
	s_waitcnt vmcnt(0)
	v_cmp_eq_u16_e32 vcc, v14, v15
	s_and_saveexec_b64 s[28:29], vcc
	s_cbranch_execz .LBB311_30
; %bb.32:                               ;   in Loop: Header=BB311_31 Depth=1
	s_add_u32 s24, s24, -1
	s_addc_u32 s25, s25, -1
	s_cmp_eq_u64 s[24:25], 0
	s_cselect_b64 s[30:31], -1, 0
	s_andn2_b64 s[26:27], s[26:27], exec
	s_and_b64 s[30:31], s[30:31], exec
	v_lshl_add_u64 v[6:7], v[6:7], 0, 1
	v_lshl_add_u64 v[10:11], v[10:11], 0, 1
	v_mov_b64_e32 v[8:9], 0
	s_or_b64 s[26:27], s[26:27], s[30:31]
	s_branch .LBB311_30
.LBB311_33:
	s_or_b64 exec, exec, s[18:19]
	s_branch .LBB311_35
.LBB311_34:
	v_mov_b64_e32 v[8:9], 0
.LBB311_35:
	s_or_b64 exec, exec, s[2:3]
	v_cmp_ne_u32_e32 vcc, 0, v0
	s_waitcnt lgkmcnt(0)
	v_mov_b64_e32 v[14:15], s[16:17]
	s_barrier
	s_and_saveexec_b64 s[2:3], vcc
; %bb.36:
	v_add_u32_e32 v6, -8, v13
	ds_read_b64 v[14:15], v6
; %bb.37:
	s_or_b64 exec, exec, s[2:3]
	v_cmp_gt_u32_e32 vcc, s5, v12
	v_mov_b64_e32 v[6:7], v[2:3]
	s_and_saveexec_b64 s[2:3], vcc
	s_cbranch_execz .LBB311_45
; %bb.38:
	v_cmp_lt_i64_e64 s[16:17], s[12:13], 1
	s_and_b64 vcc, exec, s[16:17]
	s_cbranch_vccnz .LBB311_44
; %bb.39:
	v_mov_b64_e32 v[6:7], s[14:15]
	v_mad_u64_u32 v[10:11], s[16:17], v2, s12, v[6:7]
	v_mul_lo_u32 v12, v2, s13
	v_mul_lo_u32 v13, v3, s12
	v_add3_u32 v11, v13, v11, v12
	s_waitcnt lgkmcnt(0)
	v_mad_u64_u32 v[12:13], s[16:17], v14, s12, v[6:7]
	v_mul_lo_u32 v6, v14, s13
	v_mul_lo_u32 v7, v15, s12
	v_add3_u32 v13, v7, v13, v6
	s_mov_b64 s[16:17], 0
	s_mov_b64 s[18:19], s[12:13]
                                        ; implicit-def: $sgpr24_sgpr25
	s_branch .LBB311_41
.LBB311_40:                             ;   in Loop: Header=BB311_41 Depth=1
	s_or_b64 exec, exec, s[26:27]
	s_and_b64 s[26:27], exec, s[24:25]
	s_or_b64 s[16:17], s[26:27], s[16:17]
	s_andn2_b64 exec, exec, s[16:17]
	s_cbranch_execz .LBB311_43
.LBB311_41:                             ; =>This Inner Loop Header: Depth=1
	global_load_ubyte v14, v[10:11], off
	global_load_ubyte v15, v[12:13], off
	v_mov_b64_e32 v[6:7], 1
	s_or_b64 s[24:25], s[24:25], exec
	s_waitcnt vmcnt(0)
	v_cmp_eq_u16_e32 vcc, v14, v15
	s_and_saveexec_b64 s[26:27], vcc
	s_cbranch_execz .LBB311_40
; %bb.42:                               ;   in Loop: Header=BB311_41 Depth=1
	s_add_u32 s18, s18, -1
	s_addc_u32 s19, s19, -1
	s_cmp_eq_u64 s[18:19], 0
	s_cselect_b64 s[28:29], -1, 0
	s_andn2_b64 s[24:25], s[24:25], exec
	s_and_b64 s[28:29], s[28:29], exec
	v_lshl_add_u64 v[10:11], v[10:11], 0, 1
	v_lshl_add_u64 v[12:13], v[12:13], 0, 1
	v_mov_b64_e32 v[6:7], 0
	s_or_b64 s[24:25], s[24:25], s[28:29]
	s_branch .LBB311_40
.LBB311_43:
	s_or_b64 exec, exec, s[16:17]
	s_branch .LBB311_45
.LBB311_44:
	v_mov_b64_e32 v[6:7], 0
.LBB311_45:
	s_or_b64 exec, exec, s[2:3]
.LBB311_46:
	s_cbranch_execnz .LBB311_81
.LBB311_47:
	s_cmp_eq_u64 s[22:23], 1
	s_cbranch_scc1 .LBB311_53
; %bb.48:
	s_waitcnt lgkmcnt(0)
	v_cmp_lt_i64_e64 s[16:17], s[12:13], 1
	v_lshlrev_b32_e32 v12, 3, v0
	v_mov_b64_e32 v[8:9], 0
	v_cmp_gt_i64_e64 s[2:3], s[12:13], 0
	s_and_b64 vcc, exec, s[16:17]
	ds_write_b64 v12, v[4:5]
	s_cbranch_vccnz .LBB311_55
; %bb.49:
	v_mov_b64_e32 v[8:9], s[14:15]
	v_mad_u64_u32 v[6:7], s[16:17], v4, s12, v[8:9]
	v_mul_lo_u32 v10, v4, s13
	v_mul_lo_u32 v11, v5, s12
	v_add3_u32 v7, v11, v7, v10
	v_mad_u64_u32 v[10:11], s[16:17], v2, s12, v[8:9]
	v_mul_lo_u32 v8, v2, s13
	v_mul_lo_u32 v9, v3, s12
	v_add3_u32 v11, v9, v11, v8
	s_mov_b64 s[16:17], 0
	s_mov_b64 s[18:19], s[12:13]
                                        ; implicit-def: $sgpr22_sgpr23
	s_branch .LBB311_51
.LBB311_50:                             ;   in Loop: Header=BB311_51 Depth=1
	s_or_b64 exec, exec, s[24:25]
	s_and_b64 s[24:25], exec, s[22:23]
	s_or_b64 s[16:17], s[24:25], s[16:17]
	s_andn2_b64 exec, exec, s[16:17]
	s_cbranch_execz .LBB311_54
.LBB311_51:                             ; =>This Inner Loop Header: Depth=1
	global_load_ubyte v13, v[6:7], off
	global_load_ubyte v14, v[10:11], off
	v_mov_b64_e32 v[8:9], 1
	s_or_b64 s[22:23], s[22:23], exec
	s_waitcnt vmcnt(0)
	v_cmp_eq_u16_e32 vcc, v13, v14
	s_and_saveexec_b64 s[24:25], vcc
	s_cbranch_execz .LBB311_50
; %bb.52:                               ;   in Loop: Header=BB311_51 Depth=1
	s_add_u32 s18, s18, -1
	s_addc_u32 s19, s19, -1
	s_cmp_eq_u64 s[18:19], 0
	s_cselect_b64 s[26:27], -1, 0
	s_andn2_b64 s[22:23], s[22:23], exec
	s_and_b64 s[26:27], s[26:27], exec
	v_lshl_add_u64 v[6:7], v[6:7], 0, 1
	v_lshl_add_u64 v[10:11], v[10:11], 0, 1
	v_mov_b64_e32 v[8:9], 0
	s_or_b64 s[22:23], s[22:23], s[26:27]
	s_branch .LBB311_50
.LBB311_53:
                                        ; implicit-def: $vgpr8_vgpr9
                                        ; implicit-def: $vgpr6_vgpr7
	s_cbranch_execnz .LBB311_64
	s_branch .LBB311_81
.LBB311_54:
	s_or_b64 exec, exec, s[16:17]
.LBB311_55:
	v_cmp_ne_u32_e32 vcc, 0, v0
	v_mov_b64_e32 v[6:7], v[2:3]
	s_waitcnt lgkmcnt(0)
	s_barrier
	s_and_saveexec_b64 s[16:17], vcc
	s_cbranch_execz .LBB311_63
; %bb.56:
	s_andn2_b64 vcc, exec, s[2:3]
	s_cbranch_vccnz .LBB311_62
; %bb.57:
	v_add_u32_e32 v6, -8, v12
	ds_read_b64 v[6:7], v6
	v_mov_b64_e32 v[12:13], s[14:15]
	v_mad_u64_u32 v[10:11], s[2:3], v2, s12, v[12:13]
	v_mul_lo_u32 v14, v2, s13
	v_mul_lo_u32 v15, v3, s12
	v_add3_u32 v11, v15, v11, v14
	s_waitcnt lgkmcnt(0)
	v_mul_lo_u32 v14, v6, s13
	v_mul_lo_u32 v7, v7, s12
	v_mad_u64_u32 v[12:13], s[2:3], v6, s12, v[12:13]
	v_add3_u32 v13, v7, v13, v14
	s_mov_b64 s[2:3], 0
	s_mov_b64 s[18:19], s[12:13]
                                        ; implicit-def: $sgpr22_sgpr23
	s_branch .LBB311_59
.LBB311_58:                             ;   in Loop: Header=BB311_59 Depth=1
	s_or_b64 exec, exec, s[24:25]
	s_and_b64 s[24:25], exec, s[22:23]
	s_or_b64 s[2:3], s[24:25], s[2:3]
	s_andn2_b64 exec, exec, s[2:3]
	s_cbranch_execz .LBB311_61
.LBB311_59:                             ; =>This Inner Loop Header: Depth=1
	global_load_ubyte v14, v[10:11], off
	global_load_ubyte v15, v[12:13], off
	v_mov_b64_e32 v[6:7], 1
	s_or_b64 s[22:23], s[22:23], exec
	s_waitcnt vmcnt(0)
	v_cmp_eq_u16_e32 vcc, v14, v15
	s_and_saveexec_b64 s[24:25], vcc
	s_cbranch_execz .LBB311_58
; %bb.60:                               ;   in Loop: Header=BB311_59 Depth=1
	s_add_u32 s18, s18, -1
	s_addc_u32 s19, s19, -1
	s_cmp_eq_u64 s[18:19], 0
	s_cselect_b64 s[26:27], -1, 0
	s_andn2_b64 s[22:23], s[22:23], exec
	s_and_b64 s[26:27], s[26:27], exec
	v_lshl_add_u64 v[10:11], v[10:11], 0, 1
	v_lshl_add_u64 v[12:13], v[12:13], 0, 1
	v_mov_b64_e32 v[6:7], 0
	s_or_b64 s[22:23], s[22:23], s[26:27]
	s_branch .LBB311_58
.LBB311_61:
	s_or_b64 exec, exec, s[2:3]
	s_branch .LBB311_63
.LBB311_62:
	v_mov_b64_e32 v[6:7], 0
.LBB311_63:
	s_or_b64 exec, exec, s[16:17]
	s_branch .LBB311_81
.LBB311_64:
	v_lshlrev_b32_e32 v11, 1, v0
	v_or_b32_e32 v6, 1, v11
	v_lshlrev_b32_e32 v10, 3, v0
	v_cmp_gt_u32_e32 vcc, s10, v6
	v_mov_b64_e32 v[8:9], v[4:5]
	ds_write_b64 v10, v[4:5]
	v_mov_b64_e32 v[6:7], v[2:3]
	s_and_saveexec_b64 s[2:3], vcc
	s_cbranch_execz .LBB311_72
; %bb.65:
	s_waitcnt lgkmcnt(0)
	v_cmp_lt_i64_e64 s[16:17], s[12:13], 1
	s_and_b64 vcc, exec, s[16:17]
	s_cbranch_vccnz .LBB311_71
; %bb.66:
	v_mov_b64_e32 v[8:9], s[14:15]
	v_mad_u64_u32 v[6:7], s[16:17], v4, s12, v[8:9]
	v_mul_lo_u32 v4, v4, s13
	v_mul_lo_u32 v5, v5, s12
	v_add3_u32 v7, v5, v7, v4
	v_mad_u64_u32 v[4:5], s[16:17], v2, s12, v[8:9]
	v_mul_lo_u32 v8, v2, s13
	v_mul_lo_u32 v9, v3, s12
	v_add3_u32 v5, v9, v5, v8
	s_mov_b64 s[16:17], 0
	s_mov_b64 s[18:19], s[12:13]
                                        ; implicit-def: $sgpr22_sgpr23
	s_branch .LBB311_68
.LBB311_67:                             ;   in Loop: Header=BB311_68 Depth=1
	s_or_b64 exec, exec, s[24:25]
	s_and_b64 s[24:25], exec, s[22:23]
	s_or_b64 s[16:17], s[24:25], s[16:17]
	s_andn2_b64 exec, exec, s[16:17]
	s_cbranch_execz .LBB311_70
.LBB311_68:                             ; =>This Inner Loop Header: Depth=1
	global_load_ubyte v12, v[6:7], off
	global_load_ubyte v13, v[4:5], off
	v_mov_b64_e32 v[8:9], 1
	s_or_b64 s[22:23], s[22:23], exec
	s_waitcnt vmcnt(0)
	v_cmp_eq_u16_e32 vcc, v12, v13
	s_and_saveexec_b64 s[24:25], vcc
	s_cbranch_execz .LBB311_67
; %bb.69:                               ;   in Loop: Header=BB311_68 Depth=1
	s_add_u32 s18, s18, -1
	s_addc_u32 s19, s19, -1
	s_cmp_eq_u64 s[18:19], 0
	s_cselect_b64 s[26:27], -1, 0
	s_andn2_b64 s[22:23], s[22:23], exec
	s_and_b64 s[26:27], s[26:27], exec
	v_lshl_add_u64 v[6:7], v[6:7], 0, 1
	v_lshl_add_u64 v[4:5], v[4:5], 0, 1
	v_mov_b64_e32 v[8:9], 0
	s_or_b64 s[22:23], s[22:23], s[26:27]
	s_branch .LBB311_67
.LBB311_70:
	s_or_b64 exec, exec, s[16:17]
	s_branch .LBB311_72
.LBB311_71:
	v_mov_b64_e32 v[8:9], 0
.LBB311_72:
	s_or_b64 exec, exec, s[2:3]
	v_cmp_ne_u32_e32 vcc, 0, v0
	v_cmp_gt_u32_e64 s[2:3], s10, v11
	s_waitcnt lgkmcnt(0)
	s_and_b64 s[16:17], vcc, s[2:3]
	s_barrier
	s_and_saveexec_b64 s[2:3], s[16:17]
	s_cbranch_execz .LBB311_80
; %bb.73:
	v_cmp_lt_i64_e64 s[16:17], s[12:13], 1
	s_and_b64 vcc, exec, s[16:17]
	s_cbranch_vccnz .LBB311_79
; %bb.74:
	v_add_u32_e32 v4, -8, v10
	ds_read_b64 v[6:7], v4
	v_mov_b64_e32 v[10:11], s[14:15]
	v_mad_u64_u32 v[4:5], s[14:15], v2, s12, v[10:11]
	v_mul_lo_u32 v2, v2, s13
	v_mul_lo_u32 v3, v3, s12
	v_add3_u32 v5, v3, v5, v2
	s_waitcnt lgkmcnt(0)
	v_mul_lo_u32 v2, v6, s13
	v_mul_lo_u32 v3, v7, s12
	v_mad_u64_u32 v[6:7], s[14:15], v6, s12, v[10:11]
	v_add3_u32 v7, v3, v7, v2
	s_mov_b64 s[14:15], 0
                                        ; implicit-def: $sgpr16_sgpr17
	s_branch .LBB311_76
.LBB311_75:                             ;   in Loop: Header=BB311_76 Depth=1
	s_or_b64 exec, exec, s[18:19]
	s_and_b64 s[18:19], exec, s[16:17]
	s_or_b64 s[14:15], s[18:19], s[14:15]
	s_andn2_b64 exec, exec, s[14:15]
	s_cbranch_execz .LBB311_78
.LBB311_76:                             ; =>This Inner Loop Header: Depth=1
	global_load_ubyte v10, v[4:5], off
	global_load_ubyte v11, v[6:7], off
	v_mov_b64_e32 v[2:3], 1
	s_or_b64 s[16:17], s[16:17], exec
	s_waitcnt vmcnt(0)
	v_cmp_eq_u16_e32 vcc, v10, v11
	s_and_saveexec_b64 s[18:19], vcc
	s_cbranch_execz .LBB311_75
; %bb.77:                               ;   in Loop: Header=BB311_76 Depth=1
	s_add_u32 s12, s12, -1
	s_addc_u32 s13, s13, -1
	s_cmp_eq_u64 s[12:13], 0
	s_cselect_b64 s[22:23], -1, 0
	s_andn2_b64 s[16:17], s[16:17], exec
	s_and_b64 s[22:23], s[22:23], exec
	v_lshl_add_u64 v[4:5], v[4:5], 0, 1
	v_lshl_add_u64 v[6:7], v[6:7], 0, 1
	v_mov_b64_e32 v[2:3], 0
	s_or_b64 s[16:17], s[16:17], s[22:23]
	s_branch .LBB311_75
.LBB311_78:
	s_or_b64 exec, exec, s[14:15]
	s_branch .LBB311_80
.LBB311_79:
	v_mov_b64_e32 v[2:3], 0
.LBB311_80:
	s_or_b64 exec, exec, s[2:3]
	v_mov_b64_e32 v[6:7], v[2:3]
.LBB311_81:
	s_add_u32 s6, s8, s6
	s_addc_u32 s7, s9, s7
	s_and_b64 vcc, exec, s[0:1]
	s_waitcnt lgkmcnt(0)
	s_barrier
	s_cbranch_vccz .LBB311_85
; %bb.82:
	v_and_b32_e32 v2, 0xf8, v1
	v_lshl_add_u32 v2, v0, 4, v2
	v_or_b32_e32 v10, 0x200, v0
	ds_write2_b64 v2, v[6:7], v[8:9] offset1:1
	v_lshrrev_b32_e32 v2, 2, v10
	v_and_b32_e32 v2, 0xf8, v2
	v_lshlrev_b32_e32 v4, 3, v0
	v_add_u32_e32 v2, v2, v4
	s_lshl_b32 s0, s20, 10
	s_mov_b32 s5, 0
	s_waitcnt lgkmcnt(0)
	s_barrier
	ds_read_b64 v[2:3], v2 offset:4096
	s_sub_i32 s2, s10, s0
	s_lshl_b64 s[0:1], s[4:5], 3
	s_add_u32 s0, s6, s0
	s_addc_u32 s1, s7, s1
	v_mov_b32_e32 v5, 0
	v_lshl_add_u64 v[4:5], s[0:1], 0, v[4:5]
	v_cmp_gt_u32_e32 vcc, s2, v0
	s_and_saveexec_b64 s[0:1], vcc
	s_cbranch_execz .LBB311_84
; %bb.83:
	v_lshrrev_b32_e32 v11, 2, v0
	v_and_b32_e32 v11, 0x78, v11
	v_lshl_add_u32 v11, v0, 3, v11
	ds_read_b64 v[12:13], v11
	s_waitcnt lgkmcnt(0)
	global_store_dwordx2 v[4:5], v[12:13], off
.LBB311_84:
	s_or_b64 exec, exec, s[0:1]
	v_cmp_gt_u32_e64 s[0:1], s2, v10
	s_branch .LBB311_87
.LBB311_85:
	s_mov_b64 s[0:1], 0
                                        ; implicit-def: $vgpr2_vgpr3
                                        ; implicit-def: $vgpr4_vgpr5
	s_cbranch_execz .LBB311_87
; %bb.86:
	v_and_b32_e32 v1, 0xf8, v1
	v_lshl_add_u32 v1, v0, 4, v1
	ds_write2_b64 v1, v[6:7], v[8:9] offset1:1
	v_lshrrev_b32_e32 v1, 2, v0
	v_lshlrev_b32_e32 v6, 3, v0
	v_or_b32_e32 v0, 0x200, v0
	v_lshrrev_b32_e32 v0, 2, v0
	v_and_b32_e32 v1, 0x78, v1
	v_and_b32_e32 v0, 0xf8, v0
	v_add_u32_e32 v1, v1, v6
	v_add_u32_e32 v0, v0, v6
	s_mov_b32 s5, 0
	s_waitcnt lgkmcnt(0)
	s_barrier
	ds_read_b64 v[8:9], v1
	ds_read_b64 v[2:3], v0 offset:4096
	s_lshl_b64 s[2:3], s[4:5], 3
	s_add_u32 s2, s6, s2
	s_addc_u32 s3, s7, s3
	v_mov_b32_e32 v7, 0
	v_lshl_add_u64 v[4:5], s[2:3], 0, v[6:7]
	s_or_b64 s[0:1], s[0:1], exec
	s_waitcnt lgkmcnt(1)
	global_store_dwordx2 v6, v[8:9], s[2:3]
.LBB311_87:
	s_and_saveexec_b64 s[2:3], s[0:1]
	s_cbranch_execnz .LBB311_89
; %bb.88:
	s_endpgm
.LBB311_89:
	v_add_co_u32_e32 v0, vcc, 0x1000, v4
	s_nop 1
	v_addc_co_u32_e32 v1, vcc, 0, v5, vcc
	s_waitcnt lgkmcnt(0)
	global_store_dwordx2 v[0:1], v[2:3], off
	s_endpgm
	.section	.rodata,"a",@progbits
	.p2align	6, 0x0
	.amdhsa_kernel _ZN7rocprim17ROCPRIM_400000_NS6detail17trampoline_kernelINS0_14default_configENS1_35adjacent_difference_config_selectorILb1ElEEZNS1_24adjacent_difference_implIS3_Lb1ELb0EPlS7_ZN2at6native12_GLOBAL__N_124unique_dim_cuda_templateIaEESt5tupleIJNS8_6TensorESD_SD_EERKSD_lbbbEUlllE1_EE10hipError_tPvRmT2_T3_mT4_P12ihipStream_tbEUlT_E_NS1_11comp_targetILNS1_3genE0ELNS1_11target_archE4294967295ELNS1_3gpuE0ELNS1_3repE0EEENS1_30default_config_static_selectorELNS0_4arch9wavefront6targetE1EEEvT1_
		.amdhsa_group_segment_fixed_size 8448
		.amdhsa_private_segment_fixed_size 0
		.amdhsa_kernarg_size 64
		.amdhsa_user_sgpr_count 2
		.amdhsa_user_sgpr_dispatch_ptr 0
		.amdhsa_user_sgpr_queue_ptr 0
		.amdhsa_user_sgpr_kernarg_segment_ptr 1
		.amdhsa_user_sgpr_dispatch_id 0
		.amdhsa_user_sgpr_kernarg_preload_length 0
		.amdhsa_user_sgpr_kernarg_preload_offset 0
		.amdhsa_user_sgpr_private_segment_size 0
		.amdhsa_uses_dynamic_stack 0
		.amdhsa_enable_private_segment 0
		.amdhsa_system_sgpr_workgroup_id_x 1
		.amdhsa_system_sgpr_workgroup_id_y 0
		.amdhsa_system_sgpr_workgroup_id_z 0
		.amdhsa_system_sgpr_workgroup_info 0
		.amdhsa_system_vgpr_workitem_id 0
		.amdhsa_next_free_vgpr 16
		.amdhsa_next_free_sgpr 36
		.amdhsa_accum_offset 16
		.amdhsa_reserve_vcc 1
		.amdhsa_float_round_mode_32 0
		.amdhsa_float_round_mode_16_64 0
		.amdhsa_float_denorm_mode_32 3
		.amdhsa_float_denorm_mode_16_64 3
		.amdhsa_dx10_clamp 1
		.amdhsa_ieee_mode 1
		.amdhsa_fp16_overflow 0
		.amdhsa_tg_split 0
		.amdhsa_exception_fp_ieee_invalid_op 0
		.amdhsa_exception_fp_denorm_src 0
		.amdhsa_exception_fp_ieee_div_zero 0
		.amdhsa_exception_fp_ieee_overflow 0
		.amdhsa_exception_fp_ieee_underflow 0
		.amdhsa_exception_fp_ieee_inexact 0
		.amdhsa_exception_int_div_zero 0
	.end_amdhsa_kernel
	.section	.text._ZN7rocprim17ROCPRIM_400000_NS6detail17trampoline_kernelINS0_14default_configENS1_35adjacent_difference_config_selectorILb1ElEEZNS1_24adjacent_difference_implIS3_Lb1ELb0EPlS7_ZN2at6native12_GLOBAL__N_124unique_dim_cuda_templateIaEESt5tupleIJNS8_6TensorESD_SD_EERKSD_lbbbEUlllE1_EE10hipError_tPvRmT2_T3_mT4_P12ihipStream_tbEUlT_E_NS1_11comp_targetILNS1_3genE0ELNS1_11target_archE4294967295ELNS1_3gpuE0ELNS1_3repE0EEENS1_30default_config_static_selectorELNS0_4arch9wavefront6targetE1EEEvT1_,"axG",@progbits,_ZN7rocprim17ROCPRIM_400000_NS6detail17trampoline_kernelINS0_14default_configENS1_35adjacent_difference_config_selectorILb1ElEEZNS1_24adjacent_difference_implIS3_Lb1ELb0EPlS7_ZN2at6native12_GLOBAL__N_124unique_dim_cuda_templateIaEESt5tupleIJNS8_6TensorESD_SD_EERKSD_lbbbEUlllE1_EE10hipError_tPvRmT2_T3_mT4_P12ihipStream_tbEUlT_E_NS1_11comp_targetILNS1_3genE0ELNS1_11target_archE4294967295ELNS1_3gpuE0ELNS1_3repE0EEENS1_30default_config_static_selectorELNS0_4arch9wavefront6targetE1EEEvT1_,comdat
.Lfunc_end311:
	.size	_ZN7rocprim17ROCPRIM_400000_NS6detail17trampoline_kernelINS0_14default_configENS1_35adjacent_difference_config_selectorILb1ElEEZNS1_24adjacent_difference_implIS3_Lb1ELb0EPlS7_ZN2at6native12_GLOBAL__N_124unique_dim_cuda_templateIaEESt5tupleIJNS8_6TensorESD_SD_EERKSD_lbbbEUlllE1_EE10hipError_tPvRmT2_T3_mT4_P12ihipStream_tbEUlT_E_NS1_11comp_targetILNS1_3genE0ELNS1_11target_archE4294967295ELNS1_3gpuE0ELNS1_3repE0EEENS1_30default_config_static_selectorELNS0_4arch9wavefront6targetE1EEEvT1_, .Lfunc_end311-_ZN7rocprim17ROCPRIM_400000_NS6detail17trampoline_kernelINS0_14default_configENS1_35adjacent_difference_config_selectorILb1ElEEZNS1_24adjacent_difference_implIS3_Lb1ELb0EPlS7_ZN2at6native12_GLOBAL__N_124unique_dim_cuda_templateIaEESt5tupleIJNS8_6TensorESD_SD_EERKSD_lbbbEUlllE1_EE10hipError_tPvRmT2_T3_mT4_P12ihipStream_tbEUlT_E_NS1_11comp_targetILNS1_3genE0ELNS1_11target_archE4294967295ELNS1_3gpuE0ELNS1_3repE0EEENS1_30default_config_static_selectorELNS0_4arch9wavefront6targetE1EEEvT1_
                                        ; -- End function
	.set _ZN7rocprim17ROCPRIM_400000_NS6detail17trampoline_kernelINS0_14default_configENS1_35adjacent_difference_config_selectorILb1ElEEZNS1_24adjacent_difference_implIS3_Lb1ELb0EPlS7_ZN2at6native12_GLOBAL__N_124unique_dim_cuda_templateIaEESt5tupleIJNS8_6TensorESD_SD_EERKSD_lbbbEUlllE1_EE10hipError_tPvRmT2_T3_mT4_P12ihipStream_tbEUlT_E_NS1_11comp_targetILNS1_3genE0ELNS1_11target_archE4294967295ELNS1_3gpuE0ELNS1_3repE0EEENS1_30default_config_static_selectorELNS0_4arch9wavefront6targetE1EEEvT1_.num_vgpr, 16
	.set _ZN7rocprim17ROCPRIM_400000_NS6detail17trampoline_kernelINS0_14default_configENS1_35adjacent_difference_config_selectorILb1ElEEZNS1_24adjacent_difference_implIS3_Lb1ELb0EPlS7_ZN2at6native12_GLOBAL__N_124unique_dim_cuda_templateIaEESt5tupleIJNS8_6TensorESD_SD_EERKSD_lbbbEUlllE1_EE10hipError_tPvRmT2_T3_mT4_P12ihipStream_tbEUlT_E_NS1_11comp_targetILNS1_3genE0ELNS1_11target_archE4294967295ELNS1_3gpuE0ELNS1_3repE0EEENS1_30default_config_static_selectorELNS0_4arch9wavefront6targetE1EEEvT1_.num_agpr, 0
	.set _ZN7rocprim17ROCPRIM_400000_NS6detail17trampoline_kernelINS0_14default_configENS1_35adjacent_difference_config_selectorILb1ElEEZNS1_24adjacent_difference_implIS3_Lb1ELb0EPlS7_ZN2at6native12_GLOBAL__N_124unique_dim_cuda_templateIaEESt5tupleIJNS8_6TensorESD_SD_EERKSD_lbbbEUlllE1_EE10hipError_tPvRmT2_T3_mT4_P12ihipStream_tbEUlT_E_NS1_11comp_targetILNS1_3genE0ELNS1_11target_archE4294967295ELNS1_3gpuE0ELNS1_3repE0EEENS1_30default_config_static_selectorELNS0_4arch9wavefront6targetE1EEEvT1_.numbered_sgpr, 36
	.set _ZN7rocprim17ROCPRIM_400000_NS6detail17trampoline_kernelINS0_14default_configENS1_35adjacent_difference_config_selectorILb1ElEEZNS1_24adjacent_difference_implIS3_Lb1ELb0EPlS7_ZN2at6native12_GLOBAL__N_124unique_dim_cuda_templateIaEESt5tupleIJNS8_6TensorESD_SD_EERKSD_lbbbEUlllE1_EE10hipError_tPvRmT2_T3_mT4_P12ihipStream_tbEUlT_E_NS1_11comp_targetILNS1_3genE0ELNS1_11target_archE4294967295ELNS1_3gpuE0ELNS1_3repE0EEENS1_30default_config_static_selectorELNS0_4arch9wavefront6targetE1EEEvT1_.num_named_barrier, 0
	.set _ZN7rocprim17ROCPRIM_400000_NS6detail17trampoline_kernelINS0_14default_configENS1_35adjacent_difference_config_selectorILb1ElEEZNS1_24adjacent_difference_implIS3_Lb1ELb0EPlS7_ZN2at6native12_GLOBAL__N_124unique_dim_cuda_templateIaEESt5tupleIJNS8_6TensorESD_SD_EERKSD_lbbbEUlllE1_EE10hipError_tPvRmT2_T3_mT4_P12ihipStream_tbEUlT_E_NS1_11comp_targetILNS1_3genE0ELNS1_11target_archE4294967295ELNS1_3gpuE0ELNS1_3repE0EEENS1_30default_config_static_selectorELNS0_4arch9wavefront6targetE1EEEvT1_.private_seg_size, 0
	.set _ZN7rocprim17ROCPRIM_400000_NS6detail17trampoline_kernelINS0_14default_configENS1_35adjacent_difference_config_selectorILb1ElEEZNS1_24adjacent_difference_implIS3_Lb1ELb0EPlS7_ZN2at6native12_GLOBAL__N_124unique_dim_cuda_templateIaEESt5tupleIJNS8_6TensorESD_SD_EERKSD_lbbbEUlllE1_EE10hipError_tPvRmT2_T3_mT4_P12ihipStream_tbEUlT_E_NS1_11comp_targetILNS1_3genE0ELNS1_11target_archE4294967295ELNS1_3gpuE0ELNS1_3repE0EEENS1_30default_config_static_selectorELNS0_4arch9wavefront6targetE1EEEvT1_.uses_vcc, 1
	.set _ZN7rocprim17ROCPRIM_400000_NS6detail17trampoline_kernelINS0_14default_configENS1_35adjacent_difference_config_selectorILb1ElEEZNS1_24adjacent_difference_implIS3_Lb1ELb0EPlS7_ZN2at6native12_GLOBAL__N_124unique_dim_cuda_templateIaEESt5tupleIJNS8_6TensorESD_SD_EERKSD_lbbbEUlllE1_EE10hipError_tPvRmT2_T3_mT4_P12ihipStream_tbEUlT_E_NS1_11comp_targetILNS1_3genE0ELNS1_11target_archE4294967295ELNS1_3gpuE0ELNS1_3repE0EEENS1_30default_config_static_selectorELNS0_4arch9wavefront6targetE1EEEvT1_.uses_flat_scratch, 0
	.set _ZN7rocprim17ROCPRIM_400000_NS6detail17trampoline_kernelINS0_14default_configENS1_35adjacent_difference_config_selectorILb1ElEEZNS1_24adjacent_difference_implIS3_Lb1ELb0EPlS7_ZN2at6native12_GLOBAL__N_124unique_dim_cuda_templateIaEESt5tupleIJNS8_6TensorESD_SD_EERKSD_lbbbEUlllE1_EE10hipError_tPvRmT2_T3_mT4_P12ihipStream_tbEUlT_E_NS1_11comp_targetILNS1_3genE0ELNS1_11target_archE4294967295ELNS1_3gpuE0ELNS1_3repE0EEENS1_30default_config_static_selectorELNS0_4arch9wavefront6targetE1EEEvT1_.has_dyn_sized_stack, 0
	.set _ZN7rocprim17ROCPRIM_400000_NS6detail17trampoline_kernelINS0_14default_configENS1_35adjacent_difference_config_selectorILb1ElEEZNS1_24adjacent_difference_implIS3_Lb1ELb0EPlS7_ZN2at6native12_GLOBAL__N_124unique_dim_cuda_templateIaEESt5tupleIJNS8_6TensorESD_SD_EERKSD_lbbbEUlllE1_EE10hipError_tPvRmT2_T3_mT4_P12ihipStream_tbEUlT_E_NS1_11comp_targetILNS1_3genE0ELNS1_11target_archE4294967295ELNS1_3gpuE0ELNS1_3repE0EEENS1_30default_config_static_selectorELNS0_4arch9wavefront6targetE1EEEvT1_.has_recursion, 0
	.set _ZN7rocprim17ROCPRIM_400000_NS6detail17trampoline_kernelINS0_14default_configENS1_35adjacent_difference_config_selectorILb1ElEEZNS1_24adjacent_difference_implIS3_Lb1ELb0EPlS7_ZN2at6native12_GLOBAL__N_124unique_dim_cuda_templateIaEESt5tupleIJNS8_6TensorESD_SD_EERKSD_lbbbEUlllE1_EE10hipError_tPvRmT2_T3_mT4_P12ihipStream_tbEUlT_E_NS1_11comp_targetILNS1_3genE0ELNS1_11target_archE4294967295ELNS1_3gpuE0ELNS1_3repE0EEENS1_30default_config_static_selectorELNS0_4arch9wavefront6targetE1EEEvT1_.has_indirect_call, 0
	.section	.AMDGPU.csdata,"",@progbits
; Kernel info:
; codeLenInByte = 3048
; TotalNumSgprs: 42
; NumVgprs: 16
; NumAgprs: 0
; TotalNumVgprs: 16
; ScratchSize: 0
; MemoryBound: 0
; FloatMode: 240
; IeeeMode: 1
; LDSByteSize: 8448 bytes/workgroup (compile time only)
; SGPRBlocks: 5
; VGPRBlocks: 1
; NumSGPRsForWavesPerEU: 42
; NumVGPRsForWavesPerEU: 16
; AccumOffset: 16
; Occupancy: 8
; WaveLimiterHint : 1
; COMPUTE_PGM_RSRC2:SCRATCH_EN: 0
; COMPUTE_PGM_RSRC2:USER_SGPR: 2
; COMPUTE_PGM_RSRC2:TRAP_HANDLER: 0
; COMPUTE_PGM_RSRC2:TGID_X_EN: 1
; COMPUTE_PGM_RSRC2:TGID_Y_EN: 0
; COMPUTE_PGM_RSRC2:TGID_Z_EN: 0
; COMPUTE_PGM_RSRC2:TIDIG_COMP_CNT: 0
; COMPUTE_PGM_RSRC3_GFX90A:ACCUM_OFFSET: 3
; COMPUTE_PGM_RSRC3_GFX90A:TG_SPLIT: 0
	.section	.text._ZN7rocprim17ROCPRIM_400000_NS6detail17trampoline_kernelINS0_14default_configENS1_35adjacent_difference_config_selectorILb1ElEEZNS1_24adjacent_difference_implIS3_Lb1ELb0EPlS7_ZN2at6native12_GLOBAL__N_124unique_dim_cuda_templateIaEESt5tupleIJNS8_6TensorESD_SD_EERKSD_lbbbEUlllE1_EE10hipError_tPvRmT2_T3_mT4_P12ihipStream_tbEUlT_E_NS1_11comp_targetILNS1_3genE10ELNS1_11target_archE1201ELNS1_3gpuE5ELNS1_3repE0EEENS1_30default_config_static_selectorELNS0_4arch9wavefront6targetE1EEEvT1_,"axG",@progbits,_ZN7rocprim17ROCPRIM_400000_NS6detail17trampoline_kernelINS0_14default_configENS1_35adjacent_difference_config_selectorILb1ElEEZNS1_24adjacent_difference_implIS3_Lb1ELb0EPlS7_ZN2at6native12_GLOBAL__N_124unique_dim_cuda_templateIaEESt5tupleIJNS8_6TensorESD_SD_EERKSD_lbbbEUlllE1_EE10hipError_tPvRmT2_T3_mT4_P12ihipStream_tbEUlT_E_NS1_11comp_targetILNS1_3genE10ELNS1_11target_archE1201ELNS1_3gpuE5ELNS1_3repE0EEENS1_30default_config_static_selectorELNS0_4arch9wavefront6targetE1EEEvT1_,comdat
	.globl	_ZN7rocprim17ROCPRIM_400000_NS6detail17trampoline_kernelINS0_14default_configENS1_35adjacent_difference_config_selectorILb1ElEEZNS1_24adjacent_difference_implIS3_Lb1ELb0EPlS7_ZN2at6native12_GLOBAL__N_124unique_dim_cuda_templateIaEESt5tupleIJNS8_6TensorESD_SD_EERKSD_lbbbEUlllE1_EE10hipError_tPvRmT2_T3_mT4_P12ihipStream_tbEUlT_E_NS1_11comp_targetILNS1_3genE10ELNS1_11target_archE1201ELNS1_3gpuE5ELNS1_3repE0EEENS1_30default_config_static_selectorELNS0_4arch9wavefront6targetE1EEEvT1_ ; -- Begin function _ZN7rocprim17ROCPRIM_400000_NS6detail17trampoline_kernelINS0_14default_configENS1_35adjacent_difference_config_selectorILb1ElEEZNS1_24adjacent_difference_implIS3_Lb1ELb0EPlS7_ZN2at6native12_GLOBAL__N_124unique_dim_cuda_templateIaEESt5tupleIJNS8_6TensorESD_SD_EERKSD_lbbbEUlllE1_EE10hipError_tPvRmT2_T3_mT4_P12ihipStream_tbEUlT_E_NS1_11comp_targetILNS1_3genE10ELNS1_11target_archE1201ELNS1_3gpuE5ELNS1_3repE0EEENS1_30default_config_static_selectorELNS0_4arch9wavefront6targetE1EEEvT1_
	.p2align	8
	.type	_ZN7rocprim17ROCPRIM_400000_NS6detail17trampoline_kernelINS0_14default_configENS1_35adjacent_difference_config_selectorILb1ElEEZNS1_24adjacent_difference_implIS3_Lb1ELb0EPlS7_ZN2at6native12_GLOBAL__N_124unique_dim_cuda_templateIaEESt5tupleIJNS8_6TensorESD_SD_EERKSD_lbbbEUlllE1_EE10hipError_tPvRmT2_T3_mT4_P12ihipStream_tbEUlT_E_NS1_11comp_targetILNS1_3genE10ELNS1_11target_archE1201ELNS1_3gpuE5ELNS1_3repE0EEENS1_30default_config_static_selectorELNS0_4arch9wavefront6targetE1EEEvT1_,@function
_ZN7rocprim17ROCPRIM_400000_NS6detail17trampoline_kernelINS0_14default_configENS1_35adjacent_difference_config_selectorILb1ElEEZNS1_24adjacent_difference_implIS3_Lb1ELb0EPlS7_ZN2at6native12_GLOBAL__N_124unique_dim_cuda_templateIaEESt5tupleIJNS8_6TensorESD_SD_EERKSD_lbbbEUlllE1_EE10hipError_tPvRmT2_T3_mT4_P12ihipStream_tbEUlT_E_NS1_11comp_targetILNS1_3genE10ELNS1_11target_archE1201ELNS1_3gpuE5ELNS1_3repE0EEENS1_30default_config_static_selectorELNS0_4arch9wavefront6targetE1EEEvT1_: ; @_ZN7rocprim17ROCPRIM_400000_NS6detail17trampoline_kernelINS0_14default_configENS1_35adjacent_difference_config_selectorILb1ElEEZNS1_24adjacent_difference_implIS3_Lb1ELb0EPlS7_ZN2at6native12_GLOBAL__N_124unique_dim_cuda_templateIaEESt5tupleIJNS8_6TensorESD_SD_EERKSD_lbbbEUlllE1_EE10hipError_tPvRmT2_T3_mT4_P12ihipStream_tbEUlT_E_NS1_11comp_targetILNS1_3genE10ELNS1_11target_archE1201ELNS1_3gpuE5ELNS1_3repE0EEENS1_30default_config_static_selectorELNS0_4arch9wavefront6targetE1EEEvT1_
; %bb.0:
	.section	.rodata,"a",@progbits
	.p2align	6, 0x0
	.amdhsa_kernel _ZN7rocprim17ROCPRIM_400000_NS6detail17trampoline_kernelINS0_14default_configENS1_35adjacent_difference_config_selectorILb1ElEEZNS1_24adjacent_difference_implIS3_Lb1ELb0EPlS7_ZN2at6native12_GLOBAL__N_124unique_dim_cuda_templateIaEESt5tupleIJNS8_6TensorESD_SD_EERKSD_lbbbEUlllE1_EE10hipError_tPvRmT2_T3_mT4_P12ihipStream_tbEUlT_E_NS1_11comp_targetILNS1_3genE10ELNS1_11target_archE1201ELNS1_3gpuE5ELNS1_3repE0EEENS1_30default_config_static_selectorELNS0_4arch9wavefront6targetE1EEEvT1_
		.amdhsa_group_segment_fixed_size 0
		.amdhsa_private_segment_fixed_size 0
		.amdhsa_kernarg_size 64
		.amdhsa_user_sgpr_count 2
		.amdhsa_user_sgpr_dispatch_ptr 0
		.amdhsa_user_sgpr_queue_ptr 0
		.amdhsa_user_sgpr_kernarg_segment_ptr 1
		.amdhsa_user_sgpr_dispatch_id 0
		.amdhsa_user_sgpr_kernarg_preload_length 0
		.amdhsa_user_sgpr_kernarg_preload_offset 0
		.amdhsa_user_sgpr_private_segment_size 0
		.amdhsa_uses_dynamic_stack 0
		.amdhsa_enable_private_segment 0
		.amdhsa_system_sgpr_workgroup_id_x 1
		.amdhsa_system_sgpr_workgroup_id_y 0
		.amdhsa_system_sgpr_workgroup_id_z 0
		.amdhsa_system_sgpr_workgroup_info 0
		.amdhsa_system_vgpr_workitem_id 0
		.amdhsa_next_free_vgpr 1
		.amdhsa_next_free_sgpr 0
		.amdhsa_accum_offset 4
		.amdhsa_reserve_vcc 0
		.amdhsa_float_round_mode_32 0
		.amdhsa_float_round_mode_16_64 0
		.amdhsa_float_denorm_mode_32 3
		.amdhsa_float_denorm_mode_16_64 3
		.amdhsa_dx10_clamp 1
		.amdhsa_ieee_mode 1
		.amdhsa_fp16_overflow 0
		.amdhsa_tg_split 0
		.amdhsa_exception_fp_ieee_invalid_op 0
		.amdhsa_exception_fp_denorm_src 0
		.amdhsa_exception_fp_ieee_div_zero 0
		.amdhsa_exception_fp_ieee_overflow 0
		.amdhsa_exception_fp_ieee_underflow 0
		.amdhsa_exception_fp_ieee_inexact 0
		.amdhsa_exception_int_div_zero 0
	.end_amdhsa_kernel
	.section	.text._ZN7rocprim17ROCPRIM_400000_NS6detail17trampoline_kernelINS0_14default_configENS1_35adjacent_difference_config_selectorILb1ElEEZNS1_24adjacent_difference_implIS3_Lb1ELb0EPlS7_ZN2at6native12_GLOBAL__N_124unique_dim_cuda_templateIaEESt5tupleIJNS8_6TensorESD_SD_EERKSD_lbbbEUlllE1_EE10hipError_tPvRmT2_T3_mT4_P12ihipStream_tbEUlT_E_NS1_11comp_targetILNS1_3genE10ELNS1_11target_archE1201ELNS1_3gpuE5ELNS1_3repE0EEENS1_30default_config_static_selectorELNS0_4arch9wavefront6targetE1EEEvT1_,"axG",@progbits,_ZN7rocprim17ROCPRIM_400000_NS6detail17trampoline_kernelINS0_14default_configENS1_35adjacent_difference_config_selectorILb1ElEEZNS1_24adjacent_difference_implIS3_Lb1ELb0EPlS7_ZN2at6native12_GLOBAL__N_124unique_dim_cuda_templateIaEESt5tupleIJNS8_6TensorESD_SD_EERKSD_lbbbEUlllE1_EE10hipError_tPvRmT2_T3_mT4_P12ihipStream_tbEUlT_E_NS1_11comp_targetILNS1_3genE10ELNS1_11target_archE1201ELNS1_3gpuE5ELNS1_3repE0EEENS1_30default_config_static_selectorELNS0_4arch9wavefront6targetE1EEEvT1_,comdat
.Lfunc_end312:
	.size	_ZN7rocprim17ROCPRIM_400000_NS6detail17trampoline_kernelINS0_14default_configENS1_35adjacent_difference_config_selectorILb1ElEEZNS1_24adjacent_difference_implIS3_Lb1ELb0EPlS7_ZN2at6native12_GLOBAL__N_124unique_dim_cuda_templateIaEESt5tupleIJNS8_6TensorESD_SD_EERKSD_lbbbEUlllE1_EE10hipError_tPvRmT2_T3_mT4_P12ihipStream_tbEUlT_E_NS1_11comp_targetILNS1_3genE10ELNS1_11target_archE1201ELNS1_3gpuE5ELNS1_3repE0EEENS1_30default_config_static_selectorELNS0_4arch9wavefront6targetE1EEEvT1_, .Lfunc_end312-_ZN7rocprim17ROCPRIM_400000_NS6detail17trampoline_kernelINS0_14default_configENS1_35adjacent_difference_config_selectorILb1ElEEZNS1_24adjacent_difference_implIS3_Lb1ELb0EPlS7_ZN2at6native12_GLOBAL__N_124unique_dim_cuda_templateIaEESt5tupleIJNS8_6TensorESD_SD_EERKSD_lbbbEUlllE1_EE10hipError_tPvRmT2_T3_mT4_P12ihipStream_tbEUlT_E_NS1_11comp_targetILNS1_3genE10ELNS1_11target_archE1201ELNS1_3gpuE5ELNS1_3repE0EEENS1_30default_config_static_selectorELNS0_4arch9wavefront6targetE1EEEvT1_
                                        ; -- End function
	.set _ZN7rocprim17ROCPRIM_400000_NS6detail17trampoline_kernelINS0_14default_configENS1_35adjacent_difference_config_selectorILb1ElEEZNS1_24adjacent_difference_implIS3_Lb1ELb0EPlS7_ZN2at6native12_GLOBAL__N_124unique_dim_cuda_templateIaEESt5tupleIJNS8_6TensorESD_SD_EERKSD_lbbbEUlllE1_EE10hipError_tPvRmT2_T3_mT4_P12ihipStream_tbEUlT_E_NS1_11comp_targetILNS1_3genE10ELNS1_11target_archE1201ELNS1_3gpuE5ELNS1_3repE0EEENS1_30default_config_static_selectorELNS0_4arch9wavefront6targetE1EEEvT1_.num_vgpr, 0
	.set _ZN7rocprim17ROCPRIM_400000_NS6detail17trampoline_kernelINS0_14default_configENS1_35adjacent_difference_config_selectorILb1ElEEZNS1_24adjacent_difference_implIS3_Lb1ELb0EPlS7_ZN2at6native12_GLOBAL__N_124unique_dim_cuda_templateIaEESt5tupleIJNS8_6TensorESD_SD_EERKSD_lbbbEUlllE1_EE10hipError_tPvRmT2_T3_mT4_P12ihipStream_tbEUlT_E_NS1_11comp_targetILNS1_3genE10ELNS1_11target_archE1201ELNS1_3gpuE5ELNS1_3repE0EEENS1_30default_config_static_selectorELNS0_4arch9wavefront6targetE1EEEvT1_.num_agpr, 0
	.set _ZN7rocprim17ROCPRIM_400000_NS6detail17trampoline_kernelINS0_14default_configENS1_35adjacent_difference_config_selectorILb1ElEEZNS1_24adjacent_difference_implIS3_Lb1ELb0EPlS7_ZN2at6native12_GLOBAL__N_124unique_dim_cuda_templateIaEESt5tupleIJNS8_6TensorESD_SD_EERKSD_lbbbEUlllE1_EE10hipError_tPvRmT2_T3_mT4_P12ihipStream_tbEUlT_E_NS1_11comp_targetILNS1_3genE10ELNS1_11target_archE1201ELNS1_3gpuE5ELNS1_3repE0EEENS1_30default_config_static_selectorELNS0_4arch9wavefront6targetE1EEEvT1_.numbered_sgpr, 0
	.set _ZN7rocprim17ROCPRIM_400000_NS6detail17trampoline_kernelINS0_14default_configENS1_35adjacent_difference_config_selectorILb1ElEEZNS1_24adjacent_difference_implIS3_Lb1ELb0EPlS7_ZN2at6native12_GLOBAL__N_124unique_dim_cuda_templateIaEESt5tupleIJNS8_6TensorESD_SD_EERKSD_lbbbEUlllE1_EE10hipError_tPvRmT2_T3_mT4_P12ihipStream_tbEUlT_E_NS1_11comp_targetILNS1_3genE10ELNS1_11target_archE1201ELNS1_3gpuE5ELNS1_3repE0EEENS1_30default_config_static_selectorELNS0_4arch9wavefront6targetE1EEEvT1_.num_named_barrier, 0
	.set _ZN7rocprim17ROCPRIM_400000_NS6detail17trampoline_kernelINS0_14default_configENS1_35adjacent_difference_config_selectorILb1ElEEZNS1_24adjacent_difference_implIS3_Lb1ELb0EPlS7_ZN2at6native12_GLOBAL__N_124unique_dim_cuda_templateIaEESt5tupleIJNS8_6TensorESD_SD_EERKSD_lbbbEUlllE1_EE10hipError_tPvRmT2_T3_mT4_P12ihipStream_tbEUlT_E_NS1_11comp_targetILNS1_3genE10ELNS1_11target_archE1201ELNS1_3gpuE5ELNS1_3repE0EEENS1_30default_config_static_selectorELNS0_4arch9wavefront6targetE1EEEvT1_.private_seg_size, 0
	.set _ZN7rocprim17ROCPRIM_400000_NS6detail17trampoline_kernelINS0_14default_configENS1_35adjacent_difference_config_selectorILb1ElEEZNS1_24adjacent_difference_implIS3_Lb1ELb0EPlS7_ZN2at6native12_GLOBAL__N_124unique_dim_cuda_templateIaEESt5tupleIJNS8_6TensorESD_SD_EERKSD_lbbbEUlllE1_EE10hipError_tPvRmT2_T3_mT4_P12ihipStream_tbEUlT_E_NS1_11comp_targetILNS1_3genE10ELNS1_11target_archE1201ELNS1_3gpuE5ELNS1_3repE0EEENS1_30default_config_static_selectorELNS0_4arch9wavefront6targetE1EEEvT1_.uses_vcc, 0
	.set _ZN7rocprim17ROCPRIM_400000_NS6detail17trampoline_kernelINS0_14default_configENS1_35adjacent_difference_config_selectorILb1ElEEZNS1_24adjacent_difference_implIS3_Lb1ELb0EPlS7_ZN2at6native12_GLOBAL__N_124unique_dim_cuda_templateIaEESt5tupleIJNS8_6TensorESD_SD_EERKSD_lbbbEUlllE1_EE10hipError_tPvRmT2_T3_mT4_P12ihipStream_tbEUlT_E_NS1_11comp_targetILNS1_3genE10ELNS1_11target_archE1201ELNS1_3gpuE5ELNS1_3repE0EEENS1_30default_config_static_selectorELNS0_4arch9wavefront6targetE1EEEvT1_.uses_flat_scratch, 0
	.set _ZN7rocprim17ROCPRIM_400000_NS6detail17trampoline_kernelINS0_14default_configENS1_35adjacent_difference_config_selectorILb1ElEEZNS1_24adjacent_difference_implIS3_Lb1ELb0EPlS7_ZN2at6native12_GLOBAL__N_124unique_dim_cuda_templateIaEESt5tupleIJNS8_6TensorESD_SD_EERKSD_lbbbEUlllE1_EE10hipError_tPvRmT2_T3_mT4_P12ihipStream_tbEUlT_E_NS1_11comp_targetILNS1_3genE10ELNS1_11target_archE1201ELNS1_3gpuE5ELNS1_3repE0EEENS1_30default_config_static_selectorELNS0_4arch9wavefront6targetE1EEEvT1_.has_dyn_sized_stack, 0
	.set _ZN7rocprim17ROCPRIM_400000_NS6detail17trampoline_kernelINS0_14default_configENS1_35adjacent_difference_config_selectorILb1ElEEZNS1_24adjacent_difference_implIS3_Lb1ELb0EPlS7_ZN2at6native12_GLOBAL__N_124unique_dim_cuda_templateIaEESt5tupleIJNS8_6TensorESD_SD_EERKSD_lbbbEUlllE1_EE10hipError_tPvRmT2_T3_mT4_P12ihipStream_tbEUlT_E_NS1_11comp_targetILNS1_3genE10ELNS1_11target_archE1201ELNS1_3gpuE5ELNS1_3repE0EEENS1_30default_config_static_selectorELNS0_4arch9wavefront6targetE1EEEvT1_.has_recursion, 0
	.set _ZN7rocprim17ROCPRIM_400000_NS6detail17trampoline_kernelINS0_14default_configENS1_35adjacent_difference_config_selectorILb1ElEEZNS1_24adjacent_difference_implIS3_Lb1ELb0EPlS7_ZN2at6native12_GLOBAL__N_124unique_dim_cuda_templateIaEESt5tupleIJNS8_6TensorESD_SD_EERKSD_lbbbEUlllE1_EE10hipError_tPvRmT2_T3_mT4_P12ihipStream_tbEUlT_E_NS1_11comp_targetILNS1_3genE10ELNS1_11target_archE1201ELNS1_3gpuE5ELNS1_3repE0EEENS1_30default_config_static_selectorELNS0_4arch9wavefront6targetE1EEEvT1_.has_indirect_call, 0
	.section	.AMDGPU.csdata,"",@progbits
; Kernel info:
; codeLenInByte = 0
; TotalNumSgprs: 6
; NumVgprs: 0
; NumAgprs: 0
; TotalNumVgprs: 0
; ScratchSize: 0
; MemoryBound: 0
; FloatMode: 240
; IeeeMode: 1
; LDSByteSize: 0 bytes/workgroup (compile time only)
; SGPRBlocks: 0
; VGPRBlocks: 0
; NumSGPRsForWavesPerEU: 6
; NumVGPRsForWavesPerEU: 1
; AccumOffset: 4
; Occupancy: 8
; WaveLimiterHint : 0
; COMPUTE_PGM_RSRC2:SCRATCH_EN: 0
; COMPUTE_PGM_RSRC2:USER_SGPR: 2
; COMPUTE_PGM_RSRC2:TRAP_HANDLER: 0
; COMPUTE_PGM_RSRC2:TGID_X_EN: 1
; COMPUTE_PGM_RSRC2:TGID_Y_EN: 0
; COMPUTE_PGM_RSRC2:TGID_Z_EN: 0
; COMPUTE_PGM_RSRC2:TIDIG_COMP_CNT: 0
; COMPUTE_PGM_RSRC3_GFX90A:ACCUM_OFFSET: 0
; COMPUTE_PGM_RSRC3_GFX90A:TG_SPLIT: 0
	.section	.text._ZN7rocprim17ROCPRIM_400000_NS6detail17trampoline_kernelINS0_14default_configENS1_35adjacent_difference_config_selectorILb1ElEEZNS1_24adjacent_difference_implIS3_Lb1ELb0EPlS7_ZN2at6native12_GLOBAL__N_124unique_dim_cuda_templateIaEESt5tupleIJNS8_6TensorESD_SD_EERKSD_lbbbEUlllE1_EE10hipError_tPvRmT2_T3_mT4_P12ihipStream_tbEUlT_E_NS1_11comp_targetILNS1_3genE5ELNS1_11target_archE942ELNS1_3gpuE9ELNS1_3repE0EEENS1_30default_config_static_selectorELNS0_4arch9wavefront6targetE1EEEvT1_,"axG",@progbits,_ZN7rocprim17ROCPRIM_400000_NS6detail17trampoline_kernelINS0_14default_configENS1_35adjacent_difference_config_selectorILb1ElEEZNS1_24adjacent_difference_implIS3_Lb1ELb0EPlS7_ZN2at6native12_GLOBAL__N_124unique_dim_cuda_templateIaEESt5tupleIJNS8_6TensorESD_SD_EERKSD_lbbbEUlllE1_EE10hipError_tPvRmT2_T3_mT4_P12ihipStream_tbEUlT_E_NS1_11comp_targetILNS1_3genE5ELNS1_11target_archE942ELNS1_3gpuE9ELNS1_3repE0EEENS1_30default_config_static_selectorELNS0_4arch9wavefront6targetE1EEEvT1_,comdat
	.globl	_ZN7rocprim17ROCPRIM_400000_NS6detail17trampoline_kernelINS0_14default_configENS1_35adjacent_difference_config_selectorILb1ElEEZNS1_24adjacent_difference_implIS3_Lb1ELb0EPlS7_ZN2at6native12_GLOBAL__N_124unique_dim_cuda_templateIaEESt5tupleIJNS8_6TensorESD_SD_EERKSD_lbbbEUlllE1_EE10hipError_tPvRmT2_T3_mT4_P12ihipStream_tbEUlT_E_NS1_11comp_targetILNS1_3genE5ELNS1_11target_archE942ELNS1_3gpuE9ELNS1_3repE0EEENS1_30default_config_static_selectorELNS0_4arch9wavefront6targetE1EEEvT1_ ; -- Begin function _ZN7rocprim17ROCPRIM_400000_NS6detail17trampoline_kernelINS0_14default_configENS1_35adjacent_difference_config_selectorILb1ElEEZNS1_24adjacent_difference_implIS3_Lb1ELb0EPlS7_ZN2at6native12_GLOBAL__N_124unique_dim_cuda_templateIaEESt5tupleIJNS8_6TensorESD_SD_EERKSD_lbbbEUlllE1_EE10hipError_tPvRmT2_T3_mT4_P12ihipStream_tbEUlT_E_NS1_11comp_targetILNS1_3genE5ELNS1_11target_archE942ELNS1_3gpuE9ELNS1_3repE0EEENS1_30default_config_static_selectorELNS0_4arch9wavefront6targetE1EEEvT1_
	.p2align	8
	.type	_ZN7rocprim17ROCPRIM_400000_NS6detail17trampoline_kernelINS0_14default_configENS1_35adjacent_difference_config_selectorILb1ElEEZNS1_24adjacent_difference_implIS3_Lb1ELb0EPlS7_ZN2at6native12_GLOBAL__N_124unique_dim_cuda_templateIaEESt5tupleIJNS8_6TensorESD_SD_EERKSD_lbbbEUlllE1_EE10hipError_tPvRmT2_T3_mT4_P12ihipStream_tbEUlT_E_NS1_11comp_targetILNS1_3genE5ELNS1_11target_archE942ELNS1_3gpuE9ELNS1_3repE0EEENS1_30default_config_static_selectorELNS0_4arch9wavefront6targetE1EEEvT1_,@function
_ZN7rocprim17ROCPRIM_400000_NS6detail17trampoline_kernelINS0_14default_configENS1_35adjacent_difference_config_selectorILb1ElEEZNS1_24adjacent_difference_implIS3_Lb1ELb0EPlS7_ZN2at6native12_GLOBAL__N_124unique_dim_cuda_templateIaEESt5tupleIJNS8_6TensorESD_SD_EERKSD_lbbbEUlllE1_EE10hipError_tPvRmT2_T3_mT4_P12ihipStream_tbEUlT_E_NS1_11comp_targetILNS1_3genE5ELNS1_11target_archE942ELNS1_3gpuE9ELNS1_3repE0EEENS1_30default_config_static_selectorELNS0_4arch9wavefront6targetE1EEEvT1_: ; @_ZN7rocprim17ROCPRIM_400000_NS6detail17trampoline_kernelINS0_14default_configENS1_35adjacent_difference_config_selectorILb1ElEEZNS1_24adjacent_difference_implIS3_Lb1ELb0EPlS7_ZN2at6native12_GLOBAL__N_124unique_dim_cuda_templateIaEESt5tupleIJNS8_6TensorESD_SD_EERKSD_lbbbEUlllE1_EE10hipError_tPvRmT2_T3_mT4_P12ihipStream_tbEUlT_E_NS1_11comp_targetILNS1_3genE5ELNS1_11target_archE942ELNS1_3gpuE9ELNS1_3repE0EEENS1_30default_config_static_selectorELNS0_4arch9wavefront6targetE1EEEvT1_
; %bb.0:
	.section	.rodata,"a",@progbits
	.p2align	6, 0x0
	.amdhsa_kernel _ZN7rocprim17ROCPRIM_400000_NS6detail17trampoline_kernelINS0_14default_configENS1_35adjacent_difference_config_selectorILb1ElEEZNS1_24adjacent_difference_implIS3_Lb1ELb0EPlS7_ZN2at6native12_GLOBAL__N_124unique_dim_cuda_templateIaEESt5tupleIJNS8_6TensorESD_SD_EERKSD_lbbbEUlllE1_EE10hipError_tPvRmT2_T3_mT4_P12ihipStream_tbEUlT_E_NS1_11comp_targetILNS1_3genE5ELNS1_11target_archE942ELNS1_3gpuE9ELNS1_3repE0EEENS1_30default_config_static_selectorELNS0_4arch9wavefront6targetE1EEEvT1_
		.amdhsa_group_segment_fixed_size 0
		.amdhsa_private_segment_fixed_size 0
		.amdhsa_kernarg_size 64
		.amdhsa_user_sgpr_count 2
		.amdhsa_user_sgpr_dispatch_ptr 0
		.amdhsa_user_sgpr_queue_ptr 0
		.amdhsa_user_sgpr_kernarg_segment_ptr 1
		.amdhsa_user_sgpr_dispatch_id 0
		.amdhsa_user_sgpr_kernarg_preload_length 0
		.amdhsa_user_sgpr_kernarg_preload_offset 0
		.amdhsa_user_sgpr_private_segment_size 0
		.amdhsa_uses_dynamic_stack 0
		.amdhsa_enable_private_segment 0
		.amdhsa_system_sgpr_workgroup_id_x 1
		.amdhsa_system_sgpr_workgroup_id_y 0
		.amdhsa_system_sgpr_workgroup_id_z 0
		.amdhsa_system_sgpr_workgroup_info 0
		.amdhsa_system_vgpr_workitem_id 0
		.amdhsa_next_free_vgpr 1
		.amdhsa_next_free_sgpr 0
		.amdhsa_accum_offset 4
		.amdhsa_reserve_vcc 0
		.amdhsa_float_round_mode_32 0
		.amdhsa_float_round_mode_16_64 0
		.amdhsa_float_denorm_mode_32 3
		.amdhsa_float_denorm_mode_16_64 3
		.amdhsa_dx10_clamp 1
		.amdhsa_ieee_mode 1
		.amdhsa_fp16_overflow 0
		.amdhsa_tg_split 0
		.amdhsa_exception_fp_ieee_invalid_op 0
		.amdhsa_exception_fp_denorm_src 0
		.amdhsa_exception_fp_ieee_div_zero 0
		.amdhsa_exception_fp_ieee_overflow 0
		.amdhsa_exception_fp_ieee_underflow 0
		.amdhsa_exception_fp_ieee_inexact 0
		.amdhsa_exception_int_div_zero 0
	.end_amdhsa_kernel
	.section	.text._ZN7rocprim17ROCPRIM_400000_NS6detail17trampoline_kernelINS0_14default_configENS1_35adjacent_difference_config_selectorILb1ElEEZNS1_24adjacent_difference_implIS3_Lb1ELb0EPlS7_ZN2at6native12_GLOBAL__N_124unique_dim_cuda_templateIaEESt5tupleIJNS8_6TensorESD_SD_EERKSD_lbbbEUlllE1_EE10hipError_tPvRmT2_T3_mT4_P12ihipStream_tbEUlT_E_NS1_11comp_targetILNS1_3genE5ELNS1_11target_archE942ELNS1_3gpuE9ELNS1_3repE0EEENS1_30default_config_static_selectorELNS0_4arch9wavefront6targetE1EEEvT1_,"axG",@progbits,_ZN7rocprim17ROCPRIM_400000_NS6detail17trampoline_kernelINS0_14default_configENS1_35adjacent_difference_config_selectorILb1ElEEZNS1_24adjacent_difference_implIS3_Lb1ELb0EPlS7_ZN2at6native12_GLOBAL__N_124unique_dim_cuda_templateIaEESt5tupleIJNS8_6TensorESD_SD_EERKSD_lbbbEUlllE1_EE10hipError_tPvRmT2_T3_mT4_P12ihipStream_tbEUlT_E_NS1_11comp_targetILNS1_3genE5ELNS1_11target_archE942ELNS1_3gpuE9ELNS1_3repE0EEENS1_30default_config_static_selectorELNS0_4arch9wavefront6targetE1EEEvT1_,comdat
.Lfunc_end313:
	.size	_ZN7rocprim17ROCPRIM_400000_NS6detail17trampoline_kernelINS0_14default_configENS1_35adjacent_difference_config_selectorILb1ElEEZNS1_24adjacent_difference_implIS3_Lb1ELb0EPlS7_ZN2at6native12_GLOBAL__N_124unique_dim_cuda_templateIaEESt5tupleIJNS8_6TensorESD_SD_EERKSD_lbbbEUlllE1_EE10hipError_tPvRmT2_T3_mT4_P12ihipStream_tbEUlT_E_NS1_11comp_targetILNS1_3genE5ELNS1_11target_archE942ELNS1_3gpuE9ELNS1_3repE0EEENS1_30default_config_static_selectorELNS0_4arch9wavefront6targetE1EEEvT1_, .Lfunc_end313-_ZN7rocprim17ROCPRIM_400000_NS6detail17trampoline_kernelINS0_14default_configENS1_35adjacent_difference_config_selectorILb1ElEEZNS1_24adjacent_difference_implIS3_Lb1ELb0EPlS7_ZN2at6native12_GLOBAL__N_124unique_dim_cuda_templateIaEESt5tupleIJNS8_6TensorESD_SD_EERKSD_lbbbEUlllE1_EE10hipError_tPvRmT2_T3_mT4_P12ihipStream_tbEUlT_E_NS1_11comp_targetILNS1_3genE5ELNS1_11target_archE942ELNS1_3gpuE9ELNS1_3repE0EEENS1_30default_config_static_selectorELNS0_4arch9wavefront6targetE1EEEvT1_
                                        ; -- End function
	.set _ZN7rocprim17ROCPRIM_400000_NS6detail17trampoline_kernelINS0_14default_configENS1_35adjacent_difference_config_selectorILb1ElEEZNS1_24adjacent_difference_implIS3_Lb1ELb0EPlS7_ZN2at6native12_GLOBAL__N_124unique_dim_cuda_templateIaEESt5tupleIJNS8_6TensorESD_SD_EERKSD_lbbbEUlllE1_EE10hipError_tPvRmT2_T3_mT4_P12ihipStream_tbEUlT_E_NS1_11comp_targetILNS1_3genE5ELNS1_11target_archE942ELNS1_3gpuE9ELNS1_3repE0EEENS1_30default_config_static_selectorELNS0_4arch9wavefront6targetE1EEEvT1_.num_vgpr, 0
	.set _ZN7rocprim17ROCPRIM_400000_NS6detail17trampoline_kernelINS0_14default_configENS1_35adjacent_difference_config_selectorILb1ElEEZNS1_24adjacent_difference_implIS3_Lb1ELb0EPlS7_ZN2at6native12_GLOBAL__N_124unique_dim_cuda_templateIaEESt5tupleIJNS8_6TensorESD_SD_EERKSD_lbbbEUlllE1_EE10hipError_tPvRmT2_T3_mT4_P12ihipStream_tbEUlT_E_NS1_11comp_targetILNS1_3genE5ELNS1_11target_archE942ELNS1_3gpuE9ELNS1_3repE0EEENS1_30default_config_static_selectorELNS0_4arch9wavefront6targetE1EEEvT1_.num_agpr, 0
	.set _ZN7rocprim17ROCPRIM_400000_NS6detail17trampoline_kernelINS0_14default_configENS1_35adjacent_difference_config_selectorILb1ElEEZNS1_24adjacent_difference_implIS3_Lb1ELb0EPlS7_ZN2at6native12_GLOBAL__N_124unique_dim_cuda_templateIaEESt5tupleIJNS8_6TensorESD_SD_EERKSD_lbbbEUlllE1_EE10hipError_tPvRmT2_T3_mT4_P12ihipStream_tbEUlT_E_NS1_11comp_targetILNS1_3genE5ELNS1_11target_archE942ELNS1_3gpuE9ELNS1_3repE0EEENS1_30default_config_static_selectorELNS0_4arch9wavefront6targetE1EEEvT1_.numbered_sgpr, 0
	.set _ZN7rocprim17ROCPRIM_400000_NS6detail17trampoline_kernelINS0_14default_configENS1_35adjacent_difference_config_selectorILb1ElEEZNS1_24adjacent_difference_implIS3_Lb1ELb0EPlS7_ZN2at6native12_GLOBAL__N_124unique_dim_cuda_templateIaEESt5tupleIJNS8_6TensorESD_SD_EERKSD_lbbbEUlllE1_EE10hipError_tPvRmT2_T3_mT4_P12ihipStream_tbEUlT_E_NS1_11comp_targetILNS1_3genE5ELNS1_11target_archE942ELNS1_3gpuE9ELNS1_3repE0EEENS1_30default_config_static_selectorELNS0_4arch9wavefront6targetE1EEEvT1_.num_named_barrier, 0
	.set _ZN7rocprim17ROCPRIM_400000_NS6detail17trampoline_kernelINS0_14default_configENS1_35adjacent_difference_config_selectorILb1ElEEZNS1_24adjacent_difference_implIS3_Lb1ELb0EPlS7_ZN2at6native12_GLOBAL__N_124unique_dim_cuda_templateIaEESt5tupleIJNS8_6TensorESD_SD_EERKSD_lbbbEUlllE1_EE10hipError_tPvRmT2_T3_mT4_P12ihipStream_tbEUlT_E_NS1_11comp_targetILNS1_3genE5ELNS1_11target_archE942ELNS1_3gpuE9ELNS1_3repE0EEENS1_30default_config_static_selectorELNS0_4arch9wavefront6targetE1EEEvT1_.private_seg_size, 0
	.set _ZN7rocprim17ROCPRIM_400000_NS6detail17trampoline_kernelINS0_14default_configENS1_35adjacent_difference_config_selectorILb1ElEEZNS1_24adjacent_difference_implIS3_Lb1ELb0EPlS7_ZN2at6native12_GLOBAL__N_124unique_dim_cuda_templateIaEESt5tupleIJNS8_6TensorESD_SD_EERKSD_lbbbEUlllE1_EE10hipError_tPvRmT2_T3_mT4_P12ihipStream_tbEUlT_E_NS1_11comp_targetILNS1_3genE5ELNS1_11target_archE942ELNS1_3gpuE9ELNS1_3repE0EEENS1_30default_config_static_selectorELNS0_4arch9wavefront6targetE1EEEvT1_.uses_vcc, 0
	.set _ZN7rocprim17ROCPRIM_400000_NS6detail17trampoline_kernelINS0_14default_configENS1_35adjacent_difference_config_selectorILb1ElEEZNS1_24adjacent_difference_implIS3_Lb1ELb0EPlS7_ZN2at6native12_GLOBAL__N_124unique_dim_cuda_templateIaEESt5tupleIJNS8_6TensorESD_SD_EERKSD_lbbbEUlllE1_EE10hipError_tPvRmT2_T3_mT4_P12ihipStream_tbEUlT_E_NS1_11comp_targetILNS1_3genE5ELNS1_11target_archE942ELNS1_3gpuE9ELNS1_3repE0EEENS1_30default_config_static_selectorELNS0_4arch9wavefront6targetE1EEEvT1_.uses_flat_scratch, 0
	.set _ZN7rocprim17ROCPRIM_400000_NS6detail17trampoline_kernelINS0_14default_configENS1_35adjacent_difference_config_selectorILb1ElEEZNS1_24adjacent_difference_implIS3_Lb1ELb0EPlS7_ZN2at6native12_GLOBAL__N_124unique_dim_cuda_templateIaEESt5tupleIJNS8_6TensorESD_SD_EERKSD_lbbbEUlllE1_EE10hipError_tPvRmT2_T3_mT4_P12ihipStream_tbEUlT_E_NS1_11comp_targetILNS1_3genE5ELNS1_11target_archE942ELNS1_3gpuE9ELNS1_3repE0EEENS1_30default_config_static_selectorELNS0_4arch9wavefront6targetE1EEEvT1_.has_dyn_sized_stack, 0
	.set _ZN7rocprim17ROCPRIM_400000_NS6detail17trampoline_kernelINS0_14default_configENS1_35adjacent_difference_config_selectorILb1ElEEZNS1_24adjacent_difference_implIS3_Lb1ELb0EPlS7_ZN2at6native12_GLOBAL__N_124unique_dim_cuda_templateIaEESt5tupleIJNS8_6TensorESD_SD_EERKSD_lbbbEUlllE1_EE10hipError_tPvRmT2_T3_mT4_P12ihipStream_tbEUlT_E_NS1_11comp_targetILNS1_3genE5ELNS1_11target_archE942ELNS1_3gpuE9ELNS1_3repE0EEENS1_30default_config_static_selectorELNS0_4arch9wavefront6targetE1EEEvT1_.has_recursion, 0
	.set _ZN7rocprim17ROCPRIM_400000_NS6detail17trampoline_kernelINS0_14default_configENS1_35adjacent_difference_config_selectorILb1ElEEZNS1_24adjacent_difference_implIS3_Lb1ELb0EPlS7_ZN2at6native12_GLOBAL__N_124unique_dim_cuda_templateIaEESt5tupleIJNS8_6TensorESD_SD_EERKSD_lbbbEUlllE1_EE10hipError_tPvRmT2_T3_mT4_P12ihipStream_tbEUlT_E_NS1_11comp_targetILNS1_3genE5ELNS1_11target_archE942ELNS1_3gpuE9ELNS1_3repE0EEENS1_30default_config_static_selectorELNS0_4arch9wavefront6targetE1EEEvT1_.has_indirect_call, 0
	.section	.AMDGPU.csdata,"",@progbits
; Kernel info:
; codeLenInByte = 0
; TotalNumSgprs: 6
; NumVgprs: 0
; NumAgprs: 0
; TotalNumVgprs: 0
; ScratchSize: 0
; MemoryBound: 0
; FloatMode: 240
; IeeeMode: 1
; LDSByteSize: 0 bytes/workgroup (compile time only)
; SGPRBlocks: 0
; VGPRBlocks: 0
; NumSGPRsForWavesPerEU: 6
; NumVGPRsForWavesPerEU: 1
; AccumOffset: 4
; Occupancy: 8
; WaveLimiterHint : 0
; COMPUTE_PGM_RSRC2:SCRATCH_EN: 0
; COMPUTE_PGM_RSRC2:USER_SGPR: 2
; COMPUTE_PGM_RSRC2:TRAP_HANDLER: 0
; COMPUTE_PGM_RSRC2:TGID_X_EN: 1
; COMPUTE_PGM_RSRC2:TGID_Y_EN: 0
; COMPUTE_PGM_RSRC2:TGID_Z_EN: 0
; COMPUTE_PGM_RSRC2:TIDIG_COMP_CNT: 0
; COMPUTE_PGM_RSRC3_GFX90A:ACCUM_OFFSET: 0
; COMPUTE_PGM_RSRC3_GFX90A:TG_SPLIT: 0
	.section	.text._ZN7rocprim17ROCPRIM_400000_NS6detail17trampoline_kernelINS0_14default_configENS1_35adjacent_difference_config_selectorILb1ElEEZNS1_24adjacent_difference_implIS3_Lb1ELb0EPlS7_ZN2at6native12_GLOBAL__N_124unique_dim_cuda_templateIaEESt5tupleIJNS8_6TensorESD_SD_EERKSD_lbbbEUlllE1_EE10hipError_tPvRmT2_T3_mT4_P12ihipStream_tbEUlT_E_NS1_11comp_targetILNS1_3genE4ELNS1_11target_archE910ELNS1_3gpuE8ELNS1_3repE0EEENS1_30default_config_static_selectorELNS0_4arch9wavefront6targetE1EEEvT1_,"axG",@progbits,_ZN7rocprim17ROCPRIM_400000_NS6detail17trampoline_kernelINS0_14default_configENS1_35adjacent_difference_config_selectorILb1ElEEZNS1_24adjacent_difference_implIS3_Lb1ELb0EPlS7_ZN2at6native12_GLOBAL__N_124unique_dim_cuda_templateIaEESt5tupleIJNS8_6TensorESD_SD_EERKSD_lbbbEUlllE1_EE10hipError_tPvRmT2_T3_mT4_P12ihipStream_tbEUlT_E_NS1_11comp_targetILNS1_3genE4ELNS1_11target_archE910ELNS1_3gpuE8ELNS1_3repE0EEENS1_30default_config_static_selectorELNS0_4arch9wavefront6targetE1EEEvT1_,comdat
	.globl	_ZN7rocprim17ROCPRIM_400000_NS6detail17trampoline_kernelINS0_14default_configENS1_35adjacent_difference_config_selectorILb1ElEEZNS1_24adjacent_difference_implIS3_Lb1ELb0EPlS7_ZN2at6native12_GLOBAL__N_124unique_dim_cuda_templateIaEESt5tupleIJNS8_6TensorESD_SD_EERKSD_lbbbEUlllE1_EE10hipError_tPvRmT2_T3_mT4_P12ihipStream_tbEUlT_E_NS1_11comp_targetILNS1_3genE4ELNS1_11target_archE910ELNS1_3gpuE8ELNS1_3repE0EEENS1_30default_config_static_selectorELNS0_4arch9wavefront6targetE1EEEvT1_ ; -- Begin function _ZN7rocprim17ROCPRIM_400000_NS6detail17trampoline_kernelINS0_14default_configENS1_35adjacent_difference_config_selectorILb1ElEEZNS1_24adjacent_difference_implIS3_Lb1ELb0EPlS7_ZN2at6native12_GLOBAL__N_124unique_dim_cuda_templateIaEESt5tupleIJNS8_6TensorESD_SD_EERKSD_lbbbEUlllE1_EE10hipError_tPvRmT2_T3_mT4_P12ihipStream_tbEUlT_E_NS1_11comp_targetILNS1_3genE4ELNS1_11target_archE910ELNS1_3gpuE8ELNS1_3repE0EEENS1_30default_config_static_selectorELNS0_4arch9wavefront6targetE1EEEvT1_
	.p2align	8
	.type	_ZN7rocprim17ROCPRIM_400000_NS6detail17trampoline_kernelINS0_14default_configENS1_35adjacent_difference_config_selectorILb1ElEEZNS1_24adjacent_difference_implIS3_Lb1ELb0EPlS7_ZN2at6native12_GLOBAL__N_124unique_dim_cuda_templateIaEESt5tupleIJNS8_6TensorESD_SD_EERKSD_lbbbEUlllE1_EE10hipError_tPvRmT2_T3_mT4_P12ihipStream_tbEUlT_E_NS1_11comp_targetILNS1_3genE4ELNS1_11target_archE910ELNS1_3gpuE8ELNS1_3repE0EEENS1_30default_config_static_selectorELNS0_4arch9wavefront6targetE1EEEvT1_,@function
_ZN7rocprim17ROCPRIM_400000_NS6detail17trampoline_kernelINS0_14default_configENS1_35adjacent_difference_config_selectorILb1ElEEZNS1_24adjacent_difference_implIS3_Lb1ELb0EPlS7_ZN2at6native12_GLOBAL__N_124unique_dim_cuda_templateIaEESt5tupleIJNS8_6TensorESD_SD_EERKSD_lbbbEUlllE1_EE10hipError_tPvRmT2_T3_mT4_P12ihipStream_tbEUlT_E_NS1_11comp_targetILNS1_3genE4ELNS1_11target_archE910ELNS1_3gpuE8ELNS1_3repE0EEENS1_30default_config_static_selectorELNS0_4arch9wavefront6targetE1EEEvT1_: ; @_ZN7rocprim17ROCPRIM_400000_NS6detail17trampoline_kernelINS0_14default_configENS1_35adjacent_difference_config_selectorILb1ElEEZNS1_24adjacent_difference_implIS3_Lb1ELb0EPlS7_ZN2at6native12_GLOBAL__N_124unique_dim_cuda_templateIaEESt5tupleIJNS8_6TensorESD_SD_EERKSD_lbbbEUlllE1_EE10hipError_tPvRmT2_T3_mT4_P12ihipStream_tbEUlT_E_NS1_11comp_targetILNS1_3genE4ELNS1_11target_archE910ELNS1_3gpuE8ELNS1_3repE0EEENS1_30default_config_static_selectorELNS0_4arch9wavefront6targetE1EEEvT1_
; %bb.0:
	.section	.rodata,"a",@progbits
	.p2align	6, 0x0
	.amdhsa_kernel _ZN7rocprim17ROCPRIM_400000_NS6detail17trampoline_kernelINS0_14default_configENS1_35adjacent_difference_config_selectorILb1ElEEZNS1_24adjacent_difference_implIS3_Lb1ELb0EPlS7_ZN2at6native12_GLOBAL__N_124unique_dim_cuda_templateIaEESt5tupleIJNS8_6TensorESD_SD_EERKSD_lbbbEUlllE1_EE10hipError_tPvRmT2_T3_mT4_P12ihipStream_tbEUlT_E_NS1_11comp_targetILNS1_3genE4ELNS1_11target_archE910ELNS1_3gpuE8ELNS1_3repE0EEENS1_30default_config_static_selectorELNS0_4arch9wavefront6targetE1EEEvT1_
		.amdhsa_group_segment_fixed_size 0
		.amdhsa_private_segment_fixed_size 0
		.amdhsa_kernarg_size 64
		.amdhsa_user_sgpr_count 2
		.amdhsa_user_sgpr_dispatch_ptr 0
		.amdhsa_user_sgpr_queue_ptr 0
		.amdhsa_user_sgpr_kernarg_segment_ptr 1
		.amdhsa_user_sgpr_dispatch_id 0
		.amdhsa_user_sgpr_kernarg_preload_length 0
		.amdhsa_user_sgpr_kernarg_preload_offset 0
		.amdhsa_user_sgpr_private_segment_size 0
		.amdhsa_uses_dynamic_stack 0
		.amdhsa_enable_private_segment 0
		.amdhsa_system_sgpr_workgroup_id_x 1
		.amdhsa_system_sgpr_workgroup_id_y 0
		.amdhsa_system_sgpr_workgroup_id_z 0
		.amdhsa_system_sgpr_workgroup_info 0
		.amdhsa_system_vgpr_workitem_id 0
		.amdhsa_next_free_vgpr 1
		.amdhsa_next_free_sgpr 0
		.amdhsa_accum_offset 4
		.amdhsa_reserve_vcc 0
		.amdhsa_float_round_mode_32 0
		.amdhsa_float_round_mode_16_64 0
		.amdhsa_float_denorm_mode_32 3
		.amdhsa_float_denorm_mode_16_64 3
		.amdhsa_dx10_clamp 1
		.amdhsa_ieee_mode 1
		.amdhsa_fp16_overflow 0
		.amdhsa_tg_split 0
		.amdhsa_exception_fp_ieee_invalid_op 0
		.amdhsa_exception_fp_denorm_src 0
		.amdhsa_exception_fp_ieee_div_zero 0
		.amdhsa_exception_fp_ieee_overflow 0
		.amdhsa_exception_fp_ieee_underflow 0
		.amdhsa_exception_fp_ieee_inexact 0
		.amdhsa_exception_int_div_zero 0
	.end_amdhsa_kernel
	.section	.text._ZN7rocprim17ROCPRIM_400000_NS6detail17trampoline_kernelINS0_14default_configENS1_35adjacent_difference_config_selectorILb1ElEEZNS1_24adjacent_difference_implIS3_Lb1ELb0EPlS7_ZN2at6native12_GLOBAL__N_124unique_dim_cuda_templateIaEESt5tupleIJNS8_6TensorESD_SD_EERKSD_lbbbEUlllE1_EE10hipError_tPvRmT2_T3_mT4_P12ihipStream_tbEUlT_E_NS1_11comp_targetILNS1_3genE4ELNS1_11target_archE910ELNS1_3gpuE8ELNS1_3repE0EEENS1_30default_config_static_selectorELNS0_4arch9wavefront6targetE1EEEvT1_,"axG",@progbits,_ZN7rocprim17ROCPRIM_400000_NS6detail17trampoline_kernelINS0_14default_configENS1_35adjacent_difference_config_selectorILb1ElEEZNS1_24adjacent_difference_implIS3_Lb1ELb0EPlS7_ZN2at6native12_GLOBAL__N_124unique_dim_cuda_templateIaEESt5tupleIJNS8_6TensorESD_SD_EERKSD_lbbbEUlllE1_EE10hipError_tPvRmT2_T3_mT4_P12ihipStream_tbEUlT_E_NS1_11comp_targetILNS1_3genE4ELNS1_11target_archE910ELNS1_3gpuE8ELNS1_3repE0EEENS1_30default_config_static_selectorELNS0_4arch9wavefront6targetE1EEEvT1_,comdat
.Lfunc_end314:
	.size	_ZN7rocprim17ROCPRIM_400000_NS6detail17trampoline_kernelINS0_14default_configENS1_35adjacent_difference_config_selectorILb1ElEEZNS1_24adjacent_difference_implIS3_Lb1ELb0EPlS7_ZN2at6native12_GLOBAL__N_124unique_dim_cuda_templateIaEESt5tupleIJNS8_6TensorESD_SD_EERKSD_lbbbEUlllE1_EE10hipError_tPvRmT2_T3_mT4_P12ihipStream_tbEUlT_E_NS1_11comp_targetILNS1_3genE4ELNS1_11target_archE910ELNS1_3gpuE8ELNS1_3repE0EEENS1_30default_config_static_selectorELNS0_4arch9wavefront6targetE1EEEvT1_, .Lfunc_end314-_ZN7rocprim17ROCPRIM_400000_NS6detail17trampoline_kernelINS0_14default_configENS1_35adjacent_difference_config_selectorILb1ElEEZNS1_24adjacent_difference_implIS3_Lb1ELb0EPlS7_ZN2at6native12_GLOBAL__N_124unique_dim_cuda_templateIaEESt5tupleIJNS8_6TensorESD_SD_EERKSD_lbbbEUlllE1_EE10hipError_tPvRmT2_T3_mT4_P12ihipStream_tbEUlT_E_NS1_11comp_targetILNS1_3genE4ELNS1_11target_archE910ELNS1_3gpuE8ELNS1_3repE0EEENS1_30default_config_static_selectorELNS0_4arch9wavefront6targetE1EEEvT1_
                                        ; -- End function
	.set _ZN7rocprim17ROCPRIM_400000_NS6detail17trampoline_kernelINS0_14default_configENS1_35adjacent_difference_config_selectorILb1ElEEZNS1_24adjacent_difference_implIS3_Lb1ELb0EPlS7_ZN2at6native12_GLOBAL__N_124unique_dim_cuda_templateIaEESt5tupleIJNS8_6TensorESD_SD_EERKSD_lbbbEUlllE1_EE10hipError_tPvRmT2_T3_mT4_P12ihipStream_tbEUlT_E_NS1_11comp_targetILNS1_3genE4ELNS1_11target_archE910ELNS1_3gpuE8ELNS1_3repE0EEENS1_30default_config_static_selectorELNS0_4arch9wavefront6targetE1EEEvT1_.num_vgpr, 0
	.set _ZN7rocprim17ROCPRIM_400000_NS6detail17trampoline_kernelINS0_14default_configENS1_35adjacent_difference_config_selectorILb1ElEEZNS1_24adjacent_difference_implIS3_Lb1ELb0EPlS7_ZN2at6native12_GLOBAL__N_124unique_dim_cuda_templateIaEESt5tupleIJNS8_6TensorESD_SD_EERKSD_lbbbEUlllE1_EE10hipError_tPvRmT2_T3_mT4_P12ihipStream_tbEUlT_E_NS1_11comp_targetILNS1_3genE4ELNS1_11target_archE910ELNS1_3gpuE8ELNS1_3repE0EEENS1_30default_config_static_selectorELNS0_4arch9wavefront6targetE1EEEvT1_.num_agpr, 0
	.set _ZN7rocprim17ROCPRIM_400000_NS6detail17trampoline_kernelINS0_14default_configENS1_35adjacent_difference_config_selectorILb1ElEEZNS1_24adjacent_difference_implIS3_Lb1ELb0EPlS7_ZN2at6native12_GLOBAL__N_124unique_dim_cuda_templateIaEESt5tupleIJNS8_6TensorESD_SD_EERKSD_lbbbEUlllE1_EE10hipError_tPvRmT2_T3_mT4_P12ihipStream_tbEUlT_E_NS1_11comp_targetILNS1_3genE4ELNS1_11target_archE910ELNS1_3gpuE8ELNS1_3repE0EEENS1_30default_config_static_selectorELNS0_4arch9wavefront6targetE1EEEvT1_.numbered_sgpr, 0
	.set _ZN7rocprim17ROCPRIM_400000_NS6detail17trampoline_kernelINS0_14default_configENS1_35adjacent_difference_config_selectorILb1ElEEZNS1_24adjacent_difference_implIS3_Lb1ELb0EPlS7_ZN2at6native12_GLOBAL__N_124unique_dim_cuda_templateIaEESt5tupleIJNS8_6TensorESD_SD_EERKSD_lbbbEUlllE1_EE10hipError_tPvRmT2_T3_mT4_P12ihipStream_tbEUlT_E_NS1_11comp_targetILNS1_3genE4ELNS1_11target_archE910ELNS1_3gpuE8ELNS1_3repE0EEENS1_30default_config_static_selectorELNS0_4arch9wavefront6targetE1EEEvT1_.num_named_barrier, 0
	.set _ZN7rocprim17ROCPRIM_400000_NS6detail17trampoline_kernelINS0_14default_configENS1_35adjacent_difference_config_selectorILb1ElEEZNS1_24adjacent_difference_implIS3_Lb1ELb0EPlS7_ZN2at6native12_GLOBAL__N_124unique_dim_cuda_templateIaEESt5tupleIJNS8_6TensorESD_SD_EERKSD_lbbbEUlllE1_EE10hipError_tPvRmT2_T3_mT4_P12ihipStream_tbEUlT_E_NS1_11comp_targetILNS1_3genE4ELNS1_11target_archE910ELNS1_3gpuE8ELNS1_3repE0EEENS1_30default_config_static_selectorELNS0_4arch9wavefront6targetE1EEEvT1_.private_seg_size, 0
	.set _ZN7rocprim17ROCPRIM_400000_NS6detail17trampoline_kernelINS0_14default_configENS1_35adjacent_difference_config_selectorILb1ElEEZNS1_24adjacent_difference_implIS3_Lb1ELb0EPlS7_ZN2at6native12_GLOBAL__N_124unique_dim_cuda_templateIaEESt5tupleIJNS8_6TensorESD_SD_EERKSD_lbbbEUlllE1_EE10hipError_tPvRmT2_T3_mT4_P12ihipStream_tbEUlT_E_NS1_11comp_targetILNS1_3genE4ELNS1_11target_archE910ELNS1_3gpuE8ELNS1_3repE0EEENS1_30default_config_static_selectorELNS0_4arch9wavefront6targetE1EEEvT1_.uses_vcc, 0
	.set _ZN7rocprim17ROCPRIM_400000_NS6detail17trampoline_kernelINS0_14default_configENS1_35adjacent_difference_config_selectorILb1ElEEZNS1_24adjacent_difference_implIS3_Lb1ELb0EPlS7_ZN2at6native12_GLOBAL__N_124unique_dim_cuda_templateIaEESt5tupleIJNS8_6TensorESD_SD_EERKSD_lbbbEUlllE1_EE10hipError_tPvRmT2_T3_mT4_P12ihipStream_tbEUlT_E_NS1_11comp_targetILNS1_3genE4ELNS1_11target_archE910ELNS1_3gpuE8ELNS1_3repE0EEENS1_30default_config_static_selectorELNS0_4arch9wavefront6targetE1EEEvT1_.uses_flat_scratch, 0
	.set _ZN7rocprim17ROCPRIM_400000_NS6detail17trampoline_kernelINS0_14default_configENS1_35adjacent_difference_config_selectorILb1ElEEZNS1_24adjacent_difference_implIS3_Lb1ELb0EPlS7_ZN2at6native12_GLOBAL__N_124unique_dim_cuda_templateIaEESt5tupleIJNS8_6TensorESD_SD_EERKSD_lbbbEUlllE1_EE10hipError_tPvRmT2_T3_mT4_P12ihipStream_tbEUlT_E_NS1_11comp_targetILNS1_3genE4ELNS1_11target_archE910ELNS1_3gpuE8ELNS1_3repE0EEENS1_30default_config_static_selectorELNS0_4arch9wavefront6targetE1EEEvT1_.has_dyn_sized_stack, 0
	.set _ZN7rocprim17ROCPRIM_400000_NS6detail17trampoline_kernelINS0_14default_configENS1_35adjacent_difference_config_selectorILb1ElEEZNS1_24adjacent_difference_implIS3_Lb1ELb0EPlS7_ZN2at6native12_GLOBAL__N_124unique_dim_cuda_templateIaEESt5tupleIJNS8_6TensorESD_SD_EERKSD_lbbbEUlllE1_EE10hipError_tPvRmT2_T3_mT4_P12ihipStream_tbEUlT_E_NS1_11comp_targetILNS1_3genE4ELNS1_11target_archE910ELNS1_3gpuE8ELNS1_3repE0EEENS1_30default_config_static_selectorELNS0_4arch9wavefront6targetE1EEEvT1_.has_recursion, 0
	.set _ZN7rocprim17ROCPRIM_400000_NS6detail17trampoline_kernelINS0_14default_configENS1_35adjacent_difference_config_selectorILb1ElEEZNS1_24adjacent_difference_implIS3_Lb1ELb0EPlS7_ZN2at6native12_GLOBAL__N_124unique_dim_cuda_templateIaEESt5tupleIJNS8_6TensorESD_SD_EERKSD_lbbbEUlllE1_EE10hipError_tPvRmT2_T3_mT4_P12ihipStream_tbEUlT_E_NS1_11comp_targetILNS1_3genE4ELNS1_11target_archE910ELNS1_3gpuE8ELNS1_3repE0EEENS1_30default_config_static_selectorELNS0_4arch9wavefront6targetE1EEEvT1_.has_indirect_call, 0
	.section	.AMDGPU.csdata,"",@progbits
; Kernel info:
; codeLenInByte = 0
; TotalNumSgprs: 6
; NumVgprs: 0
; NumAgprs: 0
; TotalNumVgprs: 0
; ScratchSize: 0
; MemoryBound: 0
; FloatMode: 240
; IeeeMode: 1
; LDSByteSize: 0 bytes/workgroup (compile time only)
; SGPRBlocks: 0
; VGPRBlocks: 0
; NumSGPRsForWavesPerEU: 6
; NumVGPRsForWavesPerEU: 1
; AccumOffset: 4
; Occupancy: 8
; WaveLimiterHint : 0
; COMPUTE_PGM_RSRC2:SCRATCH_EN: 0
; COMPUTE_PGM_RSRC2:USER_SGPR: 2
; COMPUTE_PGM_RSRC2:TRAP_HANDLER: 0
; COMPUTE_PGM_RSRC2:TGID_X_EN: 1
; COMPUTE_PGM_RSRC2:TGID_Y_EN: 0
; COMPUTE_PGM_RSRC2:TGID_Z_EN: 0
; COMPUTE_PGM_RSRC2:TIDIG_COMP_CNT: 0
; COMPUTE_PGM_RSRC3_GFX90A:ACCUM_OFFSET: 0
; COMPUTE_PGM_RSRC3_GFX90A:TG_SPLIT: 0
	.section	.text._ZN7rocprim17ROCPRIM_400000_NS6detail17trampoline_kernelINS0_14default_configENS1_35adjacent_difference_config_selectorILb1ElEEZNS1_24adjacent_difference_implIS3_Lb1ELb0EPlS7_ZN2at6native12_GLOBAL__N_124unique_dim_cuda_templateIaEESt5tupleIJNS8_6TensorESD_SD_EERKSD_lbbbEUlllE1_EE10hipError_tPvRmT2_T3_mT4_P12ihipStream_tbEUlT_E_NS1_11comp_targetILNS1_3genE3ELNS1_11target_archE908ELNS1_3gpuE7ELNS1_3repE0EEENS1_30default_config_static_selectorELNS0_4arch9wavefront6targetE1EEEvT1_,"axG",@progbits,_ZN7rocprim17ROCPRIM_400000_NS6detail17trampoline_kernelINS0_14default_configENS1_35adjacent_difference_config_selectorILb1ElEEZNS1_24adjacent_difference_implIS3_Lb1ELb0EPlS7_ZN2at6native12_GLOBAL__N_124unique_dim_cuda_templateIaEESt5tupleIJNS8_6TensorESD_SD_EERKSD_lbbbEUlllE1_EE10hipError_tPvRmT2_T3_mT4_P12ihipStream_tbEUlT_E_NS1_11comp_targetILNS1_3genE3ELNS1_11target_archE908ELNS1_3gpuE7ELNS1_3repE0EEENS1_30default_config_static_selectorELNS0_4arch9wavefront6targetE1EEEvT1_,comdat
	.globl	_ZN7rocprim17ROCPRIM_400000_NS6detail17trampoline_kernelINS0_14default_configENS1_35adjacent_difference_config_selectorILb1ElEEZNS1_24adjacent_difference_implIS3_Lb1ELb0EPlS7_ZN2at6native12_GLOBAL__N_124unique_dim_cuda_templateIaEESt5tupleIJNS8_6TensorESD_SD_EERKSD_lbbbEUlllE1_EE10hipError_tPvRmT2_T3_mT4_P12ihipStream_tbEUlT_E_NS1_11comp_targetILNS1_3genE3ELNS1_11target_archE908ELNS1_3gpuE7ELNS1_3repE0EEENS1_30default_config_static_selectorELNS0_4arch9wavefront6targetE1EEEvT1_ ; -- Begin function _ZN7rocprim17ROCPRIM_400000_NS6detail17trampoline_kernelINS0_14default_configENS1_35adjacent_difference_config_selectorILb1ElEEZNS1_24adjacent_difference_implIS3_Lb1ELb0EPlS7_ZN2at6native12_GLOBAL__N_124unique_dim_cuda_templateIaEESt5tupleIJNS8_6TensorESD_SD_EERKSD_lbbbEUlllE1_EE10hipError_tPvRmT2_T3_mT4_P12ihipStream_tbEUlT_E_NS1_11comp_targetILNS1_3genE3ELNS1_11target_archE908ELNS1_3gpuE7ELNS1_3repE0EEENS1_30default_config_static_selectorELNS0_4arch9wavefront6targetE1EEEvT1_
	.p2align	8
	.type	_ZN7rocprim17ROCPRIM_400000_NS6detail17trampoline_kernelINS0_14default_configENS1_35adjacent_difference_config_selectorILb1ElEEZNS1_24adjacent_difference_implIS3_Lb1ELb0EPlS7_ZN2at6native12_GLOBAL__N_124unique_dim_cuda_templateIaEESt5tupleIJNS8_6TensorESD_SD_EERKSD_lbbbEUlllE1_EE10hipError_tPvRmT2_T3_mT4_P12ihipStream_tbEUlT_E_NS1_11comp_targetILNS1_3genE3ELNS1_11target_archE908ELNS1_3gpuE7ELNS1_3repE0EEENS1_30default_config_static_selectorELNS0_4arch9wavefront6targetE1EEEvT1_,@function
_ZN7rocprim17ROCPRIM_400000_NS6detail17trampoline_kernelINS0_14default_configENS1_35adjacent_difference_config_selectorILb1ElEEZNS1_24adjacent_difference_implIS3_Lb1ELb0EPlS7_ZN2at6native12_GLOBAL__N_124unique_dim_cuda_templateIaEESt5tupleIJNS8_6TensorESD_SD_EERKSD_lbbbEUlllE1_EE10hipError_tPvRmT2_T3_mT4_P12ihipStream_tbEUlT_E_NS1_11comp_targetILNS1_3genE3ELNS1_11target_archE908ELNS1_3gpuE7ELNS1_3repE0EEENS1_30default_config_static_selectorELNS0_4arch9wavefront6targetE1EEEvT1_: ; @_ZN7rocprim17ROCPRIM_400000_NS6detail17trampoline_kernelINS0_14default_configENS1_35adjacent_difference_config_selectorILb1ElEEZNS1_24adjacent_difference_implIS3_Lb1ELb0EPlS7_ZN2at6native12_GLOBAL__N_124unique_dim_cuda_templateIaEESt5tupleIJNS8_6TensorESD_SD_EERKSD_lbbbEUlllE1_EE10hipError_tPvRmT2_T3_mT4_P12ihipStream_tbEUlT_E_NS1_11comp_targetILNS1_3genE3ELNS1_11target_archE908ELNS1_3gpuE7ELNS1_3repE0EEENS1_30default_config_static_selectorELNS0_4arch9wavefront6targetE1EEEvT1_
; %bb.0:
	.section	.rodata,"a",@progbits
	.p2align	6, 0x0
	.amdhsa_kernel _ZN7rocprim17ROCPRIM_400000_NS6detail17trampoline_kernelINS0_14default_configENS1_35adjacent_difference_config_selectorILb1ElEEZNS1_24adjacent_difference_implIS3_Lb1ELb0EPlS7_ZN2at6native12_GLOBAL__N_124unique_dim_cuda_templateIaEESt5tupleIJNS8_6TensorESD_SD_EERKSD_lbbbEUlllE1_EE10hipError_tPvRmT2_T3_mT4_P12ihipStream_tbEUlT_E_NS1_11comp_targetILNS1_3genE3ELNS1_11target_archE908ELNS1_3gpuE7ELNS1_3repE0EEENS1_30default_config_static_selectorELNS0_4arch9wavefront6targetE1EEEvT1_
		.amdhsa_group_segment_fixed_size 0
		.amdhsa_private_segment_fixed_size 0
		.amdhsa_kernarg_size 64
		.amdhsa_user_sgpr_count 2
		.amdhsa_user_sgpr_dispatch_ptr 0
		.amdhsa_user_sgpr_queue_ptr 0
		.amdhsa_user_sgpr_kernarg_segment_ptr 1
		.amdhsa_user_sgpr_dispatch_id 0
		.amdhsa_user_sgpr_kernarg_preload_length 0
		.amdhsa_user_sgpr_kernarg_preload_offset 0
		.amdhsa_user_sgpr_private_segment_size 0
		.amdhsa_uses_dynamic_stack 0
		.amdhsa_enable_private_segment 0
		.amdhsa_system_sgpr_workgroup_id_x 1
		.amdhsa_system_sgpr_workgroup_id_y 0
		.amdhsa_system_sgpr_workgroup_id_z 0
		.amdhsa_system_sgpr_workgroup_info 0
		.amdhsa_system_vgpr_workitem_id 0
		.amdhsa_next_free_vgpr 1
		.amdhsa_next_free_sgpr 0
		.amdhsa_accum_offset 4
		.amdhsa_reserve_vcc 0
		.amdhsa_float_round_mode_32 0
		.amdhsa_float_round_mode_16_64 0
		.amdhsa_float_denorm_mode_32 3
		.amdhsa_float_denorm_mode_16_64 3
		.amdhsa_dx10_clamp 1
		.amdhsa_ieee_mode 1
		.amdhsa_fp16_overflow 0
		.amdhsa_tg_split 0
		.amdhsa_exception_fp_ieee_invalid_op 0
		.amdhsa_exception_fp_denorm_src 0
		.amdhsa_exception_fp_ieee_div_zero 0
		.amdhsa_exception_fp_ieee_overflow 0
		.amdhsa_exception_fp_ieee_underflow 0
		.amdhsa_exception_fp_ieee_inexact 0
		.amdhsa_exception_int_div_zero 0
	.end_amdhsa_kernel
	.section	.text._ZN7rocprim17ROCPRIM_400000_NS6detail17trampoline_kernelINS0_14default_configENS1_35adjacent_difference_config_selectorILb1ElEEZNS1_24adjacent_difference_implIS3_Lb1ELb0EPlS7_ZN2at6native12_GLOBAL__N_124unique_dim_cuda_templateIaEESt5tupleIJNS8_6TensorESD_SD_EERKSD_lbbbEUlllE1_EE10hipError_tPvRmT2_T3_mT4_P12ihipStream_tbEUlT_E_NS1_11comp_targetILNS1_3genE3ELNS1_11target_archE908ELNS1_3gpuE7ELNS1_3repE0EEENS1_30default_config_static_selectorELNS0_4arch9wavefront6targetE1EEEvT1_,"axG",@progbits,_ZN7rocprim17ROCPRIM_400000_NS6detail17trampoline_kernelINS0_14default_configENS1_35adjacent_difference_config_selectorILb1ElEEZNS1_24adjacent_difference_implIS3_Lb1ELb0EPlS7_ZN2at6native12_GLOBAL__N_124unique_dim_cuda_templateIaEESt5tupleIJNS8_6TensorESD_SD_EERKSD_lbbbEUlllE1_EE10hipError_tPvRmT2_T3_mT4_P12ihipStream_tbEUlT_E_NS1_11comp_targetILNS1_3genE3ELNS1_11target_archE908ELNS1_3gpuE7ELNS1_3repE0EEENS1_30default_config_static_selectorELNS0_4arch9wavefront6targetE1EEEvT1_,comdat
.Lfunc_end315:
	.size	_ZN7rocprim17ROCPRIM_400000_NS6detail17trampoline_kernelINS0_14default_configENS1_35adjacent_difference_config_selectorILb1ElEEZNS1_24adjacent_difference_implIS3_Lb1ELb0EPlS7_ZN2at6native12_GLOBAL__N_124unique_dim_cuda_templateIaEESt5tupleIJNS8_6TensorESD_SD_EERKSD_lbbbEUlllE1_EE10hipError_tPvRmT2_T3_mT4_P12ihipStream_tbEUlT_E_NS1_11comp_targetILNS1_3genE3ELNS1_11target_archE908ELNS1_3gpuE7ELNS1_3repE0EEENS1_30default_config_static_selectorELNS0_4arch9wavefront6targetE1EEEvT1_, .Lfunc_end315-_ZN7rocprim17ROCPRIM_400000_NS6detail17trampoline_kernelINS0_14default_configENS1_35adjacent_difference_config_selectorILb1ElEEZNS1_24adjacent_difference_implIS3_Lb1ELb0EPlS7_ZN2at6native12_GLOBAL__N_124unique_dim_cuda_templateIaEESt5tupleIJNS8_6TensorESD_SD_EERKSD_lbbbEUlllE1_EE10hipError_tPvRmT2_T3_mT4_P12ihipStream_tbEUlT_E_NS1_11comp_targetILNS1_3genE3ELNS1_11target_archE908ELNS1_3gpuE7ELNS1_3repE0EEENS1_30default_config_static_selectorELNS0_4arch9wavefront6targetE1EEEvT1_
                                        ; -- End function
	.set _ZN7rocprim17ROCPRIM_400000_NS6detail17trampoline_kernelINS0_14default_configENS1_35adjacent_difference_config_selectorILb1ElEEZNS1_24adjacent_difference_implIS3_Lb1ELb0EPlS7_ZN2at6native12_GLOBAL__N_124unique_dim_cuda_templateIaEESt5tupleIJNS8_6TensorESD_SD_EERKSD_lbbbEUlllE1_EE10hipError_tPvRmT2_T3_mT4_P12ihipStream_tbEUlT_E_NS1_11comp_targetILNS1_3genE3ELNS1_11target_archE908ELNS1_3gpuE7ELNS1_3repE0EEENS1_30default_config_static_selectorELNS0_4arch9wavefront6targetE1EEEvT1_.num_vgpr, 0
	.set _ZN7rocprim17ROCPRIM_400000_NS6detail17trampoline_kernelINS0_14default_configENS1_35adjacent_difference_config_selectorILb1ElEEZNS1_24adjacent_difference_implIS3_Lb1ELb0EPlS7_ZN2at6native12_GLOBAL__N_124unique_dim_cuda_templateIaEESt5tupleIJNS8_6TensorESD_SD_EERKSD_lbbbEUlllE1_EE10hipError_tPvRmT2_T3_mT4_P12ihipStream_tbEUlT_E_NS1_11comp_targetILNS1_3genE3ELNS1_11target_archE908ELNS1_3gpuE7ELNS1_3repE0EEENS1_30default_config_static_selectorELNS0_4arch9wavefront6targetE1EEEvT1_.num_agpr, 0
	.set _ZN7rocprim17ROCPRIM_400000_NS6detail17trampoline_kernelINS0_14default_configENS1_35adjacent_difference_config_selectorILb1ElEEZNS1_24adjacent_difference_implIS3_Lb1ELb0EPlS7_ZN2at6native12_GLOBAL__N_124unique_dim_cuda_templateIaEESt5tupleIJNS8_6TensorESD_SD_EERKSD_lbbbEUlllE1_EE10hipError_tPvRmT2_T3_mT4_P12ihipStream_tbEUlT_E_NS1_11comp_targetILNS1_3genE3ELNS1_11target_archE908ELNS1_3gpuE7ELNS1_3repE0EEENS1_30default_config_static_selectorELNS0_4arch9wavefront6targetE1EEEvT1_.numbered_sgpr, 0
	.set _ZN7rocprim17ROCPRIM_400000_NS6detail17trampoline_kernelINS0_14default_configENS1_35adjacent_difference_config_selectorILb1ElEEZNS1_24adjacent_difference_implIS3_Lb1ELb0EPlS7_ZN2at6native12_GLOBAL__N_124unique_dim_cuda_templateIaEESt5tupleIJNS8_6TensorESD_SD_EERKSD_lbbbEUlllE1_EE10hipError_tPvRmT2_T3_mT4_P12ihipStream_tbEUlT_E_NS1_11comp_targetILNS1_3genE3ELNS1_11target_archE908ELNS1_3gpuE7ELNS1_3repE0EEENS1_30default_config_static_selectorELNS0_4arch9wavefront6targetE1EEEvT1_.num_named_barrier, 0
	.set _ZN7rocprim17ROCPRIM_400000_NS6detail17trampoline_kernelINS0_14default_configENS1_35adjacent_difference_config_selectorILb1ElEEZNS1_24adjacent_difference_implIS3_Lb1ELb0EPlS7_ZN2at6native12_GLOBAL__N_124unique_dim_cuda_templateIaEESt5tupleIJNS8_6TensorESD_SD_EERKSD_lbbbEUlllE1_EE10hipError_tPvRmT2_T3_mT4_P12ihipStream_tbEUlT_E_NS1_11comp_targetILNS1_3genE3ELNS1_11target_archE908ELNS1_3gpuE7ELNS1_3repE0EEENS1_30default_config_static_selectorELNS0_4arch9wavefront6targetE1EEEvT1_.private_seg_size, 0
	.set _ZN7rocprim17ROCPRIM_400000_NS6detail17trampoline_kernelINS0_14default_configENS1_35adjacent_difference_config_selectorILb1ElEEZNS1_24adjacent_difference_implIS3_Lb1ELb0EPlS7_ZN2at6native12_GLOBAL__N_124unique_dim_cuda_templateIaEESt5tupleIJNS8_6TensorESD_SD_EERKSD_lbbbEUlllE1_EE10hipError_tPvRmT2_T3_mT4_P12ihipStream_tbEUlT_E_NS1_11comp_targetILNS1_3genE3ELNS1_11target_archE908ELNS1_3gpuE7ELNS1_3repE0EEENS1_30default_config_static_selectorELNS0_4arch9wavefront6targetE1EEEvT1_.uses_vcc, 0
	.set _ZN7rocprim17ROCPRIM_400000_NS6detail17trampoline_kernelINS0_14default_configENS1_35adjacent_difference_config_selectorILb1ElEEZNS1_24adjacent_difference_implIS3_Lb1ELb0EPlS7_ZN2at6native12_GLOBAL__N_124unique_dim_cuda_templateIaEESt5tupleIJNS8_6TensorESD_SD_EERKSD_lbbbEUlllE1_EE10hipError_tPvRmT2_T3_mT4_P12ihipStream_tbEUlT_E_NS1_11comp_targetILNS1_3genE3ELNS1_11target_archE908ELNS1_3gpuE7ELNS1_3repE0EEENS1_30default_config_static_selectorELNS0_4arch9wavefront6targetE1EEEvT1_.uses_flat_scratch, 0
	.set _ZN7rocprim17ROCPRIM_400000_NS6detail17trampoline_kernelINS0_14default_configENS1_35adjacent_difference_config_selectorILb1ElEEZNS1_24adjacent_difference_implIS3_Lb1ELb0EPlS7_ZN2at6native12_GLOBAL__N_124unique_dim_cuda_templateIaEESt5tupleIJNS8_6TensorESD_SD_EERKSD_lbbbEUlllE1_EE10hipError_tPvRmT2_T3_mT4_P12ihipStream_tbEUlT_E_NS1_11comp_targetILNS1_3genE3ELNS1_11target_archE908ELNS1_3gpuE7ELNS1_3repE0EEENS1_30default_config_static_selectorELNS0_4arch9wavefront6targetE1EEEvT1_.has_dyn_sized_stack, 0
	.set _ZN7rocprim17ROCPRIM_400000_NS6detail17trampoline_kernelINS0_14default_configENS1_35adjacent_difference_config_selectorILb1ElEEZNS1_24adjacent_difference_implIS3_Lb1ELb0EPlS7_ZN2at6native12_GLOBAL__N_124unique_dim_cuda_templateIaEESt5tupleIJNS8_6TensorESD_SD_EERKSD_lbbbEUlllE1_EE10hipError_tPvRmT2_T3_mT4_P12ihipStream_tbEUlT_E_NS1_11comp_targetILNS1_3genE3ELNS1_11target_archE908ELNS1_3gpuE7ELNS1_3repE0EEENS1_30default_config_static_selectorELNS0_4arch9wavefront6targetE1EEEvT1_.has_recursion, 0
	.set _ZN7rocprim17ROCPRIM_400000_NS6detail17trampoline_kernelINS0_14default_configENS1_35adjacent_difference_config_selectorILb1ElEEZNS1_24adjacent_difference_implIS3_Lb1ELb0EPlS7_ZN2at6native12_GLOBAL__N_124unique_dim_cuda_templateIaEESt5tupleIJNS8_6TensorESD_SD_EERKSD_lbbbEUlllE1_EE10hipError_tPvRmT2_T3_mT4_P12ihipStream_tbEUlT_E_NS1_11comp_targetILNS1_3genE3ELNS1_11target_archE908ELNS1_3gpuE7ELNS1_3repE0EEENS1_30default_config_static_selectorELNS0_4arch9wavefront6targetE1EEEvT1_.has_indirect_call, 0
	.section	.AMDGPU.csdata,"",@progbits
; Kernel info:
; codeLenInByte = 0
; TotalNumSgprs: 6
; NumVgprs: 0
; NumAgprs: 0
; TotalNumVgprs: 0
; ScratchSize: 0
; MemoryBound: 0
; FloatMode: 240
; IeeeMode: 1
; LDSByteSize: 0 bytes/workgroup (compile time only)
; SGPRBlocks: 0
; VGPRBlocks: 0
; NumSGPRsForWavesPerEU: 6
; NumVGPRsForWavesPerEU: 1
; AccumOffset: 4
; Occupancy: 8
; WaveLimiterHint : 0
; COMPUTE_PGM_RSRC2:SCRATCH_EN: 0
; COMPUTE_PGM_RSRC2:USER_SGPR: 2
; COMPUTE_PGM_RSRC2:TRAP_HANDLER: 0
; COMPUTE_PGM_RSRC2:TGID_X_EN: 1
; COMPUTE_PGM_RSRC2:TGID_Y_EN: 0
; COMPUTE_PGM_RSRC2:TGID_Z_EN: 0
; COMPUTE_PGM_RSRC2:TIDIG_COMP_CNT: 0
; COMPUTE_PGM_RSRC3_GFX90A:ACCUM_OFFSET: 0
; COMPUTE_PGM_RSRC3_GFX90A:TG_SPLIT: 0
	.section	.text._ZN7rocprim17ROCPRIM_400000_NS6detail17trampoline_kernelINS0_14default_configENS1_35adjacent_difference_config_selectorILb1ElEEZNS1_24adjacent_difference_implIS3_Lb1ELb0EPlS7_ZN2at6native12_GLOBAL__N_124unique_dim_cuda_templateIaEESt5tupleIJNS8_6TensorESD_SD_EERKSD_lbbbEUlllE1_EE10hipError_tPvRmT2_T3_mT4_P12ihipStream_tbEUlT_E_NS1_11comp_targetILNS1_3genE2ELNS1_11target_archE906ELNS1_3gpuE6ELNS1_3repE0EEENS1_30default_config_static_selectorELNS0_4arch9wavefront6targetE1EEEvT1_,"axG",@progbits,_ZN7rocprim17ROCPRIM_400000_NS6detail17trampoline_kernelINS0_14default_configENS1_35adjacent_difference_config_selectorILb1ElEEZNS1_24adjacent_difference_implIS3_Lb1ELb0EPlS7_ZN2at6native12_GLOBAL__N_124unique_dim_cuda_templateIaEESt5tupleIJNS8_6TensorESD_SD_EERKSD_lbbbEUlllE1_EE10hipError_tPvRmT2_T3_mT4_P12ihipStream_tbEUlT_E_NS1_11comp_targetILNS1_3genE2ELNS1_11target_archE906ELNS1_3gpuE6ELNS1_3repE0EEENS1_30default_config_static_selectorELNS0_4arch9wavefront6targetE1EEEvT1_,comdat
	.globl	_ZN7rocprim17ROCPRIM_400000_NS6detail17trampoline_kernelINS0_14default_configENS1_35adjacent_difference_config_selectorILb1ElEEZNS1_24adjacent_difference_implIS3_Lb1ELb0EPlS7_ZN2at6native12_GLOBAL__N_124unique_dim_cuda_templateIaEESt5tupleIJNS8_6TensorESD_SD_EERKSD_lbbbEUlllE1_EE10hipError_tPvRmT2_T3_mT4_P12ihipStream_tbEUlT_E_NS1_11comp_targetILNS1_3genE2ELNS1_11target_archE906ELNS1_3gpuE6ELNS1_3repE0EEENS1_30default_config_static_selectorELNS0_4arch9wavefront6targetE1EEEvT1_ ; -- Begin function _ZN7rocprim17ROCPRIM_400000_NS6detail17trampoline_kernelINS0_14default_configENS1_35adjacent_difference_config_selectorILb1ElEEZNS1_24adjacent_difference_implIS3_Lb1ELb0EPlS7_ZN2at6native12_GLOBAL__N_124unique_dim_cuda_templateIaEESt5tupleIJNS8_6TensorESD_SD_EERKSD_lbbbEUlllE1_EE10hipError_tPvRmT2_T3_mT4_P12ihipStream_tbEUlT_E_NS1_11comp_targetILNS1_3genE2ELNS1_11target_archE906ELNS1_3gpuE6ELNS1_3repE0EEENS1_30default_config_static_selectorELNS0_4arch9wavefront6targetE1EEEvT1_
	.p2align	8
	.type	_ZN7rocprim17ROCPRIM_400000_NS6detail17trampoline_kernelINS0_14default_configENS1_35adjacent_difference_config_selectorILb1ElEEZNS1_24adjacent_difference_implIS3_Lb1ELb0EPlS7_ZN2at6native12_GLOBAL__N_124unique_dim_cuda_templateIaEESt5tupleIJNS8_6TensorESD_SD_EERKSD_lbbbEUlllE1_EE10hipError_tPvRmT2_T3_mT4_P12ihipStream_tbEUlT_E_NS1_11comp_targetILNS1_3genE2ELNS1_11target_archE906ELNS1_3gpuE6ELNS1_3repE0EEENS1_30default_config_static_selectorELNS0_4arch9wavefront6targetE1EEEvT1_,@function
_ZN7rocprim17ROCPRIM_400000_NS6detail17trampoline_kernelINS0_14default_configENS1_35adjacent_difference_config_selectorILb1ElEEZNS1_24adjacent_difference_implIS3_Lb1ELb0EPlS7_ZN2at6native12_GLOBAL__N_124unique_dim_cuda_templateIaEESt5tupleIJNS8_6TensorESD_SD_EERKSD_lbbbEUlllE1_EE10hipError_tPvRmT2_T3_mT4_P12ihipStream_tbEUlT_E_NS1_11comp_targetILNS1_3genE2ELNS1_11target_archE906ELNS1_3gpuE6ELNS1_3repE0EEENS1_30default_config_static_selectorELNS0_4arch9wavefront6targetE1EEEvT1_: ; @_ZN7rocprim17ROCPRIM_400000_NS6detail17trampoline_kernelINS0_14default_configENS1_35adjacent_difference_config_selectorILb1ElEEZNS1_24adjacent_difference_implIS3_Lb1ELb0EPlS7_ZN2at6native12_GLOBAL__N_124unique_dim_cuda_templateIaEESt5tupleIJNS8_6TensorESD_SD_EERKSD_lbbbEUlllE1_EE10hipError_tPvRmT2_T3_mT4_P12ihipStream_tbEUlT_E_NS1_11comp_targetILNS1_3genE2ELNS1_11target_archE906ELNS1_3gpuE6ELNS1_3repE0EEENS1_30default_config_static_selectorELNS0_4arch9wavefront6targetE1EEEvT1_
; %bb.0:
	.section	.rodata,"a",@progbits
	.p2align	6, 0x0
	.amdhsa_kernel _ZN7rocprim17ROCPRIM_400000_NS6detail17trampoline_kernelINS0_14default_configENS1_35adjacent_difference_config_selectorILb1ElEEZNS1_24adjacent_difference_implIS3_Lb1ELb0EPlS7_ZN2at6native12_GLOBAL__N_124unique_dim_cuda_templateIaEESt5tupleIJNS8_6TensorESD_SD_EERKSD_lbbbEUlllE1_EE10hipError_tPvRmT2_T3_mT4_P12ihipStream_tbEUlT_E_NS1_11comp_targetILNS1_3genE2ELNS1_11target_archE906ELNS1_3gpuE6ELNS1_3repE0EEENS1_30default_config_static_selectorELNS0_4arch9wavefront6targetE1EEEvT1_
		.amdhsa_group_segment_fixed_size 0
		.amdhsa_private_segment_fixed_size 0
		.amdhsa_kernarg_size 64
		.amdhsa_user_sgpr_count 2
		.amdhsa_user_sgpr_dispatch_ptr 0
		.amdhsa_user_sgpr_queue_ptr 0
		.amdhsa_user_sgpr_kernarg_segment_ptr 1
		.amdhsa_user_sgpr_dispatch_id 0
		.amdhsa_user_sgpr_kernarg_preload_length 0
		.amdhsa_user_sgpr_kernarg_preload_offset 0
		.amdhsa_user_sgpr_private_segment_size 0
		.amdhsa_uses_dynamic_stack 0
		.amdhsa_enable_private_segment 0
		.amdhsa_system_sgpr_workgroup_id_x 1
		.amdhsa_system_sgpr_workgroup_id_y 0
		.amdhsa_system_sgpr_workgroup_id_z 0
		.amdhsa_system_sgpr_workgroup_info 0
		.amdhsa_system_vgpr_workitem_id 0
		.amdhsa_next_free_vgpr 1
		.amdhsa_next_free_sgpr 0
		.amdhsa_accum_offset 4
		.amdhsa_reserve_vcc 0
		.amdhsa_float_round_mode_32 0
		.amdhsa_float_round_mode_16_64 0
		.amdhsa_float_denorm_mode_32 3
		.amdhsa_float_denorm_mode_16_64 3
		.amdhsa_dx10_clamp 1
		.amdhsa_ieee_mode 1
		.amdhsa_fp16_overflow 0
		.amdhsa_tg_split 0
		.amdhsa_exception_fp_ieee_invalid_op 0
		.amdhsa_exception_fp_denorm_src 0
		.amdhsa_exception_fp_ieee_div_zero 0
		.amdhsa_exception_fp_ieee_overflow 0
		.amdhsa_exception_fp_ieee_underflow 0
		.amdhsa_exception_fp_ieee_inexact 0
		.amdhsa_exception_int_div_zero 0
	.end_amdhsa_kernel
	.section	.text._ZN7rocprim17ROCPRIM_400000_NS6detail17trampoline_kernelINS0_14default_configENS1_35adjacent_difference_config_selectorILb1ElEEZNS1_24adjacent_difference_implIS3_Lb1ELb0EPlS7_ZN2at6native12_GLOBAL__N_124unique_dim_cuda_templateIaEESt5tupleIJNS8_6TensorESD_SD_EERKSD_lbbbEUlllE1_EE10hipError_tPvRmT2_T3_mT4_P12ihipStream_tbEUlT_E_NS1_11comp_targetILNS1_3genE2ELNS1_11target_archE906ELNS1_3gpuE6ELNS1_3repE0EEENS1_30default_config_static_selectorELNS0_4arch9wavefront6targetE1EEEvT1_,"axG",@progbits,_ZN7rocprim17ROCPRIM_400000_NS6detail17trampoline_kernelINS0_14default_configENS1_35adjacent_difference_config_selectorILb1ElEEZNS1_24adjacent_difference_implIS3_Lb1ELb0EPlS7_ZN2at6native12_GLOBAL__N_124unique_dim_cuda_templateIaEESt5tupleIJNS8_6TensorESD_SD_EERKSD_lbbbEUlllE1_EE10hipError_tPvRmT2_T3_mT4_P12ihipStream_tbEUlT_E_NS1_11comp_targetILNS1_3genE2ELNS1_11target_archE906ELNS1_3gpuE6ELNS1_3repE0EEENS1_30default_config_static_selectorELNS0_4arch9wavefront6targetE1EEEvT1_,comdat
.Lfunc_end316:
	.size	_ZN7rocprim17ROCPRIM_400000_NS6detail17trampoline_kernelINS0_14default_configENS1_35adjacent_difference_config_selectorILb1ElEEZNS1_24adjacent_difference_implIS3_Lb1ELb0EPlS7_ZN2at6native12_GLOBAL__N_124unique_dim_cuda_templateIaEESt5tupleIJNS8_6TensorESD_SD_EERKSD_lbbbEUlllE1_EE10hipError_tPvRmT2_T3_mT4_P12ihipStream_tbEUlT_E_NS1_11comp_targetILNS1_3genE2ELNS1_11target_archE906ELNS1_3gpuE6ELNS1_3repE0EEENS1_30default_config_static_selectorELNS0_4arch9wavefront6targetE1EEEvT1_, .Lfunc_end316-_ZN7rocprim17ROCPRIM_400000_NS6detail17trampoline_kernelINS0_14default_configENS1_35adjacent_difference_config_selectorILb1ElEEZNS1_24adjacent_difference_implIS3_Lb1ELb0EPlS7_ZN2at6native12_GLOBAL__N_124unique_dim_cuda_templateIaEESt5tupleIJNS8_6TensorESD_SD_EERKSD_lbbbEUlllE1_EE10hipError_tPvRmT2_T3_mT4_P12ihipStream_tbEUlT_E_NS1_11comp_targetILNS1_3genE2ELNS1_11target_archE906ELNS1_3gpuE6ELNS1_3repE0EEENS1_30default_config_static_selectorELNS0_4arch9wavefront6targetE1EEEvT1_
                                        ; -- End function
	.set _ZN7rocprim17ROCPRIM_400000_NS6detail17trampoline_kernelINS0_14default_configENS1_35adjacent_difference_config_selectorILb1ElEEZNS1_24adjacent_difference_implIS3_Lb1ELb0EPlS7_ZN2at6native12_GLOBAL__N_124unique_dim_cuda_templateIaEESt5tupleIJNS8_6TensorESD_SD_EERKSD_lbbbEUlllE1_EE10hipError_tPvRmT2_T3_mT4_P12ihipStream_tbEUlT_E_NS1_11comp_targetILNS1_3genE2ELNS1_11target_archE906ELNS1_3gpuE6ELNS1_3repE0EEENS1_30default_config_static_selectorELNS0_4arch9wavefront6targetE1EEEvT1_.num_vgpr, 0
	.set _ZN7rocprim17ROCPRIM_400000_NS6detail17trampoline_kernelINS0_14default_configENS1_35adjacent_difference_config_selectorILb1ElEEZNS1_24adjacent_difference_implIS3_Lb1ELb0EPlS7_ZN2at6native12_GLOBAL__N_124unique_dim_cuda_templateIaEESt5tupleIJNS8_6TensorESD_SD_EERKSD_lbbbEUlllE1_EE10hipError_tPvRmT2_T3_mT4_P12ihipStream_tbEUlT_E_NS1_11comp_targetILNS1_3genE2ELNS1_11target_archE906ELNS1_3gpuE6ELNS1_3repE0EEENS1_30default_config_static_selectorELNS0_4arch9wavefront6targetE1EEEvT1_.num_agpr, 0
	.set _ZN7rocprim17ROCPRIM_400000_NS6detail17trampoline_kernelINS0_14default_configENS1_35adjacent_difference_config_selectorILb1ElEEZNS1_24adjacent_difference_implIS3_Lb1ELb0EPlS7_ZN2at6native12_GLOBAL__N_124unique_dim_cuda_templateIaEESt5tupleIJNS8_6TensorESD_SD_EERKSD_lbbbEUlllE1_EE10hipError_tPvRmT2_T3_mT4_P12ihipStream_tbEUlT_E_NS1_11comp_targetILNS1_3genE2ELNS1_11target_archE906ELNS1_3gpuE6ELNS1_3repE0EEENS1_30default_config_static_selectorELNS0_4arch9wavefront6targetE1EEEvT1_.numbered_sgpr, 0
	.set _ZN7rocprim17ROCPRIM_400000_NS6detail17trampoline_kernelINS0_14default_configENS1_35adjacent_difference_config_selectorILb1ElEEZNS1_24adjacent_difference_implIS3_Lb1ELb0EPlS7_ZN2at6native12_GLOBAL__N_124unique_dim_cuda_templateIaEESt5tupleIJNS8_6TensorESD_SD_EERKSD_lbbbEUlllE1_EE10hipError_tPvRmT2_T3_mT4_P12ihipStream_tbEUlT_E_NS1_11comp_targetILNS1_3genE2ELNS1_11target_archE906ELNS1_3gpuE6ELNS1_3repE0EEENS1_30default_config_static_selectorELNS0_4arch9wavefront6targetE1EEEvT1_.num_named_barrier, 0
	.set _ZN7rocprim17ROCPRIM_400000_NS6detail17trampoline_kernelINS0_14default_configENS1_35adjacent_difference_config_selectorILb1ElEEZNS1_24adjacent_difference_implIS3_Lb1ELb0EPlS7_ZN2at6native12_GLOBAL__N_124unique_dim_cuda_templateIaEESt5tupleIJNS8_6TensorESD_SD_EERKSD_lbbbEUlllE1_EE10hipError_tPvRmT2_T3_mT4_P12ihipStream_tbEUlT_E_NS1_11comp_targetILNS1_3genE2ELNS1_11target_archE906ELNS1_3gpuE6ELNS1_3repE0EEENS1_30default_config_static_selectorELNS0_4arch9wavefront6targetE1EEEvT1_.private_seg_size, 0
	.set _ZN7rocprim17ROCPRIM_400000_NS6detail17trampoline_kernelINS0_14default_configENS1_35adjacent_difference_config_selectorILb1ElEEZNS1_24adjacent_difference_implIS3_Lb1ELb0EPlS7_ZN2at6native12_GLOBAL__N_124unique_dim_cuda_templateIaEESt5tupleIJNS8_6TensorESD_SD_EERKSD_lbbbEUlllE1_EE10hipError_tPvRmT2_T3_mT4_P12ihipStream_tbEUlT_E_NS1_11comp_targetILNS1_3genE2ELNS1_11target_archE906ELNS1_3gpuE6ELNS1_3repE0EEENS1_30default_config_static_selectorELNS0_4arch9wavefront6targetE1EEEvT1_.uses_vcc, 0
	.set _ZN7rocprim17ROCPRIM_400000_NS6detail17trampoline_kernelINS0_14default_configENS1_35adjacent_difference_config_selectorILb1ElEEZNS1_24adjacent_difference_implIS3_Lb1ELb0EPlS7_ZN2at6native12_GLOBAL__N_124unique_dim_cuda_templateIaEESt5tupleIJNS8_6TensorESD_SD_EERKSD_lbbbEUlllE1_EE10hipError_tPvRmT2_T3_mT4_P12ihipStream_tbEUlT_E_NS1_11comp_targetILNS1_3genE2ELNS1_11target_archE906ELNS1_3gpuE6ELNS1_3repE0EEENS1_30default_config_static_selectorELNS0_4arch9wavefront6targetE1EEEvT1_.uses_flat_scratch, 0
	.set _ZN7rocprim17ROCPRIM_400000_NS6detail17trampoline_kernelINS0_14default_configENS1_35adjacent_difference_config_selectorILb1ElEEZNS1_24adjacent_difference_implIS3_Lb1ELb0EPlS7_ZN2at6native12_GLOBAL__N_124unique_dim_cuda_templateIaEESt5tupleIJNS8_6TensorESD_SD_EERKSD_lbbbEUlllE1_EE10hipError_tPvRmT2_T3_mT4_P12ihipStream_tbEUlT_E_NS1_11comp_targetILNS1_3genE2ELNS1_11target_archE906ELNS1_3gpuE6ELNS1_3repE0EEENS1_30default_config_static_selectorELNS0_4arch9wavefront6targetE1EEEvT1_.has_dyn_sized_stack, 0
	.set _ZN7rocprim17ROCPRIM_400000_NS6detail17trampoline_kernelINS0_14default_configENS1_35adjacent_difference_config_selectorILb1ElEEZNS1_24adjacent_difference_implIS3_Lb1ELb0EPlS7_ZN2at6native12_GLOBAL__N_124unique_dim_cuda_templateIaEESt5tupleIJNS8_6TensorESD_SD_EERKSD_lbbbEUlllE1_EE10hipError_tPvRmT2_T3_mT4_P12ihipStream_tbEUlT_E_NS1_11comp_targetILNS1_3genE2ELNS1_11target_archE906ELNS1_3gpuE6ELNS1_3repE0EEENS1_30default_config_static_selectorELNS0_4arch9wavefront6targetE1EEEvT1_.has_recursion, 0
	.set _ZN7rocprim17ROCPRIM_400000_NS6detail17trampoline_kernelINS0_14default_configENS1_35adjacent_difference_config_selectorILb1ElEEZNS1_24adjacent_difference_implIS3_Lb1ELb0EPlS7_ZN2at6native12_GLOBAL__N_124unique_dim_cuda_templateIaEESt5tupleIJNS8_6TensorESD_SD_EERKSD_lbbbEUlllE1_EE10hipError_tPvRmT2_T3_mT4_P12ihipStream_tbEUlT_E_NS1_11comp_targetILNS1_3genE2ELNS1_11target_archE906ELNS1_3gpuE6ELNS1_3repE0EEENS1_30default_config_static_selectorELNS0_4arch9wavefront6targetE1EEEvT1_.has_indirect_call, 0
	.section	.AMDGPU.csdata,"",@progbits
; Kernel info:
; codeLenInByte = 0
; TotalNumSgprs: 6
; NumVgprs: 0
; NumAgprs: 0
; TotalNumVgprs: 0
; ScratchSize: 0
; MemoryBound: 0
; FloatMode: 240
; IeeeMode: 1
; LDSByteSize: 0 bytes/workgroup (compile time only)
; SGPRBlocks: 0
; VGPRBlocks: 0
; NumSGPRsForWavesPerEU: 6
; NumVGPRsForWavesPerEU: 1
; AccumOffset: 4
; Occupancy: 8
; WaveLimiterHint : 0
; COMPUTE_PGM_RSRC2:SCRATCH_EN: 0
; COMPUTE_PGM_RSRC2:USER_SGPR: 2
; COMPUTE_PGM_RSRC2:TRAP_HANDLER: 0
; COMPUTE_PGM_RSRC2:TGID_X_EN: 1
; COMPUTE_PGM_RSRC2:TGID_Y_EN: 0
; COMPUTE_PGM_RSRC2:TGID_Z_EN: 0
; COMPUTE_PGM_RSRC2:TIDIG_COMP_CNT: 0
; COMPUTE_PGM_RSRC3_GFX90A:ACCUM_OFFSET: 0
; COMPUTE_PGM_RSRC3_GFX90A:TG_SPLIT: 0
	.section	.text._ZN7rocprim17ROCPRIM_400000_NS6detail17trampoline_kernelINS0_14default_configENS1_35adjacent_difference_config_selectorILb1ElEEZNS1_24adjacent_difference_implIS3_Lb1ELb0EPlS7_ZN2at6native12_GLOBAL__N_124unique_dim_cuda_templateIaEESt5tupleIJNS8_6TensorESD_SD_EERKSD_lbbbEUlllE1_EE10hipError_tPvRmT2_T3_mT4_P12ihipStream_tbEUlT_E_NS1_11comp_targetILNS1_3genE9ELNS1_11target_archE1100ELNS1_3gpuE3ELNS1_3repE0EEENS1_30default_config_static_selectorELNS0_4arch9wavefront6targetE1EEEvT1_,"axG",@progbits,_ZN7rocprim17ROCPRIM_400000_NS6detail17trampoline_kernelINS0_14default_configENS1_35adjacent_difference_config_selectorILb1ElEEZNS1_24adjacent_difference_implIS3_Lb1ELb0EPlS7_ZN2at6native12_GLOBAL__N_124unique_dim_cuda_templateIaEESt5tupleIJNS8_6TensorESD_SD_EERKSD_lbbbEUlllE1_EE10hipError_tPvRmT2_T3_mT4_P12ihipStream_tbEUlT_E_NS1_11comp_targetILNS1_3genE9ELNS1_11target_archE1100ELNS1_3gpuE3ELNS1_3repE0EEENS1_30default_config_static_selectorELNS0_4arch9wavefront6targetE1EEEvT1_,comdat
	.globl	_ZN7rocprim17ROCPRIM_400000_NS6detail17trampoline_kernelINS0_14default_configENS1_35adjacent_difference_config_selectorILb1ElEEZNS1_24adjacent_difference_implIS3_Lb1ELb0EPlS7_ZN2at6native12_GLOBAL__N_124unique_dim_cuda_templateIaEESt5tupleIJNS8_6TensorESD_SD_EERKSD_lbbbEUlllE1_EE10hipError_tPvRmT2_T3_mT4_P12ihipStream_tbEUlT_E_NS1_11comp_targetILNS1_3genE9ELNS1_11target_archE1100ELNS1_3gpuE3ELNS1_3repE0EEENS1_30default_config_static_selectorELNS0_4arch9wavefront6targetE1EEEvT1_ ; -- Begin function _ZN7rocprim17ROCPRIM_400000_NS6detail17trampoline_kernelINS0_14default_configENS1_35adjacent_difference_config_selectorILb1ElEEZNS1_24adjacent_difference_implIS3_Lb1ELb0EPlS7_ZN2at6native12_GLOBAL__N_124unique_dim_cuda_templateIaEESt5tupleIJNS8_6TensorESD_SD_EERKSD_lbbbEUlllE1_EE10hipError_tPvRmT2_T3_mT4_P12ihipStream_tbEUlT_E_NS1_11comp_targetILNS1_3genE9ELNS1_11target_archE1100ELNS1_3gpuE3ELNS1_3repE0EEENS1_30default_config_static_selectorELNS0_4arch9wavefront6targetE1EEEvT1_
	.p2align	8
	.type	_ZN7rocprim17ROCPRIM_400000_NS6detail17trampoline_kernelINS0_14default_configENS1_35adjacent_difference_config_selectorILb1ElEEZNS1_24adjacent_difference_implIS3_Lb1ELb0EPlS7_ZN2at6native12_GLOBAL__N_124unique_dim_cuda_templateIaEESt5tupleIJNS8_6TensorESD_SD_EERKSD_lbbbEUlllE1_EE10hipError_tPvRmT2_T3_mT4_P12ihipStream_tbEUlT_E_NS1_11comp_targetILNS1_3genE9ELNS1_11target_archE1100ELNS1_3gpuE3ELNS1_3repE0EEENS1_30default_config_static_selectorELNS0_4arch9wavefront6targetE1EEEvT1_,@function
_ZN7rocprim17ROCPRIM_400000_NS6detail17trampoline_kernelINS0_14default_configENS1_35adjacent_difference_config_selectorILb1ElEEZNS1_24adjacent_difference_implIS3_Lb1ELb0EPlS7_ZN2at6native12_GLOBAL__N_124unique_dim_cuda_templateIaEESt5tupleIJNS8_6TensorESD_SD_EERKSD_lbbbEUlllE1_EE10hipError_tPvRmT2_T3_mT4_P12ihipStream_tbEUlT_E_NS1_11comp_targetILNS1_3genE9ELNS1_11target_archE1100ELNS1_3gpuE3ELNS1_3repE0EEENS1_30default_config_static_selectorELNS0_4arch9wavefront6targetE1EEEvT1_: ; @_ZN7rocprim17ROCPRIM_400000_NS6detail17trampoline_kernelINS0_14default_configENS1_35adjacent_difference_config_selectorILb1ElEEZNS1_24adjacent_difference_implIS3_Lb1ELb0EPlS7_ZN2at6native12_GLOBAL__N_124unique_dim_cuda_templateIaEESt5tupleIJNS8_6TensorESD_SD_EERKSD_lbbbEUlllE1_EE10hipError_tPvRmT2_T3_mT4_P12ihipStream_tbEUlT_E_NS1_11comp_targetILNS1_3genE9ELNS1_11target_archE1100ELNS1_3gpuE3ELNS1_3repE0EEENS1_30default_config_static_selectorELNS0_4arch9wavefront6targetE1EEEvT1_
; %bb.0:
	.section	.rodata,"a",@progbits
	.p2align	6, 0x0
	.amdhsa_kernel _ZN7rocprim17ROCPRIM_400000_NS6detail17trampoline_kernelINS0_14default_configENS1_35adjacent_difference_config_selectorILb1ElEEZNS1_24adjacent_difference_implIS3_Lb1ELb0EPlS7_ZN2at6native12_GLOBAL__N_124unique_dim_cuda_templateIaEESt5tupleIJNS8_6TensorESD_SD_EERKSD_lbbbEUlllE1_EE10hipError_tPvRmT2_T3_mT4_P12ihipStream_tbEUlT_E_NS1_11comp_targetILNS1_3genE9ELNS1_11target_archE1100ELNS1_3gpuE3ELNS1_3repE0EEENS1_30default_config_static_selectorELNS0_4arch9wavefront6targetE1EEEvT1_
		.amdhsa_group_segment_fixed_size 0
		.amdhsa_private_segment_fixed_size 0
		.amdhsa_kernarg_size 64
		.amdhsa_user_sgpr_count 2
		.amdhsa_user_sgpr_dispatch_ptr 0
		.amdhsa_user_sgpr_queue_ptr 0
		.amdhsa_user_sgpr_kernarg_segment_ptr 1
		.amdhsa_user_sgpr_dispatch_id 0
		.amdhsa_user_sgpr_kernarg_preload_length 0
		.amdhsa_user_sgpr_kernarg_preload_offset 0
		.amdhsa_user_sgpr_private_segment_size 0
		.amdhsa_uses_dynamic_stack 0
		.amdhsa_enable_private_segment 0
		.amdhsa_system_sgpr_workgroup_id_x 1
		.amdhsa_system_sgpr_workgroup_id_y 0
		.amdhsa_system_sgpr_workgroup_id_z 0
		.amdhsa_system_sgpr_workgroup_info 0
		.amdhsa_system_vgpr_workitem_id 0
		.amdhsa_next_free_vgpr 1
		.amdhsa_next_free_sgpr 0
		.amdhsa_accum_offset 4
		.amdhsa_reserve_vcc 0
		.amdhsa_float_round_mode_32 0
		.amdhsa_float_round_mode_16_64 0
		.amdhsa_float_denorm_mode_32 3
		.amdhsa_float_denorm_mode_16_64 3
		.amdhsa_dx10_clamp 1
		.amdhsa_ieee_mode 1
		.amdhsa_fp16_overflow 0
		.amdhsa_tg_split 0
		.amdhsa_exception_fp_ieee_invalid_op 0
		.amdhsa_exception_fp_denorm_src 0
		.amdhsa_exception_fp_ieee_div_zero 0
		.amdhsa_exception_fp_ieee_overflow 0
		.amdhsa_exception_fp_ieee_underflow 0
		.amdhsa_exception_fp_ieee_inexact 0
		.amdhsa_exception_int_div_zero 0
	.end_amdhsa_kernel
	.section	.text._ZN7rocprim17ROCPRIM_400000_NS6detail17trampoline_kernelINS0_14default_configENS1_35adjacent_difference_config_selectorILb1ElEEZNS1_24adjacent_difference_implIS3_Lb1ELb0EPlS7_ZN2at6native12_GLOBAL__N_124unique_dim_cuda_templateIaEESt5tupleIJNS8_6TensorESD_SD_EERKSD_lbbbEUlllE1_EE10hipError_tPvRmT2_T3_mT4_P12ihipStream_tbEUlT_E_NS1_11comp_targetILNS1_3genE9ELNS1_11target_archE1100ELNS1_3gpuE3ELNS1_3repE0EEENS1_30default_config_static_selectorELNS0_4arch9wavefront6targetE1EEEvT1_,"axG",@progbits,_ZN7rocprim17ROCPRIM_400000_NS6detail17trampoline_kernelINS0_14default_configENS1_35adjacent_difference_config_selectorILb1ElEEZNS1_24adjacent_difference_implIS3_Lb1ELb0EPlS7_ZN2at6native12_GLOBAL__N_124unique_dim_cuda_templateIaEESt5tupleIJNS8_6TensorESD_SD_EERKSD_lbbbEUlllE1_EE10hipError_tPvRmT2_T3_mT4_P12ihipStream_tbEUlT_E_NS1_11comp_targetILNS1_3genE9ELNS1_11target_archE1100ELNS1_3gpuE3ELNS1_3repE0EEENS1_30default_config_static_selectorELNS0_4arch9wavefront6targetE1EEEvT1_,comdat
.Lfunc_end317:
	.size	_ZN7rocprim17ROCPRIM_400000_NS6detail17trampoline_kernelINS0_14default_configENS1_35adjacent_difference_config_selectorILb1ElEEZNS1_24adjacent_difference_implIS3_Lb1ELb0EPlS7_ZN2at6native12_GLOBAL__N_124unique_dim_cuda_templateIaEESt5tupleIJNS8_6TensorESD_SD_EERKSD_lbbbEUlllE1_EE10hipError_tPvRmT2_T3_mT4_P12ihipStream_tbEUlT_E_NS1_11comp_targetILNS1_3genE9ELNS1_11target_archE1100ELNS1_3gpuE3ELNS1_3repE0EEENS1_30default_config_static_selectorELNS0_4arch9wavefront6targetE1EEEvT1_, .Lfunc_end317-_ZN7rocprim17ROCPRIM_400000_NS6detail17trampoline_kernelINS0_14default_configENS1_35adjacent_difference_config_selectorILb1ElEEZNS1_24adjacent_difference_implIS3_Lb1ELb0EPlS7_ZN2at6native12_GLOBAL__N_124unique_dim_cuda_templateIaEESt5tupleIJNS8_6TensorESD_SD_EERKSD_lbbbEUlllE1_EE10hipError_tPvRmT2_T3_mT4_P12ihipStream_tbEUlT_E_NS1_11comp_targetILNS1_3genE9ELNS1_11target_archE1100ELNS1_3gpuE3ELNS1_3repE0EEENS1_30default_config_static_selectorELNS0_4arch9wavefront6targetE1EEEvT1_
                                        ; -- End function
	.set _ZN7rocprim17ROCPRIM_400000_NS6detail17trampoline_kernelINS0_14default_configENS1_35adjacent_difference_config_selectorILb1ElEEZNS1_24adjacent_difference_implIS3_Lb1ELb0EPlS7_ZN2at6native12_GLOBAL__N_124unique_dim_cuda_templateIaEESt5tupleIJNS8_6TensorESD_SD_EERKSD_lbbbEUlllE1_EE10hipError_tPvRmT2_T3_mT4_P12ihipStream_tbEUlT_E_NS1_11comp_targetILNS1_3genE9ELNS1_11target_archE1100ELNS1_3gpuE3ELNS1_3repE0EEENS1_30default_config_static_selectorELNS0_4arch9wavefront6targetE1EEEvT1_.num_vgpr, 0
	.set _ZN7rocprim17ROCPRIM_400000_NS6detail17trampoline_kernelINS0_14default_configENS1_35adjacent_difference_config_selectorILb1ElEEZNS1_24adjacent_difference_implIS3_Lb1ELb0EPlS7_ZN2at6native12_GLOBAL__N_124unique_dim_cuda_templateIaEESt5tupleIJNS8_6TensorESD_SD_EERKSD_lbbbEUlllE1_EE10hipError_tPvRmT2_T3_mT4_P12ihipStream_tbEUlT_E_NS1_11comp_targetILNS1_3genE9ELNS1_11target_archE1100ELNS1_3gpuE3ELNS1_3repE0EEENS1_30default_config_static_selectorELNS0_4arch9wavefront6targetE1EEEvT1_.num_agpr, 0
	.set _ZN7rocprim17ROCPRIM_400000_NS6detail17trampoline_kernelINS0_14default_configENS1_35adjacent_difference_config_selectorILb1ElEEZNS1_24adjacent_difference_implIS3_Lb1ELb0EPlS7_ZN2at6native12_GLOBAL__N_124unique_dim_cuda_templateIaEESt5tupleIJNS8_6TensorESD_SD_EERKSD_lbbbEUlllE1_EE10hipError_tPvRmT2_T3_mT4_P12ihipStream_tbEUlT_E_NS1_11comp_targetILNS1_3genE9ELNS1_11target_archE1100ELNS1_3gpuE3ELNS1_3repE0EEENS1_30default_config_static_selectorELNS0_4arch9wavefront6targetE1EEEvT1_.numbered_sgpr, 0
	.set _ZN7rocprim17ROCPRIM_400000_NS6detail17trampoline_kernelINS0_14default_configENS1_35adjacent_difference_config_selectorILb1ElEEZNS1_24adjacent_difference_implIS3_Lb1ELb0EPlS7_ZN2at6native12_GLOBAL__N_124unique_dim_cuda_templateIaEESt5tupleIJNS8_6TensorESD_SD_EERKSD_lbbbEUlllE1_EE10hipError_tPvRmT2_T3_mT4_P12ihipStream_tbEUlT_E_NS1_11comp_targetILNS1_3genE9ELNS1_11target_archE1100ELNS1_3gpuE3ELNS1_3repE0EEENS1_30default_config_static_selectorELNS0_4arch9wavefront6targetE1EEEvT1_.num_named_barrier, 0
	.set _ZN7rocprim17ROCPRIM_400000_NS6detail17trampoline_kernelINS0_14default_configENS1_35adjacent_difference_config_selectorILb1ElEEZNS1_24adjacent_difference_implIS3_Lb1ELb0EPlS7_ZN2at6native12_GLOBAL__N_124unique_dim_cuda_templateIaEESt5tupleIJNS8_6TensorESD_SD_EERKSD_lbbbEUlllE1_EE10hipError_tPvRmT2_T3_mT4_P12ihipStream_tbEUlT_E_NS1_11comp_targetILNS1_3genE9ELNS1_11target_archE1100ELNS1_3gpuE3ELNS1_3repE0EEENS1_30default_config_static_selectorELNS0_4arch9wavefront6targetE1EEEvT1_.private_seg_size, 0
	.set _ZN7rocprim17ROCPRIM_400000_NS6detail17trampoline_kernelINS0_14default_configENS1_35adjacent_difference_config_selectorILb1ElEEZNS1_24adjacent_difference_implIS3_Lb1ELb0EPlS7_ZN2at6native12_GLOBAL__N_124unique_dim_cuda_templateIaEESt5tupleIJNS8_6TensorESD_SD_EERKSD_lbbbEUlllE1_EE10hipError_tPvRmT2_T3_mT4_P12ihipStream_tbEUlT_E_NS1_11comp_targetILNS1_3genE9ELNS1_11target_archE1100ELNS1_3gpuE3ELNS1_3repE0EEENS1_30default_config_static_selectorELNS0_4arch9wavefront6targetE1EEEvT1_.uses_vcc, 0
	.set _ZN7rocprim17ROCPRIM_400000_NS6detail17trampoline_kernelINS0_14default_configENS1_35adjacent_difference_config_selectorILb1ElEEZNS1_24adjacent_difference_implIS3_Lb1ELb0EPlS7_ZN2at6native12_GLOBAL__N_124unique_dim_cuda_templateIaEESt5tupleIJNS8_6TensorESD_SD_EERKSD_lbbbEUlllE1_EE10hipError_tPvRmT2_T3_mT4_P12ihipStream_tbEUlT_E_NS1_11comp_targetILNS1_3genE9ELNS1_11target_archE1100ELNS1_3gpuE3ELNS1_3repE0EEENS1_30default_config_static_selectorELNS0_4arch9wavefront6targetE1EEEvT1_.uses_flat_scratch, 0
	.set _ZN7rocprim17ROCPRIM_400000_NS6detail17trampoline_kernelINS0_14default_configENS1_35adjacent_difference_config_selectorILb1ElEEZNS1_24adjacent_difference_implIS3_Lb1ELb0EPlS7_ZN2at6native12_GLOBAL__N_124unique_dim_cuda_templateIaEESt5tupleIJNS8_6TensorESD_SD_EERKSD_lbbbEUlllE1_EE10hipError_tPvRmT2_T3_mT4_P12ihipStream_tbEUlT_E_NS1_11comp_targetILNS1_3genE9ELNS1_11target_archE1100ELNS1_3gpuE3ELNS1_3repE0EEENS1_30default_config_static_selectorELNS0_4arch9wavefront6targetE1EEEvT1_.has_dyn_sized_stack, 0
	.set _ZN7rocprim17ROCPRIM_400000_NS6detail17trampoline_kernelINS0_14default_configENS1_35adjacent_difference_config_selectorILb1ElEEZNS1_24adjacent_difference_implIS3_Lb1ELb0EPlS7_ZN2at6native12_GLOBAL__N_124unique_dim_cuda_templateIaEESt5tupleIJNS8_6TensorESD_SD_EERKSD_lbbbEUlllE1_EE10hipError_tPvRmT2_T3_mT4_P12ihipStream_tbEUlT_E_NS1_11comp_targetILNS1_3genE9ELNS1_11target_archE1100ELNS1_3gpuE3ELNS1_3repE0EEENS1_30default_config_static_selectorELNS0_4arch9wavefront6targetE1EEEvT1_.has_recursion, 0
	.set _ZN7rocprim17ROCPRIM_400000_NS6detail17trampoline_kernelINS0_14default_configENS1_35adjacent_difference_config_selectorILb1ElEEZNS1_24adjacent_difference_implIS3_Lb1ELb0EPlS7_ZN2at6native12_GLOBAL__N_124unique_dim_cuda_templateIaEESt5tupleIJNS8_6TensorESD_SD_EERKSD_lbbbEUlllE1_EE10hipError_tPvRmT2_T3_mT4_P12ihipStream_tbEUlT_E_NS1_11comp_targetILNS1_3genE9ELNS1_11target_archE1100ELNS1_3gpuE3ELNS1_3repE0EEENS1_30default_config_static_selectorELNS0_4arch9wavefront6targetE1EEEvT1_.has_indirect_call, 0
	.section	.AMDGPU.csdata,"",@progbits
; Kernel info:
; codeLenInByte = 0
; TotalNumSgprs: 6
; NumVgprs: 0
; NumAgprs: 0
; TotalNumVgprs: 0
; ScratchSize: 0
; MemoryBound: 0
; FloatMode: 240
; IeeeMode: 1
; LDSByteSize: 0 bytes/workgroup (compile time only)
; SGPRBlocks: 0
; VGPRBlocks: 0
; NumSGPRsForWavesPerEU: 6
; NumVGPRsForWavesPerEU: 1
; AccumOffset: 4
; Occupancy: 8
; WaveLimiterHint : 0
; COMPUTE_PGM_RSRC2:SCRATCH_EN: 0
; COMPUTE_PGM_RSRC2:USER_SGPR: 2
; COMPUTE_PGM_RSRC2:TRAP_HANDLER: 0
; COMPUTE_PGM_RSRC2:TGID_X_EN: 1
; COMPUTE_PGM_RSRC2:TGID_Y_EN: 0
; COMPUTE_PGM_RSRC2:TGID_Z_EN: 0
; COMPUTE_PGM_RSRC2:TIDIG_COMP_CNT: 0
; COMPUTE_PGM_RSRC3_GFX90A:ACCUM_OFFSET: 0
; COMPUTE_PGM_RSRC3_GFX90A:TG_SPLIT: 0
	.section	.text._ZN7rocprim17ROCPRIM_400000_NS6detail17trampoline_kernelINS0_14default_configENS1_35adjacent_difference_config_selectorILb1ElEEZNS1_24adjacent_difference_implIS3_Lb1ELb0EPlS7_ZN2at6native12_GLOBAL__N_124unique_dim_cuda_templateIaEESt5tupleIJNS8_6TensorESD_SD_EERKSD_lbbbEUlllE1_EE10hipError_tPvRmT2_T3_mT4_P12ihipStream_tbEUlT_E_NS1_11comp_targetILNS1_3genE8ELNS1_11target_archE1030ELNS1_3gpuE2ELNS1_3repE0EEENS1_30default_config_static_selectorELNS0_4arch9wavefront6targetE1EEEvT1_,"axG",@progbits,_ZN7rocprim17ROCPRIM_400000_NS6detail17trampoline_kernelINS0_14default_configENS1_35adjacent_difference_config_selectorILb1ElEEZNS1_24adjacent_difference_implIS3_Lb1ELb0EPlS7_ZN2at6native12_GLOBAL__N_124unique_dim_cuda_templateIaEESt5tupleIJNS8_6TensorESD_SD_EERKSD_lbbbEUlllE1_EE10hipError_tPvRmT2_T3_mT4_P12ihipStream_tbEUlT_E_NS1_11comp_targetILNS1_3genE8ELNS1_11target_archE1030ELNS1_3gpuE2ELNS1_3repE0EEENS1_30default_config_static_selectorELNS0_4arch9wavefront6targetE1EEEvT1_,comdat
	.globl	_ZN7rocprim17ROCPRIM_400000_NS6detail17trampoline_kernelINS0_14default_configENS1_35adjacent_difference_config_selectorILb1ElEEZNS1_24adjacent_difference_implIS3_Lb1ELb0EPlS7_ZN2at6native12_GLOBAL__N_124unique_dim_cuda_templateIaEESt5tupleIJNS8_6TensorESD_SD_EERKSD_lbbbEUlllE1_EE10hipError_tPvRmT2_T3_mT4_P12ihipStream_tbEUlT_E_NS1_11comp_targetILNS1_3genE8ELNS1_11target_archE1030ELNS1_3gpuE2ELNS1_3repE0EEENS1_30default_config_static_selectorELNS0_4arch9wavefront6targetE1EEEvT1_ ; -- Begin function _ZN7rocprim17ROCPRIM_400000_NS6detail17trampoline_kernelINS0_14default_configENS1_35adjacent_difference_config_selectorILb1ElEEZNS1_24adjacent_difference_implIS3_Lb1ELb0EPlS7_ZN2at6native12_GLOBAL__N_124unique_dim_cuda_templateIaEESt5tupleIJNS8_6TensorESD_SD_EERKSD_lbbbEUlllE1_EE10hipError_tPvRmT2_T3_mT4_P12ihipStream_tbEUlT_E_NS1_11comp_targetILNS1_3genE8ELNS1_11target_archE1030ELNS1_3gpuE2ELNS1_3repE0EEENS1_30default_config_static_selectorELNS0_4arch9wavefront6targetE1EEEvT1_
	.p2align	8
	.type	_ZN7rocprim17ROCPRIM_400000_NS6detail17trampoline_kernelINS0_14default_configENS1_35adjacent_difference_config_selectorILb1ElEEZNS1_24adjacent_difference_implIS3_Lb1ELb0EPlS7_ZN2at6native12_GLOBAL__N_124unique_dim_cuda_templateIaEESt5tupleIJNS8_6TensorESD_SD_EERKSD_lbbbEUlllE1_EE10hipError_tPvRmT2_T3_mT4_P12ihipStream_tbEUlT_E_NS1_11comp_targetILNS1_3genE8ELNS1_11target_archE1030ELNS1_3gpuE2ELNS1_3repE0EEENS1_30default_config_static_selectorELNS0_4arch9wavefront6targetE1EEEvT1_,@function
_ZN7rocprim17ROCPRIM_400000_NS6detail17trampoline_kernelINS0_14default_configENS1_35adjacent_difference_config_selectorILb1ElEEZNS1_24adjacent_difference_implIS3_Lb1ELb0EPlS7_ZN2at6native12_GLOBAL__N_124unique_dim_cuda_templateIaEESt5tupleIJNS8_6TensorESD_SD_EERKSD_lbbbEUlllE1_EE10hipError_tPvRmT2_T3_mT4_P12ihipStream_tbEUlT_E_NS1_11comp_targetILNS1_3genE8ELNS1_11target_archE1030ELNS1_3gpuE2ELNS1_3repE0EEENS1_30default_config_static_selectorELNS0_4arch9wavefront6targetE1EEEvT1_: ; @_ZN7rocprim17ROCPRIM_400000_NS6detail17trampoline_kernelINS0_14default_configENS1_35adjacent_difference_config_selectorILb1ElEEZNS1_24adjacent_difference_implIS3_Lb1ELb0EPlS7_ZN2at6native12_GLOBAL__N_124unique_dim_cuda_templateIaEESt5tupleIJNS8_6TensorESD_SD_EERKSD_lbbbEUlllE1_EE10hipError_tPvRmT2_T3_mT4_P12ihipStream_tbEUlT_E_NS1_11comp_targetILNS1_3genE8ELNS1_11target_archE1030ELNS1_3gpuE2ELNS1_3repE0EEENS1_30default_config_static_selectorELNS0_4arch9wavefront6targetE1EEEvT1_
; %bb.0:
	.section	.rodata,"a",@progbits
	.p2align	6, 0x0
	.amdhsa_kernel _ZN7rocprim17ROCPRIM_400000_NS6detail17trampoline_kernelINS0_14default_configENS1_35adjacent_difference_config_selectorILb1ElEEZNS1_24adjacent_difference_implIS3_Lb1ELb0EPlS7_ZN2at6native12_GLOBAL__N_124unique_dim_cuda_templateIaEESt5tupleIJNS8_6TensorESD_SD_EERKSD_lbbbEUlllE1_EE10hipError_tPvRmT2_T3_mT4_P12ihipStream_tbEUlT_E_NS1_11comp_targetILNS1_3genE8ELNS1_11target_archE1030ELNS1_3gpuE2ELNS1_3repE0EEENS1_30default_config_static_selectorELNS0_4arch9wavefront6targetE1EEEvT1_
		.amdhsa_group_segment_fixed_size 0
		.amdhsa_private_segment_fixed_size 0
		.amdhsa_kernarg_size 64
		.amdhsa_user_sgpr_count 2
		.amdhsa_user_sgpr_dispatch_ptr 0
		.amdhsa_user_sgpr_queue_ptr 0
		.amdhsa_user_sgpr_kernarg_segment_ptr 1
		.amdhsa_user_sgpr_dispatch_id 0
		.amdhsa_user_sgpr_kernarg_preload_length 0
		.amdhsa_user_sgpr_kernarg_preload_offset 0
		.amdhsa_user_sgpr_private_segment_size 0
		.amdhsa_uses_dynamic_stack 0
		.amdhsa_enable_private_segment 0
		.amdhsa_system_sgpr_workgroup_id_x 1
		.amdhsa_system_sgpr_workgroup_id_y 0
		.amdhsa_system_sgpr_workgroup_id_z 0
		.amdhsa_system_sgpr_workgroup_info 0
		.amdhsa_system_vgpr_workitem_id 0
		.amdhsa_next_free_vgpr 1
		.amdhsa_next_free_sgpr 0
		.amdhsa_accum_offset 4
		.amdhsa_reserve_vcc 0
		.amdhsa_float_round_mode_32 0
		.amdhsa_float_round_mode_16_64 0
		.amdhsa_float_denorm_mode_32 3
		.amdhsa_float_denorm_mode_16_64 3
		.amdhsa_dx10_clamp 1
		.amdhsa_ieee_mode 1
		.amdhsa_fp16_overflow 0
		.amdhsa_tg_split 0
		.amdhsa_exception_fp_ieee_invalid_op 0
		.amdhsa_exception_fp_denorm_src 0
		.amdhsa_exception_fp_ieee_div_zero 0
		.amdhsa_exception_fp_ieee_overflow 0
		.amdhsa_exception_fp_ieee_underflow 0
		.amdhsa_exception_fp_ieee_inexact 0
		.amdhsa_exception_int_div_zero 0
	.end_amdhsa_kernel
	.section	.text._ZN7rocprim17ROCPRIM_400000_NS6detail17trampoline_kernelINS0_14default_configENS1_35adjacent_difference_config_selectorILb1ElEEZNS1_24adjacent_difference_implIS3_Lb1ELb0EPlS7_ZN2at6native12_GLOBAL__N_124unique_dim_cuda_templateIaEESt5tupleIJNS8_6TensorESD_SD_EERKSD_lbbbEUlllE1_EE10hipError_tPvRmT2_T3_mT4_P12ihipStream_tbEUlT_E_NS1_11comp_targetILNS1_3genE8ELNS1_11target_archE1030ELNS1_3gpuE2ELNS1_3repE0EEENS1_30default_config_static_selectorELNS0_4arch9wavefront6targetE1EEEvT1_,"axG",@progbits,_ZN7rocprim17ROCPRIM_400000_NS6detail17trampoline_kernelINS0_14default_configENS1_35adjacent_difference_config_selectorILb1ElEEZNS1_24adjacent_difference_implIS3_Lb1ELb0EPlS7_ZN2at6native12_GLOBAL__N_124unique_dim_cuda_templateIaEESt5tupleIJNS8_6TensorESD_SD_EERKSD_lbbbEUlllE1_EE10hipError_tPvRmT2_T3_mT4_P12ihipStream_tbEUlT_E_NS1_11comp_targetILNS1_3genE8ELNS1_11target_archE1030ELNS1_3gpuE2ELNS1_3repE0EEENS1_30default_config_static_selectorELNS0_4arch9wavefront6targetE1EEEvT1_,comdat
.Lfunc_end318:
	.size	_ZN7rocprim17ROCPRIM_400000_NS6detail17trampoline_kernelINS0_14default_configENS1_35adjacent_difference_config_selectorILb1ElEEZNS1_24adjacent_difference_implIS3_Lb1ELb0EPlS7_ZN2at6native12_GLOBAL__N_124unique_dim_cuda_templateIaEESt5tupleIJNS8_6TensorESD_SD_EERKSD_lbbbEUlllE1_EE10hipError_tPvRmT2_T3_mT4_P12ihipStream_tbEUlT_E_NS1_11comp_targetILNS1_3genE8ELNS1_11target_archE1030ELNS1_3gpuE2ELNS1_3repE0EEENS1_30default_config_static_selectorELNS0_4arch9wavefront6targetE1EEEvT1_, .Lfunc_end318-_ZN7rocprim17ROCPRIM_400000_NS6detail17trampoline_kernelINS0_14default_configENS1_35adjacent_difference_config_selectorILb1ElEEZNS1_24adjacent_difference_implIS3_Lb1ELb0EPlS7_ZN2at6native12_GLOBAL__N_124unique_dim_cuda_templateIaEESt5tupleIJNS8_6TensorESD_SD_EERKSD_lbbbEUlllE1_EE10hipError_tPvRmT2_T3_mT4_P12ihipStream_tbEUlT_E_NS1_11comp_targetILNS1_3genE8ELNS1_11target_archE1030ELNS1_3gpuE2ELNS1_3repE0EEENS1_30default_config_static_selectorELNS0_4arch9wavefront6targetE1EEEvT1_
                                        ; -- End function
	.set _ZN7rocprim17ROCPRIM_400000_NS6detail17trampoline_kernelINS0_14default_configENS1_35adjacent_difference_config_selectorILb1ElEEZNS1_24adjacent_difference_implIS3_Lb1ELb0EPlS7_ZN2at6native12_GLOBAL__N_124unique_dim_cuda_templateIaEESt5tupleIJNS8_6TensorESD_SD_EERKSD_lbbbEUlllE1_EE10hipError_tPvRmT2_T3_mT4_P12ihipStream_tbEUlT_E_NS1_11comp_targetILNS1_3genE8ELNS1_11target_archE1030ELNS1_3gpuE2ELNS1_3repE0EEENS1_30default_config_static_selectorELNS0_4arch9wavefront6targetE1EEEvT1_.num_vgpr, 0
	.set _ZN7rocprim17ROCPRIM_400000_NS6detail17trampoline_kernelINS0_14default_configENS1_35adjacent_difference_config_selectorILb1ElEEZNS1_24adjacent_difference_implIS3_Lb1ELb0EPlS7_ZN2at6native12_GLOBAL__N_124unique_dim_cuda_templateIaEESt5tupleIJNS8_6TensorESD_SD_EERKSD_lbbbEUlllE1_EE10hipError_tPvRmT2_T3_mT4_P12ihipStream_tbEUlT_E_NS1_11comp_targetILNS1_3genE8ELNS1_11target_archE1030ELNS1_3gpuE2ELNS1_3repE0EEENS1_30default_config_static_selectorELNS0_4arch9wavefront6targetE1EEEvT1_.num_agpr, 0
	.set _ZN7rocprim17ROCPRIM_400000_NS6detail17trampoline_kernelINS0_14default_configENS1_35adjacent_difference_config_selectorILb1ElEEZNS1_24adjacent_difference_implIS3_Lb1ELb0EPlS7_ZN2at6native12_GLOBAL__N_124unique_dim_cuda_templateIaEESt5tupleIJNS8_6TensorESD_SD_EERKSD_lbbbEUlllE1_EE10hipError_tPvRmT2_T3_mT4_P12ihipStream_tbEUlT_E_NS1_11comp_targetILNS1_3genE8ELNS1_11target_archE1030ELNS1_3gpuE2ELNS1_3repE0EEENS1_30default_config_static_selectorELNS0_4arch9wavefront6targetE1EEEvT1_.numbered_sgpr, 0
	.set _ZN7rocprim17ROCPRIM_400000_NS6detail17trampoline_kernelINS0_14default_configENS1_35adjacent_difference_config_selectorILb1ElEEZNS1_24adjacent_difference_implIS3_Lb1ELb0EPlS7_ZN2at6native12_GLOBAL__N_124unique_dim_cuda_templateIaEESt5tupleIJNS8_6TensorESD_SD_EERKSD_lbbbEUlllE1_EE10hipError_tPvRmT2_T3_mT4_P12ihipStream_tbEUlT_E_NS1_11comp_targetILNS1_3genE8ELNS1_11target_archE1030ELNS1_3gpuE2ELNS1_3repE0EEENS1_30default_config_static_selectorELNS0_4arch9wavefront6targetE1EEEvT1_.num_named_barrier, 0
	.set _ZN7rocprim17ROCPRIM_400000_NS6detail17trampoline_kernelINS0_14default_configENS1_35adjacent_difference_config_selectorILb1ElEEZNS1_24adjacent_difference_implIS3_Lb1ELb0EPlS7_ZN2at6native12_GLOBAL__N_124unique_dim_cuda_templateIaEESt5tupleIJNS8_6TensorESD_SD_EERKSD_lbbbEUlllE1_EE10hipError_tPvRmT2_T3_mT4_P12ihipStream_tbEUlT_E_NS1_11comp_targetILNS1_3genE8ELNS1_11target_archE1030ELNS1_3gpuE2ELNS1_3repE0EEENS1_30default_config_static_selectorELNS0_4arch9wavefront6targetE1EEEvT1_.private_seg_size, 0
	.set _ZN7rocprim17ROCPRIM_400000_NS6detail17trampoline_kernelINS0_14default_configENS1_35adjacent_difference_config_selectorILb1ElEEZNS1_24adjacent_difference_implIS3_Lb1ELb0EPlS7_ZN2at6native12_GLOBAL__N_124unique_dim_cuda_templateIaEESt5tupleIJNS8_6TensorESD_SD_EERKSD_lbbbEUlllE1_EE10hipError_tPvRmT2_T3_mT4_P12ihipStream_tbEUlT_E_NS1_11comp_targetILNS1_3genE8ELNS1_11target_archE1030ELNS1_3gpuE2ELNS1_3repE0EEENS1_30default_config_static_selectorELNS0_4arch9wavefront6targetE1EEEvT1_.uses_vcc, 0
	.set _ZN7rocprim17ROCPRIM_400000_NS6detail17trampoline_kernelINS0_14default_configENS1_35adjacent_difference_config_selectorILb1ElEEZNS1_24adjacent_difference_implIS3_Lb1ELb0EPlS7_ZN2at6native12_GLOBAL__N_124unique_dim_cuda_templateIaEESt5tupleIJNS8_6TensorESD_SD_EERKSD_lbbbEUlllE1_EE10hipError_tPvRmT2_T3_mT4_P12ihipStream_tbEUlT_E_NS1_11comp_targetILNS1_3genE8ELNS1_11target_archE1030ELNS1_3gpuE2ELNS1_3repE0EEENS1_30default_config_static_selectorELNS0_4arch9wavefront6targetE1EEEvT1_.uses_flat_scratch, 0
	.set _ZN7rocprim17ROCPRIM_400000_NS6detail17trampoline_kernelINS0_14default_configENS1_35adjacent_difference_config_selectorILb1ElEEZNS1_24adjacent_difference_implIS3_Lb1ELb0EPlS7_ZN2at6native12_GLOBAL__N_124unique_dim_cuda_templateIaEESt5tupleIJNS8_6TensorESD_SD_EERKSD_lbbbEUlllE1_EE10hipError_tPvRmT2_T3_mT4_P12ihipStream_tbEUlT_E_NS1_11comp_targetILNS1_3genE8ELNS1_11target_archE1030ELNS1_3gpuE2ELNS1_3repE0EEENS1_30default_config_static_selectorELNS0_4arch9wavefront6targetE1EEEvT1_.has_dyn_sized_stack, 0
	.set _ZN7rocprim17ROCPRIM_400000_NS6detail17trampoline_kernelINS0_14default_configENS1_35adjacent_difference_config_selectorILb1ElEEZNS1_24adjacent_difference_implIS3_Lb1ELb0EPlS7_ZN2at6native12_GLOBAL__N_124unique_dim_cuda_templateIaEESt5tupleIJNS8_6TensorESD_SD_EERKSD_lbbbEUlllE1_EE10hipError_tPvRmT2_T3_mT4_P12ihipStream_tbEUlT_E_NS1_11comp_targetILNS1_3genE8ELNS1_11target_archE1030ELNS1_3gpuE2ELNS1_3repE0EEENS1_30default_config_static_selectorELNS0_4arch9wavefront6targetE1EEEvT1_.has_recursion, 0
	.set _ZN7rocprim17ROCPRIM_400000_NS6detail17trampoline_kernelINS0_14default_configENS1_35adjacent_difference_config_selectorILb1ElEEZNS1_24adjacent_difference_implIS3_Lb1ELb0EPlS7_ZN2at6native12_GLOBAL__N_124unique_dim_cuda_templateIaEESt5tupleIJNS8_6TensorESD_SD_EERKSD_lbbbEUlllE1_EE10hipError_tPvRmT2_T3_mT4_P12ihipStream_tbEUlT_E_NS1_11comp_targetILNS1_3genE8ELNS1_11target_archE1030ELNS1_3gpuE2ELNS1_3repE0EEENS1_30default_config_static_selectorELNS0_4arch9wavefront6targetE1EEEvT1_.has_indirect_call, 0
	.section	.AMDGPU.csdata,"",@progbits
; Kernel info:
; codeLenInByte = 0
; TotalNumSgprs: 6
; NumVgprs: 0
; NumAgprs: 0
; TotalNumVgprs: 0
; ScratchSize: 0
; MemoryBound: 0
; FloatMode: 240
; IeeeMode: 1
; LDSByteSize: 0 bytes/workgroup (compile time only)
; SGPRBlocks: 0
; VGPRBlocks: 0
; NumSGPRsForWavesPerEU: 6
; NumVGPRsForWavesPerEU: 1
; AccumOffset: 4
; Occupancy: 8
; WaveLimiterHint : 0
; COMPUTE_PGM_RSRC2:SCRATCH_EN: 0
; COMPUTE_PGM_RSRC2:USER_SGPR: 2
; COMPUTE_PGM_RSRC2:TRAP_HANDLER: 0
; COMPUTE_PGM_RSRC2:TGID_X_EN: 1
; COMPUTE_PGM_RSRC2:TGID_Y_EN: 0
; COMPUTE_PGM_RSRC2:TGID_Z_EN: 0
; COMPUTE_PGM_RSRC2:TIDIG_COMP_CNT: 0
; COMPUTE_PGM_RSRC3_GFX90A:ACCUM_OFFSET: 0
; COMPUTE_PGM_RSRC3_GFX90A:TG_SPLIT: 0
	.section	.text._ZN7rocprim17ROCPRIM_400000_NS6detail17trampoline_kernelINS0_14default_configENS1_25partition_config_selectorILNS1_17partition_subalgoE8ElNS0_10empty_typeEbEEZZNS1_14partition_implILS5_8ELb0ES3_jPlPS6_PKS6_NS0_5tupleIJS9_S6_EEENSD_IJSA_SA_EEENS0_18inequality_wrapperIZN2at6native12_GLOBAL__N_124unique_dim_cuda_templateIaEESt5tupleIJNSH_6TensorESM_SM_EERKSM_lbbbEUlllE0_EEPmJS6_EEE10hipError_tPvRmT3_T4_T5_T6_T7_T9_mT8_P12ihipStream_tbDpT10_ENKUlT_T0_E_clISt17integral_constantIbLb0EES1C_EEDaS17_S18_EUlS17_E_NS1_11comp_targetILNS1_3genE0ELNS1_11target_archE4294967295ELNS1_3gpuE0ELNS1_3repE0EEENS1_30default_config_static_selectorELNS0_4arch9wavefront6targetE1EEEvT1_,"axG",@progbits,_ZN7rocprim17ROCPRIM_400000_NS6detail17trampoline_kernelINS0_14default_configENS1_25partition_config_selectorILNS1_17partition_subalgoE8ElNS0_10empty_typeEbEEZZNS1_14partition_implILS5_8ELb0ES3_jPlPS6_PKS6_NS0_5tupleIJS9_S6_EEENSD_IJSA_SA_EEENS0_18inequality_wrapperIZN2at6native12_GLOBAL__N_124unique_dim_cuda_templateIaEESt5tupleIJNSH_6TensorESM_SM_EERKSM_lbbbEUlllE0_EEPmJS6_EEE10hipError_tPvRmT3_T4_T5_T6_T7_T9_mT8_P12ihipStream_tbDpT10_ENKUlT_T0_E_clISt17integral_constantIbLb0EES1C_EEDaS17_S18_EUlS17_E_NS1_11comp_targetILNS1_3genE0ELNS1_11target_archE4294967295ELNS1_3gpuE0ELNS1_3repE0EEENS1_30default_config_static_selectorELNS0_4arch9wavefront6targetE1EEEvT1_,comdat
	.globl	_ZN7rocprim17ROCPRIM_400000_NS6detail17trampoline_kernelINS0_14default_configENS1_25partition_config_selectorILNS1_17partition_subalgoE8ElNS0_10empty_typeEbEEZZNS1_14partition_implILS5_8ELb0ES3_jPlPS6_PKS6_NS0_5tupleIJS9_S6_EEENSD_IJSA_SA_EEENS0_18inequality_wrapperIZN2at6native12_GLOBAL__N_124unique_dim_cuda_templateIaEESt5tupleIJNSH_6TensorESM_SM_EERKSM_lbbbEUlllE0_EEPmJS6_EEE10hipError_tPvRmT3_T4_T5_T6_T7_T9_mT8_P12ihipStream_tbDpT10_ENKUlT_T0_E_clISt17integral_constantIbLb0EES1C_EEDaS17_S18_EUlS17_E_NS1_11comp_targetILNS1_3genE0ELNS1_11target_archE4294967295ELNS1_3gpuE0ELNS1_3repE0EEENS1_30default_config_static_selectorELNS0_4arch9wavefront6targetE1EEEvT1_ ; -- Begin function _ZN7rocprim17ROCPRIM_400000_NS6detail17trampoline_kernelINS0_14default_configENS1_25partition_config_selectorILNS1_17partition_subalgoE8ElNS0_10empty_typeEbEEZZNS1_14partition_implILS5_8ELb0ES3_jPlPS6_PKS6_NS0_5tupleIJS9_S6_EEENSD_IJSA_SA_EEENS0_18inequality_wrapperIZN2at6native12_GLOBAL__N_124unique_dim_cuda_templateIaEESt5tupleIJNSH_6TensorESM_SM_EERKSM_lbbbEUlllE0_EEPmJS6_EEE10hipError_tPvRmT3_T4_T5_T6_T7_T9_mT8_P12ihipStream_tbDpT10_ENKUlT_T0_E_clISt17integral_constantIbLb0EES1C_EEDaS17_S18_EUlS17_E_NS1_11comp_targetILNS1_3genE0ELNS1_11target_archE4294967295ELNS1_3gpuE0ELNS1_3repE0EEENS1_30default_config_static_selectorELNS0_4arch9wavefront6targetE1EEEvT1_
	.p2align	8
	.type	_ZN7rocprim17ROCPRIM_400000_NS6detail17trampoline_kernelINS0_14default_configENS1_25partition_config_selectorILNS1_17partition_subalgoE8ElNS0_10empty_typeEbEEZZNS1_14partition_implILS5_8ELb0ES3_jPlPS6_PKS6_NS0_5tupleIJS9_S6_EEENSD_IJSA_SA_EEENS0_18inequality_wrapperIZN2at6native12_GLOBAL__N_124unique_dim_cuda_templateIaEESt5tupleIJNSH_6TensorESM_SM_EERKSM_lbbbEUlllE0_EEPmJS6_EEE10hipError_tPvRmT3_T4_T5_T6_T7_T9_mT8_P12ihipStream_tbDpT10_ENKUlT_T0_E_clISt17integral_constantIbLb0EES1C_EEDaS17_S18_EUlS17_E_NS1_11comp_targetILNS1_3genE0ELNS1_11target_archE4294967295ELNS1_3gpuE0ELNS1_3repE0EEENS1_30default_config_static_selectorELNS0_4arch9wavefront6targetE1EEEvT1_,@function
_ZN7rocprim17ROCPRIM_400000_NS6detail17trampoline_kernelINS0_14default_configENS1_25partition_config_selectorILNS1_17partition_subalgoE8ElNS0_10empty_typeEbEEZZNS1_14partition_implILS5_8ELb0ES3_jPlPS6_PKS6_NS0_5tupleIJS9_S6_EEENSD_IJSA_SA_EEENS0_18inequality_wrapperIZN2at6native12_GLOBAL__N_124unique_dim_cuda_templateIaEESt5tupleIJNSH_6TensorESM_SM_EERKSM_lbbbEUlllE0_EEPmJS6_EEE10hipError_tPvRmT3_T4_T5_T6_T7_T9_mT8_P12ihipStream_tbDpT10_ENKUlT_T0_E_clISt17integral_constantIbLb0EES1C_EEDaS17_S18_EUlS17_E_NS1_11comp_targetILNS1_3genE0ELNS1_11target_archE4294967295ELNS1_3gpuE0ELNS1_3repE0EEENS1_30default_config_static_selectorELNS0_4arch9wavefront6targetE1EEEvT1_: ; @_ZN7rocprim17ROCPRIM_400000_NS6detail17trampoline_kernelINS0_14default_configENS1_25partition_config_selectorILNS1_17partition_subalgoE8ElNS0_10empty_typeEbEEZZNS1_14partition_implILS5_8ELb0ES3_jPlPS6_PKS6_NS0_5tupleIJS9_S6_EEENSD_IJSA_SA_EEENS0_18inequality_wrapperIZN2at6native12_GLOBAL__N_124unique_dim_cuda_templateIaEESt5tupleIJNSH_6TensorESM_SM_EERKSM_lbbbEUlllE0_EEPmJS6_EEE10hipError_tPvRmT3_T4_T5_T6_T7_T9_mT8_P12ihipStream_tbDpT10_ENKUlT_T0_E_clISt17integral_constantIbLb0EES1C_EEDaS17_S18_EUlS17_E_NS1_11comp_targetILNS1_3genE0ELNS1_11target_archE4294967295ELNS1_3gpuE0ELNS1_3repE0EEENS1_30default_config_static_selectorELNS0_4arch9wavefront6targetE1EEEvT1_
; %bb.0:
	s_load_dwordx4 s[4:7], s[0:1], 0x8
	s_load_dwordx8 s[24:31], s[0:1], 0x40
	s_load_dwordx4 s[20:23], s[0:1], 0x60
	s_load_dword s3, s[0:1], 0x70
	v_lshlrev_b32_e32 v18, 3, v0
	s_waitcnt lgkmcnt(0)
	s_lshl_b64 s[8:9], s[6:7], 3
	s_add_u32 s12, s4, s8
	s_addc_u32 s13, s5, s9
	s_mul_i32 s8, s3, 0xe00
	s_add_i32 s10, s3, -1
	s_add_i32 s3, s8, s6
	s_sub_i32 s3, s28, s3
	s_add_u32 s8, s6, s8
	s_addc_u32 s9, s7, 0
	v_mov_b64_e32 v[2:3], s[8:9]
	s_cmp_eq_u32 s2, s10
	s_load_dwordx2 s[26:27], s[26:27], 0x0
	v_cmp_le_u64_e32 vcc, s[28:29], v[2:3]
	s_cselect_b64 s[28:29], -1, 0
	s_mul_i32 s4, s2, 0xe00
	s_mov_b32 s5, 0
	s_and_b64 s[8:9], s[28:29], vcc
	s_xor_b64 s[34:35], s[8:9], -1
	s_lshl_b64 s[4:5], s[4:5], 3
	s_add_u32 s4, s12, s4
	s_mov_b64 s[10:11], -1
	s_addc_u32 s5, s13, s5
	s_and_b64 vcc, exec, s[34:35]
	s_cbranch_vccz .LBB319_2
; %bb.1:
	v_lshlrev_b32_e32 v2, 3, v0
	v_mov_b32_e32 v3, 0
	v_lshl_add_u64 v[4:5], s[4:5], 0, v[2:3]
	v_add_co_u32_e32 v8, vcc, 0x1000, v4
	global_load_dwordx2 v[6:7], v2, s[4:5]
	s_nop 0
	v_addc_co_u32_e32 v9, vcc, 0, v5, vcc
	v_add_co_u32_e32 v10, vcc, 0x2000, v4
	s_mov_b64 s[10:11], 0
	s_nop 0
	v_addc_co_u32_e32 v11, vcc, 0, v5, vcc
	v_add_co_u32_e32 v12, vcc, 0x3000, v4
	s_nop 1
	v_addc_co_u32_e32 v13, vcc, 0, v5, vcc
	v_add_co_u32_e32 v14, vcc, 0x4000, v4
	s_nop 1
	v_addc_co_u32_e32 v15, vcc, 0, v5, vcc
	global_load_dwordx2 v[16:17], v[8:9], off
	global_load_dwordx2 v[20:21], v[10:11], off
	;; [unrolled: 1-line block ×4, first 2 shown]
	v_add_co_u32_e32 v8, vcc, 0x5000, v4
	s_nop 1
	v_addc_co_u32_e32 v9, vcc, 0, v5, vcc
	v_add_co_u32_e32 v4, vcc, 0x6000, v4
	s_nop 1
	v_addc_co_u32_e32 v5, vcc, 0, v5, vcc
	global_load_dwordx2 v[10:11], v[8:9], off
	global_load_dwordx2 v[12:13], v[4:5], off
	s_waitcnt vmcnt(5)
	ds_write2st64_b64 v2, v[6:7], v[16:17] offset1:8
	s_waitcnt vmcnt(3)
	ds_write2st64_b64 v2, v[20:21], v[22:23] offset0:16 offset1:24
	s_waitcnt vmcnt(1)
	ds_write2st64_b64 v2, v[24:25], v[10:11] offset0:32 offset1:40
	s_waitcnt vmcnt(0)
	ds_write_b64 v2, v[12:13] offset:24576
	s_waitcnt lgkmcnt(0)
	s_barrier
.LBB319_2:
	s_andn2_b64 vcc, exec, s[10:11]
	s_addk_i32 s3, 0xe00
	s_cbranch_vccnz .LBB319_18
; %bb.3:
	v_mov_b32_e32 v2, 0
	v_cmp_gt_u32_e32 vcc, s3, v0
	v_mov_b32_e32 v3, v2
	v_mov_b32_e32 v4, v2
	;; [unrolled: 1-line block ×13, first 2 shown]
	s_and_saveexec_b64 s[10:11], vcc
	s_cbranch_execz .LBB319_5
; %bb.4:
	v_lshlrev_b32_e32 v1, 3, v0
	global_load_dwordx2 v[4:5], v1, s[4:5]
	v_mov_b32_e32 v6, v2
	v_mov_b32_e32 v7, v2
	;; [unrolled: 1-line block ×12, first 2 shown]
	s_waitcnt vmcnt(0)
	v_mov_b64_e32 v[2:3], v[4:5]
	v_mov_b64_e32 v[4:5], v[6:7]
	;; [unrolled: 1-line block ×8, first 2 shown]
.LBB319_5:
	s_or_b64 exec, exec, s[10:11]
	v_or_b32_e32 v1, 0x200, v0
	v_cmp_gt_u32_e32 vcc, s3, v1
	s_and_saveexec_b64 s[10:11], vcc
	s_cbranch_execz .LBB319_7
; %bb.6:
	v_lshlrev_b32_e32 v1, 3, v1
	global_load_dwordx2 v[4:5], v1, s[4:5]
.LBB319_7:
	s_or_b64 exec, exec, s[10:11]
	v_or_b32_e32 v1, 0x400, v0
	v_cmp_gt_u32_e32 vcc, s3, v1
	s_and_saveexec_b64 s[10:11], vcc
	s_cbranch_execz .LBB319_9
; %bb.8:
	v_lshlrev_b32_e32 v1, 3, v1
	global_load_dwordx2 v[6:7], v1, s[4:5]
.LBB319_9:
	;; [unrolled: 9-line block ×6, first 2 shown]
	s_or_b64 exec, exec, s[10:11]
	v_lshlrev_b32_e32 v1, 3, v0
	s_waitcnt vmcnt(0)
	ds_write2st64_b64 v1, v[2:3], v[4:5] offset1:8
	ds_write2st64_b64 v1, v[6:7], v[8:9] offset0:16 offset1:24
	ds_write2st64_b64 v1, v[10:11], v[12:13] offset0:32 offset1:40
	ds_write_b64 v1, v[14:15] offset:24576
	s_waitcnt lgkmcnt(0)
	s_barrier
.LBB319_18:
	v_mul_u32_u24_e32 v1, 7, v0
	v_lshlrev_b32_e32 v24, 3, v1
	s_waitcnt lgkmcnt(0)
	ds_read2_b64 v[10:13], v24 offset1:1
	ds_read2_b64 v[6:9], v24 offset0:2 offset1:3
	ds_read2_b64 v[2:5], v24 offset0:4 offset1:5
	ds_read_b64 v[14:15], v24 offset:48
	s_cmp_lg_u32 s2, 0
	s_cselect_b64 s[16:17], -1, 0
	s_cmp_lg_u64 s[6:7], 0
	s_cselect_b64 s[6:7], -1, 0
	s_or_b64 s[6:7], s[16:17], s[6:7]
	s_mov_b64 s[10:11], 0
	s_and_b64 vcc, exec, s[6:7]
	v_cmp_gt_i64_e64 s[12:13], s[30:31], 0
	s_waitcnt lgkmcnt(0)
	s_barrier
	s_cbranch_vccz .LBB319_34
; %bb.19:
	s_add_u32 s4, s4, -8
	s_addc_u32 s5, s5, -1
	s_load_dwordx2 s[10:11], s[4:5], 0x0
	v_cndmask_b32_e64 v16, 0, 1, s[12:13]
	v_lshlrev_b32_e32 v25, 3, v0
	s_mov_b64 s[6:7], 0
	s_and_b64 vcc, exec, s[34:35]
	v_cmp_ne_u32_e64 s[4:5], 1, v16
	ds_write_b64 v25, v[14:15]
	s_cbranch_vccz .LBB319_36
; %bb.20:
	s_and_b64 vcc, exec, s[4:5]
	s_cbranch_vccnz .LBB319_37
; %bb.21:
	v_mov_b64_e32 v[20:21], s[20:21]
	v_mad_u64_u32 v[16:17], s[6:7], v4, s30, v[20:21]
	v_mul_lo_u32 v19, v4, s31
	v_mul_lo_u32 v22, v5, s30
	s_add_u32 s14, s30, -1
	v_add3_u32 v17, v22, v17, v19
	v_mad_u64_u32 v[20:21], s[6:7], v14, s30, v[20:21]
	v_mul_lo_u32 v19, v14, s31
	v_mul_lo_u32 v22, v15, s30
	s_addc_u32 s15, s31, -1
	v_add3_u32 v21, v22, v21, v19
	s_mov_b64 s[18:19], 0
	s_mov_b64 s[36:37], s[14:15]
	v_mov_b64_e32 v[22:23], v[16:17]
                                        ; implicit-def: $sgpr12_sgpr13
.LBB319_22:                             ; =>This Inner Loop Header: Depth=1
	global_load_ubyte v19, v[22:23], off
	global_load_ubyte v26, v[20:21], off
	s_add_u32 s6, s36, -1
	s_addc_u32 s7, s37, -1
	s_cmp_eq_u64 s[36:37], 0
	s_mov_b64 s[36:37], s[6:7]
	s_cselect_b64 s[38:39], -1, 0
	v_lshl_add_u64 v[22:23], v[22:23], 0, 1
	v_lshl_add_u64 v[20:21], v[20:21], 0, 1
	s_waitcnt vmcnt(0)
	v_cmp_ne_u16_e64 s[6:7], v19, v26
	s_or_b64 s[6:7], s[6:7], s[38:39]
	s_and_b64 s[6:7], exec, s[6:7]
	v_cmp_eq_u16_e32 vcc, v19, v26
	s_or_b64 s[18:19], s[6:7], s[18:19]
	s_andn2_b64 s[6:7], s[12:13], exec
	s_and_b64 s[12:13], vcc, exec
	s_or_b64 s[12:13], s[6:7], s[12:13]
	s_andn2_b64 exec, exec, s[18:19]
	s_cbranch_execnz .LBB319_22
; %bb.23:
	s_or_b64 exec, exec, s[18:19]
	v_mov_b64_e32 v[20:21], s[20:21]
	v_mad_u64_u32 v[20:21], s[6:7], v2, s30, v[20:21]
	v_mul_lo_u32 v19, v2, s31
	v_mul_lo_u32 v22, v3, s30
	v_add3_u32 v21, v22, v21, v19
	s_mov_b64 s[36:37], 0
	s_mov_b64 s[38:39], s[14:15]
	v_mov_b64_e32 v[22:23], v[20:21]
                                        ; implicit-def: $sgpr18_sgpr19
.LBB319_24:                             ; =>This Inner Loop Header: Depth=1
	global_load_ubyte v19, v[22:23], off
	global_load_ubyte v26, v[16:17], off
	s_add_u32 s6, s38, -1
	s_addc_u32 s7, s39, -1
	s_cmp_eq_u64 s[38:39], 0
	s_mov_b64 s[38:39], s[6:7]
	s_cselect_b64 s[40:41], -1, 0
	v_lshl_add_u64 v[22:23], v[22:23], 0, 1
	v_lshl_add_u64 v[16:17], v[16:17], 0, 1
	s_waitcnt vmcnt(0)
	v_cmp_ne_u16_e64 s[6:7], v19, v26
	s_or_b64 s[6:7], s[6:7], s[40:41]
	s_and_b64 s[6:7], exec, s[6:7]
	v_cmp_eq_u16_e32 vcc, v19, v26
	s_or_b64 s[36:37], s[6:7], s[36:37]
	s_andn2_b64 s[6:7], s[18:19], exec
	s_and_b64 s[18:19], vcc, exec
	s_or_b64 s[18:19], s[6:7], s[18:19]
	s_andn2_b64 exec, exec, s[36:37]
	s_cbranch_execnz .LBB319_24
; %bb.25:
	s_or_b64 exec, exec, s[36:37]
	v_mov_b64_e32 v[16:17], s[20:21]
	v_mad_u64_u32 v[16:17], s[6:7], v8, s30, v[16:17]
	v_mul_lo_u32 v19, v8, s31
	v_mul_lo_u32 v22, v9, s30
	v_add3_u32 v17, v22, v17, v19
	s_mov_b64 s[38:39], 0
	s_mov_b64 s[40:41], s[14:15]
	v_mov_b64_e32 v[22:23], v[16:17]
                                        ; implicit-def: $sgpr36_sgpr37
.LBB319_26:                             ; =>This Inner Loop Header: Depth=1
	global_load_ubyte v19, v[22:23], off
	global_load_ubyte v26, v[20:21], off
	s_add_u32 s6, s40, -1
	s_addc_u32 s7, s41, -1
	s_cmp_eq_u64 s[40:41], 0
	s_mov_b64 s[40:41], s[6:7]
	s_cselect_b64 s[42:43], -1, 0
	v_lshl_add_u64 v[22:23], v[22:23], 0, 1
	v_lshl_add_u64 v[20:21], v[20:21], 0, 1
	s_waitcnt vmcnt(0)
	v_cmp_ne_u16_e64 s[6:7], v19, v26
	s_or_b64 s[6:7], s[6:7], s[42:43]
	s_and_b64 s[6:7], exec, s[6:7]
	v_cmp_eq_u16_e32 vcc, v19, v26
	s_or_b64 s[38:39], s[6:7], s[38:39]
	s_andn2_b64 s[6:7], s[36:37], exec
	s_and_b64 s[36:37], vcc, exec
	s_or_b64 s[36:37], s[6:7], s[36:37]
	s_andn2_b64 exec, exec, s[38:39]
	s_cbranch_execnz .LBB319_26
; %bb.27:
	s_or_b64 exec, exec, s[38:39]
	v_mov_b64_e32 v[20:21], s[20:21]
	v_mad_u64_u32 v[20:21], s[6:7], v6, s30, v[20:21]
	v_mul_lo_u32 v19, v6, s31
	v_mul_lo_u32 v22, v7, s30
	v_add3_u32 v21, v22, v21, v19
	s_mov_b64 s[40:41], 0
	s_mov_b64 s[42:43], s[14:15]
	v_mov_b64_e32 v[22:23], v[20:21]
                                        ; implicit-def: $sgpr38_sgpr39
.LBB319_28:                             ; =>This Inner Loop Header: Depth=1
	global_load_ubyte v19, v[22:23], off
	global_load_ubyte v26, v[16:17], off
	s_add_u32 s6, s42, -1
	s_addc_u32 s7, s43, -1
	s_cmp_eq_u64 s[42:43], 0
	s_mov_b64 s[42:43], s[6:7]
	s_cselect_b64 s[44:45], -1, 0
	v_lshl_add_u64 v[22:23], v[22:23], 0, 1
	v_lshl_add_u64 v[16:17], v[16:17], 0, 1
	s_waitcnt vmcnt(0)
	v_cmp_ne_u16_e64 s[6:7], v19, v26
	s_or_b64 s[6:7], s[6:7], s[44:45]
	s_and_b64 s[6:7], exec, s[6:7]
	v_cmp_eq_u16_e32 vcc, v19, v26
	s_or_b64 s[40:41], s[6:7], s[40:41]
	s_andn2_b64 s[6:7], s[38:39], exec
	s_and_b64 s[38:39], vcc, exec
	s_or_b64 s[38:39], s[6:7], s[38:39]
	s_andn2_b64 exec, exec, s[40:41]
	s_cbranch_execnz .LBB319_28
; %bb.29:
	s_or_b64 exec, exec, s[40:41]
	v_mov_b64_e32 v[16:17], s[20:21]
	v_mad_u64_u32 v[16:17], s[6:7], v12, s30, v[16:17]
	v_mul_lo_u32 v19, v12, s31
	v_mul_lo_u32 v22, v13, s30
	v_add3_u32 v17, v22, v17, v19
	s_mov_b64 s[42:43], 0
	s_mov_b64 s[44:45], s[14:15]
	v_mov_b64_e32 v[22:23], v[16:17]
                                        ; implicit-def: $sgpr40_sgpr41
.LBB319_30:                             ; =>This Inner Loop Header: Depth=1
	global_load_ubyte v19, v[22:23], off
	global_load_ubyte v26, v[20:21], off
	s_add_u32 s6, s44, -1
	s_addc_u32 s7, s45, -1
	s_cmp_eq_u64 s[44:45], 0
	s_mov_b64 s[44:45], s[6:7]
	s_cselect_b64 s[46:47], -1, 0
	v_lshl_add_u64 v[22:23], v[22:23], 0, 1
	v_lshl_add_u64 v[20:21], v[20:21], 0, 1
	s_waitcnt vmcnt(0)
	v_cmp_ne_u16_e64 s[6:7], v19, v26
	s_or_b64 s[6:7], s[6:7], s[46:47]
	s_and_b64 s[6:7], exec, s[6:7]
	v_cmp_eq_u16_e32 vcc, v19, v26
	s_or_b64 s[42:43], s[6:7], s[42:43]
	s_andn2_b64 s[6:7], s[40:41], exec
	s_and_b64 s[40:41], vcc, exec
	s_or_b64 s[40:41], s[6:7], s[40:41]
	s_andn2_b64 exec, exec, s[42:43]
	s_cbranch_execnz .LBB319_30
; %bb.31:
	s_or_b64 exec, exec, s[42:43]
	v_mov_b64_e32 v[20:21], s[20:21]
	v_mad_u64_u32 v[20:21], s[6:7], v10, s30, v[20:21]
	v_mul_lo_u32 v19, v10, s31
	v_mul_lo_u32 v22, v11, s30
	v_add3_u32 v21, v22, v21, v19
	s_mov_b64 s[44:45], 0
                                        ; implicit-def: $sgpr42_sgpr43
.LBB319_32:                             ; =>This Inner Loop Header: Depth=1
	global_load_ubyte v19, v[20:21], off
	global_load_ubyte v22, v[16:17], off
	s_add_u32 s6, s14, -1
	s_addc_u32 s7, s15, -1
	s_cmp_eq_u64 s[14:15], 0
	s_mov_b64 s[14:15], s[6:7]
	s_cselect_b64 s[46:47], -1, 0
	v_lshl_add_u64 v[20:21], v[20:21], 0, 1
	v_lshl_add_u64 v[16:17], v[16:17], 0, 1
	s_waitcnt vmcnt(0)
	v_cmp_ne_u16_e64 s[6:7], v19, v22
	s_or_b64 s[6:7], s[6:7], s[46:47]
	s_and_b64 s[6:7], exec, s[6:7]
	v_cmp_eq_u16_e32 vcc, v19, v22
	s_or_b64 s[44:45], s[6:7], s[44:45]
	s_andn2_b64 s[6:7], s[42:43], exec
	s_and_b64 s[42:43], vcc, exec
	s_or_b64 s[42:43], s[6:7], s[42:43]
	s_andn2_b64 exec, exec, s[44:45]
	s_cbranch_execnz .LBB319_32
; %bb.33:
	s_or_b64 exec, exec, s[44:45]
	s_xor_b64 s[6:7], s[18:19], -1
	v_cndmask_b32_e64 v40, 0, 1, s[6:7]
	s_xor_b64 s[6:7], s[38:39], -1
	v_cndmask_b32_e64 v16, 0, 1, s[6:7]
	v_lshlrev_b16_e32 v16, 8, v16
	s_xor_b64 s[6:7], s[12:13], -1
	v_lshrrev_b32_e32 v16, 8, v16
	v_mov_b32_e32 v20, 1
	s_xor_b64 s[12:13], s[40:41], -1
	v_cndmask_b32_e64 v19, 0, 1, s[6:7]
	s_xor_b64 s[6:7], s[36:37], -1
	v_and_b32_sdwa v16, v16, v20 dst_sel:BYTE_1 dst_unused:UNUSED_PAD src0_sel:DWORD src1_sel:DWORD
	v_cndmask_b32_e64 v20, 0, 1, s[12:13]
	v_cndmask_b32_e64 v17, 0, 1, s[6:7]
	s_xor_b64 s[6:7], s[42:43], -1
	v_or_b32_sdwa v20, v20, v16 dst_sel:WORD_1 dst_unused:UNUSED_PAD src0_sel:DWORD src1_sel:DWORD
	s_branch .LBB319_38
.LBB319_34:
                                        ; implicit-def: $sgpr6_sgpr7
                                        ; implicit-def: $vgpr19
                                        ; implicit-def: $vgpr40
                                        ; implicit-def: $vgpr17
                                        ; implicit-def: $vgpr21
	s_branch .LBB319_91
.LBB319_35:
                                        ; implicit-def: $vgpr42
                                        ; implicit-def: $vgpr41
                                        ; implicit-def: $vgpr20
	s_branch .LBB319_160
.LBB319_36:
                                        ; implicit-def: $sgpr6_sgpr7
                                        ; implicit-def: $vgpr19
                                        ; implicit-def: $vgpr40
                                        ; implicit-def: $vgpr17
                                        ; implicit-def: $vgpr21
	s_cbranch_execnz .LBB319_45
	s_branch .LBB319_90
.LBB319_37:
	v_mov_b32_e32 v20, 0
	v_mov_b32_e32 v19, 0
	;; [unrolled: 1-line block ×4, first 2 shown]
.LBB319_38:
	v_cmp_ne_u32_e32 vcc, 0, v0
	s_waitcnt lgkmcnt(0)
	v_mov_b64_e32 v[22:23], s[10:11]
	s_barrier
	s_and_saveexec_b64 s[12:13], vcc
; %bb.39:
	v_add_u32_e32 v16, -8, v25
	ds_read_b64 v[22:23], v16
; %bb.40:
	s_or_b64 exec, exec, s[12:13]
	v_cndmask_b32_e64 v21, 0, 1, s[6:7]
	v_lshrrev_b32_e32 v16, 16, v20
	s_mov_b32 s6, 0xc0c0304
	v_perm_b32 v16, v16, v20, s6
	v_lshlrev_b16_e32 v21, 8, v21
	s_movk_i32 s6, 0xff
	v_bitop3_b16 v20, v20, v21, s6 bitop3:0xec
	v_and_b32_e32 v26, 0xffff, v20
	s_mov_b64 s[12:13], 0
	s_and_b64 vcc, exec, s[4:5]
	s_mov_b64 s[6:7], 0
	s_cbranch_vccnz .LBB319_44
; %bb.41:
	v_mov_b64_e32 v[28:29], s[20:21]
	s_waitcnt lgkmcnt(0)
	v_mad_u64_u32 v[20:21], s[6:7], v22, s30, v[28:29]
	v_mul_lo_u32 v22, v22, s31
	v_mul_lo_u32 v23, v23, s30
	v_add3_u32 v21, v23, v21, v22
	v_mad_u64_u32 v[22:23], s[6:7], v10, s30, v[28:29]
	v_mul_lo_u32 v27, v10, s31
	v_mul_lo_u32 v28, v11, s30
	s_add_u32 s36, s30, -1
	v_add3_u32 v23, v28, v23, v27
	s_addc_u32 s37, s31, -1
	s_mov_b64 s[14:15], 0
                                        ; implicit-def: $sgpr18_sgpr19
.LBB319_42:                             ; =>This Inner Loop Header: Depth=1
	global_load_ubyte v27, v[20:21], off
	global_load_ubyte v28, v[22:23], off
	s_add_u32 s6, s36, -1
	s_addc_u32 s7, s37, -1
	s_cmp_eq_u64 s[36:37], 0
	s_mov_b64 s[36:37], s[6:7]
	s_cselect_b64 s[38:39], -1, 0
	v_lshl_add_u64 v[20:21], v[20:21], 0, 1
	v_lshl_add_u64 v[22:23], v[22:23], 0, 1
	s_waitcnt vmcnt(0)
	v_cmp_ne_u16_e64 s[6:7], v27, v28
	s_or_b64 s[6:7], s[6:7], s[38:39]
	s_and_b64 s[6:7], exec, s[6:7]
	v_cmp_eq_u16_e32 vcc, v27, v28
	s_or_b64 s[14:15], s[6:7], s[14:15]
	s_andn2_b64 s[6:7], s[18:19], exec
	s_and_b64 s[18:19], vcc, exec
	s_or_b64 s[18:19], s[6:7], s[18:19]
	s_andn2_b64 exec, exec, s[14:15]
	s_cbranch_execnz .LBB319_42
; %bb.43:
	s_or_b64 exec, exec, s[14:15]
	s_xor_b64 s[6:7], s[18:19], -1
.LBB319_44:
	v_lshl_or_b32 v21, v16, 16, v26
	s_and_b64 vcc, exec, s[12:13]
	s_cbranch_vccz .LBB319_90
.LBB319_45:
	v_add_u32_e32 v16, 6, v1
	v_cmp_gt_u32_e32 vcc, s3, v16
	s_mov_b64 s[14:15], 0
	s_mov_b64 s[12:13], 0
	s_and_saveexec_b64 s[18:19], vcc
	s_cbranch_execz .LBB319_51
; %bb.46:
	s_and_b64 vcc, exec, s[4:5]
	s_mov_b64 s[6:7], 0
	s_cbranch_vccnz .LBB319_50
; %bb.47:
	v_mov_b64_e32 v[20:21], s[20:21]
	v_mad_u64_u32 v[16:17], s[6:7], v4, s30, v[20:21]
	v_mul_lo_u32 v19, v4, s31
	s_waitcnt lgkmcnt(0)
	v_mul_lo_u32 v22, v5, s30
	v_add3_u32 v17, v22, v17, v19
	v_mad_u64_u32 v[20:21], s[6:7], v14, s30, v[20:21]
	v_mul_lo_u32 v19, v14, s31
	v_mul_lo_u32 v22, v15, s30
	s_add_u32 s38, s30, -1
	v_add3_u32 v21, v22, v21, v19
	s_addc_u32 s39, s31, -1
                                        ; implicit-def: $sgpr36_sgpr37
.LBB319_48:                             ; =>This Inner Loop Header: Depth=1
	global_load_ubyte v19, v[16:17], off
	global_load_ubyte v22, v[20:21], off
	s_add_u32 s6, s38, -1
	s_addc_u32 s7, s39, -1
	s_cmp_eq_u64 s[38:39], 0
	s_mov_b64 s[38:39], s[6:7]
	s_cselect_b64 s[40:41], -1, 0
	v_lshl_add_u64 v[16:17], v[16:17], 0, 1
	v_lshl_add_u64 v[20:21], v[20:21], 0, 1
	s_waitcnt vmcnt(0)
	v_cmp_ne_u16_e64 s[6:7], v19, v22
	s_or_b64 s[6:7], s[6:7], s[40:41]
	s_and_b64 s[6:7], exec, s[6:7]
	v_cmp_eq_u16_e32 vcc, v19, v22
	s_or_b64 s[12:13], s[6:7], s[12:13]
	s_andn2_b64 s[6:7], s[36:37], exec
	s_and_b64 s[36:37], vcc, exec
	s_or_b64 s[36:37], s[6:7], s[36:37]
	s_andn2_b64 exec, exec, s[12:13]
	s_cbranch_execnz .LBB319_48
; %bb.49:
	s_or_b64 exec, exec, s[12:13]
	s_xor_b64 s[6:7], s[36:37], -1
.LBB319_50:
	s_and_b64 s[12:13], s[6:7], exec
.LBB319_51:
	s_or_b64 exec, exec, s[18:19]
	v_add_u32_e32 v16, 5, v1
	v_cmp_gt_u32_e32 vcc, s3, v16
	s_and_saveexec_b64 s[18:19], vcc
	s_cbranch_execz .LBB319_57
; %bb.52:
	s_and_b64 vcc, exec, s[4:5]
	s_mov_b64 s[6:7], 0
	s_cbranch_vccnz .LBB319_56
; %bb.53:
	v_mov_b64_e32 v[20:21], s[20:21]
	v_mad_u64_u32 v[16:17], s[6:7], v2, s30, v[20:21]
	v_mul_lo_u32 v19, v2, s31
	s_waitcnt lgkmcnt(0)
	v_mul_lo_u32 v22, v3, s30
	v_add3_u32 v17, v22, v17, v19
	v_mad_u64_u32 v[20:21], s[6:7], v4, s30, v[20:21]
	v_mul_lo_u32 v19, v4, s31
	v_mul_lo_u32 v22, v5, s30
	s_add_u32 s38, s30, -1
	v_add3_u32 v21, v22, v21, v19
	s_addc_u32 s39, s31, -1
	s_mov_b64 s[14:15], 0
                                        ; implicit-def: $sgpr36_sgpr37
.LBB319_54:                             ; =>This Inner Loop Header: Depth=1
	global_load_ubyte v19, v[16:17], off
	global_load_ubyte v22, v[20:21], off
	s_add_u32 s6, s38, -1
	s_addc_u32 s7, s39, -1
	s_cmp_eq_u64 s[38:39], 0
	s_mov_b64 s[38:39], s[6:7]
	s_cselect_b64 s[40:41], -1, 0
	v_lshl_add_u64 v[16:17], v[16:17], 0, 1
	v_lshl_add_u64 v[20:21], v[20:21], 0, 1
	s_waitcnt vmcnt(0)
	v_cmp_ne_u16_e64 s[6:7], v19, v22
	s_or_b64 s[6:7], s[6:7], s[40:41]
	s_and_b64 s[6:7], exec, s[6:7]
	v_cmp_eq_u16_e32 vcc, v19, v22
	s_or_b64 s[14:15], s[6:7], s[14:15]
	s_andn2_b64 s[6:7], s[36:37], exec
	s_and_b64 s[36:37], vcc, exec
	s_or_b64 s[36:37], s[6:7], s[36:37]
	s_andn2_b64 exec, exec, s[14:15]
	s_cbranch_execnz .LBB319_54
; %bb.55:
	s_or_b64 exec, exec, s[14:15]
	s_xor_b64 s[6:7], s[36:37], -1
.LBB319_56:
	s_and_b64 s[14:15], s[6:7], exec
.LBB319_57:
	s_or_b64 exec, exec, s[18:19]
	v_add_u32_e32 v16, 4, v1
	v_cmp_gt_u32_e32 vcc, s3, v16
	s_mov_b64 s[36:37], 0
	s_mov_b64 s[18:19], 0
	s_and_saveexec_b64 s[38:39], vcc
	s_cbranch_execz .LBB319_63
; %bb.58:
	s_and_b64 vcc, exec, s[4:5]
	s_mov_b64 s[6:7], 0
	s_cbranch_vccnz .LBB319_62
; %bb.59:
	v_mov_b64_e32 v[20:21], s[20:21]
	v_mad_u64_u32 v[16:17], s[6:7], v8, s30, v[20:21]
	v_mul_lo_u32 v19, v8, s31
	s_waitcnt lgkmcnt(0)
	v_mul_lo_u32 v22, v9, s30
	v_add3_u32 v17, v22, v17, v19
	v_mad_u64_u32 v[20:21], s[6:7], v2, s30, v[20:21]
	v_mul_lo_u32 v19, v2, s31
	v_mul_lo_u32 v22, v3, s30
	s_add_u32 s42, s30, -1
	v_add3_u32 v21, v22, v21, v19
	s_addc_u32 s43, s31, -1
                                        ; implicit-def: $sgpr40_sgpr41
.LBB319_60:                             ; =>This Inner Loop Header: Depth=1
	global_load_ubyte v19, v[16:17], off
	global_load_ubyte v22, v[20:21], off
	s_add_u32 s6, s42, -1
	s_addc_u32 s7, s43, -1
	s_cmp_eq_u64 s[42:43], 0
	s_mov_b64 s[42:43], s[6:7]
	s_cselect_b64 s[44:45], -1, 0
	v_lshl_add_u64 v[16:17], v[16:17], 0, 1
	v_lshl_add_u64 v[20:21], v[20:21], 0, 1
	s_waitcnt vmcnt(0)
	v_cmp_ne_u16_e64 s[6:7], v19, v22
	s_or_b64 s[6:7], s[6:7], s[44:45]
	s_and_b64 s[6:7], exec, s[6:7]
	v_cmp_eq_u16_e32 vcc, v19, v22
	s_or_b64 s[18:19], s[6:7], s[18:19]
	s_andn2_b64 s[6:7], s[40:41], exec
	s_and_b64 s[40:41], vcc, exec
	s_or_b64 s[40:41], s[6:7], s[40:41]
	s_andn2_b64 exec, exec, s[18:19]
	s_cbranch_execnz .LBB319_60
; %bb.61:
	s_or_b64 exec, exec, s[18:19]
	s_xor_b64 s[6:7], s[40:41], -1
.LBB319_62:
	s_and_b64 s[18:19], s[6:7], exec
.LBB319_63:
	s_or_b64 exec, exec, s[38:39]
	v_add_u32_e32 v16, 3, v1
	v_cmp_gt_u32_e32 vcc, s3, v16
	s_and_saveexec_b64 s[38:39], vcc
	s_cbranch_execz .LBB319_69
; %bb.64:
	s_and_b64 vcc, exec, s[4:5]
	s_mov_b64 s[6:7], 0
	s_cbranch_vccnz .LBB319_68
; %bb.65:
	v_mov_b64_e32 v[20:21], s[20:21]
	v_mad_u64_u32 v[16:17], s[6:7], v6, s30, v[20:21]
	v_mul_lo_u32 v19, v6, s31
	s_waitcnt lgkmcnt(0)
	v_mul_lo_u32 v22, v7, s30
	v_add3_u32 v17, v22, v17, v19
	v_mad_u64_u32 v[20:21], s[6:7], v8, s30, v[20:21]
	v_mul_lo_u32 v19, v8, s31
	v_mul_lo_u32 v22, v9, s30
	s_add_u32 s42, s30, -1
	v_add3_u32 v21, v22, v21, v19
	s_addc_u32 s43, s31, -1
	s_mov_b64 s[36:37], 0
                                        ; implicit-def: $sgpr40_sgpr41
.LBB319_66:                             ; =>This Inner Loop Header: Depth=1
	global_load_ubyte v19, v[16:17], off
	global_load_ubyte v22, v[20:21], off
	s_add_u32 s6, s42, -1
	s_addc_u32 s7, s43, -1
	s_cmp_eq_u64 s[42:43], 0
	s_mov_b64 s[42:43], s[6:7]
	s_cselect_b64 s[44:45], -1, 0
	v_lshl_add_u64 v[16:17], v[16:17], 0, 1
	v_lshl_add_u64 v[20:21], v[20:21], 0, 1
	s_waitcnt vmcnt(0)
	v_cmp_ne_u16_e64 s[6:7], v19, v22
	s_or_b64 s[6:7], s[6:7], s[44:45]
	s_and_b64 s[6:7], exec, s[6:7]
	v_cmp_eq_u16_e32 vcc, v19, v22
	s_or_b64 s[36:37], s[6:7], s[36:37]
	s_andn2_b64 s[6:7], s[40:41], exec
	s_and_b64 s[40:41], vcc, exec
	s_or_b64 s[40:41], s[6:7], s[40:41]
	s_andn2_b64 exec, exec, s[36:37]
	s_cbranch_execnz .LBB319_66
; %bb.67:
	s_or_b64 exec, exec, s[36:37]
	s_xor_b64 s[6:7], s[40:41], -1
.LBB319_68:
	s_and_b64 s[36:37], s[6:7], exec
.LBB319_69:
	s_or_b64 exec, exec, s[38:39]
	v_add_u32_e32 v16, 2, v1
	v_cmp_gt_u32_e32 vcc, s3, v16
	s_mov_b64 s[38:39], 0
	s_mov_b64 s[40:41], 0
	s_and_saveexec_b64 s[42:43], vcc
	s_cbranch_execz .LBB319_75
; %bb.70:
	s_and_b64 vcc, exec, s[4:5]
	s_mov_b64 s[6:7], 0
	s_cbranch_vccnz .LBB319_74
; %bb.71:
	v_mov_b64_e32 v[20:21], s[20:21]
	v_mad_u64_u32 v[16:17], s[6:7], v12, s30, v[20:21]
	v_mul_lo_u32 v19, v12, s31
	s_waitcnt lgkmcnt(0)
	v_mul_lo_u32 v22, v13, s30
	v_add3_u32 v17, v22, v17, v19
	v_mad_u64_u32 v[20:21], s[6:7], v6, s30, v[20:21]
	v_mul_lo_u32 v19, v6, s31
	v_mul_lo_u32 v22, v7, s30
	s_add_u32 s46, s30, -1
	v_add3_u32 v21, v22, v21, v19
	s_addc_u32 s47, s31, -1
                                        ; implicit-def: $sgpr44_sgpr45
.LBB319_72:                             ; =>This Inner Loop Header: Depth=1
	global_load_ubyte v19, v[16:17], off
	global_load_ubyte v22, v[20:21], off
	s_add_u32 s6, s46, -1
	s_addc_u32 s7, s47, -1
	s_cmp_eq_u64 s[46:47], 0
	s_mov_b64 s[46:47], s[6:7]
	s_cselect_b64 s[48:49], -1, 0
	v_lshl_add_u64 v[16:17], v[16:17], 0, 1
	v_lshl_add_u64 v[20:21], v[20:21], 0, 1
	s_waitcnt vmcnt(0)
	v_cmp_ne_u16_e64 s[6:7], v19, v22
	s_or_b64 s[6:7], s[6:7], s[48:49]
	s_and_b64 s[6:7], exec, s[6:7]
	v_cmp_eq_u16_e32 vcc, v19, v22
	s_or_b64 s[40:41], s[6:7], s[40:41]
	s_andn2_b64 s[6:7], s[44:45], exec
	s_and_b64 s[44:45], vcc, exec
	s_or_b64 s[44:45], s[6:7], s[44:45]
	s_andn2_b64 exec, exec, s[40:41]
	s_cbranch_execnz .LBB319_72
; %bb.73:
	s_or_b64 exec, exec, s[40:41]
	s_xor_b64 s[6:7], s[44:45], -1
.LBB319_74:
	s_and_b64 s[40:41], s[6:7], exec
.LBB319_75:
	s_or_b64 exec, exec, s[42:43]
	v_add_u32_e32 v16, 1, v1
	v_cmp_gt_u32_e32 vcc, s3, v16
	s_and_saveexec_b64 s[42:43], vcc
	s_cbranch_execz .LBB319_81
; %bb.76:
	s_and_b64 vcc, exec, s[4:5]
	s_mov_b64 s[6:7], 0
	s_cbranch_vccnz .LBB319_80
; %bb.77:
	v_mov_b64_e32 v[20:21], s[20:21]
	v_mad_u64_u32 v[16:17], s[6:7], v10, s30, v[20:21]
	v_mul_lo_u32 v19, v10, s31
	s_waitcnt lgkmcnt(0)
	v_mul_lo_u32 v22, v11, s30
	v_add3_u32 v17, v22, v17, v19
	v_mad_u64_u32 v[20:21], s[6:7], v12, s30, v[20:21]
	v_mul_lo_u32 v19, v12, s31
	v_mul_lo_u32 v22, v13, s30
	s_add_u32 s46, s30, -1
	v_add3_u32 v21, v22, v21, v19
	s_addc_u32 s47, s31, -1
	s_mov_b64 s[38:39], 0
                                        ; implicit-def: $sgpr44_sgpr45
.LBB319_78:                             ; =>This Inner Loop Header: Depth=1
	global_load_ubyte v19, v[16:17], off
	global_load_ubyte v22, v[20:21], off
	s_add_u32 s6, s46, -1
	s_addc_u32 s7, s47, -1
	s_cmp_eq_u64 s[46:47], 0
	s_mov_b64 s[46:47], s[6:7]
	s_cselect_b64 s[48:49], -1, 0
	v_lshl_add_u64 v[16:17], v[16:17], 0, 1
	v_lshl_add_u64 v[20:21], v[20:21], 0, 1
	s_waitcnt vmcnt(0)
	v_cmp_ne_u16_e64 s[6:7], v19, v22
	s_or_b64 s[6:7], s[6:7], s[48:49]
	s_and_b64 s[6:7], exec, s[6:7]
	v_cmp_eq_u16_e32 vcc, v19, v22
	s_or_b64 s[38:39], s[6:7], s[38:39]
	s_andn2_b64 s[6:7], s[44:45], exec
	s_and_b64 s[44:45], vcc, exec
	s_or_b64 s[44:45], s[6:7], s[44:45]
	s_andn2_b64 exec, exec, s[38:39]
	s_cbranch_execnz .LBB319_78
; %bb.79:
	s_or_b64 exec, exec, s[38:39]
	s_xor_b64 s[6:7], s[44:45], -1
.LBB319_80:
	s_and_b64 s[38:39], s[6:7], exec
.LBB319_81:
	s_or_b64 exec, exec, s[42:43]
	v_cmp_ne_u32_e32 vcc, 0, v0
	s_waitcnt lgkmcnt(0)
	v_mov_b64_e32 v[20:21], s[10:11]
	s_barrier
	s_and_saveexec_b64 s[6:7], vcc
; %bb.82:
	v_add_u32_e32 v16, -8, v25
	ds_read_b64 v[20:21], v16
; %bb.83:
	s_or_b64 exec, exec, s[6:7]
	v_cndmask_b32_e64 v17, 0, 1, s[36:37]
	v_cndmask_b32_e64 v16, 0, 1, s[40:41]
	;; [unrolled: 1-line block ×3, first 2 shown]
	v_lshlrev_b16_e32 v17, 8, v17
	v_cmp_gt_u32_e32 vcc, s3, v1
	v_lshlrev_b16_e32 v22, 8, v19
	v_or_b32_sdwa v23, v16, v17 dst_sel:WORD_1 dst_unused:UNUSED_PAD src0_sel:DWORD src1_sel:DWORD
	s_mov_b64 s[6:7], 0
	s_and_saveexec_b64 s[10:11], vcc
	s_cbranch_execz .LBB319_89
; %bb.84:
	s_and_b64 vcc, exec, s[4:5]
	s_mov_b64 s[4:5], 0
	s_cbranch_vccnz .LBB319_88
; %bb.85:
	v_mov_b64_e32 v[26:27], s[20:21]
	s_waitcnt lgkmcnt(0)
	v_mad_u64_u32 v[16:17], s[4:5], v20, s30, v[26:27]
	v_mul_lo_u32 v19, v20, s31
	v_mul_lo_u32 v20, v21, s30
	v_add3_u32 v17, v20, v17, v19
	v_mad_u64_u32 v[20:21], s[4:5], v10, s30, v[26:27]
	v_mul_lo_u32 v19, v10, s31
	v_mul_lo_u32 v25, v11, s30
	s_add_u32 s38, s30, -1
	v_add3_u32 v21, v25, v21, v19
	s_addc_u32 s39, s31, -1
                                        ; implicit-def: $sgpr36_sgpr37
.LBB319_86:                             ; =>This Inner Loop Header: Depth=1
	global_load_ubyte v19, v[16:17], off
	global_load_ubyte v25, v[20:21], off
	s_add_u32 s4, s38, -1
	s_addc_u32 s5, s39, -1
	s_cmp_eq_u64 s[38:39], 0
	s_mov_b64 s[38:39], s[4:5]
	s_cselect_b64 s[40:41], -1, 0
	v_lshl_add_u64 v[16:17], v[16:17], 0, 1
	v_lshl_add_u64 v[20:21], v[20:21], 0, 1
	s_waitcnt vmcnt(0)
	v_cmp_ne_u16_e64 s[4:5], v19, v25
	s_or_b64 s[4:5], s[4:5], s[40:41]
	s_and_b64 s[4:5], exec, s[4:5]
	v_cmp_eq_u16_e32 vcc, v19, v25
	s_or_b64 s[6:7], s[4:5], s[6:7]
	s_andn2_b64 s[4:5], s[36:37], exec
	s_and_b64 s[36:37], vcc, exec
	s_or_b64 s[36:37], s[4:5], s[36:37]
	s_andn2_b64 exec, exec, s[6:7]
	s_cbranch_execnz .LBB319_86
; %bb.87:
	s_or_b64 exec, exec, s[6:7]
	s_xor_b64 s[4:5], s[36:37], -1
.LBB319_88:
	s_and_b64 s[6:7], s[4:5], exec
.LBB319_89:
	s_or_b64 exec, exec, s[10:11]
	v_cndmask_b32_e64 v17, 0, 1, s[18:19]
	v_cndmask_b32_e64 v40, 0, 1, s[14:15]
	;; [unrolled: 1-line block ×3, first 2 shown]
	s_waitcnt lgkmcnt(0)
	v_or_b32_e32 v21, v22, v23
.LBB319_90:
	s_waitcnt lgkmcnt(0)
	s_mov_b64 s[10:11], -1
	s_cbranch_execnz .LBB319_35
.LBB319_91:
	s_movk_i32 s4, 0xffd0
	v_mad_i32_i24 v26, v0, s4, v24
	s_mov_b64 s[6:7], 0
	v_cmp_gt_i64_e64 s[12:13], s[30:31], 0
	s_and_b64 vcc, exec, s[34:35]
	ds_write_b64 v26, v[14:15]
	s_cbranch_vccz .LBB319_106
; %bb.92:
	v_cndmask_b32_e64 v16, 0, 1, s[12:13]
	v_cmp_ne_u32_e64 s[4:5], 1, v16
	s_andn2_b64 vcc, exec, s[12:13]
	s_cbranch_vccnz .LBB319_107
; %bb.93:
	v_mov_b64_e32 v[20:21], s[20:21]
	v_mad_u64_u32 v[16:17], s[6:7], v4, s30, v[20:21]
	v_mul_lo_u32 v19, v4, s31
	v_mul_lo_u32 v22, v5, s30
	s_add_u32 s18, s30, -1
	v_add3_u32 v17, v22, v17, v19
	v_mad_u64_u32 v[20:21], s[6:7], v14, s30, v[20:21]
	v_mul_lo_u32 v19, v14, s31
	v_mul_lo_u32 v22, v15, s30
	s_addc_u32 s19, s31, -1
	v_add3_u32 v21, v22, v21, v19
	s_mov_b64 s[36:37], 0
	s_mov_b64 s[38:39], s[18:19]
	v_mov_b64_e32 v[22:23], v[16:17]
                                        ; implicit-def: $sgpr14_sgpr15
.LBB319_94:                             ; =>This Inner Loop Header: Depth=1
	global_load_ubyte v19, v[22:23], off
	global_load_ubyte v24, v[20:21], off
	s_add_u32 s6, s38, -1
	s_addc_u32 s7, s39, -1
	s_cmp_eq_u64 s[38:39], 0
	s_mov_b64 s[38:39], s[6:7]
	s_cselect_b64 s[40:41], -1, 0
	v_lshl_add_u64 v[22:23], v[22:23], 0, 1
	v_lshl_add_u64 v[20:21], v[20:21], 0, 1
	s_waitcnt vmcnt(0)
	v_cmp_ne_u16_e64 s[6:7], v19, v24
	s_or_b64 s[6:7], s[6:7], s[40:41]
	s_and_b64 s[6:7], exec, s[6:7]
	v_cmp_eq_u16_e32 vcc, v19, v24
	s_or_b64 s[36:37], s[6:7], s[36:37]
	s_andn2_b64 s[6:7], s[14:15], exec
	s_and_b64 s[14:15], vcc, exec
	s_or_b64 s[14:15], s[6:7], s[14:15]
	s_andn2_b64 exec, exec, s[36:37]
	s_cbranch_execnz .LBB319_94
; %bb.95:
	s_or_b64 exec, exec, s[36:37]
	v_mov_b64_e32 v[20:21], s[20:21]
	v_mad_u64_u32 v[20:21], s[6:7], v2, s30, v[20:21]
	v_mul_lo_u32 v19, v2, s31
	v_mul_lo_u32 v22, v3, s30
	v_add3_u32 v21, v22, v21, v19
	s_mov_b64 s[38:39], 0
	s_mov_b64 s[40:41], s[18:19]
	v_mov_b64_e32 v[22:23], v[20:21]
                                        ; implicit-def: $sgpr36_sgpr37
.LBB319_96:                             ; =>This Inner Loop Header: Depth=1
	global_load_ubyte v19, v[22:23], off
	global_load_ubyte v24, v[16:17], off
	s_add_u32 s6, s40, -1
	s_addc_u32 s7, s41, -1
	s_cmp_eq_u64 s[40:41], 0
	s_mov_b64 s[40:41], s[6:7]
	s_cselect_b64 s[42:43], -1, 0
	v_lshl_add_u64 v[22:23], v[22:23], 0, 1
	v_lshl_add_u64 v[16:17], v[16:17], 0, 1
	s_waitcnt vmcnt(0)
	v_cmp_ne_u16_e64 s[6:7], v19, v24
	s_or_b64 s[6:7], s[6:7], s[42:43]
	s_and_b64 s[6:7], exec, s[6:7]
	v_cmp_eq_u16_e32 vcc, v19, v24
	s_or_b64 s[38:39], s[6:7], s[38:39]
	s_andn2_b64 s[6:7], s[36:37], exec
	s_and_b64 s[36:37], vcc, exec
	s_or_b64 s[36:37], s[6:7], s[36:37]
	s_andn2_b64 exec, exec, s[38:39]
	s_cbranch_execnz .LBB319_96
; %bb.97:
	s_or_b64 exec, exec, s[38:39]
	v_mov_b64_e32 v[16:17], s[20:21]
	v_mad_u64_u32 v[16:17], s[6:7], v8, s30, v[16:17]
	v_mul_lo_u32 v19, v8, s31
	v_mul_lo_u32 v22, v9, s30
	v_add3_u32 v17, v22, v17, v19
	s_mov_b64 s[40:41], 0
	s_mov_b64 s[42:43], s[18:19]
	v_mov_b64_e32 v[22:23], v[16:17]
                                        ; implicit-def: $sgpr38_sgpr39
.LBB319_98:                             ; =>This Inner Loop Header: Depth=1
	global_load_ubyte v19, v[22:23], off
	global_load_ubyte v24, v[20:21], off
	s_add_u32 s6, s42, -1
	s_addc_u32 s7, s43, -1
	s_cmp_eq_u64 s[42:43], 0
	s_mov_b64 s[42:43], s[6:7]
	s_cselect_b64 s[44:45], -1, 0
	v_lshl_add_u64 v[22:23], v[22:23], 0, 1
	v_lshl_add_u64 v[20:21], v[20:21], 0, 1
	s_waitcnt vmcnt(0)
	v_cmp_ne_u16_e64 s[6:7], v19, v24
	s_or_b64 s[6:7], s[6:7], s[44:45]
	s_and_b64 s[6:7], exec, s[6:7]
	v_cmp_eq_u16_e32 vcc, v19, v24
	s_or_b64 s[40:41], s[6:7], s[40:41]
	s_andn2_b64 s[6:7], s[38:39], exec
	s_and_b64 s[38:39], vcc, exec
	s_or_b64 s[38:39], s[6:7], s[38:39]
	s_andn2_b64 exec, exec, s[40:41]
	s_cbranch_execnz .LBB319_98
; %bb.99:
	s_or_b64 exec, exec, s[40:41]
	v_mov_b64_e32 v[20:21], s[20:21]
	v_mad_u64_u32 v[20:21], s[6:7], v6, s30, v[20:21]
	v_mul_lo_u32 v19, v6, s31
	v_mul_lo_u32 v22, v7, s30
	v_add3_u32 v21, v22, v21, v19
	s_mov_b64 s[42:43], 0
	s_mov_b64 s[44:45], s[18:19]
	v_mov_b64_e32 v[22:23], v[20:21]
                                        ; implicit-def: $sgpr40_sgpr41
.LBB319_100:                            ; =>This Inner Loop Header: Depth=1
	global_load_ubyte v19, v[22:23], off
	global_load_ubyte v24, v[16:17], off
	s_add_u32 s6, s44, -1
	s_addc_u32 s7, s45, -1
	s_cmp_eq_u64 s[44:45], 0
	s_mov_b64 s[44:45], s[6:7]
	s_cselect_b64 s[46:47], -1, 0
	v_lshl_add_u64 v[22:23], v[22:23], 0, 1
	v_lshl_add_u64 v[16:17], v[16:17], 0, 1
	s_waitcnt vmcnt(0)
	v_cmp_ne_u16_e64 s[6:7], v19, v24
	s_or_b64 s[6:7], s[6:7], s[46:47]
	s_and_b64 s[6:7], exec, s[6:7]
	v_cmp_eq_u16_e32 vcc, v19, v24
	s_or_b64 s[42:43], s[6:7], s[42:43]
	s_andn2_b64 s[6:7], s[40:41], exec
	s_and_b64 s[40:41], vcc, exec
	s_or_b64 s[40:41], s[6:7], s[40:41]
	s_andn2_b64 exec, exec, s[42:43]
	s_cbranch_execnz .LBB319_100
; %bb.101:
	s_or_b64 exec, exec, s[42:43]
	v_mov_b64_e32 v[16:17], s[20:21]
	v_mad_u64_u32 v[16:17], s[6:7], v12, s30, v[16:17]
	v_mul_lo_u32 v19, v12, s31
	v_mul_lo_u32 v22, v13, s30
	v_add3_u32 v17, v22, v17, v19
	s_mov_b64 s[44:45], 0
	s_mov_b64 s[46:47], s[18:19]
	v_mov_b64_e32 v[22:23], v[16:17]
                                        ; implicit-def: $sgpr42_sgpr43
.LBB319_102:                            ; =>This Inner Loop Header: Depth=1
	global_load_ubyte v19, v[22:23], off
	global_load_ubyte v24, v[20:21], off
	s_add_u32 s6, s46, -1
	s_addc_u32 s7, s47, -1
	s_cmp_eq_u64 s[46:47], 0
	s_mov_b64 s[46:47], s[6:7]
	s_cselect_b64 s[48:49], -1, 0
	v_lshl_add_u64 v[22:23], v[22:23], 0, 1
	v_lshl_add_u64 v[20:21], v[20:21], 0, 1
	s_waitcnt vmcnt(0)
	v_cmp_ne_u16_e64 s[6:7], v19, v24
	s_or_b64 s[6:7], s[6:7], s[48:49]
	s_and_b64 s[6:7], exec, s[6:7]
	v_cmp_eq_u16_e32 vcc, v19, v24
	s_or_b64 s[44:45], s[6:7], s[44:45]
	s_andn2_b64 s[6:7], s[42:43], exec
	s_and_b64 s[42:43], vcc, exec
	s_or_b64 s[42:43], s[6:7], s[42:43]
	s_andn2_b64 exec, exec, s[44:45]
	s_cbranch_execnz .LBB319_102
; %bb.103:
	s_or_b64 exec, exec, s[44:45]
	v_mov_b64_e32 v[20:21], s[20:21]
	v_mad_u64_u32 v[20:21], s[6:7], v10, s30, v[20:21]
	v_mul_lo_u32 v19, v10, s31
	v_mul_lo_u32 v22, v11, s30
	v_add3_u32 v21, v22, v21, v19
	s_mov_b64 s[46:47], 0
                                        ; implicit-def: $sgpr44_sgpr45
.LBB319_104:                            ; =>This Inner Loop Header: Depth=1
	global_load_ubyte v19, v[20:21], off
	global_load_ubyte v22, v[16:17], off
	s_add_u32 s6, s18, -1
	s_addc_u32 s7, s19, -1
	s_cmp_eq_u64 s[18:19], 0
	s_mov_b64 s[18:19], s[6:7]
	s_cselect_b64 s[48:49], -1, 0
	v_lshl_add_u64 v[20:21], v[20:21], 0, 1
	v_lshl_add_u64 v[16:17], v[16:17], 0, 1
	s_waitcnt vmcnt(0)
	v_cmp_ne_u16_e64 s[6:7], v19, v22
	s_or_b64 s[6:7], s[6:7], s[48:49]
	s_and_b64 s[6:7], exec, s[6:7]
	v_cmp_eq_u16_e32 vcc, v19, v22
	s_or_b64 s[46:47], s[6:7], s[46:47]
	s_andn2_b64 s[6:7], s[44:45], exec
	s_and_b64 s[44:45], vcc, exec
	s_or_b64 s[44:45], s[6:7], s[44:45]
	s_andn2_b64 exec, exec, s[46:47]
	s_cbranch_execnz .LBB319_104
; %bb.105:
	s_or_b64 exec, exec, s[46:47]
	s_xor_b64 s[6:7], s[36:37], -1
	v_cndmask_b32_e64 v40, 0, 1, s[6:7]
	s_xor_b64 s[6:7], s[40:41], -1
	v_cndmask_b32_e64 v16, 0, 1, s[6:7]
	v_lshlrev_b16_e32 v16, 8, v16
	s_xor_b64 s[6:7], s[14:15], -1
	v_lshrrev_b32_e32 v16, 8, v16
	v_mov_b32_e32 v20, 1
	s_xor_b64 s[14:15], s[42:43], -1
	v_cndmask_b32_e64 v19, 0, 1, s[6:7]
	s_xor_b64 s[6:7], s[38:39], -1
	v_and_b32_sdwa v16, v16, v20 dst_sel:BYTE_1 dst_unused:UNUSED_PAD src0_sel:DWORD src1_sel:DWORD
	v_cndmask_b32_e64 v20, 0, 1, s[14:15]
	v_cndmask_b32_e64 v17, 0, 1, s[6:7]
	s_xor_b64 s[6:7], s[44:45], -1
	v_or_b32_sdwa v16, v20, v16 dst_sel:WORD_1 dst_unused:UNUSED_PAD src0_sel:DWORD src1_sel:DWORD
	s_branch .LBB319_108
.LBB319_106:
                                        ; implicit-def: $sgpr6_sgpr7
                                        ; implicit-def: $vgpr19
                                        ; implicit-def: $vgpr40
                                        ; implicit-def: $vgpr17
                                        ; implicit-def: $vgpr21
                                        ; implicit-def: $vgpr42
                                        ; implicit-def: $vgpr41
                                        ; implicit-def: $vgpr20
	s_cbranch_execnz .LBB319_115
	s_branch .LBB319_160
.LBB319_107:
	v_mov_b32_e32 v16, 0
	v_mov_b32_e32 v19, 0
	;; [unrolled: 1-line block ×4, first 2 shown]
.LBB319_108:
	v_lshrrev_b32_e32 v41, 16, v16
	v_lshrrev_b32_e32 v20, 24, v16
	v_cndmask_b32_e64 v42, 0, 1, s[6:7]
	v_mov_b32_e32 v16, 1
	v_cmp_ne_u32_e32 vcc, 0, v0
	s_waitcnt lgkmcnt(0)
	s_barrier
                                        ; implicit-def: $sgpr6_sgpr7
                                        ; implicit-def: $vgpr21
	s_and_saveexec_b64 s[14:15], vcc
	s_xor_b64 s[14:15], exec, s[14:15]
	s_cbranch_execz .LBB319_114
; %bb.109:
	v_lshlrev_b16_e32 v21, 8, v20
	s_movk_i32 s6, 0xff
	v_bitop3_b16 v21, v41, v21, s6 bitop3:0xec
	v_lshlrev_b16_e32 v22, 8, v42
	v_lshlrev_b32_e32 v21, 16, v21
	v_or_b32_e32 v22, 1, v22
	v_or_b32_sdwa v21, v22, v21 dst_sel:DWORD dst_unused:UNUSED_PAD src0_sel:WORD_0 src1_sel:DWORD
	s_mov_b32 s33, 0x3020104
	s_and_b64 vcc, exec, s[4:5]
	s_mov_b64 s[6:7], 0
	s_cbranch_vccnz .LBB319_113
; %bb.110:
	v_add_u32_e32 v22, -8, v26
	ds_read_b64 v[22:23], v22
	v_mov_b64_e32 v[24:25], s[20:21]
	s_add_u32 s36, s30, -1
	s_addc_u32 s37, s31, -1
                                        ; implicit-def: $sgpr18_sgpr19
	s_waitcnt lgkmcnt(0)
	v_mul_lo_u32 v27, v22, s31
	v_mul_lo_u32 v28, v23, s30
	v_mad_u64_u32 v[22:23], s[4:5], v22, s30, v[24:25]
	v_add3_u32 v23, v28, v23, v27
	v_mad_u64_u32 v[24:25], s[4:5], v10, s30, v[24:25]
	v_mul_lo_u32 v27, v10, s31
	v_mul_lo_u32 v28, v11, s30
	v_add3_u32 v25, v28, v25, v27
.LBB319_111:                            ; =>This Inner Loop Header: Depth=1
	global_load_ubyte v27, v[22:23], off
	global_load_ubyte v28, v[24:25], off
	s_add_u32 s4, s36, -1
	s_addc_u32 s5, s37, -1
	s_cmp_eq_u64 s[36:37], 0
	s_mov_b64 s[36:37], s[4:5]
	s_cselect_b64 s[38:39], -1, 0
	v_lshl_add_u64 v[22:23], v[22:23], 0, 1
	v_lshl_add_u64 v[24:25], v[24:25], 0, 1
	s_waitcnt vmcnt(0)
	v_cmp_ne_u16_e64 s[4:5], v27, v28
	s_or_b64 s[4:5], s[4:5], s[38:39]
	s_and_b64 s[4:5], exec, s[4:5]
	v_cmp_eq_u16_e32 vcc, v27, v28
	s_or_b64 s[6:7], s[4:5], s[6:7]
	s_andn2_b64 s[4:5], s[18:19], exec
	s_and_b64 s[18:19], vcc, exec
	s_or_b64 s[18:19], s[4:5], s[18:19]
	s_andn2_b64 exec, exec, s[6:7]
	s_cbranch_execnz .LBB319_111
; %bb.112:
	s_or_b64 exec, exec, s[6:7]
	s_xor_b64 s[6:7], s[18:19], -1
.LBB319_113:
	v_perm_b32 v21, v21, v21, s33
	s_or_b64 s[10:11], s[10:11], exec
.LBB319_114:
	s_or_b64 exec, exec, s[14:15]
	s_branch .LBB319_160
.LBB319_115:
	v_add_u32_e32 v16, 6, v1
	v_cmp_gt_u32_e32 vcc, s3, v16
	s_mov_b64 s[14:15], 0
	s_mov_b64 s[6:7], 0
	s_and_saveexec_b64 s[18:19], vcc
	s_cbranch_execz .LBB319_121
; %bb.116:
	s_andn2_b64 vcc, exec, s[12:13]
	s_mov_b64 s[4:5], 0
	s_cbranch_vccnz .LBB319_120
; %bb.117:
	v_mov_b64_e32 v[20:21], s[20:21]
	v_mad_u64_u32 v[16:17], s[4:5], v4, s30, v[20:21]
	v_mul_lo_u32 v19, v4, s31
	v_mul_lo_u32 v22, v5, s30
	v_add3_u32 v17, v22, v17, v19
	v_mad_u64_u32 v[20:21], s[4:5], v14, s30, v[20:21]
	v_mul_lo_u32 v19, v14, s31
	v_mul_lo_u32 v22, v15, s30
	s_add_u32 s38, s30, -1
	v_add3_u32 v21, v22, v21, v19
	s_addc_u32 s39, s31, -1
                                        ; implicit-def: $sgpr36_sgpr37
.LBB319_118:                            ; =>This Inner Loop Header: Depth=1
	global_load_ubyte v19, v[16:17], off
	global_load_ubyte v22, v[20:21], off
	s_add_u32 s4, s38, -1
	s_addc_u32 s5, s39, -1
	s_cmp_eq_u64 s[38:39], 0
	s_mov_b64 s[38:39], s[4:5]
	s_cselect_b64 s[40:41], -1, 0
	v_lshl_add_u64 v[16:17], v[16:17], 0, 1
	v_lshl_add_u64 v[20:21], v[20:21], 0, 1
	s_waitcnt vmcnt(0)
	v_cmp_ne_u16_e64 s[4:5], v19, v22
	s_or_b64 s[4:5], s[4:5], s[40:41]
	s_and_b64 s[4:5], exec, s[4:5]
	v_cmp_eq_u16_e32 vcc, v19, v22
	s_or_b64 s[6:7], s[4:5], s[6:7]
	s_andn2_b64 s[4:5], s[36:37], exec
	s_and_b64 s[36:37], vcc, exec
	s_or_b64 s[36:37], s[4:5], s[36:37]
	s_andn2_b64 exec, exec, s[6:7]
	s_cbranch_execnz .LBB319_118
; %bb.119:
	s_or_b64 exec, exec, s[6:7]
	s_xor_b64 s[4:5], s[36:37], -1
.LBB319_120:
	s_and_b64 s[6:7], s[4:5], exec
.LBB319_121:
	s_or_b64 exec, exec, s[18:19]
	v_add_u32_e32 v16, 5, v1
	v_cmp_gt_u32_e32 vcc, s3, v16
	s_and_saveexec_b64 s[18:19], vcc
	s_cbranch_execz .LBB319_127
; %bb.122:
	s_andn2_b64 vcc, exec, s[12:13]
	s_mov_b64 s[4:5], 0
	s_cbranch_vccnz .LBB319_126
; %bb.123:
	v_mov_b64_e32 v[20:21], s[20:21]
	v_mad_u64_u32 v[16:17], s[4:5], v2, s30, v[20:21]
	v_mul_lo_u32 v19, v2, s31
	v_mul_lo_u32 v22, v3, s30
	v_add3_u32 v17, v22, v17, v19
	v_mad_u64_u32 v[20:21], s[4:5], v4, s30, v[20:21]
	v_mul_lo_u32 v19, v4, s31
	v_mul_lo_u32 v22, v5, s30
	s_add_u32 s38, s30, -1
	v_add3_u32 v21, v22, v21, v19
	s_addc_u32 s39, s31, -1
	s_mov_b64 s[14:15], 0
                                        ; implicit-def: $sgpr36_sgpr37
.LBB319_124:                            ; =>This Inner Loop Header: Depth=1
	global_load_ubyte v19, v[16:17], off
	global_load_ubyte v22, v[20:21], off
	s_add_u32 s4, s38, -1
	s_addc_u32 s5, s39, -1
	s_cmp_eq_u64 s[38:39], 0
	s_mov_b64 s[38:39], s[4:5]
	s_cselect_b64 s[40:41], -1, 0
	v_lshl_add_u64 v[16:17], v[16:17], 0, 1
	v_lshl_add_u64 v[20:21], v[20:21], 0, 1
	s_waitcnt vmcnt(0)
	v_cmp_ne_u16_e64 s[4:5], v19, v22
	s_or_b64 s[4:5], s[4:5], s[40:41]
	s_and_b64 s[4:5], exec, s[4:5]
	v_cmp_eq_u16_e32 vcc, v19, v22
	s_or_b64 s[14:15], s[4:5], s[14:15]
	s_andn2_b64 s[4:5], s[36:37], exec
	s_and_b64 s[36:37], vcc, exec
	s_or_b64 s[36:37], s[4:5], s[36:37]
	s_andn2_b64 exec, exec, s[14:15]
	s_cbranch_execnz .LBB319_124
; %bb.125:
	s_or_b64 exec, exec, s[14:15]
	s_xor_b64 s[4:5], s[36:37], -1
.LBB319_126:
	s_and_b64 s[14:15], s[4:5], exec
.LBB319_127:
	s_or_b64 exec, exec, s[18:19]
	v_add_u32_e32 v16, 4, v1
	v_cmp_gt_u32_e32 vcc, s3, v16
	s_mov_b64 s[18:19], 0
	s_mov_b64 s[36:37], 0
	s_and_saveexec_b64 s[38:39], vcc
	s_cbranch_execz .LBB319_133
; %bb.128:
	s_andn2_b64 vcc, exec, s[12:13]
	s_mov_b64 s[4:5], 0
	s_cbranch_vccnz .LBB319_132
; %bb.129:
	v_mov_b64_e32 v[20:21], s[20:21]
	v_mad_u64_u32 v[16:17], s[4:5], v8, s30, v[20:21]
	v_mul_lo_u32 v19, v8, s31
	v_mul_lo_u32 v22, v9, s30
	v_add3_u32 v17, v22, v17, v19
	v_mad_u64_u32 v[20:21], s[4:5], v2, s30, v[20:21]
	v_mul_lo_u32 v19, v2, s31
	v_mul_lo_u32 v22, v3, s30
	s_add_u32 s42, s30, -1
	v_add3_u32 v21, v22, v21, v19
	s_addc_u32 s43, s31, -1
                                        ; implicit-def: $sgpr40_sgpr41
.LBB319_130:                            ; =>This Inner Loop Header: Depth=1
	global_load_ubyte v19, v[16:17], off
	global_load_ubyte v22, v[20:21], off
	s_add_u32 s4, s42, -1
	s_addc_u32 s5, s43, -1
	s_cmp_eq_u64 s[42:43], 0
	s_mov_b64 s[42:43], s[4:5]
	s_cselect_b64 s[44:45], -1, 0
	v_lshl_add_u64 v[16:17], v[16:17], 0, 1
	v_lshl_add_u64 v[20:21], v[20:21], 0, 1
	s_waitcnt vmcnt(0)
	v_cmp_ne_u16_e64 s[4:5], v19, v22
	s_or_b64 s[4:5], s[4:5], s[44:45]
	s_and_b64 s[4:5], exec, s[4:5]
	v_cmp_eq_u16_e32 vcc, v19, v22
	s_or_b64 s[36:37], s[4:5], s[36:37]
	s_andn2_b64 s[4:5], s[40:41], exec
	s_and_b64 s[40:41], vcc, exec
	s_or_b64 s[40:41], s[4:5], s[40:41]
	s_andn2_b64 exec, exec, s[36:37]
	s_cbranch_execnz .LBB319_130
; %bb.131:
	s_or_b64 exec, exec, s[36:37]
	s_xor_b64 s[4:5], s[40:41], -1
.LBB319_132:
	s_and_b64 s[36:37], s[4:5], exec
.LBB319_133:
	s_or_b64 exec, exec, s[38:39]
	v_add_u32_e32 v16, 3, v1
	v_cmp_gt_u32_e32 vcc, s3, v16
	s_and_saveexec_b64 s[38:39], vcc
	s_cbranch_execz .LBB319_139
; %bb.134:
	s_andn2_b64 vcc, exec, s[12:13]
	s_mov_b64 s[4:5], 0
	s_cbranch_vccnz .LBB319_138
; %bb.135:
	v_mov_b64_e32 v[20:21], s[20:21]
	v_mad_u64_u32 v[16:17], s[4:5], v6, s30, v[20:21]
	v_mul_lo_u32 v19, v6, s31
	v_mul_lo_u32 v22, v7, s30
	v_add3_u32 v17, v22, v17, v19
	v_mad_u64_u32 v[20:21], s[4:5], v8, s30, v[20:21]
	v_mul_lo_u32 v19, v8, s31
	v_mul_lo_u32 v22, v9, s30
	s_add_u32 s42, s30, -1
	v_add3_u32 v21, v22, v21, v19
	s_addc_u32 s43, s31, -1
	s_mov_b64 s[18:19], 0
                                        ; implicit-def: $sgpr40_sgpr41
.LBB319_136:                            ; =>This Inner Loop Header: Depth=1
	global_load_ubyte v19, v[16:17], off
	global_load_ubyte v22, v[20:21], off
	s_add_u32 s4, s42, -1
	s_addc_u32 s5, s43, -1
	s_cmp_eq_u64 s[42:43], 0
	s_mov_b64 s[42:43], s[4:5]
	s_cselect_b64 s[44:45], -1, 0
	v_lshl_add_u64 v[16:17], v[16:17], 0, 1
	v_lshl_add_u64 v[20:21], v[20:21], 0, 1
	s_waitcnt vmcnt(0)
	v_cmp_ne_u16_e64 s[4:5], v19, v22
	s_or_b64 s[4:5], s[4:5], s[44:45]
	s_and_b64 s[4:5], exec, s[4:5]
	v_cmp_eq_u16_e32 vcc, v19, v22
	s_or_b64 s[18:19], s[4:5], s[18:19]
	s_andn2_b64 s[4:5], s[40:41], exec
	s_and_b64 s[40:41], vcc, exec
	s_or_b64 s[40:41], s[4:5], s[40:41]
	s_andn2_b64 exec, exec, s[18:19]
	s_cbranch_execnz .LBB319_136
; %bb.137:
	s_or_b64 exec, exec, s[18:19]
	s_xor_b64 s[4:5], s[40:41], -1
.LBB319_138:
	s_and_b64 s[18:19], s[4:5], exec
.LBB319_139:
	s_or_b64 exec, exec, s[38:39]
	v_add_u32_e32 v16, 2, v1
	v_cmp_gt_u32_e32 vcc, s3, v16
	s_mov_b64 s[38:39], 0
	s_mov_b64 s[40:41], 0
	s_and_saveexec_b64 s[42:43], vcc
	s_cbranch_execz .LBB319_145
; %bb.140:
	s_andn2_b64 vcc, exec, s[12:13]
	s_mov_b64 s[4:5], 0
	s_cbranch_vccnz .LBB319_144
; %bb.141:
	v_mov_b64_e32 v[20:21], s[20:21]
	v_mad_u64_u32 v[16:17], s[4:5], v12, s30, v[20:21]
	v_mul_lo_u32 v19, v12, s31
	v_mul_lo_u32 v22, v13, s30
	v_add3_u32 v17, v22, v17, v19
	v_mad_u64_u32 v[20:21], s[4:5], v6, s30, v[20:21]
	v_mul_lo_u32 v19, v6, s31
	v_mul_lo_u32 v22, v7, s30
	s_add_u32 s46, s30, -1
	v_add3_u32 v21, v22, v21, v19
	s_addc_u32 s47, s31, -1
                                        ; implicit-def: $sgpr44_sgpr45
.LBB319_142:                            ; =>This Inner Loop Header: Depth=1
	global_load_ubyte v19, v[16:17], off
	global_load_ubyte v22, v[20:21], off
	s_add_u32 s4, s46, -1
	s_addc_u32 s5, s47, -1
	s_cmp_eq_u64 s[46:47], 0
	s_mov_b64 s[46:47], s[4:5]
	s_cselect_b64 s[48:49], -1, 0
	v_lshl_add_u64 v[16:17], v[16:17], 0, 1
	v_lshl_add_u64 v[20:21], v[20:21], 0, 1
	s_waitcnt vmcnt(0)
	v_cmp_ne_u16_e64 s[4:5], v19, v22
	s_or_b64 s[4:5], s[4:5], s[48:49]
	s_and_b64 s[4:5], exec, s[4:5]
	v_cmp_eq_u16_e32 vcc, v19, v22
	s_or_b64 s[40:41], s[4:5], s[40:41]
	s_andn2_b64 s[4:5], s[44:45], exec
	s_and_b64 s[44:45], vcc, exec
	s_or_b64 s[44:45], s[4:5], s[44:45]
	s_andn2_b64 exec, exec, s[40:41]
	s_cbranch_execnz .LBB319_142
; %bb.143:
	s_or_b64 exec, exec, s[40:41]
	s_xor_b64 s[4:5], s[44:45], -1
.LBB319_144:
	s_and_b64 s[40:41], s[4:5], exec
.LBB319_145:
	s_or_b64 exec, exec, s[42:43]
	v_add_u32_e32 v16, 1, v1
	v_cmp_gt_u32_e32 vcc, s3, v16
	s_and_saveexec_b64 s[42:43], vcc
	s_cbranch_execz .LBB319_151
; %bb.146:
	s_andn2_b64 vcc, exec, s[12:13]
	s_mov_b64 s[4:5], 0
	s_cbranch_vccnz .LBB319_150
; %bb.147:
	v_mov_b64_e32 v[20:21], s[20:21]
	v_mad_u64_u32 v[16:17], s[4:5], v10, s30, v[20:21]
	v_mul_lo_u32 v19, v10, s31
	v_mul_lo_u32 v22, v11, s30
	v_add3_u32 v17, v22, v17, v19
	v_mad_u64_u32 v[20:21], s[4:5], v12, s30, v[20:21]
	v_mul_lo_u32 v19, v12, s31
	v_mul_lo_u32 v22, v13, s30
	s_add_u32 s46, s30, -1
	v_add3_u32 v21, v22, v21, v19
	s_addc_u32 s47, s31, -1
	s_mov_b64 s[38:39], 0
                                        ; implicit-def: $sgpr44_sgpr45
.LBB319_148:                            ; =>This Inner Loop Header: Depth=1
	global_load_ubyte v19, v[16:17], off
	global_load_ubyte v22, v[20:21], off
	s_add_u32 s4, s46, -1
	s_addc_u32 s5, s47, -1
	s_cmp_eq_u64 s[46:47], 0
	s_mov_b64 s[46:47], s[4:5]
	s_cselect_b64 s[48:49], -1, 0
	v_lshl_add_u64 v[16:17], v[16:17], 0, 1
	v_lshl_add_u64 v[20:21], v[20:21], 0, 1
	s_waitcnt vmcnt(0)
	v_cmp_ne_u16_e64 s[4:5], v19, v22
	s_or_b64 s[4:5], s[4:5], s[48:49]
	s_and_b64 s[4:5], exec, s[4:5]
	v_cmp_eq_u16_e32 vcc, v19, v22
	s_or_b64 s[38:39], s[4:5], s[38:39]
	s_andn2_b64 s[4:5], s[44:45], exec
	s_and_b64 s[44:45], vcc, exec
	s_or_b64 s[44:45], s[4:5], s[44:45]
	s_andn2_b64 exec, exec, s[38:39]
	s_cbranch_execnz .LBB319_148
; %bb.149:
	s_or_b64 exec, exec, s[38:39]
	s_xor_b64 s[4:5], s[44:45], -1
.LBB319_150:
	s_and_b64 s[38:39], s[4:5], exec
.LBB319_151:
	s_or_b64 exec, exec, s[42:43]
	v_cndmask_b32_e64 v17, 0, 1, s[36:37]
	v_cndmask_b32_e64 v40, 0, 1, s[14:15]
	;; [unrolled: 1-line block ×6, first 2 shown]
	v_mov_b32_e32 v16, 1
	v_cmp_ne_u32_e32 vcc, 0, v0
	s_waitcnt lgkmcnt(0)
	s_barrier
                                        ; implicit-def: $sgpr6_sgpr7
                                        ; implicit-def: $vgpr21
	s_and_saveexec_b64 s[14:15], vcc
	s_cbranch_execz .LBB319_159
; %bb.152:
	v_lshlrev_b16_e32 v21, 8, v42
	v_lshlrev_b16_e32 v22, 8, v20
	v_or_b32_e32 v21, 1, v21
	v_or_b32_sdwa v22, v41, v22 dst_sel:WORD_1 dst_unused:UNUSED_PAD src0_sel:DWORD src1_sel:DWORD
	v_cmp_gt_u32_e32 vcc, s3, v1
	v_or_b32_sdwa v21, v21, v22 dst_sel:DWORD dst_unused:UNUSED_PAD src0_sel:WORD_0 src1_sel:DWORD
	s_mov_b32 s33, 0x3020104
	s_mov_b64 s[6:7], 0
	s_and_saveexec_b64 s[18:19], vcc
	s_cbranch_execz .LBB319_158
; %bb.153:
	s_andn2_b64 vcc, exec, s[12:13]
	s_mov_b64 s[4:5], 0
	s_cbranch_vccnz .LBB319_157
; %bb.154:
	v_add_u32_e32 v22, -8, v26
	ds_read_b64 v[22:23], v22
	v_mov_b64_e32 v[24:25], s[20:21]
	s_add_u32 s20, s30, -1
	s_addc_u32 s21, s31, -1
                                        ; implicit-def: $sgpr12_sgpr13
	s_waitcnt lgkmcnt(0)
	v_mul_lo_u32 v26, v22, s31
	v_mul_lo_u32 v27, v23, s30
	v_mad_u64_u32 v[22:23], s[4:5], v22, s30, v[24:25]
	v_add3_u32 v23, v27, v23, v26
	v_mad_u64_u32 v[24:25], s[4:5], v10, s30, v[24:25]
	v_mul_lo_u32 v26, v10, s31
	v_mul_lo_u32 v27, v11, s30
	v_add3_u32 v25, v27, v25, v26
.LBB319_155:                            ; =>This Inner Loop Header: Depth=1
	global_load_ubyte v26, v[22:23], off
	global_load_ubyte v27, v[24:25], off
	s_add_u32 s4, s20, -1
	s_addc_u32 s5, s21, -1
	s_cmp_eq_u64 s[20:21], 0
	s_mov_b64 s[20:21], s[4:5]
	s_cselect_b64 s[30:31], -1, 0
	v_lshl_add_u64 v[22:23], v[22:23], 0, 1
	v_lshl_add_u64 v[24:25], v[24:25], 0, 1
	s_waitcnt vmcnt(0)
	v_cmp_ne_u16_e64 s[4:5], v26, v27
	s_or_b64 s[4:5], s[4:5], s[30:31]
	s_and_b64 s[4:5], exec, s[4:5]
	v_cmp_eq_u16_e32 vcc, v26, v27
	s_or_b64 s[6:7], s[4:5], s[6:7]
	s_andn2_b64 s[4:5], s[12:13], exec
	s_and_b64 s[12:13], vcc, exec
	s_or_b64 s[12:13], s[4:5], s[12:13]
	s_andn2_b64 exec, exec, s[6:7]
	s_cbranch_execnz .LBB319_155
; %bb.156:
	s_or_b64 exec, exec, s[6:7]
	s_xor_b64 s[4:5], s[12:13], -1
.LBB319_157:
	s_and_b64 s[6:7], s[4:5], exec
.LBB319_158:
	s_or_b64 exec, exec, s[18:19]
	v_perm_b32 v21, v21, v21, s33
	s_or_b64 s[10:11], s[10:11], exec
.LBB319_159:
	s_or_b64 exec, exec, s[14:15]
.LBB319_160:
	s_and_saveexec_b64 s[4:5], s[10:11]
; %bb.161:
	v_lshrrev_b32_e32 v20, 24, v21
	v_lshrrev_b32_e32 v41, 16, v21
	v_lshrrev_b32_e32 v42, 8, v21
	v_cndmask_b32_e64 v16, 0, 1, s[6:7]
; %bb.162:
	s_or_b64 exec, exec, s[4:5]
	s_andn2_b64 vcc, exec, s[8:9]
	s_cbranch_vccnz .LBB319_166
; %bb.163:
	s_mov_b32 s4, 0xc0c0004
	v_perm_b32 v20, v41, v20, s4
	v_perm_b32 v16, v16, v42, s4
	v_lshlrev_b32_e32 v20, 16, v20
	v_or_b32_e32 v16, v16, v20
	v_cmp_gt_u32_e32 vcc, s3, v1
	v_add_u32_e32 v22, 1, v1
	v_perm_b32 v17, v17, v40, s4
	v_cndmask_b32_e32 v20, v20, v16, vcc
	v_and_b32_e32 v20, 0xffff00ff, v20
	v_cmp_gt_u32_e32 vcc, s3, v22
	v_add_u32_e32 v22, 2, v1
	s_mov_b32 s4, 0x40c0100
	v_cndmask_b32_e32 v20, v20, v16, vcc
	v_lshrrev_b32_e32 v23, 24, v20
	v_and_b32_e32 v19, 0xff, v19
	v_perm_b32 v20, v23, v20, s4
	v_cmp_gt_u32_e32 vcc, s3, v22
	v_lshlrev_b32_e32 v19, 16, v19
	v_add_u32_e32 v22, 3, v1
	v_cndmask_b32_e32 v20, v20, v16, vcc
	s_mov_b32 s4, 0xffff00
	v_or_b32_e32 v21, v17, v19
	v_and_b32_e32 v20, 0xffffff, v20
	v_cmp_gt_u32_e32 vcc, s3, v22
	v_bitop3_b32 v17, v17, s4, v19 bitop3:0xc8
	v_add_u32_e32 v19, 4, v1
	v_cndmask_b32_e32 v20, v20, v16, vcc
	v_cmp_gt_u32_e32 vcc, s3, v19
	v_add_u32_e32 v19, 5, v1
	v_cmp_gt_u32_e64 s[4:5], s3, v19
	v_cndmask_b32_e32 v17, v17, v21, vcc
	v_and_b32_e32 v17, 0xffff00ff, v17
	s_or_b64 vcc, s[4:5], vcc
	v_cndmask_b32_e64 v17, v17, v21, s[4:5]
	v_cndmask_b32_e32 v16, v20, v16, vcc
	v_add_u32_e32 v1, 6, v1
	v_lshrrev_b32_e32 v41, 16, v16
	v_lshrrev_b32_e32 v42, 8, v16
	v_lshrrev_b64 v[20:21], 24, v[16:17]
	v_lshrrev_b32_e32 v19, 16, v17
	v_lshrrev_b32_e32 v40, 8, v17
	v_cmp_le_u32_e32 vcc, s3, v1
	s_and_saveexec_b64 s[4:5], vcc
; %bb.164:
	v_mov_b32_e32 v19, 0
; %bb.165:
	s_or_b64 exec, exec, s[4:5]
.LBB319_166:
	v_and_b32_e32 v1, 0xff, v16
	v_and_b32_e32 v21, 0xff, v42
	v_and_b32_e32 v33, 0xff, v41
	v_and_b32_e32 v35, 0xff, v20
	v_and_b32_e32 v37, 0xff, v17
	v_add3_u32 v23, v21, v1, v33
	v_and_b32_e32 v39, 0xff, v40
	v_and_b32_e32 v22, 0xff, v19
	v_add3_u32 v23, v23, v35, v37
	v_add3_u32 v45, v23, v39, v22
	v_mbcnt_lo_u32_b32 v22, -1, 0
	v_mbcnt_hi_u32_b32 v43, -1, v22
	v_and_b32_e32 v22, 15, v43
	v_cmp_eq_u32_e64 s[14:15], 0, v22
	v_cmp_lt_u32_e64 s[12:13], 1, v22
	v_cmp_lt_u32_e64 s[10:11], 3, v22
	;; [unrolled: 1-line block ×3, first 2 shown]
	v_and_b32_e32 v22, 16, v43
	v_cmp_eq_u32_e64 s[6:7], 0, v22
	v_or_b32_e32 v22, 63, v0
	v_cmp_lt_u32_e64 s[18:19], 31, v43
	v_lshrrev_b32_e32 v44, 6, v0
	v_cmp_eq_u32_e64 s[4:5], v0, v22
	s_and_b64 vcc, exec, s[16:17]
	s_waitcnt lgkmcnt(0)
	s_barrier
	s_cbranch_vccz .LBB319_188
; %bb.167:
	v_mov_b32_dpp v22, v45 row_shr:1 row_mask:0xf bank_mask:0xf
	v_cndmask_b32_e64 v22, v22, 0, s[14:15]
	v_add_u32_e32 v22, v22, v45
	s_nop 1
	v_mov_b32_dpp v23, v22 row_shr:2 row_mask:0xf bank_mask:0xf
	v_cndmask_b32_e64 v23, 0, v23, s[12:13]
	v_add_u32_e32 v22, v22, v23
	s_nop 1
	;; [unrolled: 4-line block ×4, first 2 shown]
	v_mov_b32_dpp v23, v22 row_bcast:15 row_mask:0xf bank_mask:0xf
	v_cndmask_b32_e64 v23, v23, 0, s[6:7]
	v_add_u32_e32 v22, v22, v23
	s_nop 1
	v_mov_b32_dpp v23, v22 row_bcast:31 row_mask:0xf bank_mask:0xf
	v_cndmask_b32_e64 v23, 0, v23, s[18:19]
	v_add_u32_e32 v22, v22, v23
	s_and_saveexec_b64 s[16:17], s[4:5]
; %bb.168:
	v_lshlrev_b32_e32 v23, 2, v44
	ds_write_b32 v23, v22
; %bb.169:
	s_or_b64 exec, exec, s[16:17]
	v_cmp_gt_u32_e32 vcc, 8, v0
	s_waitcnt lgkmcnt(0)
	s_barrier
	s_and_saveexec_b64 s[16:17], vcc
	s_cbranch_execz .LBB319_171
; %bb.170:
	v_lshlrev_b32_e32 v23, 2, v0
	ds_read_b32 v24, v23
	v_and_b32_e32 v25, 7, v43
	v_cmp_ne_u32_e32 vcc, 0, v25
	s_waitcnt lgkmcnt(0)
	v_mov_b32_dpp v26, v24 row_shr:1 row_mask:0xf bank_mask:0xf
	v_cndmask_b32_e32 v26, 0, v26, vcc
	v_add_u32_e32 v24, v26, v24
	v_cmp_lt_u32_e32 vcc, 1, v25
	s_nop 0
	v_mov_b32_dpp v26, v24 row_shr:2 row_mask:0xf bank_mask:0xf
	v_cndmask_b32_e32 v26, 0, v26, vcc
	v_add_u32_e32 v24, v24, v26
	v_cmp_lt_u32_e32 vcc, 3, v25
	s_nop 0
	v_mov_b32_dpp v26, v24 row_shr:4 row_mask:0xf bank_mask:0xf
	v_cndmask_b32_e32 v25, 0, v26, vcc
	v_add_u32_e32 v24, v24, v25
	ds_write_b32 v23, v24
.LBB319_171:
	s_or_b64 exec, exec, s[16:17]
	v_cmp_gt_u32_e32 vcc, 64, v0
	v_cmp_lt_u32_e64 s[16:17], 63, v0
	s_waitcnt lgkmcnt(0)
	s_barrier
                                        ; implicit-def: $vgpr32
	s_and_saveexec_b64 s[20:21], s[16:17]
	s_cbranch_execz .LBB319_173
; %bb.172:
	v_lshl_add_u32 v23, v44, 2, -4
	ds_read_b32 v32, v23
	s_waitcnt lgkmcnt(0)
	v_add_u32_e32 v22, v32, v22
.LBB319_173:
	s_or_b64 exec, exec, s[20:21]
	v_subrev_co_u32_e64 v23, s[16:17], 1, v43
	v_and_b32_e32 v24, 64, v43
	v_cmp_lt_i32_e64 s[20:21], v23, v24
	s_nop 1
	v_cndmask_b32_e64 v23, v23, v43, s[20:21]
	v_lshlrev_b32_e32 v23, 2, v23
	ds_bpermute_b32 v34, v23, v22
	s_and_saveexec_b64 s[20:21], vcc
	s_cbranch_execz .LBB319_193
; %bb.174:
	v_mov_b32_e32 v29, 0
	ds_read_b32 v22, v29 offset:28
	s_and_saveexec_b64 s[30:31], s[16:17]
	s_cbranch_execz .LBB319_176
; %bb.175:
	s_add_i32 s36, s2, 64
	s_mov_b32 s37, 0
	s_lshl_b64 s[36:37], s[36:37], 3
	s_add_u32 s36, s22, s36
	v_mov_b32_e32 v23, 1
	s_addc_u32 s37, s23, s37
	s_waitcnt lgkmcnt(0)
	global_store_dwordx2 v29, v[22:23], s[36:37] sc1
.LBB319_176:
	s_or_b64 exec, exec, s[30:31]
	v_xad_u32 v24, v43, -1, s2
	v_add_u32_e32 v28, 64, v24
	v_lshl_add_u64 v[30:31], v[28:29], 3, s[22:23]
	global_load_dwordx2 v[26:27], v[30:31], off sc1
	s_waitcnt vmcnt(0)
	v_cmp_eq_u16_sdwa s[36:37], v27, v29 src0_sel:BYTE_0 src1_sel:DWORD
	s_and_saveexec_b64 s[30:31], s[36:37]
	s_cbranch_execz .LBB319_180
; %bb.177:
	s_mov_b64 s[36:37], 0
	v_mov_b32_e32 v23, 0
.LBB319_178:                            ; =>This Inner Loop Header: Depth=1
	global_load_dwordx2 v[26:27], v[30:31], off sc1
	s_waitcnt vmcnt(0)
	v_cmp_ne_u16_sdwa s[38:39], v27, v23 src0_sel:BYTE_0 src1_sel:DWORD
	s_or_b64 s[36:37], s[38:39], s[36:37]
	s_andn2_b64 exec, exec, s[36:37]
	s_cbranch_execnz .LBB319_178
; %bb.179:
	s_or_b64 exec, exec, s[36:37]
.LBB319_180:
	s_or_b64 exec, exec, s[30:31]
	v_and_b32_e32 v38, 63, v43
	v_mov_b32_e32 v36, 2
	v_cmp_ne_u32_e32 vcc, 63, v38
	v_cmp_eq_u16_sdwa s[30:31], v27, v36 src0_sel:BYTE_0 src1_sel:DWORD
	v_lshlrev_b64 v[28:29], v43, -1
	v_addc_co_u32_e32 v30, vcc, 0, v43, vcc
	v_and_b32_e32 v23, s31, v29
	v_lshlrev_b32_e32 v46, 2, v30
	v_or_b32_e32 v23, 0x80000000, v23
	ds_bpermute_b32 v30, v46, v26
	v_and_b32_e32 v25, s30, v28
	v_ffbl_b32_e32 v23, v23
	v_add_u32_e32 v23, 32, v23
	v_ffbl_b32_e32 v25, v25
	v_min_u32_e32 v23, v25, v23
	v_cmp_lt_u32_e32 vcc, v38, v23
	v_add_u32_e32 v48, 2, v38
	v_add_u32_e32 v50, 4, v38
	s_waitcnt lgkmcnt(0)
	v_cndmask_b32_e32 v25, 0, v30, vcc
	v_cmp_gt_u32_e32 vcc, 62, v38
	v_add_u32_e32 v25, v25, v26
	v_add_u32_e32 v52, 8, v38
	v_cndmask_b32_e64 v26, 0, 2, vcc
	v_add_lshl_u32 v47, v26, v43, 2
	ds_bpermute_b32 v26, v47, v25
	v_cmp_le_u32_e32 vcc, v48, v23
	v_add_u32_e32 v54, 16, v38
	v_add_u32_e32 v56, 32, v38
	s_waitcnt lgkmcnt(0)
	v_cndmask_b32_e32 v26, 0, v26, vcc
	v_cmp_gt_u32_e32 vcc, 60, v38
	v_add_u32_e32 v25, v25, v26
	s_nop 0
	v_cndmask_b32_e64 v26, 0, 4, vcc
	v_add_lshl_u32 v49, v26, v43, 2
	ds_bpermute_b32 v26, v49, v25
	v_cmp_le_u32_e32 vcc, v50, v23
	s_waitcnt lgkmcnt(0)
	s_nop 0
	v_cndmask_b32_e32 v26, 0, v26, vcc
	v_cmp_gt_u32_e32 vcc, 56, v38
	v_add_u32_e32 v25, v25, v26
	s_nop 0
	v_cndmask_b32_e64 v26, 0, 8, vcc
	v_add_lshl_u32 v51, v26, v43, 2
	ds_bpermute_b32 v26, v51, v25
	v_cmp_le_u32_e32 vcc, v52, v23
	s_waitcnt lgkmcnt(0)
	s_nop 0
	;; [unrolled: 10-line block ×3, first 2 shown]
	v_cndmask_b32_e32 v26, 0, v26, vcc
	v_add_u32_e32 v25, v25, v26
	v_mov_b32_e32 v26, 0x80
	v_lshl_or_b32 v55, v43, 2, v26
	ds_bpermute_b32 v26, v55, v25
	v_cmp_le_u32_e32 vcc, v56, v23
	s_waitcnt lgkmcnt(0)
	s_nop 0
	v_cndmask_b32_e32 v23, 0, v26, vcc
	v_add_u32_e32 v26, v25, v23
	v_mov_b32_e32 v25, 0
	s_branch .LBB319_183
.LBB319_181:                            ;   in Loop: Header=BB319_183 Depth=1
	s_or_b64 exec, exec, s[30:31]
	v_cmp_eq_u16_sdwa s[30:31], v27, v36 src0_sel:BYTE_0 src1_sel:DWORD
	ds_bpermute_b32 v57, v46, v26
	v_subrev_u32_e32 v24, 64, v24
	v_and_b32_e32 v30, s31, v29
	v_or_b32_e32 v30, 0x80000000, v30
	v_and_b32_e32 v31, s30, v28
	v_ffbl_b32_e32 v30, v30
	v_add_u32_e32 v30, 32, v30
	v_ffbl_b32_e32 v31, v31
	v_min_u32_e32 v30, v31, v30
	v_cmp_lt_u32_e32 vcc, v38, v30
	s_mov_b64 s[30:31], 0
	s_waitcnt lgkmcnt(0)
	v_cndmask_b32_e32 v31, 0, v57, vcc
	v_add_u32_e32 v26, v31, v26
	ds_bpermute_b32 v31, v47, v26
	v_cmp_le_u32_e32 vcc, v48, v30
	s_waitcnt lgkmcnt(0)
	s_nop 0
	v_cndmask_b32_e32 v31, 0, v31, vcc
	v_add_u32_e32 v26, v26, v31
	ds_bpermute_b32 v31, v49, v26
	v_cmp_le_u32_e32 vcc, v50, v30
	s_waitcnt lgkmcnt(0)
	s_nop 0
	;; [unrolled: 6-line block ×5, first 2 shown]
	v_cndmask_b32_e32 v30, 0, v31, vcc
	v_add3_u32 v26, v30, v23, v26
.LBB319_182:                            ;   in Loop: Header=BB319_183 Depth=1
	s_and_b64 vcc, exec, s[30:31]
	s_cbranch_vccnz .LBB319_189
.LBB319_183:                            ; =>This Loop Header: Depth=1
                                        ;     Child Loop BB319_186 Depth 2
	v_cmp_ne_u16_sdwa s[30:31], v27, v36 src0_sel:BYTE_0 src1_sel:DWORD
	v_mov_b32_e32 v23, v26
	s_cmp_lg_u64 s[30:31], exec
	s_mov_b64 s[30:31], -1
                                        ; implicit-def: $vgpr26
                                        ; implicit-def: $vgpr27
	s_cbranch_scc1 .LBB319_182
; %bb.184:                              ;   in Loop: Header=BB319_183 Depth=1
	v_lshl_add_u64 v[30:31], v[24:25], 3, s[22:23]
	global_load_dwordx2 v[26:27], v[30:31], off sc1
	s_waitcnt vmcnt(0)
	v_cmp_eq_u16_sdwa s[36:37], v27, v25 src0_sel:BYTE_0 src1_sel:DWORD
	s_and_saveexec_b64 s[30:31], s[36:37]
	s_cbranch_execz .LBB319_181
; %bb.185:                              ;   in Loop: Header=BB319_183 Depth=1
	s_mov_b64 s[36:37], 0
.LBB319_186:                            ;   Parent Loop BB319_183 Depth=1
                                        ; =>  This Inner Loop Header: Depth=2
	global_load_dwordx2 v[26:27], v[30:31], off sc1
	s_waitcnt vmcnt(0)
	v_cmp_ne_u16_sdwa s[38:39], v27, v25 src0_sel:BYTE_0 src1_sel:DWORD
	s_or_b64 s[36:37], s[38:39], s[36:37]
	s_andn2_b64 exec, exec, s[36:37]
	s_cbranch_execnz .LBB319_186
; %bb.187:                              ;   in Loop: Header=BB319_183 Depth=1
	s_or_b64 exec, exec, s[36:37]
	s_branch .LBB319_181
.LBB319_188:
                                        ; implicit-def: $vgpr26
                                        ; implicit-def: $vgpr28
                                        ; implicit-def: $vgpr30
                                        ; implicit-def: $vgpr32
                                        ; implicit-def: $vgpr34
                                        ; implicit-def: $vgpr36
                                        ; implicit-def: $vgpr38
                                        ; implicit-def: $vgpr24
                                        ; implicit-def: $vgpr22
	s_load_dwordx2 s[2:3], s[0:1], 0x28
	s_cbranch_execnz .LBB319_194
	s_branch .LBB319_203
.LBB319_189:
	s_and_saveexec_b64 s[30:31], s[16:17]
	s_cbranch_execz .LBB319_191
; %bb.190:
	s_add_i32 s2, s2, 64
	s_mov_b32 s3, 0
	s_lshl_b64 s[2:3], s[2:3], 3
	s_add_u32 s2, s22, s2
	v_add_u32_e32 v24, v23, v22
	v_mov_b32_e32 v25, 2
	s_addc_u32 s3, s23, s3
	v_mov_b32_e32 v26, 0
	global_store_dwordx2 v26, v[24:25], s[2:3] sc1
	ds_write_b64 v26, v[22:23] offset:28672
.LBB319_191:
	s_or_b64 exec, exec, s[30:31]
	v_cmp_eq_u32_e32 vcc, 0, v0
	s_and_b64 exec, exec, vcc
; %bb.192:
	v_mov_b32_e32 v22, 0
	ds_write_b32 v22, v23 offset:28
.LBB319_193:
	s_or_b64 exec, exec, s[20:21]
	v_mov_b32_e32 v22, 0
	s_waitcnt lgkmcnt(0)
	s_barrier
	ds_read_b32 v23, v22 offset:28
	v_cndmask_b32_e64 v24, v34, v32, s[16:17]
	v_cmp_ne_u32_e32 vcc, 0, v0
	s_waitcnt lgkmcnt(0)
	s_barrier
	v_cndmask_b32_e32 v24, 0, v24, vcc
	v_add_u32_e32 v38, v23, v24
	v_add_u32_e32 v36, v38, v1
	ds_read_b64 v[22:23], v22 offset:28672
	v_add_u32_e32 v34, v36, v21
	v_add_u32_e32 v32, v34, v33
	;; [unrolled: 1-line block ×5, first 2 shown]
	s_waitcnt lgkmcnt(0)
	v_mov_b32_e32 v24, v23
	s_load_dwordx2 s[2:3], s[0:1], 0x28
	s_branch .LBB319_203
.LBB319_194:
	v_mov_b32_dpp v22, v45 row_shr:1 row_mask:0xf bank_mask:0xf
	v_cndmask_b32_e64 v22, v22, 0, s[14:15]
	v_add_u32_e32 v22, v22, v45
	s_nop 1
	v_mov_b32_dpp v23, v22 row_shr:2 row_mask:0xf bank_mask:0xf
	v_cndmask_b32_e64 v23, 0, v23, s[12:13]
	v_add_u32_e32 v22, v22, v23
	s_nop 1
	;; [unrolled: 4-line block ×4, first 2 shown]
	v_mov_b32_dpp v23, v22 row_bcast:15 row_mask:0xf bank_mask:0xf
	v_cndmask_b32_e64 v23, v23, 0, s[6:7]
	v_add_u32_e32 v22, v22, v23
	s_nop 1
	v_mov_b32_dpp v23, v22 row_bcast:31 row_mask:0xf bank_mask:0xf
	v_cndmask_b32_e64 v23, 0, v23, s[18:19]
	v_add_u32_e32 v22, v22, v23
	s_and_saveexec_b64 s[0:1], s[4:5]
; %bb.195:
	v_lshlrev_b32_e32 v23, 2, v44
	ds_write_b32 v23, v22
; %bb.196:
	s_or_b64 exec, exec, s[0:1]
	v_cmp_gt_u32_e32 vcc, 8, v0
	s_waitcnt lgkmcnt(0)
	s_barrier
	s_and_saveexec_b64 s[0:1], vcc
	s_cbranch_execz .LBB319_198
; %bb.197:
	v_lshlrev_b32_e32 v23, 2, v0
	ds_read_b32 v24, v23
	v_and_b32_e32 v25, 7, v43
	v_cmp_ne_u32_e32 vcc, 0, v25
	s_waitcnt lgkmcnt(0)
	v_mov_b32_dpp v26, v24 row_shr:1 row_mask:0xf bank_mask:0xf
	v_cndmask_b32_e32 v26, 0, v26, vcc
	v_add_u32_e32 v24, v26, v24
	v_cmp_lt_u32_e32 vcc, 1, v25
	s_nop 0
	v_mov_b32_dpp v26, v24 row_shr:2 row_mask:0xf bank_mask:0xf
	v_cndmask_b32_e32 v26, 0, v26, vcc
	v_add_u32_e32 v24, v24, v26
	v_cmp_lt_u32_e32 vcc, 3, v25
	s_nop 0
	v_mov_b32_dpp v26, v24 row_shr:4 row_mask:0xf bank_mask:0xf
	v_cndmask_b32_e32 v25, 0, v26, vcc
	v_add_u32_e32 v24, v24, v25
	ds_write_b32 v23, v24
.LBB319_198:
	s_or_b64 exec, exec, s[0:1]
	v_cmp_lt_u32_e32 vcc, 63, v0
	v_mov_b32_e32 v23, 0
	v_mov_b32_e32 v24, 0
	s_waitcnt lgkmcnt(0)
	s_barrier
	s_and_saveexec_b64 s[0:1], vcc
; %bb.199:
	v_lshl_add_u32 v24, v44, 2, -4
	ds_read_b32 v24, v24
; %bb.200:
	s_or_b64 exec, exec, s[0:1]
	v_subrev_co_u32_e32 v25, vcc, 1, v43
	v_and_b32_e32 v26, 64, v43
	v_cmp_lt_i32_e64 s[0:1], v25, v26
	s_waitcnt lgkmcnt(0)
	v_add_u32_e32 v22, v24, v22
	v_cndmask_b32_e64 v25, v25, v43, s[0:1]
	v_lshlrev_b32_e32 v25, 2, v25
	ds_bpermute_b32 v25, v25, v22
	ds_read_b32 v22, v23 offset:28
	v_cmp_eq_u32_e64 s[0:1], 0, v0
	s_and_saveexec_b64 s[4:5], s[0:1]
	s_cbranch_execz .LBB319_202
; %bb.201:
	v_mov_b32_e32 v26, 0
	v_mov_b32_e32 v23, 2
	s_waitcnt lgkmcnt(0)
	global_store_dwordx2 v26, v[22:23], s[22:23] offset:512 sc1
.LBB319_202:
	s_or_b64 exec, exec, s[4:5]
	s_waitcnt lgkmcnt(1)
	v_cndmask_b32_e32 v23, v25, v24, vcc
	v_cndmask_b32_e64 v38, v23, 0, s[0:1]
	v_add_u32_e32 v36, v38, v1
	v_add_u32_e32 v34, v36, v21
	;; [unrolled: 1-line block ×6, first 2 shown]
	s_waitcnt lgkmcnt(0)
	s_barrier
	v_mov_b32_e32 v24, 0
.LBB319_203:
	s_movk_i32 s0, 0x201
	v_cmp_gt_u32_e32 vcc, s0, v22
	v_and_b32_e32 v1, 1, v16
	s_mov_b64 s[4:5], -1
	v_cmp_eq_u32_e64 s[0:1], 1, v1
	s_cbranch_vccnz .LBB319_207
; %bb.204:
	s_and_b64 vcc, exec, s[4:5]
	s_cbranch_vccnz .LBB319_222
.LBB319_205:
	v_cmp_eq_u32_e32 vcc, 0, v0
	s_and_b64 s[0:1], vcc, s[28:29]
	s_waitcnt lgkmcnt(0)
	s_and_saveexec_b64 s[2:3], s[0:1]
	s_cbranch_execnz .LBB319_239
.LBB319_206:
	s_endpgm
.LBB319_207:
	v_add_u32_e32 v16, v24, v22
	v_cmp_lt_u32_e32 vcc, v38, v16
	s_or_b64 s[4:5], s[34:35], vcc
	s_and_b64 s[4:5], s[4:5], s[0:1]
	s_and_saveexec_b64 s[0:1], s[4:5]
	s_cbranch_execz .LBB319_209
; %bb.208:
	s_lshl_b64 s[4:5], s[26:27], 3
	s_waitcnt lgkmcnt(0)
	s_add_u32 s4, s2, s4
	s_addc_u32 s5, s3, s5
	v_mov_b32_e32 v39, 0
	v_lshl_add_u64 v[44:45], v[38:39], 3, s[4:5]
	global_store_dwordx2 v[44:45], v[10:11], off
.LBB319_209:
	s_or_b64 exec, exec, s[0:1]
	v_cmp_lt_u32_e32 vcc, v36, v16
	v_and_b32_e32 v21, 1, v42
	s_or_b64 s[0:1], s[34:35], vcc
	v_cmp_eq_u32_e32 vcc, 1, v21
	s_and_b64 s[4:5], s[0:1], vcc
	s_and_saveexec_b64 s[0:1], s[4:5]
	s_cbranch_execz .LBB319_211
; %bb.210:
	s_lshl_b64 s[4:5], s[26:27], 3
	s_waitcnt lgkmcnt(0)
	s_add_u32 s4, s2, s4
	s_addc_u32 s5, s3, s5
	v_mov_b32_e32 v37, 0
	v_lshl_add_u64 v[44:45], v[36:37], 3, s[4:5]
	global_store_dwordx2 v[44:45], v[12:13], off
.LBB319_211:
	s_or_b64 exec, exec, s[0:1]
	v_cmp_lt_u32_e32 vcc, v34, v16
	v_and_b32_e32 v21, 1, v41
	s_or_b64 s[0:1], s[34:35], vcc
	v_cmp_eq_u32_e32 vcc, 1, v21
	s_and_b64 s[4:5], s[0:1], vcc
	;; [unrolled: 17-line block ×6, first 2 shown]
	s_and_saveexec_b64 s[0:1], s[4:5]
	s_cbranch_execz .LBB319_221
; %bb.220:
	s_lshl_b64 s[4:5], s[26:27], 3
	s_waitcnt lgkmcnt(0)
	s_add_u32 s4, s2, s4
	s_addc_u32 s5, s3, s5
	v_mov_b32_e32 v27, 0
	v_lshl_add_u64 v[44:45], v[26:27], 3, s[4:5]
	global_store_dwordx2 v[44:45], v[14:15], off
.LBB319_221:
	s_or_b64 exec, exec, s[0:1]
	s_branch .LBB319_205
.LBB319_222:
	v_cmp_eq_u32_e32 vcc, 1, v1
	s_and_saveexec_b64 s[0:1], vcc
; %bb.223:
	v_sub_u32_e32 v1, v38, v24
	v_lshlrev_b32_e32 v1, 3, v1
	ds_write_b64 v1, v[10:11]
; %bb.224:
	s_or_b64 exec, exec, s[0:1]
	v_and_b32_e32 v1, 1, v42
	v_cmp_eq_u32_e32 vcc, 1, v1
	s_and_saveexec_b64 s[0:1], vcc
; %bb.225:
	v_sub_u32_e32 v1, v36, v24
	v_lshlrev_b32_e32 v1, 3, v1
	ds_write_b64 v1, v[12:13]
; %bb.226:
	s_or_b64 exec, exec, s[0:1]
	v_and_b32_e32 v1, 1, v41
	;; [unrolled: 9-line block ×6, first 2 shown]
	v_cmp_eq_u32_e32 vcc, 1, v1
	s_and_saveexec_b64 s[0:1], vcc
; %bb.235:
	v_sub_u32_e32 v1, v26, v24
	v_lshlrev_b32_e32 v1, 3, v1
	ds_write_b64 v1, v[14:15]
; %bb.236:
	s_or_b64 exec, exec, s[0:1]
	v_mov_b32_e32 v25, 0
	s_lshl_b64 s[0:1], s[26:27], 3
	v_lshlrev_b64 v[2:3], 3, v[24:25]
	v_lshl_add_u64 v[2:3], s[0:1], 0, v[2:3]
	v_mov_b32_e32 v19, v25
	s_waitcnt lgkmcnt(0)
	v_lshl_add_u64 v[2:3], s[2:3], 0, v[2:3]
	v_lshl_add_u64 v[2:3], v[2:3], 0, v[18:19]
	s_mov_b64 s[0:1], 0
	s_mov_b64 s[2:3], 0x1000
	v_mov_b32_e32 v1, v0
	s_barrier
.LBB319_237:                            ; =>This Inner Loop Header: Depth=1
	ds_read_b64 v[4:5], v18
	v_add_u32_e32 v1, 0x200, v1
	v_cmp_ge_u32_e32 vcc, v1, v22
	v_add_u32_e32 v18, 0x1000, v18
	s_or_b64 s[0:1], vcc, s[0:1]
	s_waitcnt lgkmcnt(0)
	global_store_dwordx2 v[2:3], v[4:5], off
	v_lshl_add_u64 v[2:3], v[2:3], 0, s[2:3]
	s_andn2_b64 exec, exec, s[0:1]
	s_cbranch_execnz .LBB319_237
; %bb.238:
	s_or_b64 exec, exec, s[0:1]
	v_cmp_eq_u32_e32 vcc, 0, v0
	s_and_b64 s[0:1], vcc, s[28:29]
	s_and_saveexec_b64 s[2:3], s[0:1]
	s_cbranch_execz .LBB319_206
.LBB319_239:
	v_mov_b32_e32 v23, 0
	v_lshl_add_u64 v[0:1], s[26:27], 0, v[22:23]
	v_mov_b32_e32 v25, v23
	v_lshl_add_u64 v[0:1], v[0:1], 0, v[24:25]
	global_store_dwordx2 v23, v[0:1], s[24:25]
	s_endpgm
	.section	.rodata,"a",@progbits
	.p2align	6, 0x0
	.amdhsa_kernel _ZN7rocprim17ROCPRIM_400000_NS6detail17trampoline_kernelINS0_14default_configENS1_25partition_config_selectorILNS1_17partition_subalgoE8ElNS0_10empty_typeEbEEZZNS1_14partition_implILS5_8ELb0ES3_jPlPS6_PKS6_NS0_5tupleIJS9_S6_EEENSD_IJSA_SA_EEENS0_18inequality_wrapperIZN2at6native12_GLOBAL__N_124unique_dim_cuda_templateIaEESt5tupleIJNSH_6TensorESM_SM_EERKSM_lbbbEUlllE0_EEPmJS6_EEE10hipError_tPvRmT3_T4_T5_T6_T7_T9_mT8_P12ihipStream_tbDpT10_ENKUlT_T0_E_clISt17integral_constantIbLb0EES1C_EEDaS17_S18_EUlS17_E_NS1_11comp_targetILNS1_3genE0ELNS1_11target_archE4294967295ELNS1_3gpuE0ELNS1_3repE0EEENS1_30default_config_static_selectorELNS0_4arch9wavefront6targetE1EEEvT1_
		.amdhsa_group_segment_fixed_size 28680
		.amdhsa_private_segment_fixed_size 0
		.amdhsa_kernarg_size 120
		.amdhsa_user_sgpr_count 2
		.amdhsa_user_sgpr_dispatch_ptr 0
		.amdhsa_user_sgpr_queue_ptr 0
		.amdhsa_user_sgpr_kernarg_segment_ptr 1
		.amdhsa_user_sgpr_dispatch_id 0
		.amdhsa_user_sgpr_kernarg_preload_length 0
		.amdhsa_user_sgpr_kernarg_preload_offset 0
		.amdhsa_user_sgpr_private_segment_size 0
		.amdhsa_uses_dynamic_stack 0
		.amdhsa_enable_private_segment 0
		.amdhsa_system_sgpr_workgroup_id_x 1
		.amdhsa_system_sgpr_workgroup_id_y 0
		.amdhsa_system_sgpr_workgroup_id_z 0
		.amdhsa_system_sgpr_workgroup_info 0
		.amdhsa_system_vgpr_workitem_id 0
		.amdhsa_next_free_vgpr 58
		.amdhsa_next_free_sgpr 50
		.amdhsa_accum_offset 60
		.amdhsa_reserve_vcc 1
		.amdhsa_float_round_mode_32 0
		.amdhsa_float_round_mode_16_64 0
		.amdhsa_float_denorm_mode_32 3
		.amdhsa_float_denorm_mode_16_64 3
		.amdhsa_dx10_clamp 1
		.amdhsa_ieee_mode 1
		.amdhsa_fp16_overflow 0
		.amdhsa_tg_split 0
		.amdhsa_exception_fp_ieee_invalid_op 0
		.amdhsa_exception_fp_denorm_src 0
		.amdhsa_exception_fp_ieee_div_zero 0
		.amdhsa_exception_fp_ieee_overflow 0
		.amdhsa_exception_fp_ieee_underflow 0
		.amdhsa_exception_fp_ieee_inexact 0
		.amdhsa_exception_int_div_zero 0
	.end_amdhsa_kernel
	.section	.text._ZN7rocprim17ROCPRIM_400000_NS6detail17trampoline_kernelINS0_14default_configENS1_25partition_config_selectorILNS1_17partition_subalgoE8ElNS0_10empty_typeEbEEZZNS1_14partition_implILS5_8ELb0ES3_jPlPS6_PKS6_NS0_5tupleIJS9_S6_EEENSD_IJSA_SA_EEENS0_18inequality_wrapperIZN2at6native12_GLOBAL__N_124unique_dim_cuda_templateIaEESt5tupleIJNSH_6TensorESM_SM_EERKSM_lbbbEUlllE0_EEPmJS6_EEE10hipError_tPvRmT3_T4_T5_T6_T7_T9_mT8_P12ihipStream_tbDpT10_ENKUlT_T0_E_clISt17integral_constantIbLb0EES1C_EEDaS17_S18_EUlS17_E_NS1_11comp_targetILNS1_3genE0ELNS1_11target_archE4294967295ELNS1_3gpuE0ELNS1_3repE0EEENS1_30default_config_static_selectorELNS0_4arch9wavefront6targetE1EEEvT1_,"axG",@progbits,_ZN7rocprim17ROCPRIM_400000_NS6detail17trampoline_kernelINS0_14default_configENS1_25partition_config_selectorILNS1_17partition_subalgoE8ElNS0_10empty_typeEbEEZZNS1_14partition_implILS5_8ELb0ES3_jPlPS6_PKS6_NS0_5tupleIJS9_S6_EEENSD_IJSA_SA_EEENS0_18inequality_wrapperIZN2at6native12_GLOBAL__N_124unique_dim_cuda_templateIaEESt5tupleIJNSH_6TensorESM_SM_EERKSM_lbbbEUlllE0_EEPmJS6_EEE10hipError_tPvRmT3_T4_T5_T6_T7_T9_mT8_P12ihipStream_tbDpT10_ENKUlT_T0_E_clISt17integral_constantIbLb0EES1C_EEDaS17_S18_EUlS17_E_NS1_11comp_targetILNS1_3genE0ELNS1_11target_archE4294967295ELNS1_3gpuE0ELNS1_3repE0EEENS1_30default_config_static_selectorELNS0_4arch9wavefront6targetE1EEEvT1_,comdat
.Lfunc_end319:
	.size	_ZN7rocprim17ROCPRIM_400000_NS6detail17trampoline_kernelINS0_14default_configENS1_25partition_config_selectorILNS1_17partition_subalgoE8ElNS0_10empty_typeEbEEZZNS1_14partition_implILS5_8ELb0ES3_jPlPS6_PKS6_NS0_5tupleIJS9_S6_EEENSD_IJSA_SA_EEENS0_18inequality_wrapperIZN2at6native12_GLOBAL__N_124unique_dim_cuda_templateIaEESt5tupleIJNSH_6TensorESM_SM_EERKSM_lbbbEUlllE0_EEPmJS6_EEE10hipError_tPvRmT3_T4_T5_T6_T7_T9_mT8_P12ihipStream_tbDpT10_ENKUlT_T0_E_clISt17integral_constantIbLb0EES1C_EEDaS17_S18_EUlS17_E_NS1_11comp_targetILNS1_3genE0ELNS1_11target_archE4294967295ELNS1_3gpuE0ELNS1_3repE0EEENS1_30default_config_static_selectorELNS0_4arch9wavefront6targetE1EEEvT1_, .Lfunc_end319-_ZN7rocprim17ROCPRIM_400000_NS6detail17trampoline_kernelINS0_14default_configENS1_25partition_config_selectorILNS1_17partition_subalgoE8ElNS0_10empty_typeEbEEZZNS1_14partition_implILS5_8ELb0ES3_jPlPS6_PKS6_NS0_5tupleIJS9_S6_EEENSD_IJSA_SA_EEENS0_18inequality_wrapperIZN2at6native12_GLOBAL__N_124unique_dim_cuda_templateIaEESt5tupleIJNSH_6TensorESM_SM_EERKSM_lbbbEUlllE0_EEPmJS6_EEE10hipError_tPvRmT3_T4_T5_T6_T7_T9_mT8_P12ihipStream_tbDpT10_ENKUlT_T0_E_clISt17integral_constantIbLb0EES1C_EEDaS17_S18_EUlS17_E_NS1_11comp_targetILNS1_3genE0ELNS1_11target_archE4294967295ELNS1_3gpuE0ELNS1_3repE0EEENS1_30default_config_static_selectorELNS0_4arch9wavefront6targetE1EEEvT1_
                                        ; -- End function
	.set _ZN7rocprim17ROCPRIM_400000_NS6detail17trampoline_kernelINS0_14default_configENS1_25partition_config_selectorILNS1_17partition_subalgoE8ElNS0_10empty_typeEbEEZZNS1_14partition_implILS5_8ELb0ES3_jPlPS6_PKS6_NS0_5tupleIJS9_S6_EEENSD_IJSA_SA_EEENS0_18inequality_wrapperIZN2at6native12_GLOBAL__N_124unique_dim_cuda_templateIaEESt5tupleIJNSH_6TensorESM_SM_EERKSM_lbbbEUlllE0_EEPmJS6_EEE10hipError_tPvRmT3_T4_T5_T6_T7_T9_mT8_P12ihipStream_tbDpT10_ENKUlT_T0_E_clISt17integral_constantIbLb0EES1C_EEDaS17_S18_EUlS17_E_NS1_11comp_targetILNS1_3genE0ELNS1_11target_archE4294967295ELNS1_3gpuE0ELNS1_3repE0EEENS1_30default_config_static_selectorELNS0_4arch9wavefront6targetE1EEEvT1_.num_vgpr, 58
	.set _ZN7rocprim17ROCPRIM_400000_NS6detail17trampoline_kernelINS0_14default_configENS1_25partition_config_selectorILNS1_17partition_subalgoE8ElNS0_10empty_typeEbEEZZNS1_14partition_implILS5_8ELb0ES3_jPlPS6_PKS6_NS0_5tupleIJS9_S6_EEENSD_IJSA_SA_EEENS0_18inequality_wrapperIZN2at6native12_GLOBAL__N_124unique_dim_cuda_templateIaEESt5tupleIJNSH_6TensorESM_SM_EERKSM_lbbbEUlllE0_EEPmJS6_EEE10hipError_tPvRmT3_T4_T5_T6_T7_T9_mT8_P12ihipStream_tbDpT10_ENKUlT_T0_E_clISt17integral_constantIbLb0EES1C_EEDaS17_S18_EUlS17_E_NS1_11comp_targetILNS1_3genE0ELNS1_11target_archE4294967295ELNS1_3gpuE0ELNS1_3repE0EEENS1_30default_config_static_selectorELNS0_4arch9wavefront6targetE1EEEvT1_.num_agpr, 0
	.set _ZN7rocprim17ROCPRIM_400000_NS6detail17trampoline_kernelINS0_14default_configENS1_25partition_config_selectorILNS1_17partition_subalgoE8ElNS0_10empty_typeEbEEZZNS1_14partition_implILS5_8ELb0ES3_jPlPS6_PKS6_NS0_5tupleIJS9_S6_EEENSD_IJSA_SA_EEENS0_18inequality_wrapperIZN2at6native12_GLOBAL__N_124unique_dim_cuda_templateIaEESt5tupleIJNSH_6TensorESM_SM_EERKSM_lbbbEUlllE0_EEPmJS6_EEE10hipError_tPvRmT3_T4_T5_T6_T7_T9_mT8_P12ihipStream_tbDpT10_ENKUlT_T0_E_clISt17integral_constantIbLb0EES1C_EEDaS17_S18_EUlS17_E_NS1_11comp_targetILNS1_3genE0ELNS1_11target_archE4294967295ELNS1_3gpuE0ELNS1_3repE0EEENS1_30default_config_static_selectorELNS0_4arch9wavefront6targetE1EEEvT1_.numbered_sgpr, 50
	.set _ZN7rocprim17ROCPRIM_400000_NS6detail17trampoline_kernelINS0_14default_configENS1_25partition_config_selectorILNS1_17partition_subalgoE8ElNS0_10empty_typeEbEEZZNS1_14partition_implILS5_8ELb0ES3_jPlPS6_PKS6_NS0_5tupleIJS9_S6_EEENSD_IJSA_SA_EEENS0_18inequality_wrapperIZN2at6native12_GLOBAL__N_124unique_dim_cuda_templateIaEESt5tupleIJNSH_6TensorESM_SM_EERKSM_lbbbEUlllE0_EEPmJS6_EEE10hipError_tPvRmT3_T4_T5_T6_T7_T9_mT8_P12ihipStream_tbDpT10_ENKUlT_T0_E_clISt17integral_constantIbLb0EES1C_EEDaS17_S18_EUlS17_E_NS1_11comp_targetILNS1_3genE0ELNS1_11target_archE4294967295ELNS1_3gpuE0ELNS1_3repE0EEENS1_30default_config_static_selectorELNS0_4arch9wavefront6targetE1EEEvT1_.num_named_barrier, 0
	.set _ZN7rocprim17ROCPRIM_400000_NS6detail17trampoline_kernelINS0_14default_configENS1_25partition_config_selectorILNS1_17partition_subalgoE8ElNS0_10empty_typeEbEEZZNS1_14partition_implILS5_8ELb0ES3_jPlPS6_PKS6_NS0_5tupleIJS9_S6_EEENSD_IJSA_SA_EEENS0_18inequality_wrapperIZN2at6native12_GLOBAL__N_124unique_dim_cuda_templateIaEESt5tupleIJNSH_6TensorESM_SM_EERKSM_lbbbEUlllE0_EEPmJS6_EEE10hipError_tPvRmT3_T4_T5_T6_T7_T9_mT8_P12ihipStream_tbDpT10_ENKUlT_T0_E_clISt17integral_constantIbLb0EES1C_EEDaS17_S18_EUlS17_E_NS1_11comp_targetILNS1_3genE0ELNS1_11target_archE4294967295ELNS1_3gpuE0ELNS1_3repE0EEENS1_30default_config_static_selectorELNS0_4arch9wavefront6targetE1EEEvT1_.private_seg_size, 0
	.set _ZN7rocprim17ROCPRIM_400000_NS6detail17trampoline_kernelINS0_14default_configENS1_25partition_config_selectorILNS1_17partition_subalgoE8ElNS0_10empty_typeEbEEZZNS1_14partition_implILS5_8ELb0ES3_jPlPS6_PKS6_NS0_5tupleIJS9_S6_EEENSD_IJSA_SA_EEENS0_18inequality_wrapperIZN2at6native12_GLOBAL__N_124unique_dim_cuda_templateIaEESt5tupleIJNSH_6TensorESM_SM_EERKSM_lbbbEUlllE0_EEPmJS6_EEE10hipError_tPvRmT3_T4_T5_T6_T7_T9_mT8_P12ihipStream_tbDpT10_ENKUlT_T0_E_clISt17integral_constantIbLb0EES1C_EEDaS17_S18_EUlS17_E_NS1_11comp_targetILNS1_3genE0ELNS1_11target_archE4294967295ELNS1_3gpuE0ELNS1_3repE0EEENS1_30default_config_static_selectorELNS0_4arch9wavefront6targetE1EEEvT1_.uses_vcc, 1
	.set _ZN7rocprim17ROCPRIM_400000_NS6detail17trampoline_kernelINS0_14default_configENS1_25partition_config_selectorILNS1_17partition_subalgoE8ElNS0_10empty_typeEbEEZZNS1_14partition_implILS5_8ELb0ES3_jPlPS6_PKS6_NS0_5tupleIJS9_S6_EEENSD_IJSA_SA_EEENS0_18inequality_wrapperIZN2at6native12_GLOBAL__N_124unique_dim_cuda_templateIaEESt5tupleIJNSH_6TensorESM_SM_EERKSM_lbbbEUlllE0_EEPmJS6_EEE10hipError_tPvRmT3_T4_T5_T6_T7_T9_mT8_P12ihipStream_tbDpT10_ENKUlT_T0_E_clISt17integral_constantIbLb0EES1C_EEDaS17_S18_EUlS17_E_NS1_11comp_targetILNS1_3genE0ELNS1_11target_archE4294967295ELNS1_3gpuE0ELNS1_3repE0EEENS1_30default_config_static_selectorELNS0_4arch9wavefront6targetE1EEEvT1_.uses_flat_scratch, 0
	.set _ZN7rocprim17ROCPRIM_400000_NS6detail17trampoline_kernelINS0_14default_configENS1_25partition_config_selectorILNS1_17partition_subalgoE8ElNS0_10empty_typeEbEEZZNS1_14partition_implILS5_8ELb0ES3_jPlPS6_PKS6_NS0_5tupleIJS9_S6_EEENSD_IJSA_SA_EEENS0_18inequality_wrapperIZN2at6native12_GLOBAL__N_124unique_dim_cuda_templateIaEESt5tupleIJNSH_6TensorESM_SM_EERKSM_lbbbEUlllE0_EEPmJS6_EEE10hipError_tPvRmT3_T4_T5_T6_T7_T9_mT8_P12ihipStream_tbDpT10_ENKUlT_T0_E_clISt17integral_constantIbLb0EES1C_EEDaS17_S18_EUlS17_E_NS1_11comp_targetILNS1_3genE0ELNS1_11target_archE4294967295ELNS1_3gpuE0ELNS1_3repE0EEENS1_30default_config_static_selectorELNS0_4arch9wavefront6targetE1EEEvT1_.has_dyn_sized_stack, 0
	.set _ZN7rocprim17ROCPRIM_400000_NS6detail17trampoline_kernelINS0_14default_configENS1_25partition_config_selectorILNS1_17partition_subalgoE8ElNS0_10empty_typeEbEEZZNS1_14partition_implILS5_8ELb0ES3_jPlPS6_PKS6_NS0_5tupleIJS9_S6_EEENSD_IJSA_SA_EEENS0_18inequality_wrapperIZN2at6native12_GLOBAL__N_124unique_dim_cuda_templateIaEESt5tupleIJNSH_6TensorESM_SM_EERKSM_lbbbEUlllE0_EEPmJS6_EEE10hipError_tPvRmT3_T4_T5_T6_T7_T9_mT8_P12ihipStream_tbDpT10_ENKUlT_T0_E_clISt17integral_constantIbLb0EES1C_EEDaS17_S18_EUlS17_E_NS1_11comp_targetILNS1_3genE0ELNS1_11target_archE4294967295ELNS1_3gpuE0ELNS1_3repE0EEENS1_30default_config_static_selectorELNS0_4arch9wavefront6targetE1EEEvT1_.has_recursion, 0
	.set _ZN7rocprim17ROCPRIM_400000_NS6detail17trampoline_kernelINS0_14default_configENS1_25partition_config_selectorILNS1_17partition_subalgoE8ElNS0_10empty_typeEbEEZZNS1_14partition_implILS5_8ELb0ES3_jPlPS6_PKS6_NS0_5tupleIJS9_S6_EEENSD_IJSA_SA_EEENS0_18inequality_wrapperIZN2at6native12_GLOBAL__N_124unique_dim_cuda_templateIaEESt5tupleIJNSH_6TensorESM_SM_EERKSM_lbbbEUlllE0_EEPmJS6_EEE10hipError_tPvRmT3_T4_T5_T6_T7_T9_mT8_P12ihipStream_tbDpT10_ENKUlT_T0_E_clISt17integral_constantIbLb0EES1C_EEDaS17_S18_EUlS17_E_NS1_11comp_targetILNS1_3genE0ELNS1_11target_archE4294967295ELNS1_3gpuE0ELNS1_3repE0EEENS1_30default_config_static_selectorELNS0_4arch9wavefront6targetE1EEEvT1_.has_indirect_call, 0
	.section	.AMDGPU.csdata,"",@progbits
; Kernel info:
; codeLenInByte = 10560
; TotalNumSgprs: 56
; NumVgprs: 58
; NumAgprs: 0
; TotalNumVgprs: 58
; ScratchSize: 0
; MemoryBound: 0
; FloatMode: 240
; IeeeMode: 1
; LDSByteSize: 28680 bytes/workgroup (compile time only)
; SGPRBlocks: 6
; VGPRBlocks: 7
; NumSGPRsForWavesPerEU: 56
; NumVGPRsForWavesPerEU: 58
; AccumOffset: 60
; Occupancy: 8
; WaveLimiterHint : 1
; COMPUTE_PGM_RSRC2:SCRATCH_EN: 0
; COMPUTE_PGM_RSRC2:USER_SGPR: 2
; COMPUTE_PGM_RSRC2:TRAP_HANDLER: 0
; COMPUTE_PGM_RSRC2:TGID_X_EN: 1
; COMPUTE_PGM_RSRC2:TGID_Y_EN: 0
; COMPUTE_PGM_RSRC2:TGID_Z_EN: 0
; COMPUTE_PGM_RSRC2:TIDIG_COMP_CNT: 0
; COMPUTE_PGM_RSRC3_GFX90A:ACCUM_OFFSET: 14
; COMPUTE_PGM_RSRC3_GFX90A:TG_SPLIT: 0
	.section	.text._ZN7rocprim17ROCPRIM_400000_NS6detail17trampoline_kernelINS0_14default_configENS1_25partition_config_selectorILNS1_17partition_subalgoE8ElNS0_10empty_typeEbEEZZNS1_14partition_implILS5_8ELb0ES3_jPlPS6_PKS6_NS0_5tupleIJS9_S6_EEENSD_IJSA_SA_EEENS0_18inequality_wrapperIZN2at6native12_GLOBAL__N_124unique_dim_cuda_templateIaEESt5tupleIJNSH_6TensorESM_SM_EERKSM_lbbbEUlllE0_EEPmJS6_EEE10hipError_tPvRmT3_T4_T5_T6_T7_T9_mT8_P12ihipStream_tbDpT10_ENKUlT_T0_E_clISt17integral_constantIbLb0EES1C_EEDaS17_S18_EUlS17_E_NS1_11comp_targetILNS1_3genE5ELNS1_11target_archE942ELNS1_3gpuE9ELNS1_3repE0EEENS1_30default_config_static_selectorELNS0_4arch9wavefront6targetE1EEEvT1_,"axG",@progbits,_ZN7rocprim17ROCPRIM_400000_NS6detail17trampoline_kernelINS0_14default_configENS1_25partition_config_selectorILNS1_17partition_subalgoE8ElNS0_10empty_typeEbEEZZNS1_14partition_implILS5_8ELb0ES3_jPlPS6_PKS6_NS0_5tupleIJS9_S6_EEENSD_IJSA_SA_EEENS0_18inequality_wrapperIZN2at6native12_GLOBAL__N_124unique_dim_cuda_templateIaEESt5tupleIJNSH_6TensorESM_SM_EERKSM_lbbbEUlllE0_EEPmJS6_EEE10hipError_tPvRmT3_T4_T5_T6_T7_T9_mT8_P12ihipStream_tbDpT10_ENKUlT_T0_E_clISt17integral_constantIbLb0EES1C_EEDaS17_S18_EUlS17_E_NS1_11comp_targetILNS1_3genE5ELNS1_11target_archE942ELNS1_3gpuE9ELNS1_3repE0EEENS1_30default_config_static_selectorELNS0_4arch9wavefront6targetE1EEEvT1_,comdat
	.globl	_ZN7rocprim17ROCPRIM_400000_NS6detail17trampoline_kernelINS0_14default_configENS1_25partition_config_selectorILNS1_17partition_subalgoE8ElNS0_10empty_typeEbEEZZNS1_14partition_implILS5_8ELb0ES3_jPlPS6_PKS6_NS0_5tupleIJS9_S6_EEENSD_IJSA_SA_EEENS0_18inequality_wrapperIZN2at6native12_GLOBAL__N_124unique_dim_cuda_templateIaEESt5tupleIJNSH_6TensorESM_SM_EERKSM_lbbbEUlllE0_EEPmJS6_EEE10hipError_tPvRmT3_T4_T5_T6_T7_T9_mT8_P12ihipStream_tbDpT10_ENKUlT_T0_E_clISt17integral_constantIbLb0EES1C_EEDaS17_S18_EUlS17_E_NS1_11comp_targetILNS1_3genE5ELNS1_11target_archE942ELNS1_3gpuE9ELNS1_3repE0EEENS1_30default_config_static_selectorELNS0_4arch9wavefront6targetE1EEEvT1_ ; -- Begin function _ZN7rocprim17ROCPRIM_400000_NS6detail17trampoline_kernelINS0_14default_configENS1_25partition_config_selectorILNS1_17partition_subalgoE8ElNS0_10empty_typeEbEEZZNS1_14partition_implILS5_8ELb0ES3_jPlPS6_PKS6_NS0_5tupleIJS9_S6_EEENSD_IJSA_SA_EEENS0_18inequality_wrapperIZN2at6native12_GLOBAL__N_124unique_dim_cuda_templateIaEESt5tupleIJNSH_6TensorESM_SM_EERKSM_lbbbEUlllE0_EEPmJS6_EEE10hipError_tPvRmT3_T4_T5_T6_T7_T9_mT8_P12ihipStream_tbDpT10_ENKUlT_T0_E_clISt17integral_constantIbLb0EES1C_EEDaS17_S18_EUlS17_E_NS1_11comp_targetILNS1_3genE5ELNS1_11target_archE942ELNS1_3gpuE9ELNS1_3repE0EEENS1_30default_config_static_selectorELNS0_4arch9wavefront6targetE1EEEvT1_
	.p2align	8
	.type	_ZN7rocprim17ROCPRIM_400000_NS6detail17trampoline_kernelINS0_14default_configENS1_25partition_config_selectorILNS1_17partition_subalgoE8ElNS0_10empty_typeEbEEZZNS1_14partition_implILS5_8ELb0ES3_jPlPS6_PKS6_NS0_5tupleIJS9_S6_EEENSD_IJSA_SA_EEENS0_18inequality_wrapperIZN2at6native12_GLOBAL__N_124unique_dim_cuda_templateIaEESt5tupleIJNSH_6TensorESM_SM_EERKSM_lbbbEUlllE0_EEPmJS6_EEE10hipError_tPvRmT3_T4_T5_T6_T7_T9_mT8_P12ihipStream_tbDpT10_ENKUlT_T0_E_clISt17integral_constantIbLb0EES1C_EEDaS17_S18_EUlS17_E_NS1_11comp_targetILNS1_3genE5ELNS1_11target_archE942ELNS1_3gpuE9ELNS1_3repE0EEENS1_30default_config_static_selectorELNS0_4arch9wavefront6targetE1EEEvT1_,@function
_ZN7rocprim17ROCPRIM_400000_NS6detail17trampoline_kernelINS0_14default_configENS1_25partition_config_selectorILNS1_17partition_subalgoE8ElNS0_10empty_typeEbEEZZNS1_14partition_implILS5_8ELb0ES3_jPlPS6_PKS6_NS0_5tupleIJS9_S6_EEENSD_IJSA_SA_EEENS0_18inequality_wrapperIZN2at6native12_GLOBAL__N_124unique_dim_cuda_templateIaEESt5tupleIJNSH_6TensorESM_SM_EERKSM_lbbbEUlllE0_EEPmJS6_EEE10hipError_tPvRmT3_T4_T5_T6_T7_T9_mT8_P12ihipStream_tbDpT10_ENKUlT_T0_E_clISt17integral_constantIbLb0EES1C_EEDaS17_S18_EUlS17_E_NS1_11comp_targetILNS1_3genE5ELNS1_11target_archE942ELNS1_3gpuE9ELNS1_3repE0EEENS1_30default_config_static_selectorELNS0_4arch9wavefront6targetE1EEEvT1_: ; @_ZN7rocprim17ROCPRIM_400000_NS6detail17trampoline_kernelINS0_14default_configENS1_25partition_config_selectorILNS1_17partition_subalgoE8ElNS0_10empty_typeEbEEZZNS1_14partition_implILS5_8ELb0ES3_jPlPS6_PKS6_NS0_5tupleIJS9_S6_EEENSD_IJSA_SA_EEENS0_18inequality_wrapperIZN2at6native12_GLOBAL__N_124unique_dim_cuda_templateIaEESt5tupleIJNSH_6TensorESM_SM_EERKSM_lbbbEUlllE0_EEPmJS6_EEE10hipError_tPvRmT3_T4_T5_T6_T7_T9_mT8_P12ihipStream_tbDpT10_ENKUlT_T0_E_clISt17integral_constantIbLb0EES1C_EEDaS17_S18_EUlS17_E_NS1_11comp_targetILNS1_3genE5ELNS1_11target_archE942ELNS1_3gpuE9ELNS1_3repE0EEENS1_30default_config_static_selectorELNS0_4arch9wavefront6targetE1EEEvT1_
; %bb.0:
	.section	.rodata,"a",@progbits
	.p2align	6, 0x0
	.amdhsa_kernel _ZN7rocprim17ROCPRIM_400000_NS6detail17trampoline_kernelINS0_14default_configENS1_25partition_config_selectorILNS1_17partition_subalgoE8ElNS0_10empty_typeEbEEZZNS1_14partition_implILS5_8ELb0ES3_jPlPS6_PKS6_NS0_5tupleIJS9_S6_EEENSD_IJSA_SA_EEENS0_18inequality_wrapperIZN2at6native12_GLOBAL__N_124unique_dim_cuda_templateIaEESt5tupleIJNSH_6TensorESM_SM_EERKSM_lbbbEUlllE0_EEPmJS6_EEE10hipError_tPvRmT3_T4_T5_T6_T7_T9_mT8_P12ihipStream_tbDpT10_ENKUlT_T0_E_clISt17integral_constantIbLb0EES1C_EEDaS17_S18_EUlS17_E_NS1_11comp_targetILNS1_3genE5ELNS1_11target_archE942ELNS1_3gpuE9ELNS1_3repE0EEENS1_30default_config_static_selectorELNS0_4arch9wavefront6targetE1EEEvT1_
		.amdhsa_group_segment_fixed_size 0
		.amdhsa_private_segment_fixed_size 0
		.amdhsa_kernarg_size 120
		.amdhsa_user_sgpr_count 2
		.amdhsa_user_sgpr_dispatch_ptr 0
		.amdhsa_user_sgpr_queue_ptr 0
		.amdhsa_user_sgpr_kernarg_segment_ptr 1
		.amdhsa_user_sgpr_dispatch_id 0
		.amdhsa_user_sgpr_kernarg_preload_length 0
		.amdhsa_user_sgpr_kernarg_preload_offset 0
		.amdhsa_user_sgpr_private_segment_size 0
		.amdhsa_uses_dynamic_stack 0
		.amdhsa_enable_private_segment 0
		.amdhsa_system_sgpr_workgroup_id_x 1
		.amdhsa_system_sgpr_workgroup_id_y 0
		.amdhsa_system_sgpr_workgroup_id_z 0
		.amdhsa_system_sgpr_workgroup_info 0
		.amdhsa_system_vgpr_workitem_id 0
		.amdhsa_next_free_vgpr 1
		.amdhsa_next_free_sgpr 0
		.amdhsa_accum_offset 4
		.amdhsa_reserve_vcc 0
		.amdhsa_float_round_mode_32 0
		.amdhsa_float_round_mode_16_64 0
		.amdhsa_float_denorm_mode_32 3
		.amdhsa_float_denorm_mode_16_64 3
		.amdhsa_dx10_clamp 1
		.amdhsa_ieee_mode 1
		.amdhsa_fp16_overflow 0
		.amdhsa_tg_split 0
		.amdhsa_exception_fp_ieee_invalid_op 0
		.amdhsa_exception_fp_denorm_src 0
		.amdhsa_exception_fp_ieee_div_zero 0
		.amdhsa_exception_fp_ieee_overflow 0
		.amdhsa_exception_fp_ieee_underflow 0
		.amdhsa_exception_fp_ieee_inexact 0
		.amdhsa_exception_int_div_zero 0
	.end_amdhsa_kernel
	.section	.text._ZN7rocprim17ROCPRIM_400000_NS6detail17trampoline_kernelINS0_14default_configENS1_25partition_config_selectorILNS1_17partition_subalgoE8ElNS0_10empty_typeEbEEZZNS1_14partition_implILS5_8ELb0ES3_jPlPS6_PKS6_NS0_5tupleIJS9_S6_EEENSD_IJSA_SA_EEENS0_18inequality_wrapperIZN2at6native12_GLOBAL__N_124unique_dim_cuda_templateIaEESt5tupleIJNSH_6TensorESM_SM_EERKSM_lbbbEUlllE0_EEPmJS6_EEE10hipError_tPvRmT3_T4_T5_T6_T7_T9_mT8_P12ihipStream_tbDpT10_ENKUlT_T0_E_clISt17integral_constantIbLb0EES1C_EEDaS17_S18_EUlS17_E_NS1_11comp_targetILNS1_3genE5ELNS1_11target_archE942ELNS1_3gpuE9ELNS1_3repE0EEENS1_30default_config_static_selectorELNS0_4arch9wavefront6targetE1EEEvT1_,"axG",@progbits,_ZN7rocprim17ROCPRIM_400000_NS6detail17trampoline_kernelINS0_14default_configENS1_25partition_config_selectorILNS1_17partition_subalgoE8ElNS0_10empty_typeEbEEZZNS1_14partition_implILS5_8ELb0ES3_jPlPS6_PKS6_NS0_5tupleIJS9_S6_EEENSD_IJSA_SA_EEENS0_18inequality_wrapperIZN2at6native12_GLOBAL__N_124unique_dim_cuda_templateIaEESt5tupleIJNSH_6TensorESM_SM_EERKSM_lbbbEUlllE0_EEPmJS6_EEE10hipError_tPvRmT3_T4_T5_T6_T7_T9_mT8_P12ihipStream_tbDpT10_ENKUlT_T0_E_clISt17integral_constantIbLb0EES1C_EEDaS17_S18_EUlS17_E_NS1_11comp_targetILNS1_3genE5ELNS1_11target_archE942ELNS1_3gpuE9ELNS1_3repE0EEENS1_30default_config_static_selectorELNS0_4arch9wavefront6targetE1EEEvT1_,comdat
.Lfunc_end320:
	.size	_ZN7rocprim17ROCPRIM_400000_NS6detail17trampoline_kernelINS0_14default_configENS1_25partition_config_selectorILNS1_17partition_subalgoE8ElNS0_10empty_typeEbEEZZNS1_14partition_implILS5_8ELb0ES3_jPlPS6_PKS6_NS0_5tupleIJS9_S6_EEENSD_IJSA_SA_EEENS0_18inequality_wrapperIZN2at6native12_GLOBAL__N_124unique_dim_cuda_templateIaEESt5tupleIJNSH_6TensorESM_SM_EERKSM_lbbbEUlllE0_EEPmJS6_EEE10hipError_tPvRmT3_T4_T5_T6_T7_T9_mT8_P12ihipStream_tbDpT10_ENKUlT_T0_E_clISt17integral_constantIbLb0EES1C_EEDaS17_S18_EUlS17_E_NS1_11comp_targetILNS1_3genE5ELNS1_11target_archE942ELNS1_3gpuE9ELNS1_3repE0EEENS1_30default_config_static_selectorELNS0_4arch9wavefront6targetE1EEEvT1_, .Lfunc_end320-_ZN7rocprim17ROCPRIM_400000_NS6detail17trampoline_kernelINS0_14default_configENS1_25partition_config_selectorILNS1_17partition_subalgoE8ElNS0_10empty_typeEbEEZZNS1_14partition_implILS5_8ELb0ES3_jPlPS6_PKS6_NS0_5tupleIJS9_S6_EEENSD_IJSA_SA_EEENS0_18inequality_wrapperIZN2at6native12_GLOBAL__N_124unique_dim_cuda_templateIaEESt5tupleIJNSH_6TensorESM_SM_EERKSM_lbbbEUlllE0_EEPmJS6_EEE10hipError_tPvRmT3_T4_T5_T6_T7_T9_mT8_P12ihipStream_tbDpT10_ENKUlT_T0_E_clISt17integral_constantIbLb0EES1C_EEDaS17_S18_EUlS17_E_NS1_11comp_targetILNS1_3genE5ELNS1_11target_archE942ELNS1_3gpuE9ELNS1_3repE0EEENS1_30default_config_static_selectorELNS0_4arch9wavefront6targetE1EEEvT1_
                                        ; -- End function
	.set _ZN7rocprim17ROCPRIM_400000_NS6detail17trampoline_kernelINS0_14default_configENS1_25partition_config_selectorILNS1_17partition_subalgoE8ElNS0_10empty_typeEbEEZZNS1_14partition_implILS5_8ELb0ES3_jPlPS6_PKS6_NS0_5tupleIJS9_S6_EEENSD_IJSA_SA_EEENS0_18inequality_wrapperIZN2at6native12_GLOBAL__N_124unique_dim_cuda_templateIaEESt5tupleIJNSH_6TensorESM_SM_EERKSM_lbbbEUlllE0_EEPmJS6_EEE10hipError_tPvRmT3_T4_T5_T6_T7_T9_mT8_P12ihipStream_tbDpT10_ENKUlT_T0_E_clISt17integral_constantIbLb0EES1C_EEDaS17_S18_EUlS17_E_NS1_11comp_targetILNS1_3genE5ELNS1_11target_archE942ELNS1_3gpuE9ELNS1_3repE0EEENS1_30default_config_static_selectorELNS0_4arch9wavefront6targetE1EEEvT1_.num_vgpr, 0
	.set _ZN7rocprim17ROCPRIM_400000_NS6detail17trampoline_kernelINS0_14default_configENS1_25partition_config_selectorILNS1_17partition_subalgoE8ElNS0_10empty_typeEbEEZZNS1_14partition_implILS5_8ELb0ES3_jPlPS6_PKS6_NS0_5tupleIJS9_S6_EEENSD_IJSA_SA_EEENS0_18inequality_wrapperIZN2at6native12_GLOBAL__N_124unique_dim_cuda_templateIaEESt5tupleIJNSH_6TensorESM_SM_EERKSM_lbbbEUlllE0_EEPmJS6_EEE10hipError_tPvRmT3_T4_T5_T6_T7_T9_mT8_P12ihipStream_tbDpT10_ENKUlT_T0_E_clISt17integral_constantIbLb0EES1C_EEDaS17_S18_EUlS17_E_NS1_11comp_targetILNS1_3genE5ELNS1_11target_archE942ELNS1_3gpuE9ELNS1_3repE0EEENS1_30default_config_static_selectorELNS0_4arch9wavefront6targetE1EEEvT1_.num_agpr, 0
	.set _ZN7rocprim17ROCPRIM_400000_NS6detail17trampoline_kernelINS0_14default_configENS1_25partition_config_selectorILNS1_17partition_subalgoE8ElNS0_10empty_typeEbEEZZNS1_14partition_implILS5_8ELb0ES3_jPlPS6_PKS6_NS0_5tupleIJS9_S6_EEENSD_IJSA_SA_EEENS0_18inequality_wrapperIZN2at6native12_GLOBAL__N_124unique_dim_cuda_templateIaEESt5tupleIJNSH_6TensorESM_SM_EERKSM_lbbbEUlllE0_EEPmJS6_EEE10hipError_tPvRmT3_T4_T5_T6_T7_T9_mT8_P12ihipStream_tbDpT10_ENKUlT_T0_E_clISt17integral_constantIbLb0EES1C_EEDaS17_S18_EUlS17_E_NS1_11comp_targetILNS1_3genE5ELNS1_11target_archE942ELNS1_3gpuE9ELNS1_3repE0EEENS1_30default_config_static_selectorELNS0_4arch9wavefront6targetE1EEEvT1_.numbered_sgpr, 0
	.set _ZN7rocprim17ROCPRIM_400000_NS6detail17trampoline_kernelINS0_14default_configENS1_25partition_config_selectorILNS1_17partition_subalgoE8ElNS0_10empty_typeEbEEZZNS1_14partition_implILS5_8ELb0ES3_jPlPS6_PKS6_NS0_5tupleIJS9_S6_EEENSD_IJSA_SA_EEENS0_18inequality_wrapperIZN2at6native12_GLOBAL__N_124unique_dim_cuda_templateIaEESt5tupleIJNSH_6TensorESM_SM_EERKSM_lbbbEUlllE0_EEPmJS6_EEE10hipError_tPvRmT3_T4_T5_T6_T7_T9_mT8_P12ihipStream_tbDpT10_ENKUlT_T0_E_clISt17integral_constantIbLb0EES1C_EEDaS17_S18_EUlS17_E_NS1_11comp_targetILNS1_3genE5ELNS1_11target_archE942ELNS1_3gpuE9ELNS1_3repE0EEENS1_30default_config_static_selectorELNS0_4arch9wavefront6targetE1EEEvT1_.num_named_barrier, 0
	.set _ZN7rocprim17ROCPRIM_400000_NS6detail17trampoline_kernelINS0_14default_configENS1_25partition_config_selectorILNS1_17partition_subalgoE8ElNS0_10empty_typeEbEEZZNS1_14partition_implILS5_8ELb0ES3_jPlPS6_PKS6_NS0_5tupleIJS9_S6_EEENSD_IJSA_SA_EEENS0_18inequality_wrapperIZN2at6native12_GLOBAL__N_124unique_dim_cuda_templateIaEESt5tupleIJNSH_6TensorESM_SM_EERKSM_lbbbEUlllE0_EEPmJS6_EEE10hipError_tPvRmT3_T4_T5_T6_T7_T9_mT8_P12ihipStream_tbDpT10_ENKUlT_T0_E_clISt17integral_constantIbLb0EES1C_EEDaS17_S18_EUlS17_E_NS1_11comp_targetILNS1_3genE5ELNS1_11target_archE942ELNS1_3gpuE9ELNS1_3repE0EEENS1_30default_config_static_selectorELNS0_4arch9wavefront6targetE1EEEvT1_.private_seg_size, 0
	.set _ZN7rocprim17ROCPRIM_400000_NS6detail17trampoline_kernelINS0_14default_configENS1_25partition_config_selectorILNS1_17partition_subalgoE8ElNS0_10empty_typeEbEEZZNS1_14partition_implILS5_8ELb0ES3_jPlPS6_PKS6_NS0_5tupleIJS9_S6_EEENSD_IJSA_SA_EEENS0_18inequality_wrapperIZN2at6native12_GLOBAL__N_124unique_dim_cuda_templateIaEESt5tupleIJNSH_6TensorESM_SM_EERKSM_lbbbEUlllE0_EEPmJS6_EEE10hipError_tPvRmT3_T4_T5_T6_T7_T9_mT8_P12ihipStream_tbDpT10_ENKUlT_T0_E_clISt17integral_constantIbLb0EES1C_EEDaS17_S18_EUlS17_E_NS1_11comp_targetILNS1_3genE5ELNS1_11target_archE942ELNS1_3gpuE9ELNS1_3repE0EEENS1_30default_config_static_selectorELNS0_4arch9wavefront6targetE1EEEvT1_.uses_vcc, 0
	.set _ZN7rocprim17ROCPRIM_400000_NS6detail17trampoline_kernelINS0_14default_configENS1_25partition_config_selectorILNS1_17partition_subalgoE8ElNS0_10empty_typeEbEEZZNS1_14partition_implILS5_8ELb0ES3_jPlPS6_PKS6_NS0_5tupleIJS9_S6_EEENSD_IJSA_SA_EEENS0_18inequality_wrapperIZN2at6native12_GLOBAL__N_124unique_dim_cuda_templateIaEESt5tupleIJNSH_6TensorESM_SM_EERKSM_lbbbEUlllE0_EEPmJS6_EEE10hipError_tPvRmT3_T4_T5_T6_T7_T9_mT8_P12ihipStream_tbDpT10_ENKUlT_T0_E_clISt17integral_constantIbLb0EES1C_EEDaS17_S18_EUlS17_E_NS1_11comp_targetILNS1_3genE5ELNS1_11target_archE942ELNS1_3gpuE9ELNS1_3repE0EEENS1_30default_config_static_selectorELNS0_4arch9wavefront6targetE1EEEvT1_.uses_flat_scratch, 0
	.set _ZN7rocprim17ROCPRIM_400000_NS6detail17trampoline_kernelINS0_14default_configENS1_25partition_config_selectorILNS1_17partition_subalgoE8ElNS0_10empty_typeEbEEZZNS1_14partition_implILS5_8ELb0ES3_jPlPS6_PKS6_NS0_5tupleIJS9_S6_EEENSD_IJSA_SA_EEENS0_18inequality_wrapperIZN2at6native12_GLOBAL__N_124unique_dim_cuda_templateIaEESt5tupleIJNSH_6TensorESM_SM_EERKSM_lbbbEUlllE0_EEPmJS6_EEE10hipError_tPvRmT3_T4_T5_T6_T7_T9_mT8_P12ihipStream_tbDpT10_ENKUlT_T0_E_clISt17integral_constantIbLb0EES1C_EEDaS17_S18_EUlS17_E_NS1_11comp_targetILNS1_3genE5ELNS1_11target_archE942ELNS1_3gpuE9ELNS1_3repE0EEENS1_30default_config_static_selectorELNS0_4arch9wavefront6targetE1EEEvT1_.has_dyn_sized_stack, 0
	.set _ZN7rocprim17ROCPRIM_400000_NS6detail17trampoline_kernelINS0_14default_configENS1_25partition_config_selectorILNS1_17partition_subalgoE8ElNS0_10empty_typeEbEEZZNS1_14partition_implILS5_8ELb0ES3_jPlPS6_PKS6_NS0_5tupleIJS9_S6_EEENSD_IJSA_SA_EEENS0_18inequality_wrapperIZN2at6native12_GLOBAL__N_124unique_dim_cuda_templateIaEESt5tupleIJNSH_6TensorESM_SM_EERKSM_lbbbEUlllE0_EEPmJS6_EEE10hipError_tPvRmT3_T4_T5_T6_T7_T9_mT8_P12ihipStream_tbDpT10_ENKUlT_T0_E_clISt17integral_constantIbLb0EES1C_EEDaS17_S18_EUlS17_E_NS1_11comp_targetILNS1_3genE5ELNS1_11target_archE942ELNS1_3gpuE9ELNS1_3repE0EEENS1_30default_config_static_selectorELNS0_4arch9wavefront6targetE1EEEvT1_.has_recursion, 0
	.set _ZN7rocprim17ROCPRIM_400000_NS6detail17trampoline_kernelINS0_14default_configENS1_25partition_config_selectorILNS1_17partition_subalgoE8ElNS0_10empty_typeEbEEZZNS1_14partition_implILS5_8ELb0ES3_jPlPS6_PKS6_NS0_5tupleIJS9_S6_EEENSD_IJSA_SA_EEENS0_18inequality_wrapperIZN2at6native12_GLOBAL__N_124unique_dim_cuda_templateIaEESt5tupleIJNSH_6TensorESM_SM_EERKSM_lbbbEUlllE0_EEPmJS6_EEE10hipError_tPvRmT3_T4_T5_T6_T7_T9_mT8_P12ihipStream_tbDpT10_ENKUlT_T0_E_clISt17integral_constantIbLb0EES1C_EEDaS17_S18_EUlS17_E_NS1_11comp_targetILNS1_3genE5ELNS1_11target_archE942ELNS1_3gpuE9ELNS1_3repE0EEENS1_30default_config_static_selectorELNS0_4arch9wavefront6targetE1EEEvT1_.has_indirect_call, 0
	.section	.AMDGPU.csdata,"",@progbits
; Kernel info:
; codeLenInByte = 0
; TotalNumSgprs: 6
; NumVgprs: 0
; NumAgprs: 0
; TotalNumVgprs: 0
; ScratchSize: 0
; MemoryBound: 0
; FloatMode: 240
; IeeeMode: 1
; LDSByteSize: 0 bytes/workgroup (compile time only)
; SGPRBlocks: 0
; VGPRBlocks: 0
; NumSGPRsForWavesPerEU: 6
; NumVGPRsForWavesPerEU: 1
; AccumOffset: 4
; Occupancy: 8
; WaveLimiterHint : 0
; COMPUTE_PGM_RSRC2:SCRATCH_EN: 0
; COMPUTE_PGM_RSRC2:USER_SGPR: 2
; COMPUTE_PGM_RSRC2:TRAP_HANDLER: 0
; COMPUTE_PGM_RSRC2:TGID_X_EN: 1
; COMPUTE_PGM_RSRC2:TGID_Y_EN: 0
; COMPUTE_PGM_RSRC2:TGID_Z_EN: 0
; COMPUTE_PGM_RSRC2:TIDIG_COMP_CNT: 0
; COMPUTE_PGM_RSRC3_GFX90A:ACCUM_OFFSET: 0
; COMPUTE_PGM_RSRC3_GFX90A:TG_SPLIT: 0
	.section	.text._ZN7rocprim17ROCPRIM_400000_NS6detail17trampoline_kernelINS0_14default_configENS1_25partition_config_selectorILNS1_17partition_subalgoE8ElNS0_10empty_typeEbEEZZNS1_14partition_implILS5_8ELb0ES3_jPlPS6_PKS6_NS0_5tupleIJS9_S6_EEENSD_IJSA_SA_EEENS0_18inequality_wrapperIZN2at6native12_GLOBAL__N_124unique_dim_cuda_templateIaEESt5tupleIJNSH_6TensorESM_SM_EERKSM_lbbbEUlllE0_EEPmJS6_EEE10hipError_tPvRmT3_T4_T5_T6_T7_T9_mT8_P12ihipStream_tbDpT10_ENKUlT_T0_E_clISt17integral_constantIbLb0EES1C_EEDaS17_S18_EUlS17_E_NS1_11comp_targetILNS1_3genE4ELNS1_11target_archE910ELNS1_3gpuE8ELNS1_3repE0EEENS1_30default_config_static_selectorELNS0_4arch9wavefront6targetE1EEEvT1_,"axG",@progbits,_ZN7rocprim17ROCPRIM_400000_NS6detail17trampoline_kernelINS0_14default_configENS1_25partition_config_selectorILNS1_17partition_subalgoE8ElNS0_10empty_typeEbEEZZNS1_14partition_implILS5_8ELb0ES3_jPlPS6_PKS6_NS0_5tupleIJS9_S6_EEENSD_IJSA_SA_EEENS0_18inequality_wrapperIZN2at6native12_GLOBAL__N_124unique_dim_cuda_templateIaEESt5tupleIJNSH_6TensorESM_SM_EERKSM_lbbbEUlllE0_EEPmJS6_EEE10hipError_tPvRmT3_T4_T5_T6_T7_T9_mT8_P12ihipStream_tbDpT10_ENKUlT_T0_E_clISt17integral_constantIbLb0EES1C_EEDaS17_S18_EUlS17_E_NS1_11comp_targetILNS1_3genE4ELNS1_11target_archE910ELNS1_3gpuE8ELNS1_3repE0EEENS1_30default_config_static_selectorELNS0_4arch9wavefront6targetE1EEEvT1_,comdat
	.globl	_ZN7rocprim17ROCPRIM_400000_NS6detail17trampoline_kernelINS0_14default_configENS1_25partition_config_selectorILNS1_17partition_subalgoE8ElNS0_10empty_typeEbEEZZNS1_14partition_implILS5_8ELb0ES3_jPlPS6_PKS6_NS0_5tupleIJS9_S6_EEENSD_IJSA_SA_EEENS0_18inequality_wrapperIZN2at6native12_GLOBAL__N_124unique_dim_cuda_templateIaEESt5tupleIJNSH_6TensorESM_SM_EERKSM_lbbbEUlllE0_EEPmJS6_EEE10hipError_tPvRmT3_T4_T5_T6_T7_T9_mT8_P12ihipStream_tbDpT10_ENKUlT_T0_E_clISt17integral_constantIbLb0EES1C_EEDaS17_S18_EUlS17_E_NS1_11comp_targetILNS1_3genE4ELNS1_11target_archE910ELNS1_3gpuE8ELNS1_3repE0EEENS1_30default_config_static_selectorELNS0_4arch9wavefront6targetE1EEEvT1_ ; -- Begin function _ZN7rocprim17ROCPRIM_400000_NS6detail17trampoline_kernelINS0_14default_configENS1_25partition_config_selectorILNS1_17partition_subalgoE8ElNS0_10empty_typeEbEEZZNS1_14partition_implILS5_8ELb0ES3_jPlPS6_PKS6_NS0_5tupleIJS9_S6_EEENSD_IJSA_SA_EEENS0_18inequality_wrapperIZN2at6native12_GLOBAL__N_124unique_dim_cuda_templateIaEESt5tupleIJNSH_6TensorESM_SM_EERKSM_lbbbEUlllE0_EEPmJS6_EEE10hipError_tPvRmT3_T4_T5_T6_T7_T9_mT8_P12ihipStream_tbDpT10_ENKUlT_T0_E_clISt17integral_constantIbLb0EES1C_EEDaS17_S18_EUlS17_E_NS1_11comp_targetILNS1_3genE4ELNS1_11target_archE910ELNS1_3gpuE8ELNS1_3repE0EEENS1_30default_config_static_selectorELNS0_4arch9wavefront6targetE1EEEvT1_
	.p2align	8
	.type	_ZN7rocprim17ROCPRIM_400000_NS6detail17trampoline_kernelINS0_14default_configENS1_25partition_config_selectorILNS1_17partition_subalgoE8ElNS0_10empty_typeEbEEZZNS1_14partition_implILS5_8ELb0ES3_jPlPS6_PKS6_NS0_5tupleIJS9_S6_EEENSD_IJSA_SA_EEENS0_18inequality_wrapperIZN2at6native12_GLOBAL__N_124unique_dim_cuda_templateIaEESt5tupleIJNSH_6TensorESM_SM_EERKSM_lbbbEUlllE0_EEPmJS6_EEE10hipError_tPvRmT3_T4_T5_T6_T7_T9_mT8_P12ihipStream_tbDpT10_ENKUlT_T0_E_clISt17integral_constantIbLb0EES1C_EEDaS17_S18_EUlS17_E_NS1_11comp_targetILNS1_3genE4ELNS1_11target_archE910ELNS1_3gpuE8ELNS1_3repE0EEENS1_30default_config_static_selectorELNS0_4arch9wavefront6targetE1EEEvT1_,@function
_ZN7rocprim17ROCPRIM_400000_NS6detail17trampoline_kernelINS0_14default_configENS1_25partition_config_selectorILNS1_17partition_subalgoE8ElNS0_10empty_typeEbEEZZNS1_14partition_implILS5_8ELb0ES3_jPlPS6_PKS6_NS0_5tupleIJS9_S6_EEENSD_IJSA_SA_EEENS0_18inequality_wrapperIZN2at6native12_GLOBAL__N_124unique_dim_cuda_templateIaEESt5tupleIJNSH_6TensorESM_SM_EERKSM_lbbbEUlllE0_EEPmJS6_EEE10hipError_tPvRmT3_T4_T5_T6_T7_T9_mT8_P12ihipStream_tbDpT10_ENKUlT_T0_E_clISt17integral_constantIbLb0EES1C_EEDaS17_S18_EUlS17_E_NS1_11comp_targetILNS1_3genE4ELNS1_11target_archE910ELNS1_3gpuE8ELNS1_3repE0EEENS1_30default_config_static_selectorELNS0_4arch9wavefront6targetE1EEEvT1_: ; @_ZN7rocprim17ROCPRIM_400000_NS6detail17trampoline_kernelINS0_14default_configENS1_25partition_config_selectorILNS1_17partition_subalgoE8ElNS0_10empty_typeEbEEZZNS1_14partition_implILS5_8ELb0ES3_jPlPS6_PKS6_NS0_5tupleIJS9_S6_EEENSD_IJSA_SA_EEENS0_18inequality_wrapperIZN2at6native12_GLOBAL__N_124unique_dim_cuda_templateIaEESt5tupleIJNSH_6TensorESM_SM_EERKSM_lbbbEUlllE0_EEPmJS6_EEE10hipError_tPvRmT3_T4_T5_T6_T7_T9_mT8_P12ihipStream_tbDpT10_ENKUlT_T0_E_clISt17integral_constantIbLb0EES1C_EEDaS17_S18_EUlS17_E_NS1_11comp_targetILNS1_3genE4ELNS1_11target_archE910ELNS1_3gpuE8ELNS1_3repE0EEENS1_30default_config_static_selectorELNS0_4arch9wavefront6targetE1EEEvT1_
; %bb.0:
	.section	.rodata,"a",@progbits
	.p2align	6, 0x0
	.amdhsa_kernel _ZN7rocprim17ROCPRIM_400000_NS6detail17trampoline_kernelINS0_14default_configENS1_25partition_config_selectorILNS1_17partition_subalgoE8ElNS0_10empty_typeEbEEZZNS1_14partition_implILS5_8ELb0ES3_jPlPS6_PKS6_NS0_5tupleIJS9_S6_EEENSD_IJSA_SA_EEENS0_18inequality_wrapperIZN2at6native12_GLOBAL__N_124unique_dim_cuda_templateIaEESt5tupleIJNSH_6TensorESM_SM_EERKSM_lbbbEUlllE0_EEPmJS6_EEE10hipError_tPvRmT3_T4_T5_T6_T7_T9_mT8_P12ihipStream_tbDpT10_ENKUlT_T0_E_clISt17integral_constantIbLb0EES1C_EEDaS17_S18_EUlS17_E_NS1_11comp_targetILNS1_3genE4ELNS1_11target_archE910ELNS1_3gpuE8ELNS1_3repE0EEENS1_30default_config_static_selectorELNS0_4arch9wavefront6targetE1EEEvT1_
		.amdhsa_group_segment_fixed_size 0
		.amdhsa_private_segment_fixed_size 0
		.amdhsa_kernarg_size 120
		.amdhsa_user_sgpr_count 2
		.amdhsa_user_sgpr_dispatch_ptr 0
		.amdhsa_user_sgpr_queue_ptr 0
		.amdhsa_user_sgpr_kernarg_segment_ptr 1
		.amdhsa_user_sgpr_dispatch_id 0
		.amdhsa_user_sgpr_kernarg_preload_length 0
		.amdhsa_user_sgpr_kernarg_preload_offset 0
		.amdhsa_user_sgpr_private_segment_size 0
		.amdhsa_uses_dynamic_stack 0
		.amdhsa_enable_private_segment 0
		.amdhsa_system_sgpr_workgroup_id_x 1
		.amdhsa_system_sgpr_workgroup_id_y 0
		.amdhsa_system_sgpr_workgroup_id_z 0
		.amdhsa_system_sgpr_workgroup_info 0
		.amdhsa_system_vgpr_workitem_id 0
		.amdhsa_next_free_vgpr 1
		.amdhsa_next_free_sgpr 0
		.amdhsa_accum_offset 4
		.amdhsa_reserve_vcc 0
		.amdhsa_float_round_mode_32 0
		.amdhsa_float_round_mode_16_64 0
		.amdhsa_float_denorm_mode_32 3
		.amdhsa_float_denorm_mode_16_64 3
		.amdhsa_dx10_clamp 1
		.amdhsa_ieee_mode 1
		.amdhsa_fp16_overflow 0
		.amdhsa_tg_split 0
		.amdhsa_exception_fp_ieee_invalid_op 0
		.amdhsa_exception_fp_denorm_src 0
		.amdhsa_exception_fp_ieee_div_zero 0
		.amdhsa_exception_fp_ieee_overflow 0
		.amdhsa_exception_fp_ieee_underflow 0
		.amdhsa_exception_fp_ieee_inexact 0
		.amdhsa_exception_int_div_zero 0
	.end_amdhsa_kernel
	.section	.text._ZN7rocprim17ROCPRIM_400000_NS6detail17trampoline_kernelINS0_14default_configENS1_25partition_config_selectorILNS1_17partition_subalgoE8ElNS0_10empty_typeEbEEZZNS1_14partition_implILS5_8ELb0ES3_jPlPS6_PKS6_NS0_5tupleIJS9_S6_EEENSD_IJSA_SA_EEENS0_18inequality_wrapperIZN2at6native12_GLOBAL__N_124unique_dim_cuda_templateIaEESt5tupleIJNSH_6TensorESM_SM_EERKSM_lbbbEUlllE0_EEPmJS6_EEE10hipError_tPvRmT3_T4_T5_T6_T7_T9_mT8_P12ihipStream_tbDpT10_ENKUlT_T0_E_clISt17integral_constantIbLb0EES1C_EEDaS17_S18_EUlS17_E_NS1_11comp_targetILNS1_3genE4ELNS1_11target_archE910ELNS1_3gpuE8ELNS1_3repE0EEENS1_30default_config_static_selectorELNS0_4arch9wavefront6targetE1EEEvT1_,"axG",@progbits,_ZN7rocprim17ROCPRIM_400000_NS6detail17trampoline_kernelINS0_14default_configENS1_25partition_config_selectorILNS1_17partition_subalgoE8ElNS0_10empty_typeEbEEZZNS1_14partition_implILS5_8ELb0ES3_jPlPS6_PKS6_NS0_5tupleIJS9_S6_EEENSD_IJSA_SA_EEENS0_18inequality_wrapperIZN2at6native12_GLOBAL__N_124unique_dim_cuda_templateIaEESt5tupleIJNSH_6TensorESM_SM_EERKSM_lbbbEUlllE0_EEPmJS6_EEE10hipError_tPvRmT3_T4_T5_T6_T7_T9_mT8_P12ihipStream_tbDpT10_ENKUlT_T0_E_clISt17integral_constantIbLb0EES1C_EEDaS17_S18_EUlS17_E_NS1_11comp_targetILNS1_3genE4ELNS1_11target_archE910ELNS1_3gpuE8ELNS1_3repE0EEENS1_30default_config_static_selectorELNS0_4arch9wavefront6targetE1EEEvT1_,comdat
.Lfunc_end321:
	.size	_ZN7rocprim17ROCPRIM_400000_NS6detail17trampoline_kernelINS0_14default_configENS1_25partition_config_selectorILNS1_17partition_subalgoE8ElNS0_10empty_typeEbEEZZNS1_14partition_implILS5_8ELb0ES3_jPlPS6_PKS6_NS0_5tupleIJS9_S6_EEENSD_IJSA_SA_EEENS0_18inequality_wrapperIZN2at6native12_GLOBAL__N_124unique_dim_cuda_templateIaEESt5tupleIJNSH_6TensorESM_SM_EERKSM_lbbbEUlllE0_EEPmJS6_EEE10hipError_tPvRmT3_T4_T5_T6_T7_T9_mT8_P12ihipStream_tbDpT10_ENKUlT_T0_E_clISt17integral_constantIbLb0EES1C_EEDaS17_S18_EUlS17_E_NS1_11comp_targetILNS1_3genE4ELNS1_11target_archE910ELNS1_3gpuE8ELNS1_3repE0EEENS1_30default_config_static_selectorELNS0_4arch9wavefront6targetE1EEEvT1_, .Lfunc_end321-_ZN7rocprim17ROCPRIM_400000_NS6detail17trampoline_kernelINS0_14default_configENS1_25partition_config_selectorILNS1_17partition_subalgoE8ElNS0_10empty_typeEbEEZZNS1_14partition_implILS5_8ELb0ES3_jPlPS6_PKS6_NS0_5tupleIJS9_S6_EEENSD_IJSA_SA_EEENS0_18inequality_wrapperIZN2at6native12_GLOBAL__N_124unique_dim_cuda_templateIaEESt5tupleIJNSH_6TensorESM_SM_EERKSM_lbbbEUlllE0_EEPmJS6_EEE10hipError_tPvRmT3_T4_T5_T6_T7_T9_mT8_P12ihipStream_tbDpT10_ENKUlT_T0_E_clISt17integral_constantIbLb0EES1C_EEDaS17_S18_EUlS17_E_NS1_11comp_targetILNS1_3genE4ELNS1_11target_archE910ELNS1_3gpuE8ELNS1_3repE0EEENS1_30default_config_static_selectorELNS0_4arch9wavefront6targetE1EEEvT1_
                                        ; -- End function
	.set _ZN7rocprim17ROCPRIM_400000_NS6detail17trampoline_kernelINS0_14default_configENS1_25partition_config_selectorILNS1_17partition_subalgoE8ElNS0_10empty_typeEbEEZZNS1_14partition_implILS5_8ELb0ES3_jPlPS6_PKS6_NS0_5tupleIJS9_S6_EEENSD_IJSA_SA_EEENS0_18inequality_wrapperIZN2at6native12_GLOBAL__N_124unique_dim_cuda_templateIaEESt5tupleIJNSH_6TensorESM_SM_EERKSM_lbbbEUlllE0_EEPmJS6_EEE10hipError_tPvRmT3_T4_T5_T6_T7_T9_mT8_P12ihipStream_tbDpT10_ENKUlT_T0_E_clISt17integral_constantIbLb0EES1C_EEDaS17_S18_EUlS17_E_NS1_11comp_targetILNS1_3genE4ELNS1_11target_archE910ELNS1_3gpuE8ELNS1_3repE0EEENS1_30default_config_static_selectorELNS0_4arch9wavefront6targetE1EEEvT1_.num_vgpr, 0
	.set _ZN7rocprim17ROCPRIM_400000_NS6detail17trampoline_kernelINS0_14default_configENS1_25partition_config_selectorILNS1_17partition_subalgoE8ElNS0_10empty_typeEbEEZZNS1_14partition_implILS5_8ELb0ES3_jPlPS6_PKS6_NS0_5tupleIJS9_S6_EEENSD_IJSA_SA_EEENS0_18inequality_wrapperIZN2at6native12_GLOBAL__N_124unique_dim_cuda_templateIaEESt5tupleIJNSH_6TensorESM_SM_EERKSM_lbbbEUlllE0_EEPmJS6_EEE10hipError_tPvRmT3_T4_T5_T6_T7_T9_mT8_P12ihipStream_tbDpT10_ENKUlT_T0_E_clISt17integral_constantIbLb0EES1C_EEDaS17_S18_EUlS17_E_NS1_11comp_targetILNS1_3genE4ELNS1_11target_archE910ELNS1_3gpuE8ELNS1_3repE0EEENS1_30default_config_static_selectorELNS0_4arch9wavefront6targetE1EEEvT1_.num_agpr, 0
	.set _ZN7rocprim17ROCPRIM_400000_NS6detail17trampoline_kernelINS0_14default_configENS1_25partition_config_selectorILNS1_17partition_subalgoE8ElNS0_10empty_typeEbEEZZNS1_14partition_implILS5_8ELb0ES3_jPlPS6_PKS6_NS0_5tupleIJS9_S6_EEENSD_IJSA_SA_EEENS0_18inequality_wrapperIZN2at6native12_GLOBAL__N_124unique_dim_cuda_templateIaEESt5tupleIJNSH_6TensorESM_SM_EERKSM_lbbbEUlllE0_EEPmJS6_EEE10hipError_tPvRmT3_T4_T5_T6_T7_T9_mT8_P12ihipStream_tbDpT10_ENKUlT_T0_E_clISt17integral_constantIbLb0EES1C_EEDaS17_S18_EUlS17_E_NS1_11comp_targetILNS1_3genE4ELNS1_11target_archE910ELNS1_3gpuE8ELNS1_3repE0EEENS1_30default_config_static_selectorELNS0_4arch9wavefront6targetE1EEEvT1_.numbered_sgpr, 0
	.set _ZN7rocprim17ROCPRIM_400000_NS6detail17trampoline_kernelINS0_14default_configENS1_25partition_config_selectorILNS1_17partition_subalgoE8ElNS0_10empty_typeEbEEZZNS1_14partition_implILS5_8ELb0ES3_jPlPS6_PKS6_NS0_5tupleIJS9_S6_EEENSD_IJSA_SA_EEENS0_18inequality_wrapperIZN2at6native12_GLOBAL__N_124unique_dim_cuda_templateIaEESt5tupleIJNSH_6TensorESM_SM_EERKSM_lbbbEUlllE0_EEPmJS6_EEE10hipError_tPvRmT3_T4_T5_T6_T7_T9_mT8_P12ihipStream_tbDpT10_ENKUlT_T0_E_clISt17integral_constantIbLb0EES1C_EEDaS17_S18_EUlS17_E_NS1_11comp_targetILNS1_3genE4ELNS1_11target_archE910ELNS1_3gpuE8ELNS1_3repE0EEENS1_30default_config_static_selectorELNS0_4arch9wavefront6targetE1EEEvT1_.num_named_barrier, 0
	.set _ZN7rocprim17ROCPRIM_400000_NS6detail17trampoline_kernelINS0_14default_configENS1_25partition_config_selectorILNS1_17partition_subalgoE8ElNS0_10empty_typeEbEEZZNS1_14partition_implILS5_8ELb0ES3_jPlPS6_PKS6_NS0_5tupleIJS9_S6_EEENSD_IJSA_SA_EEENS0_18inequality_wrapperIZN2at6native12_GLOBAL__N_124unique_dim_cuda_templateIaEESt5tupleIJNSH_6TensorESM_SM_EERKSM_lbbbEUlllE0_EEPmJS6_EEE10hipError_tPvRmT3_T4_T5_T6_T7_T9_mT8_P12ihipStream_tbDpT10_ENKUlT_T0_E_clISt17integral_constantIbLb0EES1C_EEDaS17_S18_EUlS17_E_NS1_11comp_targetILNS1_3genE4ELNS1_11target_archE910ELNS1_3gpuE8ELNS1_3repE0EEENS1_30default_config_static_selectorELNS0_4arch9wavefront6targetE1EEEvT1_.private_seg_size, 0
	.set _ZN7rocprim17ROCPRIM_400000_NS6detail17trampoline_kernelINS0_14default_configENS1_25partition_config_selectorILNS1_17partition_subalgoE8ElNS0_10empty_typeEbEEZZNS1_14partition_implILS5_8ELb0ES3_jPlPS6_PKS6_NS0_5tupleIJS9_S6_EEENSD_IJSA_SA_EEENS0_18inequality_wrapperIZN2at6native12_GLOBAL__N_124unique_dim_cuda_templateIaEESt5tupleIJNSH_6TensorESM_SM_EERKSM_lbbbEUlllE0_EEPmJS6_EEE10hipError_tPvRmT3_T4_T5_T6_T7_T9_mT8_P12ihipStream_tbDpT10_ENKUlT_T0_E_clISt17integral_constantIbLb0EES1C_EEDaS17_S18_EUlS17_E_NS1_11comp_targetILNS1_3genE4ELNS1_11target_archE910ELNS1_3gpuE8ELNS1_3repE0EEENS1_30default_config_static_selectorELNS0_4arch9wavefront6targetE1EEEvT1_.uses_vcc, 0
	.set _ZN7rocprim17ROCPRIM_400000_NS6detail17trampoline_kernelINS0_14default_configENS1_25partition_config_selectorILNS1_17partition_subalgoE8ElNS0_10empty_typeEbEEZZNS1_14partition_implILS5_8ELb0ES3_jPlPS6_PKS6_NS0_5tupleIJS9_S6_EEENSD_IJSA_SA_EEENS0_18inequality_wrapperIZN2at6native12_GLOBAL__N_124unique_dim_cuda_templateIaEESt5tupleIJNSH_6TensorESM_SM_EERKSM_lbbbEUlllE0_EEPmJS6_EEE10hipError_tPvRmT3_T4_T5_T6_T7_T9_mT8_P12ihipStream_tbDpT10_ENKUlT_T0_E_clISt17integral_constantIbLb0EES1C_EEDaS17_S18_EUlS17_E_NS1_11comp_targetILNS1_3genE4ELNS1_11target_archE910ELNS1_3gpuE8ELNS1_3repE0EEENS1_30default_config_static_selectorELNS0_4arch9wavefront6targetE1EEEvT1_.uses_flat_scratch, 0
	.set _ZN7rocprim17ROCPRIM_400000_NS6detail17trampoline_kernelINS0_14default_configENS1_25partition_config_selectorILNS1_17partition_subalgoE8ElNS0_10empty_typeEbEEZZNS1_14partition_implILS5_8ELb0ES3_jPlPS6_PKS6_NS0_5tupleIJS9_S6_EEENSD_IJSA_SA_EEENS0_18inequality_wrapperIZN2at6native12_GLOBAL__N_124unique_dim_cuda_templateIaEESt5tupleIJNSH_6TensorESM_SM_EERKSM_lbbbEUlllE0_EEPmJS6_EEE10hipError_tPvRmT3_T4_T5_T6_T7_T9_mT8_P12ihipStream_tbDpT10_ENKUlT_T0_E_clISt17integral_constantIbLb0EES1C_EEDaS17_S18_EUlS17_E_NS1_11comp_targetILNS1_3genE4ELNS1_11target_archE910ELNS1_3gpuE8ELNS1_3repE0EEENS1_30default_config_static_selectorELNS0_4arch9wavefront6targetE1EEEvT1_.has_dyn_sized_stack, 0
	.set _ZN7rocprim17ROCPRIM_400000_NS6detail17trampoline_kernelINS0_14default_configENS1_25partition_config_selectorILNS1_17partition_subalgoE8ElNS0_10empty_typeEbEEZZNS1_14partition_implILS5_8ELb0ES3_jPlPS6_PKS6_NS0_5tupleIJS9_S6_EEENSD_IJSA_SA_EEENS0_18inequality_wrapperIZN2at6native12_GLOBAL__N_124unique_dim_cuda_templateIaEESt5tupleIJNSH_6TensorESM_SM_EERKSM_lbbbEUlllE0_EEPmJS6_EEE10hipError_tPvRmT3_T4_T5_T6_T7_T9_mT8_P12ihipStream_tbDpT10_ENKUlT_T0_E_clISt17integral_constantIbLb0EES1C_EEDaS17_S18_EUlS17_E_NS1_11comp_targetILNS1_3genE4ELNS1_11target_archE910ELNS1_3gpuE8ELNS1_3repE0EEENS1_30default_config_static_selectorELNS0_4arch9wavefront6targetE1EEEvT1_.has_recursion, 0
	.set _ZN7rocprim17ROCPRIM_400000_NS6detail17trampoline_kernelINS0_14default_configENS1_25partition_config_selectorILNS1_17partition_subalgoE8ElNS0_10empty_typeEbEEZZNS1_14partition_implILS5_8ELb0ES3_jPlPS6_PKS6_NS0_5tupleIJS9_S6_EEENSD_IJSA_SA_EEENS0_18inequality_wrapperIZN2at6native12_GLOBAL__N_124unique_dim_cuda_templateIaEESt5tupleIJNSH_6TensorESM_SM_EERKSM_lbbbEUlllE0_EEPmJS6_EEE10hipError_tPvRmT3_T4_T5_T6_T7_T9_mT8_P12ihipStream_tbDpT10_ENKUlT_T0_E_clISt17integral_constantIbLb0EES1C_EEDaS17_S18_EUlS17_E_NS1_11comp_targetILNS1_3genE4ELNS1_11target_archE910ELNS1_3gpuE8ELNS1_3repE0EEENS1_30default_config_static_selectorELNS0_4arch9wavefront6targetE1EEEvT1_.has_indirect_call, 0
	.section	.AMDGPU.csdata,"",@progbits
; Kernel info:
; codeLenInByte = 0
; TotalNumSgprs: 6
; NumVgprs: 0
; NumAgprs: 0
; TotalNumVgprs: 0
; ScratchSize: 0
; MemoryBound: 0
; FloatMode: 240
; IeeeMode: 1
; LDSByteSize: 0 bytes/workgroup (compile time only)
; SGPRBlocks: 0
; VGPRBlocks: 0
; NumSGPRsForWavesPerEU: 6
; NumVGPRsForWavesPerEU: 1
; AccumOffset: 4
; Occupancy: 8
; WaveLimiterHint : 0
; COMPUTE_PGM_RSRC2:SCRATCH_EN: 0
; COMPUTE_PGM_RSRC2:USER_SGPR: 2
; COMPUTE_PGM_RSRC2:TRAP_HANDLER: 0
; COMPUTE_PGM_RSRC2:TGID_X_EN: 1
; COMPUTE_PGM_RSRC2:TGID_Y_EN: 0
; COMPUTE_PGM_RSRC2:TGID_Z_EN: 0
; COMPUTE_PGM_RSRC2:TIDIG_COMP_CNT: 0
; COMPUTE_PGM_RSRC3_GFX90A:ACCUM_OFFSET: 0
; COMPUTE_PGM_RSRC3_GFX90A:TG_SPLIT: 0
	.section	.text._ZN7rocprim17ROCPRIM_400000_NS6detail17trampoline_kernelINS0_14default_configENS1_25partition_config_selectorILNS1_17partition_subalgoE8ElNS0_10empty_typeEbEEZZNS1_14partition_implILS5_8ELb0ES3_jPlPS6_PKS6_NS0_5tupleIJS9_S6_EEENSD_IJSA_SA_EEENS0_18inequality_wrapperIZN2at6native12_GLOBAL__N_124unique_dim_cuda_templateIaEESt5tupleIJNSH_6TensorESM_SM_EERKSM_lbbbEUlllE0_EEPmJS6_EEE10hipError_tPvRmT3_T4_T5_T6_T7_T9_mT8_P12ihipStream_tbDpT10_ENKUlT_T0_E_clISt17integral_constantIbLb0EES1C_EEDaS17_S18_EUlS17_E_NS1_11comp_targetILNS1_3genE3ELNS1_11target_archE908ELNS1_3gpuE7ELNS1_3repE0EEENS1_30default_config_static_selectorELNS0_4arch9wavefront6targetE1EEEvT1_,"axG",@progbits,_ZN7rocprim17ROCPRIM_400000_NS6detail17trampoline_kernelINS0_14default_configENS1_25partition_config_selectorILNS1_17partition_subalgoE8ElNS0_10empty_typeEbEEZZNS1_14partition_implILS5_8ELb0ES3_jPlPS6_PKS6_NS0_5tupleIJS9_S6_EEENSD_IJSA_SA_EEENS0_18inequality_wrapperIZN2at6native12_GLOBAL__N_124unique_dim_cuda_templateIaEESt5tupleIJNSH_6TensorESM_SM_EERKSM_lbbbEUlllE0_EEPmJS6_EEE10hipError_tPvRmT3_T4_T5_T6_T7_T9_mT8_P12ihipStream_tbDpT10_ENKUlT_T0_E_clISt17integral_constantIbLb0EES1C_EEDaS17_S18_EUlS17_E_NS1_11comp_targetILNS1_3genE3ELNS1_11target_archE908ELNS1_3gpuE7ELNS1_3repE0EEENS1_30default_config_static_selectorELNS0_4arch9wavefront6targetE1EEEvT1_,comdat
	.globl	_ZN7rocprim17ROCPRIM_400000_NS6detail17trampoline_kernelINS0_14default_configENS1_25partition_config_selectorILNS1_17partition_subalgoE8ElNS0_10empty_typeEbEEZZNS1_14partition_implILS5_8ELb0ES3_jPlPS6_PKS6_NS0_5tupleIJS9_S6_EEENSD_IJSA_SA_EEENS0_18inequality_wrapperIZN2at6native12_GLOBAL__N_124unique_dim_cuda_templateIaEESt5tupleIJNSH_6TensorESM_SM_EERKSM_lbbbEUlllE0_EEPmJS6_EEE10hipError_tPvRmT3_T4_T5_T6_T7_T9_mT8_P12ihipStream_tbDpT10_ENKUlT_T0_E_clISt17integral_constantIbLb0EES1C_EEDaS17_S18_EUlS17_E_NS1_11comp_targetILNS1_3genE3ELNS1_11target_archE908ELNS1_3gpuE7ELNS1_3repE0EEENS1_30default_config_static_selectorELNS0_4arch9wavefront6targetE1EEEvT1_ ; -- Begin function _ZN7rocprim17ROCPRIM_400000_NS6detail17trampoline_kernelINS0_14default_configENS1_25partition_config_selectorILNS1_17partition_subalgoE8ElNS0_10empty_typeEbEEZZNS1_14partition_implILS5_8ELb0ES3_jPlPS6_PKS6_NS0_5tupleIJS9_S6_EEENSD_IJSA_SA_EEENS0_18inequality_wrapperIZN2at6native12_GLOBAL__N_124unique_dim_cuda_templateIaEESt5tupleIJNSH_6TensorESM_SM_EERKSM_lbbbEUlllE0_EEPmJS6_EEE10hipError_tPvRmT3_T4_T5_T6_T7_T9_mT8_P12ihipStream_tbDpT10_ENKUlT_T0_E_clISt17integral_constantIbLb0EES1C_EEDaS17_S18_EUlS17_E_NS1_11comp_targetILNS1_3genE3ELNS1_11target_archE908ELNS1_3gpuE7ELNS1_3repE0EEENS1_30default_config_static_selectorELNS0_4arch9wavefront6targetE1EEEvT1_
	.p2align	8
	.type	_ZN7rocprim17ROCPRIM_400000_NS6detail17trampoline_kernelINS0_14default_configENS1_25partition_config_selectorILNS1_17partition_subalgoE8ElNS0_10empty_typeEbEEZZNS1_14partition_implILS5_8ELb0ES3_jPlPS6_PKS6_NS0_5tupleIJS9_S6_EEENSD_IJSA_SA_EEENS0_18inequality_wrapperIZN2at6native12_GLOBAL__N_124unique_dim_cuda_templateIaEESt5tupleIJNSH_6TensorESM_SM_EERKSM_lbbbEUlllE0_EEPmJS6_EEE10hipError_tPvRmT3_T4_T5_T6_T7_T9_mT8_P12ihipStream_tbDpT10_ENKUlT_T0_E_clISt17integral_constantIbLb0EES1C_EEDaS17_S18_EUlS17_E_NS1_11comp_targetILNS1_3genE3ELNS1_11target_archE908ELNS1_3gpuE7ELNS1_3repE0EEENS1_30default_config_static_selectorELNS0_4arch9wavefront6targetE1EEEvT1_,@function
_ZN7rocprim17ROCPRIM_400000_NS6detail17trampoline_kernelINS0_14default_configENS1_25partition_config_selectorILNS1_17partition_subalgoE8ElNS0_10empty_typeEbEEZZNS1_14partition_implILS5_8ELb0ES3_jPlPS6_PKS6_NS0_5tupleIJS9_S6_EEENSD_IJSA_SA_EEENS0_18inequality_wrapperIZN2at6native12_GLOBAL__N_124unique_dim_cuda_templateIaEESt5tupleIJNSH_6TensorESM_SM_EERKSM_lbbbEUlllE0_EEPmJS6_EEE10hipError_tPvRmT3_T4_T5_T6_T7_T9_mT8_P12ihipStream_tbDpT10_ENKUlT_T0_E_clISt17integral_constantIbLb0EES1C_EEDaS17_S18_EUlS17_E_NS1_11comp_targetILNS1_3genE3ELNS1_11target_archE908ELNS1_3gpuE7ELNS1_3repE0EEENS1_30default_config_static_selectorELNS0_4arch9wavefront6targetE1EEEvT1_: ; @_ZN7rocprim17ROCPRIM_400000_NS6detail17trampoline_kernelINS0_14default_configENS1_25partition_config_selectorILNS1_17partition_subalgoE8ElNS0_10empty_typeEbEEZZNS1_14partition_implILS5_8ELb0ES3_jPlPS6_PKS6_NS0_5tupleIJS9_S6_EEENSD_IJSA_SA_EEENS0_18inequality_wrapperIZN2at6native12_GLOBAL__N_124unique_dim_cuda_templateIaEESt5tupleIJNSH_6TensorESM_SM_EERKSM_lbbbEUlllE0_EEPmJS6_EEE10hipError_tPvRmT3_T4_T5_T6_T7_T9_mT8_P12ihipStream_tbDpT10_ENKUlT_T0_E_clISt17integral_constantIbLb0EES1C_EEDaS17_S18_EUlS17_E_NS1_11comp_targetILNS1_3genE3ELNS1_11target_archE908ELNS1_3gpuE7ELNS1_3repE0EEENS1_30default_config_static_selectorELNS0_4arch9wavefront6targetE1EEEvT1_
; %bb.0:
	.section	.rodata,"a",@progbits
	.p2align	6, 0x0
	.amdhsa_kernel _ZN7rocprim17ROCPRIM_400000_NS6detail17trampoline_kernelINS0_14default_configENS1_25partition_config_selectorILNS1_17partition_subalgoE8ElNS0_10empty_typeEbEEZZNS1_14partition_implILS5_8ELb0ES3_jPlPS6_PKS6_NS0_5tupleIJS9_S6_EEENSD_IJSA_SA_EEENS0_18inequality_wrapperIZN2at6native12_GLOBAL__N_124unique_dim_cuda_templateIaEESt5tupleIJNSH_6TensorESM_SM_EERKSM_lbbbEUlllE0_EEPmJS6_EEE10hipError_tPvRmT3_T4_T5_T6_T7_T9_mT8_P12ihipStream_tbDpT10_ENKUlT_T0_E_clISt17integral_constantIbLb0EES1C_EEDaS17_S18_EUlS17_E_NS1_11comp_targetILNS1_3genE3ELNS1_11target_archE908ELNS1_3gpuE7ELNS1_3repE0EEENS1_30default_config_static_selectorELNS0_4arch9wavefront6targetE1EEEvT1_
		.amdhsa_group_segment_fixed_size 0
		.amdhsa_private_segment_fixed_size 0
		.amdhsa_kernarg_size 120
		.amdhsa_user_sgpr_count 2
		.amdhsa_user_sgpr_dispatch_ptr 0
		.amdhsa_user_sgpr_queue_ptr 0
		.amdhsa_user_sgpr_kernarg_segment_ptr 1
		.amdhsa_user_sgpr_dispatch_id 0
		.amdhsa_user_sgpr_kernarg_preload_length 0
		.amdhsa_user_sgpr_kernarg_preload_offset 0
		.amdhsa_user_sgpr_private_segment_size 0
		.amdhsa_uses_dynamic_stack 0
		.amdhsa_enable_private_segment 0
		.amdhsa_system_sgpr_workgroup_id_x 1
		.amdhsa_system_sgpr_workgroup_id_y 0
		.amdhsa_system_sgpr_workgroup_id_z 0
		.amdhsa_system_sgpr_workgroup_info 0
		.amdhsa_system_vgpr_workitem_id 0
		.amdhsa_next_free_vgpr 1
		.amdhsa_next_free_sgpr 0
		.amdhsa_accum_offset 4
		.amdhsa_reserve_vcc 0
		.amdhsa_float_round_mode_32 0
		.amdhsa_float_round_mode_16_64 0
		.amdhsa_float_denorm_mode_32 3
		.amdhsa_float_denorm_mode_16_64 3
		.amdhsa_dx10_clamp 1
		.amdhsa_ieee_mode 1
		.amdhsa_fp16_overflow 0
		.amdhsa_tg_split 0
		.amdhsa_exception_fp_ieee_invalid_op 0
		.amdhsa_exception_fp_denorm_src 0
		.amdhsa_exception_fp_ieee_div_zero 0
		.amdhsa_exception_fp_ieee_overflow 0
		.amdhsa_exception_fp_ieee_underflow 0
		.amdhsa_exception_fp_ieee_inexact 0
		.amdhsa_exception_int_div_zero 0
	.end_amdhsa_kernel
	.section	.text._ZN7rocprim17ROCPRIM_400000_NS6detail17trampoline_kernelINS0_14default_configENS1_25partition_config_selectorILNS1_17partition_subalgoE8ElNS0_10empty_typeEbEEZZNS1_14partition_implILS5_8ELb0ES3_jPlPS6_PKS6_NS0_5tupleIJS9_S6_EEENSD_IJSA_SA_EEENS0_18inequality_wrapperIZN2at6native12_GLOBAL__N_124unique_dim_cuda_templateIaEESt5tupleIJNSH_6TensorESM_SM_EERKSM_lbbbEUlllE0_EEPmJS6_EEE10hipError_tPvRmT3_T4_T5_T6_T7_T9_mT8_P12ihipStream_tbDpT10_ENKUlT_T0_E_clISt17integral_constantIbLb0EES1C_EEDaS17_S18_EUlS17_E_NS1_11comp_targetILNS1_3genE3ELNS1_11target_archE908ELNS1_3gpuE7ELNS1_3repE0EEENS1_30default_config_static_selectorELNS0_4arch9wavefront6targetE1EEEvT1_,"axG",@progbits,_ZN7rocprim17ROCPRIM_400000_NS6detail17trampoline_kernelINS0_14default_configENS1_25partition_config_selectorILNS1_17partition_subalgoE8ElNS0_10empty_typeEbEEZZNS1_14partition_implILS5_8ELb0ES3_jPlPS6_PKS6_NS0_5tupleIJS9_S6_EEENSD_IJSA_SA_EEENS0_18inequality_wrapperIZN2at6native12_GLOBAL__N_124unique_dim_cuda_templateIaEESt5tupleIJNSH_6TensorESM_SM_EERKSM_lbbbEUlllE0_EEPmJS6_EEE10hipError_tPvRmT3_T4_T5_T6_T7_T9_mT8_P12ihipStream_tbDpT10_ENKUlT_T0_E_clISt17integral_constantIbLb0EES1C_EEDaS17_S18_EUlS17_E_NS1_11comp_targetILNS1_3genE3ELNS1_11target_archE908ELNS1_3gpuE7ELNS1_3repE0EEENS1_30default_config_static_selectorELNS0_4arch9wavefront6targetE1EEEvT1_,comdat
.Lfunc_end322:
	.size	_ZN7rocprim17ROCPRIM_400000_NS6detail17trampoline_kernelINS0_14default_configENS1_25partition_config_selectorILNS1_17partition_subalgoE8ElNS0_10empty_typeEbEEZZNS1_14partition_implILS5_8ELb0ES3_jPlPS6_PKS6_NS0_5tupleIJS9_S6_EEENSD_IJSA_SA_EEENS0_18inequality_wrapperIZN2at6native12_GLOBAL__N_124unique_dim_cuda_templateIaEESt5tupleIJNSH_6TensorESM_SM_EERKSM_lbbbEUlllE0_EEPmJS6_EEE10hipError_tPvRmT3_T4_T5_T6_T7_T9_mT8_P12ihipStream_tbDpT10_ENKUlT_T0_E_clISt17integral_constantIbLb0EES1C_EEDaS17_S18_EUlS17_E_NS1_11comp_targetILNS1_3genE3ELNS1_11target_archE908ELNS1_3gpuE7ELNS1_3repE0EEENS1_30default_config_static_selectorELNS0_4arch9wavefront6targetE1EEEvT1_, .Lfunc_end322-_ZN7rocprim17ROCPRIM_400000_NS6detail17trampoline_kernelINS0_14default_configENS1_25partition_config_selectorILNS1_17partition_subalgoE8ElNS0_10empty_typeEbEEZZNS1_14partition_implILS5_8ELb0ES3_jPlPS6_PKS6_NS0_5tupleIJS9_S6_EEENSD_IJSA_SA_EEENS0_18inequality_wrapperIZN2at6native12_GLOBAL__N_124unique_dim_cuda_templateIaEESt5tupleIJNSH_6TensorESM_SM_EERKSM_lbbbEUlllE0_EEPmJS6_EEE10hipError_tPvRmT3_T4_T5_T6_T7_T9_mT8_P12ihipStream_tbDpT10_ENKUlT_T0_E_clISt17integral_constantIbLb0EES1C_EEDaS17_S18_EUlS17_E_NS1_11comp_targetILNS1_3genE3ELNS1_11target_archE908ELNS1_3gpuE7ELNS1_3repE0EEENS1_30default_config_static_selectorELNS0_4arch9wavefront6targetE1EEEvT1_
                                        ; -- End function
	.set _ZN7rocprim17ROCPRIM_400000_NS6detail17trampoline_kernelINS0_14default_configENS1_25partition_config_selectorILNS1_17partition_subalgoE8ElNS0_10empty_typeEbEEZZNS1_14partition_implILS5_8ELb0ES3_jPlPS6_PKS6_NS0_5tupleIJS9_S6_EEENSD_IJSA_SA_EEENS0_18inequality_wrapperIZN2at6native12_GLOBAL__N_124unique_dim_cuda_templateIaEESt5tupleIJNSH_6TensorESM_SM_EERKSM_lbbbEUlllE0_EEPmJS6_EEE10hipError_tPvRmT3_T4_T5_T6_T7_T9_mT8_P12ihipStream_tbDpT10_ENKUlT_T0_E_clISt17integral_constantIbLb0EES1C_EEDaS17_S18_EUlS17_E_NS1_11comp_targetILNS1_3genE3ELNS1_11target_archE908ELNS1_3gpuE7ELNS1_3repE0EEENS1_30default_config_static_selectorELNS0_4arch9wavefront6targetE1EEEvT1_.num_vgpr, 0
	.set _ZN7rocprim17ROCPRIM_400000_NS6detail17trampoline_kernelINS0_14default_configENS1_25partition_config_selectorILNS1_17partition_subalgoE8ElNS0_10empty_typeEbEEZZNS1_14partition_implILS5_8ELb0ES3_jPlPS6_PKS6_NS0_5tupleIJS9_S6_EEENSD_IJSA_SA_EEENS0_18inequality_wrapperIZN2at6native12_GLOBAL__N_124unique_dim_cuda_templateIaEESt5tupleIJNSH_6TensorESM_SM_EERKSM_lbbbEUlllE0_EEPmJS6_EEE10hipError_tPvRmT3_T4_T5_T6_T7_T9_mT8_P12ihipStream_tbDpT10_ENKUlT_T0_E_clISt17integral_constantIbLb0EES1C_EEDaS17_S18_EUlS17_E_NS1_11comp_targetILNS1_3genE3ELNS1_11target_archE908ELNS1_3gpuE7ELNS1_3repE0EEENS1_30default_config_static_selectorELNS0_4arch9wavefront6targetE1EEEvT1_.num_agpr, 0
	.set _ZN7rocprim17ROCPRIM_400000_NS6detail17trampoline_kernelINS0_14default_configENS1_25partition_config_selectorILNS1_17partition_subalgoE8ElNS0_10empty_typeEbEEZZNS1_14partition_implILS5_8ELb0ES3_jPlPS6_PKS6_NS0_5tupleIJS9_S6_EEENSD_IJSA_SA_EEENS0_18inequality_wrapperIZN2at6native12_GLOBAL__N_124unique_dim_cuda_templateIaEESt5tupleIJNSH_6TensorESM_SM_EERKSM_lbbbEUlllE0_EEPmJS6_EEE10hipError_tPvRmT3_T4_T5_T6_T7_T9_mT8_P12ihipStream_tbDpT10_ENKUlT_T0_E_clISt17integral_constantIbLb0EES1C_EEDaS17_S18_EUlS17_E_NS1_11comp_targetILNS1_3genE3ELNS1_11target_archE908ELNS1_3gpuE7ELNS1_3repE0EEENS1_30default_config_static_selectorELNS0_4arch9wavefront6targetE1EEEvT1_.numbered_sgpr, 0
	.set _ZN7rocprim17ROCPRIM_400000_NS6detail17trampoline_kernelINS0_14default_configENS1_25partition_config_selectorILNS1_17partition_subalgoE8ElNS0_10empty_typeEbEEZZNS1_14partition_implILS5_8ELb0ES3_jPlPS6_PKS6_NS0_5tupleIJS9_S6_EEENSD_IJSA_SA_EEENS0_18inequality_wrapperIZN2at6native12_GLOBAL__N_124unique_dim_cuda_templateIaEESt5tupleIJNSH_6TensorESM_SM_EERKSM_lbbbEUlllE0_EEPmJS6_EEE10hipError_tPvRmT3_T4_T5_T6_T7_T9_mT8_P12ihipStream_tbDpT10_ENKUlT_T0_E_clISt17integral_constantIbLb0EES1C_EEDaS17_S18_EUlS17_E_NS1_11comp_targetILNS1_3genE3ELNS1_11target_archE908ELNS1_3gpuE7ELNS1_3repE0EEENS1_30default_config_static_selectorELNS0_4arch9wavefront6targetE1EEEvT1_.num_named_barrier, 0
	.set _ZN7rocprim17ROCPRIM_400000_NS6detail17trampoline_kernelINS0_14default_configENS1_25partition_config_selectorILNS1_17partition_subalgoE8ElNS0_10empty_typeEbEEZZNS1_14partition_implILS5_8ELb0ES3_jPlPS6_PKS6_NS0_5tupleIJS9_S6_EEENSD_IJSA_SA_EEENS0_18inequality_wrapperIZN2at6native12_GLOBAL__N_124unique_dim_cuda_templateIaEESt5tupleIJNSH_6TensorESM_SM_EERKSM_lbbbEUlllE0_EEPmJS6_EEE10hipError_tPvRmT3_T4_T5_T6_T7_T9_mT8_P12ihipStream_tbDpT10_ENKUlT_T0_E_clISt17integral_constantIbLb0EES1C_EEDaS17_S18_EUlS17_E_NS1_11comp_targetILNS1_3genE3ELNS1_11target_archE908ELNS1_3gpuE7ELNS1_3repE0EEENS1_30default_config_static_selectorELNS0_4arch9wavefront6targetE1EEEvT1_.private_seg_size, 0
	.set _ZN7rocprim17ROCPRIM_400000_NS6detail17trampoline_kernelINS0_14default_configENS1_25partition_config_selectorILNS1_17partition_subalgoE8ElNS0_10empty_typeEbEEZZNS1_14partition_implILS5_8ELb0ES3_jPlPS6_PKS6_NS0_5tupleIJS9_S6_EEENSD_IJSA_SA_EEENS0_18inequality_wrapperIZN2at6native12_GLOBAL__N_124unique_dim_cuda_templateIaEESt5tupleIJNSH_6TensorESM_SM_EERKSM_lbbbEUlllE0_EEPmJS6_EEE10hipError_tPvRmT3_T4_T5_T6_T7_T9_mT8_P12ihipStream_tbDpT10_ENKUlT_T0_E_clISt17integral_constantIbLb0EES1C_EEDaS17_S18_EUlS17_E_NS1_11comp_targetILNS1_3genE3ELNS1_11target_archE908ELNS1_3gpuE7ELNS1_3repE0EEENS1_30default_config_static_selectorELNS0_4arch9wavefront6targetE1EEEvT1_.uses_vcc, 0
	.set _ZN7rocprim17ROCPRIM_400000_NS6detail17trampoline_kernelINS0_14default_configENS1_25partition_config_selectorILNS1_17partition_subalgoE8ElNS0_10empty_typeEbEEZZNS1_14partition_implILS5_8ELb0ES3_jPlPS6_PKS6_NS0_5tupleIJS9_S6_EEENSD_IJSA_SA_EEENS0_18inequality_wrapperIZN2at6native12_GLOBAL__N_124unique_dim_cuda_templateIaEESt5tupleIJNSH_6TensorESM_SM_EERKSM_lbbbEUlllE0_EEPmJS6_EEE10hipError_tPvRmT3_T4_T5_T6_T7_T9_mT8_P12ihipStream_tbDpT10_ENKUlT_T0_E_clISt17integral_constantIbLb0EES1C_EEDaS17_S18_EUlS17_E_NS1_11comp_targetILNS1_3genE3ELNS1_11target_archE908ELNS1_3gpuE7ELNS1_3repE0EEENS1_30default_config_static_selectorELNS0_4arch9wavefront6targetE1EEEvT1_.uses_flat_scratch, 0
	.set _ZN7rocprim17ROCPRIM_400000_NS6detail17trampoline_kernelINS0_14default_configENS1_25partition_config_selectorILNS1_17partition_subalgoE8ElNS0_10empty_typeEbEEZZNS1_14partition_implILS5_8ELb0ES3_jPlPS6_PKS6_NS0_5tupleIJS9_S6_EEENSD_IJSA_SA_EEENS0_18inequality_wrapperIZN2at6native12_GLOBAL__N_124unique_dim_cuda_templateIaEESt5tupleIJNSH_6TensorESM_SM_EERKSM_lbbbEUlllE0_EEPmJS6_EEE10hipError_tPvRmT3_T4_T5_T6_T7_T9_mT8_P12ihipStream_tbDpT10_ENKUlT_T0_E_clISt17integral_constantIbLb0EES1C_EEDaS17_S18_EUlS17_E_NS1_11comp_targetILNS1_3genE3ELNS1_11target_archE908ELNS1_3gpuE7ELNS1_3repE0EEENS1_30default_config_static_selectorELNS0_4arch9wavefront6targetE1EEEvT1_.has_dyn_sized_stack, 0
	.set _ZN7rocprim17ROCPRIM_400000_NS6detail17trampoline_kernelINS0_14default_configENS1_25partition_config_selectorILNS1_17partition_subalgoE8ElNS0_10empty_typeEbEEZZNS1_14partition_implILS5_8ELb0ES3_jPlPS6_PKS6_NS0_5tupleIJS9_S6_EEENSD_IJSA_SA_EEENS0_18inequality_wrapperIZN2at6native12_GLOBAL__N_124unique_dim_cuda_templateIaEESt5tupleIJNSH_6TensorESM_SM_EERKSM_lbbbEUlllE0_EEPmJS6_EEE10hipError_tPvRmT3_T4_T5_T6_T7_T9_mT8_P12ihipStream_tbDpT10_ENKUlT_T0_E_clISt17integral_constantIbLb0EES1C_EEDaS17_S18_EUlS17_E_NS1_11comp_targetILNS1_3genE3ELNS1_11target_archE908ELNS1_3gpuE7ELNS1_3repE0EEENS1_30default_config_static_selectorELNS0_4arch9wavefront6targetE1EEEvT1_.has_recursion, 0
	.set _ZN7rocprim17ROCPRIM_400000_NS6detail17trampoline_kernelINS0_14default_configENS1_25partition_config_selectorILNS1_17partition_subalgoE8ElNS0_10empty_typeEbEEZZNS1_14partition_implILS5_8ELb0ES3_jPlPS6_PKS6_NS0_5tupleIJS9_S6_EEENSD_IJSA_SA_EEENS0_18inequality_wrapperIZN2at6native12_GLOBAL__N_124unique_dim_cuda_templateIaEESt5tupleIJNSH_6TensorESM_SM_EERKSM_lbbbEUlllE0_EEPmJS6_EEE10hipError_tPvRmT3_T4_T5_T6_T7_T9_mT8_P12ihipStream_tbDpT10_ENKUlT_T0_E_clISt17integral_constantIbLb0EES1C_EEDaS17_S18_EUlS17_E_NS1_11comp_targetILNS1_3genE3ELNS1_11target_archE908ELNS1_3gpuE7ELNS1_3repE0EEENS1_30default_config_static_selectorELNS0_4arch9wavefront6targetE1EEEvT1_.has_indirect_call, 0
	.section	.AMDGPU.csdata,"",@progbits
; Kernel info:
; codeLenInByte = 0
; TotalNumSgprs: 6
; NumVgprs: 0
; NumAgprs: 0
; TotalNumVgprs: 0
; ScratchSize: 0
; MemoryBound: 0
; FloatMode: 240
; IeeeMode: 1
; LDSByteSize: 0 bytes/workgroup (compile time only)
; SGPRBlocks: 0
; VGPRBlocks: 0
; NumSGPRsForWavesPerEU: 6
; NumVGPRsForWavesPerEU: 1
; AccumOffset: 4
; Occupancy: 8
; WaveLimiterHint : 0
; COMPUTE_PGM_RSRC2:SCRATCH_EN: 0
; COMPUTE_PGM_RSRC2:USER_SGPR: 2
; COMPUTE_PGM_RSRC2:TRAP_HANDLER: 0
; COMPUTE_PGM_RSRC2:TGID_X_EN: 1
; COMPUTE_PGM_RSRC2:TGID_Y_EN: 0
; COMPUTE_PGM_RSRC2:TGID_Z_EN: 0
; COMPUTE_PGM_RSRC2:TIDIG_COMP_CNT: 0
; COMPUTE_PGM_RSRC3_GFX90A:ACCUM_OFFSET: 0
; COMPUTE_PGM_RSRC3_GFX90A:TG_SPLIT: 0
	.section	.text._ZN7rocprim17ROCPRIM_400000_NS6detail17trampoline_kernelINS0_14default_configENS1_25partition_config_selectorILNS1_17partition_subalgoE8ElNS0_10empty_typeEbEEZZNS1_14partition_implILS5_8ELb0ES3_jPlPS6_PKS6_NS0_5tupleIJS9_S6_EEENSD_IJSA_SA_EEENS0_18inequality_wrapperIZN2at6native12_GLOBAL__N_124unique_dim_cuda_templateIaEESt5tupleIJNSH_6TensorESM_SM_EERKSM_lbbbEUlllE0_EEPmJS6_EEE10hipError_tPvRmT3_T4_T5_T6_T7_T9_mT8_P12ihipStream_tbDpT10_ENKUlT_T0_E_clISt17integral_constantIbLb0EES1C_EEDaS17_S18_EUlS17_E_NS1_11comp_targetILNS1_3genE2ELNS1_11target_archE906ELNS1_3gpuE6ELNS1_3repE0EEENS1_30default_config_static_selectorELNS0_4arch9wavefront6targetE1EEEvT1_,"axG",@progbits,_ZN7rocprim17ROCPRIM_400000_NS6detail17trampoline_kernelINS0_14default_configENS1_25partition_config_selectorILNS1_17partition_subalgoE8ElNS0_10empty_typeEbEEZZNS1_14partition_implILS5_8ELb0ES3_jPlPS6_PKS6_NS0_5tupleIJS9_S6_EEENSD_IJSA_SA_EEENS0_18inequality_wrapperIZN2at6native12_GLOBAL__N_124unique_dim_cuda_templateIaEESt5tupleIJNSH_6TensorESM_SM_EERKSM_lbbbEUlllE0_EEPmJS6_EEE10hipError_tPvRmT3_T4_T5_T6_T7_T9_mT8_P12ihipStream_tbDpT10_ENKUlT_T0_E_clISt17integral_constantIbLb0EES1C_EEDaS17_S18_EUlS17_E_NS1_11comp_targetILNS1_3genE2ELNS1_11target_archE906ELNS1_3gpuE6ELNS1_3repE0EEENS1_30default_config_static_selectorELNS0_4arch9wavefront6targetE1EEEvT1_,comdat
	.globl	_ZN7rocprim17ROCPRIM_400000_NS6detail17trampoline_kernelINS0_14default_configENS1_25partition_config_selectorILNS1_17partition_subalgoE8ElNS0_10empty_typeEbEEZZNS1_14partition_implILS5_8ELb0ES3_jPlPS6_PKS6_NS0_5tupleIJS9_S6_EEENSD_IJSA_SA_EEENS0_18inequality_wrapperIZN2at6native12_GLOBAL__N_124unique_dim_cuda_templateIaEESt5tupleIJNSH_6TensorESM_SM_EERKSM_lbbbEUlllE0_EEPmJS6_EEE10hipError_tPvRmT3_T4_T5_T6_T7_T9_mT8_P12ihipStream_tbDpT10_ENKUlT_T0_E_clISt17integral_constantIbLb0EES1C_EEDaS17_S18_EUlS17_E_NS1_11comp_targetILNS1_3genE2ELNS1_11target_archE906ELNS1_3gpuE6ELNS1_3repE0EEENS1_30default_config_static_selectorELNS0_4arch9wavefront6targetE1EEEvT1_ ; -- Begin function _ZN7rocprim17ROCPRIM_400000_NS6detail17trampoline_kernelINS0_14default_configENS1_25partition_config_selectorILNS1_17partition_subalgoE8ElNS0_10empty_typeEbEEZZNS1_14partition_implILS5_8ELb0ES3_jPlPS6_PKS6_NS0_5tupleIJS9_S6_EEENSD_IJSA_SA_EEENS0_18inequality_wrapperIZN2at6native12_GLOBAL__N_124unique_dim_cuda_templateIaEESt5tupleIJNSH_6TensorESM_SM_EERKSM_lbbbEUlllE0_EEPmJS6_EEE10hipError_tPvRmT3_T4_T5_T6_T7_T9_mT8_P12ihipStream_tbDpT10_ENKUlT_T0_E_clISt17integral_constantIbLb0EES1C_EEDaS17_S18_EUlS17_E_NS1_11comp_targetILNS1_3genE2ELNS1_11target_archE906ELNS1_3gpuE6ELNS1_3repE0EEENS1_30default_config_static_selectorELNS0_4arch9wavefront6targetE1EEEvT1_
	.p2align	8
	.type	_ZN7rocprim17ROCPRIM_400000_NS6detail17trampoline_kernelINS0_14default_configENS1_25partition_config_selectorILNS1_17partition_subalgoE8ElNS0_10empty_typeEbEEZZNS1_14partition_implILS5_8ELb0ES3_jPlPS6_PKS6_NS0_5tupleIJS9_S6_EEENSD_IJSA_SA_EEENS0_18inequality_wrapperIZN2at6native12_GLOBAL__N_124unique_dim_cuda_templateIaEESt5tupleIJNSH_6TensorESM_SM_EERKSM_lbbbEUlllE0_EEPmJS6_EEE10hipError_tPvRmT3_T4_T5_T6_T7_T9_mT8_P12ihipStream_tbDpT10_ENKUlT_T0_E_clISt17integral_constantIbLb0EES1C_EEDaS17_S18_EUlS17_E_NS1_11comp_targetILNS1_3genE2ELNS1_11target_archE906ELNS1_3gpuE6ELNS1_3repE0EEENS1_30default_config_static_selectorELNS0_4arch9wavefront6targetE1EEEvT1_,@function
_ZN7rocprim17ROCPRIM_400000_NS6detail17trampoline_kernelINS0_14default_configENS1_25partition_config_selectorILNS1_17partition_subalgoE8ElNS0_10empty_typeEbEEZZNS1_14partition_implILS5_8ELb0ES3_jPlPS6_PKS6_NS0_5tupleIJS9_S6_EEENSD_IJSA_SA_EEENS0_18inequality_wrapperIZN2at6native12_GLOBAL__N_124unique_dim_cuda_templateIaEESt5tupleIJNSH_6TensorESM_SM_EERKSM_lbbbEUlllE0_EEPmJS6_EEE10hipError_tPvRmT3_T4_T5_T6_T7_T9_mT8_P12ihipStream_tbDpT10_ENKUlT_T0_E_clISt17integral_constantIbLb0EES1C_EEDaS17_S18_EUlS17_E_NS1_11comp_targetILNS1_3genE2ELNS1_11target_archE906ELNS1_3gpuE6ELNS1_3repE0EEENS1_30default_config_static_selectorELNS0_4arch9wavefront6targetE1EEEvT1_: ; @_ZN7rocprim17ROCPRIM_400000_NS6detail17trampoline_kernelINS0_14default_configENS1_25partition_config_selectorILNS1_17partition_subalgoE8ElNS0_10empty_typeEbEEZZNS1_14partition_implILS5_8ELb0ES3_jPlPS6_PKS6_NS0_5tupleIJS9_S6_EEENSD_IJSA_SA_EEENS0_18inequality_wrapperIZN2at6native12_GLOBAL__N_124unique_dim_cuda_templateIaEESt5tupleIJNSH_6TensorESM_SM_EERKSM_lbbbEUlllE0_EEPmJS6_EEE10hipError_tPvRmT3_T4_T5_T6_T7_T9_mT8_P12ihipStream_tbDpT10_ENKUlT_T0_E_clISt17integral_constantIbLb0EES1C_EEDaS17_S18_EUlS17_E_NS1_11comp_targetILNS1_3genE2ELNS1_11target_archE906ELNS1_3gpuE6ELNS1_3repE0EEENS1_30default_config_static_selectorELNS0_4arch9wavefront6targetE1EEEvT1_
; %bb.0:
	.section	.rodata,"a",@progbits
	.p2align	6, 0x0
	.amdhsa_kernel _ZN7rocprim17ROCPRIM_400000_NS6detail17trampoline_kernelINS0_14default_configENS1_25partition_config_selectorILNS1_17partition_subalgoE8ElNS0_10empty_typeEbEEZZNS1_14partition_implILS5_8ELb0ES3_jPlPS6_PKS6_NS0_5tupleIJS9_S6_EEENSD_IJSA_SA_EEENS0_18inequality_wrapperIZN2at6native12_GLOBAL__N_124unique_dim_cuda_templateIaEESt5tupleIJNSH_6TensorESM_SM_EERKSM_lbbbEUlllE0_EEPmJS6_EEE10hipError_tPvRmT3_T4_T5_T6_T7_T9_mT8_P12ihipStream_tbDpT10_ENKUlT_T0_E_clISt17integral_constantIbLb0EES1C_EEDaS17_S18_EUlS17_E_NS1_11comp_targetILNS1_3genE2ELNS1_11target_archE906ELNS1_3gpuE6ELNS1_3repE0EEENS1_30default_config_static_selectorELNS0_4arch9wavefront6targetE1EEEvT1_
		.amdhsa_group_segment_fixed_size 0
		.amdhsa_private_segment_fixed_size 0
		.amdhsa_kernarg_size 120
		.amdhsa_user_sgpr_count 2
		.amdhsa_user_sgpr_dispatch_ptr 0
		.amdhsa_user_sgpr_queue_ptr 0
		.amdhsa_user_sgpr_kernarg_segment_ptr 1
		.amdhsa_user_sgpr_dispatch_id 0
		.amdhsa_user_sgpr_kernarg_preload_length 0
		.amdhsa_user_sgpr_kernarg_preload_offset 0
		.amdhsa_user_sgpr_private_segment_size 0
		.amdhsa_uses_dynamic_stack 0
		.amdhsa_enable_private_segment 0
		.amdhsa_system_sgpr_workgroup_id_x 1
		.amdhsa_system_sgpr_workgroup_id_y 0
		.amdhsa_system_sgpr_workgroup_id_z 0
		.amdhsa_system_sgpr_workgroup_info 0
		.amdhsa_system_vgpr_workitem_id 0
		.amdhsa_next_free_vgpr 1
		.amdhsa_next_free_sgpr 0
		.amdhsa_accum_offset 4
		.amdhsa_reserve_vcc 0
		.amdhsa_float_round_mode_32 0
		.amdhsa_float_round_mode_16_64 0
		.amdhsa_float_denorm_mode_32 3
		.amdhsa_float_denorm_mode_16_64 3
		.amdhsa_dx10_clamp 1
		.amdhsa_ieee_mode 1
		.amdhsa_fp16_overflow 0
		.amdhsa_tg_split 0
		.amdhsa_exception_fp_ieee_invalid_op 0
		.amdhsa_exception_fp_denorm_src 0
		.amdhsa_exception_fp_ieee_div_zero 0
		.amdhsa_exception_fp_ieee_overflow 0
		.amdhsa_exception_fp_ieee_underflow 0
		.amdhsa_exception_fp_ieee_inexact 0
		.amdhsa_exception_int_div_zero 0
	.end_amdhsa_kernel
	.section	.text._ZN7rocprim17ROCPRIM_400000_NS6detail17trampoline_kernelINS0_14default_configENS1_25partition_config_selectorILNS1_17partition_subalgoE8ElNS0_10empty_typeEbEEZZNS1_14partition_implILS5_8ELb0ES3_jPlPS6_PKS6_NS0_5tupleIJS9_S6_EEENSD_IJSA_SA_EEENS0_18inequality_wrapperIZN2at6native12_GLOBAL__N_124unique_dim_cuda_templateIaEESt5tupleIJNSH_6TensorESM_SM_EERKSM_lbbbEUlllE0_EEPmJS6_EEE10hipError_tPvRmT3_T4_T5_T6_T7_T9_mT8_P12ihipStream_tbDpT10_ENKUlT_T0_E_clISt17integral_constantIbLb0EES1C_EEDaS17_S18_EUlS17_E_NS1_11comp_targetILNS1_3genE2ELNS1_11target_archE906ELNS1_3gpuE6ELNS1_3repE0EEENS1_30default_config_static_selectorELNS0_4arch9wavefront6targetE1EEEvT1_,"axG",@progbits,_ZN7rocprim17ROCPRIM_400000_NS6detail17trampoline_kernelINS0_14default_configENS1_25partition_config_selectorILNS1_17partition_subalgoE8ElNS0_10empty_typeEbEEZZNS1_14partition_implILS5_8ELb0ES3_jPlPS6_PKS6_NS0_5tupleIJS9_S6_EEENSD_IJSA_SA_EEENS0_18inequality_wrapperIZN2at6native12_GLOBAL__N_124unique_dim_cuda_templateIaEESt5tupleIJNSH_6TensorESM_SM_EERKSM_lbbbEUlllE0_EEPmJS6_EEE10hipError_tPvRmT3_T4_T5_T6_T7_T9_mT8_P12ihipStream_tbDpT10_ENKUlT_T0_E_clISt17integral_constantIbLb0EES1C_EEDaS17_S18_EUlS17_E_NS1_11comp_targetILNS1_3genE2ELNS1_11target_archE906ELNS1_3gpuE6ELNS1_3repE0EEENS1_30default_config_static_selectorELNS0_4arch9wavefront6targetE1EEEvT1_,comdat
.Lfunc_end323:
	.size	_ZN7rocprim17ROCPRIM_400000_NS6detail17trampoline_kernelINS0_14default_configENS1_25partition_config_selectorILNS1_17partition_subalgoE8ElNS0_10empty_typeEbEEZZNS1_14partition_implILS5_8ELb0ES3_jPlPS6_PKS6_NS0_5tupleIJS9_S6_EEENSD_IJSA_SA_EEENS0_18inequality_wrapperIZN2at6native12_GLOBAL__N_124unique_dim_cuda_templateIaEESt5tupleIJNSH_6TensorESM_SM_EERKSM_lbbbEUlllE0_EEPmJS6_EEE10hipError_tPvRmT3_T4_T5_T6_T7_T9_mT8_P12ihipStream_tbDpT10_ENKUlT_T0_E_clISt17integral_constantIbLb0EES1C_EEDaS17_S18_EUlS17_E_NS1_11comp_targetILNS1_3genE2ELNS1_11target_archE906ELNS1_3gpuE6ELNS1_3repE0EEENS1_30default_config_static_selectorELNS0_4arch9wavefront6targetE1EEEvT1_, .Lfunc_end323-_ZN7rocprim17ROCPRIM_400000_NS6detail17trampoline_kernelINS0_14default_configENS1_25partition_config_selectorILNS1_17partition_subalgoE8ElNS0_10empty_typeEbEEZZNS1_14partition_implILS5_8ELb0ES3_jPlPS6_PKS6_NS0_5tupleIJS9_S6_EEENSD_IJSA_SA_EEENS0_18inequality_wrapperIZN2at6native12_GLOBAL__N_124unique_dim_cuda_templateIaEESt5tupleIJNSH_6TensorESM_SM_EERKSM_lbbbEUlllE0_EEPmJS6_EEE10hipError_tPvRmT3_T4_T5_T6_T7_T9_mT8_P12ihipStream_tbDpT10_ENKUlT_T0_E_clISt17integral_constantIbLb0EES1C_EEDaS17_S18_EUlS17_E_NS1_11comp_targetILNS1_3genE2ELNS1_11target_archE906ELNS1_3gpuE6ELNS1_3repE0EEENS1_30default_config_static_selectorELNS0_4arch9wavefront6targetE1EEEvT1_
                                        ; -- End function
	.set _ZN7rocprim17ROCPRIM_400000_NS6detail17trampoline_kernelINS0_14default_configENS1_25partition_config_selectorILNS1_17partition_subalgoE8ElNS0_10empty_typeEbEEZZNS1_14partition_implILS5_8ELb0ES3_jPlPS6_PKS6_NS0_5tupleIJS9_S6_EEENSD_IJSA_SA_EEENS0_18inequality_wrapperIZN2at6native12_GLOBAL__N_124unique_dim_cuda_templateIaEESt5tupleIJNSH_6TensorESM_SM_EERKSM_lbbbEUlllE0_EEPmJS6_EEE10hipError_tPvRmT3_T4_T5_T6_T7_T9_mT8_P12ihipStream_tbDpT10_ENKUlT_T0_E_clISt17integral_constantIbLb0EES1C_EEDaS17_S18_EUlS17_E_NS1_11comp_targetILNS1_3genE2ELNS1_11target_archE906ELNS1_3gpuE6ELNS1_3repE0EEENS1_30default_config_static_selectorELNS0_4arch9wavefront6targetE1EEEvT1_.num_vgpr, 0
	.set _ZN7rocprim17ROCPRIM_400000_NS6detail17trampoline_kernelINS0_14default_configENS1_25partition_config_selectorILNS1_17partition_subalgoE8ElNS0_10empty_typeEbEEZZNS1_14partition_implILS5_8ELb0ES3_jPlPS6_PKS6_NS0_5tupleIJS9_S6_EEENSD_IJSA_SA_EEENS0_18inequality_wrapperIZN2at6native12_GLOBAL__N_124unique_dim_cuda_templateIaEESt5tupleIJNSH_6TensorESM_SM_EERKSM_lbbbEUlllE0_EEPmJS6_EEE10hipError_tPvRmT3_T4_T5_T6_T7_T9_mT8_P12ihipStream_tbDpT10_ENKUlT_T0_E_clISt17integral_constantIbLb0EES1C_EEDaS17_S18_EUlS17_E_NS1_11comp_targetILNS1_3genE2ELNS1_11target_archE906ELNS1_3gpuE6ELNS1_3repE0EEENS1_30default_config_static_selectorELNS0_4arch9wavefront6targetE1EEEvT1_.num_agpr, 0
	.set _ZN7rocprim17ROCPRIM_400000_NS6detail17trampoline_kernelINS0_14default_configENS1_25partition_config_selectorILNS1_17partition_subalgoE8ElNS0_10empty_typeEbEEZZNS1_14partition_implILS5_8ELb0ES3_jPlPS6_PKS6_NS0_5tupleIJS9_S6_EEENSD_IJSA_SA_EEENS0_18inequality_wrapperIZN2at6native12_GLOBAL__N_124unique_dim_cuda_templateIaEESt5tupleIJNSH_6TensorESM_SM_EERKSM_lbbbEUlllE0_EEPmJS6_EEE10hipError_tPvRmT3_T4_T5_T6_T7_T9_mT8_P12ihipStream_tbDpT10_ENKUlT_T0_E_clISt17integral_constantIbLb0EES1C_EEDaS17_S18_EUlS17_E_NS1_11comp_targetILNS1_3genE2ELNS1_11target_archE906ELNS1_3gpuE6ELNS1_3repE0EEENS1_30default_config_static_selectorELNS0_4arch9wavefront6targetE1EEEvT1_.numbered_sgpr, 0
	.set _ZN7rocprim17ROCPRIM_400000_NS6detail17trampoline_kernelINS0_14default_configENS1_25partition_config_selectorILNS1_17partition_subalgoE8ElNS0_10empty_typeEbEEZZNS1_14partition_implILS5_8ELb0ES3_jPlPS6_PKS6_NS0_5tupleIJS9_S6_EEENSD_IJSA_SA_EEENS0_18inequality_wrapperIZN2at6native12_GLOBAL__N_124unique_dim_cuda_templateIaEESt5tupleIJNSH_6TensorESM_SM_EERKSM_lbbbEUlllE0_EEPmJS6_EEE10hipError_tPvRmT3_T4_T5_T6_T7_T9_mT8_P12ihipStream_tbDpT10_ENKUlT_T0_E_clISt17integral_constantIbLb0EES1C_EEDaS17_S18_EUlS17_E_NS1_11comp_targetILNS1_3genE2ELNS1_11target_archE906ELNS1_3gpuE6ELNS1_3repE0EEENS1_30default_config_static_selectorELNS0_4arch9wavefront6targetE1EEEvT1_.num_named_barrier, 0
	.set _ZN7rocprim17ROCPRIM_400000_NS6detail17trampoline_kernelINS0_14default_configENS1_25partition_config_selectorILNS1_17partition_subalgoE8ElNS0_10empty_typeEbEEZZNS1_14partition_implILS5_8ELb0ES3_jPlPS6_PKS6_NS0_5tupleIJS9_S6_EEENSD_IJSA_SA_EEENS0_18inequality_wrapperIZN2at6native12_GLOBAL__N_124unique_dim_cuda_templateIaEESt5tupleIJNSH_6TensorESM_SM_EERKSM_lbbbEUlllE0_EEPmJS6_EEE10hipError_tPvRmT3_T4_T5_T6_T7_T9_mT8_P12ihipStream_tbDpT10_ENKUlT_T0_E_clISt17integral_constantIbLb0EES1C_EEDaS17_S18_EUlS17_E_NS1_11comp_targetILNS1_3genE2ELNS1_11target_archE906ELNS1_3gpuE6ELNS1_3repE0EEENS1_30default_config_static_selectorELNS0_4arch9wavefront6targetE1EEEvT1_.private_seg_size, 0
	.set _ZN7rocprim17ROCPRIM_400000_NS6detail17trampoline_kernelINS0_14default_configENS1_25partition_config_selectorILNS1_17partition_subalgoE8ElNS0_10empty_typeEbEEZZNS1_14partition_implILS5_8ELb0ES3_jPlPS6_PKS6_NS0_5tupleIJS9_S6_EEENSD_IJSA_SA_EEENS0_18inequality_wrapperIZN2at6native12_GLOBAL__N_124unique_dim_cuda_templateIaEESt5tupleIJNSH_6TensorESM_SM_EERKSM_lbbbEUlllE0_EEPmJS6_EEE10hipError_tPvRmT3_T4_T5_T6_T7_T9_mT8_P12ihipStream_tbDpT10_ENKUlT_T0_E_clISt17integral_constantIbLb0EES1C_EEDaS17_S18_EUlS17_E_NS1_11comp_targetILNS1_3genE2ELNS1_11target_archE906ELNS1_3gpuE6ELNS1_3repE0EEENS1_30default_config_static_selectorELNS0_4arch9wavefront6targetE1EEEvT1_.uses_vcc, 0
	.set _ZN7rocprim17ROCPRIM_400000_NS6detail17trampoline_kernelINS0_14default_configENS1_25partition_config_selectorILNS1_17partition_subalgoE8ElNS0_10empty_typeEbEEZZNS1_14partition_implILS5_8ELb0ES3_jPlPS6_PKS6_NS0_5tupleIJS9_S6_EEENSD_IJSA_SA_EEENS0_18inequality_wrapperIZN2at6native12_GLOBAL__N_124unique_dim_cuda_templateIaEESt5tupleIJNSH_6TensorESM_SM_EERKSM_lbbbEUlllE0_EEPmJS6_EEE10hipError_tPvRmT3_T4_T5_T6_T7_T9_mT8_P12ihipStream_tbDpT10_ENKUlT_T0_E_clISt17integral_constantIbLb0EES1C_EEDaS17_S18_EUlS17_E_NS1_11comp_targetILNS1_3genE2ELNS1_11target_archE906ELNS1_3gpuE6ELNS1_3repE0EEENS1_30default_config_static_selectorELNS0_4arch9wavefront6targetE1EEEvT1_.uses_flat_scratch, 0
	.set _ZN7rocprim17ROCPRIM_400000_NS6detail17trampoline_kernelINS0_14default_configENS1_25partition_config_selectorILNS1_17partition_subalgoE8ElNS0_10empty_typeEbEEZZNS1_14partition_implILS5_8ELb0ES3_jPlPS6_PKS6_NS0_5tupleIJS9_S6_EEENSD_IJSA_SA_EEENS0_18inequality_wrapperIZN2at6native12_GLOBAL__N_124unique_dim_cuda_templateIaEESt5tupleIJNSH_6TensorESM_SM_EERKSM_lbbbEUlllE0_EEPmJS6_EEE10hipError_tPvRmT3_T4_T5_T6_T7_T9_mT8_P12ihipStream_tbDpT10_ENKUlT_T0_E_clISt17integral_constantIbLb0EES1C_EEDaS17_S18_EUlS17_E_NS1_11comp_targetILNS1_3genE2ELNS1_11target_archE906ELNS1_3gpuE6ELNS1_3repE0EEENS1_30default_config_static_selectorELNS0_4arch9wavefront6targetE1EEEvT1_.has_dyn_sized_stack, 0
	.set _ZN7rocprim17ROCPRIM_400000_NS6detail17trampoline_kernelINS0_14default_configENS1_25partition_config_selectorILNS1_17partition_subalgoE8ElNS0_10empty_typeEbEEZZNS1_14partition_implILS5_8ELb0ES3_jPlPS6_PKS6_NS0_5tupleIJS9_S6_EEENSD_IJSA_SA_EEENS0_18inequality_wrapperIZN2at6native12_GLOBAL__N_124unique_dim_cuda_templateIaEESt5tupleIJNSH_6TensorESM_SM_EERKSM_lbbbEUlllE0_EEPmJS6_EEE10hipError_tPvRmT3_T4_T5_T6_T7_T9_mT8_P12ihipStream_tbDpT10_ENKUlT_T0_E_clISt17integral_constantIbLb0EES1C_EEDaS17_S18_EUlS17_E_NS1_11comp_targetILNS1_3genE2ELNS1_11target_archE906ELNS1_3gpuE6ELNS1_3repE0EEENS1_30default_config_static_selectorELNS0_4arch9wavefront6targetE1EEEvT1_.has_recursion, 0
	.set _ZN7rocprim17ROCPRIM_400000_NS6detail17trampoline_kernelINS0_14default_configENS1_25partition_config_selectorILNS1_17partition_subalgoE8ElNS0_10empty_typeEbEEZZNS1_14partition_implILS5_8ELb0ES3_jPlPS6_PKS6_NS0_5tupleIJS9_S6_EEENSD_IJSA_SA_EEENS0_18inequality_wrapperIZN2at6native12_GLOBAL__N_124unique_dim_cuda_templateIaEESt5tupleIJNSH_6TensorESM_SM_EERKSM_lbbbEUlllE0_EEPmJS6_EEE10hipError_tPvRmT3_T4_T5_T6_T7_T9_mT8_P12ihipStream_tbDpT10_ENKUlT_T0_E_clISt17integral_constantIbLb0EES1C_EEDaS17_S18_EUlS17_E_NS1_11comp_targetILNS1_3genE2ELNS1_11target_archE906ELNS1_3gpuE6ELNS1_3repE0EEENS1_30default_config_static_selectorELNS0_4arch9wavefront6targetE1EEEvT1_.has_indirect_call, 0
	.section	.AMDGPU.csdata,"",@progbits
; Kernel info:
; codeLenInByte = 0
; TotalNumSgprs: 6
; NumVgprs: 0
; NumAgprs: 0
; TotalNumVgprs: 0
; ScratchSize: 0
; MemoryBound: 0
; FloatMode: 240
; IeeeMode: 1
; LDSByteSize: 0 bytes/workgroup (compile time only)
; SGPRBlocks: 0
; VGPRBlocks: 0
; NumSGPRsForWavesPerEU: 6
; NumVGPRsForWavesPerEU: 1
; AccumOffset: 4
; Occupancy: 8
; WaveLimiterHint : 0
; COMPUTE_PGM_RSRC2:SCRATCH_EN: 0
; COMPUTE_PGM_RSRC2:USER_SGPR: 2
; COMPUTE_PGM_RSRC2:TRAP_HANDLER: 0
; COMPUTE_PGM_RSRC2:TGID_X_EN: 1
; COMPUTE_PGM_RSRC2:TGID_Y_EN: 0
; COMPUTE_PGM_RSRC2:TGID_Z_EN: 0
; COMPUTE_PGM_RSRC2:TIDIG_COMP_CNT: 0
; COMPUTE_PGM_RSRC3_GFX90A:ACCUM_OFFSET: 0
; COMPUTE_PGM_RSRC3_GFX90A:TG_SPLIT: 0
	.section	.text._ZN7rocprim17ROCPRIM_400000_NS6detail17trampoline_kernelINS0_14default_configENS1_25partition_config_selectorILNS1_17partition_subalgoE8ElNS0_10empty_typeEbEEZZNS1_14partition_implILS5_8ELb0ES3_jPlPS6_PKS6_NS0_5tupleIJS9_S6_EEENSD_IJSA_SA_EEENS0_18inequality_wrapperIZN2at6native12_GLOBAL__N_124unique_dim_cuda_templateIaEESt5tupleIJNSH_6TensorESM_SM_EERKSM_lbbbEUlllE0_EEPmJS6_EEE10hipError_tPvRmT3_T4_T5_T6_T7_T9_mT8_P12ihipStream_tbDpT10_ENKUlT_T0_E_clISt17integral_constantIbLb0EES1C_EEDaS17_S18_EUlS17_E_NS1_11comp_targetILNS1_3genE10ELNS1_11target_archE1200ELNS1_3gpuE4ELNS1_3repE0EEENS1_30default_config_static_selectorELNS0_4arch9wavefront6targetE1EEEvT1_,"axG",@progbits,_ZN7rocprim17ROCPRIM_400000_NS6detail17trampoline_kernelINS0_14default_configENS1_25partition_config_selectorILNS1_17partition_subalgoE8ElNS0_10empty_typeEbEEZZNS1_14partition_implILS5_8ELb0ES3_jPlPS6_PKS6_NS0_5tupleIJS9_S6_EEENSD_IJSA_SA_EEENS0_18inequality_wrapperIZN2at6native12_GLOBAL__N_124unique_dim_cuda_templateIaEESt5tupleIJNSH_6TensorESM_SM_EERKSM_lbbbEUlllE0_EEPmJS6_EEE10hipError_tPvRmT3_T4_T5_T6_T7_T9_mT8_P12ihipStream_tbDpT10_ENKUlT_T0_E_clISt17integral_constantIbLb0EES1C_EEDaS17_S18_EUlS17_E_NS1_11comp_targetILNS1_3genE10ELNS1_11target_archE1200ELNS1_3gpuE4ELNS1_3repE0EEENS1_30default_config_static_selectorELNS0_4arch9wavefront6targetE1EEEvT1_,comdat
	.globl	_ZN7rocprim17ROCPRIM_400000_NS6detail17trampoline_kernelINS0_14default_configENS1_25partition_config_selectorILNS1_17partition_subalgoE8ElNS0_10empty_typeEbEEZZNS1_14partition_implILS5_8ELb0ES3_jPlPS6_PKS6_NS0_5tupleIJS9_S6_EEENSD_IJSA_SA_EEENS0_18inequality_wrapperIZN2at6native12_GLOBAL__N_124unique_dim_cuda_templateIaEESt5tupleIJNSH_6TensorESM_SM_EERKSM_lbbbEUlllE0_EEPmJS6_EEE10hipError_tPvRmT3_T4_T5_T6_T7_T9_mT8_P12ihipStream_tbDpT10_ENKUlT_T0_E_clISt17integral_constantIbLb0EES1C_EEDaS17_S18_EUlS17_E_NS1_11comp_targetILNS1_3genE10ELNS1_11target_archE1200ELNS1_3gpuE4ELNS1_3repE0EEENS1_30default_config_static_selectorELNS0_4arch9wavefront6targetE1EEEvT1_ ; -- Begin function _ZN7rocprim17ROCPRIM_400000_NS6detail17trampoline_kernelINS0_14default_configENS1_25partition_config_selectorILNS1_17partition_subalgoE8ElNS0_10empty_typeEbEEZZNS1_14partition_implILS5_8ELb0ES3_jPlPS6_PKS6_NS0_5tupleIJS9_S6_EEENSD_IJSA_SA_EEENS0_18inequality_wrapperIZN2at6native12_GLOBAL__N_124unique_dim_cuda_templateIaEESt5tupleIJNSH_6TensorESM_SM_EERKSM_lbbbEUlllE0_EEPmJS6_EEE10hipError_tPvRmT3_T4_T5_T6_T7_T9_mT8_P12ihipStream_tbDpT10_ENKUlT_T0_E_clISt17integral_constantIbLb0EES1C_EEDaS17_S18_EUlS17_E_NS1_11comp_targetILNS1_3genE10ELNS1_11target_archE1200ELNS1_3gpuE4ELNS1_3repE0EEENS1_30default_config_static_selectorELNS0_4arch9wavefront6targetE1EEEvT1_
	.p2align	8
	.type	_ZN7rocprim17ROCPRIM_400000_NS6detail17trampoline_kernelINS0_14default_configENS1_25partition_config_selectorILNS1_17partition_subalgoE8ElNS0_10empty_typeEbEEZZNS1_14partition_implILS5_8ELb0ES3_jPlPS6_PKS6_NS0_5tupleIJS9_S6_EEENSD_IJSA_SA_EEENS0_18inequality_wrapperIZN2at6native12_GLOBAL__N_124unique_dim_cuda_templateIaEESt5tupleIJNSH_6TensorESM_SM_EERKSM_lbbbEUlllE0_EEPmJS6_EEE10hipError_tPvRmT3_T4_T5_T6_T7_T9_mT8_P12ihipStream_tbDpT10_ENKUlT_T0_E_clISt17integral_constantIbLb0EES1C_EEDaS17_S18_EUlS17_E_NS1_11comp_targetILNS1_3genE10ELNS1_11target_archE1200ELNS1_3gpuE4ELNS1_3repE0EEENS1_30default_config_static_selectorELNS0_4arch9wavefront6targetE1EEEvT1_,@function
_ZN7rocprim17ROCPRIM_400000_NS6detail17trampoline_kernelINS0_14default_configENS1_25partition_config_selectorILNS1_17partition_subalgoE8ElNS0_10empty_typeEbEEZZNS1_14partition_implILS5_8ELb0ES3_jPlPS6_PKS6_NS0_5tupleIJS9_S6_EEENSD_IJSA_SA_EEENS0_18inequality_wrapperIZN2at6native12_GLOBAL__N_124unique_dim_cuda_templateIaEESt5tupleIJNSH_6TensorESM_SM_EERKSM_lbbbEUlllE0_EEPmJS6_EEE10hipError_tPvRmT3_T4_T5_T6_T7_T9_mT8_P12ihipStream_tbDpT10_ENKUlT_T0_E_clISt17integral_constantIbLb0EES1C_EEDaS17_S18_EUlS17_E_NS1_11comp_targetILNS1_3genE10ELNS1_11target_archE1200ELNS1_3gpuE4ELNS1_3repE0EEENS1_30default_config_static_selectorELNS0_4arch9wavefront6targetE1EEEvT1_: ; @_ZN7rocprim17ROCPRIM_400000_NS6detail17trampoline_kernelINS0_14default_configENS1_25partition_config_selectorILNS1_17partition_subalgoE8ElNS0_10empty_typeEbEEZZNS1_14partition_implILS5_8ELb0ES3_jPlPS6_PKS6_NS0_5tupleIJS9_S6_EEENSD_IJSA_SA_EEENS0_18inequality_wrapperIZN2at6native12_GLOBAL__N_124unique_dim_cuda_templateIaEESt5tupleIJNSH_6TensorESM_SM_EERKSM_lbbbEUlllE0_EEPmJS6_EEE10hipError_tPvRmT3_T4_T5_T6_T7_T9_mT8_P12ihipStream_tbDpT10_ENKUlT_T0_E_clISt17integral_constantIbLb0EES1C_EEDaS17_S18_EUlS17_E_NS1_11comp_targetILNS1_3genE10ELNS1_11target_archE1200ELNS1_3gpuE4ELNS1_3repE0EEENS1_30default_config_static_selectorELNS0_4arch9wavefront6targetE1EEEvT1_
; %bb.0:
	.section	.rodata,"a",@progbits
	.p2align	6, 0x0
	.amdhsa_kernel _ZN7rocprim17ROCPRIM_400000_NS6detail17trampoline_kernelINS0_14default_configENS1_25partition_config_selectorILNS1_17partition_subalgoE8ElNS0_10empty_typeEbEEZZNS1_14partition_implILS5_8ELb0ES3_jPlPS6_PKS6_NS0_5tupleIJS9_S6_EEENSD_IJSA_SA_EEENS0_18inequality_wrapperIZN2at6native12_GLOBAL__N_124unique_dim_cuda_templateIaEESt5tupleIJNSH_6TensorESM_SM_EERKSM_lbbbEUlllE0_EEPmJS6_EEE10hipError_tPvRmT3_T4_T5_T6_T7_T9_mT8_P12ihipStream_tbDpT10_ENKUlT_T0_E_clISt17integral_constantIbLb0EES1C_EEDaS17_S18_EUlS17_E_NS1_11comp_targetILNS1_3genE10ELNS1_11target_archE1200ELNS1_3gpuE4ELNS1_3repE0EEENS1_30default_config_static_selectorELNS0_4arch9wavefront6targetE1EEEvT1_
		.amdhsa_group_segment_fixed_size 0
		.amdhsa_private_segment_fixed_size 0
		.amdhsa_kernarg_size 120
		.amdhsa_user_sgpr_count 2
		.amdhsa_user_sgpr_dispatch_ptr 0
		.amdhsa_user_sgpr_queue_ptr 0
		.amdhsa_user_sgpr_kernarg_segment_ptr 1
		.amdhsa_user_sgpr_dispatch_id 0
		.amdhsa_user_sgpr_kernarg_preload_length 0
		.amdhsa_user_sgpr_kernarg_preload_offset 0
		.amdhsa_user_sgpr_private_segment_size 0
		.amdhsa_uses_dynamic_stack 0
		.amdhsa_enable_private_segment 0
		.amdhsa_system_sgpr_workgroup_id_x 1
		.amdhsa_system_sgpr_workgroup_id_y 0
		.amdhsa_system_sgpr_workgroup_id_z 0
		.amdhsa_system_sgpr_workgroup_info 0
		.amdhsa_system_vgpr_workitem_id 0
		.amdhsa_next_free_vgpr 1
		.amdhsa_next_free_sgpr 0
		.amdhsa_accum_offset 4
		.amdhsa_reserve_vcc 0
		.amdhsa_float_round_mode_32 0
		.amdhsa_float_round_mode_16_64 0
		.amdhsa_float_denorm_mode_32 3
		.amdhsa_float_denorm_mode_16_64 3
		.amdhsa_dx10_clamp 1
		.amdhsa_ieee_mode 1
		.amdhsa_fp16_overflow 0
		.amdhsa_tg_split 0
		.amdhsa_exception_fp_ieee_invalid_op 0
		.amdhsa_exception_fp_denorm_src 0
		.amdhsa_exception_fp_ieee_div_zero 0
		.amdhsa_exception_fp_ieee_overflow 0
		.amdhsa_exception_fp_ieee_underflow 0
		.amdhsa_exception_fp_ieee_inexact 0
		.amdhsa_exception_int_div_zero 0
	.end_amdhsa_kernel
	.section	.text._ZN7rocprim17ROCPRIM_400000_NS6detail17trampoline_kernelINS0_14default_configENS1_25partition_config_selectorILNS1_17partition_subalgoE8ElNS0_10empty_typeEbEEZZNS1_14partition_implILS5_8ELb0ES3_jPlPS6_PKS6_NS0_5tupleIJS9_S6_EEENSD_IJSA_SA_EEENS0_18inequality_wrapperIZN2at6native12_GLOBAL__N_124unique_dim_cuda_templateIaEESt5tupleIJNSH_6TensorESM_SM_EERKSM_lbbbEUlllE0_EEPmJS6_EEE10hipError_tPvRmT3_T4_T5_T6_T7_T9_mT8_P12ihipStream_tbDpT10_ENKUlT_T0_E_clISt17integral_constantIbLb0EES1C_EEDaS17_S18_EUlS17_E_NS1_11comp_targetILNS1_3genE10ELNS1_11target_archE1200ELNS1_3gpuE4ELNS1_3repE0EEENS1_30default_config_static_selectorELNS0_4arch9wavefront6targetE1EEEvT1_,"axG",@progbits,_ZN7rocprim17ROCPRIM_400000_NS6detail17trampoline_kernelINS0_14default_configENS1_25partition_config_selectorILNS1_17partition_subalgoE8ElNS0_10empty_typeEbEEZZNS1_14partition_implILS5_8ELb0ES3_jPlPS6_PKS6_NS0_5tupleIJS9_S6_EEENSD_IJSA_SA_EEENS0_18inequality_wrapperIZN2at6native12_GLOBAL__N_124unique_dim_cuda_templateIaEESt5tupleIJNSH_6TensorESM_SM_EERKSM_lbbbEUlllE0_EEPmJS6_EEE10hipError_tPvRmT3_T4_T5_T6_T7_T9_mT8_P12ihipStream_tbDpT10_ENKUlT_T0_E_clISt17integral_constantIbLb0EES1C_EEDaS17_S18_EUlS17_E_NS1_11comp_targetILNS1_3genE10ELNS1_11target_archE1200ELNS1_3gpuE4ELNS1_3repE0EEENS1_30default_config_static_selectorELNS0_4arch9wavefront6targetE1EEEvT1_,comdat
.Lfunc_end324:
	.size	_ZN7rocprim17ROCPRIM_400000_NS6detail17trampoline_kernelINS0_14default_configENS1_25partition_config_selectorILNS1_17partition_subalgoE8ElNS0_10empty_typeEbEEZZNS1_14partition_implILS5_8ELb0ES3_jPlPS6_PKS6_NS0_5tupleIJS9_S6_EEENSD_IJSA_SA_EEENS0_18inequality_wrapperIZN2at6native12_GLOBAL__N_124unique_dim_cuda_templateIaEESt5tupleIJNSH_6TensorESM_SM_EERKSM_lbbbEUlllE0_EEPmJS6_EEE10hipError_tPvRmT3_T4_T5_T6_T7_T9_mT8_P12ihipStream_tbDpT10_ENKUlT_T0_E_clISt17integral_constantIbLb0EES1C_EEDaS17_S18_EUlS17_E_NS1_11comp_targetILNS1_3genE10ELNS1_11target_archE1200ELNS1_3gpuE4ELNS1_3repE0EEENS1_30default_config_static_selectorELNS0_4arch9wavefront6targetE1EEEvT1_, .Lfunc_end324-_ZN7rocprim17ROCPRIM_400000_NS6detail17trampoline_kernelINS0_14default_configENS1_25partition_config_selectorILNS1_17partition_subalgoE8ElNS0_10empty_typeEbEEZZNS1_14partition_implILS5_8ELb0ES3_jPlPS6_PKS6_NS0_5tupleIJS9_S6_EEENSD_IJSA_SA_EEENS0_18inequality_wrapperIZN2at6native12_GLOBAL__N_124unique_dim_cuda_templateIaEESt5tupleIJNSH_6TensorESM_SM_EERKSM_lbbbEUlllE0_EEPmJS6_EEE10hipError_tPvRmT3_T4_T5_T6_T7_T9_mT8_P12ihipStream_tbDpT10_ENKUlT_T0_E_clISt17integral_constantIbLb0EES1C_EEDaS17_S18_EUlS17_E_NS1_11comp_targetILNS1_3genE10ELNS1_11target_archE1200ELNS1_3gpuE4ELNS1_3repE0EEENS1_30default_config_static_selectorELNS0_4arch9wavefront6targetE1EEEvT1_
                                        ; -- End function
	.set _ZN7rocprim17ROCPRIM_400000_NS6detail17trampoline_kernelINS0_14default_configENS1_25partition_config_selectorILNS1_17partition_subalgoE8ElNS0_10empty_typeEbEEZZNS1_14partition_implILS5_8ELb0ES3_jPlPS6_PKS6_NS0_5tupleIJS9_S6_EEENSD_IJSA_SA_EEENS0_18inequality_wrapperIZN2at6native12_GLOBAL__N_124unique_dim_cuda_templateIaEESt5tupleIJNSH_6TensorESM_SM_EERKSM_lbbbEUlllE0_EEPmJS6_EEE10hipError_tPvRmT3_T4_T5_T6_T7_T9_mT8_P12ihipStream_tbDpT10_ENKUlT_T0_E_clISt17integral_constantIbLb0EES1C_EEDaS17_S18_EUlS17_E_NS1_11comp_targetILNS1_3genE10ELNS1_11target_archE1200ELNS1_3gpuE4ELNS1_3repE0EEENS1_30default_config_static_selectorELNS0_4arch9wavefront6targetE1EEEvT1_.num_vgpr, 0
	.set _ZN7rocprim17ROCPRIM_400000_NS6detail17trampoline_kernelINS0_14default_configENS1_25partition_config_selectorILNS1_17partition_subalgoE8ElNS0_10empty_typeEbEEZZNS1_14partition_implILS5_8ELb0ES3_jPlPS6_PKS6_NS0_5tupleIJS9_S6_EEENSD_IJSA_SA_EEENS0_18inequality_wrapperIZN2at6native12_GLOBAL__N_124unique_dim_cuda_templateIaEESt5tupleIJNSH_6TensorESM_SM_EERKSM_lbbbEUlllE0_EEPmJS6_EEE10hipError_tPvRmT3_T4_T5_T6_T7_T9_mT8_P12ihipStream_tbDpT10_ENKUlT_T0_E_clISt17integral_constantIbLb0EES1C_EEDaS17_S18_EUlS17_E_NS1_11comp_targetILNS1_3genE10ELNS1_11target_archE1200ELNS1_3gpuE4ELNS1_3repE0EEENS1_30default_config_static_selectorELNS0_4arch9wavefront6targetE1EEEvT1_.num_agpr, 0
	.set _ZN7rocprim17ROCPRIM_400000_NS6detail17trampoline_kernelINS0_14default_configENS1_25partition_config_selectorILNS1_17partition_subalgoE8ElNS0_10empty_typeEbEEZZNS1_14partition_implILS5_8ELb0ES3_jPlPS6_PKS6_NS0_5tupleIJS9_S6_EEENSD_IJSA_SA_EEENS0_18inequality_wrapperIZN2at6native12_GLOBAL__N_124unique_dim_cuda_templateIaEESt5tupleIJNSH_6TensorESM_SM_EERKSM_lbbbEUlllE0_EEPmJS6_EEE10hipError_tPvRmT3_T4_T5_T6_T7_T9_mT8_P12ihipStream_tbDpT10_ENKUlT_T0_E_clISt17integral_constantIbLb0EES1C_EEDaS17_S18_EUlS17_E_NS1_11comp_targetILNS1_3genE10ELNS1_11target_archE1200ELNS1_3gpuE4ELNS1_3repE0EEENS1_30default_config_static_selectorELNS0_4arch9wavefront6targetE1EEEvT1_.numbered_sgpr, 0
	.set _ZN7rocprim17ROCPRIM_400000_NS6detail17trampoline_kernelINS0_14default_configENS1_25partition_config_selectorILNS1_17partition_subalgoE8ElNS0_10empty_typeEbEEZZNS1_14partition_implILS5_8ELb0ES3_jPlPS6_PKS6_NS0_5tupleIJS9_S6_EEENSD_IJSA_SA_EEENS0_18inequality_wrapperIZN2at6native12_GLOBAL__N_124unique_dim_cuda_templateIaEESt5tupleIJNSH_6TensorESM_SM_EERKSM_lbbbEUlllE0_EEPmJS6_EEE10hipError_tPvRmT3_T4_T5_T6_T7_T9_mT8_P12ihipStream_tbDpT10_ENKUlT_T0_E_clISt17integral_constantIbLb0EES1C_EEDaS17_S18_EUlS17_E_NS1_11comp_targetILNS1_3genE10ELNS1_11target_archE1200ELNS1_3gpuE4ELNS1_3repE0EEENS1_30default_config_static_selectorELNS0_4arch9wavefront6targetE1EEEvT1_.num_named_barrier, 0
	.set _ZN7rocprim17ROCPRIM_400000_NS6detail17trampoline_kernelINS0_14default_configENS1_25partition_config_selectorILNS1_17partition_subalgoE8ElNS0_10empty_typeEbEEZZNS1_14partition_implILS5_8ELb0ES3_jPlPS6_PKS6_NS0_5tupleIJS9_S6_EEENSD_IJSA_SA_EEENS0_18inequality_wrapperIZN2at6native12_GLOBAL__N_124unique_dim_cuda_templateIaEESt5tupleIJNSH_6TensorESM_SM_EERKSM_lbbbEUlllE0_EEPmJS6_EEE10hipError_tPvRmT3_T4_T5_T6_T7_T9_mT8_P12ihipStream_tbDpT10_ENKUlT_T0_E_clISt17integral_constantIbLb0EES1C_EEDaS17_S18_EUlS17_E_NS1_11comp_targetILNS1_3genE10ELNS1_11target_archE1200ELNS1_3gpuE4ELNS1_3repE0EEENS1_30default_config_static_selectorELNS0_4arch9wavefront6targetE1EEEvT1_.private_seg_size, 0
	.set _ZN7rocprim17ROCPRIM_400000_NS6detail17trampoline_kernelINS0_14default_configENS1_25partition_config_selectorILNS1_17partition_subalgoE8ElNS0_10empty_typeEbEEZZNS1_14partition_implILS5_8ELb0ES3_jPlPS6_PKS6_NS0_5tupleIJS9_S6_EEENSD_IJSA_SA_EEENS0_18inequality_wrapperIZN2at6native12_GLOBAL__N_124unique_dim_cuda_templateIaEESt5tupleIJNSH_6TensorESM_SM_EERKSM_lbbbEUlllE0_EEPmJS6_EEE10hipError_tPvRmT3_T4_T5_T6_T7_T9_mT8_P12ihipStream_tbDpT10_ENKUlT_T0_E_clISt17integral_constantIbLb0EES1C_EEDaS17_S18_EUlS17_E_NS1_11comp_targetILNS1_3genE10ELNS1_11target_archE1200ELNS1_3gpuE4ELNS1_3repE0EEENS1_30default_config_static_selectorELNS0_4arch9wavefront6targetE1EEEvT1_.uses_vcc, 0
	.set _ZN7rocprim17ROCPRIM_400000_NS6detail17trampoline_kernelINS0_14default_configENS1_25partition_config_selectorILNS1_17partition_subalgoE8ElNS0_10empty_typeEbEEZZNS1_14partition_implILS5_8ELb0ES3_jPlPS6_PKS6_NS0_5tupleIJS9_S6_EEENSD_IJSA_SA_EEENS0_18inequality_wrapperIZN2at6native12_GLOBAL__N_124unique_dim_cuda_templateIaEESt5tupleIJNSH_6TensorESM_SM_EERKSM_lbbbEUlllE0_EEPmJS6_EEE10hipError_tPvRmT3_T4_T5_T6_T7_T9_mT8_P12ihipStream_tbDpT10_ENKUlT_T0_E_clISt17integral_constantIbLb0EES1C_EEDaS17_S18_EUlS17_E_NS1_11comp_targetILNS1_3genE10ELNS1_11target_archE1200ELNS1_3gpuE4ELNS1_3repE0EEENS1_30default_config_static_selectorELNS0_4arch9wavefront6targetE1EEEvT1_.uses_flat_scratch, 0
	.set _ZN7rocprim17ROCPRIM_400000_NS6detail17trampoline_kernelINS0_14default_configENS1_25partition_config_selectorILNS1_17partition_subalgoE8ElNS0_10empty_typeEbEEZZNS1_14partition_implILS5_8ELb0ES3_jPlPS6_PKS6_NS0_5tupleIJS9_S6_EEENSD_IJSA_SA_EEENS0_18inequality_wrapperIZN2at6native12_GLOBAL__N_124unique_dim_cuda_templateIaEESt5tupleIJNSH_6TensorESM_SM_EERKSM_lbbbEUlllE0_EEPmJS6_EEE10hipError_tPvRmT3_T4_T5_T6_T7_T9_mT8_P12ihipStream_tbDpT10_ENKUlT_T0_E_clISt17integral_constantIbLb0EES1C_EEDaS17_S18_EUlS17_E_NS1_11comp_targetILNS1_3genE10ELNS1_11target_archE1200ELNS1_3gpuE4ELNS1_3repE0EEENS1_30default_config_static_selectorELNS0_4arch9wavefront6targetE1EEEvT1_.has_dyn_sized_stack, 0
	.set _ZN7rocprim17ROCPRIM_400000_NS6detail17trampoline_kernelINS0_14default_configENS1_25partition_config_selectorILNS1_17partition_subalgoE8ElNS0_10empty_typeEbEEZZNS1_14partition_implILS5_8ELb0ES3_jPlPS6_PKS6_NS0_5tupleIJS9_S6_EEENSD_IJSA_SA_EEENS0_18inequality_wrapperIZN2at6native12_GLOBAL__N_124unique_dim_cuda_templateIaEESt5tupleIJNSH_6TensorESM_SM_EERKSM_lbbbEUlllE0_EEPmJS6_EEE10hipError_tPvRmT3_T4_T5_T6_T7_T9_mT8_P12ihipStream_tbDpT10_ENKUlT_T0_E_clISt17integral_constantIbLb0EES1C_EEDaS17_S18_EUlS17_E_NS1_11comp_targetILNS1_3genE10ELNS1_11target_archE1200ELNS1_3gpuE4ELNS1_3repE0EEENS1_30default_config_static_selectorELNS0_4arch9wavefront6targetE1EEEvT1_.has_recursion, 0
	.set _ZN7rocprim17ROCPRIM_400000_NS6detail17trampoline_kernelINS0_14default_configENS1_25partition_config_selectorILNS1_17partition_subalgoE8ElNS0_10empty_typeEbEEZZNS1_14partition_implILS5_8ELb0ES3_jPlPS6_PKS6_NS0_5tupleIJS9_S6_EEENSD_IJSA_SA_EEENS0_18inequality_wrapperIZN2at6native12_GLOBAL__N_124unique_dim_cuda_templateIaEESt5tupleIJNSH_6TensorESM_SM_EERKSM_lbbbEUlllE0_EEPmJS6_EEE10hipError_tPvRmT3_T4_T5_T6_T7_T9_mT8_P12ihipStream_tbDpT10_ENKUlT_T0_E_clISt17integral_constantIbLb0EES1C_EEDaS17_S18_EUlS17_E_NS1_11comp_targetILNS1_3genE10ELNS1_11target_archE1200ELNS1_3gpuE4ELNS1_3repE0EEENS1_30default_config_static_selectorELNS0_4arch9wavefront6targetE1EEEvT1_.has_indirect_call, 0
	.section	.AMDGPU.csdata,"",@progbits
; Kernel info:
; codeLenInByte = 0
; TotalNumSgprs: 6
; NumVgprs: 0
; NumAgprs: 0
; TotalNumVgprs: 0
; ScratchSize: 0
; MemoryBound: 0
; FloatMode: 240
; IeeeMode: 1
; LDSByteSize: 0 bytes/workgroup (compile time only)
; SGPRBlocks: 0
; VGPRBlocks: 0
; NumSGPRsForWavesPerEU: 6
; NumVGPRsForWavesPerEU: 1
; AccumOffset: 4
; Occupancy: 8
; WaveLimiterHint : 0
; COMPUTE_PGM_RSRC2:SCRATCH_EN: 0
; COMPUTE_PGM_RSRC2:USER_SGPR: 2
; COMPUTE_PGM_RSRC2:TRAP_HANDLER: 0
; COMPUTE_PGM_RSRC2:TGID_X_EN: 1
; COMPUTE_PGM_RSRC2:TGID_Y_EN: 0
; COMPUTE_PGM_RSRC2:TGID_Z_EN: 0
; COMPUTE_PGM_RSRC2:TIDIG_COMP_CNT: 0
; COMPUTE_PGM_RSRC3_GFX90A:ACCUM_OFFSET: 0
; COMPUTE_PGM_RSRC3_GFX90A:TG_SPLIT: 0
	.section	.text._ZN7rocprim17ROCPRIM_400000_NS6detail17trampoline_kernelINS0_14default_configENS1_25partition_config_selectorILNS1_17partition_subalgoE8ElNS0_10empty_typeEbEEZZNS1_14partition_implILS5_8ELb0ES3_jPlPS6_PKS6_NS0_5tupleIJS9_S6_EEENSD_IJSA_SA_EEENS0_18inequality_wrapperIZN2at6native12_GLOBAL__N_124unique_dim_cuda_templateIaEESt5tupleIJNSH_6TensorESM_SM_EERKSM_lbbbEUlllE0_EEPmJS6_EEE10hipError_tPvRmT3_T4_T5_T6_T7_T9_mT8_P12ihipStream_tbDpT10_ENKUlT_T0_E_clISt17integral_constantIbLb0EES1C_EEDaS17_S18_EUlS17_E_NS1_11comp_targetILNS1_3genE9ELNS1_11target_archE1100ELNS1_3gpuE3ELNS1_3repE0EEENS1_30default_config_static_selectorELNS0_4arch9wavefront6targetE1EEEvT1_,"axG",@progbits,_ZN7rocprim17ROCPRIM_400000_NS6detail17trampoline_kernelINS0_14default_configENS1_25partition_config_selectorILNS1_17partition_subalgoE8ElNS0_10empty_typeEbEEZZNS1_14partition_implILS5_8ELb0ES3_jPlPS6_PKS6_NS0_5tupleIJS9_S6_EEENSD_IJSA_SA_EEENS0_18inequality_wrapperIZN2at6native12_GLOBAL__N_124unique_dim_cuda_templateIaEESt5tupleIJNSH_6TensorESM_SM_EERKSM_lbbbEUlllE0_EEPmJS6_EEE10hipError_tPvRmT3_T4_T5_T6_T7_T9_mT8_P12ihipStream_tbDpT10_ENKUlT_T0_E_clISt17integral_constantIbLb0EES1C_EEDaS17_S18_EUlS17_E_NS1_11comp_targetILNS1_3genE9ELNS1_11target_archE1100ELNS1_3gpuE3ELNS1_3repE0EEENS1_30default_config_static_selectorELNS0_4arch9wavefront6targetE1EEEvT1_,comdat
	.globl	_ZN7rocprim17ROCPRIM_400000_NS6detail17trampoline_kernelINS0_14default_configENS1_25partition_config_selectorILNS1_17partition_subalgoE8ElNS0_10empty_typeEbEEZZNS1_14partition_implILS5_8ELb0ES3_jPlPS6_PKS6_NS0_5tupleIJS9_S6_EEENSD_IJSA_SA_EEENS0_18inequality_wrapperIZN2at6native12_GLOBAL__N_124unique_dim_cuda_templateIaEESt5tupleIJNSH_6TensorESM_SM_EERKSM_lbbbEUlllE0_EEPmJS6_EEE10hipError_tPvRmT3_T4_T5_T6_T7_T9_mT8_P12ihipStream_tbDpT10_ENKUlT_T0_E_clISt17integral_constantIbLb0EES1C_EEDaS17_S18_EUlS17_E_NS1_11comp_targetILNS1_3genE9ELNS1_11target_archE1100ELNS1_3gpuE3ELNS1_3repE0EEENS1_30default_config_static_selectorELNS0_4arch9wavefront6targetE1EEEvT1_ ; -- Begin function _ZN7rocprim17ROCPRIM_400000_NS6detail17trampoline_kernelINS0_14default_configENS1_25partition_config_selectorILNS1_17partition_subalgoE8ElNS0_10empty_typeEbEEZZNS1_14partition_implILS5_8ELb0ES3_jPlPS6_PKS6_NS0_5tupleIJS9_S6_EEENSD_IJSA_SA_EEENS0_18inequality_wrapperIZN2at6native12_GLOBAL__N_124unique_dim_cuda_templateIaEESt5tupleIJNSH_6TensorESM_SM_EERKSM_lbbbEUlllE0_EEPmJS6_EEE10hipError_tPvRmT3_T4_T5_T6_T7_T9_mT8_P12ihipStream_tbDpT10_ENKUlT_T0_E_clISt17integral_constantIbLb0EES1C_EEDaS17_S18_EUlS17_E_NS1_11comp_targetILNS1_3genE9ELNS1_11target_archE1100ELNS1_3gpuE3ELNS1_3repE0EEENS1_30default_config_static_selectorELNS0_4arch9wavefront6targetE1EEEvT1_
	.p2align	8
	.type	_ZN7rocprim17ROCPRIM_400000_NS6detail17trampoline_kernelINS0_14default_configENS1_25partition_config_selectorILNS1_17partition_subalgoE8ElNS0_10empty_typeEbEEZZNS1_14partition_implILS5_8ELb0ES3_jPlPS6_PKS6_NS0_5tupleIJS9_S6_EEENSD_IJSA_SA_EEENS0_18inequality_wrapperIZN2at6native12_GLOBAL__N_124unique_dim_cuda_templateIaEESt5tupleIJNSH_6TensorESM_SM_EERKSM_lbbbEUlllE0_EEPmJS6_EEE10hipError_tPvRmT3_T4_T5_T6_T7_T9_mT8_P12ihipStream_tbDpT10_ENKUlT_T0_E_clISt17integral_constantIbLb0EES1C_EEDaS17_S18_EUlS17_E_NS1_11comp_targetILNS1_3genE9ELNS1_11target_archE1100ELNS1_3gpuE3ELNS1_3repE0EEENS1_30default_config_static_selectorELNS0_4arch9wavefront6targetE1EEEvT1_,@function
_ZN7rocprim17ROCPRIM_400000_NS6detail17trampoline_kernelINS0_14default_configENS1_25partition_config_selectorILNS1_17partition_subalgoE8ElNS0_10empty_typeEbEEZZNS1_14partition_implILS5_8ELb0ES3_jPlPS6_PKS6_NS0_5tupleIJS9_S6_EEENSD_IJSA_SA_EEENS0_18inequality_wrapperIZN2at6native12_GLOBAL__N_124unique_dim_cuda_templateIaEESt5tupleIJNSH_6TensorESM_SM_EERKSM_lbbbEUlllE0_EEPmJS6_EEE10hipError_tPvRmT3_T4_T5_T6_T7_T9_mT8_P12ihipStream_tbDpT10_ENKUlT_T0_E_clISt17integral_constantIbLb0EES1C_EEDaS17_S18_EUlS17_E_NS1_11comp_targetILNS1_3genE9ELNS1_11target_archE1100ELNS1_3gpuE3ELNS1_3repE0EEENS1_30default_config_static_selectorELNS0_4arch9wavefront6targetE1EEEvT1_: ; @_ZN7rocprim17ROCPRIM_400000_NS6detail17trampoline_kernelINS0_14default_configENS1_25partition_config_selectorILNS1_17partition_subalgoE8ElNS0_10empty_typeEbEEZZNS1_14partition_implILS5_8ELb0ES3_jPlPS6_PKS6_NS0_5tupleIJS9_S6_EEENSD_IJSA_SA_EEENS0_18inequality_wrapperIZN2at6native12_GLOBAL__N_124unique_dim_cuda_templateIaEESt5tupleIJNSH_6TensorESM_SM_EERKSM_lbbbEUlllE0_EEPmJS6_EEE10hipError_tPvRmT3_T4_T5_T6_T7_T9_mT8_P12ihipStream_tbDpT10_ENKUlT_T0_E_clISt17integral_constantIbLb0EES1C_EEDaS17_S18_EUlS17_E_NS1_11comp_targetILNS1_3genE9ELNS1_11target_archE1100ELNS1_3gpuE3ELNS1_3repE0EEENS1_30default_config_static_selectorELNS0_4arch9wavefront6targetE1EEEvT1_
; %bb.0:
	.section	.rodata,"a",@progbits
	.p2align	6, 0x0
	.amdhsa_kernel _ZN7rocprim17ROCPRIM_400000_NS6detail17trampoline_kernelINS0_14default_configENS1_25partition_config_selectorILNS1_17partition_subalgoE8ElNS0_10empty_typeEbEEZZNS1_14partition_implILS5_8ELb0ES3_jPlPS6_PKS6_NS0_5tupleIJS9_S6_EEENSD_IJSA_SA_EEENS0_18inequality_wrapperIZN2at6native12_GLOBAL__N_124unique_dim_cuda_templateIaEESt5tupleIJNSH_6TensorESM_SM_EERKSM_lbbbEUlllE0_EEPmJS6_EEE10hipError_tPvRmT3_T4_T5_T6_T7_T9_mT8_P12ihipStream_tbDpT10_ENKUlT_T0_E_clISt17integral_constantIbLb0EES1C_EEDaS17_S18_EUlS17_E_NS1_11comp_targetILNS1_3genE9ELNS1_11target_archE1100ELNS1_3gpuE3ELNS1_3repE0EEENS1_30default_config_static_selectorELNS0_4arch9wavefront6targetE1EEEvT1_
		.amdhsa_group_segment_fixed_size 0
		.amdhsa_private_segment_fixed_size 0
		.amdhsa_kernarg_size 120
		.amdhsa_user_sgpr_count 2
		.amdhsa_user_sgpr_dispatch_ptr 0
		.amdhsa_user_sgpr_queue_ptr 0
		.amdhsa_user_sgpr_kernarg_segment_ptr 1
		.amdhsa_user_sgpr_dispatch_id 0
		.amdhsa_user_sgpr_kernarg_preload_length 0
		.amdhsa_user_sgpr_kernarg_preload_offset 0
		.amdhsa_user_sgpr_private_segment_size 0
		.amdhsa_uses_dynamic_stack 0
		.amdhsa_enable_private_segment 0
		.amdhsa_system_sgpr_workgroup_id_x 1
		.amdhsa_system_sgpr_workgroup_id_y 0
		.amdhsa_system_sgpr_workgroup_id_z 0
		.amdhsa_system_sgpr_workgroup_info 0
		.amdhsa_system_vgpr_workitem_id 0
		.amdhsa_next_free_vgpr 1
		.amdhsa_next_free_sgpr 0
		.amdhsa_accum_offset 4
		.amdhsa_reserve_vcc 0
		.amdhsa_float_round_mode_32 0
		.amdhsa_float_round_mode_16_64 0
		.amdhsa_float_denorm_mode_32 3
		.amdhsa_float_denorm_mode_16_64 3
		.amdhsa_dx10_clamp 1
		.amdhsa_ieee_mode 1
		.amdhsa_fp16_overflow 0
		.amdhsa_tg_split 0
		.amdhsa_exception_fp_ieee_invalid_op 0
		.amdhsa_exception_fp_denorm_src 0
		.amdhsa_exception_fp_ieee_div_zero 0
		.amdhsa_exception_fp_ieee_overflow 0
		.amdhsa_exception_fp_ieee_underflow 0
		.amdhsa_exception_fp_ieee_inexact 0
		.amdhsa_exception_int_div_zero 0
	.end_amdhsa_kernel
	.section	.text._ZN7rocprim17ROCPRIM_400000_NS6detail17trampoline_kernelINS0_14default_configENS1_25partition_config_selectorILNS1_17partition_subalgoE8ElNS0_10empty_typeEbEEZZNS1_14partition_implILS5_8ELb0ES3_jPlPS6_PKS6_NS0_5tupleIJS9_S6_EEENSD_IJSA_SA_EEENS0_18inequality_wrapperIZN2at6native12_GLOBAL__N_124unique_dim_cuda_templateIaEESt5tupleIJNSH_6TensorESM_SM_EERKSM_lbbbEUlllE0_EEPmJS6_EEE10hipError_tPvRmT3_T4_T5_T6_T7_T9_mT8_P12ihipStream_tbDpT10_ENKUlT_T0_E_clISt17integral_constantIbLb0EES1C_EEDaS17_S18_EUlS17_E_NS1_11comp_targetILNS1_3genE9ELNS1_11target_archE1100ELNS1_3gpuE3ELNS1_3repE0EEENS1_30default_config_static_selectorELNS0_4arch9wavefront6targetE1EEEvT1_,"axG",@progbits,_ZN7rocprim17ROCPRIM_400000_NS6detail17trampoline_kernelINS0_14default_configENS1_25partition_config_selectorILNS1_17partition_subalgoE8ElNS0_10empty_typeEbEEZZNS1_14partition_implILS5_8ELb0ES3_jPlPS6_PKS6_NS0_5tupleIJS9_S6_EEENSD_IJSA_SA_EEENS0_18inequality_wrapperIZN2at6native12_GLOBAL__N_124unique_dim_cuda_templateIaEESt5tupleIJNSH_6TensorESM_SM_EERKSM_lbbbEUlllE0_EEPmJS6_EEE10hipError_tPvRmT3_T4_T5_T6_T7_T9_mT8_P12ihipStream_tbDpT10_ENKUlT_T0_E_clISt17integral_constantIbLb0EES1C_EEDaS17_S18_EUlS17_E_NS1_11comp_targetILNS1_3genE9ELNS1_11target_archE1100ELNS1_3gpuE3ELNS1_3repE0EEENS1_30default_config_static_selectorELNS0_4arch9wavefront6targetE1EEEvT1_,comdat
.Lfunc_end325:
	.size	_ZN7rocprim17ROCPRIM_400000_NS6detail17trampoline_kernelINS0_14default_configENS1_25partition_config_selectorILNS1_17partition_subalgoE8ElNS0_10empty_typeEbEEZZNS1_14partition_implILS5_8ELb0ES3_jPlPS6_PKS6_NS0_5tupleIJS9_S6_EEENSD_IJSA_SA_EEENS0_18inequality_wrapperIZN2at6native12_GLOBAL__N_124unique_dim_cuda_templateIaEESt5tupleIJNSH_6TensorESM_SM_EERKSM_lbbbEUlllE0_EEPmJS6_EEE10hipError_tPvRmT3_T4_T5_T6_T7_T9_mT8_P12ihipStream_tbDpT10_ENKUlT_T0_E_clISt17integral_constantIbLb0EES1C_EEDaS17_S18_EUlS17_E_NS1_11comp_targetILNS1_3genE9ELNS1_11target_archE1100ELNS1_3gpuE3ELNS1_3repE0EEENS1_30default_config_static_selectorELNS0_4arch9wavefront6targetE1EEEvT1_, .Lfunc_end325-_ZN7rocprim17ROCPRIM_400000_NS6detail17trampoline_kernelINS0_14default_configENS1_25partition_config_selectorILNS1_17partition_subalgoE8ElNS0_10empty_typeEbEEZZNS1_14partition_implILS5_8ELb0ES3_jPlPS6_PKS6_NS0_5tupleIJS9_S6_EEENSD_IJSA_SA_EEENS0_18inequality_wrapperIZN2at6native12_GLOBAL__N_124unique_dim_cuda_templateIaEESt5tupleIJNSH_6TensorESM_SM_EERKSM_lbbbEUlllE0_EEPmJS6_EEE10hipError_tPvRmT3_T4_T5_T6_T7_T9_mT8_P12ihipStream_tbDpT10_ENKUlT_T0_E_clISt17integral_constantIbLb0EES1C_EEDaS17_S18_EUlS17_E_NS1_11comp_targetILNS1_3genE9ELNS1_11target_archE1100ELNS1_3gpuE3ELNS1_3repE0EEENS1_30default_config_static_selectorELNS0_4arch9wavefront6targetE1EEEvT1_
                                        ; -- End function
	.set _ZN7rocprim17ROCPRIM_400000_NS6detail17trampoline_kernelINS0_14default_configENS1_25partition_config_selectorILNS1_17partition_subalgoE8ElNS0_10empty_typeEbEEZZNS1_14partition_implILS5_8ELb0ES3_jPlPS6_PKS6_NS0_5tupleIJS9_S6_EEENSD_IJSA_SA_EEENS0_18inequality_wrapperIZN2at6native12_GLOBAL__N_124unique_dim_cuda_templateIaEESt5tupleIJNSH_6TensorESM_SM_EERKSM_lbbbEUlllE0_EEPmJS6_EEE10hipError_tPvRmT3_T4_T5_T6_T7_T9_mT8_P12ihipStream_tbDpT10_ENKUlT_T0_E_clISt17integral_constantIbLb0EES1C_EEDaS17_S18_EUlS17_E_NS1_11comp_targetILNS1_3genE9ELNS1_11target_archE1100ELNS1_3gpuE3ELNS1_3repE0EEENS1_30default_config_static_selectorELNS0_4arch9wavefront6targetE1EEEvT1_.num_vgpr, 0
	.set _ZN7rocprim17ROCPRIM_400000_NS6detail17trampoline_kernelINS0_14default_configENS1_25partition_config_selectorILNS1_17partition_subalgoE8ElNS0_10empty_typeEbEEZZNS1_14partition_implILS5_8ELb0ES3_jPlPS6_PKS6_NS0_5tupleIJS9_S6_EEENSD_IJSA_SA_EEENS0_18inequality_wrapperIZN2at6native12_GLOBAL__N_124unique_dim_cuda_templateIaEESt5tupleIJNSH_6TensorESM_SM_EERKSM_lbbbEUlllE0_EEPmJS6_EEE10hipError_tPvRmT3_T4_T5_T6_T7_T9_mT8_P12ihipStream_tbDpT10_ENKUlT_T0_E_clISt17integral_constantIbLb0EES1C_EEDaS17_S18_EUlS17_E_NS1_11comp_targetILNS1_3genE9ELNS1_11target_archE1100ELNS1_3gpuE3ELNS1_3repE0EEENS1_30default_config_static_selectorELNS0_4arch9wavefront6targetE1EEEvT1_.num_agpr, 0
	.set _ZN7rocprim17ROCPRIM_400000_NS6detail17trampoline_kernelINS0_14default_configENS1_25partition_config_selectorILNS1_17partition_subalgoE8ElNS0_10empty_typeEbEEZZNS1_14partition_implILS5_8ELb0ES3_jPlPS6_PKS6_NS0_5tupleIJS9_S6_EEENSD_IJSA_SA_EEENS0_18inequality_wrapperIZN2at6native12_GLOBAL__N_124unique_dim_cuda_templateIaEESt5tupleIJNSH_6TensorESM_SM_EERKSM_lbbbEUlllE0_EEPmJS6_EEE10hipError_tPvRmT3_T4_T5_T6_T7_T9_mT8_P12ihipStream_tbDpT10_ENKUlT_T0_E_clISt17integral_constantIbLb0EES1C_EEDaS17_S18_EUlS17_E_NS1_11comp_targetILNS1_3genE9ELNS1_11target_archE1100ELNS1_3gpuE3ELNS1_3repE0EEENS1_30default_config_static_selectorELNS0_4arch9wavefront6targetE1EEEvT1_.numbered_sgpr, 0
	.set _ZN7rocprim17ROCPRIM_400000_NS6detail17trampoline_kernelINS0_14default_configENS1_25partition_config_selectorILNS1_17partition_subalgoE8ElNS0_10empty_typeEbEEZZNS1_14partition_implILS5_8ELb0ES3_jPlPS6_PKS6_NS0_5tupleIJS9_S6_EEENSD_IJSA_SA_EEENS0_18inequality_wrapperIZN2at6native12_GLOBAL__N_124unique_dim_cuda_templateIaEESt5tupleIJNSH_6TensorESM_SM_EERKSM_lbbbEUlllE0_EEPmJS6_EEE10hipError_tPvRmT3_T4_T5_T6_T7_T9_mT8_P12ihipStream_tbDpT10_ENKUlT_T0_E_clISt17integral_constantIbLb0EES1C_EEDaS17_S18_EUlS17_E_NS1_11comp_targetILNS1_3genE9ELNS1_11target_archE1100ELNS1_3gpuE3ELNS1_3repE0EEENS1_30default_config_static_selectorELNS0_4arch9wavefront6targetE1EEEvT1_.num_named_barrier, 0
	.set _ZN7rocprim17ROCPRIM_400000_NS6detail17trampoline_kernelINS0_14default_configENS1_25partition_config_selectorILNS1_17partition_subalgoE8ElNS0_10empty_typeEbEEZZNS1_14partition_implILS5_8ELb0ES3_jPlPS6_PKS6_NS0_5tupleIJS9_S6_EEENSD_IJSA_SA_EEENS0_18inequality_wrapperIZN2at6native12_GLOBAL__N_124unique_dim_cuda_templateIaEESt5tupleIJNSH_6TensorESM_SM_EERKSM_lbbbEUlllE0_EEPmJS6_EEE10hipError_tPvRmT3_T4_T5_T6_T7_T9_mT8_P12ihipStream_tbDpT10_ENKUlT_T0_E_clISt17integral_constantIbLb0EES1C_EEDaS17_S18_EUlS17_E_NS1_11comp_targetILNS1_3genE9ELNS1_11target_archE1100ELNS1_3gpuE3ELNS1_3repE0EEENS1_30default_config_static_selectorELNS0_4arch9wavefront6targetE1EEEvT1_.private_seg_size, 0
	.set _ZN7rocprim17ROCPRIM_400000_NS6detail17trampoline_kernelINS0_14default_configENS1_25partition_config_selectorILNS1_17partition_subalgoE8ElNS0_10empty_typeEbEEZZNS1_14partition_implILS5_8ELb0ES3_jPlPS6_PKS6_NS0_5tupleIJS9_S6_EEENSD_IJSA_SA_EEENS0_18inequality_wrapperIZN2at6native12_GLOBAL__N_124unique_dim_cuda_templateIaEESt5tupleIJNSH_6TensorESM_SM_EERKSM_lbbbEUlllE0_EEPmJS6_EEE10hipError_tPvRmT3_T4_T5_T6_T7_T9_mT8_P12ihipStream_tbDpT10_ENKUlT_T0_E_clISt17integral_constantIbLb0EES1C_EEDaS17_S18_EUlS17_E_NS1_11comp_targetILNS1_3genE9ELNS1_11target_archE1100ELNS1_3gpuE3ELNS1_3repE0EEENS1_30default_config_static_selectorELNS0_4arch9wavefront6targetE1EEEvT1_.uses_vcc, 0
	.set _ZN7rocprim17ROCPRIM_400000_NS6detail17trampoline_kernelINS0_14default_configENS1_25partition_config_selectorILNS1_17partition_subalgoE8ElNS0_10empty_typeEbEEZZNS1_14partition_implILS5_8ELb0ES3_jPlPS6_PKS6_NS0_5tupleIJS9_S6_EEENSD_IJSA_SA_EEENS0_18inequality_wrapperIZN2at6native12_GLOBAL__N_124unique_dim_cuda_templateIaEESt5tupleIJNSH_6TensorESM_SM_EERKSM_lbbbEUlllE0_EEPmJS6_EEE10hipError_tPvRmT3_T4_T5_T6_T7_T9_mT8_P12ihipStream_tbDpT10_ENKUlT_T0_E_clISt17integral_constantIbLb0EES1C_EEDaS17_S18_EUlS17_E_NS1_11comp_targetILNS1_3genE9ELNS1_11target_archE1100ELNS1_3gpuE3ELNS1_3repE0EEENS1_30default_config_static_selectorELNS0_4arch9wavefront6targetE1EEEvT1_.uses_flat_scratch, 0
	.set _ZN7rocprim17ROCPRIM_400000_NS6detail17trampoline_kernelINS0_14default_configENS1_25partition_config_selectorILNS1_17partition_subalgoE8ElNS0_10empty_typeEbEEZZNS1_14partition_implILS5_8ELb0ES3_jPlPS6_PKS6_NS0_5tupleIJS9_S6_EEENSD_IJSA_SA_EEENS0_18inequality_wrapperIZN2at6native12_GLOBAL__N_124unique_dim_cuda_templateIaEESt5tupleIJNSH_6TensorESM_SM_EERKSM_lbbbEUlllE0_EEPmJS6_EEE10hipError_tPvRmT3_T4_T5_T6_T7_T9_mT8_P12ihipStream_tbDpT10_ENKUlT_T0_E_clISt17integral_constantIbLb0EES1C_EEDaS17_S18_EUlS17_E_NS1_11comp_targetILNS1_3genE9ELNS1_11target_archE1100ELNS1_3gpuE3ELNS1_3repE0EEENS1_30default_config_static_selectorELNS0_4arch9wavefront6targetE1EEEvT1_.has_dyn_sized_stack, 0
	.set _ZN7rocprim17ROCPRIM_400000_NS6detail17trampoline_kernelINS0_14default_configENS1_25partition_config_selectorILNS1_17partition_subalgoE8ElNS0_10empty_typeEbEEZZNS1_14partition_implILS5_8ELb0ES3_jPlPS6_PKS6_NS0_5tupleIJS9_S6_EEENSD_IJSA_SA_EEENS0_18inequality_wrapperIZN2at6native12_GLOBAL__N_124unique_dim_cuda_templateIaEESt5tupleIJNSH_6TensorESM_SM_EERKSM_lbbbEUlllE0_EEPmJS6_EEE10hipError_tPvRmT3_T4_T5_T6_T7_T9_mT8_P12ihipStream_tbDpT10_ENKUlT_T0_E_clISt17integral_constantIbLb0EES1C_EEDaS17_S18_EUlS17_E_NS1_11comp_targetILNS1_3genE9ELNS1_11target_archE1100ELNS1_3gpuE3ELNS1_3repE0EEENS1_30default_config_static_selectorELNS0_4arch9wavefront6targetE1EEEvT1_.has_recursion, 0
	.set _ZN7rocprim17ROCPRIM_400000_NS6detail17trampoline_kernelINS0_14default_configENS1_25partition_config_selectorILNS1_17partition_subalgoE8ElNS0_10empty_typeEbEEZZNS1_14partition_implILS5_8ELb0ES3_jPlPS6_PKS6_NS0_5tupleIJS9_S6_EEENSD_IJSA_SA_EEENS0_18inequality_wrapperIZN2at6native12_GLOBAL__N_124unique_dim_cuda_templateIaEESt5tupleIJNSH_6TensorESM_SM_EERKSM_lbbbEUlllE0_EEPmJS6_EEE10hipError_tPvRmT3_T4_T5_T6_T7_T9_mT8_P12ihipStream_tbDpT10_ENKUlT_T0_E_clISt17integral_constantIbLb0EES1C_EEDaS17_S18_EUlS17_E_NS1_11comp_targetILNS1_3genE9ELNS1_11target_archE1100ELNS1_3gpuE3ELNS1_3repE0EEENS1_30default_config_static_selectorELNS0_4arch9wavefront6targetE1EEEvT1_.has_indirect_call, 0
	.section	.AMDGPU.csdata,"",@progbits
; Kernel info:
; codeLenInByte = 0
; TotalNumSgprs: 6
; NumVgprs: 0
; NumAgprs: 0
; TotalNumVgprs: 0
; ScratchSize: 0
; MemoryBound: 0
; FloatMode: 240
; IeeeMode: 1
; LDSByteSize: 0 bytes/workgroup (compile time only)
; SGPRBlocks: 0
; VGPRBlocks: 0
; NumSGPRsForWavesPerEU: 6
; NumVGPRsForWavesPerEU: 1
; AccumOffset: 4
; Occupancy: 8
; WaveLimiterHint : 0
; COMPUTE_PGM_RSRC2:SCRATCH_EN: 0
; COMPUTE_PGM_RSRC2:USER_SGPR: 2
; COMPUTE_PGM_RSRC2:TRAP_HANDLER: 0
; COMPUTE_PGM_RSRC2:TGID_X_EN: 1
; COMPUTE_PGM_RSRC2:TGID_Y_EN: 0
; COMPUTE_PGM_RSRC2:TGID_Z_EN: 0
; COMPUTE_PGM_RSRC2:TIDIG_COMP_CNT: 0
; COMPUTE_PGM_RSRC3_GFX90A:ACCUM_OFFSET: 0
; COMPUTE_PGM_RSRC3_GFX90A:TG_SPLIT: 0
	.section	.text._ZN7rocprim17ROCPRIM_400000_NS6detail17trampoline_kernelINS0_14default_configENS1_25partition_config_selectorILNS1_17partition_subalgoE8ElNS0_10empty_typeEbEEZZNS1_14partition_implILS5_8ELb0ES3_jPlPS6_PKS6_NS0_5tupleIJS9_S6_EEENSD_IJSA_SA_EEENS0_18inequality_wrapperIZN2at6native12_GLOBAL__N_124unique_dim_cuda_templateIaEESt5tupleIJNSH_6TensorESM_SM_EERKSM_lbbbEUlllE0_EEPmJS6_EEE10hipError_tPvRmT3_T4_T5_T6_T7_T9_mT8_P12ihipStream_tbDpT10_ENKUlT_T0_E_clISt17integral_constantIbLb0EES1C_EEDaS17_S18_EUlS17_E_NS1_11comp_targetILNS1_3genE8ELNS1_11target_archE1030ELNS1_3gpuE2ELNS1_3repE0EEENS1_30default_config_static_selectorELNS0_4arch9wavefront6targetE1EEEvT1_,"axG",@progbits,_ZN7rocprim17ROCPRIM_400000_NS6detail17trampoline_kernelINS0_14default_configENS1_25partition_config_selectorILNS1_17partition_subalgoE8ElNS0_10empty_typeEbEEZZNS1_14partition_implILS5_8ELb0ES3_jPlPS6_PKS6_NS0_5tupleIJS9_S6_EEENSD_IJSA_SA_EEENS0_18inequality_wrapperIZN2at6native12_GLOBAL__N_124unique_dim_cuda_templateIaEESt5tupleIJNSH_6TensorESM_SM_EERKSM_lbbbEUlllE0_EEPmJS6_EEE10hipError_tPvRmT3_T4_T5_T6_T7_T9_mT8_P12ihipStream_tbDpT10_ENKUlT_T0_E_clISt17integral_constantIbLb0EES1C_EEDaS17_S18_EUlS17_E_NS1_11comp_targetILNS1_3genE8ELNS1_11target_archE1030ELNS1_3gpuE2ELNS1_3repE0EEENS1_30default_config_static_selectorELNS0_4arch9wavefront6targetE1EEEvT1_,comdat
	.globl	_ZN7rocprim17ROCPRIM_400000_NS6detail17trampoline_kernelINS0_14default_configENS1_25partition_config_selectorILNS1_17partition_subalgoE8ElNS0_10empty_typeEbEEZZNS1_14partition_implILS5_8ELb0ES3_jPlPS6_PKS6_NS0_5tupleIJS9_S6_EEENSD_IJSA_SA_EEENS0_18inequality_wrapperIZN2at6native12_GLOBAL__N_124unique_dim_cuda_templateIaEESt5tupleIJNSH_6TensorESM_SM_EERKSM_lbbbEUlllE0_EEPmJS6_EEE10hipError_tPvRmT3_T4_T5_T6_T7_T9_mT8_P12ihipStream_tbDpT10_ENKUlT_T0_E_clISt17integral_constantIbLb0EES1C_EEDaS17_S18_EUlS17_E_NS1_11comp_targetILNS1_3genE8ELNS1_11target_archE1030ELNS1_3gpuE2ELNS1_3repE0EEENS1_30default_config_static_selectorELNS0_4arch9wavefront6targetE1EEEvT1_ ; -- Begin function _ZN7rocprim17ROCPRIM_400000_NS6detail17trampoline_kernelINS0_14default_configENS1_25partition_config_selectorILNS1_17partition_subalgoE8ElNS0_10empty_typeEbEEZZNS1_14partition_implILS5_8ELb0ES3_jPlPS6_PKS6_NS0_5tupleIJS9_S6_EEENSD_IJSA_SA_EEENS0_18inequality_wrapperIZN2at6native12_GLOBAL__N_124unique_dim_cuda_templateIaEESt5tupleIJNSH_6TensorESM_SM_EERKSM_lbbbEUlllE0_EEPmJS6_EEE10hipError_tPvRmT3_T4_T5_T6_T7_T9_mT8_P12ihipStream_tbDpT10_ENKUlT_T0_E_clISt17integral_constantIbLb0EES1C_EEDaS17_S18_EUlS17_E_NS1_11comp_targetILNS1_3genE8ELNS1_11target_archE1030ELNS1_3gpuE2ELNS1_3repE0EEENS1_30default_config_static_selectorELNS0_4arch9wavefront6targetE1EEEvT1_
	.p2align	8
	.type	_ZN7rocprim17ROCPRIM_400000_NS6detail17trampoline_kernelINS0_14default_configENS1_25partition_config_selectorILNS1_17partition_subalgoE8ElNS0_10empty_typeEbEEZZNS1_14partition_implILS5_8ELb0ES3_jPlPS6_PKS6_NS0_5tupleIJS9_S6_EEENSD_IJSA_SA_EEENS0_18inequality_wrapperIZN2at6native12_GLOBAL__N_124unique_dim_cuda_templateIaEESt5tupleIJNSH_6TensorESM_SM_EERKSM_lbbbEUlllE0_EEPmJS6_EEE10hipError_tPvRmT3_T4_T5_T6_T7_T9_mT8_P12ihipStream_tbDpT10_ENKUlT_T0_E_clISt17integral_constantIbLb0EES1C_EEDaS17_S18_EUlS17_E_NS1_11comp_targetILNS1_3genE8ELNS1_11target_archE1030ELNS1_3gpuE2ELNS1_3repE0EEENS1_30default_config_static_selectorELNS0_4arch9wavefront6targetE1EEEvT1_,@function
_ZN7rocprim17ROCPRIM_400000_NS6detail17trampoline_kernelINS0_14default_configENS1_25partition_config_selectorILNS1_17partition_subalgoE8ElNS0_10empty_typeEbEEZZNS1_14partition_implILS5_8ELb0ES3_jPlPS6_PKS6_NS0_5tupleIJS9_S6_EEENSD_IJSA_SA_EEENS0_18inequality_wrapperIZN2at6native12_GLOBAL__N_124unique_dim_cuda_templateIaEESt5tupleIJNSH_6TensorESM_SM_EERKSM_lbbbEUlllE0_EEPmJS6_EEE10hipError_tPvRmT3_T4_T5_T6_T7_T9_mT8_P12ihipStream_tbDpT10_ENKUlT_T0_E_clISt17integral_constantIbLb0EES1C_EEDaS17_S18_EUlS17_E_NS1_11comp_targetILNS1_3genE8ELNS1_11target_archE1030ELNS1_3gpuE2ELNS1_3repE0EEENS1_30default_config_static_selectorELNS0_4arch9wavefront6targetE1EEEvT1_: ; @_ZN7rocprim17ROCPRIM_400000_NS6detail17trampoline_kernelINS0_14default_configENS1_25partition_config_selectorILNS1_17partition_subalgoE8ElNS0_10empty_typeEbEEZZNS1_14partition_implILS5_8ELb0ES3_jPlPS6_PKS6_NS0_5tupleIJS9_S6_EEENSD_IJSA_SA_EEENS0_18inequality_wrapperIZN2at6native12_GLOBAL__N_124unique_dim_cuda_templateIaEESt5tupleIJNSH_6TensorESM_SM_EERKSM_lbbbEUlllE0_EEPmJS6_EEE10hipError_tPvRmT3_T4_T5_T6_T7_T9_mT8_P12ihipStream_tbDpT10_ENKUlT_T0_E_clISt17integral_constantIbLb0EES1C_EEDaS17_S18_EUlS17_E_NS1_11comp_targetILNS1_3genE8ELNS1_11target_archE1030ELNS1_3gpuE2ELNS1_3repE0EEENS1_30default_config_static_selectorELNS0_4arch9wavefront6targetE1EEEvT1_
; %bb.0:
	.section	.rodata,"a",@progbits
	.p2align	6, 0x0
	.amdhsa_kernel _ZN7rocprim17ROCPRIM_400000_NS6detail17trampoline_kernelINS0_14default_configENS1_25partition_config_selectorILNS1_17partition_subalgoE8ElNS0_10empty_typeEbEEZZNS1_14partition_implILS5_8ELb0ES3_jPlPS6_PKS6_NS0_5tupleIJS9_S6_EEENSD_IJSA_SA_EEENS0_18inequality_wrapperIZN2at6native12_GLOBAL__N_124unique_dim_cuda_templateIaEESt5tupleIJNSH_6TensorESM_SM_EERKSM_lbbbEUlllE0_EEPmJS6_EEE10hipError_tPvRmT3_T4_T5_T6_T7_T9_mT8_P12ihipStream_tbDpT10_ENKUlT_T0_E_clISt17integral_constantIbLb0EES1C_EEDaS17_S18_EUlS17_E_NS1_11comp_targetILNS1_3genE8ELNS1_11target_archE1030ELNS1_3gpuE2ELNS1_3repE0EEENS1_30default_config_static_selectorELNS0_4arch9wavefront6targetE1EEEvT1_
		.amdhsa_group_segment_fixed_size 0
		.amdhsa_private_segment_fixed_size 0
		.amdhsa_kernarg_size 120
		.amdhsa_user_sgpr_count 2
		.amdhsa_user_sgpr_dispatch_ptr 0
		.amdhsa_user_sgpr_queue_ptr 0
		.amdhsa_user_sgpr_kernarg_segment_ptr 1
		.amdhsa_user_sgpr_dispatch_id 0
		.amdhsa_user_sgpr_kernarg_preload_length 0
		.amdhsa_user_sgpr_kernarg_preload_offset 0
		.amdhsa_user_sgpr_private_segment_size 0
		.amdhsa_uses_dynamic_stack 0
		.amdhsa_enable_private_segment 0
		.amdhsa_system_sgpr_workgroup_id_x 1
		.amdhsa_system_sgpr_workgroup_id_y 0
		.amdhsa_system_sgpr_workgroup_id_z 0
		.amdhsa_system_sgpr_workgroup_info 0
		.amdhsa_system_vgpr_workitem_id 0
		.amdhsa_next_free_vgpr 1
		.amdhsa_next_free_sgpr 0
		.amdhsa_accum_offset 4
		.amdhsa_reserve_vcc 0
		.amdhsa_float_round_mode_32 0
		.amdhsa_float_round_mode_16_64 0
		.amdhsa_float_denorm_mode_32 3
		.amdhsa_float_denorm_mode_16_64 3
		.amdhsa_dx10_clamp 1
		.amdhsa_ieee_mode 1
		.amdhsa_fp16_overflow 0
		.amdhsa_tg_split 0
		.amdhsa_exception_fp_ieee_invalid_op 0
		.amdhsa_exception_fp_denorm_src 0
		.amdhsa_exception_fp_ieee_div_zero 0
		.amdhsa_exception_fp_ieee_overflow 0
		.amdhsa_exception_fp_ieee_underflow 0
		.amdhsa_exception_fp_ieee_inexact 0
		.amdhsa_exception_int_div_zero 0
	.end_amdhsa_kernel
	.section	.text._ZN7rocprim17ROCPRIM_400000_NS6detail17trampoline_kernelINS0_14default_configENS1_25partition_config_selectorILNS1_17partition_subalgoE8ElNS0_10empty_typeEbEEZZNS1_14partition_implILS5_8ELb0ES3_jPlPS6_PKS6_NS0_5tupleIJS9_S6_EEENSD_IJSA_SA_EEENS0_18inequality_wrapperIZN2at6native12_GLOBAL__N_124unique_dim_cuda_templateIaEESt5tupleIJNSH_6TensorESM_SM_EERKSM_lbbbEUlllE0_EEPmJS6_EEE10hipError_tPvRmT3_T4_T5_T6_T7_T9_mT8_P12ihipStream_tbDpT10_ENKUlT_T0_E_clISt17integral_constantIbLb0EES1C_EEDaS17_S18_EUlS17_E_NS1_11comp_targetILNS1_3genE8ELNS1_11target_archE1030ELNS1_3gpuE2ELNS1_3repE0EEENS1_30default_config_static_selectorELNS0_4arch9wavefront6targetE1EEEvT1_,"axG",@progbits,_ZN7rocprim17ROCPRIM_400000_NS6detail17trampoline_kernelINS0_14default_configENS1_25partition_config_selectorILNS1_17partition_subalgoE8ElNS0_10empty_typeEbEEZZNS1_14partition_implILS5_8ELb0ES3_jPlPS6_PKS6_NS0_5tupleIJS9_S6_EEENSD_IJSA_SA_EEENS0_18inequality_wrapperIZN2at6native12_GLOBAL__N_124unique_dim_cuda_templateIaEESt5tupleIJNSH_6TensorESM_SM_EERKSM_lbbbEUlllE0_EEPmJS6_EEE10hipError_tPvRmT3_T4_T5_T6_T7_T9_mT8_P12ihipStream_tbDpT10_ENKUlT_T0_E_clISt17integral_constantIbLb0EES1C_EEDaS17_S18_EUlS17_E_NS1_11comp_targetILNS1_3genE8ELNS1_11target_archE1030ELNS1_3gpuE2ELNS1_3repE0EEENS1_30default_config_static_selectorELNS0_4arch9wavefront6targetE1EEEvT1_,comdat
.Lfunc_end326:
	.size	_ZN7rocprim17ROCPRIM_400000_NS6detail17trampoline_kernelINS0_14default_configENS1_25partition_config_selectorILNS1_17partition_subalgoE8ElNS0_10empty_typeEbEEZZNS1_14partition_implILS5_8ELb0ES3_jPlPS6_PKS6_NS0_5tupleIJS9_S6_EEENSD_IJSA_SA_EEENS0_18inequality_wrapperIZN2at6native12_GLOBAL__N_124unique_dim_cuda_templateIaEESt5tupleIJNSH_6TensorESM_SM_EERKSM_lbbbEUlllE0_EEPmJS6_EEE10hipError_tPvRmT3_T4_T5_T6_T7_T9_mT8_P12ihipStream_tbDpT10_ENKUlT_T0_E_clISt17integral_constantIbLb0EES1C_EEDaS17_S18_EUlS17_E_NS1_11comp_targetILNS1_3genE8ELNS1_11target_archE1030ELNS1_3gpuE2ELNS1_3repE0EEENS1_30default_config_static_selectorELNS0_4arch9wavefront6targetE1EEEvT1_, .Lfunc_end326-_ZN7rocprim17ROCPRIM_400000_NS6detail17trampoline_kernelINS0_14default_configENS1_25partition_config_selectorILNS1_17partition_subalgoE8ElNS0_10empty_typeEbEEZZNS1_14partition_implILS5_8ELb0ES3_jPlPS6_PKS6_NS0_5tupleIJS9_S6_EEENSD_IJSA_SA_EEENS0_18inequality_wrapperIZN2at6native12_GLOBAL__N_124unique_dim_cuda_templateIaEESt5tupleIJNSH_6TensorESM_SM_EERKSM_lbbbEUlllE0_EEPmJS6_EEE10hipError_tPvRmT3_T4_T5_T6_T7_T9_mT8_P12ihipStream_tbDpT10_ENKUlT_T0_E_clISt17integral_constantIbLb0EES1C_EEDaS17_S18_EUlS17_E_NS1_11comp_targetILNS1_3genE8ELNS1_11target_archE1030ELNS1_3gpuE2ELNS1_3repE0EEENS1_30default_config_static_selectorELNS0_4arch9wavefront6targetE1EEEvT1_
                                        ; -- End function
	.set _ZN7rocprim17ROCPRIM_400000_NS6detail17trampoline_kernelINS0_14default_configENS1_25partition_config_selectorILNS1_17partition_subalgoE8ElNS0_10empty_typeEbEEZZNS1_14partition_implILS5_8ELb0ES3_jPlPS6_PKS6_NS0_5tupleIJS9_S6_EEENSD_IJSA_SA_EEENS0_18inequality_wrapperIZN2at6native12_GLOBAL__N_124unique_dim_cuda_templateIaEESt5tupleIJNSH_6TensorESM_SM_EERKSM_lbbbEUlllE0_EEPmJS6_EEE10hipError_tPvRmT3_T4_T5_T6_T7_T9_mT8_P12ihipStream_tbDpT10_ENKUlT_T0_E_clISt17integral_constantIbLb0EES1C_EEDaS17_S18_EUlS17_E_NS1_11comp_targetILNS1_3genE8ELNS1_11target_archE1030ELNS1_3gpuE2ELNS1_3repE0EEENS1_30default_config_static_selectorELNS0_4arch9wavefront6targetE1EEEvT1_.num_vgpr, 0
	.set _ZN7rocprim17ROCPRIM_400000_NS6detail17trampoline_kernelINS0_14default_configENS1_25partition_config_selectorILNS1_17partition_subalgoE8ElNS0_10empty_typeEbEEZZNS1_14partition_implILS5_8ELb0ES3_jPlPS6_PKS6_NS0_5tupleIJS9_S6_EEENSD_IJSA_SA_EEENS0_18inequality_wrapperIZN2at6native12_GLOBAL__N_124unique_dim_cuda_templateIaEESt5tupleIJNSH_6TensorESM_SM_EERKSM_lbbbEUlllE0_EEPmJS6_EEE10hipError_tPvRmT3_T4_T5_T6_T7_T9_mT8_P12ihipStream_tbDpT10_ENKUlT_T0_E_clISt17integral_constantIbLb0EES1C_EEDaS17_S18_EUlS17_E_NS1_11comp_targetILNS1_3genE8ELNS1_11target_archE1030ELNS1_3gpuE2ELNS1_3repE0EEENS1_30default_config_static_selectorELNS0_4arch9wavefront6targetE1EEEvT1_.num_agpr, 0
	.set _ZN7rocprim17ROCPRIM_400000_NS6detail17trampoline_kernelINS0_14default_configENS1_25partition_config_selectorILNS1_17partition_subalgoE8ElNS0_10empty_typeEbEEZZNS1_14partition_implILS5_8ELb0ES3_jPlPS6_PKS6_NS0_5tupleIJS9_S6_EEENSD_IJSA_SA_EEENS0_18inequality_wrapperIZN2at6native12_GLOBAL__N_124unique_dim_cuda_templateIaEESt5tupleIJNSH_6TensorESM_SM_EERKSM_lbbbEUlllE0_EEPmJS6_EEE10hipError_tPvRmT3_T4_T5_T6_T7_T9_mT8_P12ihipStream_tbDpT10_ENKUlT_T0_E_clISt17integral_constantIbLb0EES1C_EEDaS17_S18_EUlS17_E_NS1_11comp_targetILNS1_3genE8ELNS1_11target_archE1030ELNS1_3gpuE2ELNS1_3repE0EEENS1_30default_config_static_selectorELNS0_4arch9wavefront6targetE1EEEvT1_.numbered_sgpr, 0
	.set _ZN7rocprim17ROCPRIM_400000_NS6detail17trampoline_kernelINS0_14default_configENS1_25partition_config_selectorILNS1_17partition_subalgoE8ElNS0_10empty_typeEbEEZZNS1_14partition_implILS5_8ELb0ES3_jPlPS6_PKS6_NS0_5tupleIJS9_S6_EEENSD_IJSA_SA_EEENS0_18inequality_wrapperIZN2at6native12_GLOBAL__N_124unique_dim_cuda_templateIaEESt5tupleIJNSH_6TensorESM_SM_EERKSM_lbbbEUlllE0_EEPmJS6_EEE10hipError_tPvRmT3_T4_T5_T6_T7_T9_mT8_P12ihipStream_tbDpT10_ENKUlT_T0_E_clISt17integral_constantIbLb0EES1C_EEDaS17_S18_EUlS17_E_NS1_11comp_targetILNS1_3genE8ELNS1_11target_archE1030ELNS1_3gpuE2ELNS1_3repE0EEENS1_30default_config_static_selectorELNS0_4arch9wavefront6targetE1EEEvT1_.num_named_barrier, 0
	.set _ZN7rocprim17ROCPRIM_400000_NS6detail17trampoline_kernelINS0_14default_configENS1_25partition_config_selectorILNS1_17partition_subalgoE8ElNS0_10empty_typeEbEEZZNS1_14partition_implILS5_8ELb0ES3_jPlPS6_PKS6_NS0_5tupleIJS9_S6_EEENSD_IJSA_SA_EEENS0_18inequality_wrapperIZN2at6native12_GLOBAL__N_124unique_dim_cuda_templateIaEESt5tupleIJNSH_6TensorESM_SM_EERKSM_lbbbEUlllE0_EEPmJS6_EEE10hipError_tPvRmT3_T4_T5_T6_T7_T9_mT8_P12ihipStream_tbDpT10_ENKUlT_T0_E_clISt17integral_constantIbLb0EES1C_EEDaS17_S18_EUlS17_E_NS1_11comp_targetILNS1_3genE8ELNS1_11target_archE1030ELNS1_3gpuE2ELNS1_3repE0EEENS1_30default_config_static_selectorELNS0_4arch9wavefront6targetE1EEEvT1_.private_seg_size, 0
	.set _ZN7rocprim17ROCPRIM_400000_NS6detail17trampoline_kernelINS0_14default_configENS1_25partition_config_selectorILNS1_17partition_subalgoE8ElNS0_10empty_typeEbEEZZNS1_14partition_implILS5_8ELb0ES3_jPlPS6_PKS6_NS0_5tupleIJS9_S6_EEENSD_IJSA_SA_EEENS0_18inequality_wrapperIZN2at6native12_GLOBAL__N_124unique_dim_cuda_templateIaEESt5tupleIJNSH_6TensorESM_SM_EERKSM_lbbbEUlllE0_EEPmJS6_EEE10hipError_tPvRmT3_T4_T5_T6_T7_T9_mT8_P12ihipStream_tbDpT10_ENKUlT_T0_E_clISt17integral_constantIbLb0EES1C_EEDaS17_S18_EUlS17_E_NS1_11comp_targetILNS1_3genE8ELNS1_11target_archE1030ELNS1_3gpuE2ELNS1_3repE0EEENS1_30default_config_static_selectorELNS0_4arch9wavefront6targetE1EEEvT1_.uses_vcc, 0
	.set _ZN7rocprim17ROCPRIM_400000_NS6detail17trampoline_kernelINS0_14default_configENS1_25partition_config_selectorILNS1_17partition_subalgoE8ElNS0_10empty_typeEbEEZZNS1_14partition_implILS5_8ELb0ES3_jPlPS6_PKS6_NS0_5tupleIJS9_S6_EEENSD_IJSA_SA_EEENS0_18inequality_wrapperIZN2at6native12_GLOBAL__N_124unique_dim_cuda_templateIaEESt5tupleIJNSH_6TensorESM_SM_EERKSM_lbbbEUlllE0_EEPmJS6_EEE10hipError_tPvRmT3_T4_T5_T6_T7_T9_mT8_P12ihipStream_tbDpT10_ENKUlT_T0_E_clISt17integral_constantIbLb0EES1C_EEDaS17_S18_EUlS17_E_NS1_11comp_targetILNS1_3genE8ELNS1_11target_archE1030ELNS1_3gpuE2ELNS1_3repE0EEENS1_30default_config_static_selectorELNS0_4arch9wavefront6targetE1EEEvT1_.uses_flat_scratch, 0
	.set _ZN7rocprim17ROCPRIM_400000_NS6detail17trampoline_kernelINS0_14default_configENS1_25partition_config_selectorILNS1_17partition_subalgoE8ElNS0_10empty_typeEbEEZZNS1_14partition_implILS5_8ELb0ES3_jPlPS6_PKS6_NS0_5tupleIJS9_S6_EEENSD_IJSA_SA_EEENS0_18inequality_wrapperIZN2at6native12_GLOBAL__N_124unique_dim_cuda_templateIaEESt5tupleIJNSH_6TensorESM_SM_EERKSM_lbbbEUlllE0_EEPmJS6_EEE10hipError_tPvRmT3_T4_T5_T6_T7_T9_mT8_P12ihipStream_tbDpT10_ENKUlT_T0_E_clISt17integral_constantIbLb0EES1C_EEDaS17_S18_EUlS17_E_NS1_11comp_targetILNS1_3genE8ELNS1_11target_archE1030ELNS1_3gpuE2ELNS1_3repE0EEENS1_30default_config_static_selectorELNS0_4arch9wavefront6targetE1EEEvT1_.has_dyn_sized_stack, 0
	.set _ZN7rocprim17ROCPRIM_400000_NS6detail17trampoline_kernelINS0_14default_configENS1_25partition_config_selectorILNS1_17partition_subalgoE8ElNS0_10empty_typeEbEEZZNS1_14partition_implILS5_8ELb0ES3_jPlPS6_PKS6_NS0_5tupleIJS9_S6_EEENSD_IJSA_SA_EEENS0_18inequality_wrapperIZN2at6native12_GLOBAL__N_124unique_dim_cuda_templateIaEESt5tupleIJNSH_6TensorESM_SM_EERKSM_lbbbEUlllE0_EEPmJS6_EEE10hipError_tPvRmT3_T4_T5_T6_T7_T9_mT8_P12ihipStream_tbDpT10_ENKUlT_T0_E_clISt17integral_constantIbLb0EES1C_EEDaS17_S18_EUlS17_E_NS1_11comp_targetILNS1_3genE8ELNS1_11target_archE1030ELNS1_3gpuE2ELNS1_3repE0EEENS1_30default_config_static_selectorELNS0_4arch9wavefront6targetE1EEEvT1_.has_recursion, 0
	.set _ZN7rocprim17ROCPRIM_400000_NS6detail17trampoline_kernelINS0_14default_configENS1_25partition_config_selectorILNS1_17partition_subalgoE8ElNS0_10empty_typeEbEEZZNS1_14partition_implILS5_8ELb0ES3_jPlPS6_PKS6_NS0_5tupleIJS9_S6_EEENSD_IJSA_SA_EEENS0_18inequality_wrapperIZN2at6native12_GLOBAL__N_124unique_dim_cuda_templateIaEESt5tupleIJNSH_6TensorESM_SM_EERKSM_lbbbEUlllE0_EEPmJS6_EEE10hipError_tPvRmT3_T4_T5_T6_T7_T9_mT8_P12ihipStream_tbDpT10_ENKUlT_T0_E_clISt17integral_constantIbLb0EES1C_EEDaS17_S18_EUlS17_E_NS1_11comp_targetILNS1_3genE8ELNS1_11target_archE1030ELNS1_3gpuE2ELNS1_3repE0EEENS1_30default_config_static_selectorELNS0_4arch9wavefront6targetE1EEEvT1_.has_indirect_call, 0
	.section	.AMDGPU.csdata,"",@progbits
; Kernel info:
; codeLenInByte = 0
; TotalNumSgprs: 6
; NumVgprs: 0
; NumAgprs: 0
; TotalNumVgprs: 0
; ScratchSize: 0
; MemoryBound: 0
; FloatMode: 240
; IeeeMode: 1
; LDSByteSize: 0 bytes/workgroup (compile time only)
; SGPRBlocks: 0
; VGPRBlocks: 0
; NumSGPRsForWavesPerEU: 6
; NumVGPRsForWavesPerEU: 1
; AccumOffset: 4
; Occupancy: 8
; WaveLimiterHint : 0
; COMPUTE_PGM_RSRC2:SCRATCH_EN: 0
; COMPUTE_PGM_RSRC2:USER_SGPR: 2
; COMPUTE_PGM_RSRC2:TRAP_HANDLER: 0
; COMPUTE_PGM_RSRC2:TGID_X_EN: 1
; COMPUTE_PGM_RSRC2:TGID_Y_EN: 0
; COMPUTE_PGM_RSRC2:TGID_Z_EN: 0
; COMPUTE_PGM_RSRC2:TIDIG_COMP_CNT: 0
; COMPUTE_PGM_RSRC3_GFX90A:ACCUM_OFFSET: 0
; COMPUTE_PGM_RSRC3_GFX90A:TG_SPLIT: 0
	.section	.text._ZN7rocprim17ROCPRIM_400000_NS6detail17trampoline_kernelINS0_14default_configENS1_25partition_config_selectorILNS1_17partition_subalgoE8ElNS0_10empty_typeEbEEZZNS1_14partition_implILS5_8ELb0ES3_jPlPS6_PKS6_NS0_5tupleIJS9_S6_EEENSD_IJSA_SA_EEENS0_18inequality_wrapperIZN2at6native12_GLOBAL__N_124unique_dim_cuda_templateIaEESt5tupleIJNSH_6TensorESM_SM_EERKSM_lbbbEUlllE0_EEPmJS6_EEE10hipError_tPvRmT3_T4_T5_T6_T7_T9_mT8_P12ihipStream_tbDpT10_ENKUlT_T0_E_clISt17integral_constantIbLb1EES1C_EEDaS17_S18_EUlS17_E_NS1_11comp_targetILNS1_3genE0ELNS1_11target_archE4294967295ELNS1_3gpuE0ELNS1_3repE0EEENS1_30default_config_static_selectorELNS0_4arch9wavefront6targetE1EEEvT1_,"axG",@progbits,_ZN7rocprim17ROCPRIM_400000_NS6detail17trampoline_kernelINS0_14default_configENS1_25partition_config_selectorILNS1_17partition_subalgoE8ElNS0_10empty_typeEbEEZZNS1_14partition_implILS5_8ELb0ES3_jPlPS6_PKS6_NS0_5tupleIJS9_S6_EEENSD_IJSA_SA_EEENS0_18inequality_wrapperIZN2at6native12_GLOBAL__N_124unique_dim_cuda_templateIaEESt5tupleIJNSH_6TensorESM_SM_EERKSM_lbbbEUlllE0_EEPmJS6_EEE10hipError_tPvRmT3_T4_T5_T6_T7_T9_mT8_P12ihipStream_tbDpT10_ENKUlT_T0_E_clISt17integral_constantIbLb1EES1C_EEDaS17_S18_EUlS17_E_NS1_11comp_targetILNS1_3genE0ELNS1_11target_archE4294967295ELNS1_3gpuE0ELNS1_3repE0EEENS1_30default_config_static_selectorELNS0_4arch9wavefront6targetE1EEEvT1_,comdat
	.globl	_ZN7rocprim17ROCPRIM_400000_NS6detail17trampoline_kernelINS0_14default_configENS1_25partition_config_selectorILNS1_17partition_subalgoE8ElNS0_10empty_typeEbEEZZNS1_14partition_implILS5_8ELb0ES3_jPlPS6_PKS6_NS0_5tupleIJS9_S6_EEENSD_IJSA_SA_EEENS0_18inequality_wrapperIZN2at6native12_GLOBAL__N_124unique_dim_cuda_templateIaEESt5tupleIJNSH_6TensorESM_SM_EERKSM_lbbbEUlllE0_EEPmJS6_EEE10hipError_tPvRmT3_T4_T5_T6_T7_T9_mT8_P12ihipStream_tbDpT10_ENKUlT_T0_E_clISt17integral_constantIbLb1EES1C_EEDaS17_S18_EUlS17_E_NS1_11comp_targetILNS1_3genE0ELNS1_11target_archE4294967295ELNS1_3gpuE0ELNS1_3repE0EEENS1_30default_config_static_selectorELNS0_4arch9wavefront6targetE1EEEvT1_ ; -- Begin function _ZN7rocprim17ROCPRIM_400000_NS6detail17trampoline_kernelINS0_14default_configENS1_25partition_config_selectorILNS1_17partition_subalgoE8ElNS0_10empty_typeEbEEZZNS1_14partition_implILS5_8ELb0ES3_jPlPS6_PKS6_NS0_5tupleIJS9_S6_EEENSD_IJSA_SA_EEENS0_18inequality_wrapperIZN2at6native12_GLOBAL__N_124unique_dim_cuda_templateIaEESt5tupleIJNSH_6TensorESM_SM_EERKSM_lbbbEUlllE0_EEPmJS6_EEE10hipError_tPvRmT3_T4_T5_T6_T7_T9_mT8_P12ihipStream_tbDpT10_ENKUlT_T0_E_clISt17integral_constantIbLb1EES1C_EEDaS17_S18_EUlS17_E_NS1_11comp_targetILNS1_3genE0ELNS1_11target_archE4294967295ELNS1_3gpuE0ELNS1_3repE0EEENS1_30default_config_static_selectorELNS0_4arch9wavefront6targetE1EEEvT1_
	.p2align	8
	.type	_ZN7rocprim17ROCPRIM_400000_NS6detail17trampoline_kernelINS0_14default_configENS1_25partition_config_selectorILNS1_17partition_subalgoE8ElNS0_10empty_typeEbEEZZNS1_14partition_implILS5_8ELb0ES3_jPlPS6_PKS6_NS0_5tupleIJS9_S6_EEENSD_IJSA_SA_EEENS0_18inequality_wrapperIZN2at6native12_GLOBAL__N_124unique_dim_cuda_templateIaEESt5tupleIJNSH_6TensorESM_SM_EERKSM_lbbbEUlllE0_EEPmJS6_EEE10hipError_tPvRmT3_T4_T5_T6_T7_T9_mT8_P12ihipStream_tbDpT10_ENKUlT_T0_E_clISt17integral_constantIbLb1EES1C_EEDaS17_S18_EUlS17_E_NS1_11comp_targetILNS1_3genE0ELNS1_11target_archE4294967295ELNS1_3gpuE0ELNS1_3repE0EEENS1_30default_config_static_selectorELNS0_4arch9wavefront6targetE1EEEvT1_,@function
_ZN7rocprim17ROCPRIM_400000_NS6detail17trampoline_kernelINS0_14default_configENS1_25partition_config_selectorILNS1_17partition_subalgoE8ElNS0_10empty_typeEbEEZZNS1_14partition_implILS5_8ELb0ES3_jPlPS6_PKS6_NS0_5tupleIJS9_S6_EEENSD_IJSA_SA_EEENS0_18inequality_wrapperIZN2at6native12_GLOBAL__N_124unique_dim_cuda_templateIaEESt5tupleIJNSH_6TensorESM_SM_EERKSM_lbbbEUlllE0_EEPmJS6_EEE10hipError_tPvRmT3_T4_T5_T6_T7_T9_mT8_P12ihipStream_tbDpT10_ENKUlT_T0_E_clISt17integral_constantIbLb1EES1C_EEDaS17_S18_EUlS17_E_NS1_11comp_targetILNS1_3genE0ELNS1_11target_archE4294967295ELNS1_3gpuE0ELNS1_3repE0EEENS1_30default_config_static_selectorELNS0_4arch9wavefront6targetE1EEEvT1_: ; @_ZN7rocprim17ROCPRIM_400000_NS6detail17trampoline_kernelINS0_14default_configENS1_25partition_config_selectorILNS1_17partition_subalgoE8ElNS0_10empty_typeEbEEZZNS1_14partition_implILS5_8ELb0ES3_jPlPS6_PKS6_NS0_5tupleIJS9_S6_EEENSD_IJSA_SA_EEENS0_18inequality_wrapperIZN2at6native12_GLOBAL__N_124unique_dim_cuda_templateIaEESt5tupleIJNSH_6TensorESM_SM_EERKSM_lbbbEUlllE0_EEPmJS6_EEE10hipError_tPvRmT3_T4_T5_T6_T7_T9_mT8_P12ihipStream_tbDpT10_ENKUlT_T0_E_clISt17integral_constantIbLb1EES1C_EEDaS17_S18_EUlS17_E_NS1_11comp_targetILNS1_3genE0ELNS1_11target_archE4294967295ELNS1_3gpuE0ELNS1_3repE0EEENS1_30default_config_static_selectorELNS0_4arch9wavefront6targetE1EEEvT1_
; %bb.0:
	s_endpgm
	.section	.rodata,"a",@progbits
	.p2align	6, 0x0
	.amdhsa_kernel _ZN7rocprim17ROCPRIM_400000_NS6detail17trampoline_kernelINS0_14default_configENS1_25partition_config_selectorILNS1_17partition_subalgoE8ElNS0_10empty_typeEbEEZZNS1_14partition_implILS5_8ELb0ES3_jPlPS6_PKS6_NS0_5tupleIJS9_S6_EEENSD_IJSA_SA_EEENS0_18inequality_wrapperIZN2at6native12_GLOBAL__N_124unique_dim_cuda_templateIaEESt5tupleIJNSH_6TensorESM_SM_EERKSM_lbbbEUlllE0_EEPmJS6_EEE10hipError_tPvRmT3_T4_T5_T6_T7_T9_mT8_P12ihipStream_tbDpT10_ENKUlT_T0_E_clISt17integral_constantIbLb1EES1C_EEDaS17_S18_EUlS17_E_NS1_11comp_targetILNS1_3genE0ELNS1_11target_archE4294967295ELNS1_3gpuE0ELNS1_3repE0EEENS1_30default_config_static_selectorELNS0_4arch9wavefront6targetE1EEEvT1_
		.amdhsa_group_segment_fixed_size 0
		.amdhsa_private_segment_fixed_size 0
		.amdhsa_kernarg_size 136
		.amdhsa_user_sgpr_count 2
		.amdhsa_user_sgpr_dispatch_ptr 0
		.amdhsa_user_sgpr_queue_ptr 0
		.amdhsa_user_sgpr_kernarg_segment_ptr 1
		.amdhsa_user_sgpr_dispatch_id 0
		.amdhsa_user_sgpr_kernarg_preload_length 0
		.amdhsa_user_sgpr_kernarg_preload_offset 0
		.amdhsa_user_sgpr_private_segment_size 0
		.amdhsa_uses_dynamic_stack 0
		.amdhsa_enable_private_segment 0
		.amdhsa_system_sgpr_workgroup_id_x 1
		.amdhsa_system_sgpr_workgroup_id_y 0
		.amdhsa_system_sgpr_workgroup_id_z 0
		.amdhsa_system_sgpr_workgroup_info 0
		.amdhsa_system_vgpr_workitem_id 0
		.amdhsa_next_free_vgpr 1
		.amdhsa_next_free_sgpr 0
		.amdhsa_accum_offset 4
		.amdhsa_reserve_vcc 0
		.amdhsa_float_round_mode_32 0
		.amdhsa_float_round_mode_16_64 0
		.amdhsa_float_denorm_mode_32 3
		.amdhsa_float_denorm_mode_16_64 3
		.amdhsa_dx10_clamp 1
		.amdhsa_ieee_mode 1
		.amdhsa_fp16_overflow 0
		.amdhsa_tg_split 0
		.amdhsa_exception_fp_ieee_invalid_op 0
		.amdhsa_exception_fp_denorm_src 0
		.amdhsa_exception_fp_ieee_div_zero 0
		.amdhsa_exception_fp_ieee_overflow 0
		.amdhsa_exception_fp_ieee_underflow 0
		.amdhsa_exception_fp_ieee_inexact 0
		.amdhsa_exception_int_div_zero 0
	.end_amdhsa_kernel
	.section	.text._ZN7rocprim17ROCPRIM_400000_NS6detail17trampoline_kernelINS0_14default_configENS1_25partition_config_selectorILNS1_17partition_subalgoE8ElNS0_10empty_typeEbEEZZNS1_14partition_implILS5_8ELb0ES3_jPlPS6_PKS6_NS0_5tupleIJS9_S6_EEENSD_IJSA_SA_EEENS0_18inequality_wrapperIZN2at6native12_GLOBAL__N_124unique_dim_cuda_templateIaEESt5tupleIJNSH_6TensorESM_SM_EERKSM_lbbbEUlllE0_EEPmJS6_EEE10hipError_tPvRmT3_T4_T5_T6_T7_T9_mT8_P12ihipStream_tbDpT10_ENKUlT_T0_E_clISt17integral_constantIbLb1EES1C_EEDaS17_S18_EUlS17_E_NS1_11comp_targetILNS1_3genE0ELNS1_11target_archE4294967295ELNS1_3gpuE0ELNS1_3repE0EEENS1_30default_config_static_selectorELNS0_4arch9wavefront6targetE1EEEvT1_,"axG",@progbits,_ZN7rocprim17ROCPRIM_400000_NS6detail17trampoline_kernelINS0_14default_configENS1_25partition_config_selectorILNS1_17partition_subalgoE8ElNS0_10empty_typeEbEEZZNS1_14partition_implILS5_8ELb0ES3_jPlPS6_PKS6_NS0_5tupleIJS9_S6_EEENSD_IJSA_SA_EEENS0_18inequality_wrapperIZN2at6native12_GLOBAL__N_124unique_dim_cuda_templateIaEESt5tupleIJNSH_6TensorESM_SM_EERKSM_lbbbEUlllE0_EEPmJS6_EEE10hipError_tPvRmT3_T4_T5_T6_T7_T9_mT8_P12ihipStream_tbDpT10_ENKUlT_T0_E_clISt17integral_constantIbLb1EES1C_EEDaS17_S18_EUlS17_E_NS1_11comp_targetILNS1_3genE0ELNS1_11target_archE4294967295ELNS1_3gpuE0ELNS1_3repE0EEENS1_30default_config_static_selectorELNS0_4arch9wavefront6targetE1EEEvT1_,comdat
.Lfunc_end327:
	.size	_ZN7rocprim17ROCPRIM_400000_NS6detail17trampoline_kernelINS0_14default_configENS1_25partition_config_selectorILNS1_17partition_subalgoE8ElNS0_10empty_typeEbEEZZNS1_14partition_implILS5_8ELb0ES3_jPlPS6_PKS6_NS0_5tupleIJS9_S6_EEENSD_IJSA_SA_EEENS0_18inequality_wrapperIZN2at6native12_GLOBAL__N_124unique_dim_cuda_templateIaEESt5tupleIJNSH_6TensorESM_SM_EERKSM_lbbbEUlllE0_EEPmJS6_EEE10hipError_tPvRmT3_T4_T5_T6_T7_T9_mT8_P12ihipStream_tbDpT10_ENKUlT_T0_E_clISt17integral_constantIbLb1EES1C_EEDaS17_S18_EUlS17_E_NS1_11comp_targetILNS1_3genE0ELNS1_11target_archE4294967295ELNS1_3gpuE0ELNS1_3repE0EEENS1_30default_config_static_selectorELNS0_4arch9wavefront6targetE1EEEvT1_, .Lfunc_end327-_ZN7rocprim17ROCPRIM_400000_NS6detail17trampoline_kernelINS0_14default_configENS1_25partition_config_selectorILNS1_17partition_subalgoE8ElNS0_10empty_typeEbEEZZNS1_14partition_implILS5_8ELb0ES3_jPlPS6_PKS6_NS0_5tupleIJS9_S6_EEENSD_IJSA_SA_EEENS0_18inequality_wrapperIZN2at6native12_GLOBAL__N_124unique_dim_cuda_templateIaEESt5tupleIJNSH_6TensorESM_SM_EERKSM_lbbbEUlllE0_EEPmJS6_EEE10hipError_tPvRmT3_T4_T5_T6_T7_T9_mT8_P12ihipStream_tbDpT10_ENKUlT_T0_E_clISt17integral_constantIbLb1EES1C_EEDaS17_S18_EUlS17_E_NS1_11comp_targetILNS1_3genE0ELNS1_11target_archE4294967295ELNS1_3gpuE0ELNS1_3repE0EEENS1_30default_config_static_selectorELNS0_4arch9wavefront6targetE1EEEvT1_
                                        ; -- End function
	.set _ZN7rocprim17ROCPRIM_400000_NS6detail17trampoline_kernelINS0_14default_configENS1_25partition_config_selectorILNS1_17partition_subalgoE8ElNS0_10empty_typeEbEEZZNS1_14partition_implILS5_8ELb0ES3_jPlPS6_PKS6_NS0_5tupleIJS9_S6_EEENSD_IJSA_SA_EEENS0_18inequality_wrapperIZN2at6native12_GLOBAL__N_124unique_dim_cuda_templateIaEESt5tupleIJNSH_6TensorESM_SM_EERKSM_lbbbEUlllE0_EEPmJS6_EEE10hipError_tPvRmT3_T4_T5_T6_T7_T9_mT8_P12ihipStream_tbDpT10_ENKUlT_T0_E_clISt17integral_constantIbLb1EES1C_EEDaS17_S18_EUlS17_E_NS1_11comp_targetILNS1_3genE0ELNS1_11target_archE4294967295ELNS1_3gpuE0ELNS1_3repE0EEENS1_30default_config_static_selectorELNS0_4arch9wavefront6targetE1EEEvT1_.num_vgpr, 0
	.set _ZN7rocprim17ROCPRIM_400000_NS6detail17trampoline_kernelINS0_14default_configENS1_25partition_config_selectorILNS1_17partition_subalgoE8ElNS0_10empty_typeEbEEZZNS1_14partition_implILS5_8ELb0ES3_jPlPS6_PKS6_NS0_5tupleIJS9_S6_EEENSD_IJSA_SA_EEENS0_18inequality_wrapperIZN2at6native12_GLOBAL__N_124unique_dim_cuda_templateIaEESt5tupleIJNSH_6TensorESM_SM_EERKSM_lbbbEUlllE0_EEPmJS6_EEE10hipError_tPvRmT3_T4_T5_T6_T7_T9_mT8_P12ihipStream_tbDpT10_ENKUlT_T0_E_clISt17integral_constantIbLb1EES1C_EEDaS17_S18_EUlS17_E_NS1_11comp_targetILNS1_3genE0ELNS1_11target_archE4294967295ELNS1_3gpuE0ELNS1_3repE0EEENS1_30default_config_static_selectorELNS0_4arch9wavefront6targetE1EEEvT1_.num_agpr, 0
	.set _ZN7rocprim17ROCPRIM_400000_NS6detail17trampoline_kernelINS0_14default_configENS1_25partition_config_selectorILNS1_17partition_subalgoE8ElNS0_10empty_typeEbEEZZNS1_14partition_implILS5_8ELb0ES3_jPlPS6_PKS6_NS0_5tupleIJS9_S6_EEENSD_IJSA_SA_EEENS0_18inequality_wrapperIZN2at6native12_GLOBAL__N_124unique_dim_cuda_templateIaEESt5tupleIJNSH_6TensorESM_SM_EERKSM_lbbbEUlllE0_EEPmJS6_EEE10hipError_tPvRmT3_T4_T5_T6_T7_T9_mT8_P12ihipStream_tbDpT10_ENKUlT_T0_E_clISt17integral_constantIbLb1EES1C_EEDaS17_S18_EUlS17_E_NS1_11comp_targetILNS1_3genE0ELNS1_11target_archE4294967295ELNS1_3gpuE0ELNS1_3repE0EEENS1_30default_config_static_selectorELNS0_4arch9wavefront6targetE1EEEvT1_.numbered_sgpr, 0
	.set _ZN7rocprim17ROCPRIM_400000_NS6detail17trampoline_kernelINS0_14default_configENS1_25partition_config_selectorILNS1_17partition_subalgoE8ElNS0_10empty_typeEbEEZZNS1_14partition_implILS5_8ELb0ES3_jPlPS6_PKS6_NS0_5tupleIJS9_S6_EEENSD_IJSA_SA_EEENS0_18inequality_wrapperIZN2at6native12_GLOBAL__N_124unique_dim_cuda_templateIaEESt5tupleIJNSH_6TensorESM_SM_EERKSM_lbbbEUlllE0_EEPmJS6_EEE10hipError_tPvRmT3_T4_T5_T6_T7_T9_mT8_P12ihipStream_tbDpT10_ENKUlT_T0_E_clISt17integral_constantIbLb1EES1C_EEDaS17_S18_EUlS17_E_NS1_11comp_targetILNS1_3genE0ELNS1_11target_archE4294967295ELNS1_3gpuE0ELNS1_3repE0EEENS1_30default_config_static_selectorELNS0_4arch9wavefront6targetE1EEEvT1_.num_named_barrier, 0
	.set _ZN7rocprim17ROCPRIM_400000_NS6detail17trampoline_kernelINS0_14default_configENS1_25partition_config_selectorILNS1_17partition_subalgoE8ElNS0_10empty_typeEbEEZZNS1_14partition_implILS5_8ELb0ES3_jPlPS6_PKS6_NS0_5tupleIJS9_S6_EEENSD_IJSA_SA_EEENS0_18inequality_wrapperIZN2at6native12_GLOBAL__N_124unique_dim_cuda_templateIaEESt5tupleIJNSH_6TensorESM_SM_EERKSM_lbbbEUlllE0_EEPmJS6_EEE10hipError_tPvRmT3_T4_T5_T6_T7_T9_mT8_P12ihipStream_tbDpT10_ENKUlT_T0_E_clISt17integral_constantIbLb1EES1C_EEDaS17_S18_EUlS17_E_NS1_11comp_targetILNS1_3genE0ELNS1_11target_archE4294967295ELNS1_3gpuE0ELNS1_3repE0EEENS1_30default_config_static_selectorELNS0_4arch9wavefront6targetE1EEEvT1_.private_seg_size, 0
	.set _ZN7rocprim17ROCPRIM_400000_NS6detail17trampoline_kernelINS0_14default_configENS1_25partition_config_selectorILNS1_17partition_subalgoE8ElNS0_10empty_typeEbEEZZNS1_14partition_implILS5_8ELb0ES3_jPlPS6_PKS6_NS0_5tupleIJS9_S6_EEENSD_IJSA_SA_EEENS0_18inequality_wrapperIZN2at6native12_GLOBAL__N_124unique_dim_cuda_templateIaEESt5tupleIJNSH_6TensorESM_SM_EERKSM_lbbbEUlllE0_EEPmJS6_EEE10hipError_tPvRmT3_T4_T5_T6_T7_T9_mT8_P12ihipStream_tbDpT10_ENKUlT_T0_E_clISt17integral_constantIbLb1EES1C_EEDaS17_S18_EUlS17_E_NS1_11comp_targetILNS1_3genE0ELNS1_11target_archE4294967295ELNS1_3gpuE0ELNS1_3repE0EEENS1_30default_config_static_selectorELNS0_4arch9wavefront6targetE1EEEvT1_.uses_vcc, 0
	.set _ZN7rocprim17ROCPRIM_400000_NS6detail17trampoline_kernelINS0_14default_configENS1_25partition_config_selectorILNS1_17partition_subalgoE8ElNS0_10empty_typeEbEEZZNS1_14partition_implILS5_8ELb0ES3_jPlPS6_PKS6_NS0_5tupleIJS9_S6_EEENSD_IJSA_SA_EEENS0_18inequality_wrapperIZN2at6native12_GLOBAL__N_124unique_dim_cuda_templateIaEESt5tupleIJNSH_6TensorESM_SM_EERKSM_lbbbEUlllE0_EEPmJS6_EEE10hipError_tPvRmT3_T4_T5_T6_T7_T9_mT8_P12ihipStream_tbDpT10_ENKUlT_T0_E_clISt17integral_constantIbLb1EES1C_EEDaS17_S18_EUlS17_E_NS1_11comp_targetILNS1_3genE0ELNS1_11target_archE4294967295ELNS1_3gpuE0ELNS1_3repE0EEENS1_30default_config_static_selectorELNS0_4arch9wavefront6targetE1EEEvT1_.uses_flat_scratch, 0
	.set _ZN7rocprim17ROCPRIM_400000_NS6detail17trampoline_kernelINS0_14default_configENS1_25partition_config_selectorILNS1_17partition_subalgoE8ElNS0_10empty_typeEbEEZZNS1_14partition_implILS5_8ELb0ES3_jPlPS6_PKS6_NS0_5tupleIJS9_S6_EEENSD_IJSA_SA_EEENS0_18inequality_wrapperIZN2at6native12_GLOBAL__N_124unique_dim_cuda_templateIaEESt5tupleIJNSH_6TensorESM_SM_EERKSM_lbbbEUlllE0_EEPmJS6_EEE10hipError_tPvRmT3_T4_T5_T6_T7_T9_mT8_P12ihipStream_tbDpT10_ENKUlT_T0_E_clISt17integral_constantIbLb1EES1C_EEDaS17_S18_EUlS17_E_NS1_11comp_targetILNS1_3genE0ELNS1_11target_archE4294967295ELNS1_3gpuE0ELNS1_3repE0EEENS1_30default_config_static_selectorELNS0_4arch9wavefront6targetE1EEEvT1_.has_dyn_sized_stack, 0
	.set _ZN7rocprim17ROCPRIM_400000_NS6detail17trampoline_kernelINS0_14default_configENS1_25partition_config_selectorILNS1_17partition_subalgoE8ElNS0_10empty_typeEbEEZZNS1_14partition_implILS5_8ELb0ES3_jPlPS6_PKS6_NS0_5tupleIJS9_S6_EEENSD_IJSA_SA_EEENS0_18inequality_wrapperIZN2at6native12_GLOBAL__N_124unique_dim_cuda_templateIaEESt5tupleIJNSH_6TensorESM_SM_EERKSM_lbbbEUlllE0_EEPmJS6_EEE10hipError_tPvRmT3_T4_T5_T6_T7_T9_mT8_P12ihipStream_tbDpT10_ENKUlT_T0_E_clISt17integral_constantIbLb1EES1C_EEDaS17_S18_EUlS17_E_NS1_11comp_targetILNS1_3genE0ELNS1_11target_archE4294967295ELNS1_3gpuE0ELNS1_3repE0EEENS1_30default_config_static_selectorELNS0_4arch9wavefront6targetE1EEEvT1_.has_recursion, 0
	.set _ZN7rocprim17ROCPRIM_400000_NS6detail17trampoline_kernelINS0_14default_configENS1_25partition_config_selectorILNS1_17partition_subalgoE8ElNS0_10empty_typeEbEEZZNS1_14partition_implILS5_8ELb0ES3_jPlPS6_PKS6_NS0_5tupleIJS9_S6_EEENSD_IJSA_SA_EEENS0_18inequality_wrapperIZN2at6native12_GLOBAL__N_124unique_dim_cuda_templateIaEESt5tupleIJNSH_6TensorESM_SM_EERKSM_lbbbEUlllE0_EEPmJS6_EEE10hipError_tPvRmT3_T4_T5_T6_T7_T9_mT8_P12ihipStream_tbDpT10_ENKUlT_T0_E_clISt17integral_constantIbLb1EES1C_EEDaS17_S18_EUlS17_E_NS1_11comp_targetILNS1_3genE0ELNS1_11target_archE4294967295ELNS1_3gpuE0ELNS1_3repE0EEENS1_30default_config_static_selectorELNS0_4arch9wavefront6targetE1EEEvT1_.has_indirect_call, 0
	.section	.AMDGPU.csdata,"",@progbits
; Kernel info:
; codeLenInByte = 4
; TotalNumSgprs: 6
; NumVgprs: 0
; NumAgprs: 0
; TotalNumVgprs: 0
; ScratchSize: 0
; MemoryBound: 0
; FloatMode: 240
; IeeeMode: 1
; LDSByteSize: 0 bytes/workgroup (compile time only)
; SGPRBlocks: 0
; VGPRBlocks: 0
; NumSGPRsForWavesPerEU: 6
; NumVGPRsForWavesPerEU: 1
; AccumOffset: 4
; Occupancy: 8
; WaveLimiterHint : 0
; COMPUTE_PGM_RSRC2:SCRATCH_EN: 0
; COMPUTE_PGM_RSRC2:USER_SGPR: 2
; COMPUTE_PGM_RSRC2:TRAP_HANDLER: 0
; COMPUTE_PGM_RSRC2:TGID_X_EN: 1
; COMPUTE_PGM_RSRC2:TGID_Y_EN: 0
; COMPUTE_PGM_RSRC2:TGID_Z_EN: 0
; COMPUTE_PGM_RSRC2:TIDIG_COMP_CNT: 0
; COMPUTE_PGM_RSRC3_GFX90A:ACCUM_OFFSET: 0
; COMPUTE_PGM_RSRC3_GFX90A:TG_SPLIT: 0
	.section	.text._ZN7rocprim17ROCPRIM_400000_NS6detail17trampoline_kernelINS0_14default_configENS1_25partition_config_selectorILNS1_17partition_subalgoE8ElNS0_10empty_typeEbEEZZNS1_14partition_implILS5_8ELb0ES3_jPlPS6_PKS6_NS0_5tupleIJS9_S6_EEENSD_IJSA_SA_EEENS0_18inequality_wrapperIZN2at6native12_GLOBAL__N_124unique_dim_cuda_templateIaEESt5tupleIJNSH_6TensorESM_SM_EERKSM_lbbbEUlllE0_EEPmJS6_EEE10hipError_tPvRmT3_T4_T5_T6_T7_T9_mT8_P12ihipStream_tbDpT10_ENKUlT_T0_E_clISt17integral_constantIbLb1EES1C_EEDaS17_S18_EUlS17_E_NS1_11comp_targetILNS1_3genE5ELNS1_11target_archE942ELNS1_3gpuE9ELNS1_3repE0EEENS1_30default_config_static_selectorELNS0_4arch9wavefront6targetE1EEEvT1_,"axG",@progbits,_ZN7rocprim17ROCPRIM_400000_NS6detail17trampoline_kernelINS0_14default_configENS1_25partition_config_selectorILNS1_17partition_subalgoE8ElNS0_10empty_typeEbEEZZNS1_14partition_implILS5_8ELb0ES3_jPlPS6_PKS6_NS0_5tupleIJS9_S6_EEENSD_IJSA_SA_EEENS0_18inequality_wrapperIZN2at6native12_GLOBAL__N_124unique_dim_cuda_templateIaEESt5tupleIJNSH_6TensorESM_SM_EERKSM_lbbbEUlllE0_EEPmJS6_EEE10hipError_tPvRmT3_T4_T5_T6_T7_T9_mT8_P12ihipStream_tbDpT10_ENKUlT_T0_E_clISt17integral_constantIbLb1EES1C_EEDaS17_S18_EUlS17_E_NS1_11comp_targetILNS1_3genE5ELNS1_11target_archE942ELNS1_3gpuE9ELNS1_3repE0EEENS1_30default_config_static_selectorELNS0_4arch9wavefront6targetE1EEEvT1_,comdat
	.globl	_ZN7rocprim17ROCPRIM_400000_NS6detail17trampoline_kernelINS0_14default_configENS1_25partition_config_selectorILNS1_17partition_subalgoE8ElNS0_10empty_typeEbEEZZNS1_14partition_implILS5_8ELb0ES3_jPlPS6_PKS6_NS0_5tupleIJS9_S6_EEENSD_IJSA_SA_EEENS0_18inequality_wrapperIZN2at6native12_GLOBAL__N_124unique_dim_cuda_templateIaEESt5tupleIJNSH_6TensorESM_SM_EERKSM_lbbbEUlllE0_EEPmJS6_EEE10hipError_tPvRmT3_T4_T5_T6_T7_T9_mT8_P12ihipStream_tbDpT10_ENKUlT_T0_E_clISt17integral_constantIbLb1EES1C_EEDaS17_S18_EUlS17_E_NS1_11comp_targetILNS1_3genE5ELNS1_11target_archE942ELNS1_3gpuE9ELNS1_3repE0EEENS1_30default_config_static_selectorELNS0_4arch9wavefront6targetE1EEEvT1_ ; -- Begin function _ZN7rocprim17ROCPRIM_400000_NS6detail17trampoline_kernelINS0_14default_configENS1_25partition_config_selectorILNS1_17partition_subalgoE8ElNS0_10empty_typeEbEEZZNS1_14partition_implILS5_8ELb0ES3_jPlPS6_PKS6_NS0_5tupleIJS9_S6_EEENSD_IJSA_SA_EEENS0_18inequality_wrapperIZN2at6native12_GLOBAL__N_124unique_dim_cuda_templateIaEESt5tupleIJNSH_6TensorESM_SM_EERKSM_lbbbEUlllE0_EEPmJS6_EEE10hipError_tPvRmT3_T4_T5_T6_T7_T9_mT8_P12ihipStream_tbDpT10_ENKUlT_T0_E_clISt17integral_constantIbLb1EES1C_EEDaS17_S18_EUlS17_E_NS1_11comp_targetILNS1_3genE5ELNS1_11target_archE942ELNS1_3gpuE9ELNS1_3repE0EEENS1_30default_config_static_selectorELNS0_4arch9wavefront6targetE1EEEvT1_
	.p2align	8
	.type	_ZN7rocprim17ROCPRIM_400000_NS6detail17trampoline_kernelINS0_14default_configENS1_25partition_config_selectorILNS1_17partition_subalgoE8ElNS0_10empty_typeEbEEZZNS1_14partition_implILS5_8ELb0ES3_jPlPS6_PKS6_NS0_5tupleIJS9_S6_EEENSD_IJSA_SA_EEENS0_18inequality_wrapperIZN2at6native12_GLOBAL__N_124unique_dim_cuda_templateIaEESt5tupleIJNSH_6TensorESM_SM_EERKSM_lbbbEUlllE0_EEPmJS6_EEE10hipError_tPvRmT3_T4_T5_T6_T7_T9_mT8_P12ihipStream_tbDpT10_ENKUlT_T0_E_clISt17integral_constantIbLb1EES1C_EEDaS17_S18_EUlS17_E_NS1_11comp_targetILNS1_3genE5ELNS1_11target_archE942ELNS1_3gpuE9ELNS1_3repE0EEENS1_30default_config_static_selectorELNS0_4arch9wavefront6targetE1EEEvT1_,@function
_ZN7rocprim17ROCPRIM_400000_NS6detail17trampoline_kernelINS0_14default_configENS1_25partition_config_selectorILNS1_17partition_subalgoE8ElNS0_10empty_typeEbEEZZNS1_14partition_implILS5_8ELb0ES3_jPlPS6_PKS6_NS0_5tupleIJS9_S6_EEENSD_IJSA_SA_EEENS0_18inequality_wrapperIZN2at6native12_GLOBAL__N_124unique_dim_cuda_templateIaEESt5tupleIJNSH_6TensorESM_SM_EERKSM_lbbbEUlllE0_EEPmJS6_EEE10hipError_tPvRmT3_T4_T5_T6_T7_T9_mT8_P12ihipStream_tbDpT10_ENKUlT_T0_E_clISt17integral_constantIbLb1EES1C_EEDaS17_S18_EUlS17_E_NS1_11comp_targetILNS1_3genE5ELNS1_11target_archE942ELNS1_3gpuE9ELNS1_3repE0EEENS1_30default_config_static_selectorELNS0_4arch9wavefront6targetE1EEEvT1_: ; @_ZN7rocprim17ROCPRIM_400000_NS6detail17trampoline_kernelINS0_14default_configENS1_25partition_config_selectorILNS1_17partition_subalgoE8ElNS0_10empty_typeEbEEZZNS1_14partition_implILS5_8ELb0ES3_jPlPS6_PKS6_NS0_5tupleIJS9_S6_EEENSD_IJSA_SA_EEENS0_18inequality_wrapperIZN2at6native12_GLOBAL__N_124unique_dim_cuda_templateIaEESt5tupleIJNSH_6TensorESM_SM_EERKSM_lbbbEUlllE0_EEPmJS6_EEE10hipError_tPvRmT3_T4_T5_T6_T7_T9_mT8_P12ihipStream_tbDpT10_ENKUlT_T0_E_clISt17integral_constantIbLb1EES1C_EEDaS17_S18_EUlS17_E_NS1_11comp_targetILNS1_3genE5ELNS1_11target_archE942ELNS1_3gpuE9ELNS1_3repE0EEENS1_30default_config_static_selectorELNS0_4arch9wavefront6targetE1EEEvT1_
; %bb.0:
	.section	.rodata,"a",@progbits
	.p2align	6, 0x0
	.amdhsa_kernel _ZN7rocprim17ROCPRIM_400000_NS6detail17trampoline_kernelINS0_14default_configENS1_25partition_config_selectorILNS1_17partition_subalgoE8ElNS0_10empty_typeEbEEZZNS1_14partition_implILS5_8ELb0ES3_jPlPS6_PKS6_NS0_5tupleIJS9_S6_EEENSD_IJSA_SA_EEENS0_18inequality_wrapperIZN2at6native12_GLOBAL__N_124unique_dim_cuda_templateIaEESt5tupleIJNSH_6TensorESM_SM_EERKSM_lbbbEUlllE0_EEPmJS6_EEE10hipError_tPvRmT3_T4_T5_T6_T7_T9_mT8_P12ihipStream_tbDpT10_ENKUlT_T0_E_clISt17integral_constantIbLb1EES1C_EEDaS17_S18_EUlS17_E_NS1_11comp_targetILNS1_3genE5ELNS1_11target_archE942ELNS1_3gpuE9ELNS1_3repE0EEENS1_30default_config_static_selectorELNS0_4arch9wavefront6targetE1EEEvT1_
		.amdhsa_group_segment_fixed_size 0
		.amdhsa_private_segment_fixed_size 0
		.amdhsa_kernarg_size 136
		.amdhsa_user_sgpr_count 2
		.amdhsa_user_sgpr_dispatch_ptr 0
		.amdhsa_user_sgpr_queue_ptr 0
		.amdhsa_user_sgpr_kernarg_segment_ptr 1
		.amdhsa_user_sgpr_dispatch_id 0
		.amdhsa_user_sgpr_kernarg_preload_length 0
		.amdhsa_user_sgpr_kernarg_preload_offset 0
		.amdhsa_user_sgpr_private_segment_size 0
		.amdhsa_uses_dynamic_stack 0
		.amdhsa_enable_private_segment 0
		.amdhsa_system_sgpr_workgroup_id_x 1
		.amdhsa_system_sgpr_workgroup_id_y 0
		.amdhsa_system_sgpr_workgroup_id_z 0
		.amdhsa_system_sgpr_workgroup_info 0
		.amdhsa_system_vgpr_workitem_id 0
		.amdhsa_next_free_vgpr 1
		.amdhsa_next_free_sgpr 0
		.amdhsa_accum_offset 4
		.amdhsa_reserve_vcc 0
		.amdhsa_float_round_mode_32 0
		.amdhsa_float_round_mode_16_64 0
		.amdhsa_float_denorm_mode_32 3
		.amdhsa_float_denorm_mode_16_64 3
		.amdhsa_dx10_clamp 1
		.amdhsa_ieee_mode 1
		.amdhsa_fp16_overflow 0
		.amdhsa_tg_split 0
		.amdhsa_exception_fp_ieee_invalid_op 0
		.amdhsa_exception_fp_denorm_src 0
		.amdhsa_exception_fp_ieee_div_zero 0
		.amdhsa_exception_fp_ieee_overflow 0
		.amdhsa_exception_fp_ieee_underflow 0
		.amdhsa_exception_fp_ieee_inexact 0
		.amdhsa_exception_int_div_zero 0
	.end_amdhsa_kernel
	.section	.text._ZN7rocprim17ROCPRIM_400000_NS6detail17trampoline_kernelINS0_14default_configENS1_25partition_config_selectorILNS1_17partition_subalgoE8ElNS0_10empty_typeEbEEZZNS1_14partition_implILS5_8ELb0ES3_jPlPS6_PKS6_NS0_5tupleIJS9_S6_EEENSD_IJSA_SA_EEENS0_18inequality_wrapperIZN2at6native12_GLOBAL__N_124unique_dim_cuda_templateIaEESt5tupleIJNSH_6TensorESM_SM_EERKSM_lbbbEUlllE0_EEPmJS6_EEE10hipError_tPvRmT3_T4_T5_T6_T7_T9_mT8_P12ihipStream_tbDpT10_ENKUlT_T0_E_clISt17integral_constantIbLb1EES1C_EEDaS17_S18_EUlS17_E_NS1_11comp_targetILNS1_3genE5ELNS1_11target_archE942ELNS1_3gpuE9ELNS1_3repE0EEENS1_30default_config_static_selectorELNS0_4arch9wavefront6targetE1EEEvT1_,"axG",@progbits,_ZN7rocprim17ROCPRIM_400000_NS6detail17trampoline_kernelINS0_14default_configENS1_25partition_config_selectorILNS1_17partition_subalgoE8ElNS0_10empty_typeEbEEZZNS1_14partition_implILS5_8ELb0ES3_jPlPS6_PKS6_NS0_5tupleIJS9_S6_EEENSD_IJSA_SA_EEENS0_18inequality_wrapperIZN2at6native12_GLOBAL__N_124unique_dim_cuda_templateIaEESt5tupleIJNSH_6TensorESM_SM_EERKSM_lbbbEUlllE0_EEPmJS6_EEE10hipError_tPvRmT3_T4_T5_T6_T7_T9_mT8_P12ihipStream_tbDpT10_ENKUlT_T0_E_clISt17integral_constantIbLb1EES1C_EEDaS17_S18_EUlS17_E_NS1_11comp_targetILNS1_3genE5ELNS1_11target_archE942ELNS1_3gpuE9ELNS1_3repE0EEENS1_30default_config_static_selectorELNS0_4arch9wavefront6targetE1EEEvT1_,comdat
.Lfunc_end328:
	.size	_ZN7rocprim17ROCPRIM_400000_NS6detail17trampoline_kernelINS0_14default_configENS1_25partition_config_selectorILNS1_17partition_subalgoE8ElNS0_10empty_typeEbEEZZNS1_14partition_implILS5_8ELb0ES3_jPlPS6_PKS6_NS0_5tupleIJS9_S6_EEENSD_IJSA_SA_EEENS0_18inequality_wrapperIZN2at6native12_GLOBAL__N_124unique_dim_cuda_templateIaEESt5tupleIJNSH_6TensorESM_SM_EERKSM_lbbbEUlllE0_EEPmJS6_EEE10hipError_tPvRmT3_T4_T5_T6_T7_T9_mT8_P12ihipStream_tbDpT10_ENKUlT_T0_E_clISt17integral_constantIbLb1EES1C_EEDaS17_S18_EUlS17_E_NS1_11comp_targetILNS1_3genE5ELNS1_11target_archE942ELNS1_3gpuE9ELNS1_3repE0EEENS1_30default_config_static_selectorELNS0_4arch9wavefront6targetE1EEEvT1_, .Lfunc_end328-_ZN7rocprim17ROCPRIM_400000_NS6detail17trampoline_kernelINS0_14default_configENS1_25partition_config_selectorILNS1_17partition_subalgoE8ElNS0_10empty_typeEbEEZZNS1_14partition_implILS5_8ELb0ES3_jPlPS6_PKS6_NS0_5tupleIJS9_S6_EEENSD_IJSA_SA_EEENS0_18inequality_wrapperIZN2at6native12_GLOBAL__N_124unique_dim_cuda_templateIaEESt5tupleIJNSH_6TensorESM_SM_EERKSM_lbbbEUlllE0_EEPmJS6_EEE10hipError_tPvRmT3_T4_T5_T6_T7_T9_mT8_P12ihipStream_tbDpT10_ENKUlT_T0_E_clISt17integral_constantIbLb1EES1C_EEDaS17_S18_EUlS17_E_NS1_11comp_targetILNS1_3genE5ELNS1_11target_archE942ELNS1_3gpuE9ELNS1_3repE0EEENS1_30default_config_static_selectorELNS0_4arch9wavefront6targetE1EEEvT1_
                                        ; -- End function
	.set _ZN7rocprim17ROCPRIM_400000_NS6detail17trampoline_kernelINS0_14default_configENS1_25partition_config_selectorILNS1_17partition_subalgoE8ElNS0_10empty_typeEbEEZZNS1_14partition_implILS5_8ELb0ES3_jPlPS6_PKS6_NS0_5tupleIJS9_S6_EEENSD_IJSA_SA_EEENS0_18inequality_wrapperIZN2at6native12_GLOBAL__N_124unique_dim_cuda_templateIaEESt5tupleIJNSH_6TensorESM_SM_EERKSM_lbbbEUlllE0_EEPmJS6_EEE10hipError_tPvRmT3_T4_T5_T6_T7_T9_mT8_P12ihipStream_tbDpT10_ENKUlT_T0_E_clISt17integral_constantIbLb1EES1C_EEDaS17_S18_EUlS17_E_NS1_11comp_targetILNS1_3genE5ELNS1_11target_archE942ELNS1_3gpuE9ELNS1_3repE0EEENS1_30default_config_static_selectorELNS0_4arch9wavefront6targetE1EEEvT1_.num_vgpr, 0
	.set _ZN7rocprim17ROCPRIM_400000_NS6detail17trampoline_kernelINS0_14default_configENS1_25partition_config_selectorILNS1_17partition_subalgoE8ElNS0_10empty_typeEbEEZZNS1_14partition_implILS5_8ELb0ES3_jPlPS6_PKS6_NS0_5tupleIJS9_S6_EEENSD_IJSA_SA_EEENS0_18inequality_wrapperIZN2at6native12_GLOBAL__N_124unique_dim_cuda_templateIaEESt5tupleIJNSH_6TensorESM_SM_EERKSM_lbbbEUlllE0_EEPmJS6_EEE10hipError_tPvRmT3_T4_T5_T6_T7_T9_mT8_P12ihipStream_tbDpT10_ENKUlT_T0_E_clISt17integral_constantIbLb1EES1C_EEDaS17_S18_EUlS17_E_NS1_11comp_targetILNS1_3genE5ELNS1_11target_archE942ELNS1_3gpuE9ELNS1_3repE0EEENS1_30default_config_static_selectorELNS0_4arch9wavefront6targetE1EEEvT1_.num_agpr, 0
	.set _ZN7rocprim17ROCPRIM_400000_NS6detail17trampoline_kernelINS0_14default_configENS1_25partition_config_selectorILNS1_17partition_subalgoE8ElNS0_10empty_typeEbEEZZNS1_14partition_implILS5_8ELb0ES3_jPlPS6_PKS6_NS0_5tupleIJS9_S6_EEENSD_IJSA_SA_EEENS0_18inequality_wrapperIZN2at6native12_GLOBAL__N_124unique_dim_cuda_templateIaEESt5tupleIJNSH_6TensorESM_SM_EERKSM_lbbbEUlllE0_EEPmJS6_EEE10hipError_tPvRmT3_T4_T5_T6_T7_T9_mT8_P12ihipStream_tbDpT10_ENKUlT_T0_E_clISt17integral_constantIbLb1EES1C_EEDaS17_S18_EUlS17_E_NS1_11comp_targetILNS1_3genE5ELNS1_11target_archE942ELNS1_3gpuE9ELNS1_3repE0EEENS1_30default_config_static_selectorELNS0_4arch9wavefront6targetE1EEEvT1_.numbered_sgpr, 0
	.set _ZN7rocprim17ROCPRIM_400000_NS6detail17trampoline_kernelINS0_14default_configENS1_25partition_config_selectorILNS1_17partition_subalgoE8ElNS0_10empty_typeEbEEZZNS1_14partition_implILS5_8ELb0ES3_jPlPS6_PKS6_NS0_5tupleIJS9_S6_EEENSD_IJSA_SA_EEENS0_18inequality_wrapperIZN2at6native12_GLOBAL__N_124unique_dim_cuda_templateIaEESt5tupleIJNSH_6TensorESM_SM_EERKSM_lbbbEUlllE0_EEPmJS6_EEE10hipError_tPvRmT3_T4_T5_T6_T7_T9_mT8_P12ihipStream_tbDpT10_ENKUlT_T0_E_clISt17integral_constantIbLb1EES1C_EEDaS17_S18_EUlS17_E_NS1_11comp_targetILNS1_3genE5ELNS1_11target_archE942ELNS1_3gpuE9ELNS1_3repE0EEENS1_30default_config_static_selectorELNS0_4arch9wavefront6targetE1EEEvT1_.num_named_barrier, 0
	.set _ZN7rocprim17ROCPRIM_400000_NS6detail17trampoline_kernelINS0_14default_configENS1_25partition_config_selectorILNS1_17partition_subalgoE8ElNS0_10empty_typeEbEEZZNS1_14partition_implILS5_8ELb0ES3_jPlPS6_PKS6_NS0_5tupleIJS9_S6_EEENSD_IJSA_SA_EEENS0_18inequality_wrapperIZN2at6native12_GLOBAL__N_124unique_dim_cuda_templateIaEESt5tupleIJNSH_6TensorESM_SM_EERKSM_lbbbEUlllE0_EEPmJS6_EEE10hipError_tPvRmT3_T4_T5_T6_T7_T9_mT8_P12ihipStream_tbDpT10_ENKUlT_T0_E_clISt17integral_constantIbLb1EES1C_EEDaS17_S18_EUlS17_E_NS1_11comp_targetILNS1_3genE5ELNS1_11target_archE942ELNS1_3gpuE9ELNS1_3repE0EEENS1_30default_config_static_selectorELNS0_4arch9wavefront6targetE1EEEvT1_.private_seg_size, 0
	.set _ZN7rocprim17ROCPRIM_400000_NS6detail17trampoline_kernelINS0_14default_configENS1_25partition_config_selectorILNS1_17partition_subalgoE8ElNS0_10empty_typeEbEEZZNS1_14partition_implILS5_8ELb0ES3_jPlPS6_PKS6_NS0_5tupleIJS9_S6_EEENSD_IJSA_SA_EEENS0_18inequality_wrapperIZN2at6native12_GLOBAL__N_124unique_dim_cuda_templateIaEESt5tupleIJNSH_6TensorESM_SM_EERKSM_lbbbEUlllE0_EEPmJS6_EEE10hipError_tPvRmT3_T4_T5_T6_T7_T9_mT8_P12ihipStream_tbDpT10_ENKUlT_T0_E_clISt17integral_constantIbLb1EES1C_EEDaS17_S18_EUlS17_E_NS1_11comp_targetILNS1_3genE5ELNS1_11target_archE942ELNS1_3gpuE9ELNS1_3repE0EEENS1_30default_config_static_selectorELNS0_4arch9wavefront6targetE1EEEvT1_.uses_vcc, 0
	.set _ZN7rocprim17ROCPRIM_400000_NS6detail17trampoline_kernelINS0_14default_configENS1_25partition_config_selectorILNS1_17partition_subalgoE8ElNS0_10empty_typeEbEEZZNS1_14partition_implILS5_8ELb0ES3_jPlPS6_PKS6_NS0_5tupleIJS9_S6_EEENSD_IJSA_SA_EEENS0_18inequality_wrapperIZN2at6native12_GLOBAL__N_124unique_dim_cuda_templateIaEESt5tupleIJNSH_6TensorESM_SM_EERKSM_lbbbEUlllE0_EEPmJS6_EEE10hipError_tPvRmT3_T4_T5_T6_T7_T9_mT8_P12ihipStream_tbDpT10_ENKUlT_T0_E_clISt17integral_constantIbLb1EES1C_EEDaS17_S18_EUlS17_E_NS1_11comp_targetILNS1_3genE5ELNS1_11target_archE942ELNS1_3gpuE9ELNS1_3repE0EEENS1_30default_config_static_selectorELNS0_4arch9wavefront6targetE1EEEvT1_.uses_flat_scratch, 0
	.set _ZN7rocprim17ROCPRIM_400000_NS6detail17trampoline_kernelINS0_14default_configENS1_25partition_config_selectorILNS1_17partition_subalgoE8ElNS0_10empty_typeEbEEZZNS1_14partition_implILS5_8ELb0ES3_jPlPS6_PKS6_NS0_5tupleIJS9_S6_EEENSD_IJSA_SA_EEENS0_18inequality_wrapperIZN2at6native12_GLOBAL__N_124unique_dim_cuda_templateIaEESt5tupleIJNSH_6TensorESM_SM_EERKSM_lbbbEUlllE0_EEPmJS6_EEE10hipError_tPvRmT3_T4_T5_T6_T7_T9_mT8_P12ihipStream_tbDpT10_ENKUlT_T0_E_clISt17integral_constantIbLb1EES1C_EEDaS17_S18_EUlS17_E_NS1_11comp_targetILNS1_3genE5ELNS1_11target_archE942ELNS1_3gpuE9ELNS1_3repE0EEENS1_30default_config_static_selectorELNS0_4arch9wavefront6targetE1EEEvT1_.has_dyn_sized_stack, 0
	.set _ZN7rocprim17ROCPRIM_400000_NS6detail17trampoline_kernelINS0_14default_configENS1_25partition_config_selectorILNS1_17partition_subalgoE8ElNS0_10empty_typeEbEEZZNS1_14partition_implILS5_8ELb0ES3_jPlPS6_PKS6_NS0_5tupleIJS9_S6_EEENSD_IJSA_SA_EEENS0_18inequality_wrapperIZN2at6native12_GLOBAL__N_124unique_dim_cuda_templateIaEESt5tupleIJNSH_6TensorESM_SM_EERKSM_lbbbEUlllE0_EEPmJS6_EEE10hipError_tPvRmT3_T4_T5_T6_T7_T9_mT8_P12ihipStream_tbDpT10_ENKUlT_T0_E_clISt17integral_constantIbLb1EES1C_EEDaS17_S18_EUlS17_E_NS1_11comp_targetILNS1_3genE5ELNS1_11target_archE942ELNS1_3gpuE9ELNS1_3repE0EEENS1_30default_config_static_selectorELNS0_4arch9wavefront6targetE1EEEvT1_.has_recursion, 0
	.set _ZN7rocprim17ROCPRIM_400000_NS6detail17trampoline_kernelINS0_14default_configENS1_25partition_config_selectorILNS1_17partition_subalgoE8ElNS0_10empty_typeEbEEZZNS1_14partition_implILS5_8ELb0ES3_jPlPS6_PKS6_NS0_5tupleIJS9_S6_EEENSD_IJSA_SA_EEENS0_18inequality_wrapperIZN2at6native12_GLOBAL__N_124unique_dim_cuda_templateIaEESt5tupleIJNSH_6TensorESM_SM_EERKSM_lbbbEUlllE0_EEPmJS6_EEE10hipError_tPvRmT3_T4_T5_T6_T7_T9_mT8_P12ihipStream_tbDpT10_ENKUlT_T0_E_clISt17integral_constantIbLb1EES1C_EEDaS17_S18_EUlS17_E_NS1_11comp_targetILNS1_3genE5ELNS1_11target_archE942ELNS1_3gpuE9ELNS1_3repE0EEENS1_30default_config_static_selectorELNS0_4arch9wavefront6targetE1EEEvT1_.has_indirect_call, 0
	.section	.AMDGPU.csdata,"",@progbits
; Kernel info:
; codeLenInByte = 0
; TotalNumSgprs: 6
; NumVgprs: 0
; NumAgprs: 0
; TotalNumVgprs: 0
; ScratchSize: 0
; MemoryBound: 0
; FloatMode: 240
; IeeeMode: 1
; LDSByteSize: 0 bytes/workgroup (compile time only)
; SGPRBlocks: 0
; VGPRBlocks: 0
; NumSGPRsForWavesPerEU: 6
; NumVGPRsForWavesPerEU: 1
; AccumOffset: 4
; Occupancy: 8
; WaveLimiterHint : 0
; COMPUTE_PGM_RSRC2:SCRATCH_EN: 0
; COMPUTE_PGM_RSRC2:USER_SGPR: 2
; COMPUTE_PGM_RSRC2:TRAP_HANDLER: 0
; COMPUTE_PGM_RSRC2:TGID_X_EN: 1
; COMPUTE_PGM_RSRC2:TGID_Y_EN: 0
; COMPUTE_PGM_RSRC2:TGID_Z_EN: 0
; COMPUTE_PGM_RSRC2:TIDIG_COMP_CNT: 0
; COMPUTE_PGM_RSRC3_GFX90A:ACCUM_OFFSET: 0
; COMPUTE_PGM_RSRC3_GFX90A:TG_SPLIT: 0
	.section	.text._ZN7rocprim17ROCPRIM_400000_NS6detail17trampoline_kernelINS0_14default_configENS1_25partition_config_selectorILNS1_17partition_subalgoE8ElNS0_10empty_typeEbEEZZNS1_14partition_implILS5_8ELb0ES3_jPlPS6_PKS6_NS0_5tupleIJS9_S6_EEENSD_IJSA_SA_EEENS0_18inequality_wrapperIZN2at6native12_GLOBAL__N_124unique_dim_cuda_templateIaEESt5tupleIJNSH_6TensorESM_SM_EERKSM_lbbbEUlllE0_EEPmJS6_EEE10hipError_tPvRmT3_T4_T5_T6_T7_T9_mT8_P12ihipStream_tbDpT10_ENKUlT_T0_E_clISt17integral_constantIbLb1EES1C_EEDaS17_S18_EUlS17_E_NS1_11comp_targetILNS1_3genE4ELNS1_11target_archE910ELNS1_3gpuE8ELNS1_3repE0EEENS1_30default_config_static_selectorELNS0_4arch9wavefront6targetE1EEEvT1_,"axG",@progbits,_ZN7rocprim17ROCPRIM_400000_NS6detail17trampoline_kernelINS0_14default_configENS1_25partition_config_selectorILNS1_17partition_subalgoE8ElNS0_10empty_typeEbEEZZNS1_14partition_implILS5_8ELb0ES3_jPlPS6_PKS6_NS0_5tupleIJS9_S6_EEENSD_IJSA_SA_EEENS0_18inequality_wrapperIZN2at6native12_GLOBAL__N_124unique_dim_cuda_templateIaEESt5tupleIJNSH_6TensorESM_SM_EERKSM_lbbbEUlllE0_EEPmJS6_EEE10hipError_tPvRmT3_T4_T5_T6_T7_T9_mT8_P12ihipStream_tbDpT10_ENKUlT_T0_E_clISt17integral_constantIbLb1EES1C_EEDaS17_S18_EUlS17_E_NS1_11comp_targetILNS1_3genE4ELNS1_11target_archE910ELNS1_3gpuE8ELNS1_3repE0EEENS1_30default_config_static_selectorELNS0_4arch9wavefront6targetE1EEEvT1_,comdat
	.globl	_ZN7rocprim17ROCPRIM_400000_NS6detail17trampoline_kernelINS0_14default_configENS1_25partition_config_selectorILNS1_17partition_subalgoE8ElNS0_10empty_typeEbEEZZNS1_14partition_implILS5_8ELb0ES3_jPlPS6_PKS6_NS0_5tupleIJS9_S6_EEENSD_IJSA_SA_EEENS0_18inequality_wrapperIZN2at6native12_GLOBAL__N_124unique_dim_cuda_templateIaEESt5tupleIJNSH_6TensorESM_SM_EERKSM_lbbbEUlllE0_EEPmJS6_EEE10hipError_tPvRmT3_T4_T5_T6_T7_T9_mT8_P12ihipStream_tbDpT10_ENKUlT_T0_E_clISt17integral_constantIbLb1EES1C_EEDaS17_S18_EUlS17_E_NS1_11comp_targetILNS1_3genE4ELNS1_11target_archE910ELNS1_3gpuE8ELNS1_3repE0EEENS1_30default_config_static_selectorELNS0_4arch9wavefront6targetE1EEEvT1_ ; -- Begin function _ZN7rocprim17ROCPRIM_400000_NS6detail17trampoline_kernelINS0_14default_configENS1_25partition_config_selectorILNS1_17partition_subalgoE8ElNS0_10empty_typeEbEEZZNS1_14partition_implILS5_8ELb0ES3_jPlPS6_PKS6_NS0_5tupleIJS9_S6_EEENSD_IJSA_SA_EEENS0_18inequality_wrapperIZN2at6native12_GLOBAL__N_124unique_dim_cuda_templateIaEESt5tupleIJNSH_6TensorESM_SM_EERKSM_lbbbEUlllE0_EEPmJS6_EEE10hipError_tPvRmT3_T4_T5_T6_T7_T9_mT8_P12ihipStream_tbDpT10_ENKUlT_T0_E_clISt17integral_constantIbLb1EES1C_EEDaS17_S18_EUlS17_E_NS1_11comp_targetILNS1_3genE4ELNS1_11target_archE910ELNS1_3gpuE8ELNS1_3repE0EEENS1_30default_config_static_selectorELNS0_4arch9wavefront6targetE1EEEvT1_
	.p2align	8
	.type	_ZN7rocprim17ROCPRIM_400000_NS6detail17trampoline_kernelINS0_14default_configENS1_25partition_config_selectorILNS1_17partition_subalgoE8ElNS0_10empty_typeEbEEZZNS1_14partition_implILS5_8ELb0ES3_jPlPS6_PKS6_NS0_5tupleIJS9_S6_EEENSD_IJSA_SA_EEENS0_18inequality_wrapperIZN2at6native12_GLOBAL__N_124unique_dim_cuda_templateIaEESt5tupleIJNSH_6TensorESM_SM_EERKSM_lbbbEUlllE0_EEPmJS6_EEE10hipError_tPvRmT3_T4_T5_T6_T7_T9_mT8_P12ihipStream_tbDpT10_ENKUlT_T0_E_clISt17integral_constantIbLb1EES1C_EEDaS17_S18_EUlS17_E_NS1_11comp_targetILNS1_3genE4ELNS1_11target_archE910ELNS1_3gpuE8ELNS1_3repE0EEENS1_30default_config_static_selectorELNS0_4arch9wavefront6targetE1EEEvT1_,@function
_ZN7rocprim17ROCPRIM_400000_NS6detail17trampoline_kernelINS0_14default_configENS1_25partition_config_selectorILNS1_17partition_subalgoE8ElNS0_10empty_typeEbEEZZNS1_14partition_implILS5_8ELb0ES3_jPlPS6_PKS6_NS0_5tupleIJS9_S6_EEENSD_IJSA_SA_EEENS0_18inequality_wrapperIZN2at6native12_GLOBAL__N_124unique_dim_cuda_templateIaEESt5tupleIJNSH_6TensorESM_SM_EERKSM_lbbbEUlllE0_EEPmJS6_EEE10hipError_tPvRmT3_T4_T5_T6_T7_T9_mT8_P12ihipStream_tbDpT10_ENKUlT_T0_E_clISt17integral_constantIbLb1EES1C_EEDaS17_S18_EUlS17_E_NS1_11comp_targetILNS1_3genE4ELNS1_11target_archE910ELNS1_3gpuE8ELNS1_3repE0EEENS1_30default_config_static_selectorELNS0_4arch9wavefront6targetE1EEEvT1_: ; @_ZN7rocprim17ROCPRIM_400000_NS6detail17trampoline_kernelINS0_14default_configENS1_25partition_config_selectorILNS1_17partition_subalgoE8ElNS0_10empty_typeEbEEZZNS1_14partition_implILS5_8ELb0ES3_jPlPS6_PKS6_NS0_5tupleIJS9_S6_EEENSD_IJSA_SA_EEENS0_18inequality_wrapperIZN2at6native12_GLOBAL__N_124unique_dim_cuda_templateIaEESt5tupleIJNSH_6TensorESM_SM_EERKSM_lbbbEUlllE0_EEPmJS6_EEE10hipError_tPvRmT3_T4_T5_T6_T7_T9_mT8_P12ihipStream_tbDpT10_ENKUlT_T0_E_clISt17integral_constantIbLb1EES1C_EEDaS17_S18_EUlS17_E_NS1_11comp_targetILNS1_3genE4ELNS1_11target_archE910ELNS1_3gpuE8ELNS1_3repE0EEENS1_30default_config_static_selectorELNS0_4arch9wavefront6targetE1EEEvT1_
; %bb.0:
	.section	.rodata,"a",@progbits
	.p2align	6, 0x0
	.amdhsa_kernel _ZN7rocprim17ROCPRIM_400000_NS6detail17trampoline_kernelINS0_14default_configENS1_25partition_config_selectorILNS1_17partition_subalgoE8ElNS0_10empty_typeEbEEZZNS1_14partition_implILS5_8ELb0ES3_jPlPS6_PKS6_NS0_5tupleIJS9_S6_EEENSD_IJSA_SA_EEENS0_18inequality_wrapperIZN2at6native12_GLOBAL__N_124unique_dim_cuda_templateIaEESt5tupleIJNSH_6TensorESM_SM_EERKSM_lbbbEUlllE0_EEPmJS6_EEE10hipError_tPvRmT3_T4_T5_T6_T7_T9_mT8_P12ihipStream_tbDpT10_ENKUlT_T0_E_clISt17integral_constantIbLb1EES1C_EEDaS17_S18_EUlS17_E_NS1_11comp_targetILNS1_3genE4ELNS1_11target_archE910ELNS1_3gpuE8ELNS1_3repE0EEENS1_30default_config_static_selectorELNS0_4arch9wavefront6targetE1EEEvT1_
		.amdhsa_group_segment_fixed_size 0
		.amdhsa_private_segment_fixed_size 0
		.amdhsa_kernarg_size 136
		.amdhsa_user_sgpr_count 2
		.amdhsa_user_sgpr_dispatch_ptr 0
		.amdhsa_user_sgpr_queue_ptr 0
		.amdhsa_user_sgpr_kernarg_segment_ptr 1
		.amdhsa_user_sgpr_dispatch_id 0
		.amdhsa_user_sgpr_kernarg_preload_length 0
		.amdhsa_user_sgpr_kernarg_preload_offset 0
		.amdhsa_user_sgpr_private_segment_size 0
		.amdhsa_uses_dynamic_stack 0
		.amdhsa_enable_private_segment 0
		.amdhsa_system_sgpr_workgroup_id_x 1
		.amdhsa_system_sgpr_workgroup_id_y 0
		.amdhsa_system_sgpr_workgroup_id_z 0
		.amdhsa_system_sgpr_workgroup_info 0
		.amdhsa_system_vgpr_workitem_id 0
		.amdhsa_next_free_vgpr 1
		.amdhsa_next_free_sgpr 0
		.amdhsa_accum_offset 4
		.amdhsa_reserve_vcc 0
		.amdhsa_float_round_mode_32 0
		.amdhsa_float_round_mode_16_64 0
		.amdhsa_float_denorm_mode_32 3
		.amdhsa_float_denorm_mode_16_64 3
		.amdhsa_dx10_clamp 1
		.amdhsa_ieee_mode 1
		.amdhsa_fp16_overflow 0
		.amdhsa_tg_split 0
		.amdhsa_exception_fp_ieee_invalid_op 0
		.amdhsa_exception_fp_denorm_src 0
		.amdhsa_exception_fp_ieee_div_zero 0
		.amdhsa_exception_fp_ieee_overflow 0
		.amdhsa_exception_fp_ieee_underflow 0
		.amdhsa_exception_fp_ieee_inexact 0
		.amdhsa_exception_int_div_zero 0
	.end_amdhsa_kernel
	.section	.text._ZN7rocprim17ROCPRIM_400000_NS6detail17trampoline_kernelINS0_14default_configENS1_25partition_config_selectorILNS1_17partition_subalgoE8ElNS0_10empty_typeEbEEZZNS1_14partition_implILS5_8ELb0ES3_jPlPS6_PKS6_NS0_5tupleIJS9_S6_EEENSD_IJSA_SA_EEENS0_18inequality_wrapperIZN2at6native12_GLOBAL__N_124unique_dim_cuda_templateIaEESt5tupleIJNSH_6TensorESM_SM_EERKSM_lbbbEUlllE0_EEPmJS6_EEE10hipError_tPvRmT3_T4_T5_T6_T7_T9_mT8_P12ihipStream_tbDpT10_ENKUlT_T0_E_clISt17integral_constantIbLb1EES1C_EEDaS17_S18_EUlS17_E_NS1_11comp_targetILNS1_3genE4ELNS1_11target_archE910ELNS1_3gpuE8ELNS1_3repE0EEENS1_30default_config_static_selectorELNS0_4arch9wavefront6targetE1EEEvT1_,"axG",@progbits,_ZN7rocprim17ROCPRIM_400000_NS6detail17trampoline_kernelINS0_14default_configENS1_25partition_config_selectorILNS1_17partition_subalgoE8ElNS0_10empty_typeEbEEZZNS1_14partition_implILS5_8ELb0ES3_jPlPS6_PKS6_NS0_5tupleIJS9_S6_EEENSD_IJSA_SA_EEENS0_18inequality_wrapperIZN2at6native12_GLOBAL__N_124unique_dim_cuda_templateIaEESt5tupleIJNSH_6TensorESM_SM_EERKSM_lbbbEUlllE0_EEPmJS6_EEE10hipError_tPvRmT3_T4_T5_T6_T7_T9_mT8_P12ihipStream_tbDpT10_ENKUlT_T0_E_clISt17integral_constantIbLb1EES1C_EEDaS17_S18_EUlS17_E_NS1_11comp_targetILNS1_3genE4ELNS1_11target_archE910ELNS1_3gpuE8ELNS1_3repE0EEENS1_30default_config_static_selectorELNS0_4arch9wavefront6targetE1EEEvT1_,comdat
.Lfunc_end329:
	.size	_ZN7rocprim17ROCPRIM_400000_NS6detail17trampoline_kernelINS0_14default_configENS1_25partition_config_selectorILNS1_17partition_subalgoE8ElNS0_10empty_typeEbEEZZNS1_14partition_implILS5_8ELb0ES3_jPlPS6_PKS6_NS0_5tupleIJS9_S6_EEENSD_IJSA_SA_EEENS0_18inequality_wrapperIZN2at6native12_GLOBAL__N_124unique_dim_cuda_templateIaEESt5tupleIJNSH_6TensorESM_SM_EERKSM_lbbbEUlllE0_EEPmJS6_EEE10hipError_tPvRmT3_T4_T5_T6_T7_T9_mT8_P12ihipStream_tbDpT10_ENKUlT_T0_E_clISt17integral_constantIbLb1EES1C_EEDaS17_S18_EUlS17_E_NS1_11comp_targetILNS1_3genE4ELNS1_11target_archE910ELNS1_3gpuE8ELNS1_3repE0EEENS1_30default_config_static_selectorELNS0_4arch9wavefront6targetE1EEEvT1_, .Lfunc_end329-_ZN7rocprim17ROCPRIM_400000_NS6detail17trampoline_kernelINS0_14default_configENS1_25partition_config_selectorILNS1_17partition_subalgoE8ElNS0_10empty_typeEbEEZZNS1_14partition_implILS5_8ELb0ES3_jPlPS6_PKS6_NS0_5tupleIJS9_S6_EEENSD_IJSA_SA_EEENS0_18inequality_wrapperIZN2at6native12_GLOBAL__N_124unique_dim_cuda_templateIaEESt5tupleIJNSH_6TensorESM_SM_EERKSM_lbbbEUlllE0_EEPmJS6_EEE10hipError_tPvRmT3_T4_T5_T6_T7_T9_mT8_P12ihipStream_tbDpT10_ENKUlT_T0_E_clISt17integral_constantIbLb1EES1C_EEDaS17_S18_EUlS17_E_NS1_11comp_targetILNS1_3genE4ELNS1_11target_archE910ELNS1_3gpuE8ELNS1_3repE0EEENS1_30default_config_static_selectorELNS0_4arch9wavefront6targetE1EEEvT1_
                                        ; -- End function
	.set _ZN7rocprim17ROCPRIM_400000_NS6detail17trampoline_kernelINS0_14default_configENS1_25partition_config_selectorILNS1_17partition_subalgoE8ElNS0_10empty_typeEbEEZZNS1_14partition_implILS5_8ELb0ES3_jPlPS6_PKS6_NS0_5tupleIJS9_S6_EEENSD_IJSA_SA_EEENS0_18inequality_wrapperIZN2at6native12_GLOBAL__N_124unique_dim_cuda_templateIaEESt5tupleIJNSH_6TensorESM_SM_EERKSM_lbbbEUlllE0_EEPmJS6_EEE10hipError_tPvRmT3_T4_T5_T6_T7_T9_mT8_P12ihipStream_tbDpT10_ENKUlT_T0_E_clISt17integral_constantIbLb1EES1C_EEDaS17_S18_EUlS17_E_NS1_11comp_targetILNS1_3genE4ELNS1_11target_archE910ELNS1_3gpuE8ELNS1_3repE0EEENS1_30default_config_static_selectorELNS0_4arch9wavefront6targetE1EEEvT1_.num_vgpr, 0
	.set _ZN7rocprim17ROCPRIM_400000_NS6detail17trampoline_kernelINS0_14default_configENS1_25partition_config_selectorILNS1_17partition_subalgoE8ElNS0_10empty_typeEbEEZZNS1_14partition_implILS5_8ELb0ES3_jPlPS6_PKS6_NS0_5tupleIJS9_S6_EEENSD_IJSA_SA_EEENS0_18inequality_wrapperIZN2at6native12_GLOBAL__N_124unique_dim_cuda_templateIaEESt5tupleIJNSH_6TensorESM_SM_EERKSM_lbbbEUlllE0_EEPmJS6_EEE10hipError_tPvRmT3_T4_T5_T6_T7_T9_mT8_P12ihipStream_tbDpT10_ENKUlT_T0_E_clISt17integral_constantIbLb1EES1C_EEDaS17_S18_EUlS17_E_NS1_11comp_targetILNS1_3genE4ELNS1_11target_archE910ELNS1_3gpuE8ELNS1_3repE0EEENS1_30default_config_static_selectorELNS0_4arch9wavefront6targetE1EEEvT1_.num_agpr, 0
	.set _ZN7rocprim17ROCPRIM_400000_NS6detail17trampoline_kernelINS0_14default_configENS1_25partition_config_selectorILNS1_17partition_subalgoE8ElNS0_10empty_typeEbEEZZNS1_14partition_implILS5_8ELb0ES3_jPlPS6_PKS6_NS0_5tupleIJS9_S6_EEENSD_IJSA_SA_EEENS0_18inequality_wrapperIZN2at6native12_GLOBAL__N_124unique_dim_cuda_templateIaEESt5tupleIJNSH_6TensorESM_SM_EERKSM_lbbbEUlllE0_EEPmJS6_EEE10hipError_tPvRmT3_T4_T5_T6_T7_T9_mT8_P12ihipStream_tbDpT10_ENKUlT_T0_E_clISt17integral_constantIbLb1EES1C_EEDaS17_S18_EUlS17_E_NS1_11comp_targetILNS1_3genE4ELNS1_11target_archE910ELNS1_3gpuE8ELNS1_3repE0EEENS1_30default_config_static_selectorELNS0_4arch9wavefront6targetE1EEEvT1_.numbered_sgpr, 0
	.set _ZN7rocprim17ROCPRIM_400000_NS6detail17trampoline_kernelINS0_14default_configENS1_25partition_config_selectorILNS1_17partition_subalgoE8ElNS0_10empty_typeEbEEZZNS1_14partition_implILS5_8ELb0ES3_jPlPS6_PKS6_NS0_5tupleIJS9_S6_EEENSD_IJSA_SA_EEENS0_18inequality_wrapperIZN2at6native12_GLOBAL__N_124unique_dim_cuda_templateIaEESt5tupleIJNSH_6TensorESM_SM_EERKSM_lbbbEUlllE0_EEPmJS6_EEE10hipError_tPvRmT3_T4_T5_T6_T7_T9_mT8_P12ihipStream_tbDpT10_ENKUlT_T0_E_clISt17integral_constantIbLb1EES1C_EEDaS17_S18_EUlS17_E_NS1_11comp_targetILNS1_3genE4ELNS1_11target_archE910ELNS1_3gpuE8ELNS1_3repE0EEENS1_30default_config_static_selectorELNS0_4arch9wavefront6targetE1EEEvT1_.num_named_barrier, 0
	.set _ZN7rocprim17ROCPRIM_400000_NS6detail17trampoline_kernelINS0_14default_configENS1_25partition_config_selectorILNS1_17partition_subalgoE8ElNS0_10empty_typeEbEEZZNS1_14partition_implILS5_8ELb0ES3_jPlPS6_PKS6_NS0_5tupleIJS9_S6_EEENSD_IJSA_SA_EEENS0_18inequality_wrapperIZN2at6native12_GLOBAL__N_124unique_dim_cuda_templateIaEESt5tupleIJNSH_6TensorESM_SM_EERKSM_lbbbEUlllE0_EEPmJS6_EEE10hipError_tPvRmT3_T4_T5_T6_T7_T9_mT8_P12ihipStream_tbDpT10_ENKUlT_T0_E_clISt17integral_constantIbLb1EES1C_EEDaS17_S18_EUlS17_E_NS1_11comp_targetILNS1_3genE4ELNS1_11target_archE910ELNS1_3gpuE8ELNS1_3repE0EEENS1_30default_config_static_selectorELNS0_4arch9wavefront6targetE1EEEvT1_.private_seg_size, 0
	.set _ZN7rocprim17ROCPRIM_400000_NS6detail17trampoline_kernelINS0_14default_configENS1_25partition_config_selectorILNS1_17partition_subalgoE8ElNS0_10empty_typeEbEEZZNS1_14partition_implILS5_8ELb0ES3_jPlPS6_PKS6_NS0_5tupleIJS9_S6_EEENSD_IJSA_SA_EEENS0_18inequality_wrapperIZN2at6native12_GLOBAL__N_124unique_dim_cuda_templateIaEESt5tupleIJNSH_6TensorESM_SM_EERKSM_lbbbEUlllE0_EEPmJS6_EEE10hipError_tPvRmT3_T4_T5_T6_T7_T9_mT8_P12ihipStream_tbDpT10_ENKUlT_T0_E_clISt17integral_constantIbLb1EES1C_EEDaS17_S18_EUlS17_E_NS1_11comp_targetILNS1_3genE4ELNS1_11target_archE910ELNS1_3gpuE8ELNS1_3repE0EEENS1_30default_config_static_selectorELNS0_4arch9wavefront6targetE1EEEvT1_.uses_vcc, 0
	.set _ZN7rocprim17ROCPRIM_400000_NS6detail17trampoline_kernelINS0_14default_configENS1_25partition_config_selectorILNS1_17partition_subalgoE8ElNS0_10empty_typeEbEEZZNS1_14partition_implILS5_8ELb0ES3_jPlPS6_PKS6_NS0_5tupleIJS9_S6_EEENSD_IJSA_SA_EEENS0_18inequality_wrapperIZN2at6native12_GLOBAL__N_124unique_dim_cuda_templateIaEESt5tupleIJNSH_6TensorESM_SM_EERKSM_lbbbEUlllE0_EEPmJS6_EEE10hipError_tPvRmT3_T4_T5_T6_T7_T9_mT8_P12ihipStream_tbDpT10_ENKUlT_T0_E_clISt17integral_constantIbLb1EES1C_EEDaS17_S18_EUlS17_E_NS1_11comp_targetILNS1_3genE4ELNS1_11target_archE910ELNS1_3gpuE8ELNS1_3repE0EEENS1_30default_config_static_selectorELNS0_4arch9wavefront6targetE1EEEvT1_.uses_flat_scratch, 0
	.set _ZN7rocprim17ROCPRIM_400000_NS6detail17trampoline_kernelINS0_14default_configENS1_25partition_config_selectorILNS1_17partition_subalgoE8ElNS0_10empty_typeEbEEZZNS1_14partition_implILS5_8ELb0ES3_jPlPS6_PKS6_NS0_5tupleIJS9_S6_EEENSD_IJSA_SA_EEENS0_18inequality_wrapperIZN2at6native12_GLOBAL__N_124unique_dim_cuda_templateIaEESt5tupleIJNSH_6TensorESM_SM_EERKSM_lbbbEUlllE0_EEPmJS6_EEE10hipError_tPvRmT3_T4_T5_T6_T7_T9_mT8_P12ihipStream_tbDpT10_ENKUlT_T0_E_clISt17integral_constantIbLb1EES1C_EEDaS17_S18_EUlS17_E_NS1_11comp_targetILNS1_3genE4ELNS1_11target_archE910ELNS1_3gpuE8ELNS1_3repE0EEENS1_30default_config_static_selectorELNS0_4arch9wavefront6targetE1EEEvT1_.has_dyn_sized_stack, 0
	.set _ZN7rocprim17ROCPRIM_400000_NS6detail17trampoline_kernelINS0_14default_configENS1_25partition_config_selectorILNS1_17partition_subalgoE8ElNS0_10empty_typeEbEEZZNS1_14partition_implILS5_8ELb0ES3_jPlPS6_PKS6_NS0_5tupleIJS9_S6_EEENSD_IJSA_SA_EEENS0_18inequality_wrapperIZN2at6native12_GLOBAL__N_124unique_dim_cuda_templateIaEESt5tupleIJNSH_6TensorESM_SM_EERKSM_lbbbEUlllE0_EEPmJS6_EEE10hipError_tPvRmT3_T4_T5_T6_T7_T9_mT8_P12ihipStream_tbDpT10_ENKUlT_T0_E_clISt17integral_constantIbLb1EES1C_EEDaS17_S18_EUlS17_E_NS1_11comp_targetILNS1_3genE4ELNS1_11target_archE910ELNS1_3gpuE8ELNS1_3repE0EEENS1_30default_config_static_selectorELNS0_4arch9wavefront6targetE1EEEvT1_.has_recursion, 0
	.set _ZN7rocprim17ROCPRIM_400000_NS6detail17trampoline_kernelINS0_14default_configENS1_25partition_config_selectorILNS1_17partition_subalgoE8ElNS0_10empty_typeEbEEZZNS1_14partition_implILS5_8ELb0ES3_jPlPS6_PKS6_NS0_5tupleIJS9_S6_EEENSD_IJSA_SA_EEENS0_18inequality_wrapperIZN2at6native12_GLOBAL__N_124unique_dim_cuda_templateIaEESt5tupleIJNSH_6TensorESM_SM_EERKSM_lbbbEUlllE0_EEPmJS6_EEE10hipError_tPvRmT3_T4_T5_T6_T7_T9_mT8_P12ihipStream_tbDpT10_ENKUlT_T0_E_clISt17integral_constantIbLb1EES1C_EEDaS17_S18_EUlS17_E_NS1_11comp_targetILNS1_3genE4ELNS1_11target_archE910ELNS1_3gpuE8ELNS1_3repE0EEENS1_30default_config_static_selectorELNS0_4arch9wavefront6targetE1EEEvT1_.has_indirect_call, 0
	.section	.AMDGPU.csdata,"",@progbits
; Kernel info:
; codeLenInByte = 0
; TotalNumSgprs: 6
; NumVgprs: 0
; NumAgprs: 0
; TotalNumVgprs: 0
; ScratchSize: 0
; MemoryBound: 0
; FloatMode: 240
; IeeeMode: 1
; LDSByteSize: 0 bytes/workgroup (compile time only)
; SGPRBlocks: 0
; VGPRBlocks: 0
; NumSGPRsForWavesPerEU: 6
; NumVGPRsForWavesPerEU: 1
; AccumOffset: 4
; Occupancy: 8
; WaveLimiterHint : 0
; COMPUTE_PGM_RSRC2:SCRATCH_EN: 0
; COMPUTE_PGM_RSRC2:USER_SGPR: 2
; COMPUTE_PGM_RSRC2:TRAP_HANDLER: 0
; COMPUTE_PGM_RSRC2:TGID_X_EN: 1
; COMPUTE_PGM_RSRC2:TGID_Y_EN: 0
; COMPUTE_PGM_RSRC2:TGID_Z_EN: 0
; COMPUTE_PGM_RSRC2:TIDIG_COMP_CNT: 0
; COMPUTE_PGM_RSRC3_GFX90A:ACCUM_OFFSET: 0
; COMPUTE_PGM_RSRC3_GFX90A:TG_SPLIT: 0
	.section	.text._ZN7rocprim17ROCPRIM_400000_NS6detail17trampoline_kernelINS0_14default_configENS1_25partition_config_selectorILNS1_17partition_subalgoE8ElNS0_10empty_typeEbEEZZNS1_14partition_implILS5_8ELb0ES3_jPlPS6_PKS6_NS0_5tupleIJS9_S6_EEENSD_IJSA_SA_EEENS0_18inequality_wrapperIZN2at6native12_GLOBAL__N_124unique_dim_cuda_templateIaEESt5tupleIJNSH_6TensorESM_SM_EERKSM_lbbbEUlllE0_EEPmJS6_EEE10hipError_tPvRmT3_T4_T5_T6_T7_T9_mT8_P12ihipStream_tbDpT10_ENKUlT_T0_E_clISt17integral_constantIbLb1EES1C_EEDaS17_S18_EUlS17_E_NS1_11comp_targetILNS1_3genE3ELNS1_11target_archE908ELNS1_3gpuE7ELNS1_3repE0EEENS1_30default_config_static_selectorELNS0_4arch9wavefront6targetE1EEEvT1_,"axG",@progbits,_ZN7rocprim17ROCPRIM_400000_NS6detail17trampoline_kernelINS0_14default_configENS1_25partition_config_selectorILNS1_17partition_subalgoE8ElNS0_10empty_typeEbEEZZNS1_14partition_implILS5_8ELb0ES3_jPlPS6_PKS6_NS0_5tupleIJS9_S6_EEENSD_IJSA_SA_EEENS0_18inequality_wrapperIZN2at6native12_GLOBAL__N_124unique_dim_cuda_templateIaEESt5tupleIJNSH_6TensorESM_SM_EERKSM_lbbbEUlllE0_EEPmJS6_EEE10hipError_tPvRmT3_T4_T5_T6_T7_T9_mT8_P12ihipStream_tbDpT10_ENKUlT_T0_E_clISt17integral_constantIbLb1EES1C_EEDaS17_S18_EUlS17_E_NS1_11comp_targetILNS1_3genE3ELNS1_11target_archE908ELNS1_3gpuE7ELNS1_3repE0EEENS1_30default_config_static_selectorELNS0_4arch9wavefront6targetE1EEEvT1_,comdat
	.globl	_ZN7rocprim17ROCPRIM_400000_NS6detail17trampoline_kernelINS0_14default_configENS1_25partition_config_selectorILNS1_17partition_subalgoE8ElNS0_10empty_typeEbEEZZNS1_14partition_implILS5_8ELb0ES3_jPlPS6_PKS6_NS0_5tupleIJS9_S6_EEENSD_IJSA_SA_EEENS0_18inequality_wrapperIZN2at6native12_GLOBAL__N_124unique_dim_cuda_templateIaEESt5tupleIJNSH_6TensorESM_SM_EERKSM_lbbbEUlllE0_EEPmJS6_EEE10hipError_tPvRmT3_T4_T5_T6_T7_T9_mT8_P12ihipStream_tbDpT10_ENKUlT_T0_E_clISt17integral_constantIbLb1EES1C_EEDaS17_S18_EUlS17_E_NS1_11comp_targetILNS1_3genE3ELNS1_11target_archE908ELNS1_3gpuE7ELNS1_3repE0EEENS1_30default_config_static_selectorELNS0_4arch9wavefront6targetE1EEEvT1_ ; -- Begin function _ZN7rocprim17ROCPRIM_400000_NS6detail17trampoline_kernelINS0_14default_configENS1_25partition_config_selectorILNS1_17partition_subalgoE8ElNS0_10empty_typeEbEEZZNS1_14partition_implILS5_8ELb0ES3_jPlPS6_PKS6_NS0_5tupleIJS9_S6_EEENSD_IJSA_SA_EEENS0_18inequality_wrapperIZN2at6native12_GLOBAL__N_124unique_dim_cuda_templateIaEESt5tupleIJNSH_6TensorESM_SM_EERKSM_lbbbEUlllE0_EEPmJS6_EEE10hipError_tPvRmT3_T4_T5_T6_T7_T9_mT8_P12ihipStream_tbDpT10_ENKUlT_T0_E_clISt17integral_constantIbLb1EES1C_EEDaS17_S18_EUlS17_E_NS1_11comp_targetILNS1_3genE3ELNS1_11target_archE908ELNS1_3gpuE7ELNS1_3repE0EEENS1_30default_config_static_selectorELNS0_4arch9wavefront6targetE1EEEvT1_
	.p2align	8
	.type	_ZN7rocprim17ROCPRIM_400000_NS6detail17trampoline_kernelINS0_14default_configENS1_25partition_config_selectorILNS1_17partition_subalgoE8ElNS0_10empty_typeEbEEZZNS1_14partition_implILS5_8ELb0ES3_jPlPS6_PKS6_NS0_5tupleIJS9_S6_EEENSD_IJSA_SA_EEENS0_18inequality_wrapperIZN2at6native12_GLOBAL__N_124unique_dim_cuda_templateIaEESt5tupleIJNSH_6TensorESM_SM_EERKSM_lbbbEUlllE0_EEPmJS6_EEE10hipError_tPvRmT3_T4_T5_T6_T7_T9_mT8_P12ihipStream_tbDpT10_ENKUlT_T0_E_clISt17integral_constantIbLb1EES1C_EEDaS17_S18_EUlS17_E_NS1_11comp_targetILNS1_3genE3ELNS1_11target_archE908ELNS1_3gpuE7ELNS1_3repE0EEENS1_30default_config_static_selectorELNS0_4arch9wavefront6targetE1EEEvT1_,@function
_ZN7rocprim17ROCPRIM_400000_NS6detail17trampoline_kernelINS0_14default_configENS1_25partition_config_selectorILNS1_17partition_subalgoE8ElNS0_10empty_typeEbEEZZNS1_14partition_implILS5_8ELb0ES3_jPlPS6_PKS6_NS0_5tupleIJS9_S6_EEENSD_IJSA_SA_EEENS0_18inequality_wrapperIZN2at6native12_GLOBAL__N_124unique_dim_cuda_templateIaEESt5tupleIJNSH_6TensorESM_SM_EERKSM_lbbbEUlllE0_EEPmJS6_EEE10hipError_tPvRmT3_T4_T5_T6_T7_T9_mT8_P12ihipStream_tbDpT10_ENKUlT_T0_E_clISt17integral_constantIbLb1EES1C_EEDaS17_S18_EUlS17_E_NS1_11comp_targetILNS1_3genE3ELNS1_11target_archE908ELNS1_3gpuE7ELNS1_3repE0EEENS1_30default_config_static_selectorELNS0_4arch9wavefront6targetE1EEEvT1_: ; @_ZN7rocprim17ROCPRIM_400000_NS6detail17trampoline_kernelINS0_14default_configENS1_25partition_config_selectorILNS1_17partition_subalgoE8ElNS0_10empty_typeEbEEZZNS1_14partition_implILS5_8ELb0ES3_jPlPS6_PKS6_NS0_5tupleIJS9_S6_EEENSD_IJSA_SA_EEENS0_18inequality_wrapperIZN2at6native12_GLOBAL__N_124unique_dim_cuda_templateIaEESt5tupleIJNSH_6TensorESM_SM_EERKSM_lbbbEUlllE0_EEPmJS6_EEE10hipError_tPvRmT3_T4_T5_T6_T7_T9_mT8_P12ihipStream_tbDpT10_ENKUlT_T0_E_clISt17integral_constantIbLb1EES1C_EEDaS17_S18_EUlS17_E_NS1_11comp_targetILNS1_3genE3ELNS1_11target_archE908ELNS1_3gpuE7ELNS1_3repE0EEENS1_30default_config_static_selectorELNS0_4arch9wavefront6targetE1EEEvT1_
; %bb.0:
	.section	.rodata,"a",@progbits
	.p2align	6, 0x0
	.amdhsa_kernel _ZN7rocprim17ROCPRIM_400000_NS6detail17trampoline_kernelINS0_14default_configENS1_25partition_config_selectorILNS1_17partition_subalgoE8ElNS0_10empty_typeEbEEZZNS1_14partition_implILS5_8ELb0ES3_jPlPS6_PKS6_NS0_5tupleIJS9_S6_EEENSD_IJSA_SA_EEENS0_18inequality_wrapperIZN2at6native12_GLOBAL__N_124unique_dim_cuda_templateIaEESt5tupleIJNSH_6TensorESM_SM_EERKSM_lbbbEUlllE0_EEPmJS6_EEE10hipError_tPvRmT3_T4_T5_T6_T7_T9_mT8_P12ihipStream_tbDpT10_ENKUlT_T0_E_clISt17integral_constantIbLb1EES1C_EEDaS17_S18_EUlS17_E_NS1_11comp_targetILNS1_3genE3ELNS1_11target_archE908ELNS1_3gpuE7ELNS1_3repE0EEENS1_30default_config_static_selectorELNS0_4arch9wavefront6targetE1EEEvT1_
		.amdhsa_group_segment_fixed_size 0
		.amdhsa_private_segment_fixed_size 0
		.amdhsa_kernarg_size 136
		.amdhsa_user_sgpr_count 2
		.amdhsa_user_sgpr_dispatch_ptr 0
		.amdhsa_user_sgpr_queue_ptr 0
		.amdhsa_user_sgpr_kernarg_segment_ptr 1
		.amdhsa_user_sgpr_dispatch_id 0
		.amdhsa_user_sgpr_kernarg_preload_length 0
		.amdhsa_user_sgpr_kernarg_preload_offset 0
		.amdhsa_user_sgpr_private_segment_size 0
		.amdhsa_uses_dynamic_stack 0
		.amdhsa_enable_private_segment 0
		.amdhsa_system_sgpr_workgroup_id_x 1
		.amdhsa_system_sgpr_workgroup_id_y 0
		.amdhsa_system_sgpr_workgroup_id_z 0
		.amdhsa_system_sgpr_workgroup_info 0
		.amdhsa_system_vgpr_workitem_id 0
		.amdhsa_next_free_vgpr 1
		.amdhsa_next_free_sgpr 0
		.amdhsa_accum_offset 4
		.amdhsa_reserve_vcc 0
		.amdhsa_float_round_mode_32 0
		.amdhsa_float_round_mode_16_64 0
		.amdhsa_float_denorm_mode_32 3
		.amdhsa_float_denorm_mode_16_64 3
		.amdhsa_dx10_clamp 1
		.amdhsa_ieee_mode 1
		.amdhsa_fp16_overflow 0
		.amdhsa_tg_split 0
		.amdhsa_exception_fp_ieee_invalid_op 0
		.amdhsa_exception_fp_denorm_src 0
		.amdhsa_exception_fp_ieee_div_zero 0
		.amdhsa_exception_fp_ieee_overflow 0
		.amdhsa_exception_fp_ieee_underflow 0
		.amdhsa_exception_fp_ieee_inexact 0
		.amdhsa_exception_int_div_zero 0
	.end_amdhsa_kernel
	.section	.text._ZN7rocprim17ROCPRIM_400000_NS6detail17trampoline_kernelINS0_14default_configENS1_25partition_config_selectorILNS1_17partition_subalgoE8ElNS0_10empty_typeEbEEZZNS1_14partition_implILS5_8ELb0ES3_jPlPS6_PKS6_NS0_5tupleIJS9_S6_EEENSD_IJSA_SA_EEENS0_18inequality_wrapperIZN2at6native12_GLOBAL__N_124unique_dim_cuda_templateIaEESt5tupleIJNSH_6TensorESM_SM_EERKSM_lbbbEUlllE0_EEPmJS6_EEE10hipError_tPvRmT3_T4_T5_T6_T7_T9_mT8_P12ihipStream_tbDpT10_ENKUlT_T0_E_clISt17integral_constantIbLb1EES1C_EEDaS17_S18_EUlS17_E_NS1_11comp_targetILNS1_3genE3ELNS1_11target_archE908ELNS1_3gpuE7ELNS1_3repE0EEENS1_30default_config_static_selectorELNS0_4arch9wavefront6targetE1EEEvT1_,"axG",@progbits,_ZN7rocprim17ROCPRIM_400000_NS6detail17trampoline_kernelINS0_14default_configENS1_25partition_config_selectorILNS1_17partition_subalgoE8ElNS0_10empty_typeEbEEZZNS1_14partition_implILS5_8ELb0ES3_jPlPS6_PKS6_NS0_5tupleIJS9_S6_EEENSD_IJSA_SA_EEENS0_18inequality_wrapperIZN2at6native12_GLOBAL__N_124unique_dim_cuda_templateIaEESt5tupleIJNSH_6TensorESM_SM_EERKSM_lbbbEUlllE0_EEPmJS6_EEE10hipError_tPvRmT3_T4_T5_T6_T7_T9_mT8_P12ihipStream_tbDpT10_ENKUlT_T0_E_clISt17integral_constantIbLb1EES1C_EEDaS17_S18_EUlS17_E_NS1_11comp_targetILNS1_3genE3ELNS1_11target_archE908ELNS1_3gpuE7ELNS1_3repE0EEENS1_30default_config_static_selectorELNS0_4arch9wavefront6targetE1EEEvT1_,comdat
.Lfunc_end330:
	.size	_ZN7rocprim17ROCPRIM_400000_NS6detail17trampoline_kernelINS0_14default_configENS1_25partition_config_selectorILNS1_17partition_subalgoE8ElNS0_10empty_typeEbEEZZNS1_14partition_implILS5_8ELb0ES3_jPlPS6_PKS6_NS0_5tupleIJS9_S6_EEENSD_IJSA_SA_EEENS0_18inequality_wrapperIZN2at6native12_GLOBAL__N_124unique_dim_cuda_templateIaEESt5tupleIJNSH_6TensorESM_SM_EERKSM_lbbbEUlllE0_EEPmJS6_EEE10hipError_tPvRmT3_T4_T5_T6_T7_T9_mT8_P12ihipStream_tbDpT10_ENKUlT_T0_E_clISt17integral_constantIbLb1EES1C_EEDaS17_S18_EUlS17_E_NS1_11comp_targetILNS1_3genE3ELNS1_11target_archE908ELNS1_3gpuE7ELNS1_3repE0EEENS1_30default_config_static_selectorELNS0_4arch9wavefront6targetE1EEEvT1_, .Lfunc_end330-_ZN7rocprim17ROCPRIM_400000_NS6detail17trampoline_kernelINS0_14default_configENS1_25partition_config_selectorILNS1_17partition_subalgoE8ElNS0_10empty_typeEbEEZZNS1_14partition_implILS5_8ELb0ES3_jPlPS6_PKS6_NS0_5tupleIJS9_S6_EEENSD_IJSA_SA_EEENS0_18inequality_wrapperIZN2at6native12_GLOBAL__N_124unique_dim_cuda_templateIaEESt5tupleIJNSH_6TensorESM_SM_EERKSM_lbbbEUlllE0_EEPmJS6_EEE10hipError_tPvRmT3_T4_T5_T6_T7_T9_mT8_P12ihipStream_tbDpT10_ENKUlT_T0_E_clISt17integral_constantIbLb1EES1C_EEDaS17_S18_EUlS17_E_NS1_11comp_targetILNS1_3genE3ELNS1_11target_archE908ELNS1_3gpuE7ELNS1_3repE0EEENS1_30default_config_static_selectorELNS0_4arch9wavefront6targetE1EEEvT1_
                                        ; -- End function
	.set _ZN7rocprim17ROCPRIM_400000_NS6detail17trampoline_kernelINS0_14default_configENS1_25partition_config_selectorILNS1_17partition_subalgoE8ElNS0_10empty_typeEbEEZZNS1_14partition_implILS5_8ELb0ES3_jPlPS6_PKS6_NS0_5tupleIJS9_S6_EEENSD_IJSA_SA_EEENS0_18inequality_wrapperIZN2at6native12_GLOBAL__N_124unique_dim_cuda_templateIaEESt5tupleIJNSH_6TensorESM_SM_EERKSM_lbbbEUlllE0_EEPmJS6_EEE10hipError_tPvRmT3_T4_T5_T6_T7_T9_mT8_P12ihipStream_tbDpT10_ENKUlT_T0_E_clISt17integral_constantIbLb1EES1C_EEDaS17_S18_EUlS17_E_NS1_11comp_targetILNS1_3genE3ELNS1_11target_archE908ELNS1_3gpuE7ELNS1_3repE0EEENS1_30default_config_static_selectorELNS0_4arch9wavefront6targetE1EEEvT1_.num_vgpr, 0
	.set _ZN7rocprim17ROCPRIM_400000_NS6detail17trampoline_kernelINS0_14default_configENS1_25partition_config_selectorILNS1_17partition_subalgoE8ElNS0_10empty_typeEbEEZZNS1_14partition_implILS5_8ELb0ES3_jPlPS6_PKS6_NS0_5tupleIJS9_S6_EEENSD_IJSA_SA_EEENS0_18inequality_wrapperIZN2at6native12_GLOBAL__N_124unique_dim_cuda_templateIaEESt5tupleIJNSH_6TensorESM_SM_EERKSM_lbbbEUlllE0_EEPmJS6_EEE10hipError_tPvRmT3_T4_T5_T6_T7_T9_mT8_P12ihipStream_tbDpT10_ENKUlT_T0_E_clISt17integral_constantIbLb1EES1C_EEDaS17_S18_EUlS17_E_NS1_11comp_targetILNS1_3genE3ELNS1_11target_archE908ELNS1_3gpuE7ELNS1_3repE0EEENS1_30default_config_static_selectorELNS0_4arch9wavefront6targetE1EEEvT1_.num_agpr, 0
	.set _ZN7rocprim17ROCPRIM_400000_NS6detail17trampoline_kernelINS0_14default_configENS1_25partition_config_selectorILNS1_17partition_subalgoE8ElNS0_10empty_typeEbEEZZNS1_14partition_implILS5_8ELb0ES3_jPlPS6_PKS6_NS0_5tupleIJS9_S6_EEENSD_IJSA_SA_EEENS0_18inequality_wrapperIZN2at6native12_GLOBAL__N_124unique_dim_cuda_templateIaEESt5tupleIJNSH_6TensorESM_SM_EERKSM_lbbbEUlllE0_EEPmJS6_EEE10hipError_tPvRmT3_T4_T5_T6_T7_T9_mT8_P12ihipStream_tbDpT10_ENKUlT_T0_E_clISt17integral_constantIbLb1EES1C_EEDaS17_S18_EUlS17_E_NS1_11comp_targetILNS1_3genE3ELNS1_11target_archE908ELNS1_3gpuE7ELNS1_3repE0EEENS1_30default_config_static_selectorELNS0_4arch9wavefront6targetE1EEEvT1_.numbered_sgpr, 0
	.set _ZN7rocprim17ROCPRIM_400000_NS6detail17trampoline_kernelINS0_14default_configENS1_25partition_config_selectorILNS1_17partition_subalgoE8ElNS0_10empty_typeEbEEZZNS1_14partition_implILS5_8ELb0ES3_jPlPS6_PKS6_NS0_5tupleIJS9_S6_EEENSD_IJSA_SA_EEENS0_18inequality_wrapperIZN2at6native12_GLOBAL__N_124unique_dim_cuda_templateIaEESt5tupleIJNSH_6TensorESM_SM_EERKSM_lbbbEUlllE0_EEPmJS6_EEE10hipError_tPvRmT3_T4_T5_T6_T7_T9_mT8_P12ihipStream_tbDpT10_ENKUlT_T0_E_clISt17integral_constantIbLb1EES1C_EEDaS17_S18_EUlS17_E_NS1_11comp_targetILNS1_3genE3ELNS1_11target_archE908ELNS1_3gpuE7ELNS1_3repE0EEENS1_30default_config_static_selectorELNS0_4arch9wavefront6targetE1EEEvT1_.num_named_barrier, 0
	.set _ZN7rocprim17ROCPRIM_400000_NS6detail17trampoline_kernelINS0_14default_configENS1_25partition_config_selectorILNS1_17partition_subalgoE8ElNS0_10empty_typeEbEEZZNS1_14partition_implILS5_8ELb0ES3_jPlPS6_PKS6_NS0_5tupleIJS9_S6_EEENSD_IJSA_SA_EEENS0_18inequality_wrapperIZN2at6native12_GLOBAL__N_124unique_dim_cuda_templateIaEESt5tupleIJNSH_6TensorESM_SM_EERKSM_lbbbEUlllE0_EEPmJS6_EEE10hipError_tPvRmT3_T4_T5_T6_T7_T9_mT8_P12ihipStream_tbDpT10_ENKUlT_T0_E_clISt17integral_constantIbLb1EES1C_EEDaS17_S18_EUlS17_E_NS1_11comp_targetILNS1_3genE3ELNS1_11target_archE908ELNS1_3gpuE7ELNS1_3repE0EEENS1_30default_config_static_selectorELNS0_4arch9wavefront6targetE1EEEvT1_.private_seg_size, 0
	.set _ZN7rocprim17ROCPRIM_400000_NS6detail17trampoline_kernelINS0_14default_configENS1_25partition_config_selectorILNS1_17partition_subalgoE8ElNS0_10empty_typeEbEEZZNS1_14partition_implILS5_8ELb0ES3_jPlPS6_PKS6_NS0_5tupleIJS9_S6_EEENSD_IJSA_SA_EEENS0_18inequality_wrapperIZN2at6native12_GLOBAL__N_124unique_dim_cuda_templateIaEESt5tupleIJNSH_6TensorESM_SM_EERKSM_lbbbEUlllE0_EEPmJS6_EEE10hipError_tPvRmT3_T4_T5_T6_T7_T9_mT8_P12ihipStream_tbDpT10_ENKUlT_T0_E_clISt17integral_constantIbLb1EES1C_EEDaS17_S18_EUlS17_E_NS1_11comp_targetILNS1_3genE3ELNS1_11target_archE908ELNS1_3gpuE7ELNS1_3repE0EEENS1_30default_config_static_selectorELNS0_4arch9wavefront6targetE1EEEvT1_.uses_vcc, 0
	.set _ZN7rocprim17ROCPRIM_400000_NS6detail17trampoline_kernelINS0_14default_configENS1_25partition_config_selectorILNS1_17partition_subalgoE8ElNS0_10empty_typeEbEEZZNS1_14partition_implILS5_8ELb0ES3_jPlPS6_PKS6_NS0_5tupleIJS9_S6_EEENSD_IJSA_SA_EEENS0_18inequality_wrapperIZN2at6native12_GLOBAL__N_124unique_dim_cuda_templateIaEESt5tupleIJNSH_6TensorESM_SM_EERKSM_lbbbEUlllE0_EEPmJS6_EEE10hipError_tPvRmT3_T4_T5_T6_T7_T9_mT8_P12ihipStream_tbDpT10_ENKUlT_T0_E_clISt17integral_constantIbLb1EES1C_EEDaS17_S18_EUlS17_E_NS1_11comp_targetILNS1_3genE3ELNS1_11target_archE908ELNS1_3gpuE7ELNS1_3repE0EEENS1_30default_config_static_selectorELNS0_4arch9wavefront6targetE1EEEvT1_.uses_flat_scratch, 0
	.set _ZN7rocprim17ROCPRIM_400000_NS6detail17trampoline_kernelINS0_14default_configENS1_25partition_config_selectorILNS1_17partition_subalgoE8ElNS0_10empty_typeEbEEZZNS1_14partition_implILS5_8ELb0ES3_jPlPS6_PKS6_NS0_5tupleIJS9_S6_EEENSD_IJSA_SA_EEENS0_18inequality_wrapperIZN2at6native12_GLOBAL__N_124unique_dim_cuda_templateIaEESt5tupleIJNSH_6TensorESM_SM_EERKSM_lbbbEUlllE0_EEPmJS6_EEE10hipError_tPvRmT3_T4_T5_T6_T7_T9_mT8_P12ihipStream_tbDpT10_ENKUlT_T0_E_clISt17integral_constantIbLb1EES1C_EEDaS17_S18_EUlS17_E_NS1_11comp_targetILNS1_3genE3ELNS1_11target_archE908ELNS1_3gpuE7ELNS1_3repE0EEENS1_30default_config_static_selectorELNS0_4arch9wavefront6targetE1EEEvT1_.has_dyn_sized_stack, 0
	.set _ZN7rocprim17ROCPRIM_400000_NS6detail17trampoline_kernelINS0_14default_configENS1_25partition_config_selectorILNS1_17partition_subalgoE8ElNS0_10empty_typeEbEEZZNS1_14partition_implILS5_8ELb0ES3_jPlPS6_PKS6_NS0_5tupleIJS9_S6_EEENSD_IJSA_SA_EEENS0_18inequality_wrapperIZN2at6native12_GLOBAL__N_124unique_dim_cuda_templateIaEESt5tupleIJNSH_6TensorESM_SM_EERKSM_lbbbEUlllE0_EEPmJS6_EEE10hipError_tPvRmT3_T4_T5_T6_T7_T9_mT8_P12ihipStream_tbDpT10_ENKUlT_T0_E_clISt17integral_constantIbLb1EES1C_EEDaS17_S18_EUlS17_E_NS1_11comp_targetILNS1_3genE3ELNS1_11target_archE908ELNS1_3gpuE7ELNS1_3repE0EEENS1_30default_config_static_selectorELNS0_4arch9wavefront6targetE1EEEvT1_.has_recursion, 0
	.set _ZN7rocprim17ROCPRIM_400000_NS6detail17trampoline_kernelINS0_14default_configENS1_25partition_config_selectorILNS1_17partition_subalgoE8ElNS0_10empty_typeEbEEZZNS1_14partition_implILS5_8ELb0ES3_jPlPS6_PKS6_NS0_5tupleIJS9_S6_EEENSD_IJSA_SA_EEENS0_18inequality_wrapperIZN2at6native12_GLOBAL__N_124unique_dim_cuda_templateIaEESt5tupleIJNSH_6TensorESM_SM_EERKSM_lbbbEUlllE0_EEPmJS6_EEE10hipError_tPvRmT3_T4_T5_T6_T7_T9_mT8_P12ihipStream_tbDpT10_ENKUlT_T0_E_clISt17integral_constantIbLb1EES1C_EEDaS17_S18_EUlS17_E_NS1_11comp_targetILNS1_3genE3ELNS1_11target_archE908ELNS1_3gpuE7ELNS1_3repE0EEENS1_30default_config_static_selectorELNS0_4arch9wavefront6targetE1EEEvT1_.has_indirect_call, 0
	.section	.AMDGPU.csdata,"",@progbits
; Kernel info:
; codeLenInByte = 0
; TotalNumSgprs: 6
; NumVgprs: 0
; NumAgprs: 0
; TotalNumVgprs: 0
; ScratchSize: 0
; MemoryBound: 0
; FloatMode: 240
; IeeeMode: 1
; LDSByteSize: 0 bytes/workgroup (compile time only)
; SGPRBlocks: 0
; VGPRBlocks: 0
; NumSGPRsForWavesPerEU: 6
; NumVGPRsForWavesPerEU: 1
; AccumOffset: 4
; Occupancy: 8
; WaveLimiterHint : 0
; COMPUTE_PGM_RSRC2:SCRATCH_EN: 0
; COMPUTE_PGM_RSRC2:USER_SGPR: 2
; COMPUTE_PGM_RSRC2:TRAP_HANDLER: 0
; COMPUTE_PGM_RSRC2:TGID_X_EN: 1
; COMPUTE_PGM_RSRC2:TGID_Y_EN: 0
; COMPUTE_PGM_RSRC2:TGID_Z_EN: 0
; COMPUTE_PGM_RSRC2:TIDIG_COMP_CNT: 0
; COMPUTE_PGM_RSRC3_GFX90A:ACCUM_OFFSET: 0
; COMPUTE_PGM_RSRC3_GFX90A:TG_SPLIT: 0
	.section	.text._ZN7rocprim17ROCPRIM_400000_NS6detail17trampoline_kernelINS0_14default_configENS1_25partition_config_selectorILNS1_17partition_subalgoE8ElNS0_10empty_typeEbEEZZNS1_14partition_implILS5_8ELb0ES3_jPlPS6_PKS6_NS0_5tupleIJS9_S6_EEENSD_IJSA_SA_EEENS0_18inequality_wrapperIZN2at6native12_GLOBAL__N_124unique_dim_cuda_templateIaEESt5tupleIJNSH_6TensorESM_SM_EERKSM_lbbbEUlllE0_EEPmJS6_EEE10hipError_tPvRmT3_T4_T5_T6_T7_T9_mT8_P12ihipStream_tbDpT10_ENKUlT_T0_E_clISt17integral_constantIbLb1EES1C_EEDaS17_S18_EUlS17_E_NS1_11comp_targetILNS1_3genE2ELNS1_11target_archE906ELNS1_3gpuE6ELNS1_3repE0EEENS1_30default_config_static_selectorELNS0_4arch9wavefront6targetE1EEEvT1_,"axG",@progbits,_ZN7rocprim17ROCPRIM_400000_NS6detail17trampoline_kernelINS0_14default_configENS1_25partition_config_selectorILNS1_17partition_subalgoE8ElNS0_10empty_typeEbEEZZNS1_14partition_implILS5_8ELb0ES3_jPlPS6_PKS6_NS0_5tupleIJS9_S6_EEENSD_IJSA_SA_EEENS0_18inequality_wrapperIZN2at6native12_GLOBAL__N_124unique_dim_cuda_templateIaEESt5tupleIJNSH_6TensorESM_SM_EERKSM_lbbbEUlllE0_EEPmJS6_EEE10hipError_tPvRmT3_T4_T5_T6_T7_T9_mT8_P12ihipStream_tbDpT10_ENKUlT_T0_E_clISt17integral_constantIbLb1EES1C_EEDaS17_S18_EUlS17_E_NS1_11comp_targetILNS1_3genE2ELNS1_11target_archE906ELNS1_3gpuE6ELNS1_3repE0EEENS1_30default_config_static_selectorELNS0_4arch9wavefront6targetE1EEEvT1_,comdat
	.globl	_ZN7rocprim17ROCPRIM_400000_NS6detail17trampoline_kernelINS0_14default_configENS1_25partition_config_selectorILNS1_17partition_subalgoE8ElNS0_10empty_typeEbEEZZNS1_14partition_implILS5_8ELb0ES3_jPlPS6_PKS6_NS0_5tupleIJS9_S6_EEENSD_IJSA_SA_EEENS0_18inequality_wrapperIZN2at6native12_GLOBAL__N_124unique_dim_cuda_templateIaEESt5tupleIJNSH_6TensorESM_SM_EERKSM_lbbbEUlllE0_EEPmJS6_EEE10hipError_tPvRmT3_T4_T5_T6_T7_T9_mT8_P12ihipStream_tbDpT10_ENKUlT_T0_E_clISt17integral_constantIbLb1EES1C_EEDaS17_S18_EUlS17_E_NS1_11comp_targetILNS1_3genE2ELNS1_11target_archE906ELNS1_3gpuE6ELNS1_3repE0EEENS1_30default_config_static_selectorELNS0_4arch9wavefront6targetE1EEEvT1_ ; -- Begin function _ZN7rocprim17ROCPRIM_400000_NS6detail17trampoline_kernelINS0_14default_configENS1_25partition_config_selectorILNS1_17partition_subalgoE8ElNS0_10empty_typeEbEEZZNS1_14partition_implILS5_8ELb0ES3_jPlPS6_PKS6_NS0_5tupleIJS9_S6_EEENSD_IJSA_SA_EEENS0_18inequality_wrapperIZN2at6native12_GLOBAL__N_124unique_dim_cuda_templateIaEESt5tupleIJNSH_6TensorESM_SM_EERKSM_lbbbEUlllE0_EEPmJS6_EEE10hipError_tPvRmT3_T4_T5_T6_T7_T9_mT8_P12ihipStream_tbDpT10_ENKUlT_T0_E_clISt17integral_constantIbLb1EES1C_EEDaS17_S18_EUlS17_E_NS1_11comp_targetILNS1_3genE2ELNS1_11target_archE906ELNS1_3gpuE6ELNS1_3repE0EEENS1_30default_config_static_selectorELNS0_4arch9wavefront6targetE1EEEvT1_
	.p2align	8
	.type	_ZN7rocprim17ROCPRIM_400000_NS6detail17trampoline_kernelINS0_14default_configENS1_25partition_config_selectorILNS1_17partition_subalgoE8ElNS0_10empty_typeEbEEZZNS1_14partition_implILS5_8ELb0ES3_jPlPS6_PKS6_NS0_5tupleIJS9_S6_EEENSD_IJSA_SA_EEENS0_18inequality_wrapperIZN2at6native12_GLOBAL__N_124unique_dim_cuda_templateIaEESt5tupleIJNSH_6TensorESM_SM_EERKSM_lbbbEUlllE0_EEPmJS6_EEE10hipError_tPvRmT3_T4_T5_T6_T7_T9_mT8_P12ihipStream_tbDpT10_ENKUlT_T0_E_clISt17integral_constantIbLb1EES1C_EEDaS17_S18_EUlS17_E_NS1_11comp_targetILNS1_3genE2ELNS1_11target_archE906ELNS1_3gpuE6ELNS1_3repE0EEENS1_30default_config_static_selectorELNS0_4arch9wavefront6targetE1EEEvT1_,@function
_ZN7rocprim17ROCPRIM_400000_NS6detail17trampoline_kernelINS0_14default_configENS1_25partition_config_selectorILNS1_17partition_subalgoE8ElNS0_10empty_typeEbEEZZNS1_14partition_implILS5_8ELb0ES3_jPlPS6_PKS6_NS0_5tupleIJS9_S6_EEENSD_IJSA_SA_EEENS0_18inequality_wrapperIZN2at6native12_GLOBAL__N_124unique_dim_cuda_templateIaEESt5tupleIJNSH_6TensorESM_SM_EERKSM_lbbbEUlllE0_EEPmJS6_EEE10hipError_tPvRmT3_T4_T5_T6_T7_T9_mT8_P12ihipStream_tbDpT10_ENKUlT_T0_E_clISt17integral_constantIbLb1EES1C_EEDaS17_S18_EUlS17_E_NS1_11comp_targetILNS1_3genE2ELNS1_11target_archE906ELNS1_3gpuE6ELNS1_3repE0EEENS1_30default_config_static_selectorELNS0_4arch9wavefront6targetE1EEEvT1_: ; @_ZN7rocprim17ROCPRIM_400000_NS6detail17trampoline_kernelINS0_14default_configENS1_25partition_config_selectorILNS1_17partition_subalgoE8ElNS0_10empty_typeEbEEZZNS1_14partition_implILS5_8ELb0ES3_jPlPS6_PKS6_NS0_5tupleIJS9_S6_EEENSD_IJSA_SA_EEENS0_18inequality_wrapperIZN2at6native12_GLOBAL__N_124unique_dim_cuda_templateIaEESt5tupleIJNSH_6TensorESM_SM_EERKSM_lbbbEUlllE0_EEPmJS6_EEE10hipError_tPvRmT3_T4_T5_T6_T7_T9_mT8_P12ihipStream_tbDpT10_ENKUlT_T0_E_clISt17integral_constantIbLb1EES1C_EEDaS17_S18_EUlS17_E_NS1_11comp_targetILNS1_3genE2ELNS1_11target_archE906ELNS1_3gpuE6ELNS1_3repE0EEENS1_30default_config_static_selectorELNS0_4arch9wavefront6targetE1EEEvT1_
; %bb.0:
	.section	.rodata,"a",@progbits
	.p2align	6, 0x0
	.amdhsa_kernel _ZN7rocprim17ROCPRIM_400000_NS6detail17trampoline_kernelINS0_14default_configENS1_25partition_config_selectorILNS1_17partition_subalgoE8ElNS0_10empty_typeEbEEZZNS1_14partition_implILS5_8ELb0ES3_jPlPS6_PKS6_NS0_5tupleIJS9_S6_EEENSD_IJSA_SA_EEENS0_18inequality_wrapperIZN2at6native12_GLOBAL__N_124unique_dim_cuda_templateIaEESt5tupleIJNSH_6TensorESM_SM_EERKSM_lbbbEUlllE0_EEPmJS6_EEE10hipError_tPvRmT3_T4_T5_T6_T7_T9_mT8_P12ihipStream_tbDpT10_ENKUlT_T0_E_clISt17integral_constantIbLb1EES1C_EEDaS17_S18_EUlS17_E_NS1_11comp_targetILNS1_3genE2ELNS1_11target_archE906ELNS1_3gpuE6ELNS1_3repE0EEENS1_30default_config_static_selectorELNS0_4arch9wavefront6targetE1EEEvT1_
		.amdhsa_group_segment_fixed_size 0
		.amdhsa_private_segment_fixed_size 0
		.amdhsa_kernarg_size 136
		.amdhsa_user_sgpr_count 2
		.amdhsa_user_sgpr_dispatch_ptr 0
		.amdhsa_user_sgpr_queue_ptr 0
		.amdhsa_user_sgpr_kernarg_segment_ptr 1
		.amdhsa_user_sgpr_dispatch_id 0
		.amdhsa_user_sgpr_kernarg_preload_length 0
		.amdhsa_user_sgpr_kernarg_preload_offset 0
		.amdhsa_user_sgpr_private_segment_size 0
		.amdhsa_uses_dynamic_stack 0
		.amdhsa_enable_private_segment 0
		.amdhsa_system_sgpr_workgroup_id_x 1
		.amdhsa_system_sgpr_workgroup_id_y 0
		.amdhsa_system_sgpr_workgroup_id_z 0
		.amdhsa_system_sgpr_workgroup_info 0
		.amdhsa_system_vgpr_workitem_id 0
		.amdhsa_next_free_vgpr 1
		.amdhsa_next_free_sgpr 0
		.amdhsa_accum_offset 4
		.amdhsa_reserve_vcc 0
		.amdhsa_float_round_mode_32 0
		.amdhsa_float_round_mode_16_64 0
		.amdhsa_float_denorm_mode_32 3
		.amdhsa_float_denorm_mode_16_64 3
		.amdhsa_dx10_clamp 1
		.amdhsa_ieee_mode 1
		.amdhsa_fp16_overflow 0
		.amdhsa_tg_split 0
		.amdhsa_exception_fp_ieee_invalid_op 0
		.amdhsa_exception_fp_denorm_src 0
		.amdhsa_exception_fp_ieee_div_zero 0
		.amdhsa_exception_fp_ieee_overflow 0
		.amdhsa_exception_fp_ieee_underflow 0
		.amdhsa_exception_fp_ieee_inexact 0
		.amdhsa_exception_int_div_zero 0
	.end_amdhsa_kernel
	.section	.text._ZN7rocprim17ROCPRIM_400000_NS6detail17trampoline_kernelINS0_14default_configENS1_25partition_config_selectorILNS1_17partition_subalgoE8ElNS0_10empty_typeEbEEZZNS1_14partition_implILS5_8ELb0ES3_jPlPS6_PKS6_NS0_5tupleIJS9_S6_EEENSD_IJSA_SA_EEENS0_18inequality_wrapperIZN2at6native12_GLOBAL__N_124unique_dim_cuda_templateIaEESt5tupleIJNSH_6TensorESM_SM_EERKSM_lbbbEUlllE0_EEPmJS6_EEE10hipError_tPvRmT3_T4_T5_T6_T7_T9_mT8_P12ihipStream_tbDpT10_ENKUlT_T0_E_clISt17integral_constantIbLb1EES1C_EEDaS17_S18_EUlS17_E_NS1_11comp_targetILNS1_3genE2ELNS1_11target_archE906ELNS1_3gpuE6ELNS1_3repE0EEENS1_30default_config_static_selectorELNS0_4arch9wavefront6targetE1EEEvT1_,"axG",@progbits,_ZN7rocprim17ROCPRIM_400000_NS6detail17trampoline_kernelINS0_14default_configENS1_25partition_config_selectorILNS1_17partition_subalgoE8ElNS0_10empty_typeEbEEZZNS1_14partition_implILS5_8ELb0ES3_jPlPS6_PKS6_NS0_5tupleIJS9_S6_EEENSD_IJSA_SA_EEENS0_18inequality_wrapperIZN2at6native12_GLOBAL__N_124unique_dim_cuda_templateIaEESt5tupleIJNSH_6TensorESM_SM_EERKSM_lbbbEUlllE0_EEPmJS6_EEE10hipError_tPvRmT3_T4_T5_T6_T7_T9_mT8_P12ihipStream_tbDpT10_ENKUlT_T0_E_clISt17integral_constantIbLb1EES1C_EEDaS17_S18_EUlS17_E_NS1_11comp_targetILNS1_3genE2ELNS1_11target_archE906ELNS1_3gpuE6ELNS1_3repE0EEENS1_30default_config_static_selectorELNS0_4arch9wavefront6targetE1EEEvT1_,comdat
.Lfunc_end331:
	.size	_ZN7rocprim17ROCPRIM_400000_NS6detail17trampoline_kernelINS0_14default_configENS1_25partition_config_selectorILNS1_17partition_subalgoE8ElNS0_10empty_typeEbEEZZNS1_14partition_implILS5_8ELb0ES3_jPlPS6_PKS6_NS0_5tupleIJS9_S6_EEENSD_IJSA_SA_EEENS0_18inequality_wrapperIZN2at6native12_GLOBAL__N_124unique_dim_cuda_templateIaEESt5tupleIJNSH_6TensorESM_SM_EERKSM_lbbbEUlllE0_EEPmJS6_EEE10hipError_tPvRmT3_T4_T5_T6_T7_T9_mT8_P12ihipStream_tbDpT10_ENKUlT_T0_E_clISt17integral_constantIbLb1EES1C_EEDaS17_S18_EUlS17_E_NS1_11comp_targetILNS1_3genE2ELNS1_11target_archE906ELNS1_3gpuE6ELNS1_3repE0EEENS1_30default_config_static_selectorELNS0_4arch9wavefront6targetE1EEEvT1_, .Lfunc_end331-_ZN7rocprim17ROCPRIM_400000_NS6detail17trampoline_kernelINS0_14default_configENS1_25partition_config_selectorILNS1_17partition_subalgoE8ElNS0_10empty_typeEbEEZZNS1_14partition_implILS5_8ELb0ES3_jPlPS6_PKS6_NS0_5tupleIJS9_S6_EEENSD_IJSA_SA_EEENS0_18inequality_wrapperIZN2at6native12_GLOBAL__N_124unique_dim_cuda_templateIaEESt5tupleIJNSH_6TensorESM_SM_EERKSM_lbbbEUlllE0_EEPmJS6_EEE10hipError_tPvRmT3_T4_T5_T6_T7_T9_mT8_P12ihipStream_tbDpT10_ENKUlT_T0_E_clISt17integral_constantIbLb1EES1C_EEDaS17_S18_EUlS17_E_NS1_11comp_targetILNS1_3genE2ELNS1_11target_archE906ELNS1_3gpuE6ELNS1_3repE0EEENS1_30default_config_static_selectorELNS0_4arch9wavefront6targetE1EEEvT1_
                                        ; -- End function
	.set _ZN7rocprim17ROCPRIM_400000_NS6detail17trampoline_kernelINS0_14default_configENS1_25partition_config_selectorILNS1_17partition_subalgoE8ElNS0_10empty_typeEbEEZZNS1_14partition_implILS5_8ELb0ES3_jPlPS6_PKS6_NS0_5tupleIJS9_S6_EEENSD_IJSA_SA_EEENS0_18inequality_wrapperIZN2at6native12_GLOBAL__N_124unique_dim_cuda_templateIaEESt5tupleIJNSH_6TensorESM_SM_EERKSM_lbbbEUlllE0_EEPmJS6_EEE10hipError_tPvRmT3_T4_T5_T6_T7_T9_mT8_P12ihipStream_tbDpT10_ENKUlT_T0_E_clISt17integral_constantIbLb1EES1C_EEDaS17_S18_EUlS17_E_NS1_11comp_targetILNS1_3genE2ELNS1_11target_archE906ELNS1_3gpuE6ELNS1_3repE0EEENS1_30default_config_static_selectorELNS0_4arch9wavefront6targetE1EEEvT1_.num_vgpr, 0
	.set _ZN7rocprim17ROCPRIM_400000_NS6detail17trampoline_kernelINS0_14default_configENS1_25partition_config_selectorILNS1_17partition_subalgoE8ElNS0_10empty_typeEbEEZZNS1_14partition_implILS5_8ELb0ES3_jPlPS6_PKS6_NS0_5tupleIJS9_S6_EEENSD_IJSA_SA_EEENS0_18inequality_wrapperIZN2at6native12_GLOBAL__N_124unique_dim_cuda_templateIaEESt5tupleIJNSH_6TensorESM_SM_EERKSM_lbbbEUlllE0_EEPmJS6_EEE10hipError_tPvRmT3_T4_T5_T6_T7_T9_mT8_P12ihipStream_tbDpT10_ENKUlT_T0_E_clISt17integral_constantIbLb1EES1C_EEDaS17_S18_EUlS17_E_NS1_11comp_targetILNS1_3genE2ELNS1_11target_archE906ELNS1_3gpuE6ELNS1_3repE0EEENS1_30default_config_static_selectorELNS0_4arch9wavefront6targetE1EEEvT1_.num_agpr, 0
	.set _ZN7rocprim17ROCPRIM_400000_NS6detail17trampoline_kernelINS0_14default_configENS1_25partition_config_selectorILNS1_17partition_subalgoE8ElNS0_10empty_typeEbEEZZNS1_14partition_implILS5_8ELb0ES3_jPlPS6_PKS6_NS0_5tupleIJS9_S6_EEENSD_IJSA_SA_EEENS0_18inequality_wrapperIZN2at6native12_GLOBAL__N_124unique_dim_cuda_templateIaEESt5tupleIJNSH_6TensorESM_SM_EERKSM_lbbbEUlllE0_EEPmJS6_EEE10hipError_tPvRmT3_T4_T5_T6_T7_T9_mT8_P12ihipStream_tbDpT10_ENKUlT_T0_E_clISt17integral_constantIbLb1EES1C_EEDaS17_S18_EUlS17_E_NS1_11comp_targetILNS1_3genE2ELNS1_11target_archE906ELNS1_3gpuE6ELNS1_3repE0EEENS1_30default_config_static_selectorELNS0_4arch9wavefront6targetE1EEEvT1_.numbered_sgpr, 0
	.set _ZN7rocprim17ROCPRIM_400000_NS6detail17trampoline_kernelINS0_14default_configENS1_25partition_config_selectorILNS1_17partition_subalgoE8ElNS0_10empty_typeEbEEZZNS1_14partition_implILS5_8ELb0ES3_jPlPS6_PKS6_NS0_5tupleIJS9_S6_EEENSD_IJSA_SA_EEENS0_18inequality_wrapperIZN2at6native12_GLOBAL__N_124unique_dim_cuda_templateIaEESt5tupleIJNSH_6TensorESM_SM_EERKSM_lbbbEUlllE0_EEPmJS6_EEE10hipError_tPvRmT3_T4_T5_T6_T7_T9_mT8_P12ihipStream_tbDpT10_ENKUlT_T0_E_clISt17integral_constantIbLb1EES1C_EEDaS17_S18_EUlS17_E_NS1_11comp_targetILNS1_3genE2ELNS1_11target_archE906ELNS1_3gpuE6ELNS1_3repE0EEENS1_30default_config_static_selectorELNS0_4arch9wavefront6targetE1EEEvT1_.num_named_barrier, 0
	.set _ZN7rocprim17ROCPRIM_400000_NS6detail17trampoline_kernelINS0_14default_configENS1_25partition_config_selectorILNS1_17partition_subalgoE8ElNS0_10empty_typeEbEEZZNS1_14partition_implILS5_8ELb0ES3_jPlPS6_PKS6_NS0_5tupleIJS9_S6_EEENSD_IJSA_SA_EEENS0_18inequality_wrapperIZN2at6native12_GLOBAL__N_124unique_dim_cuda_templateIaEESt5tupleIJNSH_6TensorESM_SM_EERKSM_lbbbEUlllE0_EEPmJS6_EEE10hipError_tPvRmT3_T4_T5_T6_T7_T9_mT8_P12ihipStream_tbDpT10_ENKUlT_T0_E_clISt17integral_constantIbLb1EES1C_EEDaS17_S18_EUlS17_E_NS1_11comp_targetILNS1_3genE2ELNS1_11target_archE906ELNS1_3gpuE6ELNS1_3repE0EEENS1_30default_config_static_selectorELNS0_4arch9wavefront6targetE1EEEvT1_.private_seg_size, 0
	.set _ZN7rocprim17ROCPRIM_400000_NS6detail17trampoline_kernelINS0_14default_configENS1_25partition_config_selectorILNS1_17partition_subalgoE8ElNS0_10empty_typeEbEEZZNS1_14partition_implILS5_8ELb0ES3_jPlPS6_PKS6_NS0_5tupleIJS9_S6_EEENSD_IJSA_SA_EEENS0_18inequality_wrapperIZN2at6native12_GLOBAL__N_124unique_dim_cuda_templateIaEESt5tupleIJNSH_6TensorESM_SM_EERKSM_lbbbEUlllE0_EEPmJS6_EEE10hipError_tPvRmT3_T4_T5_T6_T7_T9_mT8_P12ihipStream_tbDpT10_ENKUlT_T0_E_clISt17integral_constantIbLb1EES1C_EEDaS17_S18_EUlS17_E_NS1_11comp_targetILNS1_3genE2ELNS1_11target_archE906ELNS1_3gpuE6ELNS1_3repE0EEENS1_30default_config_static_selectorELNS0_4arch9wavefront6targetE1EEEvT1_.uses_vcc, 0
	.set _ZN7rocprim17ROCPRIM_400000_NS6detail17trampoline_kernelINS0_14default_configENS1_25partition_config_selectorILNS1_17partition_subalgoE8ElNS0_10empty_typeEbEEZZNS1_14partition_implILS5_8ELb0ES3_jPlPS6_PKS6_NS0_5tupleIJS9_S6_EEENSD_IJSA_SA_EEENS0_18inequality_wrapperIZN2at6native12_GLOBAL__N_124unique_dim_cuda_templateIaEESt5tupleIJNSH_6TensorESM_SM_EERKSM_lbbbEUlllE0_EEPmJS6_EEE10hipError_tPvRmT3_T4_T5_T6_T7_T9_mT8_P12ihipStream_tbDpT10_ENKUlT_T0_E_clISt17integral_constantIbLb1EES1C_EEDaS17_S18_EUlS17_E_NS1_11comp_targetILNS1_3genE2ELNS1_11target_archE906ELNS1_3gpuE6ELNS1_3repE0EEENS1_30default_config_static_selectorELNS0_4arch9wavefront6targetE1EEEvT1_.uses_flat_scratch, 0
	.set _ZN7rocprim17ROCPRIM_400000_NS6detail17trampoline_kernelINS0_14default_configENS1_25partition_config_selectorILNS1_17partition_subalgoE8ElNS0_10empty_typeEbEEZZNS1_14partition_implILS5_8ELb0ES3_jPlPS6_PKS6_NS0_5tupleIJS9_S6_EEENSD_IJSA_SA_EEENS0_18inequality_wrapperIZN2at6native12_GLOBAL__N_124unique_dim_cuda_templateIaEESt5tupleIJNSH_6TensorESM_SM_EERKSM_lbbbEUlllE0_EEPmJS6_EEE10hipError_tPvRmT3_T4_T5_T6_T7_T9_mT8_P12ihipStream_tbDpT10_ENKUlT_T0_E_clISt17integral_constantIbLb1EES1C_EEDaS17_S18_EUlS17_E_NS1_11comp_targetILNS1_3genE2ELNS1_11target_archE906ELNS1_3gpuE6ELNS1_3repE0EEENS1_30default_config_static_selectorELNS0_4arch9wavefront6targetE1EEEvT1_.has_dyn_sized_stack, 0
	.set _ZN7rocprim17ROCPRIM_400000_NS6detail17trampoline_kernelINS0_14default_configENS1_25partition_config_selectorILNS1_17partition_subalgoE8ElNS0_10empty_typeEbEEZZNS1_14partition_implILS5_8ELb0ES3_jPlPS6_PKS6_NS0_5tupleIJS9_S6_EEENSD_IJSA_SA_EEENS0_18inequality_wrapperIZN2at6native12_GLOBAL__N_124unique_dim_cuda_templateIaEESt5tupleIJNSH_6TensorESM_SM_EERKSM_lbbbEUlllE0_EEPmJS6_EEE10hipError_tPvRmT3_T4_T5_T6_T7_T9_mT8_P12ihipStream_tbDpT10_ENKUlT_T0_E_clISt17integral_constantIbLb1EES1C_EEDaS17_S18_EUlS17_E_NS1_11comp_targetILNS1_3genE2ELNS1_11target_archE906ELNS1_3gpuE6ELNS1_3repE0EEENS1_30default_config_static_selectorELNS0_4arch9wavefront6targetE1EEEvT1_.has_recursion, 0
	.set _ZN7rocprim17ROCPRIM_400000_NS6detail17trampoline_kernelINS0_14default_configENS1_25partition_config_selectorILNS1_17partition_subalgoE8ElNS0_10empty_typeEbEEZZNS1_14partition_implILS5_8ELb0ES3_jPlPS6_PKS6_NS0_5tupleIJS9_S6_EEENSD_IJSA_SA_EEENS0_18inequality_wrapperIZN2at6native12_GLOBAL__N_124unique_dim_cuda_templateIaEESt5tupleIJNSH_6TensorESM_SM_EERKSM_lbbbEUlllE0_EEPmJS6_EEE10hipError_tPvRmT3_T4_T5_T6_T7_T9_mT8_P12ihipStream_tbDpT10_ENKUlT_T0_E_clISt17integral_constantIbLb1EES1C_EEDaS17_S18_EUlS17_E_NS1_11comp_targetILNS1_3genE2ELNS1_11target_archE906ELNS1_3gpuE6ELNS1_3repE0EEENS1_30default_config_static_selectorELNS0_4arch9wavefront6targetE1EEEvT1_.has_indirect_call, 0
	.section	.AMDGPU.csdata,"",@progbits
; Kernel info:
; codeLenInByte = 0
; TotalNumSgprs: 6
; NumVgprs: 0
; NumAgprs: 0
; TotalNumVgprs: 0
; ScratchSize: 0
; MemoryBound: 0
; FloatMode: 240
; IeeeMode: 1
; LDSByteSize: 0 bytes/workgroup (compile time only)
; SGPRBlocks: 0
; VGPRBlocks: 0
; NumSGPRsForWavesPerEU: 6
; NumVGPRsForWavesPerEU: 1
; AccumOffset: 4
; Occupancy: 8
; WaveLimiterHint : 0
; COMPUTE_PGM_RSRC2:SCRATCH_EN: 0
; COMPUTE_PGM_RSRC2:USER_SGPR: 2
; COMPUTE_PGM_RSRC2:TRAP_HANDLER: 0
; COMPUTE_PGM_RSRC2:TGID_X_EN: 1
; COMPUTE_PGM_RSRC2:TGID_Y_EN: 0
; COMPUTE_PGM_RSRC2:TGID_Z_EN: 0
; COMPUTE_PGM_RSRC2:TIDIG_COMP_CNT: 0
; COMPUTE_PGM_RSRC3_GFX90A:ACCUM_OFFSET: 0
; COMPUTE_PGM_RSRC3_GFX90A:TG_SPLIT: 0
	.section	.text._ZN7rocprim17ROCPRIM_400000_NS6detail17trampoline_kernelINS0_14default_configENS1_25partition_config_selectorILNS1_17partition_subalgoE8ElNS0_10empty_typeEbEEZZNS1_14partition_implILS5_8ELb0ES3_jPlPS6_PKS6_NS0_5tupleIJS9_S6_EEENSD_IJSA_SA_EEENS0_18inequality_wrapperIZN2at6native12_GLOBAL__N_124unique_dim_cuda_templateIaEESt5tupleIJNSH_6TensorESM_SM_EERKSM_lbbbEUlllE0_EEPmJS6_EEE10hipError_tPvRmT3_T4_T5_T6_T7_T9_mT8_P12ihipStream_tbDpT10_ENKUlT_T0_E_clISt17integral_constantIbLb1EES1C_EEDaS17_S18_EUlS17_E_NS1_11comp_targetILNS1_3genE10ELNS1_11target_archE1200ELNS1_3gpuE4ELNS1_3repE0EEENS1_30default_config_static_selectorELNS0_4arch9wavefront6targetE1EEEvT1_,"axG",@progbits,_ZN7rocprim17ROCPRIM_400000_NS6detail17trampoline_kernelINS0_14default_configENS1_25partition_config_selectorILNS1_17partition_subalgoE8ElNS0_10empty_typeEbEEZZNS1_14partition_implILS5_8ELb0ES3_jPlPS6_PKS6_NS0_5tupleIJS9_S6_EEENSD_IJSA_SA_EEENS0_18inequality_wrapperIZN2at6native12_GLOBAL__N_124unique_dim_cuda_templateIaEESt5tupleIJNSH_6TensorESM_SM_EERKSM_lbbbEUlllE0_EEPmJS6_EEE10hipError_tPvRmT3_T4_T5_T6_T7_T9_mT8_P12ihipStream_tbDpT10_ENKUlT_T0_E_clISt17integral_constantIbLb1EES1C_EEDaS17_S18_EUlS17_E_NS1_11comp_targetILNS1_3genE10ELNS1_11target_archE1200ELNS1_3gpuE4ELNS1_3repE0EEENS1_30default_config_static_selectorELNS0_4arch9wavefront6targetE1EEEvT1_,comdat
	.globl	_ZN7rocprim17ROCPRIM_400000_NS6detail17trampoline_kernelINS0_14default_configENS1_25partition_config_selectorILNS1_17partition_subalgoE8ElNS0_10empty_typeEbEEZZNS1_14partition_implILS5_8ELb0ES3_jPlPS6_PKS6_NS0_5tupleIJS9_S6_EEENSD_IJSA_SA_EEENS0_18inequality_wrapperIZN2at6native12_GLOBAL__N_124unique_dim_cuda_templateIaEESt5tupleIJNSH_6TensorESM_SM_EERKSM_lbbbEUlllE0_EEPmJS6_EEE10hipError_tPvRmT3_T4_T5_T6_T7_T9_mT8_P12ihipStream_tbDpT10_ENKUlT_T0_E_clISt17integral_constantIbLb1EES1C_EEDaS17_S18_EUlS17_E_NS1_11comp_targetILNS1_3genE10ELNS1_11target_archE1200ELNS1_3gpuE4ELNS1_3repE0EEENS1_30default_config_static_selectorELNS0_4arch9wavefront6targetE1EEEvT1_ ; -- Begin function _ZN7rocprim17ROCPRIM_400000_NS6detail17trampoline_kernelINS0_14default_configENS1_25partition_config_selectorILNS1_17partition_subalgoE8ElNS0_10empty_typeEbEEZZNS1_14partition_implILS5_8ELb0ES3_jPlPS6_PKS6_NS0_5tupleIJS9_S6_EEENSD_IJSA_SA_EEENS0_18inequality_wrapperIZN2at6native12_GLOBAL__N_124unique_dim_cuda_templateIaEESt5tupleIJNSH_6TensorESM_SM_EERKSM_lbbbEUlllE0_EEPmJS6_EEE10hipError_tPvRmT3_T4_T5_T6_T7_T9_mT8_P12ihipStream_tbDpT10_ENKUlT_T0_E_clISt17integral_constantIbLb1EES1C_EEDaS17_S18_EUlS17_E_NS1_11comp_targetILNS1_3genE10ELNS1_11target_archE1200ELNS1_3gpuE4ELNS1_3repE0EEENS1_30default_config_static_selectorELNS0_4arch9wavefront6targetE1EEEvT1_
	.p2align	8
	.type	_ZN7rocprim17ROCPRIM_400000_NS6detail17trampoline_kernelINS0_14default_configENS1_25partition_config_selectorILNS1_17partition_subalgoE8ElNS0_10empty_typeEbEEZZNS1_14partition_implILS5_8ELb0ES3_jPlPS6_PKS6_NS0_5tupleIJS9_S6_EEENSD_IJSA_SA_EEENS0_18inequality_wrapperIZN2at6native12_GLOBAL__N_124unique_dim_cuda_templateIaEESt5tupleIJNSH_6TensorESM_SM_EERKSM_lbbbEUlllE0_EEPmJS6_EEE10hipError_tPvRmT3_T4_T5_T6_T7_T9_mT8_P12ihipStream_tbDpT10_ENKUlT_T0_E_clISt17integral_constantIbLb1EES1C_EEDaS17_S18_EUlS17_E_NS1_11comp_targetILNS1_3genE10ELNS1_11target_archE1200ELNS1_3gpuE4ELNS1_3repE0EEENS1_30default_config_static_selectorELNS0_4arch9wavefront6targetE1EEEvT1_,@function
_ZN7rocprim17ROCPRIM_400000_NS6detail17trampoline_kernelINS0_14default_configENS1_25partition_config_selectorILNS1_17partition_subalgoE8ElNS0_10empty_typeEbEEZZNS1_14partition_implILS5_8ELb0ES3_jPlPS6_PKS6_NS0_5tupleIJS9_S6_EEENSD_IJSA_SA_EEENS0_18inequality_wrapperIZN2at6native12_GLOBAL__N_124unique_dim_cuda_templateIaEESt5tupleIJNSH_6TensorESM_SM_EERKSM_lbbbEUlllE0_EEPmJS6_EEE10hipError_tPvRmT3_T4_T5_T6_T7_T9_mT8_P12ihipStream_tbDpT10_ENKUlT_T0_E_clISt17integral_constantIbLb1EES1C_EEDaS17_S18_EUlS17_E_NS1_11comp_targetILNS1_3genE10ELNS1_11target_archE1200ELNS1_3gpuE4ELNS1_3repE0EEENS1_30default_config_static_selectorELNS0_4arch9wavefront6targetE1EEEvT1_: ; @_ZN7rocprim17ROCPRIM_400000_NS6detail17trampoline_kernelINS0_14default_configENS1_25partition_config_selectorILNS1_17partition_subalgoE8ElNS0_10empty_typeEbEEZZNS1_14partition_implILS5_8ELb0ES3_jPlPS6_PKS6_NS0_5tupleIJS9_S6_EEENSD_IJSA_SA_EEENS0_18inequality_wrapperIZN2at6native12_GLOBAL__N_124unique_dim_cuda_templateIaEESt5tupleIJNSH_6TensorESM_SM_EERKSM_lbbbEUlllE0_EEPmJS6_EEE10hipError_tPvRmT3_T4_T5_T6_T7_T9_mT8_P12ihipStream_tbDpT10_ENKUlT_T0_E_clISt17integral_constantIbLb1EES1C_EEDaS17_S18_EUlS17_E_NS1_11comp_targetILNS1_3genE10ELNS1_11target_archE1200ELNS1_3gpuE4ELNS1_3repE0EEENS1_30default_config_static_selectorELNS0_4arch9wavefront6targetE1EEEvT1_
; %bb.0:
	.section	.rodata,"a",@progbits
	.p2align	6, 0x0
	.amdhsa_kernel _ZN7rocprim17ROCPRIM_400000_NS6detail17trampoline_kernelINS0_14default_configENS1_25partition_config_selectorILNS1_17partition_subalgoE8ElNS0_10empty_typeEbEEZZNS1_14partition_implILS5_8ELb0ES3_jPlPS6_PKS6_NS0_5tupleIJS9_S6_EEENSD_IJSA_SA_EEENS0_18inequality_wrapperIZN2at6native12_GLOBAL__N_124unique_dim_cuda_templateIaEESt5tupleIJNSH_6TensorESM_SM_EERKSM_lbbbEUlllE0_EEPmJS6_EEE10hipError_tPvRmT3_T4_T5_T6_T7_T9_mT8_P12ihipStream_tbDpT10_ENKUlT_T0_E_clISt17integral_constantIbLb1EES1C_EEDaS17_S18_EUlS17_E_NS1_11comp_targetILNS1_3genE10ELNS1_11target_archE1200ELNS1_3gpuE4ELNS1_3repE0EEENS1_30default_config_static_selectorELNS0_4arch9wavefront6targetE1EEEvT1_
		.amdhsa_group_segment_fixed_size 0
		.amdhsa_private_segment_fixed_size 0
		.amdhsa_kernarg_size 136
		.amdhsa_user_sgpr_count 2
		.amdhsa_user_sgpr_dispatch_ptr 0
		.amdhsa_user_sgpr_queue_ptr 0
		.amdhsa_user_sgpr_kernarg_segment_ptr 1
		.amdhsa_user_sgpr_dispatch_id 0
		.amdhsa_user_sgpr_kernarg_preload_length 0
		.amdhsa_user_sgpr_kernarg_preload_offset 0
		.amdhsa_user_sgpr_private_segment_size 0
		.amdhsa_uses_dynamic_stack 0
		.amdhsa_enable_private_segment 0
		.amdhsa_system_sgpr_workgroup_id_x 1
		.amdhsa_system_sgpr_workgroup_id_y 0
		.amdhsa_system_sgpr_workgroup_id_z 0
		.amdhsa_system_sgpr_workgroup_info 0
		.amdhsa_system_vgpr_workitem_id 0
		.amdhsa_next_free_vgpr 1
		.amdhsa_next_free_sgpr 0
		.amdhsa_accum_offset 4
		.amdhsa_reserve_vcc 0
		.amdhsa_float_round_mode_32 0
		.amdhsa_float_round_mode_16_64 0
		.amdhsa_float_denorm_mode_32 3
		.amdhsa_float_denorm_mode_16_64 3
		.amdhsa_dx10_clamp 1
		.amdhsa_ieee_mode 1
		.amdhsa_fp16_overflow 0
		.amdhsa_tg_split 0
		.amdhsa_exception_fp_ieee_invalid_op 0
		.amdhsa_exception_fp_denorm_src 0
		.amdhsa_exception_fp_ieee_div_zero 0
		.amdhsa_exception_fp_ieee_overflow 0
		.amdhsa_exception_fp_ieee_underflow 0
		.amdhsa_exception_fp_ieee_inexact 0
		.amdhsa_exception_int_div_zero 0
	.end_amdhsa_kernel
	.section	.text._ZN7rocprim17ROCPRIM_400000_NS6detail17trampoline_kernelINS0_14default_configENS1_25partition_config_selectorILNS1_17partition_subalgoE8ElNS0_10empty_typeEbEEZZNS1_14partition_implILS5_8ELb0ES3_jPlPS6_PKS6_NS0_5tupleIJS9_S6_EEENSD_IJSA_SA_EEENS0_18inequality_wrapperIZN2at6native12_GLOBAL__N_124unique_dim_cuda_templateIaEESt5tupleIJNSH_6TensorESM_SM_EERKSM_lbbbEUlllE0_EEPmJS6_EEE10hipError_tPvRmT3_T4_T5_T6_T7_T9_mT8_P12ihipStream_tbDpT10_ENKUlT_T0_E_clISt17integral_constantIbLb1EES1C_EEDaS17_S18_EUlS17_E_NS1_11comp_targetILNS1_3genE10ELNS1_11target_archE1200ELNS1_3gpuE4ELNS1_3repE0EEENS1_30default_config_static_selectorELNS0_4arch9wavefront6targetE1EEEvT1_,"axG",@progbits,_ZN7rocprim17ROCPRIM_400000_NS6detail17trampoline_kernelINS0_14default_configENS1_25partition_config_selectorILNS1_17partition_subalgoE8ElNS0_10empty_typeEbEEZZNS1_14partition_implILS5_8ELb0ES3_jPlPS6_PKS6_NS0_5tupleIJS9_S6_EEENSD_IJSA_SA_EEENS0_18inequality_wrapperIZN2at6native12_GLOBAL__N_124unique_dim_cuda_templateIaEESt5tupleIJNSH_6TensorESM_SM_EERKSM_lbbbEUlllE0_EEPmJS6_EEE10hipError_tPvRmT3_T4_T5_T6_T7_T9_mT8_P12ihipStream_tbDpT10_ENKUlT_T0_E_clISt17integral_constantIbLb1EES1C_EEDaS17_S18_EUlS17_E_NS1_11comp_targetILNS1_3genE10ELNS1_11target_archE1200ELNS1_3gpuE4ELNS1_3repE0EEENS1_30default_config_static_selectorELNS0_4arch9wavefront6targetE1EEEvT1_,comdat
.Lfunc_end332:
	.size	_ZN7rocprim17ROCPRIM_400000_NS6detail17trampoline_kernelINS0_14default_configENS1_25partition_config_selectorILNS1_17partition_subalgoE8ElNS0_10empty_typeEbEEZZNS1_14partition_implILS5_8ELb0ES3_jPlPS6_PKS6_NS0_5tupleIJS9_S6_EEENSD_IJSA_SA_EEENS0_18inequality_wrapperIZN2at6native12_GLOBAL__N_124unique_dim_cuda_templateIaEESt5tupleIJNSH_6TensorESM_SM_EERKSM_lbbbEUlllE0_EEPmJS6_EEE10hipError_tPvRmT3_T4_T5_T6_T7_T9_mT8_P12ihipStream_tbDpT10_ENKUlT_T0_E_clISt17integral_constantIbLb1EES1C_EEDaS17_S18_EUlS17_E_NS1_11comp_targetILNS1_3genE10ELNS1_11target_archE1200ELNS1_3gpuE4ELNS1_3repE0EEENS1_30default_config_static_selectorELNS0_4arch9wavefront6targetE1EEEvT1_, .Lfunc_end332-_ZN7rocprim17ROCPRIM_400000_NS6detail17trampoline_kernelINS0_14default_configENS1_25partition_config_selectorILNS1_17partition_subalgoE8ElNS0_10empty_typeEbEEZZNS1_14partition_implILS5_8ELb0ES3_jPlPS6_PKS6_NS0_5tupleIJS9_S6_EEENSD_IJSA_SA_EEENS0_18inequality_wrapperIZN2at6native12_GLOBAL__N_124unique_dim_cuda_templateIaEESt5tupleIJNSH_6TensorESM_SM_EERKSM_lbbbEUlllE0_EEPmJS6_EEE10hipError_tPvRmT3_T4_T5_T6_T7_T9_mT8_P12ihipStream_tbDpT10_ENKUlT_T0_E_clISt17integral_constantIbLb1EES1C_EEDaS17_S18_EUlS17_E_NS1_11comp_targetILNS1_3genE10ELNS1_11target_archE1200ELNS1_3gpuE4ELNS1_3repE0EEENS1_30default_config_static_selectorELNS0_4arch9wavefront6targetE1EEEvT1_
                                        ; -- End function
	.set _ZN7rocprim17ROCPRIM_400000_NS6detail17trampoline_kernelINS0_14default_configENS1_25partition_config_selectorILNS1_17partition_subalgoE8ElNS0_10empty_typeEbEEZZNS1_14partition_implILS5_8ELb0ES3_jPlPS6_PKS6_NS0_5tupleIJS9_S6_EEENSD_IJSA_SA_EEENS0_18inequality_wrapperIZN2at6native12_GLOBAL__N_124unique_dim_cuda_templateIaEESt5tupleIJNSH_6TensorESM_SM_EERKSM_lbbbEUlllE0_EEPmJS6_EEE10hipError_tPvRmT3_T4_T5_T6_T7_T9_mT8_P12ihipStream_tbDpT10_ENKUlT_T0_E_clISt17integral_constantIbLb1EES1C_EEDaS17_S18_EUlS17_E_NS1_11comp_targetILNS1_3genE10ELNS1_11target_archE1200ELNS1_3gpuE4ELNS1_3repE0EEENS1_30default_config_static_selectorELNS0_4arch9wavefront6targetE1EEEvT1_.num_vgpr, 0
	.set _ZN7rocprim17ROCPRIM_400000_NS6detail17trampoline_kernelINS0_14default_configENS1_25partition_config_selectorILNS1_17partition_subalgoE8ElNS0_10empty_typeEbEEZZNS1_14partition_implILS5_8ELb0ES3_jPlPS6_PKS6_NS0_5tupleIJS9_S6_EEENSD_IJSA_SA_EEENS0_18inequality_wrapperIZN2at6native12_GLOBAL__N_124unique_dim_cuda_templateIaEESt5tupleIJNSH_6TensorESM_SM_EERKSM_lbbbEUlllE0_EEPmJS6_EEE10hipError_tPvRmT3_T4_T5_T6_T7_T9_mT8_P12ihipStream_tbDpT10_ENKUlT_T0_E_clISt17integral_constantIbLb1EES1C_EEDaS17_S18_EUlS17_E_NS1_11comp_targetILNS1_3genE10ELNS1_11target_archE1200ELNS1_3gpuE4ELNS1_3repE0EEENS1_30default_config_static_selectorELNS0_4arch9wavefront6targetE1EEEvT1_.num_agpr, 0
	.set _ZN7rocprim17ROCPRIM_400000_NS6detail17trampoline_kernelINS0_14default_configENS1_25partition_config_selectorILNS1_17partition_subalgoE8ElNS0_10empty_typeEbEEZZNS1_14partition_implILS5_8ELb0ES3_jPlPS6_PKS6_NS0_5tupleIJS9_S6_EEENSD_IJSA_SA_EEENS0_18inequality_wrapperIZN2at6native12_GLOBAL__N_124unique_dim_cuda_templateIaEESt5tupleIJNSH_6TensorESM_SM_EERKSM_lbbbEUlllE0_EEPmJS6_EEE10hipError_tPvRmT3_T4_T5_T6_T7_T9_mT8_P12ihipStream_tbDpT10_ENKUlT_T0_E_clISt17integral_constantIbLb1EES1C_EEDaS17_S18_EUlS17_E_NS1_11comp_targetILNS1_3genE10ELNS1_11target_archE1200ELNS1_3gpuE4ELNS1_3repE0EEENS1_30default_config_static_selectorELNS0_4arch9wavefront6targetE1EEEvT1_.numbered_sgpr, 0
	.set _ZN7rocprim17ROCPRIM_400000_NS6detail17trampoline_kernelINS0_14default_configENS1_25partition_config_selectorILNS1_17partition_subalgoE8ElNS0_10empty_typeEbEEZZNS1_14partition_implILS5_8ELb0ES3_jPlPS6_PKS6_NS0_5tupleIJS9_S6_EEENSD_IJSA_SA_EEENS0_18inequality_wrapperIZN2at6native12_GLOBAL__N_124unique_dim_cuda_templateIaEESt5tupleIJNSH_6TensorESM_SM_EERKSM_lbbbEUlllE0_EEPmJS6_EEE10hipError_tPvRmT3_T4_T5_T6_T7_T9_mT8_P12ihipStream_tbDpT10_ENKUlT_T0_E_clISt17integral_constantIbLb1EES1C_EEDaS17_S18_EUlS17_E_NS1_11comp_targetILNS1_3genE10ELNS1_11target_archE1200ELNS1_3gpuE4ELNS1_3repE0EEENS1_30default_config_static_selectorELNS0_4arch9wavefront6targetE1EEEvT1_.num_named_barrier, 0
	.set _ZN7rocprim17ROCPRIM_400000_NS6detail17trampoline_kernelINS0_14default_configENS1_25partition_config_selectorILNS1_17partition_subalgoE8ElNS0_10empty_typeEbEEZZNS1_14partition_implILS5_8ELb0ES3_jPlPS6_PKS6_NS0_5tupleIJS9_S6_EEENSD_IJSA_SA_EEENS0_18inequality_wrapperIZN2at6native12_GLOBAL__N_124unique_dim_cuda_templateIaEESt5tupleIJNSH_6TensorESM_SM_EERKSM_lbbbEUlllE0_EEPmJS6_EEE10hipError_tPvRmT3_T4_T5_T6_T7_T9_mT8_P12ihipStream_tbDpT10_ENKUlT_T0_E_clISt17integral_constantIbLb1EES1C_EEDaS17_S18_EUlS17_E_NS1_11comp_targetILNS1_3genE10ELNS1_11target_archE1200ELNS1_3gpuE4ELNS1_3repE0EEENS1_30default_config_static_selectorELNS0_4arch9wavefront6targetE1EEEvT1_.private_seg_size, 0
	.set _ZN7rocprim17ROCPRIM_400000_NS6detail17trampoline_kernelINS0_14default_configENS1_25partition_config_selectorILNS1_17partition_subalgoE8ElNS0_10empty_typeEbEEZZNS1_14partition_implILS5_8ELb0ES3_jPlPS6_PKS6_NS0_5tupleIJS9_S6_EEENSD_IJSA_SA_EEENS0_18inequality_wrapperIZN2at6native12_GLOBAL__N_124unique_dim_cuda_templateIaEESt5tupleIJNSH_6TensorESM_SM_EERKSM_lbbbEUlllE0_EEPmJS6_EEE10hipError_tPvRmT3_T4_T5_T6_T7_T9_mT8_P12ihipStream_tbDpT10_ENKUlT_T0_E_clISt17integral_constantIbLb1EES1C_EEDaS17_S18_EUlS17_E_NS1_11comp_targetILNS1_3genE10ELNS1_11target_archE1200ELNS1_3gpuE4ELNS1_3repE0EEENS1_30default_config_static_selectorELNS0_4arch9wavefront6targetE1EEEvT1_.uses_vcc, 0
	.set _ZN7rocprim17ROCPRIM_400000_NS6detail17trampoline_kernelINS0_14default_configENS1_25partition_config_selectorILNS1_17partition_subalgoE8ElNS0_10empty_typeEbEEZZNS1_14partition_implILS5_8ELb0ES3_jPlPS6_PKS6_NS0_5tupleIJS9_S6_EEENSD_IJSA_SA_EEENS0_18inequality_wrapperIZN2at6native12_GLOBAL__N_124unique_dim_cuda_templateIaEESt5tupleIJNSH_6TensorESM_SM_EERKSM_lbbbEUlllE0_EEPmJS6_EEE10hipError_tPvRmT3_T4_T5_T6_T7_T9_mT8_P12ihipStream_tbDpT10_ENKUlT_T0_E_clISt17integral_constantIbLb1EES1C_EEDaS17_S18_EUlS17_E_NS1_11comp_targetILNS1_3genE10ELNS1_11target_archE1200ELNS1_3gpuE4ELNS1_3repE0EEENS1_30default_config_static_selectorELNS0_4arch9wavefront6targetE1EEEvT1_.uses_flat_scratch, 0
	.set _ZN7rocprim17ROCPRIM_400000_NS6detail17trampoline_kernelINS0_14default_configENS1_25partition_config_selectorILNS1_17partition_subalgoE8ElNS0_10empty_typeEbEEZZNS1_14partition_implILS5_8ELb0ES3_jPlPS6_PKS6_NS0_5tupleIJS9_S6_EEENSD_IJSA_SA_EEENS0_18inequality_wrapperIZN2at6native12_GLOBAL__N_124unique_dim_cuda_templateIaEESt5tupleIJNSH_6TensorESM_SM_EERKSM_lbbbEUlllE0_EEPmJS6_EEE10hipError_tPvRmT3_T4_T5_T6_T7_T9_mT8_P12ihipStream_tbDpT10_ENKUlT_T0_E_clISt17integral_constantIbLb1EES1C_EEDaS17_S18_EUlS17_E_NS1_11comp_targetILNS1_3genE10ELNS1_11target_archE1200ELNS1_3gpuE4ELNS1_3repE0EEENS1_30default_config_static_selectorELNS0_4arch9wavefront6targetE1EEEvT1_.has_dyn_sized_stack, 0
	.set _ZN7rocprim17ROCPRIM_400000_NS6detail17trampoline_kernelINS0_14default_configENS1_25partition_config_selectorILNS1_17partition_subalgoE8ElNS0_10empty_typeEbEEZZNS1_14partition_implILS5_8ELb0ES3_jPlPS6_PKS6_NS0_5tupleIJS9_S6_EEENSD_IJSA_SA_EEENS0_18inequality_wrapperIZN2at6native12_GLOBAL__N_124unique_dim_cuda_templateIaEESt5tupleIJNSH_6TensorESM_SM_EERKSM_lbbbEUlllE0_EEPmJS6_EEE10hipError_tPvRmT3_T4_T5_T6_T7_T9_mT8_P12ihipStream_tbDpT10_ENKUlT_T0_E_clISt17integral_constantIbLb1EES1C_EEDaS17_S18_EUlS17_E_NS1_11comp_targetILNS1_3genE10ELNS1_11target_archE1200ELNS1_3gpuE4ELNS1_3repE0EEENS1_30default_config_static_selectorELNS0_4arch9wavefront6targetE1EEEvT1_.has_recursion, 0
	.set _ZN7rocprim17ROCPRIM_400000_NS6detail17trampoline_kernelINS0_14default_configENS1_25partition_config_selectorILNS1_17partition_subalgoE8ElNS0_10empty_typeEbEEZZNS1_14partition_implILS5_8ELb0ES3_jPlPS6_PKS6_NS0_5tupleIJS9_S6_EEENSD_IJSA_SA_EEENS0_18inequality_wrapperIZN2at6native12_GLOBAL__N_124unique_dim_cuda_templateIaEESt5tupleIJNSH_6TensorESM_SM_EERKSM_lbbbEUlllE0_EEPmJS6_EEE10hipError_tPvRmT3_T4_T5_T6_T7_T9_mT8_P12ihipStream_tbDpT10_ENKUlT_T0_E_clISt17integral_constantIbLb1EES1C_EEDaS17_S18_EUlS17_E_NS1_11comp_targetILNS1_3genE10ELNS1_11target_archE1200ELNS1_3gpuE4ELNS1_3repE0EEENS1_30default_config_static_selectorELNS0_4arch9wavefront6targetE1EEEvT1_.has_indirect_call, 0
	.section	.AMDGPU.csdata,"",@progbits
; Kernel info:
; codeLenInByte = 0
; TotalNumSgprs: 6
; NumVgprs: 0
; NumAgprs: 0
; TotalNumVgprs: 0
; ScratchSize: 0
; MemoryBound: 0
; FloatMode: 240
; IeeeMode: 1
; LDSByteSize: 0 bytes/workgroup (compile time only)
; SGPRBlocks: 0
; VGPRBlocks: 0
; NumSGPRsForWavesPerEU: 6
; NumVGPRsForWavesPerEU: 1
; AccumOffset: 4
; Occupancy: 8
; WaveLimiterHint : 0
; COMPUTE_PGM_RSRC2:SCRATCH_EN: 0
; COMPUTE_PGM_RSRC2:USER_SGPR: 2
; COMPUTE_PGM_RSRC2:TRAP_HANDLER: 0
; COMPUTE_PGM_RSRC2:TGID_X_EN: 1
; COMPUTE_PGM_RSRC2:TGID_Y_EN: 0
; COMPUTE_PGM_RSRC2:TGID_Z_EN: 0
; COMPUTE_PGM_RSRC2:TIDIG_COMP_CNT: 0
; COMPUTE_PGM_RSRC3_GFX90A:ACCUM_OFFSET: 0
; COMPUTE_PGM_RSRC3_GFX90A:TG_SPLIT: 0
	.section	.text._ZN7rocprim17ROCPRIM_400000_NS6detail17trampoline_kernelINS0_14default_configENS1_25partition_config_selectorILNS1_17partition_subalgoE8ElNS0_10empty_typeEbEEZZNS1_14partition_implILS5_8ELb0ES3_jPlPS6_PKS6_NS0_5tupleIJS9_S6_EEENSD_IJSA_SA_EEENS0_18inequality_wrapperIZN2at6native12_GLOBAL__N_124unique_dim_cuda_templateIaEESt5tupleIJNSH_6TensorESM_SM_EERKSM_lbbbEUlllE0_EEPmJS6_EEE10hipError_tPvRmT3_T4_T5_T6_T7_T9_mT8_P12ihipStream_tbDpT10_ENKUlT_T0_E_clISt17integral_constantIbLb1EES1C_EEDaS17_S18_EUlS17_E_NS1_11comp_targetILNS1_3genE9ELNS1_11target_archE1100ELNS1_3gpuE3ELNS1_3repE0EEENS1_30default_config_static_selectorELNS0_4arch9wavefront6targetE1EEEvT1_,"axG",@progbits,_ZN7rocprim17ROCPRIM_400000_NS6detail17trampoline_kernelINS0_14default_configENS1_25partition_config_selectorILNS1_17partition_subalgoE8ElNS0_10empty_typeEbEEZZNS1_14partition_implILS5_8ELb0ES3_jPlPS6_PKS6_NS0_5tupleIJS9_S6_EEENSD_IJSA_SA_EEENS0_18inequality_wrapperIZN2at6native12_GLOBAL__N_124unique_dim_cuda_templateIaEESt5tupleIJNSH_6TensorESM_SM_EERKSM_lbbbEUlllE0_EEPmJS6_EEE10hipError_tPvRmT3_T4_T5_T6_T7_T9_mT8_P12ihipStream_tbDpT10_ENKUlT_T0_E_clISt17integral_constantIbLb1EES1C_EEDaS17_S18_EUlS17_E_NS1_11comp_targetILNS1_3genE9ELNS1_11target_archE1100ELNS1_3gpuE3ELNS1_3repE0EEENS1_30default_config_static_selectorELNS0_4arch9wavefront6targetE1EEEvT1_,comdat
	.globl	_ZN7rocprim17ROCPRIM_400000_NS6detail17trampoline_kernelINS0_14default_configENS1_25partition_config_selectorILNS1_17partition_subalgoE8ElNS0_10empty_typeEbEEZZNS1_14partition_implILS5_8ELb0ES3_jPlPS6_PKS6_NS0_5tupleIJS9_S6_EEENSD_IJSA_SA_EEENS0_18inequality_wrapperIZN2at6native12_GLOBAL__N_124unique_dim_cuda_templateIaEESt5tupleIJNSH_6TensorESM_SM_EERKSM_lbbbEUlllE0_EEPmJS6_EEE10hipError_tPvRmT3_T4_T5_T6_T7_T9_mT8_P12ihipStream_tbDpT10_ENKUlT_T0_E_clISt17integral_constantIbLb1EES1C_EEDaS17_S18_EUlS17_E_NS1_11comp_targetILNS1_3genE9ELNS1_11target_archE1100ELNS1_3gpuE3ELNS1_3repE0EEENS1_30default_config_static_selectorELNS0_4arch9wavefront6targetE1EEEvT1_ ; -- Begin function _ZN7rocprim17ROCPRIM_400000_NS6detail17trampoline_kernelINS0_14default_configENS1_25partition_config_selectorILNS1_17partition_subalgoE8ElNS0_10empty_typeEbEEZZNS1_14partition_implILS5_8ELb0ES3_jPlPS6_PKS6_NS0_5tupleIJS9_S6_EEENSD_IJSA_SA_EEENS0_18inequality_wrapperIZN2at6native12_GLOBAL__N_124unique_dim_cuda_templateIaEESt5tupleIJNSH_6TensorESM_SM_EERKSM_lbbbEUlllE0_EEPmJS6_EEE10hipError_tPvRmT3_T4_T5_T6_T7_T9_mT8_P12ihipStream_tbDpT10_ENKUlT_T0_E_clISt17integral_constantIbLb1EES1C_EEDaS17_S18_EUlS17_E_NS1_11comp_targetILNS1_3genE9ELNS1_11target_archE1100ELNS1_3gpuE3ELNS1_3repE0EEENS1_30default_config_static_selectorELNS0_4arch9wavefront6targetE1EEEvT1_
	.p2align	8
	.type	_ZN7rocprim17ROCPRIM_400000_NS6detail17trampoline_kernelINS0_14default_configENS1_25partition_config_selectorILNS1_17partition_subalgoE8ElNS0_10empty_typeEbEEZZNS1_14partition_implILS5_8ELb0ES3_jPlPS6_PKS6_NS0_5tupleIJS9_S6_EEENSD_IJSA_SA_EEENS0_18inequality_wrapperIZN2at6native12_GLOBAL__N_124unique_dim_cuda_templateIaEESt5tupleIJNSH_6TensorESM_SM_EERKSM_lbbbEUlllE0_EEPmJS6_EEE10hipError_tPvRmT3_T4_T5_T6_T7_T9_mT8_P12ihipStream_tbDpT10_ENKUlT_T0_E_clISt17integral_constantIbLb1EES1C_EEDaS17_S18_EUlS17_E_NS1_11comp_targetILNS1_3genE9ELNS1_11target_archE1100ELNS1_3gpuE3ELNS1_3repE0EEENS1_30default_config_static_selectorELNS0_4arch9wavefront6targetE1EEEvT1_,@function
_ZN7rocprim17ROCPRIM_400000_NS6detail17trampoline_kernelINS0_14default_configENS1_25partition_config_selectorILNS1_17partition_subalgoE8ElNS0_10empty_typeEbEEZZNS1_14partition_implILS5_8ELb0ES3_jPlPS6_PKS6_NS0_5tupleIJS9_S6_EEENSD_IJSA_SA_EEENS0_18inequality_wrapperIZN2at6native12_GLOBAL__N_124unique_dim_cuda_templateIaEESt5tupleIJNSH_6TensorESM_SM_EERKSM_lbbbEUlllE0_EEPmJS6_EEE10hipError_tPvRmT3_T4_T5_T6_T7_T9_mT8_P12ihipStream_tbDpT10_ENKUlT_T0_E_clISt17integral_constantIbLb1EES1C_EEDaS17_S18_EUlS17_E_NS1_11comp_targetILNS1_3genE9ELNS1_11target_archE1100ELNS1_3gpuE3ELNS1_3repE0EEENS1_30default_config_static_selectorELNS0_4arch9wavefront6targetE1EEEvT1_: ; @_ZN7rocprim17ROCPRIM_400000_NS6detail17trampoline_kernelINS0_14default_configENS1_25partition_config_selectorILNS1_17partition_subalgoE8ElNS0_10empty_typeEbEEZZNS1_14partition_implILS5_8ELb0ES3_jPlPS6_PKS6_NS0_5tupleIJS9_S6_EEENSD_IJSA_SA_EEENS0_18inequality_wrapperIZN2at6native12_GLOBAL__N_124unique_dim_cuda_templateIaEESt5tupleIJNSH_6TensorESM_SM_EERKSM_lbbbEUlllE0_EEPmJS6_EEE10hipError_tPvRmT3_T4_T5_T6_T7_T9_mT8_P12ihipStream_tbDpT10_ENKUlT_T0_E_clISt17integral_constantIbLb1EES1C_EEDaS17_S18_EUlS17_E_NS1_11comp_targetILNS1_3genE9ELNS1_11target_archE1100ELNS1_3gpuE3ELNS1_3repE0EEENS1_30default_config_static_selectorELNS0_4arch9wavefront6targetE1EEEvT1_
; %bb.0:
	.section	.rodata,"a",@progbits
	.p2align	6, 0x0
	.amdhsa_kernel _ZN7rocprim17ROCPRIM_400000_NS6detail17trampoline_kernelINS0_14default_configENS1_25partition_config_selectorILNS1_17partition_subalgoE8ElNS0_10empty_typeEbEEZZNS1_14partition_implILS5_8ELb0ES3_jPlPS6_PKS6_NS0_5tupleIJS9_S6_EEENSD_IJSA_SA_EEENS0_18inequality_wrapperIZN2at6native12_GLOBAL__N_124unique_dim_cuda_templateIaEESt5tupleIJNSH_6TensorESM_SM_EERKSM_lbbbEUlllE0_EEPmJS6_EEE10hipError_tPvRmT3_T4_T5_T6_T7_T9_mT8_P12ihipStream_tbDpT10_ENKUlT_T0_E_clISt17integral_constantIbLb1EES1C_EEDaS17_S18_EUlS17_E_NS1_11comp_targetILNS1_3genE9ELNS1_11target_archE1100ELNS1_3gpuE3ELNS1_3repE0EEENS1_30default_config_static_selectorELNS0_4arch9wavefront6targetE1EEEvT1_
		.amdhsa_group_segment_fixed_size 0
		.amdhsa_private_segment_fixed_size 0
		.amdhsa_kernarg_size 136
		.amdhsa_user_sgpr_count 2
		.amdhsa_user_sgpr_dispatch_ptr 0
		.amdhsa_user_sgpr_queue_ptr 0
		.amdhsa_user_sgpr_kernarg_segment_ptr 1
		.amdhsa_user_sgpr_dispatch_id 0
		.amdhsa_user_sgpr_kernarg_preload_length 0
		.amdhsa_user_sgpr_kernarg_preload_offset 0
		.amdhsa_user_sgpr_private_segment_size 0
		.amdhsa_uses_dynamic_stack 0
		.amdhsa_enable_private_segment 0
		.amdhsa_system_sgpr_workgroup_id_x 1
		.amdhsa_system_sgpr_workgroup_id_y 0
		.amdhsa_system_sgpr_workgroup_id_z 0
		.amdhsa_system_sgpr_workgroup_info 0
		.amdhsa_system_vgpr_workitem_id 0
		.amdhsa_next_free_vgpr 1
		.amdhsa_next_free_sgpr 0
		.amdhsa_accum_offset 4
		.amdhsa_reserve_vcc 0
		.amdhsa_float_round_mode_32 0
		.amdhsa_float_round_mode_16_64 0
		.amdhsa_float_denorm_mode_32 3
		.amdhsa_float_denorm_mode_16_64 3
		.amdhsa_dx10_clamp 1
		.amdhsa_ieee_mode 1
		.amdhsa_fp16_overflow 0
		.amdhsa_tg_split 0
		.amdhsa_exception_fp_ieee_invalid_op 0
		.amdhsa_exception_fp_denorm_src 0
		.amdhsa_exception_fp_ieee_div_zero 0
		.amdhsa_exception_fp_ieee_overflow 0
		.amdhsa_exception_fp_ieee_underflow 0
		.amdhsa_exception_fp_ieee_inexact 0
		.amdhsa_exception_int_div_zero 0
	.end_amdhsa_kernel
	.section	.text._ZN7rocprim17ROCPRIM_400000_NS6detail17trampoline_kernelINS0_14default_configENS1_25partition_config_selectorILNS1_17partition_subalgoE8ElNS0_10empty_typeEbEEZZNS1_14partition_implILS5_8ELb0ES3_jPlPS6_PKS6_NS0_5tupleIJS9_S6_EEENSD_IJSA_SA_EEENS0_18inequality_wrapperIZN2at6native12_GLOBAL__N_124unique_dim_cuda_templateIaEESt5tupleIJNSH_6TensorESM_SM_EERKSM_lbbbEUlllE0_EEPmJS6_EEE10hipError_tPvRmT3_T4_T5_T6_T7_T9_mT8_P12ihipStream_tbDpT10_ENKUlT_T0_E_clISt17integral_constantIbLb1EES1C_EEDaS17_S18_EUlS17_E_NS1_11comp_targetILNS1_3genE9ELNS1_11target_archE1100ELNS1_3gpuE3ELNS1_3repE0EEENS1_30default_config_static_selectorELNS0_4arch9wavefront6targetE1EEEvT1_,"axG",@progbits,_ZN7rocprim17ROCPRIM_400000_NS6detail17trampoline_kernelINS0_14default_configENS1_25partition_config_selectorILNS1_17partition_subalgoE8ElNS0_10empty_typeEbEEZZNS1_14partition_implILS5_8ELb0ES3_jPlPS6_PKS6_NS0_5tupleIJS9_S6_EEENSD_IJSA_SA_EEENS0_18inequality_wrapperIZN2at6native12_GLOBAL__N_124unique_dim_cuda_templateIaEESt5tupleIJNSH_6TensorESM_SM_EERKSM_lbbbEUlllE0_EEPmJS6_EEE10hipError_tPvRmT3_T4_T5_T6_T7_T9_mT8_P12ihipStream_tbDpT10_ENKUlT_T0_E_clISt17integral_constantIbLb1EES1C_EEDaS17_S18_EUlS17_E_NS1_11comp_targetILNS1_3genE9ELNS1_11target_archE1100ELNS1_3gpuE3ELNS1_3repE0EEENS1_30default_config_static_selectorELNS0_4arch9wavefront6targetE1EEEvT1_,comdat
.Lfunc_end333:
	.size	_ZN7rocprim17ROCPRIM_400000_NS6detail17trampoline_kernelINS0_14default_configENS1_25partition_config_selectorILNS1_17partition_subalgoE8ElNS0_10empty_typeEbEEZZNS1_14partition_implILS5_8ELb0ES3_jPlPS6_PKS6_NS0_5tupleIJS9_S6_EEENSD_IJSA_SA_EEENS0_18inequality_wrapperIZN2at6native12_GLOBAL__N_124unique_dim_cuda_templateIaEESt5tupleIJNSH_6TensorESM_SM_EERKSM_lbbbEUlllE0_EEPmJS6_EEE10hipError_tPvRmT3_T4_T5_T6_T7_T9_mT8_P12ihipStream_tbDpT10_ENKUlT_T0_E_clISt17integral_constantIbLb1EES1C_EEDaS17_S18_EUlS17_E_NS1_11comp_targetILNS1_3genE9ELNS1_11target_archE1100ELNS1_3gpuE3ELNS1_3repE0EEENS1_30default_config_static_selectorELNS0_4arch9wavefront6targetE1EEEvT1_, .Lfunc_end333-_ZN7rocprim17ROCPRIM_400000_NS6detail17trampoline_kernelINS0_14default_configENS1_25partition_config_selectorILNS1_17partition_subalgoE8ElNS0_10empty_typeEbEEZZNS1_14partition_implILS5_8ELb0ES3_jPlPS6_PKS6_NS0_5tupleIJS9_S6_EEENSD_IJSA_SA_EEENS0_18inequality_wrapperIZN2at6native12_GLOBAL__N_124unique_dim_cuda_templateIaEESt5tupleIJNSH_6TensorESM_SM_EERKSM_lbbbEUlllE0_EEPmJS6_EEE10hipError_tPvRmT3_T4_T5_T6_T7_T9_mT8_P12ihipStream_tbDpT10_ENKUlT_T0_E_clISt17integral_constantIbLb1EES1C_EEDaS17_S18_EUlS17_E_NS1_11comp_targetILNS1_3genE9ELNS1_11target_archE1100ELNS1_3gpuE3ELNS1_3repE0EEENS1_30default_config_static_selectorELNS0_4arch9wavefront6targetE1EEEvT1_
                                        ; -- End function
	.set _ZN7rocprim17ROCPRIM_400000_NS6detail17trampoline_kernelINS0_14default_configENS1_25partition_config_selectorILNS1_17partition_subalgoE8ElNS0_10empty_typeEbEEZZNS1_14partition_implILS5_8ELb0ES3_jPlPS6_PKS6_NS0_5tupleIJS9_S6_EEENSD_IJSA_SA_EEENS0_18inequality_wrapperIZN2at6native12_GLOBAL__N_124unique_dim_cuda_templateIaEESt5tupleIJNSH_6TensorESM_SM_EERKSM_lbbbEUlllE0_EEPmJS6_EEE10hipError_tPvRmT3_T4_T5_T6_T7_T9_mT8_P12ihipStream_tbDpT10_ENKUlT_T0_E_clISt17integral_constantIbLb1EES1C_EEDaS17_S18_EUlS17_E_NS1_11comp_targetILNS1_3genE9ELNS1_11target_archE1100ELNS1_3gpuE3ELNS1_3repE0EEENS1_30default_config_static_selectorELNS0_4arch9wavefront6targetE1EEEvT1_.num_vgpr, 0
	.set _ZN7rocprim17ROCPRIM_400000_NS6detail17trampoline_kernelINS0_14default_configENS1_25partition_config_selectorILNS1_17partition_subalgoE8ElNS0_10empty_typeEbEEZZNS1_14partition_implILS5_8ELb0ES3_jPlPS6_PKS6_NS0_5tupleIJS9_S6_EEENSD_IJSA_SA_EEENS0_18inequality_wrapperIZN2at6native12_GLOBAL__N_124unique_dim_cuda_templateIaEESt5tupleIJNSH_6TensorESM_SM_EERKSM_lbbbEUlllE0_EEPmJS6_EEE10hipError_tPvRmT3_T4_T5_T6_T7_T9_mT8_P12ihipStream_tbDpT10_ENKUlT_T0_E_clISt17integral_constantIbLb1EES1C_EEDaS17_S18_EUlS17_E_NS1_11comp_targetILNS1_3genE9ELNS1_11target_archE1100ELNS1_3gpuE3ELNS1_3repE0EEENS1_30default_config_static_selectorELNS0_4arch9wavefront6targetE1EEEvT1_.num_agpr, 0
	.set _ZN7rocprim17ROCPRIM_400000_NS6detail17trampoline_kernelINS0_14default_configENS1_25partition_config_selectorILNS1_17partition_subalgoE8ElNS0_10empty_typeEbEEZZNS1_14partition_implILS5_8ELb0ES3_jPlPS6_PKS6_NS0_5tupleIJS9_S6_EEENSD_IJSA_SA_EEENS0_18inequality_wrapperIZN2at6native12_GLOBAL__N_124unique_dim_cuda_templateIaEESt5tupleIJNSH_6TensorESM_SM_EERKSM_lbbbEUlllE0_EEPmJS6_EEE10hipError_tPvRmT3_T4_T5_T6_T7_T9_mT8_P12ihipStream_tbDpT10_ENKUlT_T0_E_clISt17integral_constantIbLb1EES1C_EEDaS17_S18_EUlS17_E_NS1_11comp_targetILNS1_3genE9ELNS1_11target_archE1100ELNS1_3gpuE3ELNS1_3repE0EEENS1_30default_config_static_selectorELNS0_4arch9wavefront6targetE1EEEvT1_.numbered_sgpr, 0
	.set _ZN7rocprim17ROCPRIM_400000_NS6detail17trampoline_kernelINS0_14default_configENS1_25partition_config_selectorILNS1_17partition_subalgoE8ElNS0_10empty_typeEbEEZZNS1_14partition_implILS5_8ELb0ES3_jPlPS6_PKS6_NS0_5tupleIJS9_S6_EEENSD_IJSA_SA_EEENS0_18inequality_wrapperIZN2at6native12_GLOBAL__N_124unique_dim_cuda_templateIaEESt5tupleIJNSH_6TensorESM_SM_EERKSM_lbbbEUlllE0_EEPmJS6_EEE10hipError_tPvRmT3_T4_T5_T6_T7_T9_mT8_P12ihipStream_tbDpT10_ENKUlT_T0_E_clISt17integral_constantIbLb1EES1C_EEDaS17_S18_EUlS17_E_NS1_11comp_targetILNS1_3genE9ELNS1_11target_archE1100ELNS1_3gpuE3ELNS1_3repE0EEENS1_30default_config_static_selectorELNS0_4arch9wavefront6targetE1EEEvT1_.num_named_barrier, 0
	.set _ZN7rocprim17ROCPRIM_400000_NS6detail17trampoline_kernelINS0_14default_configENS1_25partition_config_selectorILNS1_17partition_subalgoE8ElNS0_10empty_typeEbEEZZNS1_14partition_implILS5_8ELb0ES3_jPlPS6_PKS6_NS0_5tupleIJS9_S6_EEENSD_IJSA_SA_EEENS0_18inequality_wrapperIZN2at6native12_GLOBAL__N_124unique_dim_cuda_templateIaEESt5tupleIJNSH_6TensorESM_SM_EERKSM_lbbbEUlllE0_EEPmJS6_EEE10hipError_tPvRmT3_T4_T5_T6_T7_T9_mT8_P12ihipStream_tbDpT10_ENKUlT_T0_E_clISt17integral_constantIbLb1EES1C_EEDaS17_S18_EUlS17_E_NS1_11comp_targetILNS1_3genE9ELNS1_11target_archE1100ELNS1_3gpuE3ELNS1_3repE0EEENS1_30default_config_static_selectorELNS0_4arch9wavefront6targetE1EEEvT1_.private_seg_size, 0
	.set _ZN7rocprim17ROCPRIM_400000_NS6detail17trampoline_kernelINS0_14default_configENS1_25partition_config_selectorILNS1_17partition_subalgoE8ElNS0_10empty_typeEbEEZZNS1_14partition_implILS5_8ELb0ES3_jPlPS6_PKS6_NS0_5tupleIJS9_S6_EEENSD_IJSA_SA_EEENS0_18inequality_wrapperIZN2at6native12_GLOBAL__N_124unique_dim_cuda_templateIaEESt5tupleIJNSH_6TensorESM_SM_EERKSM_lbbbEUlllE0_EEPmJS6_EEE10hipError_tPvRmT3_T4_T5_T6_T7_T9_mT8_P12ihipStream_tbDpT10_ENKUlT_T0_E_clISt17integral_constantIbLb1EES1C_EEDaS17_S18_EUlS17_E_NS1_11comp_targetILNS1_3genE9ELNS1_11target_archE1100ELNS1_3gpuE3ELNS1_3repE0EEENS1_30default_config_static_selectorELNS0_4arch9wavefront6targetE1EEEvT1_.uses_vcc, 0
	.set _ZN7rocprim17ROCPRIM_400000_NS6detail17trampoline_kernelINS0_14default_configENS1_25partition_config_selectorILNS1_17partition_subalgoE8ElNS0_10empty_typeEbEEZZNS1_14partition_implILS5_8ELb0ES3_jPlPS6_PKS6_NS0_5tupleIJS9_S6_EEENSD_IJSA_SA_EEENS0_18inequality_wrapperIZN2at6native12_GLOBAL__N_124unique_dim_cuda_templateIaEESt5tupleIJNSH_6TensorESM_SM_EERKSM_lbbbEUlllE0_EEPmJS6_EEE10hipError_tPvRmT3_T4_T5_T6_T7_T9_mT8_P12ihipStream_tbDpT10_ENKUlT_T0_E_clISt17integral_constantIbLb1EES1C_EEDaS17_S18_EUlS17_E_NS1_11comp_targetILNS1_3genE9ELNS1_11target_archE1100ELNS1_3gpuE3ELNS1_3repE0EEENS1_30default_config_static_selectorELNS0_4arch9wavefront6targetE1EEEvT1_.uses_flat_scratch, 0
	.set _ZN7rocprim17ROCPRIM_400000_NS6detail17trampoline_kernelINS0_14default_configENS1_25partition_config_selectorILNS1_17partition_subalgoE8ElNS0_10empty_typeEbEEZZNS1_14partition_implILS5_8ELb0ES3_jPlPS6_PKS6_NS0_5tupleIJS9_S6_EEENSD_IJSA_SA_EEENS0_18inequality_wrapperIZN2at6native12_GLOBAL__N_124unique_dim_cuda_templateIaEESt5tupleIJNSH_6TensorESM_SM_EERKSM_lbbbEUlllE0_EEPmJS6_EEE10hipError_tPvRmT3_T4_T5_T6_T7_T9_mT8_P12ihipStream_tbDpT10_ENKUlT_T0_E_clISt17integral_constantIbLb1EES1C_EEDaS17_S18_EUlS17_E_NS1_11comp_targetILNS1_3genE9ELNS1_11target_archE1100ELNS1_3gpuE3ELNS1_3repE0EEENS1_30default_config_static_selectorELNS0_4arch9wavefront6targetE1EEEvT1_.has_dyn_sized_stack, 0
	.set _ZN7rocprim17ROCPRIM_400000_NS6detail17trampoline_kernelINS0_14default_configENS1_25partition_config_selectorILNS1_17partition_subalgoE8ElNS0_10empty_typeEbEEZZNS1_14partition_implILS5_8ELb0ES3_jPlPS6_PKS6_NS0_5tupleIJS9_S6_EEENSD_IJSA_SA_EEENS0_18inequality_wrapperIZN2at6native12_GLOBAL__N_124unique_dim_cuda_templateIaEESt5tupleIJNSH_6TensorESM_SM_EERKSM_lbbbEUlllE0_EEPmJS6_EEE10hipError_tPvRmT3_T4_T5_T6_T7_T9_mT8_P12ihipStream_tbDpT10_ENKUlT_T0_E_clISt17integral_constantIbLb1EES1C_EEDaS17_S18_EUlS17_E_NS1_11comp_targetILNS1_3genE9ELNS1_11target_archE1100ELNS1_3gpuE3ELNS1_3repE0EEENS1_30default_config_static_selectorELNS0_4arch9wavefront6targetE1EEEvT1_.has_recursion, 0
	.set _ZN7rocprim17ROCPRIM_400000_NS6detail17trampoline_kernelINS0_14default_configENS1_25partition_config_selectorILNS1_17partition_subalgoE8ElNS0_10empty_typeEbEEZZNS1_14partition_implILS5_8ELb0ES3_jPlPS6_PKS6_NS0_5tupleIJS9_S6_EEENSD_IJSA_SA_EEENS0_18inequality_wrapperIZN2at6native12_GLOBAL__N_124unique_dim_cuda_templateIaEESt5tupleIJNSH_6TensorESM_SM_EERKSM_lbbbEUlllE0_EEPmJS6_EEE10hipError_tPvRmT3_T4_T5_T6_T7_T9_mT8_P12ihipStream_tbDpT10_ENKUlT_T0_E_clISt17integral_constantIbLb1EES1C_EEDaS17_S18_EUlS17_E_NS1_11comp_targetILNS1_3genE9ELNS1_11target_archE1100ELNS1_3gpuE3ELNS1_3repE0EEENS1_30default_config_static_selectorELNS0_4arch9wavefront6targetE1EEEvT1_.has_indirect_call, 0
	.section	.AMDGPU.csdata,"",@progbits
; Kernel info:
; codeLenInByte = 0
; TotalNumSgprs: 6
; NumVgprs: 0
; NumAgprs: 0
; TotalNumVgprs: 0
; ScratchSize: 0
; MemoryBound: 0
; FloatMode: 240
; IeeeMode: 1
; LDSByteSize: 0 bytes/workgroup (compile time only)
; SGPRBlocks: 0
; VGPRBlocks: 0
; NumSGPRsForWavesPerEU: 6
; NumVGPRsForWavesPerEU: 1
; AccumOffset: 4
; Occupancy: 8
; WaveLimiterHint : 0
; COMPUTE_PGM_RSRC2:SCRATCH_EN: 0
; COMPUTE_PGM_RSRC2:USER_SGPR: 2
; COMPUTE_PGM_RSRC2:TRAP_HANDLER: 0
; COMPUTE_PGM_RSRC2:TGID_X_EN: 1
; COMPUTE_PGM_RSRC2:TGID_Y_EN: 0
; COMPUTE_PGM_RSRC2:TGID_Z_EN: 0
; COMPUTE_PGM_RSRC2:TIDIG_COMP_CNT: 0
; COMPUTE_PGM_RSRC3_GFX90A:ACCUM_OFFSET: 0
; COMPUTE_PGM_RSRC3_GFX90A:TG_SPLIT: 0
	.section	.text._ZN7rocprim17ROCPRIM_400000_NS6detail17trampoline_kernelINS0_14default_configENS1_25partition_config_selectorILNS1_17partition_subalgoE8ElNS0_10empty_typeEbEEZZNS1_14partition_implILS5_8ELb0ES3_jPlPS6_PKS6_NS0_5tupleIJS9_S6_EEENSD_IJSA_SA_EEENS0_18inequality_wrapperIZN2at6native12_GLOBAL__N_124unique_dim_cuda_templateIaEESt5tupleIJNSH_6TensorESM_SM_EERKSM_lbbbEUlllE0_EEPmJS6_EEE10hipError_tPvRmT3_T4_T5_T6_T7_T9_mT8_P12ihipStream_tbDpT10_ENKUlT_T0_E_clISt17integral_constantIbLb1EES1C_EEDaS17_S18_EUlS17_E_NS1_11comp_targetILNS1_3genE8ELNS1_11target_archE1030ELNS1_3gpuE2ELNS1_3repE0EEENS1_30default_config_static_selectorELNS0_4arch9wavefront6targetE1EEEvT1_,"axG",@progbits,_ZN7rocprim17ROCPRIM_400000_NS6detail17trampoline_kernelINS0_14default_configENS1_25partition_config_selectorILNS1_17partition_subalgoE8ElNS0_10empty_typeEbEEZZNS1_14partition_implILS5_8ELb0ES3_jPlPS6_PKS6_NS0_5tupleIJS9_S6_EEENSD_IJSA_SA_EEENS0_18inequality_wrapperIZN2at6native12_GLOBAL__N_124unique_dim_cuda_templateIaEESt5tupleIJNSH_6TensorESM_SM_EERKSM_lbbbEUlllE0_EEPmJS6_EEE10hipError_tPvRmT3_T4_T5_T6_T7_T9_mT8_P12ihipStream_tbDpT10_ENKUlT_T0_E_clISt17integral_constantIbLb1EES1C_EEDaS17_S18_EUlS17_E_NS1_11comp_targetILNS1_3genE8ELNS1_11target_archE1030ELNS1_3gpuE2ELNS1_3repE0EEENS1_30default_config_static_selectorELNS0_4arch9wavefront6targetE1EEEvT1_,comdat
	.globl	_ZN7rocprim17ROCPRIM_400000_NS6detail17trampoline_kernelINS0_14default_configENS1_25partition_config_selectorILNS1_17partition_subalgoE8ElNS0_10empty_typeEbEEZZNS1_14partition_implILS5_8ELb0ES3_jPlPS6_PKS6_NS0_5tupleIJS9_S6_EEENSD_IJSA_SA_EEENS0_18inequality_wrapperIZN2at6native12_GLOBAL__N_124unique_dim_cuda_templateIaEESt5tupleIJNSH_6TensorESM_SM_EERKSM_lbbbEUlllE0_EEPmJS6_EEE10hipError_tPvRmT3_T4_T5_T6_T7_T9_mT8_P12ihipStream_tbDpT10_ENKUlT_T0_E_clISt17integral_constantIbLb1EES1C_EEDaS17_S18_EUlS17_E_NS1_11comp_targetILNS1_3genE8ELNS1_11target_archE1030ELNS1_3gpuE2ELNS1_3repE0EEENS1_30default_config_static_selectorELNS0_4arch9wavefront6targetE1EEEvT1_ ; -- Begin function _ZN7rocprim17ROCPRIM_400000_NS6detail17trampoline_kernelINS0_14default_configENS1_25partition_config_selectorILNS1_17partition_subalgoE8ElNS0_10empty_typeEbEEZZNS1_14partition_implILS5_8ELb0ES3_jPlPS6_PKS6_NS0_5tupleIJS9_S6_EEENSD_IJSA_SA_EEENS0_18inequality_wrapperIZN2at6native12_GLOBAL__N_124unique_dim_cuda_templateIaEESt5tupleIJNSH_6TensorESM_SM_EERKSM_lbbbEUlllE0_EEPmJS6_EEE10hipError_tPvRmT3_T4_T5_T6_T7_T9_mT8_P12ihipStream_tbDpT10_ENKUlT_T0_E_clISt17integral_constantIbLb1EES1C_EEDaS17_S18_EUlS17_E_NS1_11comp_targetILNS1_3genE8ELNS1_11target_archE1030ELNS1_3gpuE2ELNS1_3repE0EEENS1_30default_config_static_selectorELNS0_4arch9wavefront6targetE1EEEvT1_
	.p2align	8
	.type	_ZN7rocprim17ROCPRIM_400000_NS6detail17trampoline_kernelINS0_14default_configENS1_25partition_config_selectorILNS1_17partition_subalgoE8ElNS0_10empty_typeEbEEZZNS1_14partition_implILS5_8ELb0ES3_jPlPS6_PKS6_NS0_5tupleIJS9_S6_EEENSD_IJSA_SA_EEENS0_18inequality_wrapperIZN2at6native12_GLOBAL__N_124unique_dim_cuda_templateIaEESt5tupleIJNSH_6TensorESM_SM_EERKSM_lbbbEUlllE0_EEPmJS6_EEE10hipError_tPvRmT3_T4_T5_T6_T7_T9_mT8_P12ihipStream_tbDpT10_ENKUlT_T0_E_clISt17integral_constantIbLb1EES1C_EEDaS17_S18_EUlS17_E_NS1_11comp_targetILNS1_3genE8ELNS1_11target_archE1030ELNS1_3gpuE2ELNS1_3repE0EEENS1_30default_config_static_selectorELNS0_4arch9wavefront6targetE1EEEvT1_,@function
_ZN7rocprim17ROCPRIM_400000_NS6detail17trampoline_kernelINS0_14default_configENS1_25partition_config_selectorILNS1_17partition_subalgoE8ElNS0_10empty_typeEbEEZZNS1_14partition_implILS5_8ELb0ES3_jPlPS6_PKS6_NS0_5tupleIJS9_S6_EEENSD_IJSA_SA_EEENS0_18inequality_wrapperIZN2at6native12_GLOBAL__N_124unique_dim_cuda_templateIaEESt5tupleIJNSH_6TensorESM_SM_EERKSM_lbbbEUlllE0_EEPmJS6_EEE10hipError_tPvRmT3_T4_T5_T6_T7_T9_mT8_P12ihipStream_tbDpT10_ENKUlT_T0_E_clISt17integral_constantIbLb1EES1C_EEDaS17_S18_EUlS17_E_NS1_11comp_targetILNS1_3genE8ELNS1_11target_archE1030ELNS1_3gpuE2ELNS1_3repE0EEENS1_30default_config_static_selectorELNS0_4arch9wavefront6targetE1EEEvT1_: ; @_ZN7rocprim17ROCPRIM_400000_NS6detail17trampoline_kernelINS0_14default_configENS1_25partition_config_selectorILNS1_17partition_subalgoE8ElNS0_10empty_typeEbEEZZNS1_14partition_implILS5_8ELb0ES3_jPlPS6_PKS6_NS0_5tupleIJS9_S6_EEENSD_IJSA_SA_EEENS0_18inequality_wrapperIZN2at6native12_GLOBAL__N_124unique_dim_cuda_templateIaEESt5tupleIJNSH_6TensorESM_SM_EERKSM_lbbbEUlllE0_EEPmJS6_EEE10hipError_tPvRmT3_T4_T5_T6_T7_T9_mT8_P12ihipStream_tbDpT10_ENKUlT_T0_E_clISt17integral_constantIbLb1EES1C_EEDaS17_S18_EUlS17_E_NS1_11comp_targetILNS1_3genE8ELNS1_11target_archE1030ELNS1_3gpuE2ELNS1_3repE0EEENS1_30default_config_static_selectorELNS0_4arch9wavefront6targetE1EEEvT1_
; %bb.0:
	.section	.rodata,"a",@progbits
	.p2align	6, 0x0
	.amdhsa_kernel _ZN7rocprim17ROCPRIM_400000_NS6detail17trampoline_kernelINS0_14default_configENS1_25partition_config_selectorILNS1_17partition_subalgoE8ElNS0_10empty_typeEbEEZZNS1_14partition_implILS5_8ELb0ES3_jPlPS6_PKS6_NS0_5tupleIJS9_S6_EEENSD_IJSA_SA_EEENS0_18inequality_wrapperIZN2at6native12_GLOBAL__N_124unique_dim_cuda_templateIaEESt5tupleIJNSH_6TensorESM_SM_EERKSM_lbbbEUlllE0_EEPmJS6_EEE10hipError_tPvRmT3_T4_T5_T6_T7_T9_mT8_P12ihipStream_tbDpT10_ENKUlT_T0_E_clISt17integral_constantIbLb1EES1C_EEDaS17_S18_EUlS17_E_NS1_11comp_targetILNS1_3genE8ELNS1_11target_archE1030ELNS1_3gpuE2ELNS1_3repE0EEENS1_30default_config_static_selectorELNS0_4arch9wavefront6targetE1EEEvT1_
		.amdhsa_group_segment_fixed_size 0
		.amdhsa_private_segment_fixed_size 0
		.amdhsa_kernarg_size 136
		.amdhsa_user_sgpr_count 2
		.amdhsa_user_sgpr_dispatch_ptr 0
		.amdhsa_user_sgpr_queue_ptr 0
		.amdhsa_user_sgpr_kernarg_segment_ptr 1
		.amdhsa_user_sgpr_dispatch_id 0
		.amdhsa_user_sgpr_kernarg_preload_length 0
		.amdhsa_user_sgpr_kernarg_preload_offset 0
		.amdhsa_user_sgpr_private_segment_size 0
		.amdhsa_uses_dynamic_stack 0
		.amdhsa_enable_private_segment 0
		.amdhsa_system_sgpr_workgroup_id_x 1
		.amdhsa_system_sgpr_workgroup_id_y 0
		.amdhsa_system_sgpr_workgroup_id_z 0
		.amdhsa_system_sgpr_workgroup_info 0
		.amdhsa_system_vgpr_workitem_id 0
		.amdhsa_next_free_vgpr 1
		.amdhsa_next_free_sgpr 0
		.amdhsa_accum_offset 4
		.amdhsa_reserve_vcc 0
		.amdhsa_float_round_mode_32 0
		.amdhsa_float_round_mode_16_64 0
		.amdhsa_float_denorm_mode_32 3
		.amdhsa_float_denorm_mode_16_64 3
		.amdhsa_dx10_clamp 1
		.amdhsa_ieee_mode 1
		.amdhsa_fp16_overflow 0
		.amdhsa_tg_split 0
		.amdhsa_exception_fp_ieee_invalid_op 0
		.amdhsa_exception_fp_denorm_src 0
		.amdhsa_exception_fp_ieee_div_zero 0
		.amdhsa_exception_fp_ieee_overflow 0
		.amdhsa_exception_fp_ieee_underflow 0
		.amdhsa_exception_fp_ieee_inexact 0
		.amdhsa_exception_int_div_zero 0
	.end_amdhsa_kernel
	.section	.text._ZN7rocprim17ROCPRIM_400000_NS6detail17trampoline_kernelINS0_14default_configENS1_25partition_config_selectorILNS1_17partition_subalgoE8ElNS0_10empty_typeEbEEZZNS1_14partition_implILS5_8ELb0ES3_jPlPS6_PKS6_NS0_5tupleIJS9_S6_EEENSD_IJSA_SA_EEENS0_18inequality_wrapperIZN2at6native12_GLOBAL__N_124unique_dim_cuda_templateIaEESt5tupleIJNSH_6TensorESM_SM_EERKSM_lbbbEUlllE0_EEPmJS6_EEE10hipError_tPvRmT3_T4_T5_T6_T7_T9_mT8_P12ihipStream_tbDpT10_ENKUlT_T0_E_clISt17integral_constantIbLb1EES1C_EEDaS17_S18_EUlS17_E_NS1_11comp_targetILNS1_3genE8ELNS1_11target_archE1030ELNS1_3gpuE2ELNS1_3repE0EEENS1_30default_config_static_selectorELNS0_4arch9wavefront6targetE1EEEvT1_,"axG",@progbits,_ZN7rocprim17ROCPRIM_400000_NS6detail17trampoline_kernelINS0_14default_configENS1_25partition_config_selectorILNS1_17partition_subalgoE8ElNS0_10empty_typeEbEEZZNS1_14partition_implILS5_8ELb0ES3_jPlPS6_PKS6_NS0_5tupleIJS9_S6_EEENSD_IJSA_SA_EEENS0_18inequality_wrapperIZN2at6native12_GLOBAL__N_124unique_dim_cuda_templateIaEESt5tupleIJNSH_6TensorESM_SM_EERKSM_lbbbEUlllE0_EEPmJS6_EEE10hipError_tPvRmT3_T4_T5_T6_T7_T9_mT8_P12ihipStream_tbDpT10_ENKUlT_T0_E_clISt17integral_constantIbLb1EES1C_EEDaS17_S18_EUlS17_E_NS1_11comp_targetILNS1_3genE8ELNS1_11target_archE1030ELNS1_3gpuE2ELNS1_3repE0EEENS1_30default_config_static_selectorELNS0_4arch9wavefront6targetE1EEEvT1_,comdat
.Lfunc_end334:
	.size	_ZN7rocprim17ROCPRIM_400000_NS6detail17trampoline_kernelINS0_14default_configENS1_25partition_config_selectorILNS1_17partition_subalgoE8ElNS0_10empty_typeEbEEZZNS1_14partition_implILS5_8ELb0ES3_jPlPS6_PKS6_NS0_5tupleIJS9_S6_EEENSD_IJSA_SA_EEENS0_18inequality_wrapperIZN2at6native12_GLOBAL__N_124unique_dim_cuda_templateIaEESt5tupleIJNSH_6TensorESM_SM_EERKSM_lbbbEUlllE0_EEPmJS6_EEE10hipError_tPvRmT3_T4_T5_T6_T7_T9_mT8_P12ihipStream_tbDpT10_ENKUlT_T0_E_clISt17integral_constantIbLb1EES1C_EEDaS17_S18_EUlS17_E_NS1_11comp_targetILNS1_3genE8ELNS1_11target_archE1030ELNS1_3gpuE2ELNS1_3repE0EEENS1_30default_config_static_selectorELNS0_4arch9wavefront6targetE1EEEvT1_, .Lfunc_end334-_ZN7rocprim17ROCPRIM_400000_NS6detail17trampoline_kernelINS0_14default_configENS1_25partition_config_selectorILNS1_17partition_subalgoE8ElNS0_10empty_typeEbEEZZNS1_14partition_implILS5_8ELb0ES3_jPlPS6_PKS6_NS0_5tupleIJS9_S6_EEENSD_IJSA_SA_EEENS0_18inequality_wrapperIZN2at6native12_GLOBAL__N_124unique_dim_cuda_templateIaEESt5tupleIJNSH_6TensorESM_SM_EERKSM_lbbbEUlllE0_EEPmJS6_EEE10hipError_tPvRmT3_T4_T5_T6_T7_T9_mT8_P12ihipStream_tbDpT10_ENKUlT_T0_E_clISt17integral_constantIbLb1EES1C_EEDaS17_S18_EUlS17_E_NS1_11comp_targetILNS1_3genE8ELNS1_11target_archE1030ELNS1_3gpuE2ELNS1_3repE0EEENS1_30default_config_static_selectorELNS0_4arch9wavefront6targetE1EEEvT1_
                                        ; -- End function
	.set _ZN7rocprim17ROCPRIM_400000_NS6detail17trampoline_kernelINS0_14default_configENS1_25partition_config_selectorILNS1_17partition_subalgoE8ElNS0_10empty_typeEbEEZZNS1_14partition_implILS5_8ELb0ES3_jPlPS6_PKS6_NS0_5tupleIJS9_S6_EEENSD_IJSA_SA_EEENS0_18inequality_wrapperIZN2at6native12_GLOBAL__N_124unique_dim_cuda_templateIaEESt5tupleIJNSH_6TensorESM_SM_EERKSM_lbbbEUlllE0_EEPmJS6_EEE10hipError_tPvRmT3_T4_T5_T6_T7_T9_mT8_P12ihipStream_tbDpT10_ENKUlT_T0_E_clISt17integral_constantIbLb1EES1C_EEDaS17_S18_EUlS17_E_NS1_11comp_targetILNS1_3genE8ELNS1_11target_archE1030ELNS1_3gpuE2ELNS1_3repE0EEENS1_30default_config_static_selectorELNS0_4arch9wavefront6targetE1EEEvT1_.num_vgpr, 0
	.set _ZN7rocprim17ROCPRIM_400000_NS6detail17trampoline_kernelINS0_14default_configENS1_25partition_config_selectorILNS1_17partition_subalgoE8ElNS0_10empty_typeEbEEZZNS1_14partition_implILS5_8ELb0ES3_jPlPS6_PKS6_NS0_5tupleIJS9_S6_EEENSD_IJSA_SA_EEENS0_18inequality_wrapperIZN2at6native12_GLOBAL__N_124unique_dim_cuda_templateIaEESt5tupleIJNSH_6TensorESM_SM_EERKSM_lbbbEUlllE0_EEPmJS6_EEE10hipError_tPvRmT3_T4_T5_T6_T7_T9_mT8_P12ihipStream_tbDpT10_ENKUlT_T0_E_clISt17integral_constantIbLb1EES1C_EEDaS17_S18_EUlS17_E_NS1_11comp_targetILNS1_3genE8ELNS1_11target_archE1030ELNS1_3gpuE2ELNS1_3repE0EEENS1_30default_config_static_selectorELNS0_4arch9wavefront6targetE1EEEvT1_.num_agpr, 0
	.set _ZN7rocprim17ROCPRIM_400000_NS6detail17trampoline_kernelINS0_14default_configENS1_25partition_config_selectorILNS1_17partition_subalgoE8ElNS0_10empty_typeEbEEZZNS1_14partition_implILS5_8ELb0ES3_jPlPS6_PKS6_NS0_5tupleIJS9_S6_EEENSD_IJSA_SA_EEENS0_18inequality_wrapperIZN2at6native12_GLOBAL__N_124unique_dim_cuda_templateIaEESt5tupleIJNSH_6TensorESM_SM_EERKSM_lbbbEUlllE0_EEPmJS6_EEE10hipError_tPvRmT3_T4_T5_T6_T7_T9_mT8_P12ihipStream_tbDpT10_ENKUlT_T0_E_clISt17integral_constantIbLb1EES1C_EEDaS17_S18_EUlS17_E_NS1_11comp_targetILNS1_3genE8ELNS1_11target_archE1030ELNS1_3gpuE2ELNS1_3repE0EEENS1_30default_config_static_selectorELNS0_4arch9wavefront6targetE1EEEvT1_.numbered_sgpr, 0
	.set _ZN7rocprim17ROCPRIM_400000_NS6detail17trampoline_kernelINS0_14default_configENS1_25partition_config_selectorILNS1_17partition_subalgoE8ElNS0_10empty_typeEbEEZZNS1_14partition_implILS5_8ELb0ES3_jPlPS6_PKS6_NS0_5tupleIJS9_S6_EEENSD_IJSA_SA_EEENS0_18inequality_wrapperIZN2at6native12_GLOBAL__N_124unique_dim_cuda_templateIaEESt5tupleIJNSH_6TensorESM_SM_EERKSM_lbbbEUlllE0_EEPmJS6_EEE10hipError_tPvRmT3_T4_T5_T6_T7_T9_mT8_P12ihipStream_tbDpT10_ENKUlT_T0_E_clISt17integral_constantIbLb1EES1C_EEDaS17_S18_EUlS17_E_NS1_11comp_targetILNS1_3genE8ELNS1_11target_archE1030ELNS1_3gpuE2ELNS1_3repE0EEENS1_30default_config_static_selectorELNS0_4arch9wavefront6targetE1EEEvT1_.num_named_barrier, 0
	.set _ZN7rocprim17ROCPRIM_400000_NS6detail17trampoline_kernelINS0_14default_configENS1_25partition_config_selectorILNS1_17partition_subalgoE8ElNS0_10empty_typeEbEEZZNS1_14partition_implILS5_8ELb0ES3_jPlPS6_PKS6_NS0_5tupleIJS9_S6_EEENSD_IJSA_SA_EEENS0_18inequality_wrapperIZN2at6native12_GLOBAL__N_124unique_dim_cuda_templateIaEESt5tupleIJNSH_6TensorESM_SM_EERKSM_lbbbEUlllE0_EEPmJS6_EEE10hipError_tPvRmT3_T4_T5_T6_T7_T9_mT8_P12ihipStream_tbDpT10_ENKUlT_T0_E_clISt17integral_constantIbLb1EES1C_EEDaS17_S18_EUlS17_E_NS1_11comp_targetILNS1_3genE8ELNS1_11target_archE1030ELNS1_3gpuE2ELNS1_3repE0EEENS1_30default_config_static_selectorELNS0_4arch9wavefront6targetE1EEEvT1_.private_seg_size, 0
	.set _ZN7rocprim17ROCPRIM_400000_NS6detail17trampoline_kernelINS0_14default_configENS1_25partition_config_selectorILNS1_17partition_subalgoE8ElNS0_10empty_typeEbEEZZNS1_14partition_implILS5_8ELb0ES3_jPlPS6_PKS6_NS0_5tupleIJS9_S6_EEENSD_IJSA_SA_EEENS0_18inequality_wrapperIZN2at6native12_GLOBAL__N_124unique_dim_cuda_templateIaEESt5tupleIJNSH_6TensorESM_SM_EERKSM_lbbbEUlllE0_EEPmJS6_EEE10hipError_tPvRmT3_T4_T5_T6_T7_T9_mT8_P12ihipStream_tbDpT10_ENKUlT_T0_E_clISt17integral_constantIbLb1EES1C_EEDaS17_S18_EUlS17_E_NS1_11comp_targetILNS1_3genE8ELNS1_11target_archE1030ELNS1_3gpuE2ELNS1_3repE0EEENS1_30default_config_static_selectorELNS0_4arch9wavefront6targetE1EEEvT1_.uses_vcc, 0
	.set _ZN7rocprim17ROCPRIM_400000_NS6detail17trampoline_kernelINS0_14default_configENS1_25partition_config_selectorILNS1_17partition_subalgoE8ElNS0_10empty_typeEbEEZZNS1_14partition_implILS5_8ELb0ES3_jPlPS6_PKS6_NS0_5tupleIJS9_S6_EEENSD_IJSA_SA_EEENS0_18inequality_wrapperIZN2at6native12_GLOBAL__N_124unique_dim_cuda_templateIaEESt5tupleIJNSH_6TensorESM_SM_EERKSM_lbbbEUlllE0_EEPmJS6_EEE10hipError_tPvRmT3_T4_T5_T6_T7_T9_mT8_P12ihipStream_tbDpT10_ENKUlT_T0_E_clISt17integral_constantIbLb1EES1C_EEDaS17_S18_EUlS17_E_NS1_11comp_targetILNS1_3genE8ELNS1_11target_archE1030ELNS1_3gpuE2ELNS1_3repE0EEENS1_30default_config_static_selectorELNS0_4arch9wavefront6targetE1EEEvT1_.uses_flat_scratch, 0
	.set _ZN7rocprim17ROCPRIM_400000_NS6detail17trampoline_kernelINS0_14default_configENS1_25partition_config_selectorILNS1_17partition_subalgoE8ElNS0_10empty_typeEbEEZZNS1_14partition_implILS5_8ELb0ES3_jPlPS6_PKS6_NS0_5tupleIJS9_S6_EEENSD_IJSA_SA_EEENS0_18inequality_wrapperIZN2at6native12_GLOBAL__N_124unique_dim_cuda_templateIaEESt5tupleIJNSH_6TensorESM_SM_EERKSM_lbbbEUlllE0_EEPmJS6_EEE10hipError_tPvRmT3_T4_T5_T6_T7_T9_mT8_P12ihipStream_tbDpT10_ENKUlT_T0_E_clISt17integral_constantIbLb1EES1C_EEDaS17_S18_EUlS17_E_NS1_11comp_targetILNS1_3genE8ELNS1_11target_archE1030ELNS1_3gpuE2ELNS1_3repE0EEENS1_30default_config_static_selectorELNS0_4arch9wavefront6targetE1EEEvT1_.has_dyn_sized_stack, 0
	.set _ZN7rocprim17ROCPRIM_400000_NS6detail17trampoline_kernelINS0_14default_configENS1_25partition_config_selectorILNS1_17partition_subalgoE8ElNS0_10empty_typeEbEEZZNS1_14partition_implILS5_8ELb0ES3_jPlPS6_PKS6_NS0_5tupleIJS9_S6_EEENSD_IJSA_SA_EEENS0_18inequality_wrapperIZN2at6native12_GLOBAL__N_124unique_dim_cuda_templateIaEESt5tupleIJNSH_6TensorESM_SM_EERKSM_lbbbEUlllE0_EEPmJS6_EEE10hipError_tPvRmT3_T4_T5_T6_T7_T9_mT8_P12ihipStream_tbDpT10_ENKUlT_T0_E_clISt17integral_constantIbLb1EES1C_EEDaS17_S18_EUlS17_E_NS1_11comp_targetILNS1_3genE8ELNS1_11target_archE1030ELNS1_3gpuE2ELNS1_3repE0EEENS1_30default_config_static_selectorELNS0_4arch9wavefront6targetE1EEEvT1_.has_recursion, 0
	.set _ZN7rocprim17ROCPRIM_400000_NS6detail17trampoline_kernelINS0_14default_configENS1_25partition_config_selectorILNS1_17partition_subalgoE8ElNS0_10empty_typeEbEEZZNS1_14partition_implILS5_8ELb0ES3_jPlPS6_PKS6_NS0_5tupleIJS9_S6_EEENSD_IJSA_SA_EEENS0_18inequality_wrapperIZN2at6native12_GLOBAL__N_124unique_dim_cuda_templateIaEESt5tupleIJNSH_6TensorESM_SM_EERKSM_lbbbEUlllE0_EEPmJS6_EEE10hipError_tPvRmT3_T4_T5_T6_T7_T9_mT8_P12ihipStream_tbDpT10_ENKUlT_T0_E_clISt17integral_constantIbLb1EES1C_EEDaS17_S18_EUlS17_E_NS1_11comp_targetILNS1_3genE8ELNS1_11target_archE1030ELNS1_3gpuE2ELNS1_3repE0EEENS1_30default_config_static_selectorELNS0_4arch9wavefront6targetE1EEEvT1_.has_indirect_call, 0
	.section	.AMDGPU.csdata,"",@progbits
; Kernel info:
; codeLenInByte = 0
; TotalNumSgprs: 6
; NumVgprs: 0
; NumAgprs: 0
; TotalNumVgprs: 0
; ScratchSize: 0
; MemoryBound: 0
; FloatMode: 240
; IeeeMode: 1
; LDSByteSize: 0 bytes/workgroup (compile time only)
; SGPRBlocks: 0
; VGPRBlocks: 0
; NumSGPRsForWavesPerEU: 6
; NumVGPRsForWavesPerEU: 1
; AccumOffset: 4
; Occupancy: 8
; WaveLimiterHint : 0
; COMPUTE_PGM_RSRC2:SCRATCH_EN: 0
; COMPUTE_PGM_RSRC2:USER_SGPR: 2
; COMPUTE_PGM_RSRC2:TRAP_HANDLER: 0
; COMPUTE_PGM_RSRC2:TGID_X_EN: 1
; COMPUTE_PGM_RSRC2:TGID_Y_EN: 0
; COMPUTE_PGM_RSRC2:TGID_Z_EN: 0
; COMPUTE_PGM_RSRC2:TIDIG_COMP_CNT: 0
; COMPUTE_PGM_RSRC3_GFX90A:ACCUM_OFFSET: 0
; COMPUTE_PGM_RSRC3_GFX90A:TG_SPLIT: 0
	.section	.text._ZN7rocprim17ROCPRIM_400000_NS6detail17trampoline_kernelINS0_14default_configENS1_25partition_config_selectorILNS1_17partition_subalgoE8ElNS0_10empty_typeEbEEZZNS1_14partition_implILS5_8ELb0ES3_jPlPS6_PKS6_NS0_5tupleIJS9_S6_EEENSD_IJSA_SA_EEENS0_18inequality_wrapperIZN2at6native12_GLOBAL__N_124unique_dim_cuda_templateIaEESt5tupleIJNSH_6TensorESM_SM_EERKSM_lbbbEUlllE0_EEPmJS6_EEE10hipError_tPvRmT3_T4_T5_T6_T7_T9_mT8_P12ihipStream_tbDpT10_ENKUlT_T0_E_clISt17integral_constantIbLb1EES1B_IbLb0EEEEDaS17_S18_EUlS17_E_NS1_11comp_targetILNS1_3genE0ELNS1_11target_archE4294967295ELNS1_3gpuE0ELNS1_3repE0EEENS1_30default_config_static_selectorELNS0_4arch9wavefront6targetE1EEEvT1_,"axG",@progbits,_ZN7rocprim17ROCPRIM_400000_NS6detail17trampoline_kernelINS0_14default_configENS1_25partition_config_selectorILNS1_17partition_subalgoE8ElNS0_10empty_typeEbEEZZNS1_14partition_implILS5_8ELb0ES3_jPlPS6_PKS6_NS0_5tupleIJS9_S6_EEENSD_IJSA_SA_EEENS0_18inequality_wrapperIZN2at6native12_GLOBAL__N_124unique_dim_cuda_templateIaEESt5tupleIJNSH_6TensorESM_SM_EERKSM_lbbbEUlllE0_EEPmJS6_EEE10hipError_tPvRmT3_T4_T5_T6_T7_T9_mT8_P12ihipStream_tbDpT10_ENKUlT_T0_E_clISt17integral_constantIbLb1EES1B_IbLb0EEEEDaS17_S18_EUlS17_E_NS1_11comp_targetILNS1_3genE0ELNS1_11target_archE4294967295ELNS1_3gpuE0ELNS1_3repE0EEENS1_30default_config_static_selectorELNS0_4arch9wavefront6targetE1EEEvT1_,comdat
	.globl	_ZN7rocprim17ROCPRIM_400000_NS6detail17trampoline_kernelINS0_14default_configENS1_25partition_config_selectorILNS1_17partition_subalgoE8ElNS0_10empty_typeEbEEZZNS1_14partition_implILS5_8ELb0ES3_jPlPS6_PKS6_NS0_5tupleIJS9_S6_EEENSD_IJSA_SA_EEENS0_18inequality_wrapperIZN2at6native12_GLOBAL__N_124unique_dim_cuda_templateIaEESt5tupleIJNSH_6TensorESM_SM_EERKSM_lbbbEUlllE0_EEPmJS6_EEE10hipError_tPvRmT3_T4_T5_T6_T7_T9_mT8_P12ihipStream_tbDpT10_ENKUlT_T0_E_clISt17integral_constantIbLb1EES1B_IbLb0EEEEDaS17_S18_EUlS17_E_NS1_11comp_targetILNS1_3genE0ELNS1_11target_archE4294967295ELNS1_3gpuE0ELNS1_3repE0EEENS1_30default_config_static_selectorELNS0_4arch9wavefront6targetE1EEEvT1_ ; -- Begin function _ZN7rocprim17ROCPRIM_400000_NS6detail17trampoline_kernelINS0_14default_configENS1_25partition_config_selectorILNS1_17partition_subalgoE8ElNS0_10empty_typeEbEEZZNS1_14partition_implILS5_8ELb0ES3_jPlPS6_PKS6_NS0_5tupleIJS9_S6_EEENSD_IJSA_SA_EEENS0_18inequality_wrapperIZN2at6native12_GLOBAL__N_124unique_dim_cuda_templateIaEESt5tupleIJNSH_6TensorESM_SM_EERKSM_lbbbEUlllE0_EEPmJS6_EEE10hipError_tPvRmT3_T4_T5_T6_T7_T9_mT8_P12ihipStream_tbDpT10_ENKUlT_T0_E_clISt17integral_constantIbLb1EES1B_IbLb0EEEEDaS17_S18_EUlS17_E_NS1_11comp_targetILNS1_3genE0ELNS1_11target_archE4294967295ELNS1_3gpuE0ELNS1_3repE0EEENS1_30default_config_static_selectorELNS0_4arch9wavefront6targetE1EEEvT1_
	.p2align	8
	.type	_ZN7rocprim17ROCPRIM_400000_NS6detail17trampoline_kernelINS0_14default_configENS1_25partition_config_selectorILNS1_17partition_subalgoE8ElNS0_10empty_typeEbEEZZNS1_14partition_implILS5_8ELb0ES3_jPlPS6_PKS6_NS0_5tupleIJS9_S6_EEENSD_IJSA_SA_EEENS0_18inequality_wrapperIZN2at6native12_GLOBAL__N_124unique_dim_cuda_templateIaEESt5tupleIJNSH_6TensorESM_SM_EERKSM_lbbbEUlllE0_EEPmJS6_EEE10hipError_tPvRmT3_T4_T5_T6_T7_T9_mT8_P12ihipStream_tbDpT10_ENKUlT_T0_E_clISt17integral_constantIbLb1EES1B_IbLb0EEEEDaS17_S18_EUlS17_E_NS1_11comp_targetILNS1_3genE0ELNS1_11target_archE4294967295ELNS1_3gpuE0ELNS1_3repE0EEENS1_30default_config_static_selectorELNS0_4arch9wavefront6targetE1EEEvT1_,@function
_ZN7rocprim17ROCPRIM_400000_NS6detail17trampoline_kernelINS0_14default_configENS1_25partition_config_selectorILNS1_17partition_subalgoE8ElNS0_10empty_typeEbEEZZNS1_14partition_implILS5_8ELb0ES3_jPlPS6_PKS6_NS0_5tupleIJS9_S6_EEENSD_IJSA_SA_EEENS0_18inequality_wrapperIZN2at6native12_GLOBAL__N_124unique_dim_cuda_templateIaEESt5tupleIJNSH_6TensorESM_SM_EERKSM_lbbbEUlllE0_EEPmJS6_EEE10hipError_tPvRmT3_T4_T5_T6_T7_T9_mT8_P12ihipStream_tbDpT10_ENKUlT_T0_E_clISt17integral_constantIbLb1EES1B_IbLb0EEEEDaS17_S18_EUlS17_E_NS1_11comp_targetILNS1_3genE0ELNS1_11target_archE4294967295ELNS1_3gpuE0ELNS1_3repE0EEENS1_30default_config_static_selectorELNS0_4arch9wavefront6targetE1EEEvT1_: ; @_ZN7rocprim17ROCPRIM_400000_NS6detail17trampoline_kernelINS0_14default_configENS1_25partition_config_selectorILNS1_17partition_subalgoE8ElNS0_10empty_typeEbEEZZNS1_14partition_implILS5_8ELb0ES3_jPlPS6_PKS6_NS0_5tupleIJS9_S6_EEENSD_IJSA_SA_EEENS0_18inequality_wrapperIZN2at6native12_GLOBAL__N_124unique_dim_cuda_templateIaEESt5tupleIJNSH_6TensorESM_SM_EERKSM_lbbbEUlllE0_EEPmJS6_EEE10hipError_tPvRmT3_T4_T5_T6_T7_T9_mT8_P12ihipStream_tbDpT10_ENKUlT_T0_E_clISt17integral_constantIbLb1EES1B_IbLb0EEEEDaS17_S18_EUlS17_E_NS1_11comp_targetILNS1_3genE0ELNS1_11target_archE4294967295ELNS1_3gpuE0ELNS1_3repE0EEENS1_30default_config_static_selectorELNS0_4arch9wavefront6targetE1EEEvT1_
; %bb.0:
	s_endpgm
	.section	.rodata,"a",@progbits
	.p2align	6, 0x0
	.amdhsa_kernel _ZN7rocprim17ROCPRIM_400000_NS6detail17trampoline_kernelINS0_14default_configENS1_25partition_config_selectorILNS1_17partition_subalgoE8ElNS0_10empty_typeEbEEZZNS1_14partition_implILS5_8ELb0ES3_jPlPS6_PKS6_NS0_5tupleIJS9_S6_EEENSD_IJSA_SA_EEENS0_18inequality_wrapperIZN2at6native12_GLOBAL__N_124unique_dim_cuda_templateIaEESt5tupleIJNSH_6TensorESM_SM_EERKSM_lbbbEUlllE0_EEPmJS6_EEE10hipError_tPvRmT3_T4_T5_T6_T7_T9_mT8_P12ihipStream_tbDpT10_ENKUlT_T0_E_clISt17integral_constantIbLb1EES1B_IbLb0EEEEDaS17_S18_EUlS17_E_NS1_11comp_targetILNS1_3genE0ELNS1_11target_archE4294967295ELNS1_3gpuE0ELNS1_3repE0EEENS1_30default_config_static_selectorELNS0_4arch9wavefront6targetE1EEEvT1_
		.amdhsa_group_segment_fixed_size 0
		.amdhsa_private_segment_fixed_size 0
		.amdhsa_kernarg_size 120
		.amdhsa_user_sgpr_count 2
		.amdhsa_user_sgpr_dispatch_ptr 0
		.amdhsa_user_sgpr_queue_ptr 0
		.amdhsa_user_sgpr_kernarg_segment_ptr 1
		.amdhsa_user_sgpr_dispatch_id 0
		.amdhsa_user_sgpr_kernarg_preload_length 0
		.amdhsa_user_sgpr_kernarg_preload_offset 0
		.amdhsa_user_sgpr_private_segment_size 0
		.amdhsa_uses_dynamic_stack 0
		.amdhsa_enable_private_segment 0
		.amdhsa_system_sgpr_workgroup_id_x 1
		.amdhsa_system_sgpr_workgroup_id_y 0
		.amdhsa_system_sgpr_workgroup_id_z 0
		.amdhsa_system_sgpr_workgroup_info 0
		.amdhsa_system_vgpr_workitem_id 0
		.amdhsa_next_free_vgpr 1
		.amdhsa_next_free_sgpr 0
		.amdhsa_accum_offset 4
		.amdhsa_reserve_vcc 0
		.amdhsa_float_round_mode_32 0
		.amdhsa_float_round_mode_16_64 0
		.amdhsa_float_denorm_mode_32 3
		.amdhsa_float_denorm_mode_16_64 3
		.amdhsa_dx10_clamp 1
		.amdhsa_ieee_mode 1
		.amdhsa_fp16_overflow 0
		.amdhsa_tg_split 0
		.amdhsa_exception_fp_ieee_invalid_op 0
		.amdhsa_exception_fp_denorm_src 0
		.amdhsa_exception_fp_ieee_div_zero 0
		.amdhsa_exception_fp_ieee_overflow 0
		.amdhsa_exception_fp_ieee_underflow 0
		.amdhsa_exception_fp_ieee_inexact 0
		.amdhsa_exception_int_div_zero 0
	.end_amdhsa_kernel
	.section	.text._ZN7rocprim17ROCPRIM_400000_NS6detail17trampoline_kernelINS0_14default_configENS1_25partition_config_selectorILNS1_17partition_subalgoE8ElNS0_10empty_typeEbEEZZNS1_14partition_implILS5_8ELb0ES3_jPlPS6_PKS6_NS0_5tupleIJS9_S6_EEENSD_IJSA_SA_EEENS0_18inequality_wrapperIZN2at6native12_GLOBAL__N_124unique_dim_cuda_templateIaEESt5tupleIJNSH_6TensorESM_SM_EERKSM_lbbbEUlllE0_EEPmJS6_EEE10hipError_tPvRmT3_T4_T5_T6_T7_T9_mT8_P12ihipStream_tbDpT10_ENKUlT_T0_E_clISt17integral_constantIbLb1EES1B_IbLb0EEEEDaS17_S18_EUlS17_E_NS1_11comp_targetILNS1_3genE0ELNS1_11target_archE4294967295ELNS1_3gpuE0ELNS1_3repE0EEENS1_30default_config_static_selectorELNS0_4arch9wavefront6targetE1EEEvT1_,"axG",@progbits,_ZN7rocprim17ROCPRIM_400000_NS6detail17trampoline_kernelINS0_14default_configENS1_25partition_config_selectorILNS1_17partition_subalgoE8ElNS0_10empty_typeEbEEZZNS1_14partition_implILS5_8ELb0ES3_jPlPS6_PKS6_NS0_5tupleIJS9_S6_EEENSD_IJSA_SA_EEENS0_18inequality_wrapperIZN2at6native12_GLOBAL__N_124unique_dim_cuda_templateIaEESt5tupleIJNSH_6TensorESM_SM_EERKSM_lbbbEUlllE0_EEPmJS6_EEE10hipError_tPvRmT3_T4_T5_T6_T7_T9_mT8_P12ihipStream_tbDpT10_ENKUlT_T0_E_clISt17integral_constantIbLb1EES1B_IbLb0EEEEDaS17_S18_EUlS17_E_NS1_11comp_targetILNS1_3genE0ELNS1_11target_archE4294967295ELNS1_3gpuE0ELNS1_3repE0EEENS1_30default_config_static_selectorELNS0_4arch9wavefront6targetE1EEEvT1_,comdat
.Lfunc_end335:
	.size	_ZN7rocprim17ROCPRIM_400000_NS6detail17trampoline_kernelINS0_14default_configENS1_25partition_config_selectorILNS1_17partition_subalgoE8ElNS0_10empty_typeEbEEZZNS1_14partition_implILS5_8ELb0ES3_jPlPS6_PKS6_NS0_5tupleIJS9_S6_EEENSD_IJSA_SA_EEENS0_18inequality_wrapperIZN2at6native12_GLOBAL__N_124unique_dim_cuda_templateIaEESt5tupleIJNSH_6TensorESM_SM_EERKSM_lbbbEUlllE0_EEPmJS6_EEE10hipError_tPvRmT3_T4_T5_T6_T7_T9_mT8_P12ihipStream_tbDpT10_ENKUlT_T0_E_clISt17integral_constantIbLb1EES1B_IbLb0EEEEDaS17_S18_EUlS17_E_NS1_11comp_targetILNS1_3genE0ELNS1_11target_archE4294967295ELNS1_3gpuE0ELNS1_3repE0EEENS1_30default_config_static_selectorELNS0_4arch9wavefront6targetE1EEEvT1_, .Lfunc_end335-_ZN7rocprim17ROCPRIM_400000_NS6detail17trampoline_kernelINS0_14default_configENS1_25partition_config_selectorILNS1_17partition_subalgoE8ElNS0_10empty_typeEbEEZZNS1_14partition_implILS5_8ELb0ES3_jPlPS6_PKS6_NS0_5tupleIJS9_S6_EEENSD_IJSA_SA_EEENS0_18inequality_wrapperIZN2at6native12_GLOBAL__N_124unique_dim_cuda_templateIaEESt5tupleIJNSH_6TensorESM_SM_EERKSM_lbbbEUlllE0_EEPmJS6_EEE10hipError_tPvRmT3_T4_T5_T6_T7_T9_mT8_P12ihipStream_tbDpT10_ENKUlT_T0_E_clISt17integral_constantIbLb1EES1B_IbLb0EEEEDaS17_S18_EUlS17_E_NS1_11comp_targetILNS1_3genE0ELNS1_11target_archE4294967295ELNS1_3gpuE0ELNS1_3repE0EEENS1_30default_config_static_selectorELNS0_4arch9wavefront6targetE1EEEvT1_
                                        ; -- End function
	.set _ZN7rocprim17ROCPRIM_400000_NS6detail17trampoline_kernelINS0_14default_configENS1_25partition_config_selectorILNS1_17partition_subalgoE8ElNS0_10empty_typeEbEEZZNS1_14partition_implILS5_8ELb0ES3_jPlPS6_PKS6_NS0_5tupleIJS9_S6_EEENSD_IJSA_SA_EEENS0_18inequality_wrapperIZN2at6native12_GLOBAL__N_124unique_dim_cuda_templateIaEESt5tupleIJNSH_6TensorESM_SM_EERKSM_lbbbEUlllE0_EEPmJS6_EEE10hipError_tPvRmT3_T4_T5_T6_T7_T9_mT8_P12ihipStream_tbDpT10_ENKUlT_T0_E_clISt17integral_constantIbLb1EES1B_IbLb0EEEEDaS17_S18_EUlS17_E_NS1_11comp_targetILNS1_3genE0ELNS1_11target_archE4294967295ELNS1_3gpuE0ELNS1_3repE0EEENS1_30default_config_static_selectorELNS0_4arch9wavefront6targetE1EEEvT1_.num_vgpr, 0
	.set _ZN7rocprim17ROCPRIM_400000_NS6detail17trampoline_kernelINS0_14default_configENS1_25partition_config_selectorILNS1_17partition_subalgoE8ElNS0_10empty_typeEbEEZZNS1_14partition_implILS5_8ELb0ES3_jPlPS6_PKS6_NS0_5tupleIJS9_S6_EEENSD_IJSA_SA_EEENS0_18inequality_wrapperIZN2at6native12_GLOBAL__N_124unique_dim_cuda_templateIaEESt5tupleIJNSH_6TensorESM_SM_EERKSM_lbbbEUlllE0_EEPmJS6_EEE10hipError_tPvRmT3_T4_T5_T6_T7_T9_mT8_P12ihipStream_tbDpT10_ENKUlT_T0_E_clISt17integral_constantIbLb1EES1B_IbLb0EEEEDaS17_S18_EUlS17_E_NS1_11comp_targetILNS1_3genE0ELNS1_11target_archE4294967295ELNS1_3gpuE0ELNS1_3repE0EEENS1_30default_config_static_selectorELNS0_4arch9wavefront6targetE1EEEvT1_.num_agpr, 0
	.set _ZN7rocprim17ROCPRIM_400000_NS6detail17trampoline_kernelINS0_14default_configENS1_25partition_config_selectorILNS1_17partition_subalgoE8ElNS0_10empty_typeEbEEZZNS1_14partition_implILS5_8ELb0ES3_jPlPS6_PKS6_NS0_5tupleIJS9_S6_EEENSD_IJSA_SA_EEENS0_18inequality_wrapperIZN2at6native12_GLOBAL__N_124unique_dim_cuda_templateIaEESt5tupleIJNSH_6TensorESM_SM_EERKSM_lbbbEUlllE0_EEPmJS6_EEE10hipError_tPvRmT3_T4_T5_T6_T7_T9_mT8_P12ihipStream_tbDpT10_ENKUlT_T0_E_clISt17integral_constantIbLb1EES1B_IbLb0EEEEDaS17_S18_EUlS17_E_NS1_11comp_targetILNS1_3genE0ELNS1_11target_archE4294967295ELNS1_3gpuE0ELNS1_3repE0EEENS1_30default_config_static_selectorELNS0_4arch9wavefront6targetE1EEEvT1_.numbered_sgpr, 0
	.set _ZN7rocprim17ROCPRIM_400000_NS6detail17trampoline_kernelINS0_14default_configENS1_25partition_config_selectorILNS1_17partition_subalgoE8ElNS0_10empty_typeEbEEZZNS1_14partition_implILS5_8ELb0ES3_jPlPS6_PKS6_NS0_5tupleIJS9_S6_EEENSD_IJSA_SA_EEENS0_18inequality_wrapperIZN2at6native12_GLOBAL__N_124unique_dim_cuda_templateIaEESt5tupleIJNSH_6TensorESM_SM_EERKSM_lbbbEUlllE0_EEPmJS6_EEE10hipError_tPvRmT3_T4_T5_T6_T7_T9_mT8_P12ihipStream_tbDpT10_ENKUlT_T0_E_clISt17integral_constantIbLb1EES1B_IbLb0EEEEDaS17_S18_EUlS17_E_NS1_11comp_targetILNS1_3genE0ELNS1_11target_archE4294967295ELNS1_3gpuE0ELNS1_3repE0EEENS1_30default_config_static_selectorELNS0_4arch9wavefront6targetE1EEEvT1_.num_named_barrier, 0
	.set _ZN7rocprim17ROCPRIM_400000_NS6detail17trampoline_kernelINS0_14default_configENS1_25partition_config_selectorILNS1_17partition_subalgoE8ElNS0_10empty_typeEbEEZZNS1_14partition_implILS5_8ELb0ES3_jPlPS6_PKS6_NS0_5tupleIJS9_S6_EEENSD_IJSA_SA_EEENS0_18inequality_wrapperIZN2at6native12_GLOBAL__N_124unique_dim_cuda_templateIaEESt5tupleIJNSH_6TensorESM_SM_EERKSM_lbbbEUlllE0_EEPmJS6_EEE10hipError_tPvRmT3_T4_T5_T6_T7_T9_mT8_P12ihipStream_tbDpT10_ENKUlT_T0_E_clISt17integral_constantIbLb1EES1B_IbLb0EEEEDaS17_S18_EUlS17_E_NS1_11comp_targetILNS1_3genE0ELNS1_11target_archE4294967295ELNS1_3gpuE0ELNS1_3repE0EEENS1_30default_config_static_selectorELNS0_4arch9wavefront6targetE1EEEvT1_.private_seg_size, 0
	.set _ZN7rocprim17ROCPRIM_400000_NS6detail17trampoline_kernelINS0_14default_configENS1_25partition_config_selectorILNS1_17partition_subalgoE8ElNS0_10empty_typeEbEEZZNS1_14partition_implILS5_8ELb0ES3_jPlPS6_PKS6_NS0_5tupleIJS9_S6_EEENSD_IJSA_SA_EEENS0_18inequality_wrapperIZN2at6native12_GLOBAL__N_124unique_dim_cuda_templateIaEESt5tupleIJNSH_6TensorESM_SM_EERKSM_lbbbEUlllE0_EEPmJS6_EEE10hipError_tPvRmT3_T4_T5_T6_T7_T9_mT8_P12ihipStream_tbDpT10_ENKUlT_T0_E_clISt17integral_constantIbLb1EES1B_IbLb0EEEEDaS17_S18_EUlS17_E_NS1_11comp_targetILNS1_3genE0ELNS1_11target_archE4294967295ELNS1_3gpuE0ELNS1_3repE0EEENS1_30default_config_static_selectorELNS0_4arch9wavefront6targetE1EEEvT1_.uses_vcc, 0
	.set _ZN7rocprim17ROCPRIM_400000_NS6detail17trampoline_kernelINS0_14default_configENS1_25partition_config_selectorILNS1_17partition_subalgoE8ElNS0_10empty_typeEbEEZZNS1_14partition_implILS5_8ELb0ES3_jPlPS6_PKS6_NS0_5tupleIJS9_S6_EEENSD_IJSA_SA_EEENS0_18inequality_wrapperIZN2at6native12_GLOBAL__N_124unique_dim_cuda_templateIaEESt5tupleIJNSH_6TensorESM_SM_EERKSM_lbbbEUlllE0_EEPmJS6_EEE10hipError_tPvRmT3_T4_T5_T6_T7_T9_mT8_P12ihipStream_tbDpT10_ENKUlT_T0_E_clISt17integral_constantIbLb1EES1B_IbLb0EEEEDaS17_S18_EUlS17_E_NS1_11comp_targetILNS1_3genE0ELNS1_11target_archE4294967295ELNS1_3gpuE0ELNS1_3repE0EEENS1_30default_config_static_selectorELNS0_4arch9wavefront6targetE1EEEvT1_.uses_flat_scratch, 0
	.set _ZN7rocprim17ROCPRIM_400000_NS6detail17trampoline_kernelINS0_14default_configENS1_25partition_config_selectorILNS1_17partition_subalgoE8ElNS0_10empty_typeEbEEZZNS1_14partition_implILS5_8ELb0ES3_jPlPS6_PKS6_NS0_5tupleIJS9_S6_EEENSD_IJSA_SA_EEENS0_18inequality_wrapperIZN2at6native12_GLOBAL__N_124unique_dim_cuda_templateIaEESt5tupleIJNSH_6TensorESM_SM_EERKSM_lbbbEUlllE0_EEPmJS6_EEE10hipError_tPvRmT3_T4_T5_T6_T7_T9_mT8_P12ihipStream_tbDpT10_ENKUlT_T0_E_clISt17integral_constantIbLb1EES1B_IbLb0EEEEDaS17_S18_EUlS17_E_NS1_11comp_targetILNS1_3genE0ELNS1_11target_archE4294967295ELNS1_3gpuE0ELNS1_3repE0EEENS1_30default_config_static_selectorELNS0_4arch9wavefront6targetE1EEEvT1_.has_dyn_sized_stack, 0
	.set _ZN7rocprim17ROCPRIM_400000_NS6detail17trampoline_kernelINS0_14default_configENS1_25partition_config_selectorILNS1_17partition_subalgoE8ElNS0_10empty_typeEbEEZZNS1_14partition_implILS5_8ELb0ES3_jPlPS6_PKS6_NS0_5tupleIJS9_S6_EEENSD_IJSA_SA_EEENS0_18inequality_wrapperIZN2at6native12_GLOBAL__N_124unique_dim_cuda_templateIaEESt5tupleIJNSH_6TensorESM_SM_EERKSM_lbbbEUlllE0_EEPmJS6_EEE10hipError_tPvRmT3_T4_T5_T6_T7_T9_mT8_P12ihipStream_tbDpT10_ENKUlT_T0_E_clISt17integral_constantIbLb1EES1B_IbLb0EEEEDaS17_S18_EUlS17_E_NS1_11comp_targetILNS1_3genE0ELNS1_11target_archE4294967295ELNS1_3gpuE0ELNS1_3repE0EEENS1_30default_config_static_selectorELNS0_4arch9wavefront6targetE1EEEvT1_.has_recursion, 0
	.set _ZN7rocprim17ROCPRIM_400000_NS6detail17trampoline_kernelINS0_14default_configENS1_25partition_config_selectorILNS1_17partition_subalgoE8ElNS0_10empty_typeEbEEZZNS1_14partition_implILS5_8ELb0ES3_jPlPS6_PKS6_NS0_5tupleIJS9_S6_EEENSD_IJSA_SA_EEENS0_18inequality_wrapperIZN2at6native12_GLOBAL__N_124unique_dim_cuda_templateIaEESt5tupleIJNSH_6TensorESM_SM_EERKSM_lbbbEUlllE0_EEPmJS6_EEE10hipError_tPvRmT3_T4_T5_T6_T7_T9_mT8_P12ihipStream_tbDpT10_ENKUlT_T0_E_clISt17integral_constantIbLb1EES1B_IbLb0EEEEDaS17_S18_EUlS17_E_NS1_11comp_targetILNS1_3genE0ELNS1_11target_archE4294967295ELNS1_3gpuE0ELNS1_3repE0EEENS1_30default_config_static_selectorELNS0_4arch9wavefront6targetE1EEEvT1_.has_indirect_call, 0
	.section	.AMDGPU.csdata,"",@progbits
; Kernel info:
; codeLenInByte = 4
; TotalNumSgprs: 6
; NumVgprs: 0
; NumAgprs: 0
; TotalNumVgprs: 0
; ScratchSize: 0
; MemoryBound: 0
; FloatMode: 240
; IeeeMode: 1
; LDSByteSize: 0 bytes/workgroup (compile time only)
; SGPRBlocks: 0
; VGPRBlocks: 0
; NumSGPRsForWavesPerEU: 6
; NumVGPRsForWavesPerEU: 1
; AccumOffset: 4
; Occupancy: 8
; WaveLimiterHint : 0
; COMPUTE_PGM_RSRC2:SCRATCH_EN: 0
; COMPUTE_PGM_RSRC2:USER_SGPR: 2
; COMPUTE_PGM_RSRC2:TRAP_HANDLER: 0
; COMPUTE_PGM_RSRC2:TGID_X_EN: 1
; COMPUTE_PGM_RSRC2:TGID_Y_EN: 0
; COMPUTE_PGM_RSRC2:TGID_Z_EN: 0
; COMPUTE_PGM_RSRC2:TIDIG_COMP_CNT: 0
; COMPUTE_PGM_RSRC3_GFX90A:ACCUM_OFFSET: 0
; COMPUTE_PGM_RSRC3_GFX90A:TG_SPLIT: 0
	.section	.text._ZN7rocprim17ROCPRIM_400000_NS6detail17trampoline_kernelINS0_14default_configENS1_25partition_config_selectorILNS1_17partition_subalgoE8ElNS0_10empty_typeEbEEZZNS1_14partition_implILS5_8ELb0ES3_jPlPS6_PKS6_NS0_5tupleIJS9_S6_EEENSD_IJSA_SA_EEENS0_18inequality_wrapperIZN2at6native12_GLOBAL__N_124unique_dim_cuda_templateIaEESt5tupleIJNSH_6TensorESM_SM_EERKSM_lbbbEUlllE0_EEPmJS6_EEE10hipError_tPvRmT3_T4_T5_T6_T7_T9_mT8_P12ihipStream_tbDpT10_ENKUlT_T0_E_clISt17integral_constantIbLb1EES1B_IbLb0EEEEDaS17_S18_EUlS17_E_NS1_11comp_targetILNS1_3genE5ELNS1_11target_archE942ELNS1_3gpuE9ELNS1_3repE0EEENS1_30default_config_static_selectorELNS0_4arch9wavefront6targetE1EEEvT1_,"axG",@progbits,_ZN7rocprim17ROCPRIM_400000_NS6detail17trampoline_kernelINS0_14default_configENS1_25partition_config_selectorILNS1_17partition_subalgoE8ElNS0_10empty_typeEbEEZZNS1_14partition_implILS5_8ELb0ES3_jPlPS6_PKS6_NS0_5tupleIJS9_S6_EEENSD_IJSA_SA_EEENS0_18inequality_wrapperIZN2at6native12_GLOBAL__N_124unique_dim_cuda_templateIaEESt5tupleIJNSH_6TensorESM_SM_EERKSM_lbbbEUlllE0_EEPmJS6_EEE10hipError_tPvRmT3_T4_T5_T6_T7_T9_mT8_P12ihipStream_tbDpT10_ENKUlT_T0_E_clISt17integral_constantIbLb1EES1B_IbLb0EEEEDaS17_S18_EUlS17_E_NS1_11comp_targetILNS1_3genE5ELNS1_11target_archE942ELNS1_3gpuE9ELNS1_3repE0EEENS1_30default_config_static_selectorELNS0_4arch9wavefront6targetE1EEEvT1_,comdat
	.globl	_ZN7rocprim17ROCPRIM_400000_NS6detail17trampoline_kernelINS0_14default_configENS1_25partition_config_selectorILNS1_17partition_subalgoE8ElNS0_10empty_typeEbEEZZNS1_14partition_implILS5_8ELb0ES3_jPlPS6_PKS6_NS0_5tupleIJS9_S6_EEENSD_IJSA_SA_EEENS0_18inequality_wrapperIZN2at6native12_GLOBAL__N_124unique_dim_cuda_templateIaEESt5tupleIJNSH_6TensorESM_SM_EERKSM_lbbbEUlllE0_EEPmJS6_EEE10hipError_tPvRmT3_T4_T5_T6_T7_T9_mT8_P12ihipStream_tbDpT10_ENKUlT_T0_E_clISt17integral_constantIbLb1EES1B_IbLb0EEEEDaS17_S18_EUlS17_E_NS1_11comp_targetILNS1_3genE5ELNS1_11target_archE942ELNS1_3gpuE9ELNS1_3repE0EEENS1_30default_config_static_selectorELNS0_4arch9wavefront6targetE1EEEvT1_ ; -- Begin function _ZN7rocprim17ROCPRIM_400000_NS6detail17trampoline_kernelINS0_14default_configENS1_25partition_config_selectorILNS1_17partition_subalgoE8ElNS0_10empty_typeEbEEZZNS1_14partition_implILS5_8ELb0ES3_jPlPS6_PKS6_NS0_5tupleIJS9_S6_EEENSD_IJSA_SA_EEENS0_18inequality_wrapperIZN2at6native12_GLOBAL__N_124unique_dim_cuda_templateIaEESt5tupleIJNSH_6TensorESM_SM_EERKSM_lbbbEUlllE0_EEPmJS6_EEE10hipError_tPvRmT3_T4_T5_T6_T7_T9_mT8_P12ihipStream_tbDpT10_ENKUlT_T0_E_clISt17integral_constantIbLb1EES1B_IbLb0EEEEDaS17_S18_EUlS17_E_NS1_11comp_targetILNS1_3genE5ELNS1_11target_archE942ELNS1_3gpuE9ELNS1_3repE0EEENS1_30default_config_static_selectorELNS0_4arch9wavefront6targetE1EEEvT1_
	.p2align	8
	.type	_ZN7rocprim17ROCPRIM_400000_NS6detail17trampoline_kernelINS0_14default_configENS1_25partition_config_selectorILNS1_17partition_subalgoE8ElNS0_10empty_typeEbEEZZNS1_14partition_implILS5_8ELb0ES3_jPlPS6_PKS6_NS0_5tupleIJS9_S6_EEENSD_IJSA_SA_EEENS0_18inequality_wrapperIZN2at6native12_GLOBAL__N_124unique_dim_cuda_templateIaEESt5tupleIJNSH_6TensorESM_SM_EERKSM_lbbbEUlllE0_EEPmJS6_EEE10hipError_tPvRmT3_T4_T5_T6_T7_T9_mT8_P12ihipStream_tbDpT10_ENKUlT_T0_E_clISt17integral_constantIbLb1EES1B_IbLb0EEEEDaS17_S18_EUlS17_E_NS1_11comp_targetILNS1_3genE5ELNS1_11target_archE942ELNS1_3gpuE9ELNS1_3repE0EEENS1_30default_config_static_selectorELNS0_4arch9wavefront6targetE1EEEvT1_,@function
_ZN7rocprim17ROCPRIM_400000_NS6detail17trampoline_kernelINS0_14default_configENS1_25partition_config_selectorILNS1_17partition_subalgoE8ElNS0_10empty_typeEbEEZZNS1_14partition_implILS5_8ELb0ES3_jPlPS6_PKS6_NS0_5tupleIJS9_S6_EEENSD_IJSA_SA_EEENS0_18inequality_wrapperIZN2at6native12_GLOBAL__N_124unique_dim_cuda_templateIaEESt5tupleIJNSH_6TensorESM_SM_EERKSM_lbbbEUlllE0_EEPmJS6_EEE10hipError_tPvRmT3_T4_T5_T6_T7_T9_mT8_P12ihipStream_tbDpT10_ENKUlT_T0_E_clISt17integral_constantIbLb1EES1B_IbLb0EEEEDaS17_S18_EUlS17_E_NS1_11comp_targetILNS1_3genE5ELNS1_11target_archE942ELNS1_3gpuE9ELNS1_3repE0EEENS1_30default_config_static_selectorELNS0_4arch9wavefront6targetE1EEEvT1_: ; @_ZN7rocprim17ROCPRIM_400000_NS6detail17trampoline_kernelINS0_14default_configENS1_25partition_config_selectorILNS1_17partition_subalgoE8ElNS0_10empty_typeEbEEZZNS1_14partition_implILS5_8ELb0ES3_jPlPS6_PKS6_NS0_5tupleIJS9_S6_EEENSD_IJSA_SA_EEENS0_18inequality_wrapperIZN2at6native12_GLOBAL__N_124unique_dim_cuda_templateIaEESt5tupleIJNSH_6TensorESM_SM_EERKSM_lbbbEUlllE0_EEPmJS6_EEE10hipError_tPvRmT3_T4_T5_T6_T7_T9_mT8_P12ihipStream_tbDpT10_ENKUlT_T0_E_clISt17integral_constantIbLb1EES1B_IbLb0EEEEDaS17_S18_EUlS17_E_NS1_11comp_targetILNS1_3genE5ELNS1_11target_archE942ELNS1_3gpuE9ELNS1_3repE0EEENS1_30default_config_static_selectorELNS0_4arch9wavefront6targetE1EEEvT1_
; %bb.0:
	.section	.rodata,"a",@progbits
	.p2align	6, 0x0
	.amdhsa_kernel _ZN7rocprim17ROCPRIM_400000_NS6detail17trampoline_kernelINS0_14default_configENS1_25partition_config_selectorILNS1_17partition_subalgoE8ElNS0_10empty_typeEbEEZZNS1_14partition_implILS5_8ELb0ES3_jPlPS6_PKS6_NS0_5tupleIJS9_S6_EEENSD_IJSA_SA_EEENS0_18inequality_wrapperIZN2at6native12_GLOBAL__N_124unique_dim_cuda_templateIaEESt5tupleIJNSH_6TensorESM_SM_EERKSM_lbbbEUlllE0_EEPmJS6_EEE10hipError_tPvRmT3_T4_T5_T6_T7_T9_mT8_P12ihipStream_tbDpT10_ENKUlT_T0_E_clISt17integral_constantIbLb1EES1B_IbLb0EEEEDaS17_S18_EUlS17_E_NS1_11comp_targetILNS1_3genE5ELNS1_11target_archE942ELNS1_3gpuE9ELNS1_3repE0EEENS1_30default_config_static_selectorELNS0_4arch9wavefront6targetE1EEEvT1_
		.amdhsa_group_segment_fixed_size 0
		.amdhsa_private_segment_fixed_size 0
		.amdhsa_kernarg_size 120
		.amdhsa_user_sgpr_count 2
		.amdhsa_user_sgpr_dispatch_ptr 0
		.amdhsa_user_sgpr_queue_ptr 0
		.amdhsa_user_sgpr_kernarg_segment_ptr 1
		.amdhsa_user_sgpr_dispatch_id 0
		.amdhsa_user_sgpr_kernarg_preload_length 0
		.amdhsa_user_sgpr_kernarg_preload_offset 0
		.amdhsa_user_sgpr_private_segment_size 0
		.amdhsa_uses_dynamic_stack 0
		.amdhsa_enable_private_segment 0
		.amdhsa_system_sgpr_workgroup_id_x 1
		.amdhsa_system_sgpr_workgroup_id_y 0
		.amdhsa_system_sgpr_workgroup_id_z 0
		.amdhsa_system_sgpr_workgroup_info 0
		.amdhsa_system_vgpr_workitem_id 0
		.amdhsa_next_free_vgpr 1
		.amdhsa_next_free_sgpr 0
		.amdhsa_accum_offset 4
		.amdhsa_reserve_vcc 0
		.amdhsa_float_round_mode_32 0
		.amdhsa_float_round_mode_16_64 0
		.amdhsa_float_denorm_mode_32 3
		.amdhsa_float_denorm_mode_16_64 3
		.amdhsa_dx10_clamp 1
		.amdhsa_ieee_mode 1
		.amdhsa_fp16_overflow 0
		.amdhsa_tg_split 0
		.amdhsa_exception_fp_ieee_invalid_op 0
		.amdhsa_exception_fp_denorm_src 0
		.amdhsa_exception_fp_ieee_div_zero 0
		.amdhsa_exception_fp_ieee_overflow 0
		.amdhsa_exception_fp_ieee_underflow 0
		.amdhsa_exception_fp_ieee_inexact 0
		.amdhsa_exception_int_div_zero 0
	.end_amdhsa_kernel
	.section	.text._ZN7rocprim17ROCPRIM_400000_NS6detail17trampoline_kernelINS0_14default_configENS1_25partition_config_selectorILNS1_17partition_subalgoE8ElNS0_10empty_typeEbEEZZNS1_14partition_implILS5_8ELb0ES3_jPlPS6_PKS6_NS0_5tupleIJS9_S6_EEENSD_IJSA_SA_EEENS0_18inequality_wrapperIZN2at6native12_GLOBAL__N_124unique_dim_cuda_templateIaEESt5tupleIJNSH_6TensorESM_SM_EERKSM_lbbbEUlllE0_EEPmJS6_EEE10hipError_tPvRmT3_T4_T5_T6_T7_T9_mT8_P12ihipStream_tbDpT10_ENKUlT_T0_E_clISt17integral_constantIbLb1EES1B_IbLb0EEEEDaS17_S18_EUlS17_E_NS1_11comp_targetILNS1_3genE5ELNS1_11target_archE942ELNS1_3gpuE9ELNS1_3repE0EEENS1_30default_config_static_selectorELNS0_4arch9wavefront6targetE1EEEvT1_,"axG",@progbits,_ZN7rocprim17ROCPRIM_400000_NS6detail17trampoline_kernelINS0_14default_configENS1_25partition_config_selectorILNS1_17partition_subalgoE8ElNS0_10empty_typeEbEEZZNS1_14partition_implILS5_8ELb0ES3_jPlPS6_PKS6_NS0_5tupleIJS9_S6_EEENSD_IJSA_SA_EEENS0_18inequality_wrapperIZN2at6native12_GLOBAL__N_124unique_dim_cuda_templateIaEESt5tupleIJNSH_6TensorESM_SM_EERKSM_lbbbEUlllE0_EEPmJS6_EEE10hipError_tPvRmT3_T4_T5_T6_T7_T9_mT8_P12ihipStream_tbDpT10_ENKUlT_T0_E_clISt17integral_constantIbLb1EES1B_IbLb0EEEEDaS17_S18_EUlS17_E_NS1_11comp_targetILNS1_3genE5ELNS1_11target_archE942ELNS1_3gpuE9ELNS1_3repE0EEENS1_30default_config_static_selectorELNS0_4arch9wavefront6targetE1EEEvT1_,comdat
.Lfunc_end336:
	.size	_ZN7rocprim17ROCPRIM_400000_NS6detail17trampoline_kernelINS0_14default_configENS1_25partition_config_selectorILNS1_17partition_subalgoE8ElNS0_10empty_typeEbEEZZNS1_14partition_implILS5_8ELb0ES3_jPlPS6_PKS6_NS0_5tupleIJS9_S6_EEENSD_IJSA_SA_EEENS0_18inequality_wrapperIZN2at6native12_GLOBAL__N_124unique_dim_cuda_templateIaEESt5tupleIJNSH_6TensorESM_SM_EERKSM_lbbbEUlllE0_EEPmJS6_EEE10hipError_tPvRmT3_T4_T5_T6_T7_T9_mT8_P12ihipStream_tbDpT10_ENKUlT_T0_E_clISt17integral_constantIbLb1EES1B_IbLb0EEEEDaS17_S18_EUlS17_E_NS1_11comp_targetILNS1_3genE5ELNS1_11target_archE942ELNS1_3gpuE9ELNS1_3repE0EEENS1_30default_config_static_selectorELNS0_4arch9wavefront6targetE1EEEvT1_, .Lfunc_end336-_ZN7rocprim17ROCPRIM_400000_NS6detail17trampoline_kernelINS0_14default_configENS1_25partition_config_selectorILNS1_17partition_subalgoE8ElNS0_10empty_typeEbEEZZNS1_14partition_implILS5_8ELb0ES3_jPlPS6_PKS6_NS0_5tupleIJS9_S6_EEENSD_IJSA_SA_EEENS0_18inequality_wrapperIZN2at6native12_GLOBAL__N_124unique_dim_cuda_templateIaEESt5tupleIJNSH_6TensorESM_SM_EERKSM_lbbbEUlllE0_EEPmJS6_EEE10hipError_tPvRmT3_T4_T5_T6_T7_T9_mT8_P12ihipStream_tbDpT10_ENKUlT_T0_E_clISt17integral_constantIbLb1EES1B_IbLb0EEEEDaS17_S18_EUlS17_E_NS1_11comp_targetILNS1_3genE5ELNS1_11target_archE942ELNS1_3gpuE9ELNS1_3repE0EEENS1_30default_config_static_selectorELNS0_4arch9wavefront6targetE1EEEvT1_
                                        ; -- End function
	.set _ZN7rocprim17ROCPRIM_400000_NS6detail17trampoline_kernelINS0_14default_configENS1_25partition_config_selectorILNS1_17partition_subalgoE8ElNS0_10empty_typeEbEEZZNS1_14partition_implILS5_8ELb0ES3_jPlPS6_PKS6_NS0_5tupleIJS9_S6_EEENSD_IJSA_SA_EEENS0_18inequality_wrapperIZN2at6native12_GLOBAL__N_124unique_dim_cuda_templateIaEESt5tupleIJNSH_6TensorESM_SM_EERKSM_lbbbEUlllE0_EEPmJS6_EEE10hipError_tPvRmT3_T4_T5_T6_T7_T9_mT8_P12ihipStream_tbDpT10_ENKUlT_T0_E_clISt17integral_constantIbLb1EES1B_IbLb0EEEEDaS17_S18_EUlS17_E_NS1_11comp_targetILNS1_3genE5ELNS1_11target_archE942ELNS1_3gpuE9ELNS1_3repE0EEENS1_30default_config_static_selectorELNS0_4arch9wavefront6targetE1EEEvT1_.num_vgpr, 0
	.set _ZN7rocprim17ROCPRIM_400000_NS6detail17trampoline_kernelINS0_14default_configENS1_25partition_config_selectorILNS1_17partition_subalgoE8ElNS0_10empty_typeEbEEZZNS1_14partition_implILS5_8ELb0ES3_jPlPS6_PKS6_NS0_5tupleIJS9_S6_EEENSD_IJSA_SA_EEENS0_18inequality_wrapperIZN2at6native12_GLOBAL__N_124unique_dim_cuda_templateIaEESt5tupleIJNSH_6TensorESM_SM_EERKSM_lbbbEUlllE0_EEPmJS6_EEE10hipError_tPvRmT3_T4_T5_T6_T7_T9_mT8_P12ihipStream_tbDpT10_ENKUlT_T0_E_clISt17integral_constantIbLb1EES1B_IbLb0EEEEDaS17_S18_EUlS17_E_NS1_11comp_targetILNS1_3genE5ELNS1_11target_archE942ELNS1_3gpuE9ELNS1_3repE0EEENS1_30default_config_static_selectorELNS0_4arch9wavefront6targetE1EEEvT1_.num_agpr, 0
	.set _ZN7rocprim17ROCPRIM_400000_NS6detail17trampoline_kernelINS0_14default_configENS1_25partition_config_selectorILNS1_17partition_subalgoE8ElNS0_10empty_typeEbEEZZNS1_14partition_implILS5_8ELb0ES3_jPlPS6_PKS6_NS0_5tupleIJS9_S6_EEENSD_IJSA_SA_EEENS0_18inequality_wrapperIZN2at6native12_GLOBAL__N_124unique_dim_cuda_templateIaEESt5tupleIJNSH_6TensorESM_SM_EERKSM_lbbbEUlllE0_EEPmJS6_EEE10hipError_tPvRmT3_T4_T5_T6_T7_T9_mT8_P12ihipStream_tbDpT10_ENKUlT_T0_E_clISt17integral_constantIbLb1EES1B_IbLb0EEEEDaS17_S18_EUlS17_E_NS1_11comp_targetILNS1_3genE5ELNS1_11target_archE942ELNS1_3gpuE9ELNS1_3repE0EEENS1_30default_config_static_selectorELNS0_4arch9wavefront6targetE1EEEvT1_.numbered_sgpr, 0
	.set _ZN7rocprim17ROCPRIM_400000_NS6detail17trampoline_kernelINS0_14default_configENS1_25partition_config_selectorILNS1_17partition_subalgoE8ElNS0_10empty_typeEbEEZZNS1_14partition_implILS5_8ELb0ES3_jPlPS6_PKS6_NS0_5tupleIJS9_S6_EEENSD_IJSA_SA_EEENS0_18inequality_wrapperIZN2at6native12_GLOBAL__N_124unique_dim_cuda_templateIaEESt5tupleIJNSH_6TensorESM_SM_EERKSM_lbbbEUlllE0_EEPmJS6_EEE10hipError_tPvRmT3_T4_T5_T6_T7_T9_mT8_P12ihipStream_tbDpT10_ENKUlT_T0_E_clISt17integral_constantIbLb1EES1B_IbLb0EEEEDaS17_S18_EUlS17_E_NS1_11comp_targetILNS1_3genE5ELNS1_11target_archE942ELNS1_3gpuE9ELNS1_3repE0EEENS1_30default_config_static_selectorELNS0_4arch9wavefront6targetE1EEEvT1_.num_named_barrier, 0
	.set _ZN7rocprim17ROCPRIM_400000_NS6detail17trampoline_kernelINS0_14default_configENS1_25partition_config_selectorILNS1_17partition_subalgoE8ElNS0_10empty_typeEbEEZZNS1_14partition_implILS5_8ELb0ES3_jPlPS6_PKS6_NS0_5tupleIJS9_S6_EEENSD_IJSA_SA_EEENS0_18inequality_wrapperIZN2at6native12_GLOBAL__N_124unique_dim_cuda_templateIaEESt5tupleIJNSH_6TensorESM_SM_EERKSM_lbbbEUlllE0_EEPmJS6_EEE10hipError_tPvRmT3_T4_T5_T6_T7_T9_mT8_P12ihipStream_tbDpT10_ENKUlT_T0_E_clISt17integral_constantIbLb1EES1B_IbLb0EEEEDaS17_S18_EUlS17_E_NS1_11comp_targetILNS1_3genE5ELNS1_11target_archE942ELNS1_3gpuE9ELNS1_3repE0EEENS1_30default_config_static_selectorELNS0_4arch9wavefront6targetE1EEEvT1_.private_seg_size, 0
	.set _ZN7rocprim17ROCPRIM_400000_NS6detail17trampoline_kernelINS0_14default_configENS1_25partition_config_selectorILNS1_17partition_subalgoE8ElNS0_10empty_typeEbEEZZNS1_14partition_implILS5_8ELb0ES3_jPlPS6_PKS6_NS0_5tupleIJS9_S6_EEENSD_IJSA_SA_EEENS0_18inequality_wrapperIZN2at6native12_GLOBAL__N_124unique_dim_cuda_templateIaEESt5tupleIJNSH_6TensorESM_SM_EERKSM_lbbbEUlllE0_EEPmJS6_EEE10hipError_tPvRmT3_T4_T5_T6_T7_T9_mT8_P12ihipStream_tbDpT10_ENKUlT_T0_E_clISt17integral_constantIbLb1EES1B_IbLb0EEEEDaS17_S18_EUlS17_E_NS1_11comp_targetILNS1_3genE5ELNS1_11target_archE942ELNS1_3gpuE9ELNS1_3repE0EEENS1_30default_config_static_selectorELNS0_4arch9wavefront6targetE1EEEvT1_.uses_vcc, 0
	.set _ZN7rocprim17ROCPRIM_400000_NS6detail17trampoline_kernelINS0_14default_configENS1_25partition_config_selectorILNS1_17partition_subalgoE8ElNS0_10empty_typeEbEEZZNS1_14partition_implILS5_8ELb0ES3_jPlPS6_PKS6_NS0_5tupleIJS9_S6_EEENSD_IJSA_SA_EEENS0_18inequality_wrapperIZN2at6native12_GLOBAL__N_124unique_dim_cuda_templateIaEESt5tupleIJNSH_6TensorESM_SM_EERKSM_lbbbEUlllE0_EEPmJS6_EEE10hipError_tPvRmT3_T4_T5_T6_T7_T9_mT8_P12ihipStream_tbDpT10_ENKUlT_T0_E_clISt17integral_constantIbLb1EES1B_IbLb0EEEEDaS17_S18_EUlS17_E_NS1_11comp_targetILNS1_3genE5ELNS1_11target_archE942ELNS1_3gpuE9ELNS1_3repE0EEENS1_30default_config_static_selectorELNS0_4arch9wavefront6targetE1EEEvT1_.uses_flat_scratch, 0
	.set _ZN7rocprim17ROCPRIM_400000_NS6detail17trampoline_kernelINS0_14default_configENS1_25partition_config_selectorILNS1_17partition_subalgoE8ElNS0_10empty_typeEbEEZZNS1_14partition_implILS5_8ELb0ES3_jPlPS6_PKS6_NS0_5tupleIJS9_S6_EEENSD_IJSA_SA_EEENS0_18inequality_wrapperIZN2at6native12_GLOBAL__N_124unique_dim_cuda_templateIaEESt5tupleIJNSH_6TensorESM_SM_EERKSM_lbbbEUlllE0_EEPmJS6_EEE10hipError_tPvRmT3_T4_T5_T6_T7_T9_mT8_P12ihipStream_tbDpT10_ENKUlT_T0_E_clISt17integral_constantIbLb1EES1B_IbLb0EEEEDaS17_S18_EUlS17_E_NS1_11comp_targetILNS1_3genE5ELNS1_11target_archE942ELNS1_3gpuE9ELNS1_3repE0EEENS1_30default_config_static_selectorELNS0_4arch9wavefront6targetE1EEEvT1_.has_dyn_sized_stack, 0
	.set _ZN7rocprim17ROCPRIM_400000_NS6detail17trampoline_kernelINS0_14default_configENS1_25partition_config_selectorILNS1_17partition_subalgoE8ElNS0_10empty_typeEbEEZZNS1_14partition_implILS5_8ELb0ES3_jPlPS6_PKS6_NS0_5tupleIJS9_S6_EEENSD_IJSA_SA_EEENS0_18inequality_wrapperIZN2at6native12_GLOBAL__N_124unique_dim_cuda_templateIaEESt5tupleIJNSH_6TensorESM_SM_EERKSM_lbbbEUlllE0_EEPmJS6_EEE10hipError_tPvRmT3_T4_T5_T6_T7_T9_mT8_P12ihipStream_tbDpT10_ENKUlT_T0_E_clISt17integral_constantIbLb1EES1B_IbLb0EEEEDaS17_S18_EUlS17_E_NS1_11comp_targetILNS1_3genE5ELNS1_11target_archE942ELNS1_3gpuE9ELNS1_3repE0EEENS1_30default_config_static_selectorELNS0_4arch9wavefront6targetE1EEEvT1_.has_recursion, 0
	.set _ZN7rocprim17ROCPRIM_400000_NS6detail17trampoline_kernelINS0_14default_configENS1_25partition_config_selectorILNS1_17partition_subalgoE8ElNS0_10empty_typeEbEEZZNS1_14partition_implILS5_8ELb0ES3_jPlPS6_PKS6_NS0_5tupleIJS9_S6_EEENSD_IJSA_SA_EEENS0_18inequality_wrapperIZN2at6native12_GLOBAL__N_124unique_dim_cuda_templateIaEESt5tupleIJNSH_6TensorESM_SM_EERKSM_lbbbEUlllE0_EEPmJS6_EEE10hipError_tPvRmT3_T4_T5_T6_T7_T9_mT8_P12ihipStream_tbDpT10_ENKUlT_T0_E_clISt17integral_constantIbLb1EES1B_IbLb0EEEEDaS17_S18_EUlS17_E_NS1_11comp_targetILNS1_3genE5ELNS1_11target_archE942ELNS1_3gpuE9ELNS1_3repE0EEENS1_30default_config_static_selectorELNS0_4arch9wavefront6targetE1EEEvT1_.has_indirect_call, 0
	.section	.AMDGPU.csdata,"",@progbits
; Kernel info:
; codeLenInByte = 0
; TotalNumSgprs: 6
; NumVgprs: 0
; NumAgprs: 0
; TotalNumVgprs: 0
; ScratchSize: 0
; MemoryBound: 0
; FloatMode: 240
; IeeeMode: 1
; LDSByteSize: 0 bytes/workgroup (compile time only)
; SGPRBlocks: 0
; VGPRBlocks: 0
; NumSGPRsForWavesPerEU: 6
; NumVGPRsForWavesPerEU: 1
; AccumOffset: 4
; Occupancy: 8
; WaveLimiterHint : 0
; COMPUTE_PGM_RSRC2:SCRATCH_EN: 0
; COMPUTE_PGM_RSRC2:USER_SGPR: 2
; COMPUTE_PGM_RSRC2:TRAP_HANDLER: 0
; COMPUTE_PGM_RSRC2:TGID_X_EN: 1
; COMPUTE_PGM_RSRC2:TGID_Y_EN: 0
; COMPUTE_PGM_RSRC2:TGID_Z_EN: 0
; COMPUTE_PGM_RSRC2:TIDIG_COMP_CNT: 0
; COMPUTE_PGM_RSRC3_GFX90A:ACCUM_OFFSET: 0
; COMPUTE_PGM_RSRC3_GFX90A:TG_SPLIT: 0
	.section	.text._ZN7rocprim17ROCPRIM_400000_NS6detail17trampoline_kernelINS0_14default_configENS1_25partition_config_selectorILNS1_17partition_subalgoE8ElNS0_10empty_typeEbEEZZNS1_14partition_implILS5_8ELb0ES3_jPlPS6_PKS6_NS0_5tupleIJS9_S6_EEENSD_IJSA_SA_EEENS0_18inequality_wrapperIZN2at6native12_GLOBAL__N_124unique_dim_cuda_templateIaEESt5tupleIJNSH_6TensorESM_SM_EERKSM_lbbbEUlllE0_EEPmJS6_EEE10hipError_tPvRmT3_T4_T5_T6_T7_T9_mT8_P12ihipStream_tbDpT10_ENKUlT_T0_E_clISt17integral_constantIbLb1EES1B_IbLb0EEEEDaS17_S18_EUlS17_E_NS1_11comp_targetILNS1_3genE4ELNS1_11target_archE910ELNS1_3gpuE8ELNS1_3repE0EEENS1_30default_config_static_selectorELNS0_4arch9wavefront6targetE1EEEvT1_,"axG",@progbits,_ZN7rocprim17ROCPRIM_400000_NS6detail17trampoline_kernelINS0_14default_configENS1_25partition_config_selectorILNS1_17partition_subalgoE8ElNS0_10empty_typeEbEEZZNS1_14partition_implILS5_8ELb0ES3_jPlPS6_PKS6_NS0_5tupleIJS9_S6_EEENSD_IJSA_SA_EEENS0_18inequality_wrapperIZN2at6native12_GLOBAL__N_124unique_dim_cuda_templateIaEESt5tupleIJNSH_6TensorESM_SM_EERKSM_lbbbEUlllE0_EEPmJS6_EEE10hipError_tPvRmT3_T4_T5_T6_T7_T9_mT8_P12ihipStream_tbDpT10_ENKUlT_T0_E_clISt17integral_constantIbLb1EES1B_IbLb0EEEEDaS17_S18_EUlS17_E_NS1_11comp_targetILNS1_3genE4ELNS1_11target_archE910ELNS1_3gpuE8ELNS1_3repE0EEENS1_30default_config_static_selectorELNS0_4arch9wavefront6targetE1EEEvT1_,comdat
	.globl	_ZN7rocprim17ROCPRIM_400000_NS6detail17trampoline_kernelINS0_14default_configENS1_25partition_config_selectorILNS1_17partition_subalgoE8ElNS0_10empty_typeEbEEZZNS1_14partition_implILS5_8ELb0ES3_jPlPS6_PKS6_NS0_5tupleIJS9_S6_EEENSD_IJSA_SA_EEENS0_18inequality_wrapperIZN2at6native12_GLOBAL__N_124unique_dim_cuda_templateIaEESt5tupleIJNSH_6TensorESM_SM_EERKSM_lbbbEUlllE0_EEPmJS6_EEE10hipError_tPvRmT3_T4_T5_T6_T7_T9_mT8_P12ihipStream_tbDpT10_ENKUlT_T0_E_clISt17integral_constantIbLb1EES1B_IbLb0EEEEDaS17_S18_EUlS17_E_NS1_11comp_targetILNS1_3genE4ELNS1_11target_archE910ELNS1_3gpuE8ELNS1_3repE0EEENS1_30default_config_static_selectorELNS0_4arch9wavefront6targetE1EEEvT1_ ; -- Begin function _ZN7rocprim17ROCPRIM_400000_NS6detail17trampoline_kernelINS0_14default_configENS1_25partition_config_selectorILNS1_17partition_subalgoE8ElNS0_10empty_typeEbEEZZNS1_14partition_implILS5_8ELb0ES3_jPlPS6_PKS6_NS0_5tupleIJS9_S6_EEENSD_IJSA_SA_EEENS0_18inequality_wrapperIZN2at6native12_GLOBAL__N_124unique_dim_cuda_templateIaEESt5tupleIJNSH_6TensorESM_SM_EERKSM_lbbbEUlllE0_EEPmJS6_EEE10hipError_tPvRmT3_T4_T5_T6_T7_T9_mT8_P12ihipStream_tbDpT10_ENKUlT_T0_E_clISt17integral_constantIbLb1EES1B_IbLb0EEEEDaS17_S18_EUlS17_E_NS1_11comp_targetILNS1_3genE4ELNS1_11target_archE910ELNS1_3gpuE8ELNS1_3repE0EEENS1_30default_config_static_selectorELNS0_4arch9wavefront6targetE1EEEvT1_
	.p2align	8
	.type	_ZN7rocprim17ROCPRIM_400000_NS6detail17trampoline_kernelINS0_14default_configENS1_25partition_config_selectorILNS1_17partition_subalgoE8ElNS0_10empty_typeEbEEZZNS1_14partition_implILS5_8ELb0ES3_jPlPS6_PKS6_NS0_5tupleIJS9_S6_EEENSD_IJSA_SA_EEENS0_18inequality_wrapperIZN2at6native12_GLOBAL__N_124unique_dim_cuda_templateIaEESt5tupleIJNSH_6TensorESM_SM_EERKSM_lbbbEUlllE0_EEPmJS6_EEE10hipError_tPvRmT3_T4_T5_T6_T7_T9_mT8_P12ihipStream_tbDpT10_ENKUlT_T0_E_clISt17integral_constantIbLb1EES1B_IbLb0EEEEDaS17_S18_EUlS17_E_NS1_11comp_targetILNS1_3genE4ELNS1_11target_archE910ELNS1_3gpuE8ELNS1_3repE0EEENS1_30default_config_static_selectorELNS0_4arch9wavefront6targetE1EEEvT1_,@function
_ZN7rocprim17ROCPRIM_400000_NS6detail17trampoline_kernelINS0_14default_configENS1_25partition_config_selectorILNS1_17partition_subalgoE8ElNS0_10empty_typeEbEEZZNS1_14partition_implILS5_8ELb0ES3_jPlPS6_PKS6_NS0_5tupleIJS9_S6_EEENSD_IJSA_SA_EEENS0_18inequality_wrapperIZN2at6native12_GLOBAL__N_124unique_dim_cuda_templateIaEESt5tupleIJNSH_6TensorESM_SM_EERKSM_lbbbEUlllE0_EEPmJS6_EEE10hipError_tPvRmT3_T4_T5_T6_T7_T9_mT8_P12ihipStream_tbDpT10_ENKUlT_T0_E_clISt17integral_constantIbLb1EES1B_IbLb0EEEEDaS17_S18_EUlS17_E_NS1_11comp_targetILNS1_3genE4ELNS1_11target_archE910ELNS1_3gpuE8ELNS1_3repE0EEENS1_30default_config_static_selectorELNS0_4arch9wavefront6targetE1EEEvT1_: ; @_ZN7rocprim17ROCPRIM_400000_NS6detail17trampoline_kernelINS0_14default_configENS1_25partition_config_selectorILNS1_17partition_subalgoE8ElNS0_10empty_typeEbEEZZNS1_14partition_implILS5_8ELb0ES3_jPlPS6_PKS6_NS0_5tupleIJS9_S6_EEENSD_IJSA_SA_EEENS0_18inequality_wrapperIZN2at6native12_GLOBAL__N_124unique_dim_cuda_templateIaEESt5tupleIJNSH_6TensorESM_SM_EERKSM_lbbbEUlllE0_EEPmJS6_EEE10hipError_tPvRmT3_T4_T5_T6_T7_T9_mT8_P12ihipStream_tbDpT10_ENKUlT_T0_E_clISt17integral_constantIbLb1EES1B_IbLb0EEEEDaS17_S18_EUlS17_E_NS1_11comp_targetILNS1_3genE4ELNS1_11target_archE910ELNS1_3gpuE8ELNS1_3repE0EEENS1_30default_config_static_selectorELNS0_4arch9wavefront6targetE1EEEvT1_
; %bb.0:
	.section	.rodata,"a",@progbits
	.p2align	6, 0x0
	.amdhsa_kernel _ZN7rocprim17ROCPRIM_400000_NS6detail17trampoline_kernelINS0_14default_configENS1_25partition_config_selectorILNS1_17partition_subalgoE8ElNS0_10empty_typeEbEEZZNS1_14partition_implILS5_8ELb0ES3_jPlPS6_PKS6_NS0_5tupleIJS9_S6_EEENSD_IJSA_SA_EEENS0_18inequality_wrapperIZN2at6native12_GLOBAL__N_124unique_dim_cuda_templateIaEESt5tupleIJNSH_6TensorESM_SM_EERKSM_lbbbEUlllE0_EEPmJS6_EEE10hipError_tPvRmT3_T4_T5_T6_T7_T9_mT8_P12ihipStream_tbDpT10_ENKUlT_T0_E_clISt17integral_constantIbLb1EES1B_IbLb0EEEEDaS17_S18_EUlS17_E_NS1_11comp_targetILNS1_3genE4ELNS1_11target_archE910ELNS1_3gpuE8ELNS1_3repE0EEENS1_30default_config_static_selectorELNS0_4arch9wavefront6targetE1EEEvT1_
		.amdhsa_group_segment_fixed_size 0
		.amdhsa_private_segment_fixed_size 0
		.amdhsa_kernarg_size 120
		.amdhsa_user_sgpr_count 2
		.amdhsa_user_sgpr_dispatch_ptr 0
		.amdhsa_user_sgpr_queue_ptr 0
		.amdhsa_user_sgpr_kernarg_segment_ptr 1
		.amdhsa_user_sgpr_dispatch_id 0
		.amdhsa_user_sgpr_kernarg_preload_length 0
		.amdhsa_user_sgpr_kernarg_preload_offset 0
		.amdhsa_user_sgpr_private_segment_size 0
		.amdhsa_uses_dynamic_stack 0
		.amdhsa_enable_private_segment 0
		.amdhsa_system_sgpr_workgroup_id_x 1
		.amdhsa_system_sgpr_workgroup_id_y 0
		.amdhsa_system_sgpr_workgroup_id_z 0
		.amdhsa_system_sgpr_workgroup_info 0
		.amdhsa_system_vgpr_workitem_id 0
		.amdhsa_next_free_vgpr 1
		.amdhsa_next_free_sgpr 0
		.amdhsa_accum_offset 4
		.amdhsa_reserve_vcc 0
		.amdhsa_float_round_mode_32 0
		.amdhsa_float_round_mode_16_64 0
		.amdhsa_float_denorm_mode_32 3
		.amdhsa_float_denorm_mode_16_64 3
		.amdhsa_dx10_clamp 1
		.amdhsa_ieee_mode 1
		.amdhsa_fp16_overflow 0
		.amdhsa_tg_split 0
		.amdhsa_exception_fp_ieee_invalid_op 0
		.amdhsa_exception_fp_denorm_src 0
		.amdhsa_exception_fp_ieee_div_zero 0
		.amdhsa_exception_fp_ieee_overflow 0
		.amdhsa_exception_fp_ieee_underflow 0
		.amdhsa_exception_fp_ieee_inexact 0
		.amdhsa_exception_int_div_zero 0
	.end_amdhsa_kernel
	.section	.text._ZN7rocprim17ROCPRIM_400000_NS6detail17trampoline_kernelINS0_14default_configENS1_25partition_config_selectorILNS1_17partition_subalgoE8ElNS0_10empty_typeEbEEZZNS1_14partition_implILS5_8ELb0ES3_jPlPS6_PKS6_NS0_5tupleIJS9_S6_EEENSD_IJSA_SA_EEENS0_18inequality_wrapperIZN2at6native12_GLOBAL__N_124unique_dim_cuda_templateIaEESt5tupleIJNSH_6TensorESM_SM_EERKSM_lbbbEUlllE0_EEPmJS6_EEE10hipError_tPvRmT3_T4_T5_T6_T7_T9_mT8_P12ihipStream_tbDpT10_ENKUlT_T0_E_clISt17integral_constantIbLb1EES1B_IbLb0EEEEDaS17_S18_EUlS17_E_NS1_11comp_targetILNS1_3genE4ELNS1_11target_archE910ELNS1_3gpuE8ELNS1_3repE0EEENS1_30default_config_static_selectorELNS0_4arch9wavefront6targetE1EEEvT1_,"axG",@progbits,_ZN7rocprim17ROCPRIM_400000_NS6detail17trampoline_kernelINS0_14default_configENS1_25partition_config_selectorILNS1_17partition_subalgoE8ElNS0_10empty_typeEbEEZZNS1_14partition_implILS5_8ELb0ES3_jPlPS6_PKS6_NS0_5tupleIJS9_S6_EEENSD_IJSA_SA_EEENS0_18inequality_wrapperIZN2at6native12_GLOBAL__N_124unique_dim_cuda_templateIaEESt5tupleIJNSH_6TensorESM_SM_EERKSM_lbbbEUlllE0_EEPmJS6_EEE10hipError_tPvRmT3_T4_T5_T6_T7_T9_mT8_P12ihipStream_tbDpT10_ENKUlT_T0_E_clISt17integral_constantIbLb1EES1B_IbLb0EEEEDaS17_S18_EUlS17_E_NS1_11comp_targetILNS1_3genE4ELNS1_11target_archE910ELNS1_3gpuE8ELNS1_3repE0EEENS1_30default_config_static_selectorELNS0_4arch9wavefront6targetE1EEEvT1_,comdat
.Lfunc_end337:
	.size	_ZN7rocprim17ROCPRIM_400000_NS6detail17trampoline_kernelINS0_14default_configENS1_25partition_config_selectorILNS1_17partition_subalgoE8ElNS0_10empty_typeEbEEZZNS1_14partition_implILS5_8ELb0ES3_jPlPS6_PKS6_NS0_5tupleIJS9_S6_EEENSD_IJSA_SA_EEENS0_18inequality_wrapperIZN2at6native12_GLOBAL__N_124unique_dim_cuda_templateIaEESt5tupleIJNSH_6TensorESM_SM_EERKSM_lbbbEUlllE0_EEPmJS6_EEE10hipError_tPvRmT3_T4_T5_T6_T7_T9_mT8_P12ihipStream_tbDpT10_ENKUlT_T0_E_clISt17integral_constantIbLb1EES1B_IbLb0EEEEDaS17_S18_EUlS17_E_NS1_11comp_targetILNS1_3genE4ELNS1_11target_archE910ELNS1_3gpuE8ELNS1_3repE0EEENS1_30default_config_static_selectorELNS0_4arch9wavefront6targetE1EEEvT1_, .Lfunc_end337-_ZN7rocprim17ROCPRIM_400000_NS6detail17trampoline_kernelINS0_14default_configENS1_25partition_config_selectorILNS1_17partition_subalgoE8ElNS0_10empty_typeEbEEZZNS1_14partition_implILS5_8ELb0ES3_jPlPS6_PKS6_NS0_5tupleIJS9_S6_EEENSD_IJSA_SA_EEENS0_18inequality_wrapperIZN2at6native12_GLOBAL__N_124unique_dim_cuda_templateIaEESt5tupleIJNSH_6TensorESM_SM_EERKSM_lbbbEUlllE0_EEPmJS6_EEE10hipError_tPvRmT3_T4_T5_T6_T7_T9_mT8_P12ihipStream_tbDpT10_ENKUlT_T0_E_clISt17integral_constantIbLb1EES1B_IbLb0EEEEDaS17_S18_EUlS17_E_NS1_11comp_targetILNS1_3genE4ELNS1_11target_archE910ELNS1_3gpuE8ELNS1_3repE0EEENS1_30default_config_static_selectorELNS0_4arch9wavefront6targetE1EEEvT1_
                                        ; -- End function
	.set _ZN7rocprim17ROCPRIM_400000_NS6detail17trampoline_kernelINS0_14default_configENS1_25partition_config_selectorILNS1_17partition_subalgoE8ElNS0_10empty_typeEbEEZZNS1_14partition_implILS5_8ELb0ES3_jPlPS6_PKS6_NS0_5tupleIJS9_S6_EEENSD_IJSA_SA_EEENS0_18inequality_wrapperIZN2at6native12_GLOBAL__N_124unique_dim_cuda_templateIaEESt5tupleIJNSH_6TensorESM_SM_EERKSM_lbbbEUlllE0_EEPmJS6_EEE10hipError_tPvRmT3_T4_T5_T6_T7_T9_mT8_P12ihipStream_tbDpT10_ENKUlT_T0_E_clISt17integral_constantIbLb1EES1B_IbLb0EEEEDaS17_S18_EUlS17_E_NS1_11comp_targetILNS1_3genE4ELNS1_11target_archE910ELNS1_3gpuE8ELNS1_3repE0EEENS1_30default_config_static_selectorELNS0_4arch9wavefront6targetE1EEEvT1_.num_vgpr, 0
	.set _ZN7rocprim17ROCPRIM_400000_NS6detail17trampoline_kernelINS0_14default_configENS1_25partition_config_selectorILNS1_17partition_subalgoE8ElNS0_10empty_typeEbEEZZNS1_14partition_implILS5_8ELb0ES3_jPlPS6_PKS6_NS0_5tupleIJS9_S6_EEENSD_IJSA_SA_EEENS0_18inequality_wrapperIZN2at6native12_GLOBAL__N_124unique_dim_cuda_templateIaEESt5tupleIJNSH_6TensorESM_SM_EERKSM_lbbbEUlllE0_EEPmJS6_EEE10hipError_tPvRmT3_T4_T5_T6_T7_T9_mT8_P12ihipStream_tbDpT10_ENKUlT_T0_E_clISt17integral_constantIbLb1EES1B_IbLb0EEEEDaS17_S18_EUlS17_E_NS1_11comp_targetILNS1_3genE4ELNS1_11target_archE910ELNS1_3gpuE8ELNS1_3repE0EEENS1_30default_config_static_selectorELNS0_4arch9wavefront6targetE1EEEvT1_.num_agpr, 0
	.set _ZN7rocprim17ROCPRIM_400000_NS6detail17trampoline_kernelINS0_14default_configENS1_25partition_config_selectorILNS1_17partition_subalgoE8ElNS0_10empty_typeEbEEZZNS1_14partition_implILS5_8ELb0ES3_jPlPS6_PKS6_NS0_5tupleIJS9_S6_EEENSD_IJSA_SA_EEENS0_18inequality_wrapperIZN2at6native12_GLOBAL__N_124unique_dim_cuda_templateIaEESt5tupleIJNSH_6TensorESM_SM_EERKSM_lbbbEUlllE0_EEPmJS6_EEE10hipError_tPvRmT3_T4_T5_T6_T7_T9_mT8_P12ihipStream_tbDpT10_ENKUlT_T0_E_clISt17integral_constantIbLb1EES1B_IbLb0EEEEDaS17_S18_EUlS17_E_NS1_11comp_targetILNS1_3genE4ELNS1_11target_archE910ELNS1_3gpuE8ELNS1_3repE0EEENS1_30default_config_static_selectorELNS0_4arch9wavefront6targetE1EEEvT1_.numbered_sgpr, 0
	.set _ZN7rocprim17ROCPRIM_400000_NS6detail17trampoline_kernelINS0_14default_configENS1_25partition_config_selectorILNS1_17partition_subalgoE8ElNS0_10empty_typeEbEEZZNS1_14partition_implILS5_8ELb0ES3_jPlPS6_PKS6_NS0_5tupleIJS9_S6_EEENSD_IJSA_SA_EEENS0_18inequality_wrapperIZN2at6native12_GLOBAL__N_124unique_dim_cuda_templateIaEESt5tupleIJNSH_6TensorESM_SM_EERKSM_lbbbEUlllE0_EEPmJS6_EEE10hipError_tPvRmT3_T4_T5_T6_T7_T9_mT8_P12ihipStream_tbDpT10_ENKUlT_T0_E_clISt17integral_constantIbLb1EES1B_IbLb0EEEEDaS17_S18_EUlS17_E_NS1_11comp_targetILNS1_3genE4ELNS1_11target_archE910ELNS1_3gpuE8ELNS1_3repE0EEENS1_30default_config_static_selectorELNS0_4arch9wavefront6targetE1EEEvT1_.num_named_barrier, 0
	.set _ZN7rocprim17ROCPRIM_400000_NS6detail17trampoline_kernelINS0_14default_configENS1_25partition_config_selectorILNS1_17partition_subalgoE8ElNS0_10empty_typeEbEEZZNS1_14partition_implILS5_8ELb0ES3_jPlPS6_PKS6_NS0_5tupleIJS9_S6_EEENSD_IJSA_SA_EEENS0_18inequality_wrapperIZN2at6native12_GLOBAL__N_124unique_dim_cuda_templateIaEESt5tupleIJNSH_6TensorESM_SM_EERKSM_lbbbEUlllE0_EEPmJS6_EEE10hipError_tPvRmT3_T4_T5_T6_T7_T9_mT8_P12ihipStream_tbDpT10_ENKUlT_T0_E_clISt17integral_constantIbLb1EES1B_IbLb0EEEEDaS17_S18_EUlS17_E_NS1_11comp_targetILNS1_3genE4ELNS1_11target_archE910ELNS1_3gpuE8ELNS1_3repE0EEENS1_30default_config_static_selectorELNS0_4arch9wavefront6targetE1EEEvT1_.private_seg_size, 0
	.set _ZN7rocprim17ROCPRIM_400000_NS6detail17trampoline_kernelINS0_14default_configENS1_25partition_config_selectorILNS1_17partition_subalgoE8ElNS0_10empty_typeEbEEZZNS1_14partition_implILS5_8ELb0ES3_jPlPS6_PKS6_NS0_5tupleIJS9_S6_EEENSD_IJSA_SA_EEENS0_18inequality_wrapperIZN2at6native12_GLOBAL__N_124unique_dim_cuda_templateIaEESt5tupleIJNSH_6TensorESM_SM_EERKSM_lbbbEUlllE0_EEPmJS6_EEE10hipError_tPvRmT3_T4_T5_T6_T7_T9_mT8_P12ihipStream_tbDpT10_ENKUlT_T0_E_clISt17integral_constantIbLb1EES1B_IbLb0EEEEDaS17_S18_EUlS17_E_NS1_11comp_targetILNS1_3genE4ELNS1_11target_archE910ELNS1_3gpuE8ELNS1_3repE0EEENS1_30default_config_static_selectorELNS0_4arch9wavefront6targetE1EEEvT1_.uses_vcc, 0
	.set _ZN7rocprim17ROCPRIM_400000_NS6detail17trampoline_kernelINS0_14default_configENS1_25partition_config_selectorILNS1_17partition_subalgoE8ElNS0_10empty_typeEbEEZZNS1_14partition_implILS5_8ELb0ES3_jPlPS6_PKS6_NS0_5tupleIJS9_S6_EEENSD_IJSA_SA_EEENS0_18inequality_wrapperIZN2at6native12_GLOBAL__N_124unique_dim_cuda_templateIaEESt5tupleIJNSH_6TensorESM_SM_EERKSM_lbbbEUlllE0_EEPmJS6_EEE10hipError_tPvRmT3_T4_T5_T6_T7_T9_mT8_P12ihipStream_tbDpT10_ENKUlT_T0_E_clISt17integral_constantIbLb1EES1B_IbLb0EEEEDaS17_S18_EUlS17_E_NS1_11comp_targetILNS1_3genE4ELNS1_11target_archE910ELNS1_3gpuE8ELNS1_3repE0EEENS1_30default_config_static_selectorELNS0_4arch9wavefront6targetE1EEEvT1_.uses_flat_scratch, 0
	.set _ZN7rocprim17ROCPRIM_400000_NS6detail17trampoline_kernelINS0_14default_configENS1_25partition_config_selectorILNS1_17partition_subalgoE8ElNS0_10empty_typeEbEEZZNS1_14partition_implILS5_8ELb0ES3_jPlPS6_PKS6_NS0_5tupleIJS9_S6_EEENSD_IJSA_SA_EEENS0_18inequality_wrapperIZN2at6native12_GLOBAL__N_124unique_dim_cuda_templateIaEESt5tupleIJNSH_6TensorESM_SM_EERKSM_lbbbEUlllE0_EEPmJS6_EEE10hipError_tPvRmT3_T4_T5_T6_T7_T9_mT8_P12ihipStream_tbDpT10_ENKUlT_T0_E_clISt17integral_constantIbLb1EES1B_IbLb0EEEEDaS17_S18_EUlS17_E_NS1_11comp_targetILNS1_3genE4ELNS1_11target_archE910ELNS1_3gpuE8ELNS1_3repE0EEENS1_30default_config_static_selectorELNS0_4arch9wavefront6targetE1EEEvT1_.has_dyn_sized_stack, 0
	.set _ZN7rocprim17ROCPRIM_400000_NS6detail17trampoline_kernelINS0_14default_configENS1_25partition_config_selectorILNS1_17partition_subalgoE8ElNS0_10empty_typeEbEEZZNS1_14partition_implILS5_8ELb0ES3_jPlPS6_PKS6_NS0_5tupleIJS9_S6_EEENSD_IJSA_SA_EEENS0_18inequality_wrapperIZN2at6native12_GLOBAL__N_124unique_dim_cuda_templateIaEESt5tupleIJNSH_6TensorESM_SM_EERKSM_lbbbEUlllE0_EEPmJS6_EEE10hipError_tPvRmT3_T4_T5_T6_T7_T9_mT8_P12ihipStream_tbDpT10_ENKUlT_T0_E_clISt17integral_constantIbLb1EES1B_IbLb0EEEEDaS17_S18_EUlS17_E_NS1_11comp_targetILNS1_3genE4ELNS1_11target_archE910ELNS1_3gpuE8ELNS1_3repE0EEENS1_30default_config_static_selectorELNS0_4arch9wavefront6targetE1EEEvT1_.has_recursion, 0
	.set _ZN7rocprim17ROCPRIM_400000_NS6detail17trampoline_kernelINS0_14default_configENS1_25partition_config_selectorILNS1_17partition_subalgoE8ElNS0_10empty_typeEbEEZZNS1_14partition_implILS5_8ELb0ES3_jPlPS6_PKS6_NS0_5tupleIJS9_S6_EEENSD_IJSA_SA_EEENS0_18inequality_wrapperIZN2at6native12_GLOBAL__N_124unique_dim_cuda_templateIaEESt5tupleIJNSH_6TensorESM_SM_EERKSM_lbbbEUlllE0_EEPmJS6_EEE10hipError_tPvRmT3_T4_T5_T6_T7_T9_mT8_P12ihipStream_tbDpT10_ENKUlT_T0_E_clISt17integral_constantIbLb1EES1B_IbLb0EEEEDaS17_S18_EUlS17_E_NS1_11comp_targetILNS1_3genE4ELNS1_11target_archE910ELNS1_3gpuE8ELNS1_3repE0EEENS1_30default_config_static_selectorELNS0_4arch9wavefront6targetE1EEEvT1_.has_indirect_call, 0
	.section	.AMDGPU.csdata,"",@progbits
; Kernel info:
; codeLenInByte = 0
; TotalNumSgprs: 6
; NumVgprs: 0
; NumAgprs: 0
; TotalNumVgprs: 0
; ScratchSize: 0
; MemoryBound: 0
; FloatMode: 240
; IeeeMode: 1
; LDSByteSize: 0 bytes/workgroup (compile time only)
; SGPRBlocks: 0
; VGPRBlocks: 0
; NumSGPRsForWavesPerEU: 6
; NumVGPRsForWavesPerEU: 1
; AccumOffset: 4
; Occupancy: 8
; WaveLimiterHint : 0
; COMPUTE_PGM_RSRC2:SCRATCH_EN: 0
; COMPUTE_PGM_RSRC2:USER_SGPR: 2
; COMPUTE_PGM_RSRC2:TRAP_HANDLER: 0
; COMPUTE_PGM_RSRC2:TGID_X_EN: 1
; COMPUTE_PGM_RSRC2:TGID_Y_EN: 0
; COMPUTE_PGM_RSRC2:TGID_Z_EN: 0
; COMPUTE_PGM_RSRC2:TIDIG_COMP_CNT: 0
; COMPUTE_PGM_RSRC3_GFX90A:ACCUM_OFFSET: 0
; COMPUTE_PGM_RSRC3_GFX90A:TG_SPLIT: 0
	.section	.text._ZN7rocprim17ROCPRIM_400000_NS6detail17trampoline_kernelINS0_14default_configENS1_25partition_config_selectorILNS1_17partition_subalgoE8ElNS0_10empty_typeEbEEZZNS1_14partition_implILS5_8ELb0ES3_jPlPS6_PKS6_NS0_5tupleIJS9_S6_EEENSD_IJSA_SA_EEENS0_18inequality_wrapperIZN2at6native12_GLOBAL__N_124unique_dim_cuda_templateIaEESt5tupleIJNSH_6TensorESM_SM_EERKSM_lbbbEUlllE0_EEPmJS6_EEE10hipError_tPvRmT3_T4_T5_T6_T7_T9_mT8_P12ihipStream_tbDpT10_ENKUlT_T0_E_clISt17integral_constantIbLb1EES1B_IbLb0EEEEDaS17_S18_EUlS17_E_NS1_11comp_targetILNS1_3genE3ELNS1_11target_archE908ELNS1_3gpuE7ELNS1_3repE0EEENS1_30default_config_static_selectorELNS0_4arch9wavefront6targetE1EEEvT1_,"axG",@progbits,_ZN7rocprim17ROCPRIM_400000_NS6detail17trampoline_kernelINS0_14default_configENS1_25partition_config_selectorILNS1_17partition_subalgoE8ElNS0_10empty_typeEbEEZZNS1_14partition_implILS5_8ELb0ES3_jPlPS6_PKS6_NS0_5tupleIJS9_S6_EEENSD_IJSA_SA_EEENS0_18inequality_wrapperIZN2at6native12_GLOBAL__N_124unique_dim_cuda_templateIaEESt5tupleIJNSH_6TensorESM_SM_EERKSM_lbbbEUlllE0_EEPmJS6_EEE10hipError_tPvRmT3_T4_T5_T6_T7_T9_mT8_P12ihipStream_tbDpT10_ENKUlT_T0_E_clISt17integral_constantIbLb1EES1B_IbLb0EEEEDaS17_S18_EUlS17_E_NS1_11comp_targetILNS1_3genE3ELNS1_11target_archE908ELNS1_3gpuE7ELNS1_3repE0EEENS1_30default_config_static_selectorELNS0_4arch9wavefront6targetE1EEEvT1_,comdat
	.globl	_ZN7rocprim17ROCPRIM_400000_NS6detail17trampoline_kernelINS0_14default_configENS1_25partition_config_selectorILNS1_17partition_subalgoE8ElNS0_10empty_typeEbEEZZNS1_14partition_implILS5_8ELb0ES3_jPlPS6_PKS6_NS0_5tupleIJS9_S6_EEENSD_IJSA_SA_EEENS0_18inequality_wrapperIZN2at6native12_GLOBAL__N_124unique_dim_cuda_templateIaEESt5tupleIJNSH_6TensorESM_SM_EERKSM_lbbbEUlllE0_EEPmJS6_EEE10hipError_tPvRmT3_T4_T5_T6_T7_T9_mT8_P12ihipStream_tbDpT10_ENKUlT_T0_E_clISt17integral_constantIbLb1EES1B_IbLb0EEEEDaS17_S18_EUlS17_E_NS1_11comp_targetILNS1_3genE3ELNS1_11target_archE908ELNS1_3gpuE7ELNS1_3repE0EEENS1_30default_config_static_selectorELNS0_4arch9wavefront6targetE1EEEvT1_ ; -- Begin function _ZN7rocprim17ROCPRIM_400000_NS6detail17trampoline_kernelINS0_14default_configENS1_25partition_config_selectorILNS1_17partition_subalgoE8ElNS0_10empty_typeEbEEZZNS1_14partition_implILS5_8ELb0ES3_jPlPS6_PKS6_NS0_5tupleIJS9_S6_EEENSD_IJSA_SA_EEENS0_18inequality_wrapperIZN2at6native12_GLOBAL__N_124unique_dim_cuda_templateIaEESt5tupleIJNSH_6TensorESM_SM_EERKSM_lbbbEUlllE0_EEPmJS6_EEE10hipError_tPvRmT3_T4_T5_T6_T7_T9_mT8_P12ihipStream_tbDpT10_ENKUlT_T0_E_clISt17integral_constantIbLb1EES1B_IbLb0EEEEDaS17_S18_EUlS17_E_NS1_11comp_targetILNS1_3genE3ELNS1_11target_archE908ELNS1_3gpuE7ELNS1_3repE0EEENS1_30default_config_static_selectorELNS0_4arch9wavefront6targetE1EEEvT1_
	.p2align	8
	.type	_ZN7rocprim17ROCPRIM_400000_NS6detail17trampoline_kernelINS0_14default_configENS1_25partition_config_selectorILNS1_17partition_subalgoE8ElNS0_10empty_typeEbEEZZNS1_14partition_implILS5_8ELb0ES3_jPlPS6_PKS6_NS0_5tupleIJS9_S6_EEENSD_IJSA_SA_EEENS0_18inequality_wrapperIZN2at6native12_GLOBAL__N_124unique_dim_cuda_templateIaEESt5tupleIJNSH_6TensorESM_SM_EERKSM_lbbbEUlllE0_EEPmJS6_EEE10hipError_tPvRmT3_T4_T5_T6_T7_T9_mT8_P12ihipStream_tbDpT10_ENKUlT_T0_E_clISt17integral_constantIbLb1EES1B_IbLb0EEEEDaS17_S18_EUlS17_E_NS1_11comp_targetILNS1_3genE3ELNS1_11target_archE908ELNS1_3gpuE7ELNS1_3repE0EEENS1_30default_config_static_selectorELNS0_4arch9wavefront6targetE1EEEvT1_,@function
_ZN7rocprim17ROCPRIM_400000_NS6detail17trampoline_kernelINS0_14default_configENS1_25partition_config_selectorILNS1_17partition_subalgoE8ElNS0_10empty_typeEbEEZZNS1_14partition_implILS5_8ELb0ES3_jPlPS6_PKS6_NS0_5tupleIJS9_S6_EEENSD_IJSA_SA_EEENS0_18inequality_wrapperIZN2at6native12_GLOBAL__N_124unique_dim_cuda_templateIaEESt5tupleIJNSH_6TensorESM_SM_EERKSM_lbbbEUlllE0_EEPmJS6_EEE10hipError_tPvRmT3_T4_T5_T6_T7_T9_mT8_P12ihipStream_tbDpT10_ENKUlT_T0_E_clISt17integral_constantIbLb1EES1B_IbLb0EEEEDaS17_S18_EUlS17_E_NS1_11comp_targetILNS1_3genE3ELNS1_11target_archE908ELNS1_3gpuE7ELNS1_3repE0EEENS1_30default_config_static_selectorELNS0_4arch9wavefront6targetE1EEEvT1_: ; @_ZN7rocprim17ROCPRIM_400000_NS6detail17trampoline_kernelINS0_14default_configENS1_25partition_config_selectorILNS1_17partition_subalgoE8ElNS0_10empty_typeEbEEZZNS1_14partition_implILS5_8ELb0ES3_jPlPS6_PKS6_NS0_5tupleIJS9_S6_EEENSD_IJSA_SA_EEENS0_18inequality_wrapperIZN2at6native12_GLOBAL__N_124unique_dim_cuda_templateIaEESt5tupleIJNSH_6TensorESM_SM_EERKSM_lbbbEUlllE0_EEPmJS6_EEE10hipError_tPvRmT3_T4_T5_T6_T7_T9_mT8_P12ihipStream_tbDpT10_ENKUlT_T0_E_clISt17integral_constantIbLb1EES1B_IbLb0EEEEDaS17_S18_EUlS17_E_NS1_11comp_targetILNS1_3genE3ELNS1_11target_archE908ELNS1_3gpuE7ELNS1_3repE0EEENS1_30default_config_static_selectorELNS0_4arch9wavefront6targetE1EEEvT1_
; %bb.0:
	.section	.rodata,"a",@progbits
	.p2align	6, 0x0
	.amdhsa_kernel _ZN7rocprim17ROCPRIM_400000_NS6detail17trampoline_kernelINS0_14default_configENS1_25partition_config_selectorILNS1_17partition_subalgoE8ElNS0_10empty_typeEbEEZZNS1_14partition_implILS5_8ELb0ES3_jPlPS6_PKS6_NS0_5tupleIJS9_S6_EEENSD_IJSA_SA_EEENS0_18inequality_wrapperIZN2at6native12_GLOBAL__N_124unique_dim_cuda_templateIaEESt5tupleIJNSH_6TensorESM_SM_EERKSM_lbbbEUlllE0_EEPmJS6_EEE10hipError_tPvRmT3_T4_T5_T6_T7_T9_mT8_P12ihipStream_tbDpT10_ENKUlT_T0_E_clISt17integral_constantIbLb1EES1B_IbLb0EEEEDaS17_S18_EUlS17_E_NS1_11comp_targetILNS1_3genE3ELNS1_11target_archE908ELNS1_3gpuE7ELNS1_3repE0EEENS1_30default_config_static_selectorELNS0_4arch9wavefront6targetE1EEEvT1_
		.amdhsa_group_segment_fixed_size 0
		.amdhsa_private_segment_fixed_size 0
		.amdhsa_kernarg_size 120
		.amdhsa_user_sgpr_count 2
		.amdhsa_user_sgpr_dispatch_ptr 0
		.amdhsa_user_sgpr_queue_ptr 0
		.amdhsa_user_sgpr_kernarg_segment_ptr 1
		.amdhsa_user_sgpr_dispatch_id 0
		.amdhsa_user_sgpr_kernarg_preload_length 0
		.amdhsa_user_sgpr_kernarg_preload_offset 0
		.amdhsa_user_sgpr_private_segment_size 0
		.amdhsa_uses_dynamic_stack 0
		.amdhsa_enable_private_segment 0
		.amdhsa_system_sgpr_workgroup_id_x 1
		.amdhsa_system_sgpr_workgroup_id_y 0
		.amdhsa_system_sgpr_workgroup_id_z 0
		.amdhsa_system_sgpr_workgroup_info 0
		.amdhsa_system_vgpr_workitem_id 0
		.amdhsa_next_free_vgpr 1
		.amdhsa_next_free_sgpr 0
		.amdhsa_accum_offset 4
		.amdhsa_reserve_vcc 0
		.amdhsa_float_round_mode_32 0
		.amdhsa_float_round_mode_16_64 0
		.amdhsa_float_denorm_mode_32 3
		.amdhsa_float_denorm_mode_16_64 3
		.amdhsa_dx10_clamp 1
		.amdhsa_ieee_mode 1
		.amdhsa_fp16_overflow 0
		.amdhsa_tg_split 0
		.amdhsa_exception_fp_ieee_invalid_op 0
		.amdhsa_exception_fp_denorm_src 0
		.amdhsa_exception_fp_ieee_div_zero 0
		.amdhsa_exception_fp_ieee_overflow 0
		.amdhsa_exception_fp_ieee_underflow 0
		.amdhsa_exception_fp_ieee_inexact 0
		.amdhsa_exception_int_div_zero 0
	.end_amdhsa_kernel
	.section	.text._ZN7rocprim17ROCPRIM_400000_NS6detail17trampoline_kernelINS0_14default_configENS1_25partition_config_selectorILNS1_17partition_subalgoE8ElNS0_10empty_typeEbEEZZNS1_14partition_implILS5_8ELb0ES3_jPlPS6_PKS6_NS0_5tupleIJS9_S6_EEENSD_IJSA_SA_EEENS0_18inequality_wrapperIZN2at6native12_GLOBAL__N_124unique_dim_cuda_templateIaEESt5tupleIJNSH_6TensorESM_SM_EERKSM_lbbbEUlllE0_EEPmJS6_EEE10hipError_tPvRmT3_T4_T5_T6_T7_T9_mT8_P12ihipStream_tbDpT10_ENKUlT_T0_E_clISt17integral_constantIbLb1EES1B_IbLb0EEEEDaS17_S18_EUlS17_E_NS1_11comp_targetILNS1_3genE3ELNS1_11target_archE908ELNS1_3gpuE7ELNS1_3repE0EEENS1_30default_config_static_selectorELNS0_4arch9wavefront6targetE1EEEvT1_,"axG",@progbits,_ZN7rocprim17ROCPRIM_400000_NS6detail17trampoline_kernelINS0_14default_configENS1_25partition_config_selectorILNS1_17partition_subalgoE8ElNS0_10empty_typeEbEEZZNS1_14partition_implILS5_8ELb0ES3_jPlPS6_PKS6_NS0_5tupleIJS9_S6_EEENSD_IJSA_SA_EEENS0_18inequality_wrapperIZN2at6native12_GLOBAL__N_124unique_dim_cuda_templateIaEESt5tupleIJNSH_6TensorESM_SM_EERKSM_lbbbEUlllE0_EEPmJS6_EEE10hipError_tPvRmT3_T4_T5_T6_T7_T9_mT8_P12ihipStream_tbDpT10_ENKUlT_T0_E_clISt17integral_constantIbLb1EES1B_IbLb0EEEEDaS17_S18_EUlS17_E_NS1_11comp_targetILNS1_3genE3ELNS1_11target_archE908ELNS1_3gpuE7ELNS1_3repE0EEENS1_30default_config_static_selectorELNS0_4arch9wavefront6targetE1EEEvT1_,comdat
.Lfunc_end338:
	.size	_ZN7rocprim17ROCPRIM_400000_NS6detail17trampoline_kernelINS0_14default_configENS1_25partition_config_selectorILNS1_17partition_subalgoE8ElNS0_10empty_typeEbEEZZNS1_14partition_implILS5_8ELb0ES3_jPlPS6_PKS6_NS0_5tupleIJS9_S6_EEENSD_IJSA_SA_EEENS0_18inequality_wrapperIZN2at6native12_GLOBAL__N_124unique_dim_cuda_templateIaEESt5tupleIJNSH_6TensorESM_SM_EERKSM_lbbbEUlllE0_EEPmJS6_EEE10hipError_tPvRmT3_T4_T5_T6_T7_T9_mT8_P12ihipStream_tbDpT10_ENKUlT_T0_E_clISt17integral_constantIbLb1EES1B_IbLb0EEEEDaS17_S18_EUlS17_E_NS1_11comp_targetILNS1_3genE3ELNS1_11target_archE908ELNS1_3gpuE7ELNS1_3repE0EEENS1_30default_config_static_selectorELNS0_4arch9wavefront6targetE1EEEvT1_, .Lfunc_end338-_ZN7rocprim17ROCPRIM_400000_NS6detail17trampoline_kernelINS0_14default_configENS1_25partition_config_selectorILNS1_17partition_subalgoE8ElNS0_10empty_typeEbEEZZNS1_14partition_implILS5_8ELb0ES3_jPlPS6_PKS6_NS0_5tupleIJS9_S6_EEENSD_IJSA_SA_EEENS0_18inequality_wrapperIZN2at6native12_GLOBAL__N_124unique_dim_cuda_templateIaEESt5tupleIJNSH_6TensorESM_SM_EERKSM_lbbbEUlllE0_EEPmJS6_EEE10hipError_tPvRmT3_T4_T5_T6_T7_T9_mT8_P12ihipStream_tbDpT10_ENKUlT_T0_E_clISt17integral_constantIbLb1EES1B_IbLb0EEEEDaS17_S18_EUlS17_E_NS1_11comp_targetILNS1_3genE3ELNS1_11target_archE908ELNS1_3gpuE7ELNS1_3repE0EEENS1_30default_config_static_selectorELNS0_4arch9wavefront6targetE1EEEvT1_
                                        ; -- End function
	.set _ZN7rocprim17ROCPRIM_400000_NS6detail17trampoline_kernelINS0_14default_configENS1_25partition_config_selectorILNS1_17partition_subalgoE8ElNS0_10empty_typeEbEEZZNS1_14partition_implILS5_8ELb0ES3_jPlPS6_PKS6_NS0_5tupleIJS9_S6_EEENSD_IJSA_SA_EEENS0_18inequality_wrapperIZN2at6native12_GLOBAL__N_124unique_dim_cuda_templateIaEESt5tupleIJNSH_6TensorESM_SM_EERKSM_lbbbEUlllE0_EEPmJS6_EEE10hipError_tPvRmT3_T4_T5_T6_T7_T9_mT8_P12ihipStream_tbDpT10_ENKUlT_T0_E_clISt17integral_constantIbLb1EES1B_IbLb0EEEEDaS17_S18_EUlS17_E_NS1_11comp_targetILNS1_3genE3ELNS1_11target_archE908ELNS1_3gpuE7ELNS1_3repE0EEENS1_30default_config_static_selectorELNS0_4arch9wavefront6targetE1EEEvT1_.num_vgpr, 0
	.set _ZN7rocprim17ROCPRIM_400000_NS6detail17trampoline_kernelINS0_14default_configENS1_25partition_config_selectorILNS1_17partition_subalgoE8ElNS0_10empty_typeEbEEZZNS1_14partition_implILS5_8ELb0ES3_jPlPS6_PKS6_NS0_5tupleIJS9_S6_EEENSD_IJSA_SA_EEENS0_18inequality_wrapperIZN2at6native12_GLOBAL__N_124unique_dim_cuda_templateIaEESt5tupleIJNSH_6TensorESM_SM_EERKSM_lbbbEUlllE0_EEPmJS6_EEE10hipError_tPvRmT3_T4_T5_T6_T7_T9_mT8_P12ihipStream_tbDpT10_ENKUlT_T0_E_clISt17integral_constantIbLb1EES1B_IbLb0EEEEDaS17_S18_EUlS17_E_NS1_11comp_targetILNS1_3genE3ELNS1_11target_archE908ELNS1_3gpuE7ELNS1_3repE0EEENS1_30default_config_static_selectorELNS0_4arch9wavefront6targetE1EEEvT1_.num_agpr, 0
	.set _ZN7rocprim17ROCPRIM_400000_NS6detail17trampoline_kernelINS0_14default_configENS1_25partition_config_selectorILNS1_17partition_subalgoE8ElNS0_10empty_typeEbEEZZNS1_14partition_implILS5_8ELb0ES3_jPlPS6_PKS6_NS0_5tupleIJS9_S6_EEENSD_IJSA_SA_EEENS0_18inequality_wrapperIZN2at6native12_GLOBAL__N_124unique_dim_cuda_templateIaEESt5tupleIJNSH_6TensorESM_SM_EERKSM_lbbbEUlllE0_EEPmJS6_EEE10hipError_tPvRmT3_T4_T5_T6_T7_T9_mT8_P12ihipStream_tbDpT10_ENKUlT_T0_E_clISt17integral_constantIbLb1EES1B_IbLb0EEEEDaS17_S18_EUlS17_E_NS1_11comp_targetILNS1_3genE3ELNS1_11target_archE908ELNS1_3gpuE7ELNS1_3repE0EEENS1_30default_config_static_selectorELNS0_4arch9wavefront6targetE1EEEvT1_.numbered_sgpr, 0
	.set _ZN7rocprim17ROCPRIM_400000_NS6detail17trampoline_kernelINS0_14default_configENS1_25partition_config_selectorILNS1_17partition_subalgoE8ElNS0_10empty_typeEbEEZZNS1_14partition_implILS5_8ELb0ES3_jPlPS6_PKS6_NS0_5tupleIJS9_S6_EEENSD_IJSA_SA_EEENS0_18inequality_wrapperIZN2at6native12_GLOBAL__N_124unique_dim_cuda_templateIaEESt5tupleIJNSH_6TensorESM_SM_EERKSM_lbbbEUlllE0_EEPmJS6_EEE10hipError_tPvRmT3_T4_T5_T6_T7_T9_mT8_P12ihipStream_tbDpT10_ENKUlT_T0_E_clISt17integral_constantIbLb1EES1B_IbLb0EEEEDaS17_S18_EUlS17_E_NS1_11comp_targetILNS1_3genE3ELNS1_11target_archE908ELNS1_3gpuE7ELNS1_3repE0EEENS1_30default_config_static_selectorELNS0_4arch9wavefront6targetE1EEEvT1_.num_named_barrier, 0
	.set _ZN7rocprim17ROCPRIM_400000_NS6detail17trampoline_kernelINS0_14default_configENS1_25partition_config_selectorILNS1_17partition_subalgoE8ElNS0_10empty_typeEbEEZZNS1_14partition_implILS5_8ELb0ES3_jPlPS6_PKS6_NS0_5tupleIJS9_S6_EEENSD_IJSA_SA_EEENS0_18inequality_wrapperIZN2at6native12_GLOBAL__N_124unique_dim_cuda_templateIaEESt5tupleIJNSH_6TensorESM_SM_EERKSM_lbbbEUlllE0_EEPmJS6_EEE10hipError_tPvRmT3_T4_T5_T6_T7_T9_mT8_P12ihipStream_tbDpT10_ENKUlT_T0_E_clISt17integral_constantIbLb1EES1B_IbLb0EEEEDaS17_S18_EUlS17_E_NS1_11comp_targetILNS1_3genE3ELNS1_11target_archE908ELNS1_3gpuE7ELNS1_3repE0EEENS1_30default_config_static_selectorELNS0_4arch9wavefront6targetE1EEEvT1_.private_seg_size, 0
	.set _ZN7rocprim17ROCPRIM_400000_NS6detail17trampoline_kernelINS0_14default_configENS1_25partition_config_selectorILNS1_17partition_subalgoE8ElNS0_10empty_typeEbEEZZNS1_14partition_implILS5_8ELb0ES3_jPlPS6_PKS6_NS0_5tupleIJS9_S6_EEENSD_IJSA_SA_EEENS0_18inequality_wrapperIZN2at6native12_GLOBAL__N_124unique_dim_cuda_templateIaEESt5tupleIJNSH_6TensorESM_SM_EERKSM_lbbbEUlllE0_EEPmJS6_EEE10hipError_tPvRmT3_T4_T5_T6_T7_T9_mT8_P12ihipStream_tbDpT10_ENKUlT_T0_E_clISt17integral_constantIbLb1EES1B_IbLb0EEEEDaS17_S18_EUlS17_E_NS1_11comp_targetILNS1_3genE3ELNS1_11target_archE908ELNS1_3gpuE7ELNS1_3repE0EEENS1_30default_config_static_selectorELNS0_4arch9wavefront6targetE1EEEvT1_.uses_vcc, 0
	.set _ZN7rocprim17ROCPRIM_400000_NS6detail17trampoline_kernelINS0_14default_configENS1_25partition_config_selectorILNS1_17partition_subalgoE8ElNS0_10empty_typeEbEEZZNS1_14partition_implILS5_8ELb0ES3_jPlPS6_PKS6_NS0_5tupleIJS9_S6_EEENSD_IJSA_SA_EEENS0_18inequality_wrapperIZN2at6native12_GLOBAL__N_124unique_dim_cuda_templateIaEESt5tupleIJNSH_6TensorESM_SM_EERKSM_lbbbEUlllE0_EEPmJS6_EEE10hipError_tPvRmT3_T4_T5_T6_T7_T9_mT8_P12ihipStream_tbDpT10_ENKUlT_T0_E_clISt17integral_constantIbLb1EES1B_IbLb0EEEEDaS17_S18_EUlS17_E_NS1_11comp_targetILNS1_3genE3ELNS1_11target_archE908ELNS1_3gpuE7ELNS1_3repE0EEENS1_30default_config_static_selectorELNS0_4arch9wavefront6targetE1EEEvT1_.uses_flat_scratch, 0
	.set _ZN7rocprim17ROCPRIM_400000_NS6detail17trampoline_kernelINS0_14default_configENS1_25partition_config_selectorILNS1_17partition_subalgoE8ElNS0_10empty_typeEbEEZZNS1_14partition_implILS5_8ELb0ES3_jPlPS6_PKS6_NS0_5tupleIJS9_S6_EEENSD_IJSA_SA_EEENS0_18inequality_wrapperIZN2at6native12_GLOBAL__N_124unique_dim_cuda_templateIaEESt5tupleIJNSH_6TensorESM_SM_EERKSM_lbbbEUlllE0_EEPmJS6_EEE10hipError_tPvRmT3_T4_T5_T6_T7_T9_mT8_P12ihipStream_tbDpT10_ENKUlT_T0_E_clISt17integral_constantIbLb1EES1B_IbLb0EEEEDaS17_S18_EUlS17_E_NS1_11comp_targetILNS1_3genE3ELNS1_11target_archE908ELNS1_3gpuE7ELNS1_3repE0EEENS1_30default_config_static_selectorELNS0_4arch9wavefront6targetE1EEEvT1_.has_dyn_sized_stack, 0
	.set _ZN7rocprim17ROCPRIM_400000_NS6detail17trampoline_kernelINS0_14default_configENS1_25partition_config_selectorILNS1_17partition_subalgoE8ElNS0_10empty_typeEbEEZZNS1_14partition_implILS5_8ELb0ES3_jPlPS6_PKS6_NS0_5tupleIJS9_S6_EEENSD_IJSA_SA_EEENS0_18inequality_wrapperIZN2at6native12_GLOBAL__N_124unique_dim_cuda_templateIaEESt5tupleIJNSH_6TensorESM_SM_EERKSM_lbbbEUlllE0_EEPmJS6_EEE10hipError_tPvRmT3_T4_T5_T6_T7_T9_mT8_P12ihipStream_tbDpT10_ENKUlT_T0_E_clISt17integral_constantIbLb1EES1B_IbLb0EEEEDaS17_S18_EUlS17_E_NS1_11comp_targetILNS1_3genE3ELNS1_11target_archE908ELNS1_3gpuE7ELNS1_3repE0EEENS1_30default_config_static_selectorELNS0_4arch9wavefront6targetE1EEEvT1_.has_recursion, 0
	.set _ZN7rocprim17ROCPRIM_400000_NS6detail17trampoline_kernelINS0_14default_configENS1_25partition_config_selectorILNS1_17partition_subalgoE8ElNS0_10empty_typeEbEEZZNS1_14partition_implILS5_8ELb0ES3_jPlPS6_PKS6_NS0_5tupleIJS9_S6_EEENSD_IJSA_SA_EEENS0_18inequality_wrapperIZN2at6native12_GLOBAL__N_124unique_dim_cuda_templateIaEESt5tupleIJNSH_6TensorESM_SM_EERKSM_lbbbEUlllE0_EEPmJS6_EEE10hipError_tPvRmT3_T4_T5_T6_T7_T9_mT8_P12ihipStream_tbDpT10_ENKUlT_T0_E_clISt17integral_constantIbLb1EES1B_IbLb0EEEEDaS17_S18_EUlS17_E_NS1_11comp_targetILNS1_3genE3ELNS1_11target_archE908ELNS1_3gpuE7ELNS1_3repE0EEENS1_30default_config_static_selectorELNS0_4arch9wavefront6targetE1EEEvT1_.has_indirect_call, 0
	.section	.AMDGPU.csdata,"",@progbits
; Kernel info:
; codeLenInByte = 0
; TotalNumSgprs: 6
; NumVgprs: 0
; NumAgprs: 0
; TotalNumVgprs: 0
; ScratchSize: 0
; MemoryBound: 0
; FloatMode: 240
; IeeeMode: 1
; LDSByteSize: 0 bytes/workgroup (compile time only)
; SGPRBlocks: 0
; VGPRBlocks: 0
; NumSGPRsForWavesPerEU: 6
; NumVGPRsForWavesPerEU: 1
; AccumOffset: 4
; Occupancy: 8
; WaveLimiterHint : 0
; COMPUTE_PGM_RSRC2:SCRATCH_EN: 0
; COMPUTE_PGM_RSRC2:USER_SGPR: 2
; COMPUTE_PGM_RSRC2:TRAP_HANDLER: 0
; COMPUTE_PGM_RSRC2:TGID_X_EN: 1
; COMPUTE_PGM_RSRC2:TGID_Y_EN: 0
; COMPUTE_PGM_RSRC2:TGID_Z_EN: 0
; COMPUTE_PGM_RSRC2:TIDIG_COMP_CNT: 0
; COMPUTE_PGM_RSRC3_GFX90A:ACCUM_OFFSET: 0
; COMPUTE_PGM_RSRC3_GFX90A:TG_SPLIT: 0
	.section	.text._ZN7rocprim17ROCPRIM_400000_NS6detail17trampoline_kernelINS0_14default_configENS1_25partition_config_selectorILNS1_17partition_subalgoE8ElNS0_10empty_typeEbEEZZNS1_14partition_implILS5_8ELb0ES3_jPlPS6_PKS6_NS0_5tupleIJS9_S6_EEENSD_IJSA_SA_EEENS0_18inequality_wrapperIZN2at6native12_GLOBAL__N_124unique_dim_cuda_templateIaEESt5tupleIJNSH_6TensorESM_SM_EERKSM_lbbbEUlllE0_EEPmJS6_EEE10hipError_tPvRmT3_T4_T5_T6_T7_T9_mT8_P12ihipStream_tbDpT10_ENKUlT_T0_E_clISt17integral_constantIbLb1EES1B_IbLb0EEEEDaS17_S18_EUlS17_E_NS1_11comp_targetILNS1_3genE2ELNS1_11target_archE906ELNS1_3gpuE6ELNS1_3repE0EEENS1_30default_config_static_selectorELNS0_4arch9wavefront6targetE1EEEvT1_,"axG",@progbits,_ZN7rocprim17ROCPRIM_400000_NS6detail17trampoline_kernelINS0_14default_configENS1_25partition_config_selectorILNS1_17partition_subalgoE8ElNS0_10empty_typeEbEEZZNS1_14partition_implILS5_8ELb0ES3_jPlPS6_PKS6_NS0_5tupleIJS9_S6_EEENSD_IJSA_SA_EEENS0_18inequality_wrapperIZN2at6native12_GLOBAL__N_124unique_dim_cuda_templateIaEESt5tupleIJNSH_6TensorESM_SM_EERKSM_lbbbEUlllE0_EEPmJS6_EEE10hipError_tPvRmT3_T4_T5_T6_T7_T9_mT8_P12ihipStream_tbDpT10_ENKUlT_T0_E_clISt17integral_constantIbLb1EES1B_IbLb0EEEEDaS17_S18_EUlS17_E_NS1_11comp_targetILNS1_3genE2ELNS1_11target_archE906ELNS1_3gpuE6ELNS1_3repE0EEENS1_30default_config_static_selectorELNS0_4arch9wavefront6targetE1EEEvT1_,comdat
	.globl	_ZN7rocprim17ROCPRIM_400000_NS6detail17trampoline_kernelINS0_14default_configENS1_25partition_config_selectorILNS1_17partition_subalgoE8ElNS0_10empty_typeEbEEZZNS1_14partition_implILS5_8ELb0ES3_jPlPS6_PKS6_NS0_5tupleIJS9_S6_EEENSD_IJSA_SA_EEENS0_18inequality_wrapperIZN2at6native12_GLOBAL__N_124unique_dim_cuda_templateIaEESt5tupleIJNSH_6TensorESM_SM_EERKSM_lbbbEUlllE0_EEPmJS6_EEE10hipError_tPvRmT3_T4_T5_T6_T7_T9_mT8_P12ihipStream_tbDpT10_ENKUlT_T0_E_clISt17integral_constantIbLb1EES1B_IbLb0EEEEDaS17_S18_EUlS17_E_NS1_11comp_targetILNS1_3genE2ELNS1_11target_archE906ELNS1_3gpuE6ELNS1_3repE0EEENS1_30default_config_static_selectorELNS0_4arch9wavefront6targetE1EEEvT1_ ; -- Begin function _ZN7rocprim17ROCPRIM_400000_NS6detail17trampoline_kernelINS0_14default_configENS1_25partition_config_selectorILNS1_17partition_subalgoE8ElNS0_10empty_typeEbEEZZNS1_14partition_implILS5_8ELb0ES3_jPlPS6_PKS6_NS0_5tupleIJS9_S6_EEENSD_IJSA_SA_EEENS0_18inequality_wrapperIZN2at6native12_GLOBAL__N_124unique_dim_cuda_templateIaEESt5tupleIJNSH_6TensorESM_SM_EERKSM_lbbbEUlllE0_EEPmJS6_EEE10hipError_tPvRmT3_T4_T5_T6_T7_T9_mT8_P12ihipStream_tbDpT10_ENKUlT_T0_E_clISt17integral_constantIbLb1EES1B_IbLb0EEEEDaS17_S18_EUlS17_E_NS1_11comp_targetILNS1_3genE2ELNS1_11target_archE906ELNS1_3gpuE6ELNS1_3repE0EEENS1_30default_config_static_selectorELNS0_4arch9wavefront6targetE1EEEvT1_
	.p2align	8
	.type	_ZN7rocprim17ROCPRIM_400000_NS6detail17trampoline_kernelINS0_14default_configENS1_25partition_config_selectorILNS1_17partition_subalgoE8ElNS0_10empty_typeEbEEZZNS1_14partition_implILS5_8ELb0ES3_jPlPS6_PKS6_NS0_5tupleIJS9_S6_EEENSD_IJSA_SA_EEENS0_18inequality_wrapperIZN2at6native12_GLOBAL__N_124unique_dim_cuda_templateIaEESt5tupleIJNSH_6TensorESM_SM_EERKSM_lbbbEUlllE0_EEPmJS6_EEE10hipError_tPvRmT3_T4_T5_T6_T7_T9_mT8_P12ihipStream_tbDpT10_ENKUlT_T0_E_clISt17integral_constantIbLb1EES1B_IbLb0EEEEDaS17_S18_EUlS17_E_NS1_11comp_targetILNS1_3genE2ELNS1_11target_archE906ELNS1_3gpuE6ELNS1_3repE0EEENS1_30default_config_static_selectorELNS0_4arch9wavefront6targetE1EEEvT1_,@function
_ZN7rocprim17ROCPRIM_400000_NS6detail17trampoline_kernelINS0_14default_configENS1_25partition_config_selectorILNS1_17partition_subalgoE8ElNS0_10empty_typeEbEEZZNS1_14partition_implILS5_8ELb0ES3_jPlPS6_PKS6_NS0_5tupleIJS9_S6_EEENSD_IJSA_SA_EEENS0_18inequality_wrapperIZN2at6native12_GLOBAL__N_124unique_dim_cuda_templateIaEESt5tupleIJNSH_6TensorESM_SM_EERKSM_lbbbEUlllE0_EEPmJS6_EEE10hipError_tPvRmT3_T4_T5_T6_T7_T9_mT8_P12ihipStream_tbDpT10_ENKUlT_T0_E_clISt17integral_constantIbLb1EES1B_IbLb0EEEEDaS17_S18_EUlS17_E_NS1_11comp_targetILNS1_3genE2ELNS1_11target_archE906ELNS1_3gpuE6ELNS1_3repE0EEENS1_30default_config_static_selectorELNS0_4arch9wavefront6targetE1EEEvT1_: ; @_ZN7rocprim17ROCPRIM_400000_NS6detail17trampoline_kernelINS0_14default_configENS1_25partition_config_selectorILNS1_17partition_subalgoE8ElNS0_10empty_typeEbEEZZNS1_14partition_implILS5_8ELb0ES3_jPlPS6_PKS6_NS0_5tupleIJS9_S6_EEENSD_IJSA_SA_EEENS0_18inequality_wrapperIZN2at6native12_GLOBAL__N_124unique_dim_cuda_templateIaEESt5tupleIJNSH_6TensorESM_SM_EERKSM_lbbbEUlllE0_EEPmJS6_EEE10hipError_tPvRmT3_T4_T5_T6_T7_T9_mT8_P12ihipStream_tbDpT10_ENKUlT_T0_E_clISt17integral_constantIbLb1EES1B_IbLb0EEEEDaS17_S18_EUlS17_E_NS1_11comp_targetILNS1_3genE2ELNS1_11target_archE906ELNS1_3gpuE6ELNS1_3repE0EEENS1_30default_config_static_selectorELNS0_4arch9wavefront6targetE1EEEvT1_
; %bb.0:
	.section	.rodata,"a",@progbits
	.p2align	6, 0x0
	.amdhsa_kernel _ZN7rocprim17ROCPRIM_400000_NS6detail17trampoline_kernelINS0_14default_configENS1_25partition_config_selectorILNS1_17partition_subalgoE8ElNS0_10empty_typeEbEEZZNS1_14partition_implILS5_8ELb0ES3_jPlPS6_PKS6_NS0_5tupleIJS9_S6_EEENSD_IJSA_SA_EEENS0_18inequality_wrapperIZN2at6native12_GLOBAL__N_124unique_dim_cuda_templateIaEESt5tupleIJNSH_6TensorESM_SM_EERKSM_lbbbEUlllE0_EEPmJS6_EEE10hipError_tPvRmT3_T4_T5_T6_T7_T9_mT8_P12ihipStream_tbDpT10_ENKUlT_T0_E_clISt17integral_constantIbLb1EES1B_IbLb0EEEEDaS17_S18_EUlS17_E_NS1_11comp_targetILNS1_3genE2ELNS1_11target_archE906ELNS1_3gpuE6ELNS1_3repE0EEENS1_30default_config_static_selectorELNS0_4arch9wavefront6targetE1EEEvT1_
		.amdhsa_group_segment_fixed_size 0
		.amdhsa_private_segment_fixed_size 0
		.amdhsa_kernarg_size 120
		.amdhsa_user_sgpr_count 2
		.amdhsa_user_sgpr_dispatch_ptr 0
		.amdhsa_user_sgpr_queue_ptr 0
		.amdhsa_user_sgpr_kernarg_segment_ptr 1
		.amdhsa_user_sgpr_dispatch_id 0
		.amdhsa_user_sgpr_kernarg_preload_length 0
		.amdhsa_user_sgpr_kernarg_preload_offset 0
		.amdhsa_user_sgpr_private_segment_size 0
		.amdhsa_uses_dynamic_stack 0
		.amdhsa_enable_private_segment 0
		.amdhsa_system_sgpr_workgroup_id_x 1
		.amdhsa_system_sgpr_workgroup_id_y 0
		.amdhsa_system_sgpr_workgroup_id_z 0
		.amdhsa_system_sgpr_workgroup_info 0
		.amdhsa_system_vgpr_workitem_id 0
		.amdhsa_next_free_vgpr 1
		.amdhsa_next_free_sgpr 0
		.amdhsa_accum_offset 4
		.amdhsa_reserve_vcc 0
		.amdhsa_float_round_mode_32 0
		.amdhsa_float_round_mode_16_64 0
		.amdhsa_float_denorm_mode_32 3
		.amdhsa_float_denorm_mode_16_64 3
		.amdhsa_dx10_clamp 1
		.amdhsa_ieee_mode 1
		.amdhsa_fp16_overflow 0
		.amdhsa_tg_split 0
		.amdhsa_exception_fp_ieee_invalid_op 0
		.amdhsa_exception_fp_denorm_src 0
		.amdhsa_exception_fp_ieee_div_zero 0
		.amdhsa_exception_fp_ieee_overflow 0
		.amdhsa_exception_fp_ieee_underflow 0
		.amdhsa_exception_fp_ieee_inexact 0
		.amdhsa_exception_int_div_zero 0
	.end_amdhsa_kernel
	.section	.text._ZN7rocprim17ROCPRIM_400000_NS6detail17trampoline_kernelINS0_14default_configENS1_25partition_config_selectorILNS1_17partition_subalgoE8ElNS0_10empty_typeEbEEZZNS1_14partition_implILS5_8ELb0ES3_jPlPS6_PKS6_NS0_5tupleIJS9_S6_EEENSD_IJSA_SA_EEENS0_18inequality_wrapperIZN2at6native12_GLOBAL__N_124unique_dim_cuda_templateIaEESt5tupleIJNSH_6TensorESM_SM_EERKSM_lbbbEUlllE0_EEPmJS6_EEE10hipError_tPvRmT3_T4_T5_T6_T7_T9_mT8_P12ihipStream_tbDpT10_ENKUlT_T0_E_clISt17integral_constantIbLb1EES1B_IbLb0EEEEDaS17_S18_EUlS17_E_NS1_11comp_targetILNS1_3genE2ELNS1_11target_archE906ELNS1_3gpuE6ELNS1_3repE0EEENS1_30default_config_static_selectorELNS0_4arch9wavefront6targetE1EEEvT1_,"axG",@progbits,_ZN7rocprim17ROCPRIM_400000_NS6detail17trampoline_kernelINS0_14default_configENS1_25partition_config_selectorILNS1_17partition_subalgoE8ElNS0_10empty_typeEbEEZZNS1_14partition_implILS5_8ELb0ES3_jPlPS6_PKS6_NS0_5tupleIJS9_S6_EEENSD_IJSA_SA_EEENS0_18inequality_wrapperIZN2at6native12_GLOBAL__N_124unique_dim_cuda_templateIaEESt5tupleIJNSH_6TensorESM_SM_EERKSM_lbbbEUlllE0_EEPmJS6_EEE10hipError_tPvRmT3_T4_T5_T6_T7_T9_mT8_P12ihipStream_tbDpT10_ENKUlT_T0_E_clISt17integral_constantIbLb1EES1B_IbLb0EEEEDaS17_S18_EUlS17_E_NS1_11comp_targetILNS1_3genE2ELNS1_11target_archE906ELNS1_3gpuE6ELNS1_3repE0EEENS1_30default_config_static_selectorELNS0_4arch9wavefront6targetE1EEEvT1_,comdat
.Lfunc_end339:
	.size	_ZN7rocprim17ROCPRIM_400000_NS6detail17trampoline_kernelINS0_14default_configENS1_25partition_config_selectorILNS1_17partition_subalgoE8ElNS0_10empty_typeEbEEZZNS1_14partition_implILS5_8ELb0ES3_jPlPS6_PKS6_NS0_5tupleIJS9_S6_EEENSD_IJSA_SA_EEENS0_18inequality_wrapperIZN2at6native12_GLOBAL__N_124unique_dim_cuda_templateIaEESt5tupleIJNSH_6TensorESM_SM_EERKSM_lbbbEUlllE0_EEPmJS6_EEE10hipError_tPvRmT3_T4_T5_T6_T7_T9_mT8_P12ihipStream_tbDpT10_ENKUlT_T0_E_clISt17integral_constantIbLb1EES1B_IbLb0EEEEDaS17_S18_EUlS17_E_NS1_11comp_targetILNS1_3genE2ELNS1_11target_archE906ELNS1_3gpuE6ELNS1_3repE0EEENS1_30default_config_static_selectorELNS0_4arch9wavefront6targetE1EEEvT1_, .Lfunc_end339-_ZN7rocprim17ROCPRIM_400000_NS6detail17trampoline_kernelINS0_14default_configENS1_25partition_config_selectorILNS1_17partition_subalgoE8ElNS0_10empty_typeEbEEZZNS1_14partition_implILS5_8ELb0ES3_jPlPS6_PKS6_NS0_5tupleIJS9_S6_EEENSD_IJSA_SA_EEENS0_18inequality_wrapperIZN2at6native12_GLOBAL__N_124unique_dim_cuda_templateIaEESt5tupleIJNSH_6TensorESM_SM_EERKSM_lbbbEUlllE0_EEPmJS6_EEE10hipError_tPvRmT3_T4_T5_T6_T7_T9_mT8_P12ihipStream_tbDpT10_ENKUlT_T0_E_clISt17integral_constantIbLb1EES1B_IbLb0EEEEDaS17_S18_EUlS17_E_NS1_11comp_targetILNS1_3genE2ELNS1_11target_archE906ELNS1_3gpuE6ELNS1_3repE0EEENS1_30default_config_static_selectorELNS0_4arch9wavefront6targetE1EEEvT1_
                                        ; -- End function
	.set _ZN7rocprim17ROCPRIM_400000_NS6detail17trampoline_kernelINS0_14default_configENS1_25partition_config_selectorILNS1_17partition_subalgoE8ElNS0_10empty_typeEbEEZZNS1_14partition_implILS5_8ELb0ES3_jPlPS6_PKS6_NS0_5tupleIJS9_S6_EEENSD_IJSA_SA_EEENS0_18inequality_wrapperIZN2at6native12_GLOBAL__N_124unique_dim_cuda_templateIaEESt5tupleIJNSH_6TensorESM_SM_EERKSM_lbbbEUlllE0_EEPmJS6_EEE10hipError_tPvRmT3_T4_T5_T6_T7_T9_mT8_P12ihipStream_tbDpT10_ENKUlT_T0_E_clISt17integral_constantIbLb1EES1B_IbLb0EEEEDaS17_S18_EUlS17_E_NS1_11comp_targetILNS1_3genE2ELNS1_11target_archE906ELNS1_3gpuE6ELNS1_3repE0EEENS1_30default_config_static_selectorELNS0_4arch9wavefront6targetE1EEEvT1_.num_vgpr, 0
	.set _ZN7rocprim17ROCPRIM_400000_NS6detail17trampoline_kernelINS0_14default_configENS1_25partition_config_selectorILNS1_17partition_subalgoE8ElNS0_10empty_typeEbEEZZNS1_14partition_implILS5_8ELb0ES3_jPlPS6_PKS6_NS0_5tupleIJS9_S6_EEENSD_IJSA_SA_EEENS0_18inequality_wrapperIZN2at6native12_GLOBAL__N_124unique_dim_cuda_templateIaEESt5tupleIJNSH_6TensorESM_SM_EERKSM_lbbbEUlllE0_EEPmJS6_EEE10hipError_tPvRmT3_T4_T5_T6_T7_T9_mT8_P12ihipStream_tbDpT10_ENKUlT_T0_E_clISt17integral_constantIbLb1EES1B_IbLb0EEEEDaS17_S18_EUlS17_E_NS1_11comp_targetILNS1_3genE2ELNS1_11target_archE906ELNS1_3gpuE6ELNS1_3repE0EEENS1_30default_config_static_selectorELNS0_4arch9wavefront6targetE1EEEvT1_.num_agpr, 0
	.set _ZN7rocprim17ROCPRIM_400000_NS6detail17trampoline_kernelINS0_14default_configENS1_25partition_config_selectorILNS1_17partition_subalgoE8ElNS0_10empty_typeEbEEZZNS1_14partition_implILS5_8ELb0ES3_jPlPS6_PKS6_NS0_5tupleIJS9_S6_EEENSD_IJSA_SA_EEENS0_18inequality_wrapperIZN2at6native12_GLOBAL__N_124unique_dim_cuda_templateIaEESt5tupleIJNSH_6TensorESM_SM_EERKSM_lbbbEUlllE0_EEPmJS6_EEE10hipError_tPvRmT3_T4_T5_T6_T7_T9_mT8_P12ihipStream_tbDpT10_ENKUlT_T0_E_clISt17integral_constantIbLb1EES1B_IbLb0EEEEDaS17_S18_EUlS17_E_NS1_11comp_targetILNS1_3genE2ELNS1_11target_archE906ELNS1_3gpuE6ELNS1_3repE0EEENS1_30default_config_static_selectorELNS0_4arch9wavefront6targetE1EEEvT1_.numbered_sgpr, 0
	.set _ZN7rocprim17ROCPRIM_400000_NS6detail17trampoline_kernelINS0_14default_configENS1_25partition_config_selectorILNS1_17partition_subalgoE8ElNS0_10empty_typeEbEEZZNS1_14partition_implILS5_8ELb0ES3_jPlPS6_PKS6_NS0_5tupleIJS9_S6_EEENSD_IJSA_SA_EEENS0_18inequality_wrapperIZN2at6native12_GLOBAL__N_124unique_dim_cuda_templateIaEESt5tupleIJNSH_6TensorESM_SM_EERKSM_lbbbEUlllE0_EEPmJS6_EEE10hipError_tPvRmT3_T4_T5_T6_T7_T9_mT8_P12ihipStream_tbDpT10_ENKUlT_T0_E_clISt17integral_constantIbLb1EES1B_IbLb0EEEEDaS17_S18_EUlS17_E_NS1_11comp_targetILNS1_3genE2ELNS1_11target_archE906ELNS1_3gpuE6ELNS1_3repE0EEENS1_30default_config_static_selectorELNS0_4arch9wavefront6targetE1EEEvT1_.num_named_barrier, 0
	.set _ZN7rocprim17ROCPRIM_400000_NS6detail17trampoline_kernelINS0_14default_configENS1_25partition_config_selectorILNS1_17partition_subalgoE8ElNS0_10empty_typeEbEEZZNS1_14partition_implILS5_8ELb0ES3_jPlPS6_PKS6_NS0_5tupleIJS9_S6_EEENSD_IJSA_SA_EEENS0_18inequality_wrapperIZN2at6native12_GLOBAL__N_124unique_dim_cuda_templateIaEESt5tupleIJNSH_6TensorESM_SM_EERKSM_lbbbEUlllE0_EEPmJS6_EEE10hipError_tPvRmT3_T4_T5_T6_T7_T9_mT8_P12ihipStream_tbDpT10_ENKUlT_T0_E_clISt17integral_constantIbLb1EES1B_IbLb0EEEEDaS17_S18_EUlS17_E_NS1_11comp_targetILNS1_3genE2ELNS1_11target_archE906ELNS1_3gpuE6ELNS1_3repE0EEENS1_30default_config_static_selectorELNS0_4arch9wavefront6targetE1EEEvT1_.private_seg_size, 0
	.set _ZN7rocprim17ROCPRIM_400000_NS6detail17trampoline_kernelINS0_14default_configENS1_25partition_config_selectorILNS1_17partition_subalgoE8ElNS0_10empty_typeEbEEZZNS1_14partition_implILS5_8ELb0ES3_jPlPS6_PKS6_NS0_5tupleIJS9_S6_EEENSD_IJSA_SA_EEENS0_18inequality_wrapperIZN2at6native12_GLOBAL__N_124unique_dim_cuda_templateIaEESt5tupleIJNSH_6TensorESM_SM_EERKSM_lbbbEUlllE0_EEPmJS6_EEE10hipError_tPvRmT3_T4_T5_T6_T7_T9_mT8_P12ihipStream_tbDpT10_ENKUlT_T0_E_clISt17integral_constantIbLb1EES1B_IbLb0EEEEDaS17_S18_EUlS17_E_NS1_11comp_targetILNS1_3genE2ELNS1_11target_archE906ELNS1_3gpuE6ELNS1_3repE0EEENS1_30default_config_static_selectorELNS0_4arch9wavefront6targetE1EEEvT1_.uses_vcc, 0
	.set _ZN7rocprim17ROCPRIM_400000_NS6detail17trampoline_kernelINS0_14default_configENS1_25partition_config_selectorILNS1_17partition_subalgoE8ElNS0_10empty_typeEbEEZZNS1_14partition_implILS5_8ELb0ES3_jPlPS6_PKS6_NS0_5tupleIJS9_S6_EEENSD_IJSA_SA_EEENS0_18inequality_wrapperIZN2at6native12_GLOBAL__N_124unique_dim_cuda_templateIaEESt5tupleIJNSH_6TensorESM_SM_EERKSM_lbbbEUlllE0_EEPmJS6_EEE10hipError_tPvRmT3_T4_T5_T6_T7_T9_mT8_P12ihipStream_tbDpT10_ENKUlT_T0_E_clISt17integral_constantIbLb1EES1B_IbLb0EEEEDaS17_S18_EUlS17_E_NS1_11comp_targetILNS1_3genE2ELNS1_11target_archE906ELNS1_3gpuE6ELNS1_3repE0EEENS1_30default_config_static_selectorELNS0_4arch9wavefront6targetE1EEEvT1_.uses_flat_scratch, 0
	.set _ZN7rocprim17ROCPRIM_400000_NS6detail17trampoline_kernelINS0_14default_configENS1_25partition_config_selectorILNS1_17partition_subalgoE8ElNS0_10empty_typeEbEEZZNS1_14partition_implILS5_8ELb0ES3_jPlPS6_PKS6_NS0_5tupleIJS9_S6_EEENSD_IJSA_SA_EEENS0_18inequality_wrapperIZN2at6native12_GLOBAL__N_124unique_dim_cuda_templateIaEESt5tupleIJNSH_6TensorESM_SM_EERKSM_lbbbEUlllE0_EEPmJS6_EEE10hipError_tPvRmT3_T4_T5_T6_T7_T9_mT8_P12ihipStream_tbDpT10_ENKUlT_T0_E_clISt17integral_constantIbLb1EES1B_IbLb0EEEEDaS17_S18_EUlS17_E_NS1_11comp_targetILNS1_3genE2ELNS1_11target_archE906ELNS1_3gpuE6ELNS1_3repE0EEENS1_30default_config_static_selectorELNS0_4arch9wavefront6targetE1EEEvT1_.has_dyn_sized_stack, 0
	.set _ZN7rocprim17ROCPRIM_400000_NS6detail17trampoline_kernelINS0_14default_configENS1_25partition_config_selectorILNS1_17partition_subalgoE8ElNS0_10empty_typeEbEEZZNS1_14partition_implILS5_8ELb0ES3_jPlPS6_PKS6_NS0_5tupleIJS9_S6_EEENSD_IJSA_SA_EEENS0_18inequality_wrapperIZN2at6native12_GLOBAL__N_124unique_dim_cuda_templateIaEESt5tupleIJNSH_6TensorESM_SM_EERKSM_lbbbEUlllE0_EEPmJS6_EEE10hipError_tPvRmT3_T4_T5_T6_T7_T9_mT8_P12ihipStream_tbDpT10_ENKUlT_T0_E_clISt17integral_constantIbLb1EES1B_IbLb0EEEEDaS17_S18_EUlS17_E_NS1_11comp_targetILNS1_3genE2ELNS1_11target_archE906ELNS1_3gpuE6ELNS1_3repE0EEENS1_30default_config_static_selectorELNS0_4arch9wavefront6targetE1EEEvT1_.has_recursion, 0
	.set _ZN7rocprim17ROCPRIM_400000_NS6detail17trampoline_kernelINS0_14default_configENS1_25partition_config_selectorILNS1_17partition_subalgoE8ElNS0_10empty_typeEbEEZZNS1_14partition_implILS5_8ELb0ES3_jPlPS6_PKS6_NS0_5tupleIJS9_S6_EEENSD_IJSA_SA_EEENS0_18inequality_wrapperIZN2at6native12_GLOBAL__N_124unique_dim_cuda_templateIaEESt5tupleIJNSH_6TensorESM_SM_EERKSM_lbbbEUlllE0_EEPmJS6_EEE10hipError_tPvRmT3_T4_T5_T6_T7_T9_mT8_P12ihipStream_tbDpT10_ENKUlT_T0_E_clISt17integral_constantIbLb1EES1B_IbLb0EEEEDaS17_S18_EUlS17_E_NS1_11comp_targetILNS1_3genE2ELNS1_11target_archE906ELNS1_3gpuE6ELNS1_3repE0EEENS1_30default_config_static_selectorELNS0_4arch9wavefront6targetE1EEEvT1_.has_indirect_call, 0
	.section	.AMDGPU.csdata,"",@progbits
; Kernel info:
; codeLenInByte = 0
; TotalNumSgprs: 6
; NumVgprs: 0
; NumAgprs: 0
; TotalNumVgprs: 0
; ScratchSize: 0
; MemoryBound: 0
; FloatMode: 240
; IeeeMode: 1
; LDSByteSize: 0 bytes/workgroup (compile time only)
; SGPRBlocks: 0
; VGPRBlocks: 0
; NumSGPRsForWavesPerEU: 6
; NumVGPRsForWavesPerEU: 1
; AccumOffset: 4
; Occupancy: 8
; WaveLimiterHint : 0
; COMPUTE_PGM_RSRC2:SCRATCH_EN: 0
; COMPUTE_PGM_RSRC2:USER_SGPR: 2
; COMPUTE_PGM_RSRC2:TRAP_HANDLER: 0
; COMPUTE_PGM_RSRC2:TGID_X_EN: 1
; COMPUTE_PGM_RSRC2:TGID_Y_EN: 0
; COMPUTE_PGM_RSRC2:TGID_Z_EN: 0
; COMPUTE_PGM_RSRC2:TIDIG_COMP_CNT: 0
; COMPUTE_PGM_RSRC3_GFX90A:ACCUM_OFFSET: 0
; COMPUTE_PGM_RSRC3_GFX90A:TG_SPLIT: 0
	.section	.text._ZN7rocprim17ROCPRIM_400000_NS6detail17trampoline_kernelINS0_14default_configENS1_25partition_config_selectorILNS1_17partition_subalgoE8ElNS0_10empty_typeEbEEZZNS1_14partition_implILS5_8ELb0ES3_jPlPS6_PKS6_NS0_5tupleIJS9_S6_EEENSD_IJSA_SA_EEENS0_18inequality_wrapperIZN2at6native12_GLOBAL__N_124unique_dim_cuda_templateIaEESt5tupleIJNSH_6TensorESM_SM_EERKSM_lbbbEUlllE0_EEPmJS6_EEE10hipError_tPvRmT3_T4_T5_T6_T7_T9_mT8_P12ihipStream_tbDpT10_ENKUlT_T0_E_clISt17integral_constantIbLb1EES1B_IbLb0EEEEDaS17_S18_EUlS17_E_NS1_11comp_targetILNS1_3genE10ELNS1_11target_archE1200ELNS1_3gpuE4ELNS1_3repE0EEENS1_30default_config_static_selectorELNS0_4arch9wavefront6targetE1EEEvT1_,"axG",@progbits,_ZN7rocprim17ROCPRIM_400000_NS6detail17trampoline_kernelINS0_14default_configENS1_25partition_config_selectorILNS1_17partition_subalgoE8ElNS0_10empty_typeEbEEZZNS1_14partition_implILS5_8ELb0ES3_jPlPS6_PKS6_NS0_5tupleIJS9_S6_EEENSD_IJSA_SA_EEENS0_18inequality_wrapperIZN2at6native12_GLOBAL__N_124unique_dim_cuda_templateIaEESt5tupleIJNSH_6TensorESM_SM_EERKSM_lbbbEUlllE0_EEPmJS6_EEE10hipError_tPvRmT3_T4_T5_T6_T7_T9_mT8_P12ihipStream_tbDpT10_ENKUlT_T0_E_clISt17integral_constantIbLb1EES1B_IbLb0EEEEDaS17_S18_EUlS17_E_NS1_11comp_targetILNS1_3genE10ELNS1_11target_archE1200ELNS1_3gpuE4ELNS1_3repE0EEENS1_30default_config_static_selectorELNS0_4arch9wavefront6targetE1EEEvT1_,comdat
	.globl	_ZN7rocprim17ROCPRIM_400000_NS6detail17trampoline_kernelINS0_14default_configENS1_25partition_config_selectorILNS1_17partition_subalgoE8ElNS0_10empty_typeEbEEZZNS1_14partition_implILS5_8ELb0ES3_jPlPS6_PKS6_NS0_5tupleIJS9_S6_EEENSD_IJSA_SA_EEENS0_18inequality_wrapperIZN2at6native12_GLOBAL__N_124unique_dim_cuda_templateIaEESt5tupleIJNSH_6TensorESM_SM_EERKSM_lbbbEUlllE0_EEPmJS6_EEE10hipError_tPvRmT3_T4_T5_T6_T7_T9_mT8_P12ihipStream_tbDpT10_ENKUlT_T0_E_clISt17integral_constantIbLb1EES1B_IbLb0EEEEDaS17_S18_EUlS17_E_NS1_11comp_targetILNS1_3genE10ELNS1_11target_archE1200ELNS1_3gpuE4ELNS1_3repE0EEENS1_30default_config_static_selectorELNS0_4arch9wavefront6targetE1EEEvT1_ ; -- Begin function _ZN7rocprim17ROCPRIM_400000_NS6detail17trampoline_kernelINS0_14default_configENS1_25partition_config_selectorILNS1_17partition_subalgoE8ElNS0_10empty_typeEbEEZZNS1_14partition_implILS5_8ELb0ES3_jPlPS6_PKS6_NS0_5tupleIJS9_S6_EEENSD_IJSA_SA_EEENS0_18inequality_wrapperIZN2at6native12_GLOBAL__N_124unique_dim_cuda_templateIaEESt5tupleIJNSH_6TensorESM_SM_EERKSM_lbbbEUlllE0_EEPmJS6_EEE10hipError_tPvRmT3_T4_T5_T6_T7_T9_mT8_P12ihipStream_tbDpT10_ENKUlT_T0_E_clISt17integral_constantIbLb1EES1B_IbLb0EEEEDaS17_S18_EUlS17_E_NS1_11comp_targetILNS1_3genE10ELNS1_11target_archE1200ELNS1_3gpuE4ELNS1_3repE0EEENS1_30default_config_static_selectorELNS0_4arch9wavefront6targetE1EEEvT1_
	.p2align	8
	.type	_ZN7rocprim17ROCPRIM_400000_NS6detail17trampoline_kernelINS0_14default_configENS1_25partition_config_selectorILNS1_17partition_subalgoE8ElNS0_10empty_typeEbEEZZNS1_14partition_implILS5_8ELb0ES3_jPlPS6_PKS6_NS0_5tupleIJS9_S6_EEENSD_IJSA_SA_EEENS0_18inequality_wrapperIZN2at6native12_GLOBAL__N_124unique_dim_cuda_templateIaEESt5tupleIJNSH_6TensorESM_SM_EERKSM_lbbbEUlllE0_EEPmJS6_EEE10hipError_tPvRmT3_T4_T5_T6_T7_T9_mT8_P12ihipStream_tbDpT10_ENKUlT_T0_E_clISt17integral_constantIbLb1EES1B_IbLb0EEEEDaS17_S18_EUlS17_E_NS1_11comp_targetILNS1_3genE10ELNS1_11target_archE1200ELNS1_3gpuE4ELNS1_3repE0EEENS1_30default_config_static_selectorELNS0_4arch9wavefront6targetE1EEEvT1_,@function
_ZN7rocprim17ROCPRIM_400000_NS6detail17trampoline_kernelINS0_14default_configENS1_25partition_config_selectorILNS1_17partition_subalgoE8ElNS0_10empty_typeEbEEZZNS1_14partition_implILS5_8ELb0ES3_jPlPS6_PKS6_NS0_5tupleIJS9_S6_EEENSD_IJSA_SA_EEENS0_18inequality_wrapperIZN2at6native12_GLOBAL__N_124unique_dim_cuda_templateIaEESt5tupleIJNSH_6TensorESM_SM_EERKSM_lbbbEUlllE0_EEPmJS6_EEE10hipError_tPvRmT3_T4_T5_T6_T7_T9_mT8_P12ihipStream_tbDpT10_ENKUlT_T0_E_clISt17integral_constantIbLb1EES1B_IbLb0EEEEDaS17_S18_EUlS17_E_NS1_11comp_targetILNS1_3genE10ELNS1_11target_archE1200ELNS1_3gpuE4ELNS1_3repE0EEENS1_30default_config_static_selectorELNS0_4arch9wavefront6targetE1EEEvT1_: ; @_ZN7rocprim17ROCPRIM_400000_NS6detail17trampoline_kernelINS0_14default_configENS1_25partition_config_selectorILNS1_17partition_subalgoE8ElNS0_10empty_typeEbEEZZNS1_14partition_implILS5_8ELb0ES3_jPlPS6_PKS6_NS0_5tupleIJS9_S6_EEENSD_IJSA_SA_EEENS0_18inequality_wrapperIZN2at6native12_GLOBAL__N_124unique_dim_cuda_templateIaEESt5tupleIJNSH_6TensorESM_SM_EERKSM_lbbbEUlllE0_EEPmJS6_EEE10hipError_tPvRmT3_T4_T5_T6_T7_T9_mT8_P12ihipStream_tbDpT10_ENKUlT_T0_E_clISt17integral_constantIbLb1EES1B_IbLb0EEEEDaS17_S18_EUlS17_E_NS1_11comp_targetILNS1_3genE10ELNS1_11target_archE1200ELNS1_3gpuE4ELNS1_3repE0EEENS1_30default_config_static_selectorELNS0_4arch9wavefront6targetE1EEEvT1_
; %bb.0:
	.section	.rodata,"a",@progbits
	.p2align	6, 0x0
	.amdhsa_kernel _ZN7rocprim17ROCPRIM_400000_NS6detail17trampoline_kernelINS0_14default_configENS1_25partition_config_selectorILNS1_17partition_subalgoE8ElNS0_10empty_typeEbEEZZNS1_14partition_implILS5_8ELb0ES3_jPlPS6_PKS6_NS0_5tupleIJS9_S6_EEENSD_IJSA_SA_EEENS0_18inequality_wrapperIZN2at6native12_GLOBAL__N_124unique_dim_cuda_templateIaEESt5tupleIJNSH_6TensorESM_SM_EERKSM_lbbbEUlllE0_EEPmJS6_EEE10hipError_tPvRmT3_T4_T5_T6_T7_T9_mT8_P12ihipStream_tbDpT10_ENKUlT_T0_E_clISt17integral_constantIbLb1EES1B_IbLb0EEEEDaS17_S18_EUlS17_E_NS1_11comp_targetILNS1_3genE10ELNS1_11target_archE1200ELNS1_3gpuE4ELNS1_3repE0EEENS1_30default_config_static_selectorELNS0_4arch9wavefront6targetE1EEEvT1_
		.amdhsa_group_segment_fixed_size 0
		.amdhsa_private_segment_fixed_size 0
		.amdhsa_kernarg_size 120
		.amdhsa_user_sgpr_count 2
		.amdhsa_user_sgpr_dispatch_ptr 0
		.amdhsa_user_sgpr_queue_ptr 0
		.amdhsa_user_sgpr_kernarg_segment_ptr 1
		.amdhsa_user_sgpr_dispatch_id 0
		.amdhsa_user_sgpr_kernarg_preload_length 0
		.amdhsa_user_sgpr_kernarg_preload_offset 0
		.amdhsa_user_sgpr_private_segment_size 0
		.amdhsa_uses_dynamic_stack 0
		.amdhsa_enable_private_segment 0
		.amdhsa_system_sgpr_workgroup_id_x 1
		.amdhsa_system_sgpr_workgroup_id_y 0
		.amdhsa_system_sgpr_workgroup_id_z 0
		.amdhsa_system_sgpr_workgroup_info 0
		.amdhsa_system_vgpr_workitem_id 0
		.amdhsa_next_free_vgpr 1
		.amdhsa_next_free_sgpr 0
		.amdhsa_accum_offset 4
		.amdhsa_reserve_vcc 0
		.amdhsa_float_round_mode_32 0
		.amdhsa_float_round_mode_16_64 0
		.amdhsa_float_denorm_mode_32 3
		.amdhsa_float_denorm_mode_16_64 3
		.amdhsa_dx10_clamp 1
		.amdhsa_ieee_mode 1
		.amdhsa_fp16_overflow 0
		.amdhsa_tg_split 0
		.amdhsa_exception_fp_ieee_invalid_op 0
		.amdhsa_exception_fp_denorm_src 0
		.amdhsa_exception_fp_ieee_div_zero 0
		.amdhsa_exception_fp_ieee_overflow 0
		.amdhsa_exception_fp_ieee_underflow 0
		.amdhsa_exception_fp_ieee_inexact 0
		.amdhsa_exception_int_div_zero 0
	.end_amdhsa_kernel
	.section	.text._ZN7rocprim17ROCPRIM_400000_NS6detail17trampoline_kernelINS0_14default_configENS1_25partition_config_selectorILNS1_17partition_subalgoE8ElNS0_10empty_typeEbEEZZNS1_14partition_implILS5_8ELb0ES3_jPlPS6_PKS6_NS0_5tupleIJS9_S6_EEENSD_IJSA_SA_EEENS0_18inequality_wrapperIZN2at6native12_GLOBAL__N_124unique_dim_cuda_templateIaEESt5tupleIJNSH_6TensorESM_SM_EERKSM_lbbbEUlllE0_EEPmJS6_EEE10hipError_tPvRmT3_T4_T5_T6_T7_T9_mT8_P12ihipStream_tbDpT10_ENKUlT_T0_E_clISt17integral_constantIbLb1EES1B_IbLb0EEEEDaS17_S18_EUlS17_E_NS1_11comp_targetILNS1_3genE10ELNS1_11target_archE1200ELNS1_3gpuE4ELNS1_3repE0EEENS1_30default_config_static_selectorELNS0_4arch9wavefront6targetE1EEEvT1_,"axG",@progbits,_ZN7rocprim17ROCPRIM_400000_NS6detail17trampoline_kernelINS0_14default_configENS1_25partition_config_selectorILNS1_17partition_subalgoE8ElNS0_10empty_typeEbEEZZNS1_14partition_implILS5_8ELb0ES3_jPlPS6_PKS6_NS0_5tupleIJS9_S6_EEENSD_IJSA_SA_EEENS0_18inequality_wrapperIZN2at6native12_GLOBAL__N_124unique_dim_cuda_templateIaEESt5tupleIJNSH_6TensorESM_SM_EERKSM_lbbbEUlllE0_EEPmJS6_EEE10hipError_tPvRmT3_T4_T5_T6_T7_T9_mT8_P12ihipStream_tbDpT10_ENKUlT_T0_E_clISt17integral_constantIbLb1EES1B_IbLb0EEEEDaS17_S18_EUlS17_E_NS1_11comp_targetILNS1_3genE10ELNS1_11target_archE1200ELNS1_3gpuE4ELNS1_3repE0EEENS1_30default_config_static_selectorELNS0_4arch9wavefront6targetE1EEEvT1_,comdat
.Lfunc_end340:
	.size	_ZN7rocprim17ROCPRIM_400000_NS6detail17trampoline_kernelINS0_14default_configENS1_25partition_config_selectorILNS1_17partition_subalgoE8ElNS0_10empty_typeEbEEZZNS1_14partition_implILS5_8ELb0ES3_jPlPS6_PKS6_NS0_5tupleIJS9_S6_EEENSD_IJSA_SA_EEENS0_18inequality_wrapperIZN2at6native12_GLOBAL__N_124unique_dim_cuda_templateIaEESt5tupleIJNSH_6TensorESM_SM_EERKSM_lbbbEUlllE0_EEPmJS6_EEE10hipError_tPvRmT3_T4_T5_T6_T7_T9_mT8_P12ihipStream_tbDpT10_ENKUlT_T0_E_clISt17integral_constantIbLb1EES1B_IbLb0EEEEDaS17_S18_EUlS17_E_NS1_11comp_targetILNS1_3genE10ELNS1_11target_archE1200ELNS1_3gpuE4ELNS1_3repE0EEENS1_30default_config_static_selectorELNS0_4arch9wavefront6targetE1EEEvT1_, .Lfunc_end340-_ZN7rocprim17ROCPRIM_400000_NS6detail17trampoline_kernelINS0_14default_configENS1_25partition_config_selectorILNS1_17partition_subalgoE8ElNS0_10empty_typeEbEEZZNS1_14partition_implILS5_8ELb0ES3_jPlPS6_PKS6_NS0_5tupleIJS9_S6_EEENSD_IJSA_SA_EEENS0_18inequality_wrapperIZN2at6native12_GLOBAL__N_124unique_dim_cuda_templateIaEESt5tupleIJNSH_6TensorESM_SM_EERKSM_lbbbEUlllE0_EEPmJS6_EEE10hipError_tPvRmT3_T4_T5_T6_T7_T9_mT8_P12ihipStream_tbDpT10_ENKUlT_T0_E_clISt17integral_constantIbLb1EES1B_IbLb0EEEEDaS17_S18_EUlS17_E_NS1_11comp_targetILNS1_3genE10ELNS1_11target_archE1200ELNS1_3gpuE4ELNS1_3repE0EEENS1_30default_config_static_selectorELNS0_4arch9wavefront6targetE1EEEvT1_
                                        ; -- End function
	.set _ZN7rocprim17ROCPRIM_400000_NS6detail17trampoline_kernelINS0_14default_configENS1_25partition_config_selectorILNS1_17partition_subalgoE8ElNS0_10empty_typeEbEEZZNS1_14partition_implILS5_8ELb0ES3_jPlPS6_PKS6_NS0_5tupleIJS9_S6_EEENSD_IJSA_SA_EEENS0_18inequality_wrapperIZN2at6native12_GLOBAL__N_124unique_dim_cuda_templateIaEESt5tupleIJNSH_6TensorESM_SM_EERKSM_lbbbEUlllE0_EEPmJS6_EEE10hipError_tPvRmT3_T4_T5_T6_T7_T9_mT8_P12ihipStream_tbDpT10_ENKUlT_T0_E_clISt17integral_constantIbLb1EES1B_IbLb0EEEEDaS17_S18_EUlS17_E_NS1_11comp_targetILNS1_3genE10ELNS1_11target_archE1200ELNS1_3gpuE4ELNS1_3repE0EEENS1_30default_config_static_selectorELNS0_4arch9wavefront6targetE1EEEvT1_.num_vgpr, 0
	.set _ZN7rocprim17ROCPRIM_400000_NS6detail17trampoline_kernelINS0_14default_configENS1_25partition_config_selectorILNS1_17partition_subalgoE8ElNS0_10empty_typeEbEEZZNS1_14partition_implILS5_8ELb0ES3_jPlPS6_PKS6_NS0_5tupleIJS9_S6_EEENSD_IJSA_SA_EEENS0_18inequality_wrapperIZN2at6native12_GLOBAL__N_124unique_dim_cuda_templateIaEESt5tupleIJNSH_6TensorESM_SM_EERKSM_lbbbEUlllE0_EEPmJS6_EEE10hipError_tPvRmT3_T4_T5_T6_T7_T9_mT8_P12ihipStream_tbDpT10_ENKUlT_T0_E_clISt17integral_constantIbLb1EES1B_IbLb0EEEEDaS17_S18_EUlS17_E_NS1_11comp_targetILNS1_3genE10ELNS1_11target_archE1200ELNS1_3gpuE4ELNS1_3repE0EEENS1_30default_config_static_selectorELNS0_4arch9wavefront6targetE1EEEvT1_.num_agpr, 0
	.set _ZN7rocprim17ROCPRIM_400000_NS6detail17trampoline_kernelINS0_14default_configENS1_25partition_config_selectorILNS1_17partition_subalgoE8ElNS0_10empty_typeEbEEZZNS1_14partition_implILS5_8ELb0ES3_jPlPS6_PKS6_NS0_5tupleIJS9_S6_EEENSD_IJSA_SA_EEENS0_18inequality_wrapperIZN2at6native12_GLOBAL__N_124unique_dim_cuda_templateIaEESt5tupleIJNSH_6TensorESM_SM_EERKSM_lbbbEUlllE0_EEPmJS6_EEE10hipError_tPvRmT3_T4_T5_T6_T7_T9_mT8_P12ihipStream_tbDpT10_ENKUlT_T0_E_clISt17integral_constantIbLb1EES1B_IbLb0EEEEDaS17_S18_EUlS17_E_NS1_11comp_targetILNS1_3genE10ELNS1_11target_archE1200ELNS1_3gpuE4ELNS1_3repE0EEENS1_30default_config_static_selectorELNS0_4arch9wavefront6targetE1EEEvT1_.numbered_sgpr, 0
	.set _ZN7rocprim17ROCPRIM_400000_NS6detail17trampoline_kernelINS0_14default_configENS1_25partition_config_selectorILNS1_17partition_subalgoE8ElNS0_10empty_typeEbEEZZNS1_14partition_implILS5_8ELb0ES3_jPlPS6_PKS6_NS0_5tupleIJS9_S6_EEENSD_IJSA_SA_EEENS0_18inequality_wrapperIZN2at6native12_GLOBAL__N_124unique_dim_cuda_templateIaEESt5tupleIJNSH_6TensorESM_SM_EERKSM_lbbbEUlllE0_EEPmJS6_EEE10hipError_tPvRmT3_T4_T5_T6_T7_T9_mT8_P12ihipStream_tbDpT10_ENKUlT_T0_E_clISt17integral_constantIbLb1EES1B_IbLb0EEEEDaS17_S18_EUlS17_E_NS1_11comp_targetILNS1_3genE10ELNS1_11target_archE1200ELNS1_3gpuE4ELNS1_3repE0EEENS1_30default_config_static_selectorELNS0_4arch9wavefront6targetE1EEEvT1_.num_named_barrier, 0
	.set _ZN7rocprim17ROCPRIM_400000_NS6detail17trampoline_kernelINS0_14default_configENS1_25partition_config_selectorILNS1_17partition_subalgoE8ElNS0_10empty_typeEbEEZZNS1_14partition_implILS5_8ELb0ES3_jPlPS6_PKS6_NS0_5tupleIJS9_S6_EEENSD_IJSA_SA_EEENS0_18inequality_wrapperIZN2at6native12_GLOBAL__N_124unique_dim_cuda_templateIaEESt5tupleIJNSH_6TensorESM_SM_EERKSM_lbbbEUlllE0_EEPmJS6_EEE10hipError_tPvRmT3_T4_T5_T6_T7_T9_mT8_P12ihipStream_tbDpT10_ENKUlT_T0_E_clISt17integral_constantIbLb1EES1B_IbLb0EEEEDaS17_S18_EUlS17_E_NS1_11comp_targetILNS1_3genE10ELNS1_11target_archE1200ELNS1_3gpuE4ELNS1_3repE0EEENS1_30default_config_static_selectorELNS0_4arch9wavefront6targetE1EEEvT1_.private_seg_size, 0
	.set _ZN7rocprim17ROCPRIM_400000_NS6detail17trampoline_kernelINS0_14default_configENS1_25partition_config_selectorILNS1_17partition_subalgoE8ElNS0_10empty_typeEbEEZZNS1_14partition_implILS5_8ELb0ES3_jPlPS6_PKS6_NS0_5tupleIJS9_S6_EEENSD_IJSA_SA_EEENS0_18inequality_wrapperIZN2at6native12_GLOBAL__N_124unique_dim_cuda_templateIaEESt5tupleIJNSH_6TensorESM_SM_EERKSM_lbbbEUlllE0_EEPmJS6_EEE10hipError_tPvRmT3_T4_T5_T6_T7_T9_mT8_P12ihipStream_tbDpT10_ENKUlT_T0_E_clISt17integral_constantIbLb1EES1B_IbLb0EEEEDaS17_S18_EUlS17_E_NS1_11comp_targetILNS1_3genE10ELNS1_11target_archE1200ELNS1_3gpuE4ELNS1_3repE0EEENS1_30default_config_static_selectorELNS0_4arch9wavefront6targetE1EEEvT1_.uses_vcc, 0
	.set _ZN7rocprim17ROCPRIM_400000_NS6detail17trampoline_kernelINS0_14default_configENS1_25partition_config_selectorILNS1_17partition_subalgoE8ElNS0_10empty_typeEbEEZZNS1_14partition_implILS5_8ELb0ES3_jPlPS6_PKS6_NS0_5tupleIJS9_S6_EEENSD_IJSA_SA_EEENS0_18inequality_wrapperIZN2at6native12_GLOBAL__N_124unique_dim_cuda_templateIaEESt5tupleIJNSH_6TensorESM_SM_EERKSM_lbbbEUlllE0_EEPmJS6_EEE10hipError_tPvRmT3_T4_T5_T6_T7_T9_mT8_P12ihipStream_tbDpT10_ENKUlT_T0_E_clISt17integral_constantIbLb1EES1B_IbLb0EEEEDaS17_S18_EUlS17_E_NS1_11comp_targetILNS1_3genE10ELNS1_11target_archE1200ELNS1_3gpuE4ELNS1_3repE0EEENS1_30default_config_static_selectorELNS0_4arch9wavefront6targetE1EEEvT1_.uses_flat_scratch, 0
	.set _ZN7rocprim17ROCPRIM_400000_NS6detail17trampoline_kernelINS0_14default_configENS1_25partition_config_selectorILNS1_17partition_subalgoE8ElNS0_10empty_typeEbEEZZNS1_14partition_implILS5_8ELb0ES3_jPlPS6_PKS6_NS0_5tupleIJS9_S6_EEENSD_IJSA_SA_EEENS0_18inequality_wrapperIZN2at6native12_GLOBAL__N_124unique_dim_cuda_templateIaEESt5tupleIJNSH_6TensorESM_SM_EERKSM_lbbbEUlllE0_EEPmJS6_EEE10hipError_tPvRmT3_T4_T5_T6_T7_T9_mT8_P12ihipStream_tbDpT10_ENKUlT_T0_E_clISt17integral_constantIbLb1EES1B_IbLb0EEEEDaS17_S18_EUlS17_E_NS1_11comp_targetILNS1_3genE10ELNS1_11target_archE1200ELNS1_3gpuE4ELNS1_3repE0EEENS1_30default_config_static_selectorELNS0_4arch9wavefront6targetE1EEEvT1_.has_dyn_sized_stack, 0
	.set _ZN7rocprim17ROCPRIM_400000_NS6detail17trampoline_kernelINS0_14default_configENS1_25partition_config_selectorILNS1_17partition_subalgoE8ElNS0_10empty_typeEbEEZZNS1_14partition_implILS5_8ELb0ES3_jPlPS6_PKS6_NS0_5tupleIJS9_S6_EEENSD_IJSA_SA_EEENS0_18inequality_wrapperIZN2at6native12_GLOBAL__N_124unique_dim_cuda_templateIaEESt5tupleIJNSH_6TensorESM_SM_EERKSM_lbbbEUlllE0_EEPmJS6_EEE10hipError_tPvRmT3_T4_T5_T6_T7_T9_mT8_P12ihipStream_tbDpT10_ENKUlT_T0_E_clISt17integral_constantIbLb1EES1B_IbLb0EEEEDaS17_S18_EUlS17_E_NS1_11comp_targetILNS1_3genE10ELNS1_11target_archE1200ELNS1_3gpuE4ELNS1_3repE0EEENS1_30default_config_static_selectorELNS0_4arch9wavefront6targetE1EEEvT1_.has_recursion, 0
	.set _ZN7rocprim17ROCPRIM_400000_NS6detail17trampoline_kernelINS0_14default_configENS1_25partition_config_selectorILNS1_17partition_subalgoE8ElNS0_10empty_typeEbEEZZNS1_14partition_implILS5_8ELb0ES3_jPlPS6_PKS6_NS0_5tupleIJS9_S6_EEENSD_IJSA_SA_EEENS0_18inequality_wrapperIZN2at6native12_GLOBAL__N_124unique_dim_cuda_templateIaEESt5tupleIJNSH_6TensorESM_SM_EERKSM_lbbbEUlllE0_EEPmJS6_EEE10hipError_tPvRmT3_T4_T5_T6_T7_T9_mT8_P12ihipStream_tbDpT10_ENKUlT_T0_E_clISt17integral_constantIbLb1EES1B_IbLb0EEEEDaS17_S18_EUlS17_E_NS1_11comp_targetILNS1_3genE10ELNS1_11target_archE1200ELNS1_3gpuE4ELNS1_3repE0EEENS1_30default_config_static_selectorELNS0_4arch9wavefront6targetE1EEEvT1_.has_indirect_call, 0
	.section	.AMDGPU.csdata,"",@progbits
; Kernel info:
; codeLenInByte = 0
; TotalNumSgprs: 6
; NumVgprs: 0
; NumAgprs: 0
; TotalNumVgprs: 0
; ScratchSize: 0
; MemoryBound: 0
; FloatMode: 240
; IeeeMode: 1
; LDSByteSize: 0 bytes/workgroup (compile time only)
; SGPRBlocks: 0
; VGPRBlocks: 0
; NumSGPRsForWavesPerEU: 6
; NumVGPRsForWavesPerEU: 1
; AccumOffset: 4
; Occupancy: 8
; WaveLimiterHint : 0
; COMPUTE_PGM_RSRC2:SCRATCH_EN: 0
; COMPUTE_PGM_RSRC2:USER_SGPR: 2
; COMPUTE_PGM_RSRC2:TRAP_HANDLER: 0
; COMPUTE_PGM_RSRC2:TGID_X_EN: 1
; COMPUTE_PGM_RSRC2:TGID_Y_EN: 0
; COMPUTE_PGM_RSRC2:TGID_Z_EN: 0
; COMPUTE_PGM_RSRC2:TIDIG_COMP_CNT: 0
; COMPUTE_PGM_RSRC3_GFX90A:ACCUM_OFFSET: 0
; COMPUTE_PGM_RSRC3_GFX90A:TG_SPLIT: 0
	.section	.text._ZN7rocprim17ROCPRIM_400000_NS6detail17trampoline_kernelINS0_14default_configENS1_25partition_config_selectorILNS1_17partition_subalgoE8ElNS0_10empty_typeEbEEZZNS1_14partition_implILS5_8ELb0ES3_jPlPS6_PKS6_NS0_5tupleIJS9_S6_EEENSD_IJSA_SA_EEENS0_18inequality_wrapperIZN2at6native12_GLOBAL__N_124unique_dim_cuda_templateIaEESt5tupleIJNSH_6TensorESM_SM_EERKSM_lbbbEUlllE0_EEPmJS6_EEE10hipError_tPvRmT3_T4_T5_T6_T7_T9_mT8_P12ihipStream_tbDpT10_ENKUlT_T0_E_clISt17integral_constantIbLb1EES1B_IbLb0EEEEDaS17_S18_EUlS17_E_NS1_11comp_targetILNS1_3genE9ELNS1_11target_archE1100ELNS1_3gpuE3ELNS1_3repE0EEENS1_30default_config_static_selectorELNS0_4arch9wavefront6targetE1EEEvT1_,"axG",@progbits,_ZN7rocprim17ROCPRIM_400000_NS6detail17trampoline_kernelINS0_14default_configENS1_25partition_config_selectorILNS1_17partition_subalgoE8ElNS0_10empty_typeEbEEZZNS1_14partition_implILS5_8ELb0ES3_jPlPS6_PKS6_NS0_5tupleIJS9_S6_EEENSD_IJSA_SA_EEENS0_18inequality_wrapperIZN2at6native12_GLOBAL__N_124unique_dim_cuda_templateIaEESt5tupleIJNSH_6TensorESM_SM_EERKSM_lbbbEUlllE0_EEPmJS6_EEE10hipError_tPvRmT3_T4_T5_T6_T7_T9_mT8_P12ihipStream_tbDpT10_ENKUlT_T0_E_clISt17integral_constantIbLb1EES1B_IbLb0EEEEDaS17_S18_EUlS17_E_NS1_11comp_targetILNS1_3genE9ELNS1_11target_archE1100ELNS1_3gpuE3ELNS1_3repE0EEENS1_30default_config_static_selectorELNS0_4arch9wavefront6targetE1EEEvT1_,comdat
	.globl	_ZN7rocprim17ROCPRIM_400000_NS6detail17trampoline_kernelINS0_14default_configENS1_25partition_config_selectorILNS1_17partition_subalgoE8ElNS0_10empty_typeEbEEZZNS1_14partition_implILS5_8ELb0ES3_jPlPS6_PKS6_NS0_5tupleIJS9_S6_EEENSD_IJSA_SA_EEENS0_18inequality_wrapperIZN2at6native12_GLOBAL__N_124unique_dim_cuda_templateIaEESt5tupleIJNSH_6TensorESM_SM_EERKSM_lbbbEUlllE0_EEPmJS6_EEE10hipError_tPvRmT3_T4_T5_T6_T7_T9_mT8_P12ihipStream_tbDpT10_ENKUlT_T0_E_clISt17integral_constantIbLb1EES1B_IbLb0EEEEDaS17_S18_EUlS17_E_NS1_11comp_targetILNS1_3genE9ELNS1_11target_archE1100ELNS1_3gpuE3ELNS1_3repE0EEENS1_30default_config_static_selectorELNS0_4arch9wavefront6targetE1EEEvT1_ ; -- Begin function _ZN7rocprim17ROCPRIM_400000_NS6detail17trampoline_kernelINS0_14default_configENS1_25partition_config_selectorILNS1_17partition_subalgoE8ElNS0_10empty_typeEbEEZZNS1_14partition_implILS5_8ELb0ES3_jPlPS6_PKS6_NS0_5tupleIJS9_S6_EEENSD_IJSA_SA_EEENS0_18inequality_wrapperIZN2at6native12_GLOBAL__N_124unique_dim_cuda_templateIaEESt5tupleIJNSH_6TensorESM_SM_EERKSM_lbbbEUlllE0_EEPmJS6_EEE10hipError_tPvRmT3_T4_T5_T6_T7_T9_mT8_P12ihipStream_tbDpT10_ENKUlT_T0_E_clISt17integral_constantIbLb1EES1B_IbLb0EEEEDaS17_S18_EUlS17_E_NS1_11comp_targetILNS1_3genE9ELNS1_11target_archE1100ELNS1_3gpuE3ELNS1_3repE0EEENS1_30default_config_static_selectorELNS0_4arch9wavefront6targetE1EEEvT1_
	.p2align	8
	.type	_ZN7rocprim17ROCPRIM_400000_NS6detail17trampoline_kernelINS0_14default_configENS1_25partition_config_selectorILNS1_17partition_subalgoE8ElNS0_10empty_typeEbEEZZNS1_14partition_implILS5_8ELb0ES3_jPlPS6_PKS6_NS0_5tupleIJS9_S6_EEENSD_IJSA_SA_EEENS0_18inequality_wrapperIZN2at6native12_GLOBAL__N_124unique_dim_cuda_templateIaEESt5tupleIJNSH_6TensorESM_SM_EERKSM_lbbbEUlllE0_EEPmJS6_EEE10hipError_tPvRmT3_T4_T5_T6_T7_T9_mT8_P12ihipStream_tbDpT10_ENKUlT_T0_E_clISt17integral_constantIbLb1EES1B_IbLb0EEEEDaS17_S18_EUlS17_E_NS1_11comp_targetILNS1_3genE9ELNS1_11target_archE1100ELNS1_3gpuE3ELNS1_3repE0EEENS1_30default_config_static_selectorELNS0_4arch9wavefront6targetE1EEEvT1_,@function
_ZN7rocprim17ROCPRIM_400000_NS6detail17trampoline_kernelINS0_14default_configENS1_25partition_config_selectorILNS1_17partition_subalgoE8ElNS0_10empty_typeEbEEZZNS1_14partition_implILS5_8ELb0ES3_jPlPS6_PKS6_NS0_5tupleIJS9_S6_EEENSD_IJSA_SA_EEENS0_18inequality_wrapperIZN2at6native12_GLOBAL__N_124unique_dim_cuda_templateIaEESt5tupleIJNSH_6TensorESM_SM_EERKSM_lbbbEUlllE0_EEPmJS6_EEE10hipError_tPvRmT3_T4_T5_T6_T7_T9_mT8_P12ihipStream_tbDpT10_ENKUlT_T0_E_clISt17integral_constantIbLb1EES1B_IbLb0EEEEDaS17_S18_EUlS17_E_NS1_11comp_targetILNS1_3genE9ELNS1_11target_archE1100ELNS1_3gpuE3ELNS1_3repE0EEENS1_30default_config_static_selectorELNS0_4arch9wavefront6targetE1EEEvT1_: ; @_ZN7rocprim17ROCPRIM_400000_NS6detail17trampoline_kernelINS0_14default_configENS1_25partition_config_selectorILNS1_17partition_subalgoE8ElNS0_10empty_typeEbEEZZNS1_14partition_implILS5_8ELb0ES3_jPlPS6_PKS6_NS0_5tupleIJS9_S6_EEENSD_IJSA_SA_EEENS0_18inequality_wrapperIZN2at6native12_GLOBAL__N_124unique_dim_cuda_templateIaEESt5tupleIJNSH_6TensorESM_SM_EERKSM_lbbbEUlllE0_EEPmJS6_EEE10hipError_tPvRmT3_T4_T5_T6_T7_T9_mT8_P12ihipStream_tbDpT10_ENKUlT_T0_E_clISt17integral_constantIbLb1EES1B_IbLb0EEEEDaS17_S18_EUlS17_E_NS1_11comp_targetILNS1_3genE9ELNS1_11target_archE1100ELNS1_3gpuE3ELNS1_3repE0EEENS1_30default_config_static_selectorELNS0_4arch9wavefront6targetE1EEEvT1_
; %bb.0:
	.section	.rodata,"a",@progbits
	.p2align	6, 0x0
	.amdhsa_kernel _ZN7rocprim17ROCPRIM_400000_NS6detail17trampoline_kernelINS0_14default_configENS1_25partition_config_selectorILNS1_17partition_subalgoE8ElNS0_10empty_typeEbEEZZNS1_14partition_implILS5_8ELb0ES3_jPlPS6_PKS6_NS0_5tupleIJS9_S6_EEENSD_IJSA_SA_EEENS0_18inequality_wrapperIZN2at6native12_GLOBAL__N_124unique_dim_cuda_templateIaEESt5tupleIJNSH_6TensorESM_SM_EERKSM_lbbbEUlllE0_EEPmJS6_EEE10hipError_tPvRmT3_T4_T5_T6_T7_T9_mT8_P12ihipStream_tbDpT10_ENKUlT_T0_E_clISt17integral_constantIbLb1EES1B_IbLb0EEEEDaS17_S18_EUlS17_E_NS1_11comp_targetILNS1_3genE9ELNS1_11target_archE1100ELNS1_3gpuE3ELNS1_3repE0EEENS1_30default_config_static_selectorELNS0_4arch9wavefront6targetE1EEEvT1_
		.amdhsa_group_segment_fixed_size 0
		.amdhsa_private_segment_fixed_size 0
		.amdhsa_kernarg_size 120
		.amdhsa_user_sgpr_count 2
		.amdhsa_user_sgpr_dispatch_ptr 0
		.amdhsa_user_sgpr_queue_ptr 0
		.amdhsa_user_sgpr_kernarg_segment_ptr 1
		.amdhsa_user_sgpr_dispatch_id 0
		.amdhsa_user_sgpr_kernarg_preload_length 0
		.amdhsa_user_sgpr_kernarg_preload_offset 0
		.amdhsa_user_sgpr_private_segment_size 0
		.amdhsa_uses_dynamic_stack 0
		.amdhsa_enable_private_segment 0
		.amdhsa_system_sgpr_workgroup_id_x 1
		.amdhsa_system_sgpr_workgroup_id_y 0
		.amdhsa_system_sgpr_workgroup_id_z 0
		.amdhsa_system_sgpr_workgroup_info 0
		.amdhsa_system_vgpr_workitem_id 0
		.amdhsa_next_free_vgpr 1
		.amdhsa_next_free_sgpr 0
		.amdhsa_accum_offset 4
		.amdhsa_reserve_vcc 0
		.amdhsa_float_round_mode_32 0
		.amdhsa_float_round_mode_16_64 0
		.amdhsa_float_denorm_mode_32 3
		.amdhsa_float_denorm_mode_16_64 3
		.amdhsa_dx10_clamp 1
		.amdhsa_ieee_mode 1
		.amdhsa_fp16_overflow 0
		.amdhsa_tg_split 0
		.amdhsa_exception_fp_ieee_invalid_op 0
		.amdhsa_exception_fp_denorm_src 0
		.amdhsa_exception_fp_ieee_div_zero 0
		.amdhsa_exception_fp_ieee_overflow 0
		.amdhsa_exception_fp_ieee_underflow 0
		.amdhsa_exception_fp_ieee_inexact 0
		.amdhsa_exception_int_div_zero 0
	.end_amdhsa_kernel
	.section	.text._ZN7rocprim17ROCPRIM_400000_NS6detail17trampoline_kernelINS0_14default_configENS1_25partition_config_selectorILNS1_17partition_subalgoE8ElNS0_10empty_typeEbEEZZNS1_14partition_implILS5_8ELb0ES3_jPlPS6_PKS6_NS0_5tupleIJS9_S6_EEENSD_IJSA_SA_EEENS0_18inequality_wrapperIZN2at6native12_GLOBAL__N_124unique_dim_cuda_templateIaEESt5tupleIJNSH_6TensorESM_SM_EERKSM_lbbbEUlllE0_EEPmJS6_EEE10hipError_tPvRmT3_T4_T5_T6_T7_T9_mT8_P12ihipStream_tbDpT10_ENKUlT_T0_E_clISt17integral_constantIbLb1EES1B_IbLb0EEEEDaS17_S18_EUlS17_E_NS1_11comp_targetILNS1_3genE9ELNS1_11target_archE1100ELNS1_3gpuE3ELNS1_3repE0EEENS1_30default_config_static_selectorELNS0_4arch9wavefront6targetE1EEEvT1_,"axG",@progbits,_ZN7rocprim17ROCPRIM_400000_NS6detail17trampoline_kernelINS0_14default_configENS1_25partition_config_selectorILNS1_17partition_subalgoE8ElNS0_10empty_typeEbEEZZNS1_14partition_implILS5_8ELb0ES3_jPlPS6_PKS6_NS0_5tupleIJS9_S6_EEENSD_IJSA_SA_EEENS0_18inequality_wrapperIZN2at6native12_GLOBAL__N_124unique_dim_cuda_templateIaEESt5tupleIJNSH_6TensorESM_SM_EERKSM_lbbbEUlllE0_EEPmJS6_EEE10hipError_tPvRmT3_T4_T5_T6_T7_T9_mT8_P12ihipStream_tbDpT10_ENKUlT_T0_E_clISt17integral_constantIbLb1EES1B_IbLb0EEEEDaS17_S18_EUlS17_E_NS1_11comp_targetILNS1_3genE9ELNS1_11target_archE1100ELNS1_3gpuE3ELNS1_3repE0EEENS1_30default_config_static_selectorELNS0_4arch9wavefront6targetE1EEEvT1_,comdat
.Lfunc_end341:
	.size	_ZN7rocprim17ROCPRIM_400000_NS6detail17trampoline_kernelINS0_14default_configENS1_25partition_config_selectorILNS1_17partition_subalgoE8ElNS0_10empty_typeEbEEZZNS1_14partition_implILS5_8ELb0ES3_jPlPS6_PKS6_NS0_5tupleIJS9_S6_EEENSD_IJSA_SA_EEENS0_18inequality_wrapperIZN2at6native12_GLOBAL__N_124unique_dim_cuda_templateIaEESt5tupleIJNSH_6TensorESM_SM_EERKSM_lbbbEUlllE0_EEPmJS6_EEE10hipError_tPvRmT3_T4_T5_T6_T7_T9_mT8_P12ihipStream_tbDpT10_ENKUlT_T0_E_clISt17integral_constantIbLb1EES1B_IbLb0EEEEDaS17_S18_EUlS17_E_NS1_11comp_targetILNS1_3genE9ELNS1_11target_archE1100ELNS1_3gpuE3ELNS1_3repE0EEENS1_30default_config_static_selectorELNS0_4arch9wavefront6targetE1EEEvT1_, .Lfunc_end341-_ZN7rocprim17ROCPRIM_400000_NS6detail17trampoline_kernelINS0_14default_configENS1_25partition_config_selectorILNS1_17partition_subalgoE8ElNS0_10empty_typeEbEEZZNS1_14partition_implILS5_8ELb0ES3_jPlPS6_PKS6_NS0_5tupleIJS9_S6_EEENSD_IJSA_SA_EEENS0_18inequality_wrapperIZN2at6native12_GLOBAL__N_124unique_dim_cuda_templateIaEESt5tupleIJNSH_6TensorESM_SM_EERKSM_lbbbEUlllE0_EEPmJS6_EEE10hipError_tPvRmT3_T4_T5_T6_T7_T9_mT8_P12ihipStream_tbDpT10_ENKUlT_T0_E_clISt17integral_constantIbLb1EES1B_IbLb0EEEEDaS17_S18_EUlS17_E_NS1_11comp_targetILNS1_3genE9ELNS1_11target_archE1100ELNS1_3gpuE3ELNS1_3repE0EEENS1_30default_config_static_selectorELNS0_4arch9wavefront6targetE1EEEvT1_
                                        ; -- End function
	.set _ZN7rocprim17ROCPRIM_400000_NS6detail17trampoline_kernelINS0_14default_configENS1_25partition_config_selectorILNS1_17partition_subalgoE8ElNS0_10empty_typeEbEEZZNS1_14partition_implILS5_8ELb0ES3_jPlPS6_PKS6_NS0_5tupleIJS9_S6_EEENSD_IJSA_SA_EEENS0_18inequality_wrapperIZN2at6native12_GLOBAL__N_124unique_dim_cuda_templateIaEESt5tupleIJNSH_6TensorESM_SM_EERKSM_lbbbEUlllE0_EEPmJS6_EEE10hipError_tPvRmT3_T4_T5_T6_T7_T9_mT8_P12ihipStream_tbDpT10_ENKUlT_T0_E_clISt17integral_constantIbLb1EES1B_IbLb0EEEEDaS17_S18_EUlS17_E_NS1_11comp_targetILNS1_3genE9ELNS1_11target_archE1100ELNS1_3gpuE3ELNS1_3repE0EEENS1_30default_config_static_selectorELNS0_4arch9wavefront6targetE1EEEvT1_.num_vgpr, 0
	.set _ZN7rocprim17ROCPRIM_400000_NS6detail17trampoline_kernelINS0_14default_configENS1_25partition_config_selectorILNS1_17partition_subalgoE8ElNS0_10empty_typeEbEEZZNS1_14partition_implILS5_8ELb0ES3_jPlPS6_PKS6_NS0_5tupleIJS9_S6_EEENSD_IJSA_SA_EEENS0_18inequality_wrapperIZN2at6native12_GLOBAL__N_124unique_dim_cuda_templateIaEESt5tupleIJNSH_6TensorESM_SM_EERKSM_lbbbEUlllE0_EEPmJS6_EEE10hipError_tPvRmT3_T4_T5_T6_T7_T9_mT8_P12ihipStream_tbDpT10_ENKUlT_T0_E_clISt17integral_constantIbLb1EES1B_IbLb0EEEEDaS17_S18_EUlS17_E_NS1_11comp_targetILNS1_3genE9ELNS1_11target_archE1100ELNS1_3gpuE3ELNS1_3repE0EEENS1_30default_config_static_selectorELNS0_4arch9wavefront6targetE1EEEvT1_.num_agpr, 0
	.set _ZN7rocprim17ROCPRIM_400000_NS6detail17trampoline_kernelINS0_14default_configENS1_25partition_config_selectorILNS1_17partition_subalgoE8ElNS0_10empty_typeEbEEZZNS1_14partition_implILS5_8ELb0ES3_jPlPS6_PKS6_NS0_5tupleIJS9_S6_EEENSD_IJSA_SA_EEENS0_18inequality_wrapperIZN2at6native12_GLOBAL__N_124unique_dim_cuda_templateIaEESt5tupleIJNSH_6TensorESM_SM_EERKSM_lbbbEUlllE0_EEPmJS6_EEE10hipError_tPvRmT3_T4_T5_T6_T7_T9_mT8_P12ihipStream_tbDpT10_ENKUlT_T0_E_clISt17integral_constantIbLb1EES1B_IbLb0EEEEDaS17_S18_EUlS17_E_NS1_11comp_targetILNS1_3genE9ELNS1_11target_archE1100ELNS1_3gpuE3ELNS1_3repE0EEENS1_30default_config_static_selectorELNS0_4arch9wavefront6targetE1EEEvT1_.numbered_sgpr, 0
	.set _ZN7rocprim17ROCPRIM_400000_NS6detail17trampoline_kernelINS0_14default_configENS1_25partition_config_selectorILNS1_17partition_subalgoE8ElNS0_10empty_typeEbEEZZNS1_14partition_implILS5_8ELb0ES3_jPlPS6_PKS6_NS0_5tupleIJS9_S6_EEENSD_IJSA_SA_EEENS0_18inequality_wrapperIZN2at6native12_GLOBAL__N_124unique_dim_cuda_templateIaEESt5tupleIJNSH_6TensorESM_SM_EERKSM_lbbbEUlllE0_EEPmJS6_EEE10hipError_tPvRmT3_T4_T5_T6_T7_T9_mT8_P12ihipStream_tbDpT10_ENKUlT_T0_E_clISt17integral_constantIbLb1EES1B_IbLb0EEEEDaS17_S18_EUlS17_E_NS1_11comp_targetILNS1_3genE9ELNS1_11target_archE1100ELNS1_3gpuE3ELNS1_3repE0EEENS1_30default_config_static_selectorELNS0_4arch9wavefront6targetE1EEEvT1_.num_named_barrier, 0
	.set _ZN7rocprim17ROCPRIM_400000_NS6detail17trampoline_kernelINS0_14default_configENS1_25partition_config_selectorILNS1_17partition_subalgoE8ElNS0_10empty_typeEbEEZZNS1_14partition_implILS5_8ELb0ES3_jPlPS6_PKS6_NS0_5tupleIJS9_S6_EEENSD_IJSA_SA_EEENS0_18inequality_wrapperIZN2at6native12_GLOBAL__N_124unique_dim_cuda_templateIaEESt5tupleIJNSH_6TensorESM_SM_EERKSM_lbbbEUlllE0_EEPmJS6_EEE10hipError_tPvRmT3_T4_T5_T6_T7_T9_mT8_P12ihipStream_tbDpT10_ENKUlT_T0_E_clISt17integral_constantIbLb1EES1B_IbLb0EEEEDaS17_S18_EUlS17_E_NS1_11comp_targetILNS1_3genE9ELNS1_11target_archE1100ELNS1_3gpuE3ELNS1_3repE0EEENS1_30default_config_static_selectorELNS0_4arch9wavefront6targetE1EEEvT1_.private_seg_size, 0
	.set _ZN7rocprim17ROCPRIM_400000_NS6detail17trampoline_kernelINS0_14default_configENS1_25partition_config_selectorILNS1_17partition_subalgoE8ElNS0_10empty_typeEbEEZZNS1_14partition_implILS5_8ELb0ES3_jPlPS6_PKS6_NS0_5tupleIJS9_S6_EEENSD_IJSA_SA_EEENS0_18inequality_wrapperIZN2at6native12_GLOBAL__N_124unique_dim_cuda_templateIaEESt5tupleIJNSH_6TensorESM_SM_EERKSM_lbbbEUlllE0_EEPmJS6_EEE10hipError_tPvRmT3_T4_T5_T6_T7_T9_mT8_P12ihipStream_tbDpT10_ENKUlT_T0_E_clISt17integral_constantIbLb1EES1B_IbLb0EEEEDaS17_S18_EUlS17_E_NS1_11comp_targetILNS1_3genE9ELNS1_11target_archE1100ELNS1_3gpuE3ELNS1_3repE0EEENS1_30default_config_static_selectorELNS0_4arch9wavefront6targetE1EEEvT1_.uses_vcc, 0
	.set _ZN7rocprim17ROCPRIM_400000_NS6detail17trampoline_kernelINS0_14default_configENS1_25partition_config_selectorILNS1_17partition_subalgoE8ElNS0_10empty_typeEbEEZZNS1_14partition_implILS5_8ELb0ES3_jPlPS6_PKS6_NS0_5tupleIJS9_S6_EEENSD_IJSA_SA_EEENS0_18inequality_wrapperIZN2at6native12_GLOBAL__N_124unique_dim_cuda_templateIaEESt5tupleIJNSH_6TensorESM_SM_EERKSM_lbbbEUlllE0_EEPmJS6_EEE10hipError_tPvRmT3_T4_T5_T6_T7_T9_mT8_P12ihipStream_tbDpT10_ENKUlT_T0_E_clISt17integral_constantIbLb1EES1B_IbLb0EEEEDaS17_S18_EUlS17_E_NS1_11comp_targetILNS1_3genE9ELNS1_11target_archE1100ELNS1_3gpuE3ELNS1_3repE0EEENS1_30default_config_static_selectorELNS0_4arch9wavefront6targetE1EEEvT1_.uses_flat_scratch, 0
	.set _ZN7rocprim17ROCPRIM_400000_NS6detail17trampoline_kernelINS0_14default_configENS1_25partition_config_selectorILNS1_17partition_subalgoE8ElNS0_10empty_typeEbEEZZNS1_14partition_implILS5_8ELb0ES3_jPlPS6_PKS6_NS0_5tupleIJS9_S6_EEENSD_IJSA_SA_EEENS0_18inequality_wrapperIZN2at6native12_GLOBAL__N_124unique_dim_cuda_templateIaEESt5tupleIJNSH_6TensorESM_SM_EERKSM_lbbbEUlllE0_EEPmJS6_EEE10hipError_tPvRmT3_T4_T5_T6_T7_T9_mT8_P12ihipStream_tbDpT10_ENKUlT_T0_E_clISt17integral_constantIbLb1EES1B_IbLb0EEEEDaS17_S18_EUlS17_E_NS1_11comp_targetILNS1_3genE9ELNS1_11target_archE1100ELNS1_3gpuE3ELNS1_3repE0EEENS1_30default_config_static_selectorELNS0_4arch9wavefront6targetE1EEEvT1_.has_dyn_sized_stack, 0
	.set _ZN7rocprim17ROCPRIM_400000_NS6detail17trampoline_kernelINS0_14default_configENS1_25partition_config_selectorILNS1_17partition_subalgoE8ElNS0_10empty_typeEbEEZZNS1_14partition_implILS5_8ELb0ES3_jPlPS6_PKS6_NS0_5tupleIJS9_S6_EEENSD_IJSA_SA_EEENS0_18inequality_wrapperIZN2at6native12_GLOBAL__N_124unique_dim_cuda_templateIaEESt5tupleIJNSH_6TensorESM_SM_EERKSM_lbbbEUlllE0_EEPmJS6_EEE10hipError_tPvRmT3_T4_T5_T6_T7_T9_mT8_P12ihipStream_tbDpT10_ENKUlT_T0_E_clISt17integral_constantIbLb1EES1B_IbLb0EEEEDaS17_S18_EUlS17_E_NS1_11comp_targetILNS1_3genE9ELNS1_11target_archE1100ELNS1_3gpuE3ELNS1_3repE0EEENS1_30default_config_static_selectorELNS0_4arch9wavefront6targetE1EEEvT1_.has_recursion, 0
	.set _ZN7rocprim17ROCPRIM_400000_NS6detail17trampoline_kernelINS0_14default_configENS1_25partition_config_selectorILNS1_17partition_subalgoE8ElNS0_10empty_typeEbEEZZNS1_14partition_implILS5_8ELb0ES3_jPlPS6_PKS6_NS0_5tupleIJS9_S6_EEENSD_IJSA_SA_EEENS0_18inequality_wrapperIZN2at6native12_GLOBAL__N_124unique_dim_cuda_templateIaEESt5tupleIJNSH_6TensorESM_SM_EERKSM_lbbbEUlllE0_EEPmJS6_EEE10hipError_tPvRmT3_T4_T5_T6_T7_T9_mT8_P12ihipStream_tbDpT10_ENKUlT_T0_E_clISt17integral_constantIbLb1EES1B_IbLb0EEEEDaS17_S18_EUlS17_E_NS1_11comp_targetILNS1_3genE9ELNS1_11target_archE1100ELNS1_3gpuE3ELNS1_3repE0EEENS1_30default_config_static_selectorELNS0_4arch9wavefront6targetE1EEEvT1_.has_indirect_call, 0
	.section	.AMDGPU.csdata,"",@progbits
; Kernel info:
; codeLenInByte = 0
; TotalNumSgprs: 6
; NumVgprs: 0
; NumAgprs: 0
; TotalNumVgprs: 0
; ScratchSize: 0
; MemoryBound: 0
; FloatMode: 240
; IeeeMode: 1
; LDSByteSize: 0 bytes/workgroup (compile time only)
; SGPRBlocks: 0
; VGPRBlocks: 0
; NumSGPRsForWavesPerEU: 6
; NumVGPRsForWavesPerEU: 1
; AccumOffset: 4
; Occupancy: 8
; WaveLimiterHint : 0
; COMPUTE_PGM_RSRC2:SCRATCH_EN: 0
; COMPUTE_PGM_RSRC2:USER_SGPR: 2
; COMPUTE_PGM_RSRC2:TRAP_HANDLER: 0
; COMPUTE_PGM_RSRC2:TGID_X_EN: 1
; COMPUTE_PGM_RSRC2:TGID_Y_EN: 0
; COMPUTE_PGM_RSRC2:TGID_Z_EN: 0
; COMPUTE_PGM_RSRC2:TIDIG_COMP_CNT: 0
; COMPUTE_PGM_RSRC3_GFX90A:ACCUM_OFFSET: 0
; COMPUTE_PGM_RSRC3_GFX90A:TG_SPLIT: 0
	.section	.text._ZN7rocprim17ROCPRIM_400000_NS6detail17trampoline_kernelINS0_14default_configENS1_25partition_config_selectorILNS1_17partition_subalgoE8ElNS0_10empty_typeEbEEZZNS1_14partition_implILS5_8ELb0ES3_jPlPS6_PKS6_NS0_5tupleIJS9_S6_EEENSD_IJSA_SA_EEENS0_18inequality_wrapperIZN2at6native12_GLOBAL__N_124unique_dim_cuda_templateIaEESt5tupleIJNSH_6TensorESM_SM_EERKSM_lbbbEUlllE0_EEPmJS6_EEE10hipError_tPvRmT3_T4_T5_T6_T7_T9_mT8_P12ihipStream_tbDpT10_ENKUlT_T0_E_clISt17integral_constantIbLb1EES1B_IbLb0EEEEDaS17_S18_EUlS17_E_NS1_11comp_targetILNS1_3genE8ELNS1_11target_archE1030ELNS1_3gpuE2ELNS1_3repE0EEENS1_30default_config_static_selectorELNS0_4arch9wavefront6targetE1EEEvT1_,"axG",@progbits,_ZN7rocprim17ROCPRIM_400000_NS6detail17trampoline_kernelINS0_14default_configENS1_25partition_config_selectorILNS1_17partition_subalgoE8ElNS0_10empty_typeEbEEZZNS1_14partition_implILS5_8ELb0ES3_jPlPS6_PKS6_NS0_5tupleIJS9_S6_EEENSD_IJSA_SA_EEENS0_18inequality_wrapperIZN2at6native12_GLOBAL__N_124unique_dim_cuda_templateIaEESt5tupleIJNSH_6TensorESM_SM_EERKSM_lbbbEUlllE0_EEPmJS6_EEE10hipError_tPvRmT3_T4_T5_T6_T7_T9_mT8_P12ihipStream_tbDpT10_ENKUlT_T0_E_clISt17integral_constantIbLb1EES1B_IbLb0EEEEDaS17_S18_EUlS17_E_NS1_11comp_targetILNS1_3genE8ELNS1_11target_archE1030ELNS1_3gpuE2ELNS1_3repE0EEENS1_30default_config_static_selectorELNS0_4arch9wavefront6targetE1EEEvT1_,comdat
	.globl	_ZN7rocprim17ROCPRIM_400000_NS6detail17trampoline_kernelINS0_14default_configENS1_25partition_config_selectorILNS1_17partition_subalgoE8ElNS0_10empty_typeEbEEZZNS1_14partition_implILS5_8ELb0ES3_jPlPS6_PKS6_NS0_5tupleIJS9_S6_EEENSD_IJSA_SA_EEENS0_18inequality_wrapperIZN2at6native12_GLOBAL__N_124unique_dim_cuda_templateIaEESt5tupleIJNSH_6TensorESM_SM_EERKSM_lbbbEUlllE0_EEPmJS6_EEE10hipError_tPvRmT3_T4_T5_T6_T7_T9_mT8_P12ihipStream_tbDpT10_ENKUlT_T0_E_clISt17integral_constantIbLb1EES1B_IbLb0EEEEDaS17_S18_EUlS17_E_NS1_11comp_targetILNS1_3genE8ELNS1_11target_archE1030ELNS1_3gpuE2ELNS1_3repE0EEENS1_30default_config_static_selectorELNS0_4arch9wavefront6targetE1EEEvT1_ ; -- Begin function _ZN7rocprim17ROCPRIM_400000_NS6detail17trampoline_kernelINS0_14default_configENS1_25partition_config_selectorILNS1_17partition_subalgoE8ElNS0_10empty_typeEbEEZZNS1_14partition_implILS5_8ELb0ES3_jPlPS6_PKS6_NS0_5tupleIJS9_S6_EEENSD_IJSA_SA_EEENS0_18inequality_wrapperIZN2at6native12_GLOBAL__N_124unique_dim_cuda_templateIaEESt5tupleIJNSH_6TensorESM_SM_EERKSM_lbbbEUlllE0_EEPmJS6_EEE10hipError_tPvRmT3_T4_T5_T6_T7_T9_mT8_P12ihipStream_tbDpT10_ENKUlT_T0_E_clISt17integral_constantIbLb1EES1B_IbLb0EEEEDaS17_S18_EUlS17_E_NS1_11comp_targetILNS1_3genE8ELNS1_11target_archE1030ELNS1_3gpuE2ELNS1_3repE0EEENS1_30default_config_static_selectorELNS0_4arch9wavefront6targetE1EEEvT1_
	.p2align	8
	.type	_ZN7rocprim17ROCPRIM_400000_NS6detail17trampoline_kernelINS0_14default_configENS1_25partition_config_selectorILNS1_17partition_subalgoE8ElNS0_10empty_typeEbEEZZNS1_14partition_implILS5_8ELb0ES3_jPlPS6_PKS6_NS0_5tupleIJS9_S6_EEENSD_IJSA_SA_EEENS0_18inequality_wrapperIZN2at6native12_GLOBAL__N_124unique_dim_cuda_templateIaEESt5tupleIJNSH_6TensorESM_SM_EERKSM_lbbbEUlllE0_EEPmJS6_EEE10hipError_tPvRmT3_T4_T5_T6_T7_T9_mT8_P12ihipStream_tbDpT10_ENKUlT_T0_E_clISt17integral_constantIbLb1EES1B_IbLb0EEEEDaS17_S18_EUlS17_E_NS1_11comp_targetILNS1_3genE8ELNS1_11target_archE1030ELNS1_3gpuE2ELNS1_3repE0EEENS1_30default_config_static_selectorELNS0_4arch9wavefront6targetE1EEEvT1_,@function
_ZN7rocprim17ROCPRIM_400000_NS6detail17trampoline_kernelINS0_14default_configENS1_25partition_config_selectorILNS1_17partition_subalgoE8ElNS0_10empty_typeEbEEZZNS1_14partition_implILS5_8ELb0ES3_jPlPS6_PKS6_NS0_5tupleIJS9_S6_EEENSD_IJSA_SA_EEENS0_18inequality_wrapperIZN2at6native12_GLOBAL__N_124unique_dim_cuda_templateIaEESt5tupleIJNSH_6TensorESM_SM_EERKSM_lbbbEUlllE0_EEPmJS6_EEE10hipError_tPvRmT3_T4_T5_T6_T7_T9_mT8_P12ihipStream_tbDpT10_ENKUlT_T0_E_clISt17integral_constantIbLb1EES1B_IbLb0EEEEDaS17_S18_EUlS17_E_NS1_11comp_targetILNS1_3genE8ELNS1_11target_archE1030ELNS1_3gpuE2ELNS1_3repE0EEENS1_30default_config_static_selectorELNS0_4arch9wavefront6targetE1EEEvT1_: ; @_ZN7rocprim17ROCPRIM_400000_NS6detail17trampoline_kernelINS0_14default_configENS1_25partition_config_selectorILNS1_17partition_subalgoE8ElNS0_10empty_typeEbEEZZNS1_14partition_implILS5_8ELb0ES3_jPlPS6_PKS6_NS0_5tupleIJS9_S6_EEENSD_IJSA_SA_EEENS0_18inequality_wrapperIZN2at6native12_GLOBAL__N_124unique_dim_cuda_templateIaEESt5tupleIJNSH_6TensorESM_SM_EERKSM_lbbbEUlllE0_EEPmJS6_EEE10hipError_tPvRmT3_T4_T5_T6_T7_T9_mT8_P12ihipStream_tbDpT10_ENKUlT_T0_E_clISt17integral_constantIbLb1EES1B_IbLb0EEEEDaS17_S18_EUlS17_E_NS1_11comp_targetILNS1_3genE8ELNS1_11target_archE1030ELNS1_3gpuE2ELNS1_3repE0EEENS1_30default_config_static_selectorELNS0_4arch9wavefront6targetE1EEEvT1_
; %bb.0:
	.section	.rodata,"a",@progbits
	.p2align	6, 0x0
	.amdhsa_kernel _ZN7rocprim17ROCPRIM_400000_NS6detail17trampoline_kernelINS0_14default_configENS1_25partition_config_selectorILNS1_17partition_subalgoE8ElNS0_10empty_typeEbEEZZNS1_14partition_implILS5_8ELb0ES3_jPlPS6_PKS6_NS0_5tupleIJS9_S6_EEENSD_IJSA_SA_EEENS0_18inequality_wrapperIZN2at6native12_GLOBAL__N_124unique_dim_cuda_templateIaEESt5tupleIJNSH_6TensorESM_SM_EERKSM_lbbbEUlllE0_EEPmJS6_EEE10hipError_tPvRmT3_T4_T5_T6_T7_T9_mT8_P12ihipStream_tbDpT10_ENKUlT_T0_E_clISt17integral_constantIbLb1EES1B_IbLb0EEEEDaS17_S18_EUlS17_E_NS1_11comp_targetILNS1_3genE8ELNS1_11target_archE1030ELNS1_3gpuE2ELNS1_3repE0EEENS1_30default_config_static_selectorELNS0_4arch9wavefront6targetE1EEEvT1_
		.amdhsa_group_segment_fixed_size 0
		.amdhsa_private_segment_fixed_size 0
		.amdhsa_kernarg_size 120
		.amdhsa_user_sgpr_count 2
		.amdhsa_user_sgpr_dispatch_ptr 0
		.amdhsa_user_sgpr_queue_ptr 0
		.amdhsa_user_sgpr_kernarg_segment_ptr 1
		.amdhsa_user_sgpr_dispatch_id 0
		.amdhsa_user_sgpr_kernarg_preload_length 0
		.amdhsa_user_sgpr_kernarg_preload_offset 0
		.amdhsa_user_sgpr_private_segment_size 0
		.amdhsa_uses_dynamic_stack 0
		.amdhsa_enable_private_segment 0
		.amdhsa_system_sgpr_workgroup_id_x 1
		.amdhsa_system_sgpr_workgroup_id_y 0
		.amdhsa_system_sgpr_workgroup_id_z 0
		.amdhsa_system_sgpr_workgroup_info 0
		.amdhsa_system_vgpr_workitem_id 0
		.amdhsa_next_free_vgpr 1
		.amdhsa_next_free_sgpr 0
		.amdhsa_accum_offset 4
		.amdhsa_reserve_vcc 0
		.amdhsa_float_round_mode_32 0
		.amdhsa_float_round_mode_16_64 0
		.amdhsa_float_denorm_mode_32 3
		.amdhsa_float_denorm_mode_16_64 3
		.amdhsa_dx10_clamp 1
		.amdhsa_ieee_mode 1
		.amdhsa_fp16_overflow 0
		.amdhsa_tg_split 0
		.amdhsa_exception_fp_ieee_invalid_op 0
		.amdhsa_exception_fp_denorm_src 0
		.amdhsa_exception_fp_ieee_div_zero 0
		.amdhsa_exception_fp_ieee_overflow 0
		.amdhsa_exception_fp_ieee_underflow 0
		.amdhsa_exception_fp_ieee_inexact 0
		.amdhsa_exception_int_div_zero 0
	.end_amdhsa_kernel
	.section	.text._ZN7rocprim17ROCPRIM_400000_NS6detail17trampoline_kernelINS0_14default_configENS1_25partition_config_selectorILNS1_17partition_subalgoE8ElNS0_10empty_typeEbEEZZNS1_14partition_implILS5_8ELb0ES3_jPlPS6_PKS6_NS0_5tupleIJS9_S6_EEENSD_IJSA_SA_EEENS0_18inequality_wrapperIZN2at6native12_GLOBAL__N_124unique_dim_cuda_templateIaEESt5tupleIJNSH_6TensorESM_SM_EERKSM_lbbbEUlllE0_EEPmJS6_EEE10hipError_tPvRmT3_T4_T5_T6_T7_T9_mT8_P12ihipStream_tbDpT10_ENKUlT_T0_E_clISt17integral_constantIbLb1EES1B_IbLb0EEEEDaS17_S18_EUlS17_E_NS1_11comp_targetILNS1_3genE8ELNS1_11target_archE1030ELNS1_3gpuE2ELNS1_3repE0EEENS1_30default_config_static_selectorELNS0_4arch9wavefront6targetE1EEEvT1_,"axG",@progbits,_ZN7rocprim17ROCPRIM_400000_NS6detail17trampoline_kernelINS0_14default_configENS1_25partition_config_selectorILNS1_17partition_subalgoE8ElNS0_10empty_typeEbEEZZNS1_14partition_implILS5_8ELb0ES3_jPlPS6_PKS6_NS0_5tupleIJS9_S6_EEENSD_IJSA_SA_EEENS0_18inequality_wrapperIZN2at6native12_GLOBAL__N_124unique_dim_cuda_templateIaEESt5tupleIJNSH_6TensorESM_SM_EERKSM_lbbbEUlllE0_EEPmJS6_EEE10hipError_tPvRmT3_T4_T5_T6_T7_T9_mT8_P12ihipStream_tbDpT10_ENKUlT_T0_E_clISt17integral_constantIbLb1EES1B_IbLb0EEEEDaS17_S18_EUlS17_E_NS1_11comp_targetILNS1_3genE8ELNS1_11target_archE1030ELNS1_3gpuE2ELNS1_3repE0EEENS1_30default_config_static_selectorELNS0_4arch9wavefront6targetE1EEEvT1_,comdat
.Lfunc_end342:
	.size	_ZN7rocprim17ROCPRIM_400000_NS6detail17trampoline_kernelINS0_14default_configENS1_25partition_config_selectorILNS1_17partition_subalgoE8ElNS0_10empty_typeEbEEZZNS1_14partition_implILS5_8ELb0ES3_jPlPS6_PKS6_NS0_5tupleIJS9_S6_EEENSD_IJSA_SA_EEENS0_18inequality_wrapperIZN2at6native12_GLOBAL__N_124unique_dim_cuda_templateIaEESt5tupleIJNSH_6TensorESM_SM_EERKSM_lbbbEUlllE0_EEPmJS6_EEE10hipError_tPvRmT3_T4_T5_T6_T7_T9_mT8_P12ihipStream_tbDpT10_ENKUlT_T0_E_clISt17integral_constantIbLb1EES1B_IbLb0EEEEDaS17_S18_EUlS17_E_NS1_11comp_targetILNS1_3genE8ELNS1_11target_archE1030ELNS1_3gpuE2ELNS1_3repE0EEENS1_30default_config_static_selectorELNS0_4arch9wavefront6targetE1EEEvT1_, .Lfunc_end342-_ZN7rocprim17ROCPRIM_400000_NS6detail17trampoline_kernelINS0_14default_configENS1_25partition_config_selectorILNS1_17partition_subalgoE8ElNS0_10empty_typeEbEEZZNS1_14partition_implILS5_8ELb0ES3_jPlPS6_PKS6_NS0_5tupleIJS9_S6_EEENSD_IJSA_SA_EEENS0_18inequality_wrapperIZN2at6native12_GLOBAL__N_124unique_dim_cuda_templateIaEESt5tupleIJNSH_6TensorESM_SM_EERKSM_lbbbEUlllE0_EEPmJS6_EEE10hipError_tPvRmT3_T4_T5_T6_T7_T9_mT8_P12ihipStream_tbDpT10_ENKUlT_T0_E_clISt17integral_constantIbLb1EES1B_IbLb0EEEEDaS17_S18_EUlS17_E_NS1_11comp_targetILNS1_3genE8ELNS1_11target_archE1030ELNS1_3gpuE2ELNS1_3repE0EEENS1_30default_config_static_selectorELNS0_4arch9wavefront6targetE1EEEvT1_
                                        ; -- End function
	.set _ZN7rocprim17ROCPRIM_400000_NS6detail17trampoline_kernelINS0_14default_configENS1_25partition_config_selectorILNS1_17partition_subalgoE8ElNS0_10empty_typeEbEEZZNS1_14partition_implILS5_8ELb0ES3_jPlPS6_PKS6_NS0_5tupleIJS9_S6_EEENSD_IJSA_SA_EEENS0_18inequality_wrapperIZN2at6native12_GLOBAL__N_124unique_dim_cuda_templateIaEESt5tupleIJNSH_6TensorESM_SM_EERKSM_lbbbEUlllE0_EEPmJS6_EEE10hipError_tPvRmT3_T4_T5_T6_T7_T9_mT8_P12ihipStream_tbDpT10_ENKUlT_T0_E_clISt17integral_constantIbLb1EES1B_IbLb0EEEEDaS17_S18_EUlS17_E_NS1_11comp_targetILNS1_3genE8ELNS1_11target_archE1030ELNS1_3gpuE2ELNS1_3repE0EEENS1_30default_config_static_selectorELNS0_4arch9wavefront6targetE1EEEvT1_.num_vgpr, 0
	.set _ZN7rocprim17ROCPRIM_400000_NS6detail17trampoline_kernelINS0_14default_configENS1_25partition_config_selectorILNS1_17partition_subalgoE8ElNS0_10empty_typeEbEEZZNS1_14partition_implILS5_8ELb0ES3_jPlPS6_PKS6_NS0_5tupleIJS9_S6_EEENSD_IJSA_SA_EEENS0_18inequality_wrapperIZN2at6native12_GLOBAL__N_124unique_dim_cuda_templateIaEESt5tupleIJNSH_6TensorESM_SM_EERKSM_lbbbEUlllE0_EEPmJS6_EEE10hipError_tPvRmT3_T4_T5_T6_T7_T9_mT8_P12ihipStream_tbDpT10_ENKUlT_T0_E_clISt17integral_constantIbLb1EES1B_IbLb0EEEEDaS17_S18_EUlS17_E_NS1_11comp_targetILNS1_3genE8ELNS1_11target_archE1030ELNS1_3gpuE2ELNS1_3repE0EEENS1_30default_config_static_selectorELNS0_4arch9wavefront6targetE1EEEvT1_.num_agpr, 0
	.set _ZN7rocprim17ROCPRIM_400000_NS6detail17trampoline_kernelINS0_14default_configENS1_25partition_config_selectorILNS1_17partition_subalgoE8ElNS0_10empty_typeEbEEZZNS1_14partition_implILS5_8ELb0ES3_jPlPS6_PKS6_NS0_5tupleIJS9_S6_EEENSD_IJSA_SA_EEENS0_18inequality_wrapperIZN2at6native12_GLOBAL__N_124unique_dim_cuda_templateIaEESt5tupleIJNSH_6TensorESM_SM_EERKSM_lbbbEUlllE0_EEPmJS6_EEE10hipError_tPvRmT3_T4_T5_T6_T7_T9_mT8_P12ihipStream_tbDpT10_ENKUlT_T0_E_clISt17integral_constantIbLb1EES1B_IbLb0EEEEDaS17_S18_EUlS17_E_NS1_11comp_targetILNS1_3genE8ELNS1_11target_archE1030ELNS1_3gpuE2ELNS1_3repE0EEENS1_30default_config_static_selectorELNS0_4arch9wavefront6targetE1EEEvT1_.numbered_sgpr, 0
	.set _ZN7rocprim17ROCPRIM_400000_NS6detail17trampoline_kernelINS0_14default_configENS1_25partition_config_selectorILNS1_17partition_subalgoE8ElNS0_10empty_typeEbEEZZNS1_14partition_implILS5_8ELb0ES3_jPlPS6_PKS6_NS0_5tupleIJS9_S6_EEENSD_IJSA_SA_EEENS0_18inequality_wrapperIZN2at6native12_GLOBAL__N_124unique_dim_cuda_templateIaEESt5tupleIJNSH_6TensorESM_SM_EERKSM_lbbbEUlllE0_EEPmJS6_EEE10hipError_tPvRmT3_T4_T5_T6_T7_T9_mT8_P12ihipStream_tbDpT10_ENKUlT_T0_E_clISt17integral_constantIbLb1EES1B_IbLb0EEEEDaS17_S18_EUlS17_E_NS1_11comp_targetILNS1_3genE8ELNS1_11target_archE1030ELNS1_3gpuE2ELNS1_3repE0EEENS1_30default_config_static_selectorELNS0_4arch9wavefront6targetE1EEEvT1_.num_named_barrier, 0
	.set _ZN7rocprim17ROCPRIM_400000_NS6detail17trampoline_kernelINS0_14default_configENS1_25partition_config_selectorILNS1_17partition_subalgoE8ElNS0_10empty_typeEbEEZZNS1_14partition_implILS5_8ELb0ES3_jPlPS6_PKS6_NS0_5tupleIJS9_S6_EEENSD_IJSA_SA_EEENS0_18inequality_wrapperIZN2at6native12_GLOBAL__N_124unique_dim_cuda_templateIaEESt5tupleIJNSH_6TensorESM_SM_EERKSM_lbbbEUlllE0_EEPmJS6_EEE10hipError_tPvRmT3_T4_T5_T6_T7_T9_mT8_P12ihipStream_tbDpT10_ENKUlT_T0_E_clISt17integral_constantIbLb1EES1B_IbLb0EEEEDaS17_S18_EUlS17_E_NS1_11comp_targetILNS1_3genE8ELNS1_11target_archE1030ELNS1_3gpuE2ELNS1_3repE0EEENS1_30default_config_static_selectorELNS0_4arch9wavefront6targetE1EEEvT1_.private_seg_size, 0
	.set _ZN7rocprim17ROCPRIM_400000_NS6detail17trampoline_kernelINS0_14default_configENS1_25partition_config_selectorILNS1_17partition_subalgoE8ElNS0_10empty_typeEbEEZZNS1_14partition_implILS5_8ELb0ES3_jPlPS6_PKS6_NS0_5tupleIJS9_S6_EEENSD_IJSA_SA_EEENS0_18inequality_wrapperIZN2at6native12_GLOBAL__N_124unique_dim_cuda_templateIaEESt5tupleIJNSH_6TensorESM_SM_EERKSM_lbbbEUlllE0_EEPmJS6_EEE10hipError_tPvRmT3_T4_T5_T6_T7_T9_mT8_P12ihipStream_tbDpT10_ENKUlT_T0_E_clISt17integral_constantIbLb1EES1B_IbLb0EEEEDaS17_S18_EUlS17_E_NS1_11comp_targetILNS1_3genE8ELNS1_11target_archE1030ELNS1_3gpuE2ELNS1_3repE0EEENS1_30default_config_static_selectorELNS0_4arch9wavefront6targetE1EEEvT1_.uses_vcc, 0
	.set _ZN7rocprim17ROCPRIM_400000_NS6detail17trampoline_kernelINS0_14default_configENS1_25partition_config_selectorILNS1_17partition_subalgoE8ElNS0_10empty_typeEbEEZZNS1_14partition_implILS5_8ELb0ES3_jPlPS6_PKS6_NS0_5tupleIJS9_S6_EEENSD_IJSA_SA_EEENS0_18inequality_wrapperIZN2at6native12_GLOBAL__N_124unique_dim_cuda_templateIaEESt5tupleIJNSH_6TensorESM_SM_EERKSM_lbbbEUlllE0_EEPmJS6_EEE10hipError_tPvRmT3_T4_T5_T6_T7_T9_mT8_P12ihipStream_tbDpT10_ENKUlT_T0_E_clISt17integral_constantIbLb1EES1B_IbLb0EEEEDaS17_S18_EUlS17_E_NS1_11comp_targetILNS1_3genE8ELNS1_11target_archE1030ELNS1_3gpuE2ELNS1_3repE0EEENS1_30default_config_static_selectorELNS0_4arch9wavefront6targetE1EEEvT1_.uses_flat_scratch, 0
	.set _ZN7rocprim17ROCPRIM_400000_NS6detail17trampoline_kernelINS0_14default_configENS1_25partition_config_selectorILNS1_17partition_subalgoE8ElNS0_10empty_typeEbEEZZNS1_14partition_implILS5_8ELb0ES3_jPlPS6_PKS6_NS0_5tupleIJS9_S6_EEENSD_IJSA_SA_EEENS0_18inequality_wrapperIZN2at6native12_GLOBAL__N_124unique_dim_cuda_templateIaEESt5tupleIJNSH_6TensorESM_SM_EERKSM_lbbbEUlllE0_EEPmJS6_EEE10hipError_tPvRmT3_T4_T5_T6_T7_T9_mT8_P12ihipStream_tbDpT10_ENKUlT_T0_E_clISt17integral_constantIbLb1EES1B_IbLb0EEEEDaS17_S18_EUlS17_E_NS1_11comp_targetILNS1_3genE8ELNS1_11target_archE1030ELNS1_3gpuE2ELNS1_3repE0EEENS1_30default_config_static_selectorELNS0_4arch9wavefront6targetE1EEEvT1_.has_dyn_sized_stack, 0
	.set _ZN7rocprim17ROCPRIM_400000_NS6detail17trampoline_kernelINS0_14default_configENS1_25partition_config_selectorILNS1_17partition_subalgoE8ElNS0_10empty_typeEbEEZZNS1_14partition_implILS5_8ELb0ES3_jPlPS6_PKS6_NS0_5tupleIJS9_S6_EEENSD_IJSA_SA_EEENS0_18inequality_wrapperIZN2at6native12_GLOBAL__N_124unique_dim_cuda_templateIaEESt5tupleIJNSH_6TensorESM_SM_EERKSM_lbbbEUlllE0_EEPmJS6_EEE10hipError_tPvRmT3_T4_T5_T6_T7_T9_mT8_P12ihipStream_tbDpT10_ENKUlT_T0_E_clISt17integral_constantIbLb1EES1B_IbLb0EEEEDaS17_S18_EUlS17_E_NS1_11comp_targetILNS1_3genE8ELNS1_11target_archE1030ELNS1_3gpuE2ELNS1_3repE0EEENS1_30default_config_static_selectorELNS0_4arch9wavefront6targetE1EEEvT1_.has_recursion, 0
	.set _ZN7rocprim17ROCPRIM_400000_NS6detail17trampoline_kernelINS0_14default_configENS1_25partition_config_selectorILNS1_17partition_subalgoE8ElNS0_10empty_typeEbEEZZNS1_14partition_implILS5_8ELb0ES3_jPlPS6_PKS6_NS0_5tupleIJS9_S6_EEENSD_IJSA_SA_EEENS0_18inequality_wrapperIZN2at6native12_GLOBAL__N_124unique_dim_cuda_templateIaEESt5tupleIJNSH_6TensorESM_SM_EERKSM_lbbbEUlllE0_EEPmJS6_EEE10hipError_tPvRmT3_T4_T5_T6_T7_T9_mT8_P12ihipStream_tbDpT10_ENKUlT_T0_E_clISt17integral_constantIbLb1EES1B_IbLb0EEEEDaS17_S18_EUlS17_E_NS1_11comp_targetILNS1_3genE8ELNS1_11target_archE1030ELNS1_3gpuE2ELNS1_3repE0EEENS1_30default_config_static_selectorELNS0_4arch9wavefront6targetE1EEEvT1_.has_indirect_call, 0
	.section	.AMDGPU.csdata,"",@progbits
; Kernel info:
; codeLenInByte = 0
; TotalNumSgprs: 6
; NumVgprs: 0
; NumAgprs: 0
; TotalNumVgprs: 0
; ScratchSize: 0
; MemoryBound: 0
; FloatMode: 240
; IeeeMode: 1
; LDSByteSize: 0 bytes/workgroup (compile time only)
; SGPRBlocks: 0
; VGPRBlocks: 0
; NumSGPRsForWavesPerEU: 6
; NumVGPRsForWavesPerEU: 1
; AccumOffset: 4
; Occupancy: 8
; WaveLimiterHint : 0
; COMPUTE_PGM_RSRC2:SCRATCH_EN: 0
; COMPUTE_PGM_RSRC2:USER_SGPR: 2
; COMPUTE_PGM_RSRC2:TRAP_HANDLER: 0
; COMPUTE_PGM_RSRC2:TGID_X_EN: 1
; COMPUTE_PGM_RSRC2:TGID_Y_EN: 0
; COMPUTE_PGM_RSRC2:TGID_Z_EN: 0
; COMPUTE_PGM_RSRC2:TIDIG_COMP_CNT: 0
; COMPUTE_PGM_RSRC3_GFX90A:ACCUM_OFFSET: 0
; COMPUTE_PGM_RSRC3_GFX90A:TG_SPLIT: 0
	.section	.text._ZN7rocprim17ROCPRIM_400000_NS6detail17trampoline_kernelINS0_14default_configENS1_25partition_config_selectorILNS1_17partition_subalgoE8ElNS0_10empty_typeEbEEZZNS1_14partition_implILS5_8ELb0ES3_jPlPS6_PKS6_NS0_5tupleIJS9_S6_EEENSD_IJSA_SA_EEENS0_18inequality_wrapperIZN2at6native12_GLOBAL__N_124unique_dim_cuda_templateIaEESt5tupleIJNSH_6TensorESM_SM_EERKSM_lbbbEUlllE0_EEPmJS6_EEE10hipError_tPvRmT3_T4_T5_T6_T7_T9_mT8_P12ihipStream_tbDpT10_ENKUlT_T0_E_clISt17integral_constantIbLb0EES1B_IbLb1EEEEDaS17_S18_EUlS17_E_NS1_11comp_targetILNS1_3genE0ELNS1_11target_archE4294967295ELNS1_3gpuE0ELNS1_3repE0EEENS1_30default_config_static_selectorELNS0_4arch9wavefront6targetE1EEEvT1_,"axG",@progbits,_ZN7rocprim17ROCPRIM_400000_NS6detail17trampoline_kernelINS0_14default_configENS1_25partition_config_selectorILNS1_17partition_subalgoE8ElNS0_10empty_typeEbEEZZNS1_14partition_implILS5_8ELb0ES3_jPlPS6_PKS6_NS0_5tupleIJS9_S6_EEENSD_IJSA_SA_EEENS0_18inequality_wrapperIZN2at6native12_GLOBAL__N_124unique_dim_cuda_templateIaEESt5tupleIJNSH_6TensorESM_SM_EERKSM_lbbbEUlllE0_EEPmJS6_EEE10hipError_tPvRmT3_T4_T5_T6_T7_T9_mT8_P12ihipStream_tbDpT10_ENKUlT_T0_E_clISt17integral_constantIbLb0EES1B_IbLb1EEEEDaS17_S18_EUlS17_E_NS1_11comp_targetILNS1_3genE0ELNS1_11target_archE4294967295ELNS1_3gpuE0ELNS1_3repE0EEENS1_30default_config_static_selectorELNS0_4arch9wavefront6targetE1EEEvT1_,comdat
	.globl	_ZN7rocprim17ROCPRIM_400000_NS6detail17trampoline_kernelINS0_14default_configENS1_25partition_config_selectorILNS1_17partition_subalgoE8ElNS0_10empty_typeEbEEZZNS1_14partition_implILS5_8ELb0ES3_jPlPS6_PKS6_NS0_5tupleIJS9_S6_EEENSD_IJSA_SA_EEENS0_18inequality_wrapperIZN2at6native12_GLOBAL__N_124unique_dim_cuda_templateIaEESt5tupleIJNSH_6TensorESM_SM_EERKSM_lbbbEUlllE0_EEPmJS6_EEE10hipError_tPvRmT3_T4_T5_T6_T7_T9_mT8_P12ihipStream_tbDpT10_ENKUlT_T0_E_clISt17integral_constantIbLb0EES1B_IbLb1EEEEDaS17_S18_EUlS17_E_NS1_11comp_targetILNS1_3genE0ELNS1_11target_archE4294967295ELNS1_3gpuE0ELNS1_3repE0EEENS1_30default_config_static_selectorELNS0_4arch9wavefront6targetE1EEEvT1_ ; -- Begin function _ZN7rocprim17ROCPRIM_400000_NS6detail17trampoline_kernelINS0_14default_configENS1_25partition_config_selectorILNS1_17partition_subalgoE8ElNS0_10empty_typeEbEEZZNS1_14partition_implILS5_8ELb0ES3_jPlPS6_PKS6_NS0_5tupleIJS9_S6_EEENSD_IJSA_SA_EEENS0_18inequality_wrapperIZN2at6native12_GLOBAL__N_124unique_dim_cuda_templateIaEESt5tupleIJNSH_6TensorESM_SM_EERKSM_lbbbEUlllE0_EEPmJS6_EEE10hipError_tPvRmT3_T4_T5_T6_T7_T9_mT8_P12ihipStream_tbDpT10_ENKUlT_T0_E_clISt17integral_constantIbLb0EES1B_IbLb1EEEEDaS17_S18_EUlS17_E_NS1_11comp_targetILNS1_3genE0ELNS1_11target_archE4294967295ELNS1_3gpuE0ELNS1_3repE0EEENS1_30default_config_static_selectorELNS0_4arch9wavefront6targetE1EEEvT1_
	.p2align	8
	.type	_ZN7rocprim17ROCPRIM_400000_NS6detail17trampoline_kernelINS0_14default_configENS1_25partition_config_selectorILNS1_17partition_subalgoE8ElNS0_10empty_typeEbEEZZNS1_14partition_implILS5_8ELb0ES3_jPlPS6_PKS6_NS0_5tupleIJS9_S6_EEENSD_IJSA_SA_EEENS0_18inequality_wrapperIZN2at6native12_GLOBAL__N_124unique_dim_cuda_templateIaEESt5tupleIJNSH_6TensorESM_SM_EERKSM_lbbbEUlllE0_EEPmJS6_EEE10hipError_tPvRmT3_T4_T5_T6_T7_T9_mT8_P12ihipStream_tbDpT10_ENKUlT_T0_E_clISt17integral_constantIbLb0EES1B_IbLb1EEEEDaS17_S18_EUlS17_E_NS1_11comp_targetILNS1_3genE0ELNS1_11target_archE4294967295ELNS1_3gpuE0ELNS1_3repE0EEENS1_30default_config_static_selectorELNS0_4arch9wavefront6targetE1EEEvT1_,@function
_ZN7rocprim17ROCPRIM_400000_NS6detail17trampoline_kernelINS0_14default_configENS1_25partition_config_selectorILNS1_17partition_subalgoE8ElNS0_10empty_typeEbEEZZNS1_14partition_implILS5_8ELb0ES3_jPlPS6_PKS6_NS0_5tupleIJS9_S6_EEENSD_IJSA_SA_EEENS0_18inequality_wrapperIZN2at6native12_GLOBAL__N_124unique_dim_cuda_templateIaEESt5tupleIJNSH_6TensorESM_SM_EERKSM_lbbbEUlllE0_EEPmJS6_EEE10hipError_tPvRmT3_T4_T5_T6_T7_T9_mT8_P12ihipStream_tbDpT10_ENKUlT_T0_E_clISt17integral_constantIbLb0EES1B_IbLb1EEEEDaS17_S18_EUlS17_E_NS1_11comp_targetILNS1_3genE0ELNS1_11target_archE4294967295ELNS1_3gpuE0ELNS1_3repE0EEENS1_30default_config_static_selectorELNS0_4arch9wavefront6targetE1EEEvT1_: ; @_ZN7rocprim17ROCPRIM_400000_NS6detail17trampoline_kernelINS0_14default_configENS1_25partition_config_selectorILNS1_17partition_subalgoE8ElNS0_10empty_typeEbEEZZNS1_14partition_implILS5_8ELb0ES3_jPlPS6_PKS6_NS0_5tupleIJS9_S6_EEENSD_IJSA_SA_EEENS0_18inequality_wrapperIZN2at6native12_GLOBAL__N_124unique_dim_cuda_templateIaEESt5tupleIJNSH_6TensorESM_SM_EERKSM_lbbbEUlllE0_EEPmJS6_EEE10hipError_tPvRmT3_T4_T5_T6_T7_T9_mT8_P12ihipStream_tbDpT10_ENKUlT_T0_E_clISt17integral_constantIbLb0EES1B_IbLb1EEEEDaS17_S18_EUlS17_E_NS1_11comp_targetILNS1_3genE0ELNS1_11target_archE4294967295ELNS1_3gpuE0ELNS1_3repE0EEENS1_30default_config_static_selectorELNS0_4arch9wavefront6targetE1EEEvT1_
; %bb.0:
	s_load_dwordx2 s[34:35], s[0:1], 0x28
	s_load_dwordx8 s[20:27], s[0:1], 0x40
	s_load_dwordx4 s[28:31], s[0:1], 0x60
	v_cmp_ne_u32_e64 s[2:3], 0, v0
	v_cmp_eq_u32_e64 s[18:19], 0, v0
	s_and_saveexec_b64 s[4:5], s[18:19]
	s_cbranch_execz .LBB343_4
; %bb.1:
	s_mov_b64 s[8:9], exec
	v_mbcnt_lo_u32_b32 v1, s8, 0
	v_mbcnt_hi_u32_b32 v1, s9, v1
	v_cmp_eq_u32_e32 vcc, 0, v1
                                        ; implicit-def: $vgpr2
	s_and_saveexec_b64 s[6:7], vcc
	s_cbranch_execz .LBB343_3
; %bb.2:
	s_load_dwordx2 s[10:11], s[0:1], 0x78
	s_bcnt1_i32_b64 s8, s[8:9]
	v_mov_b32_e32 v2, 0
	v_mov_b32_e32 v3, s8
	s_waitcnt lgkmcnt(0)
	global_atomic_add v2, v2, v3, s[10:11] sc0
.LBB343_3:
	s_or_b64 exec, exec, s[6:7]
	s_waitcnt vmcnt(0)
	v_readfirstlane_b32 s6, v2
	v_mov_b32_e32 v2, 0
	s_nop 0
	v_add_u32_e32 v1, s6, v1
	ds_write_b32 v2, v1
.LBB343_4:
	s_or_b64 exec, exec, s[4:5]
	v_mov_b32_e32 v3, 0
	s_load_dwordx4 s[4:7], s[0:1], 0x8
	s_load_dword s8, s[0:1], 0x70
	s_waitcnt lgkmcnt(0)
	s_barrier
	ds_read_b32 v1, v3
	s_waitcnt lgkmcnt(0)
	s_barrier
	global_load_dwordx2 v[4:5], v3, s[22:23]
	s_lshl_b64 s[10:11], s[6:7], 3
	s_mul_i32 s9, s8, 0xe00
	s_add_u32 s4, s4, s10
	s_addc_u32 s5, s5, s11
	s_add_i32 s10, s8, -1
	s_add_i32 s8, s9, s6
	s_sub_i32 s50, s24, s8
	s_add_u32 s8, s6, s9
	s_addc_u32 s9, s7, 0
	v_readfirstlane_b32 s33, v1
	v_mov_b64_e32 v[6:7], s[8:9]
	s_cmp_eq_u32 s33, s10
	s_movk_i32 s12, 0xe00
	v_cmp_le_u64_e32 vcc, s[24:25], v[6:7]
	s_cselect_b64 s[24:25], -1, 0
	v_mul_lo_u32 v2, v1, s12
	s_and_b64 s[8:9], vcc, s[24:25]
	v_lshlrev_b64 v[6:7], 3, v[2:3]
	s_xor_b64 s[36:37], s[8:9], -1
	s_mov_b64 s[0:1], -1
	v_lshlrev_b32_e32 v18, 3, v0
	v_lshl_add_u64 v[20:21], s[4:5], 0, v[6:7]
	s_and_b64 vcc, exec, s[36:37]
	s_waitcnt vmcnt(0)
	v_readfirstlane_b32 s22, v4
	v_readfirstlane_b32 s23, v5
	s_cbranch_vccz .LBB343_6
; %bb.5:
	v_lshlrev_b32_e32 v2, 3, v0
	v_lshl_add_u64 v[4:5], v[20:21], 0, v[2:3]
	v_add_co_u32_e32 v8, vcc, 0x1000, v4
	v_readfirstlane_b32 s0, v20
	s_nop 0
	v_addc_co_u32_e32 v9, vcc, 0, v5, vcc
	v_add_co_u32_e32 v10, vcc, 0x2000, v4
	v_readfirstlane_b32 s1, v21
	s_nop 0
	v_addc_co_u32_e32 v11, vcc, 0, v5, vcc
	v_add_co_u32_e32 v12, vcc, 0x3000, v4
	s_nop 1
	v_addc_co_u32_e32 v13, vcc, 0, v5, vcc
	v_add_co_u32_e32 v14, vcc, 0x4000, v4
	global_load_dwordx2 v[6:7], v2, s[0:1]
	s_nop 0
	v_addc_co_u32_e32 v15, vcc, 0, v5, vcc
	global_load_dwordx2 v[16:17], v[8:9], off
	global_load_dwordx2 v[22:23], v[10:11], off
	;; [unrolled: 1-line block ×4, first 2 shown]
	v_add_co_u32_e32 v8, vcc, 0x5000, v4
	s_mov_b64 s[0:1], 0
	s_nop 0
	v_addc_co_u32_e32 v9, vcc, 0, v5, vcc
	v_add_co_u32_e32 v4, vcc, 0x6000, v4
	s_nop 1
	v_addc_co_u32_e32 v5, vcc, 0, v5, vcc
	global_load_dwordx2 v[10:11], v[8:9], off
	global_load_dwordx2 v[12:13], v[4:5], off
	s_waitcnt vmcnt(5)
	ds_write2st64_b64 v2, v[6:7], v[16:17] offset1:8
	s_waitcnt vmcnt(3)
	ds_write2st64_b64 v2, v[22:23], v[24:25] offset0:16 offset1:24
	s_waitcnt vmcnt(1)
	ds_write2st64_b64 v2, v[26:27], v[10:11] offset0:32 offset1:40
	s_waitcnt vmcnt(0)
	ds_write_b64 v2, v[12:13] offset:24576
	s_waitcnt lgkmcnt(0)
	s_barrier
.LBB343_6:
	s_andn2_b64 vcc, exec, s[0:1]
	s_addk_i32 s50, 0xe00
	s_cbranch_vccnz .LBB343_22
; %bb.7:
	v_mov_b32_e32 v2, 0
	v_cmp_gt_u32_e32 vcc, s50, v0
	v_mov_b32_e32 v3, v2
	v_mov_b32_e32 v4, v2
	;; [unrolled: 1-line block ×13, first 2 shown]
	s_and_saveexec_b64 s[0:1], vcc
	s_cbranch_execz .LBB343_9
; %bb.8:
	v_lshlrev_b32_e32 v1, 3, v0
	v_readfirstlane_b32 s4, v20
	v_readfirstlane_b32 s5, v21
	v_mov_b32_e32 v6, v2
	v_mov_b32_e32 v7, v2
	;; [unrolled: 1-line block ×5, first 2 shown]
	global_load_dwordx2 v[4:5], v1, s[4:5]
	v_mov_b32_e32 v11, v2
	v_mov_b32_e32 v12, v2
	;; [unrolled: 1-line block ×7, first 2 shown]
	s_waitcnt vmcnt(0)
	v_mov_b64_e32 v[2:3], v[4:5]
	v_mov_b64_e32 v[4:5], v[6:7]
	;; [unrolled: 1-line block ×8, first 2 shown]
.LBB343_9:
	s_or_b64 exec, exec, s[0:1]
	v_or_b32_e32 v1, 0x200, v0
	v_cmp_gt_u32_e32 vcc, s50, v1
	s_and_saveexec_b64 s[0:1], vcc
	s_cbranch_execz .LBB343_11
; %bb.10:
	v_lshlrev_b32_e32 v1, 3, v1
	v_readfirstlane_b32 s4, v20
	v_readfirstlane_b32 s5, v21
	s_nop 4
	global_load_dwordx2 v[4:5], v1, s[4:5]
.LBB343_11:
	s_or_b64 exec, exec, s[0:1]
	v_or_b32_e32 v1, 0x400, v0
	v_cmp_gt_u32_e32 vcc, s50, v1
	s_and_saveexec_b64 s[0:1], vcc
	s_cbranch_execz .LBB343_13
; %bb.12:
	v_lshlrev_b32_e32 v1, 3, v1
	v_readfirstlane_b32 s4, v20
	v_readfirstlane_b32 s5, v21
	s_nop 4
	global_load_dwordx2 v[6:7], v1, s[4:5]
.LBB343_13:
	;; [unrolled: 12-line block ×6, first 2 shown]
	s_or_b64 exec, exec, s[0:1]
	v_lshlrev_b32_e32 v1, 3, v0
	s_waitcnt vmcnt(0)
	ds_write2st64_b64 v1, v[2:3], v[4:5] offset1:8
	ds_write2st64_b64 v1, v[6:7], v[8:9] offset0:16 offset1:24
	ds_write2st64_b64 v1, v[10:11], v[12:13] offset0:32 offset1:40
	ds_write_b64 v1, v[14:15] offset:24576
	s_waitcnt lgkmcnt(0)
	s_barrier
.LBB343_22:
	v_mul_u32_u24_e32 v1, 7, v0
	v_lshlrev_b32_e32 v26, 3, v1
	ds_read2_b64 v[10:13], v26 offset1:1
	ds_read2_b64 v[6:9], v26 offset0:2 offset1:3
	ds_read2_b64 v[2:5], v26 offset0:4 offset1:5
	ds_read_b64 v[14:15], v26 offset:48
	s_cmp_lg_u32 s33, 0
	s_cselect_b64 s[16:17], -1, 0
	s_cmp_lg_u64 s[6:7], 0
	s_cselect_b64 s[0:1], -1, 0
	s_or_b64 s[0:1], s[0:1], s[16:17]
	s_mov_b64 s[10:11], 0
	s_and_b64 vcc, exec, s[0:1]
	v_cmp_gt_i64_e64 s[4:5], s[26:27], 0
	s_waitcnt lgkmcnt(0)
	s_barrier
	s_cbranch_vccz .LBB343_38
; %bb.23:
	global_load_dwordx2 v[20:21], v[20:21], off offset:-8
	v_cndmask_b32_e64 v16, 0, 1, s[4:5]
	v_lshlrev_b32_e32 v27, 3, v0
	s_mov_b64 s[0:1], 0
	s_and_b64 vcc, exec, s[36:37]
	v_cmp_ne_u32_e64 s[4:5], 1, v16
	ds_write_b64 v27, v[14:15]
	s_cbranch_vccz .LBB343_40
; %bb.24:
	s_and_b64 vcc, exec, s[4:5]
	s_cbranch_vccnz .LBB343_41
; %bb.25:
	v_mov_b64_e32 v[22:23], s[28:29]
	v_mad_u64_u32 v[16:17], s[0:1], v4, s26, v[22:23]
	v_mul_lo_u32 v19, v4, s27
	v_mul_lo_u32 v24, v5, s26
	s_add_u32 s10, s26, -1
	v_add3_u32 v17, v24, v17, v19
	v_mad_u64_u32 v[22:23], s[0:1], v14, s26, v[22:23]
	v_mul_lo_u32 v19, v14, s27
	v_mul_lo_u32 v24, v15, s26
	s_addc_u32 s11, s27, -1
	v_add3_u32 v23, v24, v23, v19
	s_mov_b64 s[12:13], 0
	s_mov_b64 s[14:15], s[10:11]
	v_mov_b64_e32 v[24:25], v[16:17]
                                        ; implicit-def: $sgpr6_sgpr7
.LBB343_26:                             ; =>This Inner Loop Header: Depth=1
	global_load_ubyte v19, v[24:25], off
	global_load_ubyte v28, v[22:23], off
	s_add_u32 s0, s14, -1
	s_addc_u32 s1, s15, -1
	s_cmp_eq_u64 s[14:15], 0
	s_mov_b64 s[14:15], s[0:1]
	s_cselect_b64 s[38:39], -1, 0
	v_lshl_add_u64 v[24:25], v[24:25], 0, 1
	v_lshl_add_u64 v[22:23], v[22:23], 0, 1
	s_waitcnt vmcnt(0)
	v_cmp_ne_u16_e64 s[0:1], v19, v28
	s_or_b64 s[0:1], s[0:1], s[38:39]
	s_and_b64 s[0:1], exec, s[0:1]
	v_cmp_eq_u16_e32 vcc, v19, v28
	s_or_b64 s[12:13], s[0:1], s[12:13]
	s_andn2_b64 s[0:1], s[6:7], exec
	s_and_b64 s[6:7], vcc, exec
	s_or_b64 s[6:7], s[0:1], s[6:7]
	s_andn2_b64 exec, exec, s[12:13]
	s_cbranch_execnz .LBB343_26
; %bb.27:
	s_or_b64 exec, exec, s[12:13]
	v_mov_b64_e32 v[22:23], s[28:29]
	v_mad_u64_u32 v[22:23], s[0:1], v2, s26, v[22:23]
	v_mul_lo_u32 v19, v2, s27
	v_mul_lo_u32 v24, v3, s26
	v_add3_u32 v23, v24, v23, v19
	s_mov_b64 s[14:15], 0
	s_mov_b64 s[38:39], s[10:11]
	v_mov_b64_e32 v[24:25], v[22:23]
                                        ; implicit-def: $sgpr12_sgpr13
.LBB343_28:                             ; =>This Inner Loop Header: Depth=1
	global_load_ubyte v19, v[24:25], off
	global_load_ubyte v28, v[16:17], off
	s_add_u32 s0, s38, -1
	s_addc_u32 s1, s39, -1
	s_cmp_eq_u64 s[38:39], 0
	s_mov_b64 s[38:39], s[0:1]
	s_cselect_b64 s[40:41], -1, 0
	v_lshl_add_u64 v[24:25], v[24:25], 0, 1
	v_lshl_add_u64 v[16:17], v[16:17], 0, 1
	s_waitcnt vmcnt(0)
	v_cmp_ne_u16_e64 s[0:1], v19, v28
	s_or_b64 s[0:1], s[0:1], s[40:41]
	s_and_b64 s[0:1], exec, s[0:1]
	v_cmp_eq_u16_e32 vcc, v19, v28
	s_or_b64 s[14:15], s[0:1], s[14:15]
	s_andn2_b64 s[0:1], s[12:13], exec
	s_and_b64 s[12:13], vcc, exec
	s_or_b64 s[12:13], s[0:1], s[12:13]
	s_andn2_b64 exec, exec, s[14:15]
	s_cbranch_execnz .LBB343_28
; %bb.29:
	s_or_b64 exec, exec, s[14:15]
	v_mov_b64_e32 v[16:17], s[28:29]
	v_mad_u64_u32 v[16:17], s[0:1], v8, s26, v[16:17]
	v_mul_lo_u32 v19, v8, s27
	v_mul_lo_u32 v24, v9, s26
	v_add3_u32 v17, v24, v17, v19
	s_mov_b64 s[38:39], 0
	s_mov_b64 s[40:41], s[10:11]
	v_mov_b64_e32 v[24:25], v[16:17]
                                        ; implicit-def: $sgpr14_sgpr15
.LBB343_30:                             ; =>This Inner Loop Header: Depth=1
	global_load_ubyte v19, v[24:25], off
	global_load_ubyte v28, v[22:23], off
	s_add_u32 s0, s40, -1
	s_addc_u32 s1, s41, -1
	s_cmp_eq_u64 s[40:41], 0
	s_mov_b64 s[40:41], s[0:1]
	s_cselect_b64 s[42:43], -1, 0
	v_lshl_add_u64 v[24:25], v[24:25], 0, 1
	v_lshl_add_u64 v[22:23], v[22:23], 0, 1
	s_waitcnt vmcnt(0)
	v_cmp_ne_u16_e64 s[0:1], v19, v28
	s_or_b64 s[0:1], s[0:1], s[42:43]
	s_and_b64 s[0:1], exec, s[0:1]
	v_cmp_eq_u16_e32 vcc, v19, v28
	s_or_b64 s[38:39], s[0:1], s[38:39]
	s_andn2_b64 s[0:1], s[14:15], exec
	s_and_b64 s[14:15], vcc, exec
	s_or_b64 s[14:15], s[0:1], s[14:15]
	s_andn2_b64 exec, exec, s[38:39]
	s_cbranch_execnz .LBB343_30
; %bb.31:
	s_or_b64 exec, exec, s[38:39]
	v_mov_b64_e32 v[22:23], s[28:29]
	v_mad_u64_u32 v[22:23], s[0:1], v6, s26, v[22:23]
	v_mul_lo_u32 v19, v6, s27
	v_mul_lo_u32 v24, v7, s26
	v_add3_u32 v23, v24, v23, v19
	s_mov_b64 s[40:41], 0
	s_mov_b64 s[42:43], s[10:11]
	v_mov_b64_e32 v[24:25], v[22:23]
                                        ; implicit-def: $sgpr38_sgpr39
.LBB343_32:                             ; =>This Inner Loop Header: Depth=1
	global_load_ubyte v19, v[24:25], off
	global_load_ubyte v28, v[16:17], off
	s_add_u32 s0, s42, -1
	s_addc_u32 s1, s43, -1
	s_cmp_eq_u64 s[42:43], 0
	s_mov_b64 s[42:43], s[0:1]
	s_cselect_b64 s[44:45], -1, 0
	v_lshl_add_u64 v[24:25], v[24:25], 0, 1
	v_lshl_add_u64 v[16:17], v[16:17], 0, 1
	s_waitcnt vmcnt(0)
	v_cmp_ne_u16_e64 s[0:1], v19, v28
	s_or_b64 s[0:1], s[0:1], s[44:45]
	s_and_b64 s[0:1], exec, s[0:1]
	v_cmp_eq_u16_e32 vcc, v19, v28
	s_or_b64 s[40:41], s[0:1], s[40:41]
	s_andn2_b64 s[0:1], s[38:39], exec
	s_and_b64 s[38:39], vcc, exec
	s_or_b64 s[38:39], s[0:1], s[38:39]
	s_andn2_b64 exec, exec, s[40:41]
	s_cbranch_execnz .LBB343_32
; %bb.33:
	s_or_b64 exec, exec, s[40:41]
	v_mov_b64_e32 v[16:17], s[28:29]
	v_mad_u64_u32 v[16:17], s[0:1], v12, s26, v[16:17]
	v_mul_lo_u32 v19, v12, s27
	v_mul_lo_u32 v24, v13, s26
	v_add3_u32 v17, v24, v17, v19
	s_mov_b64 s[42:43], 0
	s_mov_b64 s[44:45], s[10:11]
	v_mov_b64_e32 v[24:25], v[16:17]
                                        ; implicit-def: $sgpr40_sgpr41
.LBB343_34:                             ; =>This Inner Loop Header: Depth=1
	global_load_ubyte v19, v[24:25], off
	global_load_ubyte v28, v[22:23], off
	s_add_u32 s0, s44, -1
	s_addc_u32 s1, s45, -1
	s_cmp_eq_u64 s[44:45], 0
	s_mov_b64 s[44:45], s[0:1]
	s_cselect_b64 s[46:47], -1, 0
	v_lshl_add_u64 v[24:25], v[24:25], 0, 1
	v_lshl_add_u64 v[22:23], v[22:23], 0, 1
	s_waitcnt vmcnt(0)
	v_cmp_ne_u16_e64 s[0:1], v19, v28
	s_or_b64 s[0:1], s[0:1], s[46:47]
	s_and_b64 s[0:1], exec, s[0:1]
	v_cmp_eq_u16_e32 vcc, v19, v28
	s_or_b64 s[42:43], s[0:1], s[42:43]
	s_andn2_b64 s[0:1], s[40:41], exec
	s_and_b64 s[40:41], vcc, exec
	s_or_b64 s[40:41], s[0:1], s[40:41]
	s_andn2_b64 exec, exec, s[42:43]
	s_cbranch_execnz .LBB343_34
; %bb.35:
	s_or_b64 exec, exec, s[42:43]
	v_mov_b64_e32 v[22:23], s[28:29]
	v_mad_u64_u32 v[22:23], s[0:1], v10, s26, v[22:23]
	v_mul_lo_u32 v19, v10, s27
	v_mul_lo_u32 v24, v11, s26
	v_add3_u32 v23, v24, v23, v19
	s_mov_b64 s[44:45], 0
                                        ; implicit-def: $sgpr42_sgpr43
.LBB343_36:                             ; =>This Inner Loop Header: Depth=1
	global_load_ubyte v19, v[22:23], off
	global_load_ubyte v24, v[16:17], off
	s_add_u32 s0, s10, -1
	s_addc_u32 s1, s11, -1
	s_cmp_eq_u64 s[10:11], 0
	s_mov_b64 s[10:11], s[0:1]
	s_cselect_b64 s[46:47], -1, 0
	v_lshl_add_u64 v[22:23], v[22:23], 0, 1
	v_lshl_add_u64 v[16:17], v[16:17], 0, 1
	s_waitcnt vmcnt(0)
	v_cmp_ne_u16_e64 s[0:1], v19, v24
	s_or_b64 s[0:1], s[0:1], s[46:47]
	s_and_b64 s[0:1], exec, s[0:1]
	v_cmp_eq_u16_e32 vcc, v19, v24
	s_or_b64 s[44:45], s[0:1], s[44:45]
	s_andn2_b64 s[0:1], s[42:43], exec
	s_and_b64 s[42:43], vcc, exec
	s_or_b64 s[42:43], s[0:1], s[42:43]
	s_andn2_b64 exec, exec, s[44:45]
	s_cbranch_execnz .LBB343_36
; %bb.37:
	s_or_b64 exec, exec, s[44:45]
	s_xor_b64 s[0:1], s[12:13], -1
	v_cndmask_b32_e64 v40, 0, 1, s[0:1]
	s_xor_b64 s[0:1], s[38:39], -1
	v_cndmask_b32_e64 v16, 0, 1, s[0:1]
	v_lshlrev_b16_e32 v16, 8, v16
	s_xor_b64 s[0:1], s[6:7], -1
	v_lshrrev_b32_e32 v16, 8, v16
	v_mov_b32_e32 v22, 1
	s_xor_b64 s[6:7], s[40:41], -1
	v_cndmask_b32_e64 v19, 0, 1, s[0:1]
	s_xor_b64 s[0:1], s[14:15], -1
	v_and_b32_sdwa v16, v16, v22 dst_sel:BYTE_1 dst_unused:UNUSED_PAD src0_sel:DWORD src1_sel:DWORD
	v_cndmask_b32_e64 v22, 0, 1, s[6:7]
	v_cndmask_b32_e64 v17, 0, 1, s[0:1]
	s_xor_b64 s[0:1], s[42:43], -1
	v_or_b32_sdwa v22, v22, v16 dst_sel:WORD_1 dst_unused:UNUSED_PAD src0_sel:DWORD src1_sel:DWORD
	s_branch .LBB343_42
.LBB343_38:
                                        ; implicit-def: $sgpr0_sgpr1
                                        ; implicit-def: $vgpr19
                                        ; implicit-def: $vgpr40
                                        ; implicit-def: $vgpr17
                                        ; implicit-def: $vgpr22
	s_branch .LBB343_95
.LBB343_39:
                                        ; implicit-def: $vgpr42
                                        ; implicit-def: $vgpr41
                                        ; implicit-def: $vgpr20
	s_branch .LBB343_164
.LBB343_40:
                                        ; implicit-def: $sgpr0_sgpr1
                                        ; implicit-def: $vgpr19
                                        ; implicit-def: $vgpr40
                                        ; implicit-def: $vgpr17
                                        ; implicit-def: $vgpr22
	s_cbranch_execnz .LBB343_49
	s_branch .LBB343_94
.LBB343_41:
	v_mov_b32_e32 v22, 0
	v_mov_b32_e32 v19, 0
	;; [unrolled: 1-line block ×4, first 2 shown]
.LBB343_42:
	s_waitcnt vmcnt(0)
	v_mov_b64_e32 v[24:25], v[20:21]
	s_waitcnt lgkmcnt(0)
	s_barrier
	s_and_saveexec_b64 s[6:7], s[2:3]
; %bb.43:
	v_add_u32_e32 v16, -8, v27
	ds_read_b64 v[24:25], v16
; %bb.44:
	s_or_b64 exec, exec, s[6:7]
	v_cndmask_b32_e64 v23, 0, 1, s[0:1]
	v_lshrrev_b32_e32 v16, 16, v22
	s_mov_b32 s0, 0xc0c0304
	v_perm_b32 v16, v16, v22, s0
	v_lshlrev_b16_e32 v23, 8, v23
	s_movk_i32 s0, 0xff
	v_bitop3_b16 v22, v22, v23, s0 bitop3:0xec
	v_and_b32_e32 v28, 0xffff, v22
	s_mov_b64 s[6:7], 0
	s_and_b64 vcc, exec, s[4:5]
	s_mov_b64 s[0:1], 0
	s_cbranch_vccnz .LBB343_48
; %bb.45:
	v_mov_b64_e32 v[30:31], s[28:29]
	s_waitcnt lgkmcnt(0)
	v_mad_u64_u32 v[22:23], s[0:1], v24, s26, v[30:31]
	v_mul_lo_u32 v24, v24, s27
	v_mul_lo_u32 v25, v25, s26
	v_add3_u32 v23, v25, v23, v24
	v_mad_u64_u32 v[24:25], s[0:1], v10, s26, v[30:31]
	v_mul_lo_u32 v29, v10, s27
	v_mul_lo_u32 v30, v11, s26
	s_add_u32 s14, s26, -1
	v_add3_u32 v25, v30, v25, v29
	s_addc_u32 s15, s27, -1
	s_mov_b64 s[10:11], 0
                                        ; implicit-def: $sgpr12_sgpr13
.LBB343_46:                             ; =>This Inner Loop Header: Depth=1
	global_load_ubyte v29, v[22:23], off
	global_load_ubyte v30, v[24:25], off
	s_add_u32 s0, s14, -1
	s_addc_u32 s1, s15, -1
	s_cmp_eq_u64 s[14:15], 0
	s_mov_b64 s[14:15], s[0:1]
	s_cselect_b64 s[38:39], -1, 0
	v_lshl_add_u64 v[22:23], v[22:23], 0, 1
	v_lshl_add_u64 v[24:25], v[24:25], 0, 1
	s_waitcnt vmcnt(0)
	v_cmp_ne_u16_e64 s[0:1], v29, v30
	s_or_b64 s[0:1], s[0:1], s[38:39]
	s_and_b64 s[0:1], exec, s[0:1]
	v_cmp_eq_u16_e32 vcc, v29, v30
	s_or_b64 s[10:11], s[0:1], s[10:11]
	s_andn2_b64 s[0:1], s[12:13], exec
	s_and_b64 s[12:13], vcc, exec
	s_or_b64 s[12:13], s[0:1], s[12:13]
	s_andn2_b64 exec, exec, s[10:11]
	s_cbranch_execnz .LBB343_46
; %bb.47:
	s_or_b64 exec, exec, s[10:11]
	s_xor_b64 s[0:1], s[12:13], -1
.LBB343_48:
	v_lshl_or_b32 v22, v16, 16, v28
	s_and_b64 vcc, exec, s[6:7]
	s_cbranch_vccz .LBB343_94
.LBB343_49:
	v_add_u32_e32 v16, 6, v1
	v_cmp_gt_u32_e32 vcc, s50, v16
	s_mov_b64 s[10:11], 0
	s_mov_b64 s[6:7], 0
	s_and_saveexec_b64 s[12:13], vcc
	s_cbranch_execz .LBB343_55
; %bb.50:
	s_and_b64 vcc, exec, s[4:5]
	s_mov_b64 s[0:1], 0
	s_cbranch_vccnz .LBB343_54
; %bb.51:
	v_mov_b64_e32 v[22:23], s[28:29]
	v_mad_u64_u32 v[16:17], s[0:1], v4, s26, v[22:23]
	v_mul_lo_u32 v19, v4, s27
	s_waitcnt lgkmcnt(0)
	v_mul_lo_u32 v24, v5, s26
	v_add3_u32 v17, v24, v17, v19
	v_mad_u64_u32 v[22:23], s[0:1], v14, s26, v[22:23]
	v_mul_lo_u32 v19, v14, s27
	v_mul_lo_u32 v24, v15, s26
	s_add_u32 s38, s26, -1
	v_add3_u32 v23, v24, v23, v19
	s_addc_u32 s39, s27, -1
                                        ; implicit-def: $sgpr14_sgpr15
.LBB343_52:                             ; =>This Inner Loop Header: Depth=1
	global_load_ubyte v19, v[16:17], off
	global_load_ubyte v24, v[22:23], off
	s_add_u32 s0, s38, -1
	s_addc_u32 s1, s39, -1
	s_cmp_eq_u64 s[38:39], 0
	s_mov_b64 s[38:39], s[0:1]
	s_cselect_b64 s[40:41], -1, 0
	v_lshl_add_u64 v[16:17], v[16:17], 0, 1
	v_lshl_add_u64 v[22:23], v[22:23], 0, 1
	s_waitcnt vmcnt(0)
	v_cmp_ne_u16_e64 s[0:1], v19, v24
	s_or_b64 s[0:1], s[0:1], s[40:41]
	s_and_b64 s[0:1], exec, s[0:1]
	v_cmp_eq_u16_e32 vcc, v19, v24
	s_or_b64 s[6:7], s[0:1], s[6:7]
	s_andn2_b64 s[0:1], s[14:15], exec
	s_and_b64 s[14:15], vcc, exec
	s_or_b64 s[14:15], s[0:1], s[14:15]
	s_andn2_b64 exec, exec, s[6:7]
	s_cbranch_execnz .LBB343_52
; %bb.53:
	s_or_b64 exec, exec, s[6:7]
	s_xor_b64 s[0:1], s[14:15], -1
.LBB343_54:
	s_and_b64 s[6:7], s[0:1], exec
.LBB343_55:
	s_or_b64 exec, exec, s[12:13]
	v_add_u32_e32 v16, 5, v1
	v_cmp_gt_u32_e32 vcc, s50, v16
	s_and_saveexec_b64 s[12:13], vcc
	s_cbranch_execz .LBB343_61
; %bb.56:
	s_and_b64 vcc, exec, s[4:5]
	s_mov_b64 s[0:1], 0
	s_cbranch_vccnz .LBB343_60
; %bb.57:
	v_mov_b64_e32 v[22:23], s[28:29]
	v_mad_u64_u32 v[16:17], s[0:1], v2, s26, v[22:23]
	v_mul_lo_u32 v19, v2, s27
	s_waitcnt lgkmcnt(0)
	v_mul_lo_u32 v24, v3, s26
	v_add3_u32 v17, v24, v17, v19
	v_mad_u64_u32 v[22:23], s[0:1], v4, s26, v[22:23]
	v_mul_lo_u32 v19, v4, s27
	v_mul_lo_u32 v24, v5, s26
	s_add_u32 s38, s26, -1
	v_add3_u32 v23, v24, v23, v19
	s_addc_u32 s39, s27, -1
	s_mov_b64 s[10:11], 0
                                        ; implicit-def: $sgpr14_sgpr15
.LBB343_58:                             ; =>This Inner Loop Header: Depth=1
	global_load_ubyte v19, v[16:17], off
	global_load_ubyte v24, v[22:23], off
	s_add_u32 s0, s38, -1
	s_addc_u32 s1, s39, -1
	s_cmp_eq_u64 s[38:39], 0
	s_mov_b64 s[38:39], s[0:1]
	s_cselect_b64 s[40:41], -1, 0
	v_lshl_add_u64 v[16:17], v[16:17], 0, 1
	v_lshl_add_u64 v[22:23], v[22:23], 0, 1
	s_waitcnt vmcnt(0)
	v_cmp_ne_u16_e64 s[0:1], v19, v24
	s_or_b64 s[0:1], s[0:1], s[40:41]
	s_and_b64 s[0:1], exec, s[0:1]
	v_cmp_eq_u16_e32 vcc, v19, v24
	s_or_b64 s[10:11], s[0:1], s[10:11]
	s_andn2_b64 s[0:1], s[14:15], exec
	s_and_b64 s[14:15], vcc, exec
	s_or_b64 s[14:15], s[0:1], s[14:15]
	s_andn2_b64 exec, exec, s[10:11]
	s_cbranch_execnz .LBB343_58
; %bb.59:
	s_or_b64 exec, exec, s[10:11]
	s_xor_b64 s[0:1], s[14:15], -1
.LBB343_60:
	s_and_b64 s[10:11], s[0:1], exec
.LBB343_61:
	s_or_b64 exec, exec, s[12:13]
	v_add_u32_e32 v16, 4, v1
	v_cmp_gt_u32_e32 vcc, s50, v16
	s_mov_b64 s[14:15], 0
	s_mov_b64 s[12:13], 0
	s_and_saveexec_b64 s[38:39], vcc
	s_cbranch_execz .LBB343_67
; %bb.62:
	s_and_b64 vcc, exec, s[4:5]
	s_mov_b64 s[0:1], 0
	s_cbranch_vccnz .LBB343_66
; %bb.63:
	v_mov_b64_e32 v[22:23], s[28:29]
	v_mad_u64_u32 v[16:17], s[0:1], v8, s26, v[22:23]
	v_mul_lo_u32 v19, v8, s27
	s_waitcnt lgkmcnt(0)
	v_mul_lo_u32 v24, v9, s26
	v_add3_u32 v17, v24, v17, v19
	v_mad_u64_u32 v[22:23], s[0:1], v2, s26, v[22:23]
	v_mul_lo_u32 v19, v2, s27
	v_mul_lo_u32 v24, v3, s26
	s_add_u32 s42, s26, -1
	v_add3_u32 v23, v24, v23, v19
	s_addc_u32 s43, s27, -1
                                        ; implicit-def: $sgpr40_sgpr41
.LBB343_64:                             ; =>This Inner Loop Header: Depth=1
	global_load_ubyte v19, v[16:17], off
	global_load_ubyte v24, v[22:23], off
	s_add_u32 s0, s42, -1
	s_addc_u32 s1, s43, -1
	s_cmp_eq_u64 s[42:43], 0
	s_mov_b64 s[42:43], s[0:1]
	s_cselect_b64 s[44:45], -1, 0
	v_lshl_add_u64 v[16:17], v[16:17], 0, 1
	v_lshl_add_u64 v[22:23], v[22:23], 0, 1
	s_waitcnt vmcnt(0)
	v_cmp_ne_u16_e64 s[0:1], v19, v24
	s_or_b64 s[0:1], s[0:1], s[44:45]
	s_and_b64 s[0:1], exec, s[0:1]
	v_cmp_eq_u16_e32 vcc, v19, v24
	s_or_b64 s[12:13], s[0:1], s[12:13]
	s_andn2_b64 s[0:1], s[40:41], exec
	s_and_b64 s[40:41], vcc, exec
	s_or_b64 s[40:41], s[0:1], s[40:41]
	s_andn2_b64 exec, exec, s[12:13]
	s_cbranch_execnz .LBB343_64
; %bb.65:
	s_or_b64 exec, exec, s[12:13]
	s_xor_b64 s[0:1], s[40:41], -1
.LBB343_66:
	s_and_b64 s[12:13], s[0:1], exec
.LBB343_67:
	s_or_b64 exec, exec, s[38:39]
	v_add_u32_e32 v16, 3, v1
	v_cmp_gt_u32_e32 vcc, s50, v16
	s_and_saveexec_b64 s[38:39], vcc
	s_cbranch_execz .LBB343_73
; %bb.68:
	s_and_b64 vcc, exec, s[4:5]
	s_mov_b64 s[0:1], 0
	s_cbranch_vccnz .LBB343_72
; %bb.69:
	v_mov_b64_e32 v[22:23], s[28:29]
	v_mad_u64_u32 v[16:17], s[0:1], v6, s26, v[22:23]
	v_mul_lo_u32 v19, v6, s27
	s_waitcnt lgkmcnt(0)
	v_mul_lo_u32 v24, v7, s26
	v_add3_u32 v17, v24, v17, v19
	v_mad_u64_u32 v[22:23], s[0:1], v8, s26, v[22:23]
	v_mul_lo_u32 v19, v8, s27
	v_mul_lo_u32 v24, v9, s26
	s_add_u32 s42, s26, -1
	v_add3_u32 v23, v24, v23, v19
	s_addc_u32 s43, s27, -1
	s_mov_b64 s[14:15], 0
                                        ; implicit-def: $sgpr40_sgpr41
.LBB343_70:                             ; =>This Inner Loop Header: Depth=1
	global_load_ubyte v19, v[16:17], off
	global_load_ubyte v24, v[22:23], off
	s_add_u32 s0, s42, -1
	s_addc_u32 s1, s43, -1
	s_cmp_eq_u64 s[42:43], 0
	s_mov_b64 s[42:43], s[0:1]
	s_cselect_b64 s[44:45], -1, 0
	v_lshl_add_u64 v[16:17], v[16:17], 0, 1
	v_lshl_add_u64 v[22:23], v[22:23], 0, 1
	s_waitcnt vmcnt(0)
	v_cmp_ne_u16_e64 s[0:1], v19, v24
	s_or_b64 s[0:1], s[0:1], s[44:45]
	s_and_b64 s[0:1], exec, s[0:1]
	v_cmp_eq_u16_e32 vcc, v19, v24
	s_or_b64 s[14:15], s[0:1], s[14:15]
	s_andn2_b64 s[0:1], s[40:41], exec
	s_and_b64 s[40:41], vcc, exec
	s_or_b64 s[40:41], s[0:1], s[40:41]
	s_andn2_b64 exec, exec, s[14:15]
	s_cbranch_execnz .LBB343_70
; %bb.71:
	s_or_b64 exec, exec, s[14:15]
	s_xor_b64 s[0:1], s[40:41], -1
.LBB343_72:
	s_and_b64 s[14:15], s[0:1], exec
.LBB343_73:
	s_or_b64 exec, exec, s[38:39]
	v_add_u32_e32 v16, 2, v1
	v_cmp_gt_u32_e32 vcc, s50, v16
	s_mov_b64 s[38:39], 0
	s_mov_b64 s[40:41], 0
	s_and_saveexec_b64 s[42:43], vcc
	s_cbranch_execz .LBB343_79
; %bb.74:
	s_and_b64 vcc, exec, s[4:5]
	s_mov_b64 s[0:1], 0
	s_cbranch_vccnz .LBB343_78
; %bb.75:
	v_mov_b64_e32 v[22:23], s[28:29]
	v_mad_u64_u32 v[16:17], s[0:1], v12, s26, v[22:23]
	v_mul_lo_u32 v19, v12, s27
	s_waitcnt lgkmcnt(0)
	v_mul_lo_u32 v24, v13, s26
	v_add3_u32 v17, v24, v17, v19
	v_mad_u64_u32 v[22:23], s[0:1], v6, s26, v[22:23]
	v_mul_lo_u32 v19, v6, s27
	v_mul_lo_u32 v24, v7, s26
	s_add_u32 s46, s26, -1
	v_add3_u32 v23, v24, v23, v19
	s_addc_u32 s47, s27, -1
                                        ; implicit-def: $sgpr44_sgpr45
.LBB343_76:                             ; =>This Inner Loop Header: Depth=1
	global_load_ubyte v19, v[16:17], off
	global_load_ubyte v24, v[22:23], off
	s_add_u32 s0, s46, -1
	s_addc_u32 s1, s47, -1
	s_cmp_eq_u64 s[46:47], 0
	s_mov_b64 s[46:47], s[0:1]
	s_cselect_b64 s[48:49], -1, 0
	v_lshl_add_u64 v[16:17], v[16:17], 0, 1
	v_lshl_add_u64 v[22:23], v[22:23], 0, 1
	s_waitcnt vmcnt(0)
	v_cmp_ne_u16_e64 s[0:1], v19, v24
	s_or_b64 s[0:1], s[0:1], s[48:49]
	s_and_b64 s[0:1], exec, s[0:1]
	v_cmp_eq_u16_e32 vcc, v19, v24
	s_or_b64 s[40:41], s[0:1], s[40:41]
	s_andn2_b64 s[0:1], s[44:45], exec
	s_and_b64 s[44:45], vcc, exec
	s_or_b64 s[44:45], s[0:1], s[44:45]
	s_andn2_b64 exec, exec, s[40:41]
	s_cbranch_execnz .LBB343_76
; %bb.77:
	s_or_b64 exec, exec, s[40:41]
	s_xor_b64 s[0:1], s[44:45], -1
.LBB343_78:
	s_and_b64 s[40:41], s[0:1], exec
.LBB343_79:
	s_or_b64 exec, exec, s[42:43]
	v_add_u32_e32 v16, 1, v1
	v_cmp_gt_u32_e32 vcc, s50, v16
	s_and_saveexec_b64 s[42:43], vcc
	s_cbranch_execz .LBB343_85
; %bb.80:
	s_and_b64 vcc, exec, s[4:5]
	s_mov_b64 s[0:1], 0
	s_cbranch_vccnz .LBB343_84
; %bb.81:
	v_mov_b64_e32 v[22:23], s[28:29]
	v_mad_u64_u32 v[16:17], s[0:1], v10, s26, v[22:23]
	v_mul_lo_u32 v19, v10, s27
	s_waitcnt lgkmcnt(0)
	v_mul_lo_u32 v24, v11, s26
	v_add3_u32 v17, v24, v17, v19
	v_mad_u64_u32 v[22:23], s[0:1], v12, s26, v[22:23]
	v_mul_lo_u32 v19, v12, s27
	v_mul_lo_u32 v24, v13, s26
	s_add_u32 s46, s26, -1
	v_add3_u32 v23, v24, v23, v19
	s_addc_u32 s47, s27, -1
	s_mov_b64 s[38:39], 0
                                        ; implicit-def: $sgpr44_sgpr45
.LBB343_82:                             ; =>This Inner Loop Header: Depth=1
	global_load_ubyte v19, v[16:17], off
	global_load_ubyte v24, v[22:23], off
	s_add_u32 s0, s46, -1
	s_addc_u32 s1, s47, -1
	s_cmp_eq_u64 s[46:47], 0
	s_mov_b64 s[46:47], s[0:1]
	s_cselect_b64 s[48:49], -1, 0
	v_lshl_add_u64 v[16:17], v[16:17], 0, 1
	v_lshl_add_u64 v[22:23], v[22:23], 0, 1
	s_waitcnt vmcnt(0)
	v_cmp_ne_u16_e64 s[0:1], v19, v24
	s_or_b64 s[0:1], s[0:1], s[48:49]
	s_and_b64 s[0:1], exec, s[0:1]
	v_cmp_eq_u16_e32 vcc, v19, v24
	s_or_b64 s[38:39], s[0:1], s[38:39]
	s_andn2_b64 s[0:1], s[44:45], exec
	s_and_b64 s[44:45], vcc, exec
	s_or_b64 s[44:45], s[0:1], s[44:45]
	s_andn2_b64 exec, exec, s[38:39]
	s_cbranch_execnz .LBB343_82
; %bb.83:
	s_or_b64 exec, exec, s[38:39]
	s_xor_b64 s[0:1], s[44:45], -1
.LBB343_84:
	s_and_b64 s[38:39], s[0:1], exec
.LBB343_85:
	s_or_b64 exec, exec, s[42:43]
	s_waitcnt lgkmcnt(0)
	s_barrier
	s_and_saveexec_b64 s[0:1], s[2:3]
	s_cbranch_execz .LBB343_87
; %bb.86:
	v_add_u32_e32 v16, -8, v27
	s_waitcnt vmcnt(0)
	ds_read_b64 v[20:21], v16
.LBB343_87:
	s_or_b64 exec, exec, s[0:1]
	v_cndmask_b32_e64 v17, 0, 1, s[14:15]
	v_cndmask_b32_e64 v16, 0, 1, s[40:41]
	;; [unrolled: 1-line block ×3, first 2 shown]
	v_lshlrev_b16_e32 v17, 8, v17
	v_cmp_gt_u32_e32 vcc, s50, v1
	v_lshlrev_b16_e32 v22, 8, v19
	v_or_b32_sdwa v23, v16, v17 dst_sel:WORD_1 dst_unused:UNUSED_PAD src0_sel:DWORD src1_sel:DWORD
	s_mov_b64 s[0:1], 0
	s_and_saveexec_b64 s[14:15], vcc
	s_cbranch_execz .LBB343_93
; %bb.88:
	s_and_b64 vcc, exec, s[4:5]
	s_cbranch_vccnz .LBB343_92
; %bb.89:
	v_mov_b64_e32 v[24:25], s[28:29]
	s_waitcnt vmcnt(0) lgkmcnt(0)
	v_mad_u64_u32 v[16:17], s[0:1], v20, s26, v[24:25]
	v_mul_lo_u32 v19, v20, s27
	v_mul_lo_u32 v20, v21, s26
	v_add3_u32 v17, v20, v17, v19
	v_mad_u64_u32 v[20:21], s[0:1], v10, s26, v[24:25]
	v_mul_lo_u32 v19, v10, s27
	v_mul_lo_u32 v24, v11, s26
	s_add_u32 s40, s26, -1
	v_add3_u32 v21, v24, v21, v19
	s_addc_u32 s41, s27, -1
	s_mov_b64 s[4:5], 0
                                        ; implicit-def: $sgpr38_sgpr39
.LBB343_90:                             ; =>This Inner Loop Header: Depth=1
	global_load_ubyte v19, v[16:17], off
	global_load_ubyte v24, v[20:21], off
	s_add_u32 s0, s40, -1
	s_addc_u32 s1, s41, -1
	s_cmp_eq_u64 s[40:41], 0
	s_mov_b64 s[40:41], s[0:1]
	s_cselect_b64 s[42:43], -1, 0
	v_lshl_add_u64 v[16:17], v[16:17], 0, 1
	v_lshl_add_u64 v[20:21], v[20:21], 0, 1
	s_waitcnt vmcnt(0)
	v_cmp_ne_u16_e64 s[0:1], v19, v24
	s_or_b64 s[0:1], s[0:1], s[42:43]
	s_and_b64 s[0:1], exec, s[0:1]
	v_cmp_eq_u16_e32 vcc, v19, v24
	s_or_b64 s[4:5], s[0:1], s[4:5]
	s_andn2_b64 s[0:1], s[38:39], exec
	s_and_b64 s[38:39], vcc, exec
	s_or_b64 s[38:39], s[0:1], s[38:39]
	s_andn2_b64 exec, exec, s[4:5]
	s_cbranch_execnz .LBB343_90
; %bb.91:
	s_or_b64 exec, exec, s[4:5]
	s_xor_b64 s[0:1], s[38:39], -1
.LBB343_92:
	s_and_b64 s[0:1], s[0:1], exec
.LBB343_93:
	s_or_b64 exec, exec, s[14:15]
	v_cndmask_b32_e64 v17, 0, 1, s[12:13]
	v_cndmask_b32_e64 v40, 0, 1, s[10:11]
	;; [unrolled: 1-line block ×3, first 2 shown]
	v_or_b32_e32 v22, v22, v23
.LBB343_94:
	s_mov_b64 s[10:11], -1
	s_cbranch_execnz .LBB343_39
.LBB343_95:
	s_movk_i32 s0, 0xffd0
	v_mad_i32_i24 v26, v0, s0, v26
	s_mov_b64 s[0:1], 0
	v_cmp_gt_i64_e64 s[6:7], s[26:27], 0
	s_and_b64 vcc, exec, s[36:37]
	ds_write_b64 v26, v[14:15]
	s_cbranch_vccz .LBB343_110
; %bb.96:
	v_cndmask_b32_e64 v16, 0, 1, s[6:7]
	v_cmp_ne_u32_e64 s[4:5], 1, v16
	s_andn2_b64 vcc, exec, s[6:7]
	s_cbranch_vccnz .LBB343_111
; %bb.97:
	s_waitcnt vmcnt(0) lgkmcnt(1)
	v_mov_b64_e32 v[20:21], s[28:29]
	v_mad_u64_u32 v[16:17], s[0:1], v4, s26, v[20:21]
	v_mul_lo_u32 v19, v4, s27
	v_mul_lo_u32 v22, v5, s26
	s_add_u32 s14, s26, -1
	v_add3_u32 v17, v22, v17, v19
	v_mad_u64_u32 v[20:21], s[0:1], v14, s26, v[20:21]
	v_mul_lo_u32 v19, v14, s27
	v_mul_lo_u32 v22, v15, s26
	s_addc_u32 s15, s27, -1
	v_add3_u32 v21, v22, v21, v19
	s_mov_b64 s[38:39], 0
	s_mov_b64 s[40:41], s[14:15]
	v_mov_b64_e32 v[22:23], v[16:17]
                                        ; implicit-def: $sgpr12_sgpr13
.LBB343_98:                             ; =>This Inner Loop Header: Depth=1
	global_load_ubyte v19, v[22:23], off
	global_load_ubyte v24, v[20:21], off
	s_add_u32 s0, s40, -1
	s_addc_u32 s1, s41, -1
	s_cmp_eq_u64 s[40:41], 0
	s_mov_b64 s[40:41], s[0:1]
	s_cselect_b64 s[42:43], -1, 0
	v_lshl_add_u64 v[22:23], v[22:23], 0, 1
	v_lshl_add_u64 v[20:21], v[20:21], 0, 1
	s_waitcnt vmcnt(0)
	v_cmp_ne_u16_e64 s[0:1], v19, v24
	s_or_b64 s[0:1], s[0:1], s[42:43]
	s_and_b64 s[0:1], exec, s[0:1]
	v_cmp_eq_u16_e32 vcc, v19, v24
	s_or_b64 s[38:39], s[0:1], s[38:39]
	s_andn2_b64 s[0:1], s[12:13], exec
	s_and_b64 s[12:13], vcc, exec
	s_or_b64 s[12:13], s[0:1], s[12:13]
	s_andn2_b64 exec, exec, s[38:39]
	s_cbranch_execnz .LBB343_98
; %bb.99:
	s_or_b64 exec, exec, s[38:39]
	v_mov_b64_e32 v[20:21], s[28:29]
	v_mad_u64_u32 v[20:21], s[0:1], v2, s26, v[20:21]
	v_mul_lo_u32 v19, v2, s27
	v_mul_lo_u32 v22, v3, s26
	v_add3_u32 v21, v22, v21, v19
	s_mov_b64 s[40:41], 0
	s_mov_b64 s[42:43], s[14:15]
	v_mov_b64_e32 v[22:23], v[20:21]
                                        ; implicit-def: $sgpr38_sgpr39
.LBB343_100:                            ; =>This Inner Loop Header: Depth=1
	global_load_ubyte v19, v[22:23], off
	global_load_ubyte v24, v[16:17], off
	s_add_u32 s0, s42, -1
	s_addc_u32 s1, s43, -1
	s_cmp_eq_u64 s[42:43], 0
	s_mov_b64 s[42:43], s[0:1]
	s_cselect_b64 s[44:45], -1, 0
	v_lshl_add_u64 v[22:23], v[22:23], 0, 1
	v_lshl_add_u64 v[16:17], v[16:17], 0, 1
	s_waitcnt vmcnt(0)
	v_cmp_ne_u16_e64 s[0:1], v19, v24
	s_or_b64 s[0:1], s[0:1], s[44:45]
	s_and_b64 s[0:1], exec, s[0:1]
	v_cmp_eq_u16_e32 vcc, v19, v24
	s_or_b64 s[40:41], s[0:1], s[40:41]
	s_andn2_b64 s[0:1], s[38:39], exec
	s_and_b64 s[38:39], vcc, exec
	s_or_b64 s[38:39], s[0:1], s[38:39]
	s_andn2_b64 exec, exec, s[40:41]
	s_cbranch_execnz .LBB343_100
; %bb.101:
	s_or_b64 exec, exec, s[40:41]
	v_mov_b64_e32 v[16:17], s[28:29]
	v_mad_u64_u32 v[16:17], s[0:1], v8, s26, v[16:17]
	v_mul_lo_u32 v19, v8, s27
	v_mul_lo_u32 v22, v9, s26
	v_add3_u32 v17, v22, v17, v19
	s_mov_b64 s[42:43], 0
	s_mov_b64 s[44:45], s[14:15]
	v_mov_b64_e32 v[22:23], v[16:17]
                                        ; implicit-def: $sgpr40_sgpr41
.LBB343_102:                            ; =>This Inner Loop Header: Depth=1
	global_load_ubyte v19, v[22:23], off
	global_load_ubyte v24, v[20:21], off
	s_add_u32 s0, s44, -1
	s_addc_u32 s1, s45, -1
	s_cmp_eq_u64 s[44:45], 0
	s_mov_b64 s[44:45], s[0:1]
	s_cselect_b64 s[46:47], -1, 0
	v_lshl_add_u64 v[22:23], v[22:23], 0, 1
	v_lshl_add_u64 v[20:21], v[20:21], 0, 1
	s_waitcnt vmcnt(0)
	v_cmp_ne_u16_e64 s[0:1], v19, v24
	s_or_b64 s[0:1], s[0:1], s[46:47]
	s_and_b64 s[0:1], exec, s[0:1]
	v_cmp_eq_u16_e32 vcc, v19, v24
	s_or_b64 s[42:43], s[0:1], s[42:43]
	s_andn2_b64 s[0:1], s[40:41], exec
	s_and_b64 s[40:41], vcc, exec
	s_or_b64 s[40:41], s[0:1], s[40:41]
	s_andn2_b64 exec, exec, s[42:43]
	s_cbranch_execnz .LBB343_102
; %bb.103:
	s_or_b64 exec, exec, s[42:43]
	v_mov_b64_e32 v[20:21], s[28:29]
	v_mad_u64_u32 v[20:21], s[0:1], v6, s26, v[20:21]
	v_mul_lo_u32 v19, v6, s27
	v_mul_lo_u32 v22, v7, s26
	v_add3_u32 v21, v22, v21, v19
	s_mov_b64 s[44:45], 0
	s_mov_b64 s[46:47], s[14:15]
	v_mov_b64_e32 v[22:23], v[20:21]
                                        ; implicit-def: $sgpr42_sgpr43
.LBB343_104:                            ; =>This Inner Loop Header: Depth=1
	global_load_ubyte v19, v[22:23], off
	global_load_ubyte v24, v[16:17], off
	s_add_u32 s0, s46, -1
	s_addc_u32 s1, s47, -1
	s_cmp_eq_u64 s[46:47], 0
	s_mov_b64 s[46:47], s[0:1]
	s_cselect_b64 s[48:49], -1, 0
	v_lshl_add_u64 v[22:23], v[22:23], 0, 1
	v_lshl_add_u64 v[16:17], v[16:17], 0, 1
	s_waitcnt vmcnt(0)
	v_cmp_ne_u16_e64 s[0:1], v19, v24
	s_or_b64 s[0:1], s[0:1], s[48:49]
	s_and_b64 s[0:1], exec, s[0:1]
	v_cmp_eq_u16_e32 vcc, v19, v24
	s_or_b64 s[44:45], s[0:1], s[44:45]
	s_andn2_b64 s[0:1], s[42:43], exec
	s_and_b64 s[42:43], vcc, exec
	s_or_b64 s[42:43], s[0:1], s[42:43]
	s_andn2_b64 exec, exec, s[44:45]
	s_cbranch_execnz .LBB343_104
; %bb.105:
	s_or_b64 exec, exec, s[44:45]
	v_mov_b64_e32 v[16:17], s[28:29]
	v_mad_u64_u32 v[16:17], s[0:1], v12, s26, v[16:17]
	v_mul_lo_u32 v19, v12, s27
	v_mul_lo_u32 v22, v13, s26
	v_add3_u32 v17, v22, v17, v19
	s_mov_b64 s[46:47], 0
	s_mov_b64 s[48:49], s[14:15]
	v_mov_b64_e32 v[22:23], v[16:17]
                                        ; implicit-def: $sgpr44_sgpr45
.LBB343_106:                            ; =>This Inner Loop Header: Depth=1
	global_load_ubyte v19, v[22:23], off
	global_load_ubyte v24, v[20:21], off
	s_add_u32 s0, s48, -1
	s_addc_u32 s1, s49, -1
	s_cmp_eq_u64 s[48:49], 0
	s_mov_b64 s[48:49], s[0:1]
	s_cselect_b64 s[52:53], -1, 0
	v_lshl_add_u64 v[22:23], v[22:23], 0, 1
	v_lshl_add_u64 v[20:21], v[20:21], 0, 1
	s_waitcnt vmcnt(0)
	v_cmp_ne_u16_e64 s[0:1], v19, v24
	s_or_b64 s[0:1], s[0:1], s[52:53]
	s_and_b64 s[0:1], exec, s[0:1]
	v_cmp_eq_u16_e32 vcc, v19, v24
	s_or_b64 s[46:47], s[0:1], s[46:47]
	s_andn2_b64 s[0:1], s[44:45], exec
	s_and_b64 s[44:45], vcc, exec
	s_or_b64 s[44:45], s[0:1], s[44:45]
	s_andn2_b64 exec, exec, s[46:47]
	s_cbranch_execnz .LBB343_106
; %bb.107:
	s_or_b64 exec, exec, s[46:47]
	v_mov_b64_e32 v[20:21], s[28:29]
	v_mad_u64_u32 v[20:21], s[0:1], v10, s26, v[20:21]
	v_mul_lo_u32 v19, v10, s27
	v_mul_lo_u32 v22, v11, s26
	v_add3_u32 v21, v22, v21, v19
	s_mov_b64 s[48:49], 0
                                        ; implicit-def: $sgpr46_sgpr47
.LBB343_108:                            ; =>This Inner Loop Header: Depth=1
	global_load_ubyte v19, v[20:21], off
	global_load_ubyte v22, v[16:17], off
	s_add_u32 s0, s14, -1
	s_addc_u32 s1, s15, -1
	s_cmp_eq_u64 s[14:15], 0
	s_mov_b64 s[14:15], s[0:1]
	s_cselect_b64 s[52:53], -1, 0
	v_lshl_add_u64 v[20:21], v[20:21], 0, 1
	v_lshl_add_u64 v[16:17], v[16:17], 0, 1
	s_waitcnt vmcnt(0)
	v_cmp_ne_u16_e64 s[0:1], v19, v22
	s_or_b64 s[0:1], s[0:1], s[52:53]
	s_and_b64 s[0:1], exec, s[0:1]
	v_cmp_eq_u16_e32 vcc, v19, v22
	s_or_b64 s[48:49], s[0:1], s[48:49]
	s_andn2_b64 s[0:1], s[46:47], exec
	s_and_b64 s[46:47], vcc, exec
	s_or_b64 s[46:47], s[0:1], s[46:47]
	s_andn2_b64 exec, exec, s[48:49]
	s_cbranch_execnz .LBB343_108
; %bb.109:
	s_or_b64 exec, exec, s[48:49]
	s_xor_b64 s[0:1], s[38:39], -1
	v_cndmask_b32_e64 v40, 0, 1, s[0:1]
	s_xor_b64 s[0:1], s[42:43], -1
	v_cndmask_b32_e64 v16, 0, 1, s[0:1]
	v_lshlrev_b16_e32 v16, 8, v16
	s_xor_b64 s[0:1], s[12:13], -1
	v_lshrrev_b32_e32 v16, 8, v16
	v_mov_b32_e32 v20, 1
	s_xor_b64 s[12:13], s[44:45], -1
	v_cndmask_b32_e64 v19, 0, 1, s[0:1]
	s_xor_b64 s[0:1], s[40:41], -1
	v_and_b32_sdwa v16, v16, v20 dst_sel:BYTE_1 dst_unused:UNUSED_PAD src0_sel:DWORD src1_sel:DWORD
	v_cndmask_b32_e64 v20, 0, 1, s[12:13]
	v_cndmask_b32_e64 v17, 0, 1, s[0:1]
	s_xor_b64 s[0:1], s[46:47], -1
	v_or_b32_sdwa v16, v20, v16 dst_sel:WORD_1 dst_unused:UNUSED_PAD src0_sel:DWORD src1_sel:DWORD
	s_branch .LBB343_112
.LBB343_110:
                                        ; implicit-def: $sgpr0_sgpr1
                                        ; implicit-def: $vgpr19
                                        ; implicit-def: $vgpr40
                                        ; implicit-def: $vgpr17
                                        ; implicit-def: $vgpr22
                                        ; implicit-def: $vgpr42
                                        ; implicit-def: $vgpr41
                                        ; implicit-def: $vgpr20
	s_cbranch_execnz .LBB343_119
	s_branch .LBB343_164
.LBB343_111:
	v_mov_b32_e32 v16, 0
	v_mov_b32_e32 v19, 0
	;; [unrolled: 1-line block ×4, first 2 shown]
.LBB343_112:
	v_lshrrev_b32_e32 v41, 16, v16
	s_waitcnt vmcnt(0) lgkmcnt(1)
	v_lshrrev_b32_e32 v20, 24, v16
	v_cndmask_b32_e64 v42, 0, 1, s[0:1]
	v_mov_b32_e32 v16, 1
	s_waitcnt lgkmcnt(0)
	s_barrier
                                        ; implicit-def: $sgpr0_sgpr1
                                        ; implicit-def: $vgpr22
	s_and_saveexec_b64 s[12:13], s[2:3]
	s_xor_b64 s[12:13], exec, s[12:13]
	s_cbranch_execz .LBB343_118
; %bb.113:
	v_lshlrev_b16_e32 v21, 8, v20
	s_movk_i32 s0, 0xff
	v_bitop3_b16 v21, v41, v21, s0 bitop3:0xec
	v_lshlrev_b16_e32 v22, 8, v42
	v_lshlrev_b32_e32 v21, 16, v21
	v_or_b32_e32 v22, 1, v22
	v_or_b32_sdwa v21, v22, v21 dst_sel:DWORD dst_unused:UNUSED_PAD src0_sel:WORD_0 src1_sel:DWORD
	s_mov_b32 s40, 0x3020104
	s_and_b64 vcc, exec, s[4:5]
	s_mov_b64 s[0:1], 0
	s_cbranch_vccnz .LBB343_117
; %bb.114:
	v_add_u32_e32 v22, -8, v26
	ds_read_b64 v[22:23], v22
	v_mov_b64_e32 v[24:25], s[28:29]
	s_add_u32 s38, s26, -1
	s_addc_u32 s39, s27, -1
	s_mov_b64 s[4:5], 0
	s_waitcnt lgkmcnt(0)
	v_mul_lo_u32 v27, v22, s27
	v_mul_lo_u32 v28, v23, s26
	v_mad_u64_u32 v[22:23], s[0:1], v22, s26, v[24:25]
	v_add3_u32 v23, v28, v23, v27
	v_mad_u64_u32 v[24:25], s[0:1], v10, s26, v[24:25]
	v_mul_lo_u32 v27, v10, s27
	v_mul_lo_u32 v28, v11, s26
	v_add3_u32 v25, v28, v25, v27
                                        ; implicit-def: $sgpr14_sgpr15
.LBB343_115:                            ; =>This Inner Loop Header: Depth=1
	global_load_ubyte v27, v[22:23], off
	global_load_ubyte v28, v[24:25], off
	s_add_u32 s0, s38, -1
	s_addc_u32 s1, s39, -1
	s_cmp_eq_u64 s[38:39], 0
	s_mov_b64 s[38:39], s[0:1]
	s_cselect_b64 s[42:43], -1, 0
	v_lshl_add_u64 v[22:23], v[22:23], 0, 1
	v_lshl_add_u64 v[24:25], v[24:25], 0, 1
	s_waitcnt vmcnt(0)
	v_cmp_ne_u16_e64 s[0:1], v27, v28
	s_or_b64 s[0:1], s[0:1], s[42:43]
	s_and_b64 s[0:1], exec, s[0:1]
	v_cmp_eq_u16_e32 vcc, v27, v28
	s_or_b64 s[4:5], s[0:1], s[4:5]
	s_andn2_b64 s[0:1], s[14:15], exec
	s_and_b64 s[14:15], vcc, exec
	s_or_b64 s[14:15], s[0:1], s[14:15]
	s_andn2_b64 exec, exec, s[4:5]
	s_cbranch_execnz .LBB343_115
; %bb.116:
	s_or_b64 exec, exec, s[4:5]
	s_xor_b64 s[0:1], s[14:15], -1
.LBB343_117:
	v_perm_b32 v22, v21, v21, s40
	s_or_b64 s[10:11], s[10:11], exec
.LBB343_118:
	s_or_b64 exec, exec, s[12:13]
	s_branch .LBB343_164
.LBB343_119:
	v_add_u32_e32 v16, 6, v1
	v_cmp_gt_u32_e32 vcc, s50, v16
	s_mov_b64 s[12:13], 0
	s_mov_b64 s[4:5], 0
	s_and_saveexec_b64 s[14:15], vcc
	s_cbranch_execz .LBB343_125
; %bb.120:
	s_andn2_b64 vcc, exec, s[6:7]
	s_mov_b64 s[0:1], 0
	s_cbranch_vccnz .LBB343_124
; %bb.121:
	s_waitcnt vmcnt(0) lgkmcnt(1)
	v_mov_b64_e32 v[20:21], s[28:29]
	v_mad_u64_u32 v[16:17], s[0:1], v4, s26, v[20:21]
	v_mul_lo_u32 v19, v4, s27
	v_mul_lo_u32 v22, v5, s26
	v_add3_u32 v17, v22, v17, v19
	v_mad_u64_u32 v[20:21], s[0:1], v14, s26, v[20:21]
	v_mul_lo_u32 v19, v14, s27
	v_mul_lo_u32 v22, v15, s26
	s_add_u32 s40, s26, -1
	v_add3_u32 v21, v22, v21, v19
	s_addc_u32 s41, s27, -1
                                        ; implicit-def: $sgpr38_sgpr39
.LBB343_122:                            ; =>This Inner Loop Header: Depth=1
	global_load_ubyte v19, v[16:17], off
	global_load_ubyte v22, v[20:21], off
	s_add_u32 s0, s40, -1
	s_addc_u32 s1, s41, -1
	s_cmp_eq_u64 s[40:41], 0
	s_mov_b64 s[40:41], s[0:1]
	s_cselect_b64 s[42:43], -1, 0
	v_lshl_add_u64 v[16:17], v[16:17], 0, 1
	v_lshl_add_u64 v[20:21], v[20:21], 0, 1
	s_waitcnt vmcnt(0)
	v_cmp_ne_u16_e64 s[0:1], v19, v22
	s_or_b64 s[0:1], s[0:1], s[42:43]
	s_and_b64 s[0:1], exec, s[0:1]
	v_cmp_eq_u16_e32 vcc, v19, v22
	s_or_b64 s[4:5], s[0:1], s[4:5]
	s_andn2_b64 s[0:1], s[38:39], exec
	s_and_b64 s[38:39], vcc, exec
	s_or_b64 s[38:39], s[0:1], s[38:39]
	s_andn2_b64 exec, exec, s[4:5]
	s_cbranch_execnz .LBB343_122
; %bb.123:
	s_or_b64 exec, exec, s[4:5]
	s_xor_b64 s[0:1], s[38:39], -1
.LBB343_124:
	s_and_b64 s[4:5], s[0:1], exec
.LBB343_125:
	s_or_b64 exec, exec, s[14:15]
	v_add_u32_e32 v16, 5, v1
	v_cmp_gt_u32_e32 vcc, s50, v16
	s_and_saveexec_b64 s[14:15], vcc
	s_cbranch_execz .LBB343_131
; %bb.126:
	s_andn2_b64 vcc, exec, s[6:7]
	s_mov_b64 s[0:1], 0
	s_cbranch_vccnz .LBB343_130
; %bb.127:
	s_waitcnt vmcnt(0) lgkmcnt(1)
	v_mov_b64_e32 v[20:21], s[28:29]
	v_mad_u64_u32 v[16:17], s[0:1], v2, s26, v[20:21]
	v_mul_lo_u32 v19, v2, s27
	v_mul_lo_u32 v22, v3, s26
	v_add3_u32 v17, v22, v17, v19
	v_mad_u64_u32 v[20:21], s[0:1], v4, s26, v[20:21]
	v_mul_lo_u32 v19, v4, s27
	v_mul_lo_u32 v22, v5, s26
	s_add_u32 s40, s26, -1
	v_add3_u32 v21, v22, v21, v19
	s_addc_u32 s41, s27, -1
	s_mov_b64 s[12:13], 0
                                        ; implicit-def: $sgpr38_sgpr39
.LBB343_128:                            ; =>This Inner Loop Header: Depth=1
	global_load_ubyte v19, v[16:17], off
	global_load_ubyte v22, v[20:21], off
	s_add_u32 s0, s40, -1
	s_addc_u32 s1, s41, -1
	s_cmp_eq_u64 s[40:41], 0
	s_mov_b64 s[40:41], s[0:1]
	s_cselect_b64 s[42:43], -1, 0
	v_lshl_add_u64 v[16:17], v[16:17], 0, 1
	v_lshl_add_u64 v[20:21], v[20:21], 0, 1
	s_waitcnt vmcnt(0)
	v_cmp_ne_u16_e64 s[0:1], v19, v22
	s_or_b64 s[0:1], s[0:1], s[42:43]
	s_and_b64 s[0:1], exec, s[0:1]
	v_cmp_eq_u16_e32 vcc, v19, v22
	s_or_b64 s[12:13], s[0:1], s[12:13]
	s_andn2_b64 s[0:1], s[38:39], exec
	s_and_b64 s[38:39], vcc, exec
	s_or_b64 s[38:39], s[0:1], s[38:39]
	s_andn2_b64 exec, exec, s[12:13]
	s_cbranch_execnz .LBB343_128
; %bb.129:
	s_or_b64 exec, exec, s[12:13]
	s_xor_b64 s[0:1], s[38:39], -1
.LBB343_130:
	s_and_b64 s[12:13], s[0:1], exec
.LBB343_131:
	s_or_b64 exec, exec, s[14:15]
	v_add_u32_e32 v16, 4, v1
	v_cmp_gt_u32_e32 vcc, s50, v16
	s_mov_b64 s[14:15], 0
	s_mov_b64 s[38:39], 0
	s_and_saveexec_b64 s[40:41], vcc
	s_cbranch_execz .LBB343_137
; %bb.132:
	s_andn2_b64 vcc, exec, s[6:7]
	s_mov_b64 s[0:1], 0
	s_cbranch_vccnz .LBB343_136
; %bb.133:
	s_waitcnt vmcnt(0) lgkmcnt(1)
	v_mov_b64_e32 v[20:21], s[28:29]
	v_mad_u64_u32 v[16:17], s[0:1], v8, s26, v[20:21]
	v_mul_lo_u32 v19, v8, s27
	v_mul_lo_u32 v22, v9, s26
	v_add3_u32 v17, v22, v17, v19
	v_mad_u64_u32 v[20:21], s[0:1], v2, s26, v[20:21]
	v_mul_lo_u32 v19, v2, s27
	v_mul_lo_u32 v22, v3, s26
	s_add_u32 s44, s26, -1
	v_add3_u32 v21, v22, v21, v19
	s_addc_u32 s45, s27, -1
                                        ; implicit-def: $sgpr42_sgpr43
.LBB343_134:                            ; =>This Inner Loop Header: Depth=1
	global_load_ubyte v19, v[16:17], off
	global_load_ubyte v22, v[20:21], off
	s_add_u32 s0, s44, -1
	s_addc_u32 s1, s45, -1
	s_cmp_eq_u64 s[44:45], 0
	s_mov_b64 s[44:45], s[0:1]
	s_cselect_b64 s[46:47], -1, 0
	v_lshl_add_u64 v[16:17], v[16:17], 0, 1
	v_lshl_add_u64 v[20:21], v[20:21], 0, 1
	s_waitcnt vmcnt(0)
	v_cmp_ne_u16_e64 s[0:1], v19, v22
	s_or_b64 s[0:1], s[0:1], s[46:47]
	s_and_b64 s[0:1], exec, s[0:1]
	v_cmp_eq_u16_e32 vcc, v19, v22
	s_or_b64 s[38:39], s[0:1], s[38:39]
	s_andn2_b64 s[0:1], s[42:43], exec
	s_and_b64 s[42:43], vcc, exec
	s_or_b64 s[42:43], s[0:1], s[42:43]
	s_andn2_b64 exec, exec, s[38:39]
	s_cbranch_execnz .LBB343_134
; %bb.135:
	s_or_b64 exec, exec, s[38:39]
	s_xor_b64 s[0:1], s[42:43], -1
.LBB343_136:
	s_and_b64 s[38:39], s[0:1], exec
.LBB343_137:
	s_or_b64 exec, exec, s[40:41]
	v_add_u32_e32 v16, 3, v1
	v_cmp_gt_u32_e32 vcc, s50, v16
	s_and_saveexec_b64 s[40:41], vcc
	s_cbranch_execz .LBB343_143
; %bb.138:
	s_andn2_b64 vcc, exec, s[6:7]
	s_mov_b64 s[0:1], 0
	s_cbranch_vccnz .LBB343_142
; %bb.139:
	s_waitcnt vmcnt(0) lgkmcnt(1)
	v_mov_b64_e32 v[20:21], s[28:29]
	v_mad_u64_u32 v[16:17], s[0:1], v6, s26, v[20:21]
	v_mul_lo_u32 v19, v6, s27
	v_mul_lo_u32 v22, v7, s26
	v_add3_u32 v17, v22, v17, v19
	v_mad_u64_u32 v[20:21], s[0:1], v8, s26, v[20:21]
	v_mul_lo_u32 v19, v8, s27
	v_mul_lo_u32 v22, v9, s26
	s_add_u32 s44, s26, -1
	v_add3_u32 v21, v22, v21, v19
	s_addc_u32 s45, s27, -1
	s_mov_b64 s[14:15], 0
                                        ; implicit-def: $sgpr42_sgpr43
.LBB343_140:                            ; =>This Inner Loop Header: Depth=1
	global_load_ubyte v19, v[16:17], off
	global_load_ubyte v22, v[20:21], off
	s_add_u32 s0, s44, -1
	s_addc_u32 s1, s45, -1
	s_cmp_eq_u64 s[44:45], 0
	s_mov_b64 s[44:45], s[0:1]
	s_cselect_b64 s[46:47], -1, 0
	v_lshl_add_u64 v[16:17], v[16:17], 0, 1
	v_lshl_add_u64 v[20:21], v[20:21], 0, 1
	s_waitcnt vmcnt(0)
	v_cmp_ne_u16_e64 s[0:1], v19, v22
	s_or_b64 s[0:1], s[0:1], s[46:47]
	s_and_b64 s[0:1], exec, s[0:1]
	v_cmp_eq_u16_e32 vcc, v19, v22
	s_or_b64 s[14:15], s[0:1], s[14:15]
	s_andn2_b64 s[0:1], s[42:43], exec
	s_and_b64 s[42:43], vcc, exec
	s_or_b64 s[42:43], s[0:1], s[42:43]
	s_andn2_b64 exec, exec, s[14:15]
	s_cbranch_execnz .LBB343_140
; %bb.141:
	s_or_b64 exec, exec, s[14:15]
	s_xor_b64 s[0:1], s[42:43], -1
.LBB343_142:
	s_and_b64 s[14:15], s[0:1], exec
.LBB343_143:
	s_or_b64 exec, exec, s[40:41]
	v_add_u32_e32 v16, 2, v1
	v_cmp_gt_u32_e32 vcc, s50, v16
	s_mov_b64 s[40:41], 0
	s_mov_b64 s[42:43], 0
	s_and_saveexec_b64 s[44:45], vcc
	s_cbranch_execz .LBB343_149
; %bb.144:
	s_andn2_b64 vcc, exec, s[6:7]
	s_mov_b64 s[0:1], 0
	s_cbranch_vccnz .LBB343_148
; %bb.145:
	s_waitcnt vmcnt(0) lgkmcnt(1)
	v_mov_b64_e32 v[20:21], s[28:29]
	v_mad_u64_u32 v[16:17], s[0:1], v12, s26, v[20:21]
	v_mul_lo_u32 v19, v12, s27
	v_mul_lo_u32 v22, v13, s26
	v_add3_u32 v17, v22, v17, v19
	v_mad_u64_u32 v[20:21], s[0:1], v6, s26, v[20:21]
	v_mul_lo_u32 v19, v6, s27
	v_mul_lo_u32 v22, v7, s26
	s_add_u32 s48, s26, -1
	v_add3_u32 v21, v22, v21, v19
	s_addc_u32 s49, s27, -1
                                        ; implicit-def: $sgpr46_sgpr47
.LBB343_146:                            ; =>This Inner Loop Header: Depth=1
	global_load_ubyte v19, v[16:17], off
	global_load_ubyte v22, v[20:21], off
	s_add_u32 s0, s48, -1
	s_addc_u32 s1, s49, -1
	s_cmp_eq_u64 s[48:49], 0
	s_mov_b64 s[48:49], s[0:1]
	s_cselect_b64 s[52:53], -1, 0
	v_lshl_add_u64 v[16:17], v[16:17], 0, 1
	v_lshl_add_u64 v[20:21], v[20:21], 0, 1
	s_waitcnt vmcnt(0)
	v_cmp_ne_u16_e64 s[0:1], v19, v22
	s_or_b64 s[0:1], s[0:1], s[52:53]
	s_and_b64 s[0:1], exec, s[0:1]
	v_cmp_eq_u16_e32 vcc, v19, v22
	s_or_b64 s[42:43], s[0:1], s[42:43]
	s_andn2_b64 s[0:1], s[46:47], exec
	s_and_b64 s[46:47], vcc, exec
	s_or_b64 s[46:47], s[0:1], s[46:47]
	s_andn2_b64 exec, exec, s[42:43]
	s_cbranch_execnz .LBB343_146
; %bb.147:
	s_or_b64 exec, exec, s[42:43]
	s_xor_b64 s[0:1], s[46:47], -1
.LBB343_148:
	s_and_b64 s[42:43], s[0:1], exec
.LBB343_149:
	s_or_b64 exec, exec, s[44:45]
	v_add_u32_e32 v16, 1, v1
	v_cmp_gt_u32_e32 vcc, s50, v16
	s_and_saveexec_b64 s[44:45], vcc
	s_cbranch_execz .LBB343_155
; %bb.150:
	s_andn2_b64 vcc, exec, s[6:7]
	s_mov_b64 s[0:1], 0
	s_cbranch_vccnz .LBB343_154
; %bb.151:
	s_waitcnt vmcnt(0) lgkmcnt(1)
	v_mov_b64_e32 v[20:21], s[28:29]
	v_mad_u64_u32 v[16:17], s[0:1], v10, s26, v[20:21]
	v_mul_lo_u32 v19, v10, s27
	v_mul_lo_u32 v22, v11, s26
	v_add3_u32 v17, v22, v17, v19
	v_mad_u64_u32 v[20:21], s[0:1], v12, s26, v[20:21]
	v_mul_lo_u32 v19, v12, s27
	v_mul_lo_u32 v22, v13, s26
	s_add_u32 s48, s26, -1
	v_add3_u32 v21, v22, v21, v19
	s_addc_u32 s49, s27, -1
	s_mov_b64 s[40:41], 0
                                        ; implicit-def: $sgpr46_sgpr47
.LBB343_152:                            ; =>This Inner Loop Header: Depth=1
	global_load_ubyte v19, v[16:17], off
	global_load_ubyte v22, v[20:21], off
	s_add_u32 s0, s48, -1
	s_addc_u32 s1, s49, -1
	s_cmp_eq_u64 s[48:49], 0
	s_mov_b64 s[48:49], s[0:1]
	s_cselect_b64 s[52:53], -1, 0
	v_lshl_add_u64 v[16:17], v[16:17], 0, 1
	v_lshl_add_u64 v[20:21], v[20:21], 0, 1
	s_waitcnt vmcnt(0)
	v_cmp_ne_u16_e64 s[0:1], v19, v22
	s_or_b64 s[0:1], s[0:1], s[52:53]
	s_and_b64 s[0:1], exec, s[0:1]
	v_cmp_eq_u16_e32 vcc, v19, v22
	s_or_b64 s[40:41], s[0:1], s[40:41]
	s_andn2_b64 s[0:1], s[46:47], exec
	s_and_b64 s[46:47], vcc, exec
	s_or_b64 s[46:47], s[0:1], s[46:47]
	s_andn2_b64 exec, exec, s[40:41]
	s_cbranch_execnz .LBB343_152
; %bb.153:
	s_or_b64 exec, exec, s[40:41]
	s_xor_b64 s[0:1], s[46:47], -1
.LBB343_154:
	s_and_b64 s[40:41], s[0:1], exec
.LBB343_155:
	s_or_b64 exec, exec, s[44:45]
	v_cndmask_b32_e64 v17, 0, 1, s[38:39]
	v_cndmask_b32_e64 v40, 0, 1, s[12:13]
	v_cndmask_b32_e64 v19, 0, 1, s[4:5]
	v_cndmask_b32_e64 v41, 0, 1, s[42:43]
	s_waitcnt vmcnt(0) lgkmcnt(1)
	v_cndmask_b32_e64 v20, 0, 1, s[14:15]
	v_cndmask_b32_e64 v42, 0, 1, s[40:41]
	v_mov_b32_e32 v16, 1
	s_waitcnt lgkmcnt(0)
	s_barrier
                                        ; implicit-def: $sgpr0_sgpr1
                                        ; implicit-def: $vgpr22
	s_and_saveexec_b64 s[4:5], s[2:3]
	s_cbranch_execz .LBB343_163
; %bb.156:
	v_lshlrev_b16_e32 v21, 8, v42
	v_lshlrev_b16_e32 v22, 8, v20
	v_or_b32_e32 v21, 1, v21
	v_or_b32_sdwa v22, v41, v22 dst_sel:WORD_1 dst_unused:UNUSED_PAD src0_sel:DWORD src1_sel:DWORD
	v_cmp_gt_u32_e32 vcc, s50, v1
	v_or_b32_sdwa v21, v21, v22 dst_sel:DWORD dst_unused:UNUSED_PAD src0_sel:WORD_0 src1_sel:DWORD
	s_mov_b32 s38, 0x3020104
	s_mov_b64 s[0:1], 0
	s_and_saveexec_b64 s[2:3], vcc
	s_cbranch_execz .LBB343_162
; %bb.157:
	s_andn2_b64 vcc, exec, s[6:7]
	s_cbranch_vccnz .LBB343_161
; %bb.158:
	v_add_u32_e32 v22, -8, v26
	ds_read_b64 v[22:23], v22
	v_mov_b64_e32 v[24:25], s[28:29]
	s_add_u32 s14, s26, -1
	s_addc_u32 s15, s27, -1
	s_mov_b64 s[6:7], 0
	s_waitcnt lgkmcnt(0)
	v_mul_lo_u32 v26, v22, s27
	v_mul_lo_u32 v27, v23, s26
	v_mad_u64_u32 v[22:23], s[0:1], v22, s26, v[24:25]
	v_add3_u32 v23, v27, v23, v26
	v_mad_u64_u32 v[24:25], s[0:1], v10, s26, v[24:25]
	v_mul_lo_u32 v26, v10, s27
	v_mul_lo_u32 v27, v11, s26
	v_add3_u32 v25, v27, v25, v26
                                        ; implicit-def: $sgpr12_sgpr13
.LBB343_159:                            ; =>This Inner Loop Header: Depth=1
	global_load_ubyte v26, v[22:23], off
	global_load_ubyte v27, v[24:25], off
	s_add_u32 s0, s14, -1
	s_addc_u32 s1, s15, -1
	s_cmp_eq_u64 s[14:15], 0
	s_mov_b64 s[14:15], s[0:1]
	s_cselect_b64 s[26:27], -1, 0
	v_lshl_add_u64 v[22:23], v[22:23], 0, 1
	v_lshl_add_u64 v[24:25], v[24:25], 0, 1
	s_waitcnt vmcnt(0)
	v_cmp_ne_u16_e64 s[0:1], v26, v27
	s_or_b64 s[0:1], s[0:1], s[26:27]
	s_and_b64 s[0:1], exec, s[0:1]
	v_cmp_eq_u16_e32 vcc, v26, v27
	s_or_b64 s[6:7], s[0:1], s[6:7]
	s_andn2_b64 s[0:1], s[12:13], exec
	s_and_b64 s[12:13], vcc, exec
	s_or_b64 s[12:13], s[0:1], s[12:13]
	s_andn2_b64 exec, exec, s[6:7]
	s_cbranch_execnz .LBB343_159
; %bb.160:
	s_or_b64 exec, exec, s[6:7]
	s_xor_b64 s[0:1], s[12:13], -1
.LBB343_161:
	s_and_b64 s[0:1], s[0:1], exec
.LBB343_162:
	s_or_b64 exec, exec, s[2:3]
	v_perm_b32 v22, v21, v21, s38
	s_or_b64 s[10:11], s[10:11], exec
.LBB343_163:
	s_or_b64 exec, exec, s[4:5]
.LBB343_164:
	s_and_saveexec_b64 s[2:3], s[10:11]
	s_cbranch_execz .LBB343_166
; %bb.165:
	s_waitcnt vmcnt(0) lgkmcnt(0)
	v_lshrrev_b32_e32 v20, 24, v22
	v_lshrrev_b32_e32 v41, 16, v22
	;; [unrolled: 1-line block ×3, first 2 shown]
	v_cndmask_b32_e64 v16, 0, 1, s[0:1]
.LBB343_166:
	s_or_b64 exec, exec, s[2:3]
	s_andn2_b64 vcc, exec, s[8:9]
	s_cbranch_vccnz .LBB343_170
; %bb.167:
	s_mov_b32 s0, 0xc0c0004
	s_waitcnt vmcnt(0) lgkmcnt(0)
	v_perm_b32 v20, v41, v20, s0
	v_perm_b32 v16, v16, v42, s0
	v_lshlrev_b32_e32 v20, 16, v20
	v_or_b32_e32 v16, v16, v20
	v_cmp_gt_u32_e32 vcc, s50, v1
	v_add_u32_e32 v22, 1, v1
	v_perm_b32 v17, v17, v40, s0
	v_cndmask_b32_e32 v20, v20, v16, vcc
	v_and_b32_e32 v20, 0xffff00ff, v20
	v_cmp_gt_u32_e32 vcc, s50, v22
	v_add_u32_e32 v22, 2, v1
	s_mov_b32 s0, 0x40c0100
	v_cndmask_b32_e32 v20, v20, v16, vcc
	v_lshrrev_b32_e32 v23, 24, v20
	v_and_b32_e32 v19, 0xff, v19
	v_perm_b32 v20, v23, v20, s0
	v_cmp_gt_u32_e32 vcc, s50, v22
	v_lshlrev_b32_e32 v19, 16, v19
	v_add_u32_e32 v22, 3, v1
	v_cndmask_b32_e32 v20, v20, v16, vcc
	s_mov_b32 s0, 0xffff00
	v_or_b32_e32 v21, v17, v19
	v_and_b32_e32 v20, 0xffffff, v20
	v_cmp_gt_u32_e32 vcc, s50, v22
	v_bitop3_b32 v17, v17, s0, v19 bitop3:0xc8
	v_add_u32_e32 v19, 4, v1
	v_cndmask_b32_e32 v20, v20, v16, vcc
	v_cmp_gt_u32_e32 vcc, s50, v19
	v_add_u32_e32 v19, 5, v1
	v_cmp_gt_u32_e64 s[0:1], s50, v19
	v_cndmask_b32_e32 v17, v17, v21, vcc
	v_and_b32_e32 v17, 0xffff00ff, v17
	s_or_b64 vcc, s[0:1], vcc
	v_cndmask_b32_e64 v17, v17, v21, s[0:1]
	v_cndmask_b32_e32 v16, v20, v16, vcc
	v_add_u32_e32 v1, 6, v1
	v_lshrrev_b32_e32 v41, 16, v16
	v_lshrrev_b32_e32 v42, 8, v16
	v_lshrrev_b64 v[20:21], 24, v[16:17]
	v_lshrrev_b32_e32 v19, 16, v17
	v_lshrrev_b32_e32 v40, 8, v17
	v_cmp_le_u32_e32 vcc, s50, v1
	s_and_saveexec_b64 s[0:1], vcc
; %bb.168:
	v_mov_b32_e32 v19, 0
; %bb.169:
	s_or_b64 exec, exec, s[0:1]
.LBB343_170:
	v_and_b32_e32 v1, 0xff, v16
	s_waitcnt vmcnt(0) lgkmcnt(0)
	v_and_b32_e32 v21, 0xff, v42
	v_and_b32_e32 v33, 0xff, v41
	;; [unrolled: 1-line block ×4, first 2 shown]
	v_add3_u32 v23, v21, v1, v33
	v_and_b32_e32 v39, 0xff, v40
	v_and_b32_e32 v22, 0xff, v19
	v_add3_u32 v23, v23, v35, v37
	v_add3_u32 v45, v23, v39, v22
	v_mbcnt_lo_u32_b32 v22, -1, 0
	v_mbcnt_hi_u32_b32 v43, -1, v22
	v_and_b32_e32 v22, 15, v43
	v_cmp_eq_u32_e64 s[14:15], 0, v22
	v_cmp_lt_u32_e64 s[12:13], 1, v22
	v_cmp_lt_u32_e64 s[10:11], 3, v22
	;; [unrolled: 1-line block ×3, first 2 shown]
	v_and_b32_e32 v22, 16, v43
	v_cmp_eq_u32_e64 s[6:7], 0, v22
	v_or_b32_e32 v22, 63, v0
	v_cmp_lt_u32_e64 s[2:3], 31, v43
	v_lshrrev_b32_e32 v44, 6, v0
	v_cmp_eq_u32_e64 s[4:5], v0, v22
	s_and_b64 vcc, exec, s[16:17]
	s_barrier
	s_cbranch_vccz .LBB343_192
; %bb.171:
	v_mov_b32_dpp v22, v45 row_shr:1 row_mask:0xf bank_mask:0xf
	v_cndmask_b32_e64 v22, v22, 0, s[14:15]
	v_add_u32_e32 v22, v22, v45
	s_nop 1
	v_mov_b32_dpp v23, v22 row_shr:2 row_mask:0xf bank_mask:0xf
	v_cndmask_b32_e64 v23, 0, v23, s[12:13]
	v_add_u32_e32 v22, v22, v23
	s_nop 1
	;; [unrolled: 4-line block ×4, first 2 shown]
	v_mov_b32_dpp v23, v22 row_bcast:15 row_mask:0xf bank_mask:0xf
	v_cndmask_b32_e64 v23, v23, 0, s[6:7]
	v_add_u32_e32 v22, v22, v23
	s_nop 1
	v_mov_b32_dpp v23, v22 row_bcast:31 row_mask:0xf bank_mask:0xf
	v_cndmask_b32_e64 v23, 0, v23, s[2:3]
	v_add_u32_e32 v22, v22, v23
	s_and_saveexec_b64 s[0:1], s[4:5]
; %bb.172:
	v_lshlrev_b32_e32 v23, 2, v44
	ds_write_b32 v23, v22
; %bb.173:
	s_or_b64 exec, exec, s[0:1]
	v_cmp_gt_u32_e32 vcc, 8, v0
	s_waitcnt lgkmcnt(0)
	s_barrier
	s_and_saveexec_b64 s[0:1], vcc
	s_cbranch_execz .LBB343_175
; %bb.174:
	v_lshlrev_b32_e32 v23, 2, v0
	ds_read_b32 v24, v23
	v_and_b32_e32 v25, 7, v43
	v_cmp_ne_u32_e32 vcc, 0, v25
	s_waitcnt lgkmcnt(0)
	v_mov_b32_dpp v26, v24 row_shr:1 row_mask:0xf bank_mask:0xf
	v_cndmask_b32_e32 v26, 0, v26, vcc
	v_add_u32_e32 v24, v26, v24
	v_cmp_lt_u32_e32 vcc, 1, v25
	s_nop 0
	v_mov_b32_dpp v26, v24 row_shr:2 row_mask:0xf bank_mask:0xf
	v_cndmask_b32_e32 v26, 0, v26, vcc
	v_add_u32_e32 v24, v24, v26
	v_cmp_lt_u32_e32 vcc, 3, v25
	s_nop 0
	v_mov_b32_dpp v26, v24 row_shr:4 row_mask:0xf bank_mask:0xf
	v_cndmask_b32_e32 v25, 0, v26, vcc
	v_add_u32_e32 v24, v24, v25
	ds_write_b32 v23, v24
.LBB343_175:
	s_or_b64 exec, exec, s[0:1]
	v_cmp_gt_u32_e32 vcc, 64, v0
	v_cmp_lt_u32_e64 s[0:1], 63, v0
	s_waitcnt lgkmcnt(0)
	s_barrier
                                        ; implicit-def: $vgpr32
	s_and_saveexec_b64 s[16:17], s[0:1]
	s_cbranch_execz .LBB343_177
; %bb.176:
	v_lshl_add_u32 v23, v44, 2, -4
	ds_read_b32 v32, v23
	s_waitcnt lgkmcnt(0)
	v_add_u32_e32 v22, v32, v22
.LBB343_177:
	s_or_b64 exec, exec, s[16:17]
	v_subrev_co_u32_e64 v23, s[16:17], 1, v43
	v_and_b32_e32 v24, 64, v43
	v_cmp_lt_i32_e64 s[0:1], v23, v24
	s_nop 1
	v_cndmask_b32_e64 v23, v23, v43, s[0:1]
	v_lshlrev_b32_e32 v23, 2, v23
	ds_bpermute_b32 v34, v23, v22
	s_and_saveexec_b64 s[0:1], vcc
	s_cbranch_execz .LBB343_197
; %bb.178:
	v_mov_b32_e32 v29, 0
	ds_read_b32 v22, v29 offset:28
	s_and_saveexec_b64 s[26:27], s[16:17]
	s_cbranch_execz .LBB343_180
; %bb.179:
	s_add_i32 s28, s33, 64
	s_mov_b32 s29, 0
	s_lshl_b64 s[28:29], s[28:29], 3
	s_add_u32 s28, s30, s28
	v_mov_b32_e32 v23, 1
	s_addc_u32 s29, s31, s29
	s_waitcnt lgkmcnt(0)
	global_store_dwordx2 v29, v[22:23], s[28:29] sc1
.LBB343_180:
	s_or_b64 exec, exec, s[26:27]
	v_xad_u32 v24, v43, -1, s33
	v_add_u32_e32 v28, 64, v24
	v_lshl_add_u64 v[30:31], v[28:29], 3, s[30:31]
	global_load_dwordx2 v[26:27], v[30:31], off sc1
	s_waitcnt vmcnt(0)
	v_cmp_eq_u16_sdwa s[28:29], v27, v29 src0_sel:BYTE_0 src1_sel:DWORD
	s_and_saveexec_b64 s[26:27], s[28:29]
	s_cbranch_execz .LBB343_184
; %bb.181:
	s_mov_b64 s[28:29], 0
	v_mov_b32_e32 v23, 0
.LBB343_182:                            ; =>This Inner Loop Header: Depth=1
	global_load_dwordx2 v[26:27], v[30:31], off sc1
	s_waitcnt vmcnt(0)
	v_cmp_ne_u16_sdwa s[38:39], v27, v23 src0_sel:BYTE_0 src1_sel:DWORD
	s_or_b64 s[28:29], s[38:39], s[28:29]
	s_andn2_b64 exec, exec, s[28:29]
	s_cbranch_execnz .LBB343_182
; %bb.183:
	s_or_b64 exec, exec, s[28:29]
.LBB343_184:
	s_or_b64 exec, exec, s[26:27]
	v_and_b32_e32 v38, 63, v43
	v_mov_b32_e32 v36, 2
	v_cmp_ne_u32_e32 vcc, 63, v38
	v_cmp_eq_u16_sdwa s[26:27], v27, v36 src0_sel:BYTE_0 src1_sel:DWORD
	v_lshlrev_b64 v[28:29], v43, -1
	v_addc_co_u32_e32 v30, vcc, 0, v43, vcc
	v_and_b32_e32 v23, s27, v29
	v_lshlrev_b32_e32 v46, 2, v30
	v_or_b32_e32 v23, 0x80000000, v23
	ds_bpermute_b32 v30, v46, v26
	v_and_b32_e32 v25, s26, v28
	v_ffbl_b32_e32 v23, v23
	v_add_u32_e32 v23, 32, v23
	v_ffbl_b32_e32 v25, v25
	v_min_u32_e32 v23, v25, v23
	v_cmp_lt_u32_e32 vcc, v38, v23
	v_add_u32_e32 v48, 2, v38
	v_add_u32_e32 v50, 4, v38
	s_waitcnt lgkmcnt(0)
	v_cndmask_b32_e32 v25, 0, v30, vcc
	v_cmp_gt_u32_e32 vcc, 62, v38
	v_add_u32_e32 v25, v25, v26
	v_add_u32_e32 v52, 8, v38
	v_cndmask_b32_e64 v26, 0, 2, vcc
	v_add_lshl_u32 v47, v26, v43, 2
	ds_bpermute_b32 v26, v47, v25
	v_cmp_le_u32_e32 vcc, v48, v23
	v_add_u32_e32 v54, 16, v38
	v_add_u32_e32 v56, 32, v38
	s_waitcnt lgkmcnt(0)
	v_cndmask_b32_e32 v26, 0, v26, vcc
	v_cmp_gt_u32_e32 vcc, 60, v38
	v_add_u32_e32 v25, v25, v26
	s_nop 0
	v_cndmask_b32_e64 v26, 0, 4, vcc
	v_add_lshl_u32 v49, v26, v43, 2
	ds_bpermute_b32 v26, v49, v25
	v_cmp_le_u32_e32 vcc, v50, v23
	s_waitcnt lgkmcnt(0)
	s_nop 0
	v_cndmask_b32_e32 v26, 0, v26, vcc
	v_cmp_gt_u32_e32 vcc, 56, v38
	v_add_u32_e32 v25, v25, v26
	s_nop 0
	v_cndmask_b32_e64 v26, 0, 8, vcc
	v_add_lshl_u32 v51, v26, v43, 2
	ds_bpermute_b32 v26, v51, v25
	v_cmp_le_u32_e32 vcc, v52, v23
	s_waitcnt lgkmcnt(0)
	s_nop 0
	;; [unrolled: 10-line block ×3, first 2 shown]
	v_cndmask_b32_e32 v26, 0, v26, vcc
	v_add_u32_e32 v25, v25, v26
	v_mov_b32_e32 v26, 0x80
	v_lshl_or_b32 v55, v43, 2, v26
	ds_bpermute_b32 v26, v55, v25
	v_cmp_le_u32_e32 vcc, v56, v23
	s_waitcnt lgkmcnt(0)
	s_nop 0
	v_cndmask_b32_e32 v23, 0, v26, vcc
	v_add_u32_e32 v26, v25, v23
	v_mov_b32_e32 v25, 0
	s_branch .LBB343_187
.LBB343_185:                            ;   in Loop: Header=BB343_187 Depth=1
	s_or_b64 exec, exec, s[26:27]
	v_cmp_eq_u16_sdwa s[26:27], v27, v36 src0_sel:BYTE_0 src1_sel:DWORD
	ds_bpermute_b32 v57, v46, v26
	v_subrev_u32_e32 v24, 64, v24
	v_and_b32_e32 v30, s27, v29
	v_or_b32_e32 v30, 0x80000000, v30
	v_and_b32_e32 v31, s26, v28
	v_ffbl_b32_e32 v30, v30
	v_add_u32_e32 v30, 32, v30
	v_ffbl_b32_e32 v31, v31
	v_min_u32_e32 v30, v31, v30
	v_cmp_lt_u32_e32 vcc, v38, v30
	s_mov_b64 s[26:27], 0
	s_waitcnt lgkmcnt(0)
	v_cndmask_b32_e32 v31, 0, v57, vcc
	v_add_u32_e32 v26, v31, v26
	ds_bpermute_b32 v31, v47, v26
	v_cmp_le_u32_e32 vcc, v48, v30
	s_waitcnt lgkmcnt(0)
	s_nop 0
	v_cndmask_b32_e32 v31, 0, v31, vcc
	v_add_u32_e32 v26, v26, v31
	ds_bpermute_b32 v31, v49, v26
	v_cmp_le_u32_e32 vcc, v50, v30
	s_waitcnt lgkmcnt(0)
	s_nop 0
	;; [unrolled: 6-line block ×5, first 2 shown]
	v_cndmask_b32_e32 v30, 0, v31, vcc
	v_add3_u32 v26, v30, v23, v26
.LBB343_186:                            ;   in Loop: Header=BB343_187 Depth=1
	s_and_b64 vcc, exec, s[26:27]
	s_cbranch_vccnz .LBB343_193
.LBB343_187:                            ; =>This Loop Header: Depth=1
                                        ;     Child Loop BB343_190 Depth 2
	v_cmp_ne_u16_sdwa s[26:27], v27, v36 src0_sel:BYTE_0 src1_sel:DWORD
	v_mov_b32_e32 v23, v26
	s_cmp_lg_u64 s[26:27], exec
	s_mov_b64 s[26:27], -1
                                        ; implicit-def: $vgpr26
                                        ; implicit-def: $vgpr27
	s_cbranch_scc1 .LBB343_186
; %bb.188:                              ;   in Loop: Header=BB343_187 Depth=1
	v_lshl_add_u64 v[30:31], v[24:25], 3, s[30:31]
	global_load_dwordx2 v[26:27], v[30:31], off sc1
	s_waitcnt vmcnt(0)
	v_cmp_eq_u16_sdwa s[28:29], v27, v25 src0_sel:BYTE_0 src1_sel:DWORD
	s_and_saveexec_b64 s[26:27], s[28:29]
	s_cbranch_execz .LBB343_185
; %bb.189:                              ;   in Loop: Header=BB343_187 Depth=1
	s_mov_b64 s[28:29], 0
.LBB343_190:                            ;   Parent Loop BB343_187 Depth=1
                                        ; =>  This Inner Loop Header: Depth=2
	global_load_dwordx2 v[26:27], v[30:31], off sc1
	s_waitcnt vmcnt(0)
	v_cmp_ne_u16_sdwa s[38:39], v27, v25 src0_sel:BYTE_0 src1_sel:DWORD
	s_or_b64 s[28:29], s[38:39], s[28:29]
	s_andn2_b64 exec, exec, s[28:29]
	s_cbranch_execnz .LBB343_190
; %bb.191:                              ;   in Loop: Header=BB343_187 Depth=1
	s_or_b64 exec, exec, s[28:29]
	s_branch .LBB343_185
.LBB343_192:
                                        ; implicit-def: $vgpr26
                                        ; implicit-def: $vgpr28
                                        ; implicit-def: $vgpr30
                                        ; implicit-def: $vgpr32
                                        ; implicit-def: $vgpr34
                                        ; implicit-def: $vgpr36
                                        ; implicit-def: $vgpr38
                                        ; implicit-def: $vgpr24
                                        ; implicit-def: $vgpr22
	s_cbranch_execnz .LBB343_198
	s_branch .LBB343_207
.LBB343_193:
	s_and_saveexec_b64 s[26:27], s[16:17]
	s_cbranch_execz .LBB343_195
; %bb.194:
	s_add_i32 s28, s33, 64
	s_mov_b32 s29, 0
	s_lshl_b64 s[28:29], s[28:29], 3
	s_add_u32 s28, s30, s28
	v_add_u32_e32 v24, v23, v22
	v_mov_b32_e32 v25, 2
	s_addc_u32 s29, s31, s29
	v_mov_b32_e32 v26, 0
	global_store_dwordx2 v26, v[24:25], s[28:29] sc1
	ds_write_b64 v26, v[22:23] offset:28672
.LBB343_195:
	s_or_b64 exec, exec, s[26:27]
	s_and_b64 exec, exec, s[18:19]
; %bb.196:
	v_mov_b32_e32 v22, 0
	ds_write_b32 v22, v23 offset:28
.LBB343_197:
	s_or_b64 exec, exec, s[0:1]
	v_mov_b32_e32 v22, 0
	s_waitcnt lgkmcnt(0)
	s_barrier
	ds_read_b32 v23, v22 offset:28
	v_cndmask_b32_e64 v24, v34, v32, s[16:17]
	v_cndmask_b32_e64 v24, v24, 0, s[18:19]
	s_waitcnt lgkmcnt(0)
	s_barrier
	v_add_u32_e32 v38, v23, v24
	v_add_u32_e32 v36, v38, v1
	ds_read_b64 v[22:23], v22 offset:28672
	v_add_u32_e32 v34, v36, v21
	v_add_u32_e32 v32, v34, v33
	v_add_u32_e32 v30, v32, v35
	v_add_u32_e32 v28, v30, v37
	v_add_u32_e32 v26, v28, v39
	s_waitcnt lgkmcnt(0)
	v_mov_b32_e32 v24, v23
	s_branch .LBB343_207
.LBB343_198:
	v_mov_b32_dpp v22, v45 row_shr:1 row_mask:0xf bank_mask:0xf
	v_cndmask_b32_e64 v22, v22, 0, s[14:15]
	v_add_u32_e32 v22, v22, v45
	s_nop 1
	v_mov_b32_dpp v23, v22 row_shr:2 row_mask:0xf bank_mask:0xf
	v_cndmask_b32_e64 v23, 0, v23, s[12:13]
	v_add_u32_e32 v22, v22, v23
	s_nop 1
	;; [unrolled: 4-line block ×4, first 2 shown]
	v_mov_b32_dpp v23, v22 row_bcast:15 row_mask:0xf bank_mask:0xf
	v_cndmask_b32_e64 v23, v23, 0, s[6:7]
	v_add_u32_e32 v22, v22, v23
	s_nop 1
	v_mov_b32_dpp v23, v22 row_bcast:31 row_mask:0xf bank_mask:0xf
	v_cndmask_b32_e64 v23, 0, v23, s[2:3]
	v_add_u32_e32 v22, v22, v23
	s_and_saveexec_b64 s[0:1], s[4:5]
; %bb.199:
	v_lshlrev_b32_e32 v23, 2, v44
	ds_write_b32 v23, v22
; %bb.200:
	s_or_b64 exec, exec, s[0:1]
	v_cmp_gt_u32_e32 vcc, 8, v0
	s_waitcnt lgkmcnt(0)
	s_barrier
	s_and_saveexec_b64 s[0:1], vcc
	s_cbranch_execz .LBB343_202
; %bb.201:
	v_lshlrev_b32_e32 v23, 2, v0
	ds_read_b32 v24, v23
	v_and_b32_e32 v25, 7, v43
	v_cmp_ne_u32_e32 vcc, 0, v25
	s_waitcnt lgkmcnt(0)
	v_mov_b32_dpp v26, v24 row_shr:1 row_mask:0xf bank_mask:0xf
	v_cndmask_b32_e32 v26, 0, v26, vcc
	v_add_u32_e32 v24, v26, v24
	v_cmp_lt_u32_e32 vcc, 1, v25
	s_nop 0
	v_mov_b32_dpp v26, v24 row_shr:2 row_mask:0xf bank_mask:0xf
	v_cndmask_b32_e32 v26, 0, v26, vcc
	v_add_u32_e32 v24, v24, v26
	v_cmp_lt_u32_e32 vcc, 3, v25
	s_nop 0
	v_mov_b32_dpp v26, v24 row_shr:4 row_mask:0xf bank_mask:0xf
	v_cndmask_b32_e32 v25, 0, v26, vcc
	v_add_u32_e32 v24, v24, v25
	ds_write_b32 v23, v24
.LBB343_202:
	s_or_b64 exec, exec, s[0:1]
	v_cmp_lt_u32_e32 vcc, 63, v0
	v_mov_b32_e32 v23, 0
	v_mov_b32_e32 v24, 0
	s_waitcnt lgkmcnt(0)
	s_barrier
	s_and_saveexec_b64 s[0:1], vcc
; %bb.203:
	v_lshl_add_u32 v24, v44, 2, -4
	ds_read_b32 v24, v24
; %bb.204:
	s_or_b64 exec, exec, s[0:1]
	v_subrev_co_u32_e32 v25, vcc, 1, v43
	v_and_b32_e32 v26, 64, v43
	v_cmp_lt_i32_e64 s[0:1], v25, v26
	s_waitcnt lgkmcnt(0)
	v_add_u32_e32 v22, v24, v22
	v_cndmask_b32_e64 v25, v25, v43, s[0:1]
	v_lshlrev_b32_e32 v25, 2, v25
	ds_bpermute_b32 v25, v25, v22
	ds_read_b32 v22, v23 offset:28
	s_and_saveexec_b64 s[0:1], s[18:19]
	s_cbranch_execz .LBB343_206
; %bb.205:
	v_mov_b32_e32 v26, 0
	v_mov_b32_e32 v23, 2
	s_waitcnt lgkmcnt(0)
	global_store_dwordx2 v26, v[22:23], s[30:31] offset:512 sc1
.LBB343_206:
	s_or_b64 exec, exec, s[0:1]
	s_waitcnt lgkmcnt(1)
	v_cndmask_b32_e32 v23, v25, v24, vcc
	v_cndmask_b32_e64 v38, v23, 0, s[18:19]
	v_add_u32_e32 v36, v38, v1
	v_add_u32_e32 v34, v36, v21
	;; [unrolled: 1-line block ×6, first 2 shown]
	s_waitcnt lgkmcnt(0)
	s_barrier
	v_mov_b32_e32 v24, 0
.LBB343_207:
	s_movk_i32 s0, 0x201
	v_cmp_gt_u32_e32 vcc, s0, v22
	v_and_b32_e32 v1, 1, v16
	s_mov_b64 s[2:3], -1
	v_cmp_eq_u32_e64 s[0:1], 1, v1
	s_cbranch_vccnz .LBB343_211
; %bb.208:
	s_and_b64 vcc, exec, s[2:3]
	s_cbranch_vccnz .LBB343_226
.LBB343_209:
	s_and_b64 s[0:1], s[18:19], s[24:25]
	s_and_saveexec_b64 s[2:3], s[0:1]
	s_cbranch_execnz .LBB343_243
.LBB343_210:
	s_endpgm
.LBB343_211:
	v_add_u32_e32 v16, v24, v22
	v_cmp_lt_u32_e32 vcc, v38, v16
	s_or_b64 s[2:3], s[36:37], vcc
	s_and_b64 s[2:3], s[2:3], s[0:1]
	s_and_saveexec_b64 s[0:1], s[2:3]
	s_cbranch_execz .LBB343_213
; %bb.212:
	s_lshl_b64 s[2:3], s[22:23], 3
	s_add_u32 s2, s34, s2
	s_addc_u32 s3, s35, s3
	v_mov_b32_e32 v39, 0
	v_lshl_add_u64 v[44:45], v[38:39], 3, s[2:3]
	global_store_dwordx2 v[44:45], v[10:11], off
.LBB343_213:
	s_or_b64 exec, exec, s[0:1]
	v_cmp_lt_u32_e32 vcc, v36, v16
	v_and_b32_e32 v21, 1, v42
	s_or_b64 s[0:1], s[36:37], vcc
	v_cmp_eq_u32_e32 vcc, 1, v21
	s_and_b64 s[2:3], s[0:1], vcc
	s_and_saveexec_b64 s[0:1], s[2:3]
	s_cbranch_execz .LBB343_215
; %bb.214:
	s_lshl_b64 s[2:3], s[22:23], 3
	s_add_u32 s2, s34, s2
	s_addc_u32 s3, s35, s3
	v_mov_b32_e32 v37, 0
	v_lshl_add_u64 v[44:45], v[36:37], 3, s[2:3]
	global_store_dwordx2 v[44:45], v[12:13], off
.LBB343_215:
	s_or_b64 exec, exec, s[0:1]
	v_cmp_lt_u32_e32 vcc, v34, v16
	v_and_b32_e32 v21, 1, v41
	s_or_b64 s[0:1], s[36:37], vcc
	v_cmp_eq_u32_e32 vcc, 1, v21
	s_and_b64 s[2:3], s[0:1], vcc
	;; [unrolled: 16-line block ×6, first 2 shown]
	s_and_saveexec_b64 s[0:1], s[2:3]
	s_cbranch_execz .LBB343_225
; %bb.224:
	s_lshl_b64 s[2:3], s[22:23], 3
	s_add_u32 s2, s34, s2
	s_addc_u32 s3, s35, s3
	v_mov_b32_e32 v27, 0
	v_lshl_add_u64 v[44:45], v[26:27], 3, s[2:3]
	global_store_dwordx2 v[44:45], v[14:15], off
.LBB343_225:
	s_or_b64 exec, exec, s[0:1]
	s_branch .LBB343_209
.LBB343_226:
	v_cmp_eq_u32_e32 vcc, 1, v1
	s_and_saveexec_b64 s[0:1], vcc
; %bb.227:
	v_sub_u32_e32 v1, v38, v24
	v_lshlrev_b32_e32 v1, 3, v1
	ds_write_b64 v1, v[10:11]
; %bb.228:
	s_or_b64 exec, exec, s[0:1]
	v_and_b32_e32 v1, 1, v42
	v_cmp_eq_u32_e32 vcc, 1, v1
	s_and_saveexec_b64 s[0:1], vcc
; %bb.229:
	v_sub_u32_e32 v1, v36, v24
	v_lshlrev_b32_e32 v1, 3, v1
	ds_write_b64 v1, v[12:13]
; %bb.230:
	s_or_b64 exec, exec, s[0:1]
	v_and_b32_e32 v1, 1, v41
	;; [unrolled: 9-line block ×6, first 2 shown]
	v_cmp_eq_u32_e32 vcc, 1, v1
	s_and_saveexec_b64 s[0:1], vcc
; %bb.239:
	v_sub_u32_e32 v1, v26, v24
	v_lshlrev_b32_e32 v1, 3, v1
	ds_write_b64 v1, v[14:15]
; %bb.240:
	s_or_b64 exec, exec, s[0:1]
	v_mov_b32_e32 v25, 0
	s_lshl_b64 s[0:1], s[22:23], 3
	v_lshlrev_b64 v[2:3], 3, v[24:25]
	v_lshl_add_u64 v[2:3], s[0:1], 0, v[2:3]
	v_mov_b32_e32 v19, v25
	v_lshl_add_u64 v[2:3], s[34:35], 0, v[2:3]
	v_lshl_add_u64 v[2:3], v[2:3], 0, v[18:19]
	s_mov_b64 s[0:1], 0
	s_mov_b64 s[2:3], 0x1000
	s_waitcnt lgkmcnt(0)
	s_barrier
.LBB343_241:                            ; =>This Inner Loop Header: Depth=1
	ds_read_b64 v[4:5], v18
	v_add_u32_e32 v0, 0x200, v0
	v_cmp_ge_u32_e32 vcc, v0, v22
	v_add_u32_e32 v18, 0x1000, v18
	s_or_b64 s[0:1], vcc, s[0:1]
	s_waitcnt lgkmcnt(0)
	global_store_dwordx2 v[2:3], v[4:5], off
	v_lshl_add_u64 v[2:3], v[2:3], 0, s[2:3]
	s_andn2_b64 exec, exec, s[0:1]
	s_cbranch_execnz .LBB343_241
; %bb.242:
	s_or_b64 exec, exec, s[0:1]
	s_and_b64 s[0:1], s[18:19], s[24:25]
	s_and_saveexec_b64 s[2:3], s[0:1]
	s_cbranch_execz .LBB343_210
.LBB343_243:
	v_mov_b32_e32 v23, 0
	v_lshl_add_u64 v[0:1], s[22:23], 0, v[22:23]
	v_mov_b32_e32 v25, v23
	v_lshl_add_u64 v[0:1], v[0:1], 0, v[24:25]
	global_store_dwordx2 v23, v[0:1], s[20:21]
	s_endpgm
	.section	.rodata,"a",@progbits
	.p2align	6, 0x0
	.amdhsa_kernel _ZN7rocprim17ROCPRIM_400000_NS6detail17trampoline_kernelINS0_14default_configENS1_25partition_config_selectorILNS1_17partition_subalgoE8ElNS0_10empty_typeEbEEZZNS1_14partition_implILS5_8ELb0ES3_jPlPS6_PKS6_NS0_5tupleIJS9_S6_EEENSD_IJSA_SA_EEENS0_18inequality_wrapperIZN2at6native12_GLOBAL__N_124unique_dim_cuda_templateIaEESt5tupleIJNSH_6TensorESM_SM_EERKSM_lbbbEUlllE0_EEPmJS6_EEE10hipError_tPvRmT3_T4_T5_T6_T7_T9_mT8_P12ihipStream_tbDpT10_ENKUlT_T0_E_clISt17integral_constantIbLb0EES1B_IbLb1EEEEDaS17_S18_EUlS17_E_NS1_11comp_targetILNS1_3genE0ELNS1_11target_archE4294967295ELNS1_3gpuE0ELNS1_3repE0EEENS1_30default_config_static_selectorELNS0_4arch9wavefront6targetE1EEEvT1_
		.amdhsa_group_segment_fixed_size 28680
		.amdhsa_private_segment_fixed_size 0
		.amdhsa_kernarg_size 136
		.amdhsa_user_sgpr_count 2
		.amdhsa_user_sgpr_dispatch_ptr 0
		.amdhsa_user_sgpr_queue_ptr 0
		.amdhsa_user_sgpr_kernarg_segment_ptr 1
		.amdhsa_user_sgpr_dispatch_id 0
		.amdhsa_user_sgpr_kernarg_preload_length 0
		.amdhsa_user_sgpr_kernarg_preload_offset 0
		.amdhsa_user_sgpr_private_segment_size 0
		.amdhsa_uses_dynamic_stack 0
		.amdhsa_enable_private_segment 0
		.amdhsa_system_sgpr_workgroup_id_x 1
		.amdhsa_system_sgpr_workgroup_id_y 0
		.amdhsa_system_sgpr_workgroup_id_z 0
		.amdhsa_system_sgpr_workgroup_info 0
		.amdhsa_system_vgpr_workitem_id 0
		.amdhsa_next_free_vgpr 58
		.amdhsa_next_free_sgpr 54
		.amdhsa_accum_offset 60
		.amdhsa_reserve_vcc 1
		.amdhsa_float_round_mode_32 0
		.amdhsa_float_round_mode_16_64 0
		.amdhsa_float_denorm_mode_32 3
		.amdhsa_float_denorm_mode_16_64 3
		.amdhsa_dx10_clamp 1
		.amdhsa_ieee_mode 1
		.amdhsa_fp16_overflow 0
		.amdhsa_tg_split 0
		.amdhsa_exception_fp_ieee_invalid_op 0
		.amdhsa_exception_fp_denorm_src 0
		.amdhsa_exception_fp_ieee_div_zero 0
		.amdhsa_exception_fp_ieee_overflow 0
		.amdhsa_exception_fp_ieee_underflow 0
		.amdhsa_exception_fp_ieee_inexact 0
		.amdhsa_exception_int_div_zero 0
	.end_amdhsa_kernel
	.section	.text._ZN7rocprim17ROCPRIM_400000_NS6detail17trampoline_kernelINS0_14default_configENS1_25partition_config_selectorILNS1_17partition_subalgoE8ElNS0_10empty_typeEbEEZZNS1_14partition_implILS5_8ELb0ES3_jPlPS6_PKS6_NS0_5tupleIJS9_S6_EEENSD_IJSA_SA_EEENS0_18inequality_wrapperIZN2at6native12_GLOBAL__N_124unique_dim_cuda_templateIaEESt5tupleIJNSH_6TensorESM_SM_EERKSM_lbbbEUlllE0_EEPmJS6_EEE10hipError_tPvRmT3_T4_T5_T6_T7_T9_mT8_P12ihipStream_tbDpT10_ENKUlT_T0_E_clISt17integral_constantIbLb0EES1B_IbLb1EEEEDaS17_S18_EUlS17_E_NS1_11comp_targetILNS1_3genE0ELNS1_11target_archE4294967295ELNS1_3gpuE0ELNS1_3repE0EEENS1_30default_config_static_selectorELNS0_4arch9wavefront6targetE1EEEvT1_,"axG",@progbits,_ZN7rocprim17ROCPRIM_400000_NS6detail17trampoline_kernelINS0_14default_configENS1_25partition_config_selectorILNS1_17partition_subalgoE8ElNS0_10empty_typeEbEEZZNS1_14partition_implILS5_8ELb0ES3_jPlPS6_PKS6_NS0_5tupleIJS9_S6_EEENSD_IJSA_SA_EEENS0_18inequality_wrapperIZN2at6native12_GLOBAL__N_124unique_dim_cuda_templateIaEESt5tupleIJNSH_6TensorESM_SM_EERKSM_lbbbEUlllE0_EEPmJS6_EEE10hipError_tPvRmT3_T4_T5_T6_T7_T9_mT8_P12ihipStream_tbDpT10_ENKUlT_T0_E_clISt17integral_constantIbLb0EES1B_IbLb1EEEEDaS17_S18_EUlS17_E_NS1_11comp_targetILNS1_3genE0ELNS1_11target_archE4294967295ELNS1_3gpuE0ELNS1_3repE0EEENS1_30default_config_static_selectorELNS0_4arch9wavefront6targetE1EEEvT1_,comdat
.Lfunc_end343:
	.size	_ZN7rocprim17ROCPRIM_400000_NS6detail17trampoline_kernelINS0_14default_configENS1_25partition_config_selectorILNS1_17partition_subalgoE8ElNS0_10empty_typeEbEEZZNS1_14partition_implILS5_8ELb0ES3_jPlPS6_PKS6_NS0_5tupleIJS9_S6_EEENSD_IJSA_SA_EEENS0_18inequality_wrapperIZN2at6native12_GLOBAL__N_124unique_dim_cuda_templateIaEESt5tupleIJNSH_6TensorESM_SM_EERKSM_lbbbEUlllE0_EEPmJS6_EEE10hipError_tPvRmT3_T4_T5_T6_T7_T9_mT8_P12ihipStream_tbDpT10_ENKUlT_T0_E_clISt17integral_constantIbLb0EES1B_IbLb1EEEEDaS17_S18_EUlS17_E_NS1_11comp_targetILNS1_3genE0ELNS1_11target_archE4294967295ELNS1_3gpuE0ELNS1_3repE0EEENS1_30default_config_static_selectorELNS0_4arch9wavefront6targetE1EEEvT1_, .Lfunc_end343-_ZN7rocprim17ROCPRIM_400000_NS6detail17trampoline_kernelINS0_14default_configENS1_25partition_config_selectorILNS1_17partition_subalgoE8ElNS0_10empty_typeEbEEZZNS1_14partition_implILS5_8ELb0ES3_jPlPS6_PKS6_NS0_5tupleIJS9_S6_EEENSD_IJSA_SA_EEENS0_18inequality_wrapperIZN2at6native12_GLOBAL__N_124unique_dim_cuda_templateIaEESt5tupleIJNSH_6TensorESM_SM_EERKSM_lbbbEUlllE0_EEPmJS6_EEE10hipError_tPvRmT3_T4_T5_T6_T7_T9_mT8_P12ihipStream_tbDpT10_ENKUlT_T0_E_clISt17integral_constantIbLb0EES1B_IbLb1EEEEDaS17_S18_EUlS17_E_NS1_11comp_targetILNS1_3genE0ELNS1_11target_archE4294967295ELNS1_3gpuE0ELNS1_3repE0EEENS1_30default_config_static_selectorELNS0_4arch9wavefront6targetE1EEEvT1_
                                        ; -- End function
	.set _ZN7rocprim17ROCPRIM_400000_NS6detail17trampoline_kernelINS0_14default_configENS1_25partition_config_selectorILNS1_17partition_subalgoE8ElNS0_10empty_typeEbEEZZNS1_14partition_implILS5_8ELb0ES3_jPlPS6_PKS6_NS0_5tupleIJS9_S6_EEENSD_IJSA_SA_EEENS0_18inequality_wrapperIZN2at6native12_GLOBAL__N_124unique_dim_cuda_templateIaEESt5tupleIJNSH_6TensorESM_SM_EERKSM_lbbbEUlllE0_EEPmJS6_EEE10hipError_tPvRmT3_T4_T5_T6_T7_T9_mT8_P12ihipStream_tbDpT10_ENKUlT_T0_E_clISt17integral_constantIbLb0EES1B_IbLb1EEEEDaS17_S18_EUlS17_E_NS1_11comp_targetILNS1_3genE0ELNS1_11target_archE4294967295ELNS1_3gpuE0ELNS1_3repE0EEENS1_30default_config_static_selectorELNS0_4arch9wavefront6targetE1EEEvT1_.num_vgpr, 58
	.set _ZN7rocprim17ROCPRIM_400000_NS6detail17trampoline_kernelINS0_14default_configENS1_25partition_config_selectorILNS1_17partition_subalgoE8ElNS0_10empty_typeEbEEZZNS1_14partition_implILS5_8ELb0ES3_jPlPS6_PKS6_NS0_5tupleIJS9_S6_EEENSD_IJSA_SA_EEENS0_18inequality_wrapperIZN2at6native12_GLOBAL__N_124unique_dim_cuda_templateIaEESt5tupleIJNSH_6TensorESM_SM_EERKSM_lbbbEUlllE0_EEPmJS6_EEE10hipError_tPvRmT3_T4_T5_T6_T7_T9_mT8_P12ihipStream_tbDpT10_ENKUlT_T0_E_clISt17integral_constantIbLb0EES1B_IbLb1EEEEDaS17_S18_EUlS17_E_NS1_11comp_targetILNS1_3genE0ELNS1_11target_archE4294967295ELNS1_3gpuE0ELNS1_3repE0EEENS1_30default_config_static_selectorELNS0_4arch9wavefront6targetE1EEEvT1_.num_agpr, 0
	.set _ZN7rocprim17ROCPRIM_400000_NS6detail17trampoline_kernelINS0_14default_configENS1_25partition_config_selectorILNS1_17partition_subalgoE8ElNS0_10empty_typeEbEEZZNS1_14partition_implILS5_8ELb0ES3_jPlPS6_PKS6_NS0_5tupleIJS9_S6_EEENSD_IJSA_SA_EEENS0_18inequality_wrapperIZN2at6native12_GLOBAL__N_124unique_dim_cuda_templateIaEESt5tupleIJNSH_6TensorESM_SM_EERKSM_lbbbEUlllE0_EEPmJS6_EEE10hipError_tPvRmT3_T4_T5_T6_T7_T9_mT8_P12ihipStream_tbDpT10_ENKUlT_T0_E_clISt17integral_constantIbLb0EES1B_IbLb1EEEEDaS17_S18_EUlS17_E_NS1_11comp_targetILNS1_3genE0ELNS1_11target_archE4294967295ELNS1_3gpuE0ELNS1_3repE0EEENS1_30default_config_static_selectorELNS0_4arch9wavefront6targetE1EEEvT1_.numbered_sgpr, 54
	.set _ZN7rocprim17ROCPRIM_400000_NS6detail17trampoline_kernelINS0_14default_configENS1_25partition_config_selectorILNS1_17partition_subalgoE8ElNS0_10empty_typeEbEEZZNS1_14partition_implILS5_8ELb0ES3_jPlPS6_PKS6_NS0_5tupleIJS9_S6_EEENSD_IJSA_SA_EEENS0_18inequality_wrapperIZN2at6native12_GLOBAL__N_124unique_dim_cuda_templateIaEESt5tupleIJNSH_6TensorESM_SM_EERKSM_lbbbEUlllE0_EEPmJS6_EEE10hipError_tPvRmT3_T4_T5_T6_T7_T9_mT8_P12ihipStream_tbDpT10_ENKUlT_T0_E_clISt17integral_constantIbLb0EES1B_IbLb1EEEEDaS17_S18_EUlS17_E_NS1_11comp_targetILNS1_3genE0ELNS1_11target_archE4294967295ELNS1_3gpuE0ELNS1_3repE0EEENS1_30default_config_static_selectorELNS0_4arch9wavefront6targetE1EEEvT1_.num_named_barrier, 0
	.set _ZN7rocprim17ROCPRIM_400000_NS6detail17trampoline_kernelINS0_14default_configENS1_25partition_config_selectorILNS1_17partition_subalgoE8ElNS0_10empty_typeEbEEZZNS1_14partition_implILS5_8ELb0ES3_jPlPS6_PKS6_NS0_5tupleIJS9_S6_EEENSD_IJSA_SA_EEENS0_18inequality_wrapperIZN2at6native12_GLOBAL__N_124unique_dim_cuda_templateIaEESt5tupleIJNSH_6TensorESM_SM_EERKSM_lbbbEUlllE0_EEPmJS6_EEE10hipError_tPvRmT3_T4_T5_T6_T7_T9_mT8_P12ihipStream_tbDpT10_ENKUlT_T0_E_clISt17integral_constantIbLb0EES1B_IbLb1EEEEDaS17_S18_EUlS17_E_NS1_11comp_targetILNS1_3genE0ELNS1_11target_archE4294967295ELNS1_3gpuE0ELNS1_3repE0EEENS1_30default_config_static_selectorELNS0_4arch9wavefront6targetE1EEEvT1_.private_seg_size, 0
	.set _ZN7rocprim17ROCPRIM_400000_NS6detail17trampoline_kernelINS0_14default_configENS1_25partition_config_selectorILNS1_17partition_subalgoE8ElNS0_10empty_typeEbEEZZNS1_14partition_implILS5_8ELb0ES3_jPlPS6_PKS6_NS0_5tupleIJS9_S6_EEENSD_IJSA_SA_EEENS0_18inequality_wrapperIZN2at6native12_GLOBAL__N_124unique_dim_cuda_templateIaEESt5tupleIJNSH_6TensorESM_SM_EERKSM_lbbbEUlllE0_EEPmJS6_EEE10hipError_tPvRmT3_T4_T5_T6_T7_T9_mT8_P12ihipStream_tbDpT10_ENKUlT_T0_E_clISt17integral_constantIbLb0EES1B_IbLb1EEEEDaS17_S18_EUlS17_E_NS1_11comp_targetILNS1_3genE0ELNS1_11target_archE4294967295ELNS1_3gpuE0ELNS1_3repE0EEENS1_30default_config_static_selectorELNS0_4arch9wavefront6targetE1EEEvT1_.uses_vcc, 1
	.set _ZN7rocprim17ROCPRIM_400000_NS6detail17trampoline_kernelINS0_14default_configENS1_25partition_config_selectorILNS1_17partition_subalgoE8ElNS0_10empty_typeEbEEZZNS1_14partition_implILS5_8ELb0ES3_jPlPS6_PKS6_NS0_5tupleIJS9_S6_EEENSD_IJSA_SA_EEENS0_18inequality_wrapperIZN2at6native12_GLOBAL__N_124unique_dim_cuda_templateIaEESt5tupleIJNSH_6TensorESM_SM_EERKSM_lbbbEUlllE0_EEPmJS6_EEE10hipError_tPvRmT3_T4_T5_T6_T7_T9_mT8_P12ihipStream_tbDpT10_ENKUlT_T0_E_clISt17integral_constantIbLb0EES1B_IbLb1EEEEDaS17_S18_EUlS17_E_NS1_11comp_targetILNS1_3genE0ELNS1_11target_archE4294967295ELNS1_3gpuE0ELNS1_3repE0EEENS1_30default_config_static_selectorELNS0_4arch9wavefront6targetE1EEEvT1_.uses_flat_scratch, 0
	.set _ZN7rocprim17ROCPRIM_400000_NS6detail17trampoline_kernelINS0_14default_configENS1_25partition_config_selectorILNS1_17partition_subalgoE8ElNS0_10empty_typeEbEEZZNS1_14partition_implILS5_8ELb0ES3_jPlPS6_PKS6_NS0_5tupleIJS9_S6_EEENSD_IJSA_SA_EEENS0_18inequality_wrapperIZN2at6native12_GLOBAL__N_124unique_dim_cuda_templateIaEESt5tupleIJNSH_6TensorESM_SM_EERKSM_lbbbEUlllE0_EEPmJS6_EEE10hipError_tPvRmT3_T4_T5_T6_T7_T9_mT8_P12ihipStream_tbDpT10_ENKUlT_T0_E_clISt17integral_constantIbLb0EES1B_IbLb1EEEEDaS17_S18_EUlS17_E_NS1_11comp_targetILNS1_3genE0ELNS1_11target_archE4294967295ELNS1_3gpuE0ELNS1_3repE0EEENS1_30default_config_static_selectorELNS0_4arch9wavefront6targetE1EEEvT1_.has_dyn_sized_stack, 0
	.set _ZN7rocprim17ROCPRIM_400000_NS6detail17trampoline_kernelINS0_14default_configENS1_25partition_config_selectorILNS1_17partition_subalgoE8ElNS0_10empty_typeEbEEZZNS1_14partition_implILS5_8ELb0ES3_jPlPS6_PKS6_NS0_5tupleIJS9_S6_EEENSD_IJSA_SA_EEENS0_18inequality_wrapperIZN2at6native12_GLOBAL__N_124unique_dim_cuda_templateIaEESt5tupleIJNSH_6TensorESM_SM_EERKSM_lbbbEUlllE0_EEPmJS6_EEE10hipError_tPvRmT3_T4_T5_T6_T7_T9_mT8_P12ihipStream_tbDpT10_ENKUlT_T0_E_clISt17integral_constantIbLb0EES1B_IbLb1EEEEDaS17_S18_EUlS17_E_NS1_11comp_targetILNS1_3genE0ELNS1_11target_archE4294967295ELNS1_3gpuE0ELNS1_3repE0EEENS1_30default_config_static_selectorELNS0_4arch9wavefront6targetE1EEEvT1_.has_recursion, 0
	.set _ZN7rocprim17ROCPRIM_400000_NS6detail17trampoline_kernelINS0_14default_configENS1_25partition_config_selectorILNS1_17partition_subalgoE8ElNS0_10empty_typeEbEEZZNS1_14partition_implILS5_8ELb0ES3_jPlPS6_PKS6_NS0_5tupleIJS9_S6_EEENSD_IJSA_SA_EEENS0_18inequality_wrapperIZN2at6native12_GLOBAL__N_124unique_dim_cuda_templateIaEESt5tupleIJNSH_6TensorESM_SM_EERKSM_lbbbEUlllE0_EEPmJS6_EEE10hipError_tPvRmT3_T4_T5_T6_T7_T9_mT8_P12ihipStream_tbDpT10_ENKUlT_T0_E_clISt17integral_constantIbLb0EES1B_IbLb1EEEEDaS17_S18_EUlS17_E_NS1_11comp_targetILNS1_3genE0ELNS1_11target_archE4294967295ELNS1_3gpuE0ELNS1_3repE0EEENS1_30default_config_static_selectorELNS0_4arch9wavefront6targetE1EEEvT1_.has_indirect_call, 0
	.section	.AMDGPU.csdata,"",@progbits
; Kernel info:
; codeLenInByte = 10772
; TotalNumSgprs: 60
; NumVgprs: 58
; NumAgprs: 0
; TotalNumVgprs: 58
; ScratchSize: 0
; MemoryBound: 0
; FloatMode: 240
; IeeeMode: 1
; LDSByteSize: 28680 bytes/workgroup (compile time only)
; SGPRBlocks: 7
; VGPRBlocks: 7
; NumSGPRsForWavesPerEU: 60
; NumVGPRsForWavesPerEU: 58
; AccumOffset: 60
; Occupancy: 8
; WaveLimiterHint : 1
; COMPUTE_PGM_RSRC2:SCRATCH_EN: 0
; COMPUTE_PGM_RSRC2:USER_SGPR: 2
; COMPUTE_PGM_RSRC2:TRAP_HANDLER: 0
; COMPUTE_PGM_RSRC2:TGID_X_EN: 1
; COMPUTE_PGM_RSRC2:TGID_Y_EN: 0
; COMPUTE_PGM_RSRC2:TGID_Z_EN: 0
; COMPUTE_PGM_RSRC2:TIDIG_COMP_CNT: 0
; COMPUTE_PGM_RSRC3_GFX90A:ACCUM_OFFSET: 14
; COMPUTE_PGM_RSRC3_GFX90A:TG_SPLIT: 0
	.section	.text._ZN7rocprim17ROCPRIM_400000_NS6detail17trampoline_kernelINS0_14default_configENS1_25partition_config_selectorILNS1_17partition_subalgoE8ElNS0_10empty_typeEbEEZZNS1_14partition_implILS5_8ELb0ES3_jPlPS6_PKS6_NS0_5tupleIJS9_S6_EEENSD_IJSA_SA_EEENS0_18inequality_wrapperIZN2at6native12_GLOBAL__N_124unique_dim_cuda_templateIaEESt5tupleIJNSH_6TensorESM_SM_EERKSM_lbbbEUlllE0_EEPmJS6_EEE10hipError_tPvRmT3_T4_T5_T6_T7_T9_mT8_P12ihipStream_tbDpT10_ENKUlT_T0_E_clISt17integral_constantIbLb0EES1B_IbLb1EEEEDaS17_S18_EUlS17_E_NS1_11comp_targetILNS1_3genE5ELNS1_11target_archE942ELNS1_3gpuE9ELNS1_3repE0EEENS1_30default_config_static_selectorELNS0_4arch9wavefront6targetE1EEEvT1_,"axG",@progbits,_ZN7rocprim17ROCPRIM_400000_NS6detail17trampoline_kernelINS0_14default_configENS1_25partition_config_selectorILNS1_17partition_subalgoE8ElNS0_10empty_typeEbEEZZNS1_14partition_implILS5_8ELb0ES3_jPlPS6_PKS6_NS0_5tupleIJS9_S6_EEENSD_IJSA_SA_EEENS0_18inequality_wrapperIZN2at6native12_GLOBAL__N_124unique_dim_cuda_templateIaEESt5tupleIJNSH_6TensorESM_SM_EERKSM_lbbbEUlllE0_EEPmJS6_EEE10hipError_tPvRmT3_T4_T5_T6_T7_T9_mT8_P12ihipStream_tbDpT10_ENKUlT_T0_E_clISt17integral_constantIbLb0EES1B_IbLb1EEEEDaS17_S18_EUlS17_E_NS1_11comp_targetILNS1_3genE5ELNS1_11target_archE942ELNS1_3gpuE9ELNS1_3repE0EEENS1_30default_config_static_selectorELNS0_4arch9wavefront6targetE1EEEvT1_,comdat
	.globl	_ZN7rocprim17ROCPRIM_400000_NS6detail17trampoline_kernelINS0_14default_configENS1_25partition_config_selectorILNS1_17partition_subalgoE8ElNS0_10empty_typeEbEEZZNS1_14partition_implILS5_8ELb0ES3_jPlPS6_PKS6_NS0_5tupleIJS9_S6_EEENSD_IJSA_SA_EEENS0_18inequality_wrapperIZN2at6native12_GLOBAL__N_124unique_dim_cuda_templateIaEESt5tupleIJNSH_6TensorESM_SM_EERKSM_lbbbEUlllE0_EEPmJS6_EEE10hipError_tPvRmT3_T4_T5_T6_T7_T9_mT8_P12ihipStream_tbDpT10_ENKUlT_T0_E_clISt17integral_constantIbLb0EES1B_IbLb1EEEEDaS17_S18_EUlS17_E_NS1_11comp_targetILNS1_3genE5ELNS1_11target_archE942ELNS1_3gpuE9ELNS1_3repE0EEENS1_30default_config_static_selectorELNS0_4arch9wavefront6targetE1EEEvT1_ ; -- Begin function _ZN7rocprim17ROCPRIM_400000_NS6detail17trampoline_kernelINS0_14default_configENS1_25partition_config_selectorILNS1_17partition_subalgoE8ElNS0_10empty_typeEbEEZZNS1_14partition_implILS5_8ELb0ES3_jPlPS6_PKS6_NS0_5tupleIJS9_S6_EEENSD_IJSA_SA_EEENS0_18inequality_wrapperIZN2at6native12_GLOBAL__N_124unique_dim_cuda_templateIaEESt5tupleIJNSH_6TensorESM_SM_EERKSM_lbbbEUlllE0_EEPmJS6_EEE10hipError_tPvRmT3_T4_T5_T6_T7_T9_mT8_P12ihipStream_tbDpT10_ENKUlT_T0_E_clISt17integral_constantIbLb0EES1B_IbLb1EEEEDaS17_S18_EUlS17_E_NS1_11comp_targetILNS1_3genE5ELNS1_11target_archE942ELNS1_3gpuE9ELNS1_3repE0EEENS1_30default_config_static_selectorELNS0_4arch9wavefront6targetE1EEEvT1_
	.p2align	8
	.type	_ZN7rocprim17ROCPRIM_400000_NS6detail17trampoline_kernelINS0_14default_configENS1_25partition_config_selectorILNS1_17partition_subalgoE8ElNS0_10empty_typeEbEEZZNS1_14partition_implILS5_8ELb0ES3_jPlPS6_PKS6_NS0_5tupleIJS9_S6_EEENSD_IJSA_SA_EEENS0_18inequality_wrapperIZN2at6native12_GLOBAL__N_124unique_dim_cuda_templateIaEESt5tupleIJNSH_6TensorESM_SM_EERKSM_lbbbEUlllE0_EEPmJS6_EEE10hipError_tPvRmT3_T4_T5_T6_T7_T9_mT8_P12ihipStream_tbDpT10_ENKUlT_T0_E_clISt17integral_constantIbLb0EES1B_IbLb1EEEEDaS17_S18_EUlS17_E_NS1_11comp_targetILNS1_3genE5ELNS1_11target_archE942ELNS1_3gpuE9ELNS1_3repE0EEENS1_30default_config_static_selectorELNS0_4arch9wavefront6targetE1EEEvT1_,@function
_ZN7rocprim17ROCPRIM_400000_NS6detail17trampoline_kernelINS0_14default_configENS1_25partition_config_selectorILNS1_17partition_subalgoE8ElNS0_10empty_typeEbEEZZNS1_14partition_implILS5_8ELb0ES3_jPlPS6_PKS6_NS0_5tupleIJS9_S6_EEENSD_IJSA_SA_EEENS0_18inequality_wrapperIZN2at6native12_GLOBAL__N_124unique_dim_cuda_templateIaEESt5tupleIJNSH_6TensorESM_SM_EERKSM_lbbbEUlllE0_EEPmJS6_EEE10hipError_tPvRmT3_T4_T5_T6_T7_T9_mT8_P12ihipStream_tbDpT10_ENKUlT_T0_E_clISt17integral_constantIbLb0EES1B_IbLb1EEEEDaS17_S18_EUlS17_E_NS1_11comp_targetILNS1_3genE5ELNS1_11target_archE942ELNS1_3gpuE9ELNS1_3repE0EEENS1_30default_config_static_selectorELNS0_4arch9wavefront6targetE1EEEvT1_: ; @_ZN7rocprim17ROCPRIM_400000_NS6detail17trampoline_kernelINS0_14default_configENS1_25partition_config_selectorILNS1_17partition_subalgoE8ElNS0_10empty_typeEbEEZZNS1_14partition_implILS5_8ELb0ES3_jPlPS6_PKS6_NS0_5tupleIJS9_S6_EEENSD_IJSA_SA_EEENS0_18inequality_wrapperIZN2at6native12_GLOBAL__N_124unique_dim_cuda_templateIaEESt5tupleIJNSH_6TensorESM_SM_EERKSM_lbbbEUlllE0_EEPmJS6_EEE10hipError_tPvRmT3_T4_T5_T6_T7_T9_mT8_P12ihipStream_tbDpT10_ENKUlT_T0_E_clISt17integral_constantIbLb0EES1B_IbLb1EEEEDaS17_S18_EUlS17_E_NS1_11comp_targetILNS1_3genE5ELNS1_11target_archE942ELNS1_3gpuE9ELNS1_3repE0EEENS1_30default_config_static_selectorELNS0_4arch9wavefront6targetE1EEEvT1_
; %bb.0:
	.section	.rodata,"a",@progbits
	.p2align	6, 0x0
	.amdhsa_kernel _ZN7rocprim17ROCPRIM_400000_NS6detail17trampoline_kernelINS0_14default_configENS1_25partition_config_selectorILNS1_17partition_subalgoE8ElNS0_10empty_typeEbEEZZNS1_14partition_implILS5_8ELb0ES3_jPlPS6_PKS6_NS0_5tupleIJS9_S6_EEENSD_IJSA_SA_EEENS0_18inequality_wrapperIZN2at6native12_GLOBAL__N_124unique_dim_cuda_templateIaEESt5tupleIJNSH_6TensorESM_SM_EERKSM_lbbbEUlllE0_EEPmJS6_EEE10hipError_tPvRmT3_T4_T5_T6_T7_T9_mT8_P12ihipStream_tbDpT10_ENKUlT_T0_E_clISt17integral_constantIbLb0EES1B_IbLb1EEEEDaS17_S18_EUlS17_E_NS1_11comp_targetILNS1_3genE5ELNS1_11target_archE942ELNS1_3gpuE9ELNS1_3repE0EEENS1_30default_config_static_selectorELNS0_4arch9wavefront6targetE1EEEvT1_
		.amdhsa_group_segment_fixed_size 0
		.amdhsa_private_segment_fixed_size 0
		.amdhsa_kernarg_size 136
		.amdhsa_user_sgpr_count 2
		.amdhsa_user_sgpr_dispatch_ptr 0
		.amdhsa_user_sgpr_queue_ptr 0
		.amdhsa_user_sgpr_kernarg_segment_ptr 1
		.amdhsa_user_sgpr_dispatch_id 0
		.amdhsa_user_sgpr_kernarg_preload_length 0
		.amdhsa_user_sgpr_kernarg_preload_offset 0
		.amdhsa_user_sgpr_private_segment_size 0
		.amdhsa_uses_dynamic_stack 0
		.amdhsa_enable_private_segment 0
		.amdhsa_system_sgpr_workgroup_id_x 1
		.amdhsa_system_sgpr_workgroup_id_y 0
		.amdhsa_system_sgpr_workgroup_id_z 0
		.amdhsa_system_sgpr_workgroup_info 0
		.amdhsa_system_vgpr_workitem_id 0
		.amdhsa_next_free_vgpr 1
		.amdhsa_next_free_sgpr 0
		.amdhsa_accum_offset 4
		.amdhsa_reserve_vcc 0
		.amdhsa_float_round_mode_32 0
		.amdhsa_float_round_mode_16_64 0
		.amdhsa_float_denorm_mode_32 3
		.amdhsa_float_denorm_mode_16_64 3
		.amdhsa_dx10_clamp 1
		.amdhsa_ieee_mode 1
		.amdhsa_fp16_overflow 0
		.amdhsa_tg_split 0
		.amdhsa_exception_fp_ieee_invalid_op 0
		.amdhsa_exception_fp_denorm_src 0
		.amdhsa_exception_fp_ieee_div_zero 0
		.amdhsa_exception_fp_ieee_overflow 0
		.amdhsa_exception_fp_ieee_underflow 0
		.amdhsa_exception_fp_ieee_inexact 0
		.amdhsa_exception_int_div_zero 0
	.end_amdhsa_kernel
	.section	.text._ZN7rocprim17ROCPRIM_400000_NS6detail17trampoline_kernelINS0_14default_configENS1_25partition_config_selectorILNS1_17partition_subalgoE8ElNS0_10empty_typeEbEEZZNS1_14partition_implILS5_8ELb0ES3_jPlPS6_PKS6_NS0_5tupleIJS9_S6_EEENSD_IJSA_SA_EEENS0_18inequality_wrapperIZN2at6native12_GLOBAL__N_124unique_dim_cuda_templateIaEESt5tupleIJNSH_6TensorESM_SM_EERKSM_lbbbEUlllE0_EEPmJS6_EEE10hipError_tPvRmT3_T4_T5_T6_T7_T9_mT8_P12ihipStream_tbDpT10_ENKUlT_T0_E_clISt17integral_constantIbLb0EES1B_IbLb1EEEEDaS17_S18_EUlS17_E_NS1_11comp_targetILNS1_3genE5ELNS1_11target_archE942ELNS1_3gpuE9ELNS1_3repE0EEENS1_30default_config_static_selectorELNS0_4arch9wavefront6targetE1EEEvT1_,"axG",@progbits,_ZN7rocprim17ROCPRIM_400000_NS6detail17trampoline_kernelINS0_14default_configENS1_25partition_config_selectorILNS1_17partition_subalgoE8ElNS0_10empty_typeEbEEZZNS1_14partition_implILS5_8ELb0ES3_jPlPS6_PKS6_NS0_5tupleIJS9_S6_EEENSD_IJSA_SA_EEENS0_18inequality_wrapperIZN2at6native12_GLOBAL__N_124unique_dim_cuda_templateIaEESt5tupleIJNSH_6TensorESM_SM_EERKSM_lbbbEUlllE0_EEPmJS6_EEE10hipError_tPvRmT3_T4_T5_T6_T7_T9_mT8_P12ihipStream_tbDpT10_ENKUlT_T0_E_clISt17integral_constantIbLb0EES1B_IbLb1EEEEDaS17_S18_EUlS17_E_NS1_11comp_targetILNS1_3genE5ELNS1_11target_archE942ELNS1_3gpuE9ELNS1_3repE0EEENS1_30default_config_static_selectorELNS0_4arch9wavefront6targetE1EEEvT1_,comdat
.Lfunc_end344:
	.size	_ZN7rocprim17ROCPRIM_400000_NS6detail17trampoline_kernelINS0_14default_configENS1_25partition_config_selectorILNS1_17partition_subalgoE8ElNS0_10empty_typeEbEEZZNS1_14partition_implILS5_8ELb0ES3_jPlPS6_PKS6_NS0_5tupleIJS9_S6_EEENSD_IJSA_SA_EEENS0_18inequality_wrapperIZN2at6native12_GLOBAL__N_124unique_dim_cuda_templateIaEESt5tupleIJNSH_6TensorESM_SM_EERKSM_lbbbEUlllE0_EEPmJS6_EEE10hipError_tPvRmT3_T4_T5_T6_T7_T9_mT8_P12ihipStream_tbDpT10_ENKUlT_T0_E_clISt17integral_constantIbLb0EES1B_IbLb1EEEEDaS17_S18_EUlS17_E_NS1_11comp_targetILNS1_3genE5ELNS1_11target_archE942ELNS1_3gpuE9ELNS1_3repE0EEENS1_30default_config_static_selectorELNS0_4arch9wavefront6targetE1EEEvT1_, .Lfunc_end344-_ZN7rocprim17ROCPRIM_400000_NS6detail17trampoline_kernelINS0_14default_configENS1_25partition_config_selectorILNS1_17partition_subalgoE8ElNS0_10empty_typeEbEEZZNS1_14partition_implILS5_8ELb0ES3_jPlPS6_PKS6_NS0_5tupleIJS9_S6_EEENSD_IJSA_SA_EEENS0_18inequality_wrapperIZN2at6native12_GLOBAL__N_124unique_dim_cuda_templateIaEESt5tupleIJNSH_6TensorESM_SM_EERKSM_lbbbEUlllE0_EEPmJS6_EEE10hipError_tPvRmT3_T4_T5_T6_T7_T9_mT8_P12ihipStream_tbDpT10_ENKUlT_T0_E_clISt17integral_constantIbLb0EES1B_IbLb1EEEEDaS17_S18_EUlS17_E_NS1_11comp_targetILNS1_3genE5ELNS1_11target_archE942ELNS1_3gpuE9ELNS1_3repE0EEENS1_30default_config_static_selectorELNS0_4arch9wavefront6targetE1EEEvT1_
                                        ; -- End function
	.set _ZN7rocprim17ROCPRIM_400000_NS6detail17trampoline_kernelINS0_14default_configENS1_25partition_config_selectorILNS1_17partition_subalgoE8ElNS0_10empty_typeEbEEZZNS1_14partition_implILS5_8ELb0ES3_jPlPS6_PKS6_NS0_5tupleIJS9_S6_EEENSD_IJSA_SA_EEENS0_18inequality_wrapperIZN2at6native12_GLOBAL__N_124unique_dim_cuda_templateIaEESt5tupleIJNSH_6TensorESM_SM_EERKSM_lbbbEUlllE0_EEPmJS6_EEE10hipError_tPvRmT3_T4_T5_T6_T7_T9_mT8_P12ihipStream_tbDpT10_ENKUlT_T0_E_clISt17integral_constantIbLb0EES1B_IbLb1EEEEDaS17_S18_EUlS17_E_NS1_11comp_targetILNS1_3genE5ELNS1_11target_archE942ELNS1_3gpuE9ELNS1_3repE0EEENS1_30default_config_static_selectorELNS0_4arch9wavefront6targetE1EEEvT1_.num_vgpr, 0
	.set _ZN7rocprim17ROCPRIM_400000_NS6detail17trampoline_kernelINS0_14default_configENS1_25partition_config_selectorILNS1_17partition_subalgoE8ElNS0_10empty_typeEbEEZZNS1_14partition_implILS5_8ELb0ES3_jPlPS6_PKS6_NS0_5tupleIJS9_S6_EEENSD_IJSA_SA_EEENS0_18inequality_wrapperIZN2at6native12_GLOBAL__N_124unique_dim_cuda_templateIaEESt5tupleIJNSH_6TensorESM_SM_EERKSM_lbbbEUlllE0_EEPmJS6_EEE10hipError_tPvRmT3_T4_T5_T6_T7_T9_mT8_P12ihipStream_tbDpT10_ENKUlT_T0_E_clISt17integral_constantIbLb0EES1B_IbLb1EEEEDaS17_S18_EUlS17_E_NS1_11comp_targetILNS1_3genE5ELNS1_11target_archE942ELNS1_3gpuE9ELNS1_3repE0EEENS1_30default_config_static_selectorELNS0_4arch9wavefront6targetE1EEEvT1_.num_agpr, 0
	.set _ZN7rocprim17ROCPRIM_400000_NS6detail17trampoline_kernelINS0_14default_configENS1_25partition_config_selectorILNS1_17partition_subalgoE8ElNS0_10empty_typeEbEEZZNS1_14partition_implILS5_8ELb0ES3_jPlPS6_PKS6_NS0_5tupleIJS9_S6_EEENSD_IJSA_SA_EEENS0_18inequality_wrapperIZN2at6native12_GLOBAL__N_124unique_dim_cuda_templateIaEESt5tupleIJNSH_6TensorESM_SM_EERKSM_lbbbEUlllE0_EEPmJS6_EEE10hipError_tPvRmT3_T4_T5_T6_T7_T9_mT8_P12ihipStream_tbDpT10_ENKUlT_T0_E_clISt17integral_constantIbLb0EES1B_IbLb1EEEEDaS17_S18_EUlS17_E_NS1_11comp_targetILNS1_3genE5ELNS1_11target_archE942ELNS1_3gpuE9ELNS1_3repE0EEENS1_30default_config_static_selectorELNS0_4arch9wavefront6targetE1EEEvT1_.numbered_sgpr, 0
	.set _ZN7rocprim17ROCPRIM_400000_NS6detail17trampoline_kernelINS0_14default_configENS1_25partition_config_selectorILNS1_17partition_subalgoE8ElNS0_10empty_typeEbEEZZNS1_14partition_implILS5_8ELb0ES3_jPlPS6_PKS6_NS0_5tupleIJS9_S6_EEENSD_IJSA_SA_EEENS0_18inequality_wrapperIZN2at6native12_GLOBAL__N_124unique_dim_cuda_templateIaEESt5tupleIJNSH_6TensorESM_SM_EERKSM_lbbbEUlllE0_EEPmJS6_EEE10hipError_tPvRmT3_T4_T5_T6_T7_T9_mT8_P12ihipStream_tbDpT10_ENKUlT_T0_E_clISt17integral_constantIbLb0EES1B_IbLb1EEEEDaS17_S18_EUlS17_E_NS1_11comp_targetILNS1_3genE5ELNS1_11target_archE942ELNS1_3gpuE9ELNS1_3repE0EEENS1_30default_config_static_selectorELNS0_4arch9wavefront6targetE1EEEvT1_.num_named_barrier, 0
	.set _ZN7rocprim17ROCPRIM_400000_NS6detail17trampoline_kernelINS0_14default_configENS1_25partition_config_selectorILNS1_17partition_subalgoE8ElNS0_10empty_typeEbEEZZNS1_14partition_implILS5_8ELb0ES3_jPlPS6_PKS6_NS0_5tupleIJS9_S6_EEENSD_IJSA_SA_EEENS0_18inequality_wrapperIZN2at6native12_GLOBAL__N_124unique_dim_cuda_templateIaEESt5tupleIJNSH_6TensorESM_SM_EERKSM_lbbbEUlllE0_EEPmJS6_EEE10hipError_tPvRmT3_T4_T5_T6_T7_T9_mT8_P12ihipStream_tbDpT10_ENKUlT_T0_E_clISt17integral_constantIbLb0EES1B_IbLb1EEEEDaS17_S18_EUlS17_E_NS1_11comp_targetILNS1_3genE5ELNS1_11target_archE942ELNS1_3gpuE9ELNS1_3repE0EEENS1_30default_config_static_selectorELNS0_4arch9wavefront6targetE1EEEvT1_.private_seg_size, 0
	.set _ZN7rocprim17ROCPRIM_400000_NS6detail17trampoline_kernelINS0_14default_configENS1_25partition_config_selectorILNS1_17partition_subalgoE8ElNS0_10empty_typeEbEEZZNS1_14partition_implILS5_8ELb0ES3_jPlPS6_PKS6_NS0_5tupleIJS9_S6_EEENSD_IJSA_SA_EEENS0_18inequality_wrapperIZN2at6native12_GLOBAL__N_124unique_dim_cuda_templateIaEESt5tupleIJNSH_6TensorESM_SM_EERKSM_lbbbEUlllE0_EEPmJS6_EEE10hipError_tPvRmT3_T4_T5_T6_T7_T9_mT8_P12ihipStream_tbDpT10_ENKUlT_T0_E_clISt17integral_constantIbLb0EES1B_IbLb1EEEEDaS17_S18_EUlS17_E_NS1_11comp_targetILNS1_3genE5ELNS1_11target_archE942ELNS1_3gpuE9ELNS1_3repE0EEENS1_30default_config_static_selectorELNS0_4arch9wavefront6targetE1EEEvT1_.uses_vcc, 0
	.set _ZN7rocprim17ROCPRIM_400000_NS6detail17trampoline_kernelINS0_14default_configENS1_25partition_config_selectorILNS1_17partition_subalgoE8ElNS0_10empty_typeEbEEZZNS1_14partition_implILS5_8ELb0ES3_jPlPS6_PKS6_NS0_5tupleIJS9_S6_EEENSD_IJSA_SA_EEENS0_18inequality_wrapperIZN2at6native12_GLOBAL__N_124unique_dim_cuda_templateIaEESt5tupleIJNSH_6TensorESM_SM_EERKSM_lbbbEUlllE0_EEPmJS6_EEE10hipError_tPvRmT3_T4_T5_T6_T7_T9_mT8_P12ihipStream_tbDpT10_ENKUlT_T0_E_clISt17integral_constantIbLb0EES1B_IbLb1EEEEDaS17_S18_EUlS17_E_NS1_11comp_targetILNS1_3genE5ELNS1_11target_archE942ELNS1_3gpuE9ELNS1_3repE0EEENS1_30default_config_static_selectorELNS0_4arch9wavefront6targetE1EEEvT1_.uses_flat_scratch, 0
	.set _ZN7rocprim17ROCPRIM_400000_NS6detail17trampoline_kernelINS0_14default_configENS1_25partition_config_selectorILNS1_17partition_subalgoE8ElNS0_10empty_typeEbEEZZNS1_14partition_implILS5_8ELb0ES3_jPlPS6_PKS6_NS0_5tupleIJS9_S6_EEENSD_IJSA_SA_EEENS0_18inequality_wrapperIZN2at6native12_GLOBAL__N_124unique_dim_cuda_templateIaEESt5tupleIJNSH_6TensorESM_SM_EERKSM_lbbbEUlllE0_EEPmJS6_EEE10hipError_tPvRmT3_T4_T5_T6_T7_T9_mT8_P12ihipStream_tbDpT10_ENKUlT_T0_E_clISt17integral_constantIbLb0EES1B_IbLb1EEEEDaS17_S18_EUlS17_E_NS1_11comp_targetILNS1_3genE5ELNS1_11target_archE942ELNS1_3gpuE9ELNS1_3repE0EEENS1_30default_config_static_selectorELNS0_4arch9wavefront6targetE1EEEvT1_.has_dyn_sized_stack, 0
	.set _ZN7rocprim17ROCPRIM_400000_NS6detail17trampoline_kernelINS0_14default_configENS1_25partition_config_selectorILNS1_17partition_subalgoE8ElNS0_10empty_typeEbEEZZNS1_14partition_implILS5_8ELb0ES3_jPlPS6_PKS6_NS0_5tupleIJS9_S6_EEENSD_IJSA_SA_EEENS0_18inequality_wrapperIZN2at6native12_GLOBAL__N_124unique_dim_cuda_templateIaEESt5tupleIJNSH_6TensorESM_SM_EERKSM_lbbbEUlllE0_EEPmJS6_EEE10hipError_tPvRmT3_T4_T5_T6_T7_T9_mT8_P12ihipStream_tbDpT10_ENKUlT_T0_E_clISt17integral_constantIbLb0EES1B_IbLb1EEEEDaS17_S18_EUlS17_E_NS1_11comp_targetILNS1_3genE5ELNS1_11target_archE942ELNS1_3gpuE9ELNS1_3repE0EEENS1_30default_config_static_selectorELNS0_4arch9wavefront6targetE1EEEvT1_.has_recursion, 0
	.set _ZN7rocprim17ROCPRIM_400000_NS6detail17trampoline_kernelINS0_14default_configENS1_25partition_config_selectorILNS1_17partition_subalgoE8ElNS0_10empty_typeEbEEZZNS1_14partition_implILS5_8ELb0ES3_jPlPS6_PKS6_NS0_5tupleIJS9_S6_EEENSD_IJSA_SA_EEENS0_18inequality_wrapperIZN2at6native12_GLOBAL__N_124unique_dim_cuda_templateIaEESt5tupleIJNSH_6TensorESM_SM_EERKSM_lbbbEUlllE0_EEPmJS6_EEE10hipError_tPvRmT3_T4_T5_T6_T7_T9_mT8_P12ihipStream_tbDpT10_ENKUlT_T0_E_clISt17integral_constantIbLb0EES1B_IbLb1EEEEDaS17_S18_EUlS17_E_NS1_11comp_targetILNS1_3genE5ELNS1_11target_archE942ELNS1_3gpuE9ELNS1_3repE0EEENS1_30default_config_static_selectorELNS0_4arch9wavefront6targetE1EEEvT1_.has_indirect_call, 0
	.section	.AMDGPU.csdata,"",@progbits
; Kernel info:
; codeLenInByte = 0
; TotalNumSgprs: 6
; NumVgprs: 0
; NumAgprs: 0
; TotalNumVgprs: 0
; ScratchSize: 0
; MemoryBound: 0
; FloatMode: 240
; IeeeMode: 1
; LDSByteSize: 0 bytes/workgroup (compile time only)
; SGPRBlocks: 0
; VGPRBlocks: 0
; NumSGPRsForWavesPerEU: 6
; NumVGPRsForWavesPerEU: 1
; AccumOffset: 4
; Occupancy: 8
; WaveLimiterHint : 0
; COMPUTE_PGM_RSRC2:SCRATCH_EN: 0
; COMPUTE_PGM_RSRC2:USER_SGPR: 2
; COMPUTE_PGM_RSRC2:TRAP_HANDLER: 0
; COMPUTE_PGM_RSRC2:TGID_X_EN: 1
; COMPUTE_PGM_RSRC2:TGID_Y_EN: 0
; COMPUTE_PGM_RSRC2:TGID_Z_EN: 0
; COMPUTE_PGM_RSRC2:TIDIG_COMP_CNT: 0
; COMPUTE_PGM_RSRC3_GFX90A:ACCUM_OFFSET: 0
; COMPUTE_PGM_RSRC3_GFX90A:TG_SPLIT: 0
	.section	.text._ZN7rocprim17ROCPRIM_400000_NS6detail17trampoline_kernelINS0_14default_configENS1_25partition_config_selectorILNS1_17partition_subalgoE8ElNS0_10empty_typeEbEEZZNS1_14partition_implILS5_8ELb0ES3_jPlPS6_PKS6_NS0_5tupleIJS9_S6_EEENSD_IJSA_SA_EEENS0_18inequality_wrapperIZN2at6native12_GLOBAL__N_124unique_dim_cuda_templateIaEESt5tupleIJNSH_6TensorESM_SM_EERKSM_lbbbEUlllE0_EEPmJS6_EEE10hipError_tPvRmT3_T4_T5_T6_T7_T9_mT8_P12ihipStream_tbDpT10_ENKUlT_T0_E_clISt17integral_constantIbLb0EES1B_IbLb1EEEEDaS17_S18_EUlS17_E_NS1_11comp_targetILNS1_3genE4ELNS1_11target_archE910ELNS1_3gpuE8ELNS1_3repE0EEENS1_30default_config_static_selectorELNS0_4arch9wavefront6targetE1EEEvT1_,"axG",@progbits,_ZN7rocprim17ROCPRIM_400000_NS6detail17trampoline_kernelINS0_14default_configENS1_25partition_config_selectorILNS1_17partition_subalgoE8ElNS0_10empty_typeEbEEZZNS1_14partition_implILS5_8ELb0ES3_jPlPS6_PKS6_NS0_5tupleIJS9_S6_EEENSD_IJSA_SA_EEENS0_18inequality_wrapperIZN2at6native12_GLOBAL__N_124unique_dim_cuda_templateIaEESt5tupleIJNSH_6TensorESM_SM_EERKSM_lbbbEUlllE0_EEPmJS6_EEE10hipError_tPvRmT3_T4_T5_T6_T7_T9_mT8_P12ihipStream_tbDpT10_ENKUlT_T0_E_clISt17integral_constantIbLb0EES1B_IbLb1EEEEDaS17_S18_EUlS17_E_NS1_11comp_targetILNS1_3genE4ELNS1_11target_archE910ELNS1_3gpuE8ELNS1_3repE0EEENS1_30default_config_static_selectorELNS0_4arch9wavefront6targetE1EEEvT1_,comdat
	.globl	_ZN7rocprim17ROCPRIM_400000_NS6detail17trampoline_kernelINS0_14default_configENS1_25partition_config_selectorILNS1_17partition_subalgoE8ElNS0_10empty_typeEbEEZZNS1_14partition_implILS5_8ELb0ES3_jPlPS6_PKS6_NS0_5tupleIJS9_S6_EEENSD_IJSA_SA_EEENS0_18inequality_wrapperIZN2at6native12_GLOBAL__N_124unique_dim_cuda_templateIaEESt5tupleIJNSH_6TensorESM_SM_EERKSM_lbbbEUlllE0_EEPmJS6_EEE10hipError_tPvRmT3_T4_T5_T6_T7_T9_mT8_P12ihipStream_tbDpT10_ENKUlT_T0_E_clISt17integral_constantIbLb0EES1B_IbLb1EEEEDaS17_S18_EUlS17_E_NS1_11comp_targetILNS1_3genE4ELNS1_11target_archE910ELNS1_3gpuE8ELNS1_3repE0EEENS1_30default_config_static_selectorELNS0_4arch9wavefront6targetE1EEEvT1_ ; -- Begin function _ZN7rocprim17ROCPRIM_400000_NS6detail17trampoline_kernelINS0_14default_configENS1_25partition_config_selectorILNS1_17partition_subalgoE8ElNS0_10empty_typeEbEEZZNS1_14partition_implILS5_8ELb0ES3_jPlPS6_PKS6_NS0_5tupleIJS9_S6_EEENSD_IJSA_SA_EEENS0_18inequality_wrapperIZN2at6native12_GLOBAL__N_124unique_dim_cuda_templateIaEESt5tupleIJNSH_6TensorESM_SM_EERKSM_lbbbEUlllE0_EEPmJS6_EEE10hipError_tPvRmT3_T4_T5_T6_T7_T9_mT8_P12ihipStream_tbDpT10_ENKUlT_T0_E_clISt17integral_constantIbLb0EES1B_IbLb1EEEEDaS17_S18_EUlS17_E_NS1_11comp_targetILNS1_3genE4ELNS1_11target_archE910ELNS1_3gpuE8ELNS1_3repE0EEENS1_30default_config_static_selectorELNS0_4arch9wavefront6targetE1EEEvT1_
	.p2align	8
	.type	_ZN7rocprim17ROCPRIM_400000_NS6detail17trampoline_kernelINS0_14default_configENS1_25partition_config_selectorILNS1_17partition_subalgoE8ElNS0_10empty_typeEbEEZZNS1_14partition_implILS5_8ELb0ES3_jPlPS6_PKS6_NS0_5tupleIJS9_S6_EEENSD_IJSA_SA_EEENS0_18inequality_wrapperIZN2at6native12_GLOBAL__N_124unique_dim_cuda_templateIaEESt5tupleIJNSH_6TensorESM_SM_EERKSM_lbbbEUlllE0_EEPmJS6_EEE10hipError_tPvRmT3_T4_T5_T6_T7_T9_mT8_P12ihipStream_tbDpT10_ENKUlT_T0_E_clISt17integral_constantIbLb0EES1B_IbLb1EEEEDaS17_S18_EUlS17_E_NS1_11comp_targetILNS1_3genE4ELNS1_11target_archE910ELNS1_3gpuE8ELNS1_3repE0EEENS1_30default_config_static_selectorELNS0_4arch9wavefront6targetE1EEEvT1_,@function
_ZN7rocprim17ROCPRIM_400000_NS6detail17trampoline_kernelINS0_14default_configENS1_25partition_config_selectorILNS1_17partition_subalgoE8ElNS0_10empty_typeEbEEZZNS1_14partition_implILS5_8ELb0ES3_jPlPS6_PKS6_NS0_5tupleIJS9_S6_EEENSD_IJSA_SA_EEENS0_18inequality_wrapperIZN2at6native12_GLOBAL__N_124unique_dim_cuda_templateIaEESt5tupleIJNSH_6TensorESM_SM_EERKSM_lbbbEUlllE0_EEPmJS6_EEE10hipError_tPvRmT3_T4_T5_T6_T7_T9_mT8_P12ihipStream_tbDpT10_ENKUlT_T0_E_clISt17integral_constantIbLb0EES1B_IbLb1EEEEDaS17_S18_EUlS17_E_NS1_11comp_targetILNS1_3genE4ELNS1_11target_archE910ELNS1_3gpuE8ELNS1_3repE0EEENS1_30default_config_static_selectorELNS0_4arch9wavefront6targetE1EEEvT1_: ; @_ZN7rocprim17ROCPRIM_400000_NS6detail17trampoline_kernelINS0_14default_configENS1_25partition_config_selectorILNS1_17partition_subalgoE8ElNS0_10empty_typeEbEEZZNS1_14partition_implILS5_8ELb0ES3_jPlPS6_PKS6_NS0_5tupleIJS9_S6_EEENSD_IJSA_SA_EEENS0_18inequality_wrapperIZN2at6native12_GLOBAL__N_124unique_dim_cuda_templateIaEESt5tupleIJNSH_6TensorESM_SM_EERKSM_lbbbEUlllE0_EEPmJS6_EEE10hipError_tPvRmT3_T4_T5_T6_T7_T9_mT8_P12ihipStream_tbDpT10_ENKUlT_T0_E_clISt17integral_constantIbLb0EES1B_IbLb1EEEEDaS17_S18_EUlS17_E_NS1_11comp_targetILNS1_3genE4ELNS1_11target_archE910ELNS1_3gpuE8ELNS1_3repE0EEENS1_30default_config_static_selectorELNS0_4arch9wavefront6targetE1EEEvT1_
; %bb.0:
	.section	.rodata,"a",@progbits
	.p2align	6, 0x0
	.amdhsa_kernel _ZN7rocprim17ROCPRIM_400000_NS6detail17trampoline_kernelINS0_14default_configENS1_25partition_config_selectorILNS1_17partition_subalgoE8ElNS0_10empty_typeEbEEZZNS1_14partition_implILS5_8ELb0ES3_jPlPS6_PKS6_NS0_5tupleIJS9_S6_EEENSD_IJSA_SA_EEENS0_18inequality_wrapperIZN2at6native12_GLOBAL__N_124unique_dim_cuda_templateIaEESt5tupleIJNSH_6TensorESM_SM_EERKSM_lbbbEUlllE0_EEPmJS6_EEE10hipError_tPvRmT3_T4_T5_T6_T7_T9_mT8_P12ihipStream_tbDpT10_ENKUlT_T0_E_clISt17integral_constantIbLb0EES1B_IbLb1EEEEDaS17_S18_EUlS17_E_NS1_11comp_targetILNS1_3genE4ELNS1_11target_archE910ELNS1_3gpuE8ELNS1_3repE0EEENS1_30default_config_static_selectorELNS0_4arch9wavefront6targetE1EEEvT1_
		.amdhsa_group_segment_fixed_size 0
		.amdhsa_private_segment_fixed_size 0
		.amdhsa_kernarg_size 136
		.amdhsa_user_sgpr_count 2
		.amdhsa_user_sgpr_dispatch_ptr 0
		.amdhsa_user_sgpr_queue_ptr 0
		.amdhsa_user_sgpr_kernarg_segment_ptr 1
		.amdhsa_user_sgpr_dispatch_id 0
		.amdhsa_user_sgpr_kernarg_preload_length 0
		.amdhsa_user_sgpr_kernarg_preload_offset 0
		.amdhsa_user_sgpr_private_segment_size 0
		.amdhsa_uses_dynamic_stack 0
		.amdhsa_enable_private_segment 0
		.amdhsa_system_sgpr_workgroup_id_x 1
		.amdhsa_system_sgpr_workgroup_id_y 0
		.amdhsa_system_sgpr_workgroup_id_z 0
		.amdhsa_system_sgpr_workgroup_info 0
		.amdhsa_system_vgpr_workitem_id 0
		.amdhsa_next_free_vgpr 1
		.amdhsa_next_free_sgpr 0
		.amdhsa_accum_offset 4
		.amdhsa_reserve_vcc 0
		.amdhsa_float_round_mode_32 0
		.amdhsa_float_round_mode_16_64 0
		.amdhsa_float_denorm_mode_32 3
		.amdhsa_float_denorm_mode_16_64 3
		.amdhsa_dx10_clamp 1
		.amdhsa_ieee_mode 1
		.amdhsa_fp16_overflow 0
		.amdhsa_tg_split 0
		.amdhsa_exception_fp_ieee_invalid_op 0
		.amdhsa_exception_fp_denorm_src 0
		.amdhsa_exception_fp_ieee_div_zero 0
		.amdhsa_exception_fp_ieee_overflow 0
		.amdhsa_exception_fp_ieee_underflow 0
		.amdhsa_exception_fp_ieee_inexact 0
		.amdhsa_exception_int_div_zero 0
	.end_amdhsa_kernel
	.section	.text._ZN7rocprim17ROCPRIM_400000_NS6detail17trampoline_kernelINS0_14default_configENS1_25partition_config_selectorILNS1_17partition_subalgoE8ElNS0_10empty_typeEbEEZZNS1_14partition_implILS5_8ELb0ES3_jPlPS6_PKS6_NS0_5tupleIJS9_S6_EEENSD_IJSA_SA_EEENS0_18inequality_wrapperIZN2at6native12_GLOBAL__N_124unique_dim_cuda_templateIaEESt5tupleIJNSH_6TensorESM_SM_EERKSM_lbbbEUlllE0_EEPmJS6_EEE10hipError_tPvRmT3_T4_T5_T6_T7_T9_mT8_P12ihipStream_tbDpT10_ENKUlT_T0_E_clISt17integral_constantIbLb0EES1B_IbLb1EEEEDaS17_S18_EUlS17_E_NS1_11comp_targetILNS1_3genE4ELNS1_11target_archE910ELNS1_3gpuE8ELNS1_3repE0EEENS1_30default_config_static_selectorELNS0_4arch9wavefront6targetE1EEEvT1_,"axG",@progbits,_ZN7rocprim17ROCPRIM_400000_NS6detail17trampoline_kernelINS0_14default_configENS1_25partition_config_selectorILNS1_17partition_subalgoE8ElNS0_10empty_typeEbEEZZNS1_14partition_implILS5_8ELb0ES3_jPlPS6_PKS6_NS0_5tupleIJS9_S6_EEENSD_IJSA_SA_EEENS0_18inequality_wrapperIZN2at6native12_GLOBAL__N_124unique_dim_cuda_templateIaEESt5tupleIJNSH_6TensorESM_SM_EERKSM_lbbbEUlllE0_EEPmJS6_EEE10hipError_tPvRmT3_T4_T5_T6_T7_T9_mT8_P12ihipStream_tbDpT10_ENKUlT_T0_E_clISt17integral_constantIbLb0EES1B_IbLb1EEEEDaS17_S18_EUlS17_E_NS1_11comp_targetILNS1_3genE4ELNS1_11target_archE910ELNS1_3gpuE8ELNS1_3repE0EEENS1_30default_config_static_selectorELNS0_4arch9wavefront6targetE1EEEvT1_,comdat
.Lfunc_end345:
	.size	_ZN7rocprim17ROCPRIM_400000_NS6detail17trampoline_kernelINS0_14default_configENS1_25partition_config_selectorILNS1_17partition_subalgoE8ElNS0_10empty_typeEbEEZZNS1_14partition_implILS5_8ELb0ES3_jPlPS6_PKS6_NS0_5tupleIJS9_S6_EEENSD_IJSA_SA_EEENS0_18inequality_wrapperIZN2at6native12_GLOBAL__N_124unique_dim_cuda_templateIaEESt5tupleIJNSH_6TensorESM_SM_EERKSM_lbbbEUlllE0_EEPmJS6_EEE10hipError_tPvRmT3_T4_T5_T6_T7_T9_mT8_P12ihipStream_tbDpT10_ENKUlT_T0_E_clISt17integral_constantIbLb0EES1B_IbLb1EEEEDaS17_S18_EUlS17_E_NS1_11comp_targetILNS1_3genE4ELNS1_11target_archE910ELNS1_3gpuE8ELNS1_3repE0EEENS1_30default_config_static_selectorELNS0_4arch9wavefront6targetE1EEEvT1_, .Lfunc_end345-_ZN7rocprim17ROCPRIM_400000_NS6detail17trampoline_kernelINS0_14default_configENS1_25partition_config_selectorILNS1_17partition_subalgoE8ElNS0_10empty_typeEbEEZZNS1_14partition_implILS5_8ELb0ES3_jPlPS6_PKS6_NS0_5tupleIJS9_S6_EEENSD_IJSA_SA_EEENS0_18inequality_wrapperIZN2at6native12_GLOBAL__N_124unique_dim_cuda_templateIaEESt5tupleIJNSH_6TensorESM_SM_EERKSM_lbbbEUlllE0_EEPmJS6_EEE10hipError_tPvRmT3_T4_T5_T6_T7_T9_mT8_P12ihipStream_tbDpT10_ENKUlT_T0_E_clISt17integral_constantIbLb0EES1B_IbLb1EEEEDaS17_S18_EUlS17_E_NS1_11comp_targetILNS1_3genE4ELNS1_11target_archE910ELNS1_3gpuE8ELNS1_3repE0EEENS1_30default_config_static_selectorELNS0_4arch9wavefront6targetE1EEEvT1_
                                        ; -- End function
	.set _ZN7rocprim17ROCPRIM_400000_NS6detail17trampoline_kernelINS0_14default_configENS1_25partition_config_selectorILNS1_17partition_subalgoE8ElNS0_10empty_typeEbEEZZNS1_14partition_implILS5_8ELb0ES3_jPlPS6_PKS6_NS0_5tupleIJS9_S6_EEENSD_IJSA_SA_EEENS0_18inequality_wrapperIZN2at6native12_GLOBAL__N_124unique_dim_cuda_templateIaEESt5tupleIJNSH_6TensorESM_SM_EERKSM_lbbbEUlllE0_EEPmJS6_EEE10hipError_tPvRmT3_T4_T5_T6_T7_T9_mT8_P12ihipStream_tbDpT10_ENKUlT_T0_E_clISt17integral_constantIbLb0EES1B_IbLb1EEEEDaS17_S18_EUlS17_E_NS1_11comp_targetILNS1_3genE4ELNS1_11target_archE910ELNS1_3gpuE8ELNS1_3repE0EEENS1_30default_config_static_selectorELNS0_4arch9wavefront6targetE1EEEvT1_.num_vgpr, 0
	.set _ZN7rocprim17ROCPRIM_400000_NS6detail17trampoline_kernelINS0_14default_configENS1_25partition_config_selectorILNS1_17partition_subalgoE8ElNS0_10empty_typeEbEEZZNS1_14partition_implILS5_8ELb0ES3_jPlPS6_PKS6_NS0_5tupleIJS9_S6_EEENSD_IJSA_SA_EEENS0_18inequality_wrapperIZN2at6native12_GLOBAL__N_124unique_dim_cuda_templateIaEESt5tupleIJNSH_6TensorESM_SM_EERKSM_lbbbEUlllE0_EEPmJS6_EEE10hipError_tPvRmT3_T4_T5_T6_T7_T9_mT8_P12ihipStream_tbDpT10_ENKUlT_T0_E_clISt17integral_constantIbLb0EES1B_IbLb1EEEEDaS17_S18_EUlS17_E_NS1_11comp_targetILNS1_3genE4ELNS1_11target_archE910ELNS1_3gpuE8ELNS1_3repE0EEENS1_30default_config_static_selectorELNS0_4arch9wavefront6targetE1EEEvT1_.num_agpr, 0
	.set _ZN7rocprim17ROCPRIM_400000_NS6detail17trampoline_kernelINS0_14default_configENS1_25partition_config_selectorILNS1_17partition_subalgoE8ElNS0_10empty_typeEbEEZZNS1_14partition_implILS5_8ELb0ES3_jPlPS6_PKS6_NS0_5tupleIJS9_S6_EEENSD_IJSA_SA_EEENS0_18inequality_wrapperIZN2at6native12_GLOBAL__N_124unique_dim_cuda_templateIaEESt5tupleIJNSH_6TensorESM_SM_EERKSM_lbbbEUlllE0_EEPmJS6_EEE10hipError_tPvRmT3_T4_T5_T6_T7_T9_mT8_P12ihipStream_tbDpT10_ENKUlT_T0_E_clISt17integral_constantIbLb0EES1B_IbLb1EEEEDaS17_S18_EUlS17_E_NS1_11comp_targetILNS1_3genE4ELNS1_11target_archE910ELNS1_3gpuE8ELNS1_3repE0EEENS1_30default_config_static_selectorELNS0_4arch9wavefront6targetE1EEEvT1_.numbered_sgpr, 0
	.set _ZN7rocprim17ROCPRIM_400000_NS6detail17trampoline_kernelINS0_14default_configENS1_25partition_config_selectorILNS1_17partition_subalgoE8ElNS0_10empty_typeEbEEZZNS1_14partition_implILS5_8ELb0ES3_jPlPS6_PKS6_NS0_5tupleIJS9_S6_EEENSD_IJSA_SA_EEENS0_18inequality_wrapperIZN2at6native12_GLOBAL__N_124unique_dim_cuda_templateIaEESt5tupleIJNSH_6TensorESM_SM_EERKSM_lbbbEUlllE0_EEPmJS6_EEE10hipError_tPvRmT3_T4_T5_T6_T7_T9_mT8_P12ihipStream_tbDpT10_ENKUlT_T0_E_clISt17integral_constantIbLb0EES1B_IbLb1EEEEDaS17_S18_EUlS17_E_NS1_11comp_targetILNS1_3genE4ELNS1_11target_archE910ELNS1_3gpuE8ELNS1_3repE0EEENS1_30default_config_static_selectorELNS0_4arch9wavefront6targetE1EEEvT1_.num_named_barrier, 0
	.set _ZN7rocprim17ROCPRIM_400000_NS6detail17trampoline_kernelINS0_14default_configENS1_25partition_config_selectorILNS1_17partition_subalgoE8ElNS0_10empty_typeEbEEZZNS1_14partition_implILS5_8ELb0ES3_jPlPS6_PKS6_NS0_5tupleIJS9_S6_EEENSD_IJSA_SA_EEENS0_18inequality_wrapperIZN2at6native12_GLOBAL__N_124unique_dim_cuda_templateIaEESt5tupleIJNSH_6TensorESM_SM_EERKSM_lbbbEUlllE0_EEPmJS6_EEE10hipError_tPvRmT3_T4_T5_T6_T7_T9_mT8_P12ihipStream_tbDpT10_ENKUlT_T0_E_clISt17integral_constantIbLb0EES1B_IbLb1EEEEDaS17_S18_EUlS17_E_NS1_11comp_targetILNS1_3genE4ELNS1_11target_archE910ELNS1_3gpuE8ELNS1_3repE0EEENS1_30default_config_static_selectorELNS0_4arch9wavefront6targetE1EEEvT1_.private_seg_size, 0
	.set _ZN7rocprim17ROCPRIM_400000_NS6detail17trampoline_kernelINS0_14default_configENS1_25partition_config_selectorILNS1_17partition_subalgoE8ElNS0_10empty_typeEbEEZZNS1_14partition_implILS5_8ELb0ES3_jPlPS6_PKS6_NS0_5tupleIJS9_S6_EEENSD_IJSA_SA_EEENS0_18inequality_wrapperIZN2at6native12_GLOBAL__N_124unique_dim_cuda_templateIaEESt5tupleIJNSH_6TensorESM_SM_EERKSM_lbbbEUlllE0_EEPmJS6_EEE10hipError_tPvRmT3_T4_T5_T6_T7_T9_mT8_P12ihipStream_tbDpT10_ENKUlT_T0_E_clISt17integral_constantIbLb0EES1B_IbLb1EEEEDaS17_S18_EUlS17_E_NS1_11comp_targetILNS1_3genE4ELNS1_11target_archE910ELNS1_3gpuE8ELNS1_3repE0EEENS1_30default_config_static_selectorELNS0_4arch9wavefront6targetE1EEEvT1_.uses_vcc, 0
	.set _ZN7rocprim17ROCPRIM_400000_NS6detail17trampoline_kernelINS0_14default_configENS1_25partition_config_selectorILNS1_17partition_subalgoE8ElNS0_10empty_typeEbEEZZNS1_14partition_implILS5_8ELb0ES3_jPlPS6_PKS6_NS0_5tupleIJS9_S6_EEENSD_IJSA_SA_EEENS0_18inequality_wrapperIZN2at6native12_GLOBAL__N_124unique_dim_cuda_templateIaEESt5tupleIJNSH_6TensorESM_SM_EERKSM_lbbbEUlllE0_EEPmJS6_EEE10hipError_tPvRmT3_T4_T5_T6_T7_T9_mT8_P12ihipStream_tbDpT10_ENKUlT_T0_E_clISt17integral_constantIbLb0EES1B_IbLb1EEEEDaS17_S18_EUlS17_E_NS1_11comp_targetILNS1_3genE4ELNS1_11target_archE910ELNS1_3gpuE8ELNS1_3repE0EEENS1_30default_config_static_selectorELNS0_4arch9wavefront6targetE1EEEvT1_.uses_flat_scratch, 0
	.set _ZN7rocprim17ROCPRIM_400000_NS6detail17trampoline_kernelINS0_14default_configENS1_25partition_config_selectorILNS1_17partition_subalgoE8ElNS0_10empty_typeEbEEZZNS1_14partition_implILS5_8ELb0ES3_jPlPS6_PKS6_NS0_5tupleIJS9_S6_EEENSD_IJSA_SA_EEENS0_18inequality_wrapperIZN2at6native12_GLOBAL__N_124unique_dim_cuda_templateIaEESt5tupleIJNSH_6TensorESM_SM_EERKSM_lbbbEUlllE0_EEPmJS6_EEE10hipError_tPvRmT3_T4_T5_T6_T7_T9_mT8_P12ihipStream_tbDpT10_ENKUlT_T0_E_clISt17integral_constantIbLb0EES1B_IbLb1EEEEDaS17_S18_EUlS17_E_NS1_11comp_targetILNS1_3genE4ELNS1_11target_archE910ELNS1_3gpuE8ELNS1_3repE0EEENS1_30default_config_static_selectorELNS0_4arch9wavefront6targetE1EEEvT1_.has_dyn_sized_stack, 0
	.set _ZN7rocprim17ROCPRIM_400000_NS6detail17trampoline_kernelINS0_14default_configENS1_25partition_config_selectorILNS1_17partition_subalgoE8ElNS0_10empty_typeEbEEZZNS1_14partition_implILS5_8ELb0ES3_jPlPS6_PKS6_NS0_5tupleIJS9_S6_EEENSD_IJSA_SA_EEENS0_18inequality_wrapperIZN2at6native12_GLOBAL__N_124unique_dim_cuda_templateIaEESt5tupleIJNSH_6TensorESM_SM_EERKSM_lbbbEUlllE0_EEPmJS6_EEE10hipError_tPvRmT3_T4_T5_T6_T7_T9_mT8_P12ihipStream_tbDpT10_ENKUlT_T0_E_clISt17integral_constantIbLb0EES1B_IbLb1EEEEDaS17_S18_EUlS17_E_NS1_11comp_targetILNS1_3genE4ELNS1_11target_archE910ELNS1_3gpuE8ELNS1_3repE0EEENS1_30default_config_static_selectorELNS0_4arch9wavefront6targetE1EEEvT1_.has_recursion, 0
	.set _ZN7rocprim17ROCPRIM_400000_NS6detail17trampoline_kernelINS0_14default_configENS1_25partition_config_selectorILNS1_17partition_subalgoE8ElNS0_10empty_typeEbEEZZNS1_14partition_implILS5_8ELb0ES3_jPlPS6_PKS6_NS0_5tupleIJS9_S6_EEENSD_IJSA_SA_EEENS0_18inequality_wrapperIZN2at6native12_GLOBAL__N_124unique_dim_cuda_templateIaEESt5tupleIJNSH_6TensorESM_SM_EERKSM_lbbbEUlllE0_EEPmJS6_EEE10hipError_tPvRmT3_T4_T5_T6_T7_T9_mT8_P12ihipStream_tbDpT10_ENKUlT_T0_E_clISt17integral_constantIbLb0EES1B_IbLb1EEEEDaS17_S18_EUlS17_E_NS1_11comp_targetILNS1_3genE4ELNS1_11target_archE910ELNS1_3gpuE8ELNS1_3repE0EEENS1_30default_config_static_selectorELNS0_4arch9wavefront6targetE1EEEvT1_.has_indirect_call, 0
	.section	.AMDGPU.csdata,"",@progbits
; Kernel info:
; codeLenInByte = 0
; TotalNumSgprs: 6
; NumVgprs: 0
; NumAgprs: 0
; TotalNumVgprs: 0
; ScratchSize: 0
; MemoryBound: 0
; FloatMode: 240
; IeeeMode: 1
; LDSByteSize: 0 bytes/workgroup (compile time only)
; SGPRBlocks: 0
; VGPRBlocks: 0
; NumSGPRsForWavesPerEU: 6
; NumVGPRsForWavesPerEU: 1
; AccumOffset: 4
; Occupancy: 8
; WaveLimiterHint : 0
; COMPUTE_PGM_RSRC2:SCRATCH_EN: 0
; COMPUTE_PGM_RSRC2:USER_SGPR: 2
; COMPUTE_PGM_RSRC2:TRAP_HANDLER: 0
; COMPUTE_PGM_RSRC2:TGID_X_EN: 1
; COMPUTE_PGM_RSRC2:TGID_Y_EN: 0
; COMPUTE_PGM_RSRC2:TGID_Z_EN: 0
; COMPUTE_PGM_RSRC2:TIDIG_COMP_CNT: 0
; COMPUTE_PGM_RSRC3_GFX90A:ACCUM_OFFSET: 0
; COMPUTE_PGM_RSRC3_GFX90A:TG_SPLIT: 0
	.section	.text._ZN7rocprim17ROCPRIM_400000_NS6detail17trampoline_kernelINS0_14default_configENS1_25partition_config_selectorILNS1_17partition_subalgoE8ElNS0_10empty_typeEbEEZZNS1_14partition_implILS5_8ELb0ES3_jPlPS6_PKS6_NS0_5tupleIJS9_S6_EEENSD_IJSA_SA_EEENS0_18inequality_wrapperIZN2at6native12_GLOBAL__N_124unique_dim_cuda_templateIaEESt5tupleIJNSH_6TensorESM_SM_EERKSM_lbbbEUlllE0_EEPmJS6_EEE10hipError_tPvRmT3_T4_T5_T6_T7_T9_mT8_P12ihipStream_tbDpT10_ENKUlT_T0_E_clISt17integral_constantIbLb0EES1B_IbLb1EEEEDaS17_S18_EUlS17_E_NS1_11comp_targetILNS1_3genE3ELNS1_11target_archE908ELNS1_3gpuE7ELNS1_3repE0EEENS1_30default_config_static_selectorELNS0_4arch9wavefront6targetE1EEEvT1_,"axG",@progbits,_ZN7rocprim17ROCPRIM_400000_NS6detail17trampoline_kernelINS0_14default_configENS1_25partition_config_selectorILNS1_17partition_subalgoE8ElNS0_10empty_typeEbEEZZNS1_14partition_implILS5_8ELb0ES3_jPlPS6_PKS6_NS0_5tupleIJS9_S6_EEENSD_IJSA_SA_EEENS0_18inequality_wrapperIZN2at6native12_GLOBAL__N_124unique_dim_cuda_templateIaEESt5tupleIJNSH_6TensorESM_SM_EERKSM_lbbbEUlllE0_EEPmJS6_EEE10hipError_tPvRmT3_T4_T5_T6_T7_T9_mT8_P12ihipStream_tbDpT10_ENKUlT_T0_E_clISt17integral_constantIbLb0EES1B_IbLb1EEEEDaS17_S18_EUlS17_E_NS1_11comp_targetILNS1_3genE3ELNS1_11target_archE908ELNS1_3gpuE7ELNS1_3repE0EEENS1_30default_config_static_selectorELNS0_4arch9wavefront6targetE1EEEvT1_,comdat
	.globl	_ZN7rocprim17ROCPRIM_400000_NS6detail17trampoline_kernelINS0_14default_configENS1_25partition_config_selectorILNS1_17partition_subalgoE8ElNS0_10empty_typeEbEEZZNS1_14partition_implILS5_8ELb0ES3_jPlPS6_PKS6_NS0_5tupleIJS9_S6_EEENSD_IJSA_SA_EEENS0_18inequality_wrapperIZN2at6native12_GLOBAL__N_124unique_dim_cuda_templateIaEESt5tupleIJNSH_6TensorESM_SM_EERKSM_lbbbEUlllE0_EEPmJS6_EEE10hipError_tPvRmT3_T4_T5_T6_T7_T9_mT8_P12ihipStream_tbDpT10_ENKUlT_T0_E_clISt17integral_constantIbLb0EES1B_IbLb1EEEEDaS17_S18_EUlS17_E_NS1_11comp_targetILNS1_3genE3ELNS1_11target_archE908ELNS1_3gpuE7ELNS1_3repE0EEENS1_30default_config_static_selectorELNS0_4arch9wavefront6targetE1EEEvT1_ ; -- Begin function _ZN7rocprim17ROCPRIM_400000_NS6detail17trampoline_kernelINS0_14default_configENS1_25partition_config_selectorILNS1_17partition_subalgoE8ElNS0_10empty_typeEbEEZZNS1_14partition_implILS5_8ELb0ES3_jPlPS6_PKS6_NS0_5tupleIJS9_S6_EEENSD_IJSA_SA_EEENS0_18inequality_wrapperIZN2at6native12_GLOBAL__N_124unique_dim_cuda_templateIaEESt5tupleIJNSH_6TensorESM_SM_EERKSM_lbbbEUlllE0_EEPmJS6_EEE10hipError_tPvRmT3_T4_T5_T6_T7_T9_mT8_P12ihipStream_tbDpT10_ENKUlT_T0_E_clISt17integral_constantIbLb0EES1B_IbLb1EEEEDaS17_S18_EUlS17_E_NS1_11comp_targetILNS1_3genE3ELNS1_11target_archE908ELNS1_3gpuE7ELNS1_3repE0EEENS1_30default_config_static_selectorELNS0_4arch9wavefront6targetE1EEEvT1_
	.p2align	8
	.type	_ZN7rocprim17ROCPRIM_400000_NS6detail17trampoline_kernelINS0_14default_configENS1_25partition_config_selectorILNS1_17partition_subalgoE8ElNS0_10empty_typeEbEEZZNS1_14partition_implILS5_8ELb0ES3_jPlPS6_PKS6_NS0_5tupleIJS9_S6_EEENSD_IJSA_SA_EEENS0_18inequality_wrapperIZN2at6native12_GLOBAL__N_124unique_dim_cuda_templateIaEESt5tupleIJNSH_6TensorESM_SM_EERKSM_lbbbEUlllE0_EEPmJS6_EEE10hipError_tPvRmT3_T4_T5_T6_T7_T9_mT8_P12ihipStream_tbDpT10_ENKUlT_T0_E_clISt17integral_constantIbLb0EES1B_IbLb1EEEEDaS17_S18_EUlS17_E_NS1_11comp_targetILNS1_3genE3ELNS1_11target_archE908ELNS1_3gpuE7ELNS1_3repE0EEENS1_30default_config_static_selectorELNS0_4arch9wavefront6targetE1EEEvT1_,@function
_ZN7rocprim17ROCPRIM_400000_NS6detail17trampoline_kernelINS0_14default_configENS1_25partition_config_selectorILNS1_17partition_subalgoE8ElNS0_10empty_typeEbEEZZNS1_14partition_implILS5_8ELb0ES3_jPlPS6_PKS6_NS0_5tupleIJS9_S6_EEENSD_IJSA_SA_EEENS0_18inequality_wrapperIZN2at6native12_GLOBAL__N_124unique_dim_cuda_templateIaEESt5tupleIJNSH_6TensorESM_SM_EERKSM_lbbbEUlllE0_EEPmJS6_EEE10hipError_tPvRmT3_T4_T5_T6_T7_T9_mT8_P12ihipStream_tbDpT10_ENKUlT_T0_E_clISt17integral_constantIbLb0EES1B_IbLb1EEEEDaS17_S18_EUlS17_E_NS1_11comp_targetILNS1_3genE3ELNS1_11target_archE908ELNS1_3gpuE7ELNS1_3repE0EEENS1_30default_config_static_selectorELNS0_4arch9wavefront6targetE1EEEvT1_: ; @_ZN7rocprim17ROCPRIM_400000_NS6detail17trampoline_kernelINS0_14default_configENS1_25partition_config_selectorILNS1_17partition_subalgoE8ElNS0_10empty_typeEbEEZZNS1_14partition_implILS5_8ELb0ES3_jPlPS6_PKS6_NS0_5tupleIJS9_S6_EEENSD_IJSA_SA_EEENS0_18inequality_wrapperIZN2at6native12_GLOBAL__N_124unique_dim_cuda_templateIaEESt5tupleIJNSH_6TensorESM_SM_EERKSM_lbbbEUlllE0_EEPmJS6_EEE10hipError_tPvRmT3_T4_T5_T6_T7_T9_mT8_P12ihipStream_tbDpT10_ENKUlT_T0_E_clISt17integral_constantIbLb0EES1B_IbLb1EEEEDaS17_S18_EUlS17_E_NS1_11comp_targetILNS1_3genE3ELNS1_11target_archE908ELNS1_3gpuE7ELNS1_3repE0EEENS1_30default_config_static_selectorELNS0_4arch9wavefront6targetE1EEEvT1_
; %bb.0:
	.section	.rodata,"a",@progbits
	.p2align	6, 0x0
	.amdhsa_kernel _ZN7rocprim17ROCPRIM_400000_NS6detail17trampoline_kernelINS0_14default_configENS1_25partition_config_selectorILNS1_17partition_subalgoE8ElNS0_10empty_typeEbEEZZNS1_14partition_implILS5_8ELb0ES3_jPlPS6_PKS6_NS0_5tupleIJS9_S6_EEENSD_IJSA_SA_EEENS0_18inequality_wrapperIZN2at6native12_GLOBAL__N_124unique_dim_cuda_templateIaEESt5tupleIJNSH_6TensorESM_SM_EERKSM_lbbbEUlllE0_EEPmJS6_EEE10hipError_tPvRmT3_T4_T5_T6_T7_T9_mT8_P12ihipStream_tbDpT10_ENKUlT_T0_E_clISt17integral_constantIbLb0EES1B_IbLb1EEEEDaS17_S18_EUlS17_E_NS1_11comp_targetILNS1_3genE3ELNS1_11target_archE908ELNS1_3gpuE7ELNS1_3repE0EEENS1_30default_config_static_selectorELNS0_4arch9wavefront6targetE1EEEvT1_
		.amdhsa_group_segment_fixed_size 0
		.amdhsa_private_segment_fixed_size 0
		.amdhsa_kernarg_size 136
		.amdhsa_user_sgpr_count 2
		.amdhsa_user_sgpr_dispatch_ptr 0
		.amdhsa_user_sgpr_queue_ptr 0
		.amdhsa_user_sgpr_kernarg_segment_ptr 1
		.amdhsa_user_sgpr_dispatch_id 0
		.amdhsa_user_sgpr_kernarg_preload_length 0
		.amdhsa_user_sgpr_kernarg_preload_offset 0
		.amdhsa_user_sgpr_private_segment_size 0
		.amdhsa_uses_dynamic_stack 0
		.amdhsa_enable_private_segment 0
		.amdhsa_system_sgpr_workgroup_id_x 1
		.amdhsa_system_sgpr_workgroup_id_y 0
		.amdhsa_system_sgpr_workgroup_id_z 0
		.amdhsa_system_sgpr_workgroup_info 0
		.amdhsa_system_vgpr_workitem_id 0
		.amdhsa_next_free_vgpr 1
		.amdhsa_next_free_sgpr 0
		.amdhsa_accum_offset 4
		.amdhsa_reserve_vcc 0
		.amdhsa_float_round_mode_32 0
		.amdhsa_float_round_mode_16_64 0
		.amdhsa_float_denorm_mode_32 3
		.amdhsa_float_denorm_mode_16_64 3
		.amdhsa_dx10_clamp 1
		.amdhsa_ieee_mode 1
		.amdhsa_fp16_overflow 0
		.amdhsa_tg_split 0
		.amdhsa_exception_fp_ieee_invalid_op 0
		.amdhsa_exception_fp_denorm_src 0
		.amdhsa_exception_fp_ieee_div_zero 0
		.amdhsa_exception_fp_ieee_overflow 0
		.amdhsa_exception_fp_ieee_underflow 0
		.amdhsa_exception_fp_ieee_inexact 0
		.amdhsa_exception_int_div_zero 0
	.end_amdhsa_kernel
	.section	.text._ZN7rocprim17ROCPRIM_400000_NS6detail17trampoline_kernelINS0_14default_configENS1_25partition_config_selectorILNS1_17partition_subalgoE8ElNS0_10empty_typeEbEEZZNS1_14partition_implILS5_8ELb0ES3_jPlPS6_PKS6_NS0_5tupleIJS9_S6_EEENSD_IJSA_SA_EEENS0_18inequality_wrapperIZN2at6native12_GLOBAL__N_124unique_dim_cuda_templateIaEESt5tupleIJNSH_6TensorESM_SM_EERKSM_lbbbEUlllE0_EEPmJS6_EEE10hipError_tPvRmT3_T4_T5_T6_T7_T9_mT8_P12ihipStream_tbDpT10_ENKUlT_T0_E_clISt17integral_constantIbLb0EES1B_IbLb1EEEEDaS17_S18_EUlS17_E_NS1_11comp_targetILNS1_3genE3ELNS1_11target_archE908ELNS1_3gpuE7ELNS1_3repE0EEENS1_30default_config_static_selectorELNS0_4arch9wavefront6targetE1EEEvT1_,"axG",@progbits,_ZN7rocprim17ROCPRIM_400000_NS6detail17trampoline_kernelINS0_14default_configENS1_25partition_config_selectorILNS1_17partition_subalgoE8ElNS0_10empty_typeEbEEZZNS1_14partition_implILS5_8ELb0ES3_jPlPS6_PKS6_NS0_5tupleIJS9_S6_EEENSD_IJSA_SA_EEENS0_18inequality_wrapperIZN2at6native12_GLOBAL__N_124unique_dim_cuda_templateIaEESt5tupleIJNSH_6TensorESM_SM_EERKSM_lbbbEUlllE0_EEPmJS6_EEE10hipError_tPvRmT3_T4_T5_T6_T7_T9_mT8_P12ihipStream_tbDpT10_ENKUlT_T0_E_clISt17integral_constantIbLb0EES1B_IbLb1EEEEDaS17_S18_EUlS17_E_NS1_11comp_targetILNS1_3genE3ELNS1_11target_archE908ELNS1_3gpuE7ELNS1_3repE0EEENS1_30default_config_static_selectorELNS0_4arch9wavefront6targetE1EEEvT1_,comdat
.Lfunc_end346:
	.size	_ZN7rocprim17ROCPRIM_400000_NS6detail17trampoline_kernelINS0_14default_configENS1_25partition_config_selectorILNS1_17partition_subalgoE8ElNS0_10empty_typeEbEEZZNS1_14partition_implILS5_8ELb0ES3_jPlPS6_PKS6_NS0_5tupleIJS9_S6_EEENSD_IJSA_SA_EEENS0_18inequality_wrapperIZN2at6native12_GLOBAL__N_124unique_dim_cuda_templateIaEESt5tupleIJNSH_6TensorESM_SM_EERKSM_lbbbEUlllE0_EEPmJS6_EEE10hipError_tPvRmT3_T4_T5_T6_T7_T9_mT8_P12ihipStream_tbDpT10_ENKUlT_T0_E_clISt17integral_constantIbLb0EES1B_IbLb1EEEEDaS17_S18_EUlS17_E_NS1_11comp_targetILNS1_3genE3ELNS1_11target_archE908ELNS1_3gpuE7ELNS1_3repE0EEENS1_30default_config_static_selectorELNS0_4arch9wavefront6targetE1EEEvT1_, .Lfunc_end346-_ZN7rocprim17ROCPRIM_400000_NS6detail17trampoline_kernelINS0_14default_configENS1_25partition_config_selectorILNS1_17partition_subalgoE8ElNS0_10empty_typeEbEEZZNS1_14partition_implILS5_8ELb0ES3_jPlPS6_PKS6_NS0_5tupleIJS9_S6_EEENSD_IJSA_SA_EEENS0_18inequality_wrapperIZN2at6native12_GLOBAL__N_124unique_dim_cuda_templateIaEESt5tupleIJNSH_6TensorESM_SM_EERKSM_lbbbEUlllE0_EEPmJS6_EEE10hipError_tPvRmT3_T4_T5_T6_T7_T9_mT8_P12ihipStream_tbDpT10_ENKUlT_T0_E_clISt17integral_constantIbLb0EES1B_IbLb1EEEEDaS17_S18_EUlS17_E_NS1_11comp_targetILNS1_3genE3ELNS1_11target_archE908ELNS1_3gpuE7ELNS1_3repE0EEENS1_30default_config_static_selectorELNS0_4arch9wavefront6targetE1EEEvT1_
                                        ; -- End function
	.set _ZN7rocprim17ROCPRIM_400000_NS6detail17trampoline_kernelINS0_14default_configENS1_25partition_config_selectorILNS1_17partition_subalgoE8ElNS0_10empty_typeEbEEZZNS1_14partition_implILS5_8ELb0ES3_jPlPS6_PKS6_NS0_5tupleIJS9_S6_EEENSD_IJSA_SA_EEENS0_18inequality_wrapperIZN2at6native12_GLOBAL__N_124unique_dim_cuda_templateIaEESt5tupleIJNSH_6TensorESM_SM_EERKSM_lbbbEUlllE0_EEPmJS6_EEE10hipError_tPvRmT3_T4_T5_T6_T7_T9_mT8_P12ihipStream_tbDpT10_ENKUlT_T0_E_clISt17integral_constantIbLb0EES1B_IbLb1EEEEDaS17_S18_EUlS17_E_NS1_11comp_targetILNS1_3genE3ELNS1_11target_archE908ELNS1_3gpuE7ELNS1_3repE0EEENS1_30default_config_static_selectorELNS0_4arch9wavefront6targetE1EEEvT1_.num_vgpr, 0
	.set _ZN7rocprim17ROCPRIM_400000_NS6detail17trampoline_kernelINS0_14default_configENS1_25partition_config_selectorILNS1_17partition_subalgoE8ElNS0_10empty_typeEbEEZZNS1_14partition_implILS5_8ELb0ES3_jPlPS6_PKS6_NS0_5tupleIJS9_S6_EEENSD_IJSA_SA_EEENS0_18inequality_wrapperIZN2at6native12_GLOBAL__N_124unique_dim_cuda_templateIaEESt5tupleIJNSH_6TensorESM_SM_EERKSM_lbbbEUlllE0_EEPmJS6_EEE10hipError_tPvRmT3_T4_T5_T6_T7_T9_mT8_P12ihipStream_tbDpT10_ENKUlT_T0_E_clISt17integral_constantIbLb0EES1B_IbLb1EEEEDaS17_S18_EUlS17_E_NS1_11comp_targetILNS1_3genE3ELNS1_11target_archE908ELNS1_3gpuE7ELNS1_3repE0EEENS1_30default_config_static_selectorELNS0_4arch9wavefront6targetE1EEEvT1_.num_agpr, 0
	.set _ZN7rocprim17ROCPRIM_400000_NS6detail17trampoline_kernelINS0_14default_configENS1_25partition_config_selectorILNS1_17partition_subalgoE8ElNS0_10empty_typeEbEEZZNS1_14partition_implILS5_8ELb0ES3_jPlPS6_PKS6_NS0_5tupleIJS9_S6_EEENSD_IJSA_SA_EEENS0_18inequality_wrapperIZN2at6native12_GLOBAL__N_124unique_dim_cuda_templateIaEESt5tupleIJNSH_6TensorESM_SM_EERKSM_lbbbEUlllE0_EEPmJS6_EEE10hipError_tPvRmT3_T4_T5_T6_T7_T9_mT8_P12ihipStream_tbDpT10_ENKUlT_T0_E_clISt17integral_constantIbLb0EES1B_IbLb1EEEEDaS17_S18_EUlS17_E_NS1_11comp_targetILNS1_3genE3ELNS1_11target_archE908ELNS1_3gpuE7ELNS1_3repE0EEENS1_30default_config_static_selectorELNS0_4arch9wavefront6targetE1EEEvT1_.numbered_sgpr, 0
	.set _ZN7rocprim17ROCPRIM_400000_NS6detail17trampoline_kernelINS0_14default_configENS1_25partition_config_selectorILNS1_17partition_subalgoE8ElNS0_10empty_typeEbEEZZNS1_14partition_implILS5_8ELb0ES3_jPlPS6_PKS6_NS0_5tupleIJS9_S6_EEENSD_IJSA_SA_EEENS0_18inequality_wrapperIZN2at6native12_GLOBAL__N_124unique_dim_cuda_templateIaEESt5tupleIJNSH_6TensorESM_SM_EERKSM_lbbbEUlllE0_EEPmJS6_EEE10hipError_tPvRmT3_T4_T5_T6_T7_T9_mT8_P12ihipStream_tbDpT10_ENKUlT_T0_E_clISt17integral_constantIbLb0EES1B_IbLb1EEEEDaS17_S18_EUlS17_E_NS1_11comp_targetILNS1_3genE3ELNS1_11target_archE908ELNS1_3gpuE7ELNS1_3repE0EEENS1_30default_config_static_selectorELNS0_4arch9wavefront6targetE1EEEvT1_.num_named_barrier, 0
	.set _ZN7rocprim17ROCPRIM_400000_NS6detail17trampoline_kernelINS0_14default_configENS1_25partition_config_selectorILNS1_17partition_subalgoE8ElNS0_10empty_typeEbEEZZNS1_14partition_implILS5_8ELb0ES3_jPlPS6_PKS6_NS0_5tupleIJS9_S6_EEENSD_IJSA_SA_EEENS0_18inequality_wrapperIZN2at6native12_GLOBAL__N_124unique_dim_cuda_templateIaEESt5tupleIJNSH_6TensorESM_SM_EERKSM_lbbbEUlllE0_EEPmJS6_EEE10hipError_tPvRmT3_T4_T5_T6_T7_T9_mT8_P12ihipStream_tbDpT10_ENKUlT_T0_E_clISt17integral_constantIbLb0EES1B_IbLb1EEEEDaS17_S18_EUlS17_E_NS1_11comp_targetILNS1_3genE3ELNS1_11target_archE908ELNS1_3gpuE7ELNS1_3repE0EEENS1_30default_config_static_selectorELNS0_4arch9wavefront6targetE1EEEvT1_.private_seg_size, 0
	.set _ZN7rocprim17ROCPRIM_400000_NS6detail17trampoline_kernelINS0_14default_configENS1_25partition_config_selectorILNS1_17partition_subalgoE8ElNS0_10empty_typeEbEEZZNS1_14partition_implILS5_8ELb0ES3_jPlPS6_PKS6_NS0_5tupleIJS9_S6_EEENSD_IJSA_SA_EEENS0_18inequality_wrapperIZN2at6native12_GLOBAL__N_124unique_dim_cuda_templateIaEESt5tupleIJNSH_6TensorESM_SM_EERKSM_lbbbEUlllE0_EEPmJS6_EEE10hipError_tPvRmT3_T4_T5_T6_T7_T9_mT8_P12ihipStream_tbDpT10_ENKUlT_T0_E_clISt17integral_constantIbLb0EES1B_IbLb1EEEEDaS17_S18_EUlS17_E_NS1_11comp_targetILNS1_3genE3ELNS1_11target_archE908ELNS1_3gpuE7ELNS1_3repE0EEENS1_30default_config_static_selectorELNS0_4arch9wavefront6targetE1EEEvT1_.uses_vcc, 0
	.set _ZN7rocprim17ROCPRIM_400000_NS6detail17trampoline_kernelINS0_14default_configENS1_25partition_config_selectorILNS1_17partition_subalgoE8ElNS0_10empty_typeEbEEZZNS1_14partition_implILS5_8ELb0ES3_jPlPS6_PKS6_NS0_5tupleIJS9_S6_EEENSD_IJSA_SA_EEENS0_18inequality_wrapperIZN2at6native12_GLOBAL__N_124unique_dim_cuda_templateIaEESt5tupleIJNSH_6TensorESM_SM_EERKSM_lbbbEUlllE0_EEPmJS6_EEE10hipError_tPvRmT3_T4_T5_T6_T7_T9_mT8_P12ihipStream_tbDpT10_ENKUlT_T0_E_clISt17integral_constantIbLb0EES1B_IbLb1EEEEDaS17_S18_EUlS17_E_NS1_11comp_targetILNS1_3genE3ELNS1_11target_archE908ELNS1_3gpuE7ELNS1_3repE0EEENS1_30default_config_static_selectorELNS0_4arch9wavefront6targetE1EEEvT1_.uses_flat_scratch, 0
	.set _ZN7rocprim17ROCPRIM_400000_NS6detail17trampoline_kernelINS0_14default_configENS1_25partition_config_selectorILNS1_17partition_subalgoE8ElNS0_10empty_typeEbEEZZNS1_14partition_implILS5_8ELb0ES3_jPlPS6_PKS6_NS0_5tupleIJS9_S6_EEENSD_IJSA_SA_EEENS0_18inequality_wrapperIZN2at6native12_GLOBAL__N_124unique_dim_cuda_templateIaEESt5tupleIJNSH_6TensorESM_SM_EERKSM_lbbbEUlllE0_EEPmJS6_EEE10hipError_tPvRmT3_T4_T5_T6_T7_T9_mT8_P12ihipStream_tbDpT10_ENKUlT_T0_E_clISt17integral_constantIbLb0EES1B_IbLb1EEEEDaS17_S18_EUlS17_E_NS1_11comp_targetILNS1_3genE3ELNS1_11target_archE908ELNS1_3gpuE7ELNS1_3repE0EEENS1_30default_config_static_selectorELNS0_4arch9wavefront6targetE1EEEvT1_.has_dyn_sized_stack, 0
	.set _ZN7rocprim17ROCPRIM_400000_NS6detail17trampoline_kernelINS0_14default_configENS1_25partition_config_selectorILNS1_17partition_subalgoE8ElNS0_10empty_typeEbEEZZNS1_14partition_implILS5_8ELb0ES3_jPlPS6_PKS6_NS0_5tupleIJS9_S6_EEENSD_IJSA_SA_EEENS0_18inequality_wrapperIZN2at6native12_GLOBAL__N_124unique_dim_cuda_templateIaEESt5tupleIJNSH_6TensorESM_SM_EERKSM_lbbbEUlllE0_EEPmJS6_EEE10hipError_tPvRmT3_T4_T5_T6_T7_T9_mT8_P12ihipStream_tbDpT10_ENKUlT_T0_E_clISt17integral_constantIbLb0EES1B_IbLb1EEEEDaS17_S18_EUlS17_E_NS1_11comp_targetILNS1_3genE3ELNS1_11target_archE908ELNS1_3gpuE7ELNS1_3repE0EEENS1_30default_config_static_selectorELNS0_4arch9wavefront6targetE1EEEvT1_.has_recursion, 0
	.set _ZN7rocprim17ROCPRIM_400000_NS6detail17trampoline_kernelINS0_14default_configENS1_25partition_config_selectorILNS1_17partition_subalgoE8ElNS0_10empty_typeEbEEZZNS1_14partition_implILS5_8ELb0ES3_jPlPS6_PKS6_NS0_5tupleIJS9_S6_EEENSD_IJSA_SA_EEENS0_18inequality_wrapperIZN2at6native12_GLOBAL__N_124unique_dim_cuda_templateIaEESt5tupleIJNSH_6TensorESM_SM_EERKSM_lbbbEUlllE0_EEPmJS6_EEE10hipError_tPvRmT3_T4_T5_T6_T7_T9_mT8_P12ihipStream_tbDpT10_ENKUlT_T0_E_clISt17integral_constantIbLb0EES1B_IbLb1EEEEDaS17_S18_EUlS17_E_NS1_11comp_targetILNS1_3genE3ELNS1_11target_archE908ELNS1_3gpuE7ELNS1_3repE0EEENS1_30default_config_static_selectorELNS0_4arch9wavefront6targetE1EEEvT1_.has_indirect_call, 0
	.section	.AMDGPU.csdata,"",@progbits
; Kernel info:
; codeLenInByte = 0
; TotalNumSgprs: 6
; NumVgprs: 0
; NumAgprs: 0
; TotalNumVgprs: 0
; ScratchSize: 0
; MemoryBound: 0
; FloatMode: 240
; IeeeMode: 1
; LDSByteSize: 0 bytes/workgroup (compile time only)
; SGPRBlocks: 0
; VGPRBlocks: 0
; NumSGPRsForWavesPerEU: 6
; NumVGPRsForWavesPerEU: 1
; AccumOffset: 4
; Occupancy: 8
; WaveLimiterHint : 0
; COMPUTE_PGM_RSRC2:SCRATCH_EN: 0
; COMPUTE_PGM_RSRC2:USER_SGPR: 2
; COMPUTE_PGM_RSRC2:TRAP_HANDLER: 0
; COMPUTE_PGM_RSRC2:TGID_X_EN: 1
; COMPUTE_PGM_RSRC2:TGID_Y_EN: 0
; COMPUTE_PGM_RSRC2:TGID_Z_EN: 0
; COMPUTE_PGM_RSRC2:TIDIG_COMP_CNT: 0
; COMPUTE_PGM_RSRC3_GFX90A:ACCUM_OFFSET: 0
; COMPUTE_PGM_RSRC3_GFX90A:TG_SPLIT: 0
	.section	.text._ZN7rocprim17ROCPRIM_400000_NS6detail17trampoline_kernelINS0_14default_configENS1_25partition_config_selectorILNS1_17partition_subalgoE8ElNS0_10empty_typeEbEEZZNS1_14partition_implILS5_8ELb0ES3_jPlPS6_PKS6_NS0_5tupleIJS9_S6_EEENSD_IJSA_SA_EEENS0_18inequality_wrapperIZN2at6native12_GLOBAL__N_124unique_dim_cuda_templateIaEESt5tupleIJNSH_6TensorESM_SM_EERKSM_lbbbEUlllE0_EEPmJS6_EEE10hipError_tPvRmT3_T4_T5_T6_T7_T9_mT8_P12ihipStream_tbDpT10_ENKUlT_T0_E_clISt17integral_constantIbLb0EES1B_IbLb1EEEEDaS17_S18_EUlS17_E_NS1_11comp_targetILNS1_3genE2ELNS1_11target_archE906ELNS1_3gpuE6ELNS1_3repE0EEENS1_30default_config_static_selectorELNS0_4arch9wavefront6targetE1EEEvT1_,"axG",@progbits,_ZN7rocprim17ROCPRIM_400000_NS6detail17trampoline_kernelINS0_14default_configENS1_25partition_config_selectorILNS1_17partition_subalgoE8ElNS0_10empty_typeEbEEZZNS1_14partition_implILS5_8ELb0ES3_jPlPS6_PKS6_NS0_5tupleIJS9_S6_EEENSD_IJSA_SA_EEENS0_18inequality_wrapperIZN2at6native12_GLOBAL__N_124unique_dim_cuda_templateIaEESt5tupleIJNSH_6TensorESM_SM_EERKSM_lbbbEUlllE0_EEPmJS6_EEE10hipError_tPvRmT3_T4_T5_T6_T7_T9_mT8_P12ihipStream_tbDpT10_ENKUlT_T0_E_clISt17integral_constantIbLb0EES1B_IbLb1EEEEDaS17_S18_EUlS17_E_NS1_11comp_targetILNS1_3genE2ELNS1_11target_archE906ELNS1_3gpuE6ELNS1_3repE0EEENS1_30default_config_static_selectorELNS0_4arch9wavefront6targetE1EEEvT1_,comdat
	.globl	_ZN7rocprim17ROCPRIM_400000_NS6detail17trampoline_kernelINS0_14default_configENS1_25partition_config_selectorILNS1_17partition_subalgoE8ElNS0_10empty_typeEbEEZZNS1_14partition_implILS5_8ELb0ES3_jPlPS6_PKS6_NS0_5tupleIJS9_S6_EEENSD_IJSA_SA_EEENS0_18inequality_wrapperIZN2at6native12_GLOBAL__N_124unique_dim_cuda_templateIaEESt5tupleIJNSH_6TensorESM_SM_EERKSM_lbbbEUlllE0_EEPmJS6_EEE10hipError_tPvRmT3_T4_T5_T6_T7_T9_mT8_P12ihipStream_tbDpT10_ENKUlT_T0_E_clISt17integral_constantIbLb0EES1B_IbLb1EEEEDaS17_S18_EUlS17_E_NS1_11comp_targetILNS1_3genE2ELNS1_11target_archE906ELNS1_3gpuE6ELNS1_3repE0EEENS1_30default_config_static_selectorELNS0_4arch9wavefront6targetE1EEEvT1_ ; -- Begin function _ZN7rocprim17ROCPRIM_400000_NS6detail17trampoline_kernelINS0_14default_configENS1_25partition_config_selectorILNS1_17partition_subalgoE8ElNS0_10empty_typeEbEEZZNS1_14partition_implILS5_8ELb0ES3_jPlPS6_PKS6_NS0_5tupleIJS9_S6_EEENSD_IJSA_SA_EEENS0_18inequality_wrapperIZN2at6native12_GLOBAL__N_124unique_dim_cuda_templateIaEESt5tupleIJNSH_6TensorESM_SM_EERKSM_lbbbEUlllE0_EEPmJS6_EEE10hipError_tPvRmT3_T4_T5_T6_T7_T9_mT8_P12ihipStream_tbDpT10_ENKUlT_T0_E_clISt17integral_constantIbLb0EES1B_IbLb1EEEEDaS17_S18_EUlS17_E_NS1_11comp_targetILNS1_3genE2ELNS1_11target_archE906ELNS1_3gpuE6ELNS1_3repE0EEENS1_30default_config_static_selectorELNS0_4arch9wavefront6targetE1EEEvT1_
	.p2align	8
	.type	_ZN7rocprim17ROCPRIM_400000_NS6detail17trampoline_kernelINS0_14default_configENS1_25partition_config_selectorILNS1_17partition_subalgoE8ElNS0_10empty_typeEbEEZZNS1_14partition_implILS5_8ELb0ES3_jPlPS6_PKS6_NS0_5tupleIJS9_S6_EEENSD_IJSA_SA_EEENS0_18inequality_wrapperIZN2at6native12_GLOBAL__N_124unique_dim_cuda_templateIaEESt5tupleIJNSH_6TensorESM_SM_EERKSM_lbbbEUlllE0_EEPmJS6_EEE10hipError_tPvRmT3_T4_T5_T6_T7_T9_mT8_P12ihipStream_tbDpT10_ENKUlT_T0_E_clISt17integral_constantIbLb0EES1B_IbLb1EEEEDaS17_S18_EUlS17_E_NS1_11comp_targetILNS1_3genE2ELNS1_11target_archE906ELNS1_3gpuE6ELNS1_3repE0EEENS1_30default_config_static_selectorELNS0_4arch9wavefront6targetE1EEEvT1_,@function
_ZN7rocprim17ROCPRIM_400000_NS6detail17trampoline_kernelINS0_14default_configENS1_25partition_config_selectorILNS1_17partition_subalgoE8ElNS0_10empty_typeEbEEZZNS1_14partition_implILS5_8ELb0ES3_jPlPS6_PKS6_NS0_5tupleIJS9_S6_EEENSD_IJSA_SA_EEENS0_18inequality_wrapperIZN2at6native12_GLOBAL__N_124unique_dim_cuda_templateIaEESt5tupleIJNSH_6TensorESM_SM_EERKSM_lbbbEUlllE0_EEPmJS6_EEE10hipError_tPvRmT3_T4_T5_T6_T7_T9_mT8_P12ihipStream_tbDpT10_ENKUlT_T0_E_clISt17integral_constantIbLb0EES1B_IbLb1EEEEDaS17_S18_EUlS17_E_NS1_11comp_targetILNS1_3genE2ELNS1_11target_archE906ELNS1_3gpuE6ELNS1_3repE0EEENS1_30default_config_static_selectorELNS0_4arch9wavefront6targetE1EEEvT1_: ; @_ZN7rocprim17ROCPRIM_400000_NS6detail17trampoline_kernelINS0_14default_configENS1_25partition_config_selectorILNS1_17partition_subalgoE8ElNS0_10empty_typeEbEEZZNS1_14partition_implILS5_8ELb0ES3_jPlPS6_PKS6_NS0_5tupleIJS9_S6_EEENSD_IJSA_SA_EEENS0_18inequality_wrapperIZN2at6native12_GLOBAL__N_124unique_dim_cuda_templateIaEESt5tupleIJNSH_6TensorESM_SM_EERKSM_lbbbEUlllE0_EEPmJS6_EEE10hipError_tPvRmT3_T4_T5_T6_T7_T9_mT8_P12ihipStream_tbDpT10_ENKUlT_T0_E_clISt17integral_constantIbLb0EES1B_IbLb1EEEEDaS17_S18_EUlS17_E_NS1_11comp_targetILNS1_3genE2ELNS1_11target_archE906ELNS1_3gpuE6ELNS1_3repE0EEENS1_30default_config_static_selectorELNS0_4arch9wavefront6targetE1EEEvT1_
; %bb.0:
	.section	.rodata,"a",@progbits
	.p2align	6, 0x0
	.amdhsa_kernel _ZN7rocprim17ROCPRIM_400000_NS6detail17trampoline_kernelINS0_14default_configENS1_25partition_config_selectorILNS1_17partition_subalgoE8ElNS0_10empty_typeEbEEZZNS1_14partition_implILS5_8ELb0ES3_jPlPS6_PKS6_NS0_5tupleIJS9_S6_EEENSD_IJSA_SA_EEENS0_18inequality_wrapperIZN2at6native12_GLOBAL__N_124unique_dim_cuda_templateIaEESt5tupleIJNSH_6TensorESM_SM_EERKSM_lbbbEUlllE0_EEPmJS6_EEE10hipError_tPvRmT3_T4_T5_T6_T7_T9_mT8_P12ihipStream_tbDpT10_ENKUlT_T0_E_clISt17integral_constantIbLb0EES1B_IbLb1EEEEDaS17_S18_EUlS17_E_NS1_11comp_targetILNS1_3genE2ELNS1_11target_archE906ELNS1_3gpuE6ELNS1_3repE0EEENS1_30default_config_static_selectorELNS0_4arch9wavefront6targetE1EEEvT1_
		.amdhsa_group_segment_fixed_size 0
		.amdhsa_private_segment_fixed_size 0
		.amdhsa_kernarg_size 136
		.amdhsa_user_sgpr_count 2
		.amdhsa_user_sgpr_dispatch_ptr 0
		.amdhsa_user_sgpr_queue_ptr 0
		.amdhsa_user_sgpr_kernarg_segment_ptr 1
		.amdhsa_user_sgpr_dispatch_id 0
		.amdhsa_user_sgpr_kernarg_preload_length 0
		.amdhsa_user_sgpr_kernarg_preload_offset 0
		.amdhsa_user_sgpr_private_segment_size 0
		.amdhsa_uses_dynamic_stack 0
		.amdhsa_enable_private_segment 0
		.amdhsa_system_sgpr_workgroup_id_x 1
		.amdhsa_system_sgpr_workgroup_id_y 0
		.amdhsa_system_sgpr_workgroup_id_z 0
		.amdhsa_system_sgpr_workgroup_info 0
		.amdhsa_system_vgpr_workitem_id 0
		.amdhsa_next_free_vgpr 1
		.amdhsa_next_free_sgpr 0
		.amdhsa_accum_offset 4
		.amdhsa_reserve_vcc 0
		.amdhsa_float_round_mode_32 0
		.amdhsa_float_round_mode_16_64 0
		.amdhsa_float_denorm_mode_32 3
		.amdhsa_float_denorm_mode_16_64 3
		.amdhsa_dx10_clamp 1
		.amdhsa_ieee_mode 1
		.amdhsa_fp16_overflow 0
		.amdhsa_tg_split 0
		.amdhsa_exception_fp_ieee_invalid_op 0
		.amdhsa_exception_fp_denorm_src 0
		.amdhsa_exception_fp_ieee_div_zero 0
		.amdhsa_exception_fp_ieee_overflow 0
		.amdhsa_exception_fp_ieee_underflow 0
		.amdhsa_exception_fp_ieee_inexact 0
		.amdhsa_exception_int_div_zero 0
	.end_amdhsa_kernel
	.section	.text._ZN7rocprim17ROCPRIM_400000_NS6detail17trampoline_kernelINS0_14default_configENS1_25partition_config_selectorILNS1_17partition_subalgoE8ElNS0_10empty_typeEbEEZZNS1_14partition_implILS5_8ELb0ES3_jPlPS6_PKS6_NS0_5tupleIJS9_S6_EEENSD_IJSA_SA_EEENS0_18inequality_wrapperIZN2at6native12_GLOBAL__N_124unique_dim_cuda_templateIaEESt5tupleIJNSH_6TensorESM_SM_EERKSM_lbbbEUlllE0_EEPmJS6_EEE10hipError_tPvRmT3_T4_T5_T6_T7_T9_mT8_P12ihipStream_tbDpT10_ENKUlT_T0_E_clISt17integral_constantIbLb0EES1B_IbLb1EEEEDaS17_S18_EUlS17_E_NS1_11comp_targetILNS1_3genE2ELNS1_11target_archE906ELNS1_3gpuE6ELNS1_3repE0EEENS1_30default_config_static_selectorELNS0_4arch9wavefront6targetE1EEEvT1_,"axG",@progbits,_ZN7rocprim17ROCPRIM_400000_NS6detail17trampoline_kernelINS0_14default_configENS1_25partition_config_selectorILNS1_17partition_subalgoE8ElNS0_10empty_typeEbEEZZNS1_14partition_implILS5_8ELb0ES3_jPlPS6_PKS6_NS0_5tupleIJS9_S6_EEENSD_IJSA_SA_EEENS0_18inequality_wrapperIZN2at6native12_GLOBAL__N_124unique_dim_cuda_templateIaEESt5tupleIJNSH_6TensorESM_SM_EERKSM_lbbbEUlllE0_EEPmJS6_EEE10hipError_tPvRmT3_T4_T5_T6_T7_T9_mT8_P12ihipStream_tbDpT10_ENKUlT_T0_E_clISt17integral_constantIbLb0EES1B_IbLb1EEEEDaS17_S18_EUlS17_E_NS1_11comp_targetILNS1_3genE2ELNS1_11target_archE906ELNS1_3gpuE6ELNS1_3repE0EEENS1_30default_config_static_selectorELNS0_4arch9wavefront6targetE1EEEvT1_,comdat
.Lfunc_end347:
	.size	_ZN7rocprim17ROCPRIM_400000_NS6detail17trampoline_kernelINS0_14default_configENS1_25partition_config_selectorILNS1_17partition_subalgoE8ElNS0_10empty_typeEbEEZZNS1_14partition_implILS5_8ELb0ES3_jPlPS6_PKS6_NS0_5tupleIJS9_S6_EEENSD_IJSA_SA_EEENS0_18inequality_wrapperIZN2at6native12_GLOBAL__N_124unique_dim_cuda_templateIaEESt5tupleIJNSH_6TensorESM_SM_EERKSM_lbbbEUlllE0_EEPmJS6_EEE10hipError_tPvRmT3_T4_T5_T6_T7_T9_mT8_P12ihipStream_tbDpT10_ENKUlT_T0_E_clISt17integral_constantIbLb0EES1B_IbLb1EEEEDaS17_S18_EUlS17_E_NS1_11comp_targetILNS1_3genE2ELNS1_11target_archE906ELNS1_3gpuE6ELNS1_3repE0EEENS1_30default_config_static_selectorELNS0_4arch9wavefront6targetE1EEEvT1_, .Lfunc_end347-_ZN7rocprim17ROCPRIM_400000_NS6detail17trampoline_kernelINS0_14default_configENS1_25partition_config_selectorILNS1_17partition_subalgoE8ElNS0_10empty_typeEbEEZZNS1_14partition_implILS5_8ELb0ES3_jPlPS6_PKS6_NS0_5tupleIJS9_S6_EEENSD_IJSA_SA_EEENS0_18inequality_wrapperIZN2at6native12_GLOBAL__N_124unique_dim_cuda_templateIaEESt5tupleIJNSH_6TensorESM_SM_EERKSM_lbbbEUlllE0_EEPmJS6_EEE10hipError_tPvRmT3_T4_T5_T6_T7_T9_mT8_P12ihipStream_tbDpT10_ENKUlT_T0_E_clISt17integral_constantIbLb0EES1B_IbLb1EEEEDaS17_S18_EUlS17_E_NS1_11comp_targetILNS1_3genE2ELNS1_11target_archE906ELNS1_3gpuE6ELNS1_3repE0EEENS1_30default_config_static_selectorELNS0_4arch9wavefront6targetE1EEEvT1_
                                        ; -- End function
	.set _ZN7rocprim17ROCPRIM_400000_NS6detail17trampoline_kernelINS0_14default_configENS1_25partition_config_selectorILNS1_17partition_subalgoE8ElNS0_10empty_typeEbEEZZNS1_14partition_implILS5_8ELb0ES3_jPlPS6_PKS6_NS0_5tupleIJS9_S6_EEENSD_IJSA_SA_EEENS0_18inequality_wrapperIZN2at6native12_GLOBAL__N_124unique_dim_cuda_templateIaEESt5tupleIJNSH_6TensorESM_SM_EERKSM_lbbbEUlllE0_EEPmJS6_EEE10hipError_tPvRmT3_T4_T5_T6_T7_T9_mT8_P12ihipStream_tbDpT10_ENKUlT_T0_E_clISt17integral_constantIbLb0EES1B_IbLb1EEEEDaS17_S18_EUlS17_E_NS1_11comp_targetILNS1_3genE2ELNS1_11target_archE906ELNS1_3gpuE6ELNS1_3repE0EEENS1_30default_config_static_selectorELNS0_4arch9wavefront6targetE1EEEvT1_.num_vgpr, 0
	.set _ZN7rocprim17ROCPRIM_400000_NS6detail17trampoline_kernelINS0_14default_configENS1_25partition_config_selectorILNS1_17partition_subalgoE8ElNS0_10empty_typeEbEEZZNS1_14partition_implILS5_8ELb0ES3_jPlPS6_PKS6_NS0_5tupleIJS9_S6_EEENSD_IJSA_SA_EEENS0_18inequality_wrapperIZN2at6native12_GLOBAL__N_124unique_dim_cuda_templateIaEESt5tupleIJNSH_6TensorESM_SM_EERKSM_lbbbEUlllE0_EEPmJS6_EEE10hipError_tPvRmT3_T4_T5_T6_T7_T9_mT8_P12ihipStream_tbDpT10_ENKUlT_T0_E_clISt17integral_constantIbLb0EES1B_IbLb1EEEEDaS17_S18_EUlS17_E_NS1_11comp_targetILNS1_3genE2ELNS1_11target_archE906ELNS1_3gpuE6ELNS1_3repE0EEENS1_30default_config_static_selectorELNS0_4arch9wavefront6targetE1EEEvT1_.num_agpr, 0
	.set _ZN7rocprim17ROCPRIM_400000_NS6detail17trampoline_kernelINS0_14default_configENS1_25partition_config_selectorILNS1_17partition_subalgoE8ElNS0_10empty_typeEbEEZZNS1_14partition_implILS5_8ELb0ES3_jPlPS6_PKS6_NS0_5tupleIJS9_S6_EEENSD_IJSA_SA_EEENS0_18inequality_wrapperIZN2at6native12_GLOBAL__N_124unique_dim_cuda_templateIaEESt5tupleIJNSH_6TensorESM_SM_EERKSM_lbbbEUlllE0_EEPmJS6_EEE10hipError_tPvRmT3_T4_T5_T6_T7_T9_mT8_P12ihipStream_tbDpT10_ENKUlT_T0_E_clISt17integral_constantIbLb0EES1B_IbLb1EEEEDaS17_S18_EUlS17_E_NS1_11comp_targetILNS1_3genE2ELNS1_11target_archE906ELNS1_3gpuE6ELNS1_3repE0EEENS1_30default_config_static_selectorELNS0_4arch9wavefront6targetE1EEEvT1_.numbered_sgpr, 0
	.set _ZN7rocprim17ROCPRIM_400000_NS6detail17trampoline_kernelINS0_14default_configENS1_25partition_config_selectorILNS1_17partition_subalgoE8ElNS0_10empty_typeEbEEZZNS1_14partition_implILS5_8ELb0ES3_jPlPS6_PKS6_NS0_5tupleIJS9_S6_EEENSD_IJSA_SA_EEENS0_18inequality_wrapperIZN2at6native12_GLOBAL__N_124unique_dim_cuda_templateIaEESt5tupleIJNSH_6TensorESM_SM_EERKSM_lbbbEUlllE0_EEPmJS6_EEE10hipError_tPvRmT3_T4_T5_T6_T7_T9_mT8_P12ihipStream_tbDpT10_ENKUlT_T0_E_clISt17integral_constantIbLb0EES1B_IbLb1EEEEDaS17_S18_EUlS17_E_NS1_11comp_targetILNS1_3genE2ELNS1_11target_archE906ELNS1_3gpuE6ELNS1_3repE0EEENS1_30default_config_static_selectorELNS0_4arch9wavefront6targetE1EEEvT1_.num_named_barrier, 0
	.set _ZN7rocprim17ROCPRIM_400000_NS6detail17trampoline_kernelINS0_14default_configENS1_25partition_config_selectorILNS1_17partition_subalgoE8ElNS0_10empty_typeEbEEZZNS1_14partition_implILS5_8ELb0ES3_jPlPS6_PKS6_NS0_5tupleIJS9_S6_EEENSD_IJSA_SA_EEENS0_18inequality_wrapperIZN2at6native12_GLOBAL__N_124unique_dim_cuda_templateIaEESt5tupleIJNSH_6TensorESM_SM_EERKSM_lbbbEUlllE0_EEPmJS6_EEE10hipError_tPvRmT3_T4_T5_T6_T7_T9_mT8_P12ihipStream_tbDpT10_ENKUlT_T0_E_clISt17integral_constantIbLb0EES1B_IbLb1EEEEDaS17_S18_EUlS17_E_NS1_11comp_targetILNS1_3genE2ELNS1_11target_archE906ELNS1_3gpuE6ELNS1_3repE0EEENS1_30default_config_static_selectorELNS0_4arch9wavefront6targetE1EEEvT1_.private_seg_size, 0
	.set _ZN7rocprim17ROCPRIM_400000_NS6detail17trampoline_kernelINS0_14default_configENS1_25partition_config_selectorILNS1_17partition_subalgoE8ElNS0_10empty_typeEbEEZZNS1_14partition_implILS5_8ELb0ES3_jPlPS6_PKS6_NS0_5tupleIJS9_S6_EEENSD_IJSA_SA_EEENS0_18inequality_wrapperIZN2at6native12_GLOBAL__N_124unique_dim_cuda_templateIaEESt5tupleIJNSH_6TensorESM_SM_EERKSM_lbbbEUlllE0_EEPmJS6_EEE10hipError_tPvRmT3_T4_T5_T6_T7_T9_mT8_P12ihipStream_tbDpT10_ENKUlT_T0_E_clISt17integral_constantIbLb0EES1B_IbLb1EEEEDaS17_S18_EUlS17_E_NS1_11comp_targetILNS1_3genE2ELNS1_11target_archE906ELNS1_3gpuE6ELNS1_3repE0EEENS1_30default_config_static_selectorELNS0_4arch9wavefront6targetE1EEEvT1_.uses_vcc, 0
	.set _ZN7rocprim17ROCPRIM_400000_NS6detail17trampoline_kernelINS0_14default_configENS1_25partition_config_selectorILNS1_17partition_subalgoE8ElNS0_10empty_typeEbEEZZNS1_14partition_implILS5_8ELb0ES3_jPlPS6_PKS6_NS0_5tupleIJS9_S6_EEENSD_IJSA_SA_EEENS0_18inequality_wrapperIZN2at6native12_GLOBAL__N_124unique_dim_cuda_templateIaEESt5tupleIJNSH_6TensorESM_SM_EERKSM_lbbbEUlllE0_EEPmJS6_EEE10hipError_tPvRmT3_T4_T5_T6_T7_T9_mT8_P12ihipStream_tbDpT10_ENKUlT_T0_E_clISt17integral_constantIbLb0EES1B_IbLb1EEEEDaS17_S18_EUlS17_E_NS1_11comp_targetILNS1_3genE2ELNS1_11target_archE906ELNS1_3gpuE6ELNS1_3repE0EEENS1_30default_config_static_selectorELNS0_4arch9wavefront6targetE1EEEvT1_.uses_flat_scratch, 0
	.set _ZN7rocprim17ROCPRIM_400000_NS6detail17trampoline_kernelINS0_14default_configENS1_25partition_config_selectorILNS1_17partition_subalgoE8ElNS0_10empty_typeEbEEZZNS1_14partition_implILS5_8ELb0ES3_jPlPS6_PKS6_NS0_5tupleIJS9_S6_EEENSD_IJSA_SA_EEENS0_18inequality_wrapperIZN2at6native12_GLOBAL__N_124unique_dim_cuda_templateIaEESt5tupleIJNSH_6TensorESM_SM_EERKSM_lbbbEUlllE0_EEPmJS6_EEE10hipError_tPvRmT3_T4_T5_T6_T7_T9_mT8_P12ihipStream_tbDpT10_ENKUlT_T0_E_clISt17integral_constantIbLb0EES1B_IbLb1EEEEDaS17_S18_EUlS17_E_NS1_11comp_targetILNS1_3genE2ELNS1_11target_archE906ELNS1_3gpuE6ELNS1_3repE0EEENS1_30default_config_static_selectorELNS0_4arch9wavefront6targetE1EEEvT1_.has_dyn_sized_stack, 0
	.set _ZN7rocprim17ROCPRIM_400000_NS6detail17trampoline_kernelINS0_14default_configENS1_25partition_config_selectorILNS1_17partition_subalgoE8ElNS0_10empty_typeEbEEZZNS1_14partition_implILS5_8ELb0ES3_jPlPS6_PKS6_NS0_5tupleIJS9_S6_EEENSD_IJSA_SA_EEENS0_18inequality_wrapperIZN2at6native12_GLOBAL__N_124unique_dim_cuda_templateIaEESt5tupleIJNSH_6TensorESM_SM_EERKSM_lbbbEUlllE0_EEPmJS6_EEE10hipError_tPvRmT3_T4_T5_T6_T7_T9_mT8_P12ihipStream_tbDpT10_ENKUlT_T0_E_clISt17integral_constantIbLb0EES1B_IbLb1EEEEDaS17_S18_EUlS17_E_NS1_11comp_targetILNS1_3genE2ELNS1_11target_archE906ELNS1_3gpuE6ELNS1_3repE0EEENS1_30default_config_static_selectorELNS0_4arch9wavefront6targetE1EEEvT1_.has_recursion, 0
	.set _ZN7rocprim17ROCPRIM_400000_NS6detail17trampoline_kernelINS0_14default_configENS1_25partition_config_selectorILNS1_17partition_subalgoE8ElNS0_10empty_typeEbEEZZNS1_14partition_implILS5_8ELb0ES3_jPlPS6_PKS6_NS0_5tupleIJS9_S6_EEENSD_IJSA_SA_EEENS0_18inequality_wrapperIZN2at6native12_GLOBAL__N_124unique_dim_cuda_templateIaEESt5tupleIJNSH_6TensorESM_SM_EERKSM_lbbbEUlllE0_EEPmJS6_EEE10hipError_tPvRmT3_T4_T5_T6_T7_T9_mT8_P12ihipStream_tbDpT10_ENKUlT_T0_E_clISt17integral_constantIbLb0EES1B_IbLb1EEEEDaS17_S18_EUlS17_E_NS1_11comp_targetILNS1_3genE2ELNS1_11target_archE906ELNS1_3gpuE6ELNS1_3repE0EEENS1_30default_config_static_selectorELNS0_4arch9wavefront6targetE1EEEvT1_.has_indirect_call, 0
	.section	.AMDGPU.csdata,"",@progbits
; Kernel info:
; codeLenInByte = 0
; TotalNumSgprs: 6
; NumVgprs: 0
; NumAgprs: 0
; TotalNumVgprs: 0
; ScratchSize: 0
; MemoryBound: 0
; FloatMode: 240
; IeeeMode: 1
; LDSByteSize: 0 bytes/workgroup (compile time only)
; SGPRBlocks: 0
; VGPRBlocks: 0
; NumSGPRsForWavesPerEU: 6
; NumVGPRsForWavesPerEU: 1
; AccumOffset: 4
; Occupancy: 8
; WaveLimiterHint : 0
; COMPUTE_PGM_RSRC2:SCRATCH_EN: 0
; COMPUTE_PGM_RSRC2:USER_SGPR: 2
; COMPUTE_PGM_RSRC2:TRAP_HANDLER: 0
; COMPUTE_PGM_RSRC2:TGID_X_EN: 1
; COMPUTE_PGM_RSRC2:TGID_Y_EN: 0
; COMPUTE_PGM_RSRC2:TGID_Z_EN: 0
; COMPUTE_PGM_RSRC2:TIDIG_COMP_CNT: 0
; COMPUTE_PGM_RSRC3_GFX90A:ACCUM_OFFSET: 0
; COMPUTE_PGM_RSRC3_GFX90A:TG_SPLIT: 0
	.section	.text._ZN7rocprim17ROCPRIM_400000_NS6detail17trampoline_kernelINS0_14default_configENS1_25partition_config_selectorILNS1_17partition_subalgoE8ElNS0_10empty_typeEbEEZZNS1_14partition_implILS5_8ELb0ES3_jPlPS6_PKS6_NS0_5tupleIJS9_S6_EEENSD_IJSA_SA_EEENS0_18inequality_wrapperIZN2at6native12_GLOBAL__N_124unique_dim_cuda_templateIaEESt5tupleIJNSH_6TensorESM_SM_EERKSM_lbbbEUlllE0_EEPmJS6_EEE10hipError_tPvRmT3_T4_T5_T6_T7_T9_mT8_P12ihipStream_tbDpT10_ENKUlT_T0_E_clISt17integral_constantIbLb0EES1B_IbLb1EEEEDaS17_S18_EUlS17_E_NS1_11comp_targetILNS1_3genE10ELNS1_11target_archE1200ELNS1_3gpuE4ELNS1_3repE0EEENS1_30default_config_static_selectorELNS0_4arch9wavefront6targetE1EEEvT1_,"axG",@progbits,_ZN7rocprim17ROCPRIM_400000_NS6detail17trampoline_kernelINS0_14default_configENS1_25partition_config_selectorILNS1_17partition_subalgoE8ElNS0_10empty_typeEbEEZZNS1_14partition_implILS5_8ELb0ES3_jPlPS6_PKS6_NS0_5tupleIJS9_S6_EEENSD_IJSA_SA_EEENS0_18inequality_wrapperIZN2at6native12_GLOBAL__N_124unique_dim_cuda_templateIaEESt5tupleIJNSH_6TensorESM_SM_EERKSM_lbbbEUlllE0_EEPmJS6_EEE10hipError_tPvRmT3_T4_T5_T6_T7_T9_mT8_P12ihipStream_tbDpT10_ENKUlT_T0_E_clISt17integral_constantIbLb0EES1B_IbLb1EEEEDaS17_S18_EUlS17_E_NS1_11comp_targetILNS1_3genE10ELNS1_11target_archE1200ELNS1_3gpuE4ELNS1_3repE0EEENS1_30default_config_static_selectorELNS0_4arch9wavefront6targetE1EEEvT1_,comdat
	.globl	_ZN7rocprim17ROCPRIM_400000_NS6detail17trampoline_kernelINS0_14default_configENS1_25partition_config_selectorILNS1_17partition_subalgoE8ElNS0_10empty_typeEbEEZZNS1_14partition_implILS5_8ELb0ES3_jPlPS6_PKS6_NS0_5tupleIJS9_S6_EEENSD_IJSA_SA_EEENS0_18inequality_wrapperIZN2at6native12_GLOBAL__N_124unique_dim_cuda_templateIaEESt5tupleIJNSH_6TensorESM_SM_EERKSM_lbbbEUlllE0_EEPmJS6_EEE10hipError_tPvRmT3_T4_T5_T6_T7_T9_mT8_P12ihipStream_tbDpT10_ENKUlT_T0_E_clISt17integral_constantIbLb0EES1B_IbLb1EEEEDaS17_S18_EUlS17_E_NS1_11comp_targetILNS1_3genE10ELNS1_11target_archE1200ELNS1_3gpuE4ELNS1_3repE0EEENS1_30default_config_static_selectorELNS0_4arch9wavefront6targetE1EEEvT1_ ; -- Begin function _ZN7rocprim17ROCPRIM_400000_NS6detail17trampoline_kernelINS0_14default_configENS1_25partition_config_selectorILNS1_17partition_subalgoE8ElNS0_10empty_typeEbEEZZNS1_14partition_implILS5_8ELb0ES3_jPlPS6_PKS6_NS0_5tupleIJS9_S6_EEENSD_IJSA_SA_EEENS0_18inequality_wrapperIZN2at6native12_GLOBAL__N_124unique_dim_cuda_templateIaEESt5tupleIJNSH_6TensorESM_SM_EERKSM_lbbbEUlllE0_EEPmJS6_EEE10hipError_tPvRmT3_T4_T5_T6_T7_T9_mT8_P12ihipStream_tbDpT10_ENKUlT_T0_E_clISt17integral_constantIbLb0EES1B_IbLb1EEEEDaS17_S18_EUlS17_E_NS1_11comp_targetILNS1_3genE10ELNS1_11target_archE1200ELNS1_3gpuE4ELNS1_3repE0EEENS1_30default_config_static_selectorELNS0_4arch9wavefront6targetE1EEEvT1_
	.p2align	8
	.type	_ZN7rocprim17ROCPRIM_400000_NS6detail17trampoline_kernelINS0_14default_configENS1_25partition_config_selectorILNS1_17partition_subalgoE8ElNS0_10empty_typeEbEEZZNS1_14partition_implILS5_8ELb0ES3_jPlPS6_PKS6_NS0_5tupleIJS9_S6_EEENSD_IJSA_SA_EEENS0_18inequality_wrapperIZN2at6native12_GLOBAL__N_124unique_dim_cuda_templateIaEESt5tupleIJNSH_6TensorESM_SM_EERKSM_lbbbEUlllE0_EEPmJS6_EEE10hipError_tPvRmT3_T4_T5_T6_T7_T9_mT8_P12ihipStream_tbDpT10_ENKUlT_T0_E_clISt17integral_constantIbLb0EES1B_IbLb1EEEEDaS17_S18_EUlS17_E_NS1_11comp_targetILNS1_3genE10ELNS1_11target_archE1200ELNS1_3gpuE4ELNS1_3repE0EEENS1_30default_config_static_selectorELNS0_4arch9wavefront6targetE1EEEvT1_,@function
_ZN7rocprim17ROCPRIM_400000_NS6detail17trampoline_kernelINS0_14default_configENS1_25partition_config_selectorILNS1_17partition_subalgoE8ElNS0_10empty_typeEbEEZZNS1_14partition_implILS5_8ELb0ES3_jPlPS6_PKS6_NS0_5tupleIJS9_S6_EEENSD_IJSA_SA_EEENS0_18inequality_wrapperIZN2at6native12_GLOBAL__N_124unique_dim_cuda_templateIaEESt5tupleIJNSH_6TensorESM_SM_EERKSM_lbbbEUlllE0_EEPmJS6_EEE10hipError_tPvRmT3_T4_T5_T6_T7_T9_mT8_P12ihipStream_tbDpT10_ENKUlT_T0_E_clISt17integral_constantIbLb0EES1B_IbLb1EEEEDaS17_S18_EUlS17_E_NS1_11comp_targetILNS1_3genE10ELNS1_11target_archE1200ELNS1_3gpuE4ELNS1_3repE0EEENS1_30default_config_static_selectorELNS0_4arch9wavefront6targetE1EEEvT1_: ; @_ZN7rocprim17ROCPRIM_400000_NS6detail17trampoline_kernelINS0_14default_configENS1_25partition_config_selectorILNS1_17partition_subalgoE8ElNS0_10empty_typeEbEEZZNS1_14partition_implILS5_8ELb0ES3_jPlPS6_PKS6_NS0_5tupleIJS9_S6_EEENSD_IJSA_SA_EEENS0_18inequality_wrapperIZN2at6native12_GLOBAL__N_124unique_dim_cuda_templateIaEESt5tupleIJNSH_6TensorESM_SM_EERKSM_lbbbEUlllE0_EEPmJS6_EEE10hipError_tPvRmT3_T4_T5_T6_T7_T9_mT8_P12ihipStream_tbDpT10_ENKUlT_T0_E_clISt17integral_constantIbLb0EES1B_IbLb1EEEEDaS17_S18_EUlS17_E_NS1_11comp_targetILNS1_3genE10ELNS1_11target_archE1200ELNS1_3gpuE4ELNS1_3repE0EEENS1_30default_config_static_selectorELNS0_4arch9wavefront6targetE1EEEvT1_
; %bb.0:
	.section	.rodata,"a",@progbits
	.p2align	6, 0x0
	.amdhsa_kernel _ZN7rocprim17ROCPRIM_400000_NS6detail17trampoline_kernelINS0_14default_configENS1_25partition_config_selectorILNS1_17partition_subalgoE8ElNS0_10empty_typeEbEEZZNS1_14partition_implILS5_8ELb0ES3_jPlPS6_PKS6_NS0_5tupleIJS9_S6_EEENSD_IJSA_SA_EEENS0_18inequality_wrapperIZN2at6native12_GLOBAL__N_124unique_dim_cuda_templateIaEESt5tupleIJNSH_6TensorESM_SM_EERKSM_lbbbEUlllE0_EEPmJS6_EEE10hipError_tPvRmT3_T4_T5_T6_T7_T9_mT8_P12ihipStream_tbDpT10_ENKUlT_T0_E_clISt17integral_constantIbLb0EES1B_IbLb1EEEEDaS17_S18_EUlS17_E_NS1_11comp_targetILNS1_3genE10ELNS1_11target_archE1200ELNS1_3gpuE4ELNS1_3repE0EEENS1_30default_config_static_selectorELNS0_4arch9wavefront6targetE1EEEvT1_
		.amdhsa_group_segment_fixed_size 0
		.amdhsa_private_segment_fixed_size 0
		.amdhsa_kernarg_size 136
		.amdhsa_user_sgpr_count 2
		.amdhsa_user_sgpr_dispatch_ptr 0
		.amdhsa_user_sgpr_queue_ptr 0
		.amdhsa_user_sgpr_kernarg_segment_ptr 1
		.amdhsa_user_sgpr_dispatch_id 0
		.amdhsa_user_sgpr_kernarg_preload_length 0
		.amdhsa_user_sgpr_kernarg_preload_offset 0
		.amdhsa_user_sgpr_private_segment_size 0
		.amdhsa_uses_dynamic_stack 0
		.amdhsa_enable_private_segment 0
		.amdhsa_system_sgpr_workgroup_id_x 1
		.amdhsa_system_sgpr_workgroup_id_y 0
		.amdhsa_system_sgpr_workgroup_id_z 0
		.amdhsa_system_sgpr_workgroup_info 0
		.amdhsa_system_vgpr_workitem_id 0
		.amdhsa_next_free_vgpr 1
		.amdhsa_next_free_sgpr 0
		.amdhsa_accum_offset 4
		.amdhsa_reserve_vcc 0
		.amdhsa_float_round_mode_32 0
		.amdhsa_float_round_mode_16_64 0
		.amdhsa_float_denorm_mode_32 3
		.amdhsa_float_denorm_mode_16_64 3
		.amdhsa_dx10_clamp 1
		.amdhsa_ieee_mode 1
		.amdhsa_fp16_overflow 0
		.amdhsa_tg_split 0
		.amdhsa_exception_fp_ieee_invalid_op 0
		.amdhsa_exception_fp_denorm_src 0
		.amdhsa_exception_fp_ieee_div_zero 0
		.amdhsa_exception_fp_ieee_overflow 0
		.amdhsa_exception_fp_ieee_underflow 0
		.amdhsa_exception_fp_ieee_inexact 0
		.amdhsa_exception_int_div_zero 0
	.end_amdhsa_kernel
	.section	.text._ZN7rocprim17ROCPRIM_400000_NS6detail17trampoline_kernelINS0_14default_configENS1_25partition_config_selectorILNS1_17partition_subalgoE8ElNS0_10empty_typeEbEEZZNS1_14partition_implILS5_8ELb0ES3_jPlPS6_PKS6_NS0_5tupleIJS9_S6_EEENSD_IJSA_SA_EEENS0_18inequality_wrapperIZN2at6native12_GLOBAL__N_124unique_dim_cuda_templateIaEESt5tupleIJNSH_6TensorESM_SM_EERKSM_lbbbEUlllE0_EEPmJS6_EEE10hipError_tPvRmT3_T4_T5_T6_T7_T9_mT8_P12ihipStream_tbDpT10_ENKUlT_T0_E_clISt17integral_constantIbLb0EES1B_IbLb1EEEEDaS17_S18_EUlS17_E_NS1_11comp_targetILNS1_3genE10ELNS1_11target_archE1200ELNS1_3gpuE4ELNS1_3repE0EEENS1_30default_config_static_selectorELNS0_4arch9wavefront6targetE1EEEvT1_,"axG",@progbits,_ZN7rocprim17ROCPRIM_400000_NS6detail17trampoline_kernelINS0_14default_configENS1_25partition_config_selectorILNS1_17partition_subalgoE8ElNS0_10empty_typeEbEEZZNS1_14partition_implILS5_8ELb0ES3_jPlPS6_PKS6_NS0_5tupleIJS9_S6_EEENSD_IJSA_SA_EEENS0_18inequality_wrapperIZN2at6native12_GLOBAL__N_124unique_dim_cuda_templateIaEESt5tupleIJNSH_6TensorESM_SM_EERKSM_lbbbEUlllE0_EEPmJS6_EEE10hipError_tPvRmT3_T4_T5_T6_T7_T9_mT8_P12ihipStream_tbDpT10_ENKUlT_T0_E_clISt17integral_constantIbLb0EES1B_IbLb1EEEEDaS17_S18_EUlS17_E_NS1_11comp_targetILNS1_3genE10ELNS1_11target_archE1200ELNS1_3gpuE4ELNS1_3repE0EEENS1_30default_config_static_selectorELNS0_4arch9wavefront6targetE1EEEvT1_,comdat
.Lfunc_end348:
	.size	_ZN7rocprim17ROCPRIM_400000_NS6detail17trampoline_kernelINS0_14default_configENS1_25partition_config_selectorILNS1_17partition_subalgoE8ElNS0_10empty_typeEbEEZZNS1_14partition_implILS5_8ELb0ES3_jPlPS6_PKS6_NS0_5tupleIJS9_S6_EEENSD_IJSA_SA_EEENS0_18inequality_wrapperIZN2at6native12_GLOBAL__N_124unique_dim_cuda_templateIaEESt5tupleIJNSH_6TensorESM_SM_EERKSM_lbbbEUlllE0_EEPmJS6_EEE10hipError_tPvRmT3_T4_T5_T6_T7_T9_mT8_P12ihipStream_tbDpT10_ENKUlT_T0_E_clISt17integral_constantIbLb0EES1B_IbLb1EEEEDaS17_S18_EUlS17_E_NS1_11comp_targetILNS1_3genE10ELNS1_11target_archE1200ELNS1_3gpuE4ELNS1_3repE0EEENS1_30default_config_static_selectorELNS0_4arch9wavefront6targetE1EEEvT1_, .Lfunc_end348-_ZN7rocprim17ROCPRIM_400000_NS6detail17trampoline_kernelINS0_14default_configENS1_25partition_config_selectorILNS1_17partition_subalgoE8ElNS0_10empty_typeEbEEZZNS1_14partition_implILS5_8ELb0ES3_jPlPS6_PKS6_NS0_5tupleIJS9_S6_EEENSD_IJSA_SA_EEENS0_18inequality_wrapperIZN2at6native12_GLOBAL__N_124unique_dim_cuda_templateIaEESt5tupleIJNSH_6TensorESM_SM_EERKSM_lbbbEUlllE0_EEPmJS6_EEE10hipError_tPvRmT3_T4_T5_T6_T7_T9_mT8_P12ihipStream_tbDpT10_ENKUlT_T0_E_clISt17integral_constantIbLb0EES1B_IbLb1EEEEDaS17_S18_EUlS17_E_NS1_11comp_targetILNS1_3genE10ELNS1_11target_archE1200ELNS1_3gpuE4ELNS1_3repE0EEENS1_30default_config_static_selectorELNS0_4arch9wavefront6targetE1EEEvT1_
                                        ; -- End function
	.set _ZN7rocprim17ROCPRIM_400000_NS6detail17trampoline_kernelINS0_14default_configENS1_25partition_config_selectorILNS1_17partition_subalgoE8ElNS0_10empty_typeEbEEZZNS1_14partition_implILS5_8ELb0ES3_jPlPS6_PKS6_NS0_5tupleIJS9_S6_EEENSD_IJSA_SA_EEENS0_18inequality_wrapperIZN2at6native12_GLOBAL__N_124unique_dim_cuda_templateIaEESt5tupleIJNSH_6TensorESM_SM_EERKSM_lbbbEUlllE0_EEPmJS6_EEE10hipError_tPvRmT3_T4_T5_T6_T7_T9_mT8_P12ihipStream_tbDpT10_ENKUlT_T0_E_clISt17integral_constantIbLb0EES1B_IbLb1EEEEDaS17_S18_EUlS17_E_NS1_11comp_targetILNS1_3genE10ELNS1_11target_archE1200ELNS1_3gpuE4ELNS1_3repE0EEENS1_30default_config_static_selectorELNS0_4arch9wavefront6targetE1EEEvT1_.num_vgpr, 0
	.set _ZN7rocprim17ROCPRIM_400000_NS6detail17trampoline_kernelINS0_14default_configENS1_25partition_config_selectorILNS1_17partition_subalgoE8ElNS0_10empty_typeEbEEZZNS1_14partition_implILS5_8ELb0ES3_jPlPS6_PKS6_NS0_5tupleIJS9_S6_EEENSD_IJSA_SA_EEENS0_18inequality_wrapperIZN2at6native12_GLOBAL__N_124unique_dim_cuda_templateIaEESt5tupleIJNSH_6TensorESM_SM_EERKSM_lbbbEUlllE0_EEPmJS6_EEE10hipError_tPvRmT3_T4_T5_T6_T7_T9_mT8_P12ihipStream_tbDpT10_ENKUlT_T0_E_clISt17integral_constantIbLb0EES1B_IbLb1EEEEDaS17_S18_EUlS17_E_NS1_11comp_targetILNS1_3genE10ELNS1_11target_archE1200ELNS1_3gpuE4ELNS1_3repE0EEENS1_30default_config_static_selectorELNS0_4arch9wavefront6targetE1EEEvT1_.num_agpr, 0
	.set _ZN7rocprim17ROCPRIM_400000_NS6detail17trampoline_kernelINS0_14default_configENS1_25partition_config_selectorILNS1_17partition_subalgoE8ElNS0_10empty_typeEbEEZZNS1_14partition_implILS5_8ELb0ES3_jPlPS6_PKS6_NS0_5tupleIJS9_S6_EEENSD_IJSA_SA_EEENS0_18inequality_wrapperIZN2at6native12_GLOBAL__N_124unique_dim_cuda_templateIaEESt5tupleIJNSH_6TensorESM_SM_EERKSM_lbbbEUlllE0_EEPmJS6_EEE10hipError_tPvRmT3_T4_T5_T6_T7_T9_mT8_P12ihipStream_tbDpT10_ENKUlT_T0_E_clISt17integral_constantIbLb0EES1B_IbLb1EEEEDaS17_S18_EUlS17_E_NS1_11comp_targetILNS1_3genE10ELNS1_11target_archE1200ELNS1_3gpuE4ELNS1_3repE0EEENS1_30default_config_static_selectorELNS0_4arch9wavefront6targetE1EEEvT1_.numbered_sgpr, 0
	.set _ZN7rocprim17ROCPRIM_400000_NS6detail17trampoline_kernelINS0_14default_configENS1_25partition_config_selectorILNS1_17partition_subalgoE8ElNS0_10empty_typeEbEEZZNS1_14partition_implILS5_8ELb0ES3_jPlPS6_PKS6_NS0_5tupleIJS9_S6_EEENSD_IJSA_SA_EEENS0_18inequality_wrapperIZN2at6native12_GLOBAL__N_124unique_dim_cuda_templateIaEESt5tupleIJNSH_6TensorESM_SM_EERKSM_lbbbEUlllE0_EEPmJS6_EEE10hipError_tPvRmT3_T4_T5_T6_T7_T9_mT8_P12ihipStream_tbDpT10_ENKUlT_T0_E_clISt17integral_constantIbLb0EES1B_IbLb1EEEEDaS17_S18_EUlS17_E_NS1_11comp_targetILNS1_3genE10ELNS1_11target_archE1200ELNS1_3gpuE4ELNS1_3repE0EEENS1_30default_config_static_selectorELNS0_4arch9wavefront6targetE1EEEvT1_.num_named_barrier, 0
	.set _ZN7rocprim17ROCPRIM_400000_NS6detail17trampoline_kernelINS0_14default_configENS1_25partition_config_selectorILNS1_17partition_subalgoE8ElNS0_10empty_typeEbEEZZNS1_14partition_implILS5_8ELb0ES3_jPlPS6_PKS6_NS0_5tupleIJS9_S6_EEENSD_IJSA_SA_EEENS0_18inequality_wrapperIZN2at6native12_GLOBAL__N_124unique_dim_cuda_templateIaEESt5tupleIJNSH_6TensorESM_SM_EERKSM_lbbbEUlllE0_EEPmJS6_EEE10hipError_tPvRmT3_T4_T5_T6_T7_T9_mT8_P12ihipStream_tbDpT10_ENKUlT_T0_E_clISt17integral_constantIbLb0EES1B_IbLb1EEEEDaS17_S18_EUlS17_E_NS1_11comp_targetILNS1_3genE10ELNS1_11target_archE1200ELNS1_3gpuE4ELNS1_3repE0EEENS1_30default_config_static_selectorELNS0_4arch9wavefront6targetE1EEEvT1_.private_seg_size, 0
	.set _ZN7rocprim17ROCPRIM_400000_NS6detail17trampoline_kernelINS0_14default_configENS1_25partition_config_selectorILNS1_17partition_subalgoE8ElNS0_10empty_typeEbEEZZNS1_14partition_implILS5_8ELb0ES3_jPlPS6_PKS6_NS0_5tupleIJS9_S6_EEENSD_IJSA_SA_EEENS0_18inequality_wrapperIZN2at6native12_GLOBAL__N_124unique_dim_cuda_templateIaEESt5tupleIJNSH_6TensorESM_SM_EERKSM_lbbbEUlllE0_EEPmJS6_EEE10hipError_tPvRmT3_T4_T5_T6_T7_T9_mT8_P12ihipStream_tbDpT10_ENKUlT_T0_E_clISt17integral_constantIbLb0EES1B_IbLb1EEEEDaS17_S18_EUlS17_E_NS1_11comp_targetILNS1_3genE10ELNS1_11target_archE1200ELNS1_3gpuE4ELNS1_3repE0EEENS1_30default_config_static_selectorELNS0_4arch9wavefront6targetE1EEEvT1_.uses_vcc, 0
	.set _ZN7rocprim17ROCPRIM_400000_NS6detail17trampoline_kernelINS0_14default_configENS1_25partition_config_selectorILNS1_17partition_subalgoE8ElNS0_10empty_typeEbEEZZNS1_14partition_implILS5_8ELb0ES3_jPlPS6_PKS6_NS0_5tupleIJS9_S6_EEENSD_IJSA_SA_EEENS0_18inequality_wrapperIZN2at6native12_GLOBAL__N_124unique_dim_cuda_templateIaEESt5tupleIJNSH_6TensorESM_SM_EERKSM_lbbbEUlllE0_EEPmJS6_EEE10hipError_tPvRmT3_T4_T5_T6_T7_T9_mT8_P12ihipStream_tbDpT10_ENKUlT_T0_E_clISt17integral_constantIbLb0EES1B_IbLb1EEEEDaS17_S18_EUlS17_E_NS1_11comp_targetILNS1_3genE10ELNS1_11target_archE1200ELNS1_3gpuE4ELNS1_3repE0EEENS1_30default_config_static_selectorELNS0_4arch9wavefront6targetE1EEEvT1_.uses_flat_scratch, 0
	.set _ZN7rocprim17ROCPRIM_400000_NS6detail17trampoline_kernelINS0_14default_configENS1_25partition_config_selectorILNS1_17partition_subalgoE8ElNS0_10empty_typeEbEEZZNS1_14partition_implILS5_8ELb0ES3_jPlPS6_PKS6_NS0_5tupleIJS9_S6_EEENSD_IJSA_SA_EEENS0_18inequality_wrapperIZN2at6native12_GLOBAL__N_124unique_dim_cuda_templateIaEESt5tupleIJNSH_6TensorESM_SM_EERKSM_lbbbEUlllE0_EEPmJS6_EEE10hipError_tPvRmT3_T4_T5_T6_T7_T9_mT8_P12ihipStream_tbDpT10_ENKUlT_T0_E_clISt17integral_constantIbLb0EES1B_IbLb1EEEEDaS17_S18_EUlS17_E_NS1_11comp_targetILNS1_3genE10ELNS1_11target_archE1200ELNS1_3gpuE4ELNS1_3repE0EEENS1_30default_config_static_selectorELNS0_4arch9wavefront6targetE1EEEvT1_.has_dyn_sized_stack, 0
	.set _ZN7rocprim17ROCPRIM_400000_NS6detail17trampoline_kernelINS0_14default_configENS1_25partition_config_selectorILNS1_17partition_subalgoE8ElNS0_10empty_typeEbEEZZNS1_14partition_implILS5_8ELb0ES3_jPlPS6_PKS6_NS0_5tupleIJS9_S6_EEENSD_IJSA_SA_EEENS0_18inequality_wrapperIZN2at6native12_GLOBAL__N_124unique_dim_cuda_templateIaEESt5tupleIJNSH_6TensorESM_SM_EERKSM_lbbbEUlllE0_EEPmJS6_EEE10hipError_tPvRmT3_T4_T5_T6_T7_T9_mT8_P12ihipStream_tbDpT10_ENKUlT_T0_E_clISt17integral_constantIbLb0EES1B_IbLb1EEEEDaS17_S18_EUlS17_E_NS1_11comp_targetILNS1_3genE10ELNS1_11target_archE1200ELNS1_3gpuE4ELNS1_3repE0EEENS1_30default_config_static_selectorELNS0_4arch9wavefront6targetE1EEEvT1_.has_recursion, 0
	.set _ZN7rocprim17ROCPRIM_400000_NS6detail17trampoline_kernelINS0_14default_configENS1_25partition_config_selectorILNS1_17partition_subalgoE8ElNS0_10empty_typeEbEEZZNS1_14partition_implILS5_8ELb0ES3_jPlPS6_PKS6_NS0_5tupleIJS9_S6_EEENSD_IJSA_SA_EEENS0_18inequality_wrapperIZN2at6native12_GLOBAL__N_124unique_dim_cuda_templateIaEESt5tupleIJNSH_6TensorESM_SM_EERKSM_lbbbEUlllE0_EEPmJS6_EEE10hipError_tPvRmT3_T4_T5_T6_T7_T9_mT8_P12ihipStream_tbDpT10_ENKUlT_T0_E_clISt17integral_constantIbLb0EES1B_IbLb1EEEEDaS17_S18_EUlS17_E_NS1_11comp_targetILNS1_3genE10ELNS1_11target_archE1200ELNS1_3gpuE4ELNS1_3repE0EEENS1_30default_config_static_selectorELNS0_4arch9wavefront6targetE1EEEvT1_.has_indirect_call, 0
	.section	.AMDGPU.csdata,"",@progbits
; Kernel info:
; codeLenInByte = 0
; TotalNumSgprs: 6
; NumVgprs: 0
; NumAgprs: 0
; TotalNumVgprs: 0
; ScratchSize: 0
; MemoryBound: 0
; FloatMode: 240
; IeeeMode: 1
; LDSByteSize: 0 bytes/workgroup (compile time only)
; SGPRBlocks: 0
; VGPRBlocks: 0
; NumSGPRsForWavesPerEU: 6
; NumVGPRsForWavesPerEU: 1
; AccumOffset: 4
; Occupancy: 8
; WaveLimiterHint : 0
; COMPUTE_PGM_RSRC2:SCRATCH_EN: 0
; COMPUTE_PGM_RSRC2:USER_SGPR: 2
; COMPUTE_PGM_RSRC2:TRAP_HANDLER: 0
; COMPUTE_PGM_RSRC2:TGID_X_EN: 1
; COMPUTE_PGM_RSRC2:TGID_Y_EN: 0
; COMPUTE_PGM_RSRC2:TGID_Z_EN: 0
; COMPUTE_PGM_RSRC2:TIDIG_COMP_CNT: 0
; COMPUTE_PGM_RSRC3_GFX90A:ACCUM_OFFSET: 0
; COMPUTE_PGM_RSRC3_GFX90A:TG_SPLIT: 0
	.section	.text._ZN7rocprim17ROCPRIM_400000_NS6detail17trampoline_kernelINS0_14default_configENS1_25partition_config_selectorILNS1_17partition_subalgoE8ElNS0_10empty_typeEbEEZZNS1_14partition_implILS5_8ELb0ES3_jPlPS6_PKS6_NS0_5tupleIJS9_S6_EEENSD_IJSA_SA_EEENS0_18inequality_wrapperIZN2at6native12_GLOBAL__N_124unique_dim_cuda_templateIaEESt5tupleIJNSH_6TensorESM_SM_EERKSM_lbbbEUlllE0_EEPmJS6_EEE10hipError_tPvRmT3_T4_T5_T6_T7_T9_mT8_P12ihipStream_tbDpT10_ENKUlT_T0_E_clISt17integral_constantIbLb0EES1B_IbLb1EEEEDaS17_S18_EUlS17_E_NS1_11comp_targetILNS1_3genE9ELNS1_11target_archE1100ELNS1_3gpuE3ELNS1_3repE0EEENS1_30default_config_static_selectorELNS0_4arch9wavefront6targetE1EEEvT1_,"axG",@progbits,_ZN7rocprim17ROCPRIM_400000_NS6detail17trampoline_kernelINS0_14default_configENS1_25partition_config_selectorILNS1_17partition_subalgoE8ElNS0_10empty_typeEbEEZZNS1_14partition_implILS5_8ELb0ES3_jPlPS6_PKS6_NS0_5tupleIJS9_S6_EEENSD_IJSA_SA_EEENS0_18inequality_wrapperIZN2at6native12_GLOBAL__N_124unique_dim_cuda_templateIaEESt5tupleIJNSH_6TensorESM_SM_EERKSM_lbbbEUlllE0_EEPmJS6_EEE10hipError_tPvRmT3_T4_T5_T6_T7_T9_mT8_P12ihipStream_tbDpT10_ENKUlT_T0_E_clISt17integral_constantIbLb0EES1B_IbLb1EEEEDaS17_S18_EUlS17_E_NS1_11comp_targetILNS1_3genE9ELNS1_11target_archE1100ELNS1_3gpuE3ELNS1_3repE0EEENS1_30default_config_static_selectorELNS0_4arch9wavefront6targetE1EEEvT1_,comdat
	.globl	_ZN7rocprim17ROCPRIM_400000_NS6detail17trampoline_kernelINS0_14default_configENS1_25partition_config_selectorILNS1_17partition_subalgoE8ElNS0_10empty_typeEbEEZZNS1_14partition_implILS5_8ELb0ES3_jPlPS6_PKS6_NS0_5tupleIJS9_S6_EEENSD_IJSA_SA_EEENS0_18inequality_wrapperIZN2at6native12_GLOBAL__N_124unique_dim_cuda_templateIaEESt5tupleIJNSH_6TensorESM_SM_EERKSM_lbbbEUlllE0_EEPmJS6_EEE10hipError_tPvRmT3_T4_T5_T6_T7_T9_mT8_P12ihipStream_tbDpT10_ENKUlT_T0_E_clISt17integral_constantIbLb0EES1B_IbLb1EEEEDaS17_S18_EUlS17_E_NS1_11comp_targetILNS1_3genE9ELNS1_11target_archE1100ELNS1_3gpuE3ELNS1_3repE0EEENS1_30default_config_static_selectorELNS0_4arch9wavefront6targetE1EEEvT1_ ; -- Begin function _ZN7rocprim17ROCPRIM_400000_NS6detail17trampoline_kernelINS0_14default_configENS1_25partition_config_selectorILNS1_17partition_subalgoE8ElNS0_10empty_typeEbEEZZNS1_14partition_implILS5_8ELb0ES3_jPlPS6_PKS6_NS0_5tupleIJS9_S6_EEENSD_IJSA_SA_EEENS0_18inequality_wrapperIZN2at6native12_GLOBAL__N_124unique_dim_cuda_templateIaEESt5tupleIJNSH_6TensorESM_SM_EERKSM_lbbbEUlllE0_EEPmJS6_EEE10hipError_tPvRmT3_T4_T5_T6_T7_T9_mT8_P12ihipStream_tbDpT10_ENKUlT_T0_E_clISt17integral_constantIbLb0EES1B_IbLb1EEEEDaS17_S18_EUlS17_E_NS1_11comp_targetILNS1_3genE9ELNS1_11target_archE1100ELNS1_3gpuE3ELNS1_3repE0EEENS1_30default_config_static_selectorELNS0_4arch9wavefront6targetE1EEEvT1_
	.p2align	8
	.type	_ZN7rocprim17ROCPRIM_400000_NS6detail17trampoline_kernelINS0_14default_configENS1_25partition_config_selectorILNS1_17partition_subalgoE8ElNS0_10empty_typeEbEEZZNS1_14partition_implILS5_8ELb0ES3_jPlPS6_PKS6_NS0_5tupleIJS9_S6_EEENSD_IJSA_SA_EEENS0_18inequality_wrapperIZN2at6native12_GLOBAL__N_124unique_dim_cuda_templateIaEESt5tupleIJNSH_6TensorESM_SM_EERKSM_lbbbEUlllE0_EEPmJS6_EEE10hipError_tPvRmT3_T4_T5_T6_T7_T9_mT8_P12ihipStream_tbDpT10_ENKUlT_T0_E_clISt17integral_constantIbLb0EES1B_IbLb1EEEEDaS17_S18_EUlS17_E_NS1_11comp_targetILNS1_3genE9ELNS1_11target_archE1100ELNS1_3gpuE3ELNS1_3repE0EEENS1_30default_config_static_selectorELNS0_4arch9wavefront6targetE1EEEvT1_,@function
_ZN7rocprim17ROCPRIM_400000_NS6detail17trampoline_kernelINS0_14default_configENS1_25partition_config_selectorILNS1_17partition_subalgoE8ElNS0_10empty_typeEbEEZZNS1_14partition_implILS5_8ELb0ES3_jPlPS6_PKS6_NS0_5tupleIJS9_S6_EEENSD_IJSA_SA_EEENS0_18inequality_wrapperIZN2at6native12_GLOBAL__N_124unique_dim_cuda_templateIaEESt5tupleIJNSH_6TensorESM_SM_EERKSM_lbbbEUlllE0_EEPmJS6_EEE10hipError_tPvRmT3_T4_T5_T6_T7_T9_mT8_P12ihipStream_tbDpT10_ENKUlT_T0_E_clISt17integral_constantIbLb0EES1B_IbLb1EEEEDaS17_S18_EUlS17_E_NS1_11comp_targetILNS1_3genE9ELNS1_11target_archE1100ELNS1_3gpuE3ELNS1_3repE0EEENS1_30default_config_static_selectorELNS0_4arch9wavefront6targetE1EEEvT1_: ; @_ZN7rocprim17ROCPRIM_400000_NS6detail17trampoline_kernelINS0_14default_configENS1_25partition_config_selectorILNS1_17partition_subalgoE8ElNS0_10empty_typeEbEEZZNS1_14partition_implILS5_8ELb0ES3_jPlPS6_PKS6_NS0_5tupleIJS9_S6_EEENSD_IJSA_SA_EEENS0_18inequality_wrapperIZN2at6native12_GLOBAL__N_124unique_dim_cuda_templateIaEESt5tupleIJNSH_6TensorESM_SM_EERKSM_lbbbEUlllE0_EEPmJS6_EEE10hipError_tPvRmT3_T4_T5_T6_T7_T9_mT8_P12ihipStream_tbDpT10_ENKUlT_T0_E_clISt17integral_constantIbLb0EES1B_IbLb1EEEEDaS17_S18_EUlS17_E_NS1_11comp_targetILNS1_3genE9ELNS1_11target_archE1100ELNS1_3gpuE3ELNS1_3repE0EEENS1_30default_config_static_selectorELNS0_4arch9wavefront6targetE1EEEvT1_
; %bb.0:
	.section	.rodata,"a",@progbits
	.p2align	6, 0x0
	.amdhsa_kernel _ZN7rocprim17ROCPRIM_400000_NS6detail17trampoline_kernelINS0_14default_configENS1_25partition_config_selectorILNS1_17partition_subalgoE8ElNS0_10empty_typeEbEEZZNS1_14partition_implILS5_8ELb0ES3_jPlPS6_PKS6_NS0_5tupleIJS9_S6_EEENSD_IJSA_SA_EEENS0_18inequality_wrapperIZN2at6native12_GLOBAL__N_124unique_dim_cuda_templateIaEESt5tupleIJNSH_6TensorESM_SM_EERKSM_lbbbEUlllE0_EEPmJS6_EEE10hipError_tPvRmT3_T4_T5_T6_T7_T9_mT8_P12ihipStream_tbDpT10_ENKUlT_T0_E_clISt17integral_constantIbLb0EES1B_IbLb1EEEEDaS17_S18_EUlS17_E_NS1_11comp_targetILNS1_3genE9ELNS1_11target_archE1100ELNS1_3gpuE3ELNS1_3repE0EEENS1_30default_config_static_selectorELNS0_4arch9wavefront6targetE1EEEvT1_
		.amdhsa_group_segment_fixed_size 0
		.amdhsa_private_segment_fixed_size 0
		.amdhsa_kernarg_size 136
		.amdhsa_user_sgpr_count 2
		.amdhsa_user_sgpr_dispatch_ptr 0
		.amdhsa_user_sgpr_queue_ptr 0
		.amdhsa_user_sgpr_kernarg_segment_ptr 1
		.amdhsa_user_sgpr_dispatch_id 0
		.amdhsa_user_sgpr_kernarg_preload_length 0
		.amdhsa_user_sgpr_kernarg_preload_offset 0
		.amdhsa_user_sgpr_private_segment_size 0
		.amdhsa_uses_dynamic_stack 0
		.amdhsa_enable_private_segment 0
		.amdhsa_system_sgpr_workgroup_id_x 1
		.amdhsa_system_sgpr_workgroup_id_y 0
		.amdhsa_system_sgpr_workgroup_id_z 0
		.amdhsa_system_sgpr_workgroup_info 0
		.amdhsa_system_vgpr_workitem_id 0
		.amdhsa_next_free_vgpr 1
		.amdhsa_next_free_sgpr 0
		.amdhsa_accum_offset 4
		.amdhsa_reserve_vcc 0
		.amdhsa_float_round_mode_32 0
		.amdhsa_float_round_mode_16_64 0
		.amdhsa_float_denorm_mode_32 3
		.amdhsa_float_denorm_mode_16_64 3
		.amdhsa_dx10_clamp 1
		.amdhsa_ieee_mode 1
		.amdhsa_fp16_overflow 0
		.amdhsa_tg_split 0
		.amdhsa_exception_fp_ieee_invalid_op 0
		.amdhsa_exception_fp_denorm_src 0
		.amdhsa_exception_fp_ieee_div_zero 0
		.amdhsa_exception_fp_ieee_overflow 0
		.amdhsa_exception_fp_ieee_underflow 0
		.amdhsa_exception_fp_ieee_inexact 0
		.amdhsa_exception_int_div_zero 0
	.end_amdhsa_kernel
	.section	.text._ZN7rocprim17ROCPRIM_400000_NS6detail17trampoline_kernelINS0_14default_configENS1_25partition_config_selectorILNS1_17partition_subalgoE8ElNS0_10empty_typeEbEEZZNS1_14partition_implILS5_8ELb0ES3_jPlPS6_PKS6_NS0_5tupleIJS9_S6_EEENSD_IJSA_SA_EEENS0_18inequality_wrapperIZN2at6native12_GLOBAL__N_124unique_dim_cuda_templateIaEESt5tupleIJNSH_6TensorESM_SM_EERKSM_lbbbEUlllE0_EEPmJS6_EEE10hipError_tPvRmT3_T4_T5_T6_T7_T9_mT8_P12ihipStream_tbDpT10_ENKUlT_T0_E_clISt17integral_constantIbLb0EES1B_IbLb1EEEEDaS17_S18_EUlS17_E_NS1_11comp_targetILNS1_3genE9ELNS1_11target_archE1100ELNS1_3gpuE3ELNS1_3repE0EEENS1_30default_config_static_selectorELNS0_4arch9wavefront6targetE1EEEvT1_,"axG",@progbits,_ZN7rocprim17ROCPRIM_400000_NS6detail17trampoline_kernelINS0_14default_configENS1_25partition_config_selectorILNS1_17partition_subalgoE8ElNS0_10empty_typeEbEEZZNS1_14partition_implILS5_8ELb0ES3_jPlPS6_PKS6_NS0_5tupleIJS9_S6_EEENSD_IJSA_SA_EEENS0_18inequality_wrapperIZN2at6native12_GLOBAL__N_124unique_dim_cuda_templateIaEESt5tupleIJNSH_6TensorESM_SM_EERKSM_lbbbEUlllE0_EEPmJS6_EEE10hipError_tPvRmT3_T4_T5_T6_T7_T9_mT8_P12ihipStream_tbDpT10_ENKUlT_T0_E_clISt17integral_constantIbLb0EES1B_IbLb1EEEEDaS17_S18_EUlS17_E_NS1_11comp_targetILNS1_3genE9ELNS1_11target_archE1100ELNS1_3gpuE3ELNS1_3repE0EEENS1_30default_config_static_selectorELNS0_4arch9wavefront6targetE1EEEvT1_,comdat
.Lfunc_end349:
	.size	_ZN7rocprim17ROCPRIM_400000_NS6detail17trampoline_kernelINS0_14default_configENS1_25partition_config_selectorILNS1_17partition_subalgoE8ElNS0_10empty_typeEbEEZZNS1_14partition_implILS5_8ELb0ES3_jPlPS6_PKS6_NS0_5tupleIJS9_S6_EEENSD_IJSA_SA_EEENS0_18inequality_wrapperIZN2at6native12_GLOBAL__N_124unique_dim_cuda_templateIaEESt5tupleIJNSH_6TensorESM_SM_EERKSM_lbbbEUlllE0_EEPmJS6_EEE10hipError_tPvRmT3_T4_T5_T6_T7_T9_mT8_P12ihipStream_tbDpT10_ENKUlT_T0_E_clISt17integral_constantIbLb0EES1B_IbLb1EEEEDaS17_S18_EUlS17_E_NS1_11comp_targetILNS1_3genE9ELNS1_11target_archE1100ELNS1_3gpuE3ELNS1_3repE0EEENS1_30default_config_static_selectorELNS0_4arch9wavefront6targetE1EEEvT1_, .Lfunc_end349-_ZN7rocprim17ROCPRIM_400000_NS6detail17trampoline_kernelINS0_14default_configENS1_25partition_config_selectorILNS1_17partition_subalgoE8ElNS0_10empty_typeEbEEZZNS1_14partition_implILS5_8ELb0ES3_jPlPS6_PKS6_NS0_5tupleIJS9_S6_EEENSD_IJSA_SA_EEENS0_18inequality_wrapperIZN2at6native12_GLOBAL__N_124unique_dim_cuda_templateIaEESt5tupleIJNSH_6TensorESM_SM_EERKSM_lbbbEUlllE0_EEPmJS6_EEE10hipError_tPvRmT3_T4_T5_T6_T7_T9_mT8_P12ihipStream_tbDpT10_ENKUlT_T0_E_clISt17integral_constantIbLb0EES1B_IbLb1EEEEDaS17_S18_EUlS17_E_NS1_11comp_targetILNS1_3genE9ELNS1_11target_archE1100ELNS1_3gpuE3ELNS1_3repE0EEENS1_30default_config_static_selectorELNS0_4arch9wavefront6targetE1EEEvT1_
                                        ; -- End function
	.set _ZN7rocprim17ROCPRIM_400000_NS6detail17trampoline_kernelINS0_14default_configENS1_25partition_config_selectorILNS1_17partition_subalgoE8ElNS0_10empty_typeEbEEZZNS1_14partition_implILS5_8ELb0ES3_jPlPS6_PKS6_NS0_5tupleIJS9_S6_EEENSD_IJSA_SA_EEENS0_18inequality_wrapperIZN2at6native12_GLOBAL__N_124unique_dim_cuda_templateIaEESt5tupleIJNSH_6TensorESM_SM_EERKSM_lbbbEUlllE0_EEPmJS6_EEE10hipError_tPvRmT3_T4_T5_T6_T7_T9_mT8_P12ihipStream_tbDpT10_ENKUlT_T0_E_clISt17integral_constantIbLb0EES1B_IbLb1EEEEDaS17_S18_EUlS17_E_NS1_11comp_targetILNS1_3genE9ELNS1_11target_archE1100ELNS1_3gpuE3ELNS1_3repE0EEENS1_30default_config_static_selectorELNS0_4arch9wavefront6targetE1EEEvT1_.num_vgpr, 0
	.set _ZN7rocprim17ROCPRIM_400000_NS6detail17trampoline_kernelINS0_14default_configENS1_25partition_config_selectorILNS1_17partition_subalgoE8ElNS0_10empty_typeEbEEZZNS1_14partition_implILS5_8ELb0ES3_jPlPS6_PKS6_NS0_5tupleIJS9_S6_EEENSD_IJSA_SA_EEENS0_18inequality_wrapperIZN2at6native12_GLOBAL__N_124unique_dim_cuda_templateIaEESt5tupleIJNSH_6TensorESM_SM_EERKSM_lbbbEUlllE0_EEPmJS6_EEE10hipError_tPvRmT3_T4_T5_T6_T7_T9_mT8_P12ihipStream_tbDpT10_ENKUlT_T0_E_clISt17integral_constantIbLb0EES1B_IbLb1EEEEDaS17_S18_EUlS17_E_NS1_11comp_targetILNS1_3genE9ELNS1_11target_archE1100ELNS1_3gpuE3ELNS1_3repE0EEENS1_30default_config_static_selectorELNS0_4arch9wavefront6targetE1EEEvT1_.num_agpr, 0
	.set _ZN7rocprim17ROCPRIM_400000_NS6detail17trampoline_kernelINS0_14default_configENS1_25partition_config_selectorILNS1_17partition_subalgoE8ElNS0_10empty_typeEbEEZZNS1_14partition_implILS5_8ELb0ES3_jPlPS6_PKS6_NS0_5tupleIJS9_S6_EEENSD_IJSA_SA_EEENS0_18inequality_wrapperIZN2at6native12_GLOBAL__N_124unique_dim_cuda_templateIaEESt5tupleIJNSH_6TensorESM_SM_EERKSM_lbbbEUlllE0_EEPmJS6_EEE10hipError_tPvRmT3_T4_T5_T6_T7_T9_mT8_P12ihipStream_tbDpT10_ENKUlT_T0_E_clISt17integral_constantIbLb0EES1B_IbLb1EEEEDaS17_S18_EUlS17_E_NS1_11comp_targetILNS1_3genE9ELNS1_11target_archE1100ELNS1_3gpuE3ELNS1_3repE0EEENS1_30default_config_static_selectorELNS0_4arch9wavefront6targetE1EEEvT1_.numbered_sgpr, 0
	.set _ZN7rocprim17ROCPRIM_400000_NS6detail17trampoline_kernelINS0_14default_configENS1_25partition_config_selectorILNS1_17partition_subalgoE8ElNS0_10empty_typeEbEEZZNS1_14partition_implILS5_8ELb0ES3_jPlPS6_PKS6_NS0_5tupleIJS9_S6_EEENSD_IJSA_SA_EEENS0_18inequality_wrapperIZN2at6native12_GLOBAL__N_124unique_dim_cuda_templateIaEESt5tupleIJNSH_6TensorESM_SM_EERKSM_lbbbEUlllE0_EEPmJS6_EEE10hipError_tPvRmT3_T4_T5_T6_T7_T9_mT8_P12ihipStream_tbDpT10_ENKUlT_T0_E_clISt17integral_constantIbLb0EES1B_IbLb1EEEEDaS17_S18_EUlS17_E_NS1_11comp_targetILNS1_3genE9ELNS1_11target_archE1100ELNS1_3gpuE3ELNS1_3repE0EEENS1_30default_config_static_selectorELNS0_4arch9wavefront6targetE1EEEvT1_.num_named_barrier, 0
	.set _ZN7rocprim17ROCPRIM_400000_NS6detail17trampoline_kernelINS0_14default_configENS1_25partition_config_selectorILNS1_17partition_subalgoE8ElNS0_10empty_typeEbEEZZNS1_14partition_implILS5_8ELb0ES3_jPlPS6_PKS6_NS0_5tupleIJS9_S6_EEENSD_IJSA_SA_EEENS0_18inequality_wrapperIZN2at6native12_GLOBAL__N_124unique_dim_cuda_templateIaEESt5tupleIJNSH_6TensorESM_SM_EERKSM_lbbbEUlllE0_EEPmJS6_EEE10hipError_tPvRmT3_T4_T5_T6_T7_T9_mT8_P12ihipStream_tbDpT10_ENKUlT_T0_E_clISt17integral_constantIbLb0EES1B_IbLb1EEEEDaS17_S18_EUlS17_E_NS1_11comp_targetILNS1_3genE9ELNS1_11target_archE1100ELNS1_3gpuE3ELNS1_3repE0EEENS1_30default_config_static_selectorELNS0_4arch9wavefront6targetE1EEEvT1_.private_seg_size, 0
	.set _ZN7rocprim17ROCPRIM_400000_NS6detail17trampoline_kernelINS0_14default_configENS1_25partition_config_selectorILNS1_17partition_subalgoE8ElNS0_10empty_typeEbEEZZNS1_14partition_implILS5_8ELb0ES3_jPlPS6_PKS6_NS0_5tupleIJS9_S6_EEENSD_IJSA_SA_EEENS0_18inequality_wrapperIZN2at6native12_GLOBAL__N_124unique_dim_cuda_templateIaEESt5tupleIJNSH_6TensorESM_SM_EERKSM_lbbbEUlllE0_EEPmJS6_EEE10hipError_tPvRmT3_T4_T5_T6_T7_T9_mT8_P12ihipStream_tbDpT10_ENKUlT_T0_E_clISt17integral_constantIbLb0EES1B_IbLb1EEEEDaS17_S18_EUlS17_E_NS1_11comp_targetILNS1_3genE9ELNS1_11target_archE1100ELNS1_3gpuE3ELNS1_3repE0EEENS1_30default_config_static_selectorELNS0_4arch9wavefront6targetE1EEEvT1_.uses_vcc, 0
	.set _ZN7rocprim17ROCPRIM_400000_NS6detail17trampoline_kernelINS0_14default_configENS1_25partition_config_selectorILNS1_17partition_subalgoE8ElNS0_10empty_typeEbEEZZNS1_14partition_implILS5_8ELb0ES3_jPlPS6_PKS6_NS0_5tupleIJS9_S6_EEENSD_IJSA_SA_EEENS0_18inequality_wrapperIZN2at6native12_GLOBAL__N_124unique_dim_cuda_templateIaEESt5tupleIJNSH_6TensorESM_SM_EERKSM_lbbbEUlllE0_EEPmJS6_EEE10hipError_tPvRmT3_T4_T5_T6_T7_T9_mT8_P12ihipStream_tbDpT10_ENKUlT_T0_E_clISt17integral_constantIbLb0EES1B_IbLb1EEEEDaS17_S18_EUlS17_E_NS1_11comp_targetILNS1_3genE9ELNS1_11target_archE1100ELNS1_3gpuE3ELNS1_3repE0EEENS1_30default_config_static_selectorELNS0_4arch9wavefront6targetE1EEEvT1_.uses_flat_scratch, 0
	.set _ZN7rocprim17ROCPRIM_400000_NS6detail17trampoline_kernelINS0_14default_configENS1_25partition_config_selectorILNS1_17partition_subalgoE8ElNS0_10empty_typeEbEEZZNS1_14partition_implILS5_8ELb0ES3_jPlPS6_PKS6_NS0_5tupleIJS9_S6_EEENSD_IJSA_SA_EEENS0_18inequality_wrapperIZN2at6native12_GLOBAL__N_124unique_dim_cuda_templateIaEESt5tupleIJNSH_6TensorESM_SM_EERKSM_lbbbEUlllE0_EEPmJS6_EEE10hipError_tPvRmT3_T4_T5_T6_T7_T9_mT8_P12ihipStream_tbDpT10_ENKUlT_T0_E_clISt17integral_constantIbLb0EES1B_IbLb1EEEEDaS17_S18_EUlS17_E_NS1_11comp_targetILNS1_3genE9ELNS1_11target_archE1100ELNS1_3gpuE3ELNS1_3repE0EEENS1_30default_config_static_selectorELNS0_4arch9wavefront6targetE1EEEvT1_.has_dyn_sized_stack, 0
	.set _ZN7rocprim17ROCPRIM_400000_NS6detail17trampoline_kernelINS0_14default_configENS1_25partition_config_selectorILNS1_17partition_subalgoE8ElNS0_10empty_typeEbEEZZNS1_14partition_implILS5_8ELb0ES3_jPlPS6_PKS6_NS0_5tupleIJS9_S6_EEENSD_IJSA_SA_EEENS0_18inequality_wrapperIZN2at6native12_GLOBAL__N_124unique_dim_cuda_templateIaEESt5tupleIJNSH_6TensorESM_SM_EERKSM_lbbbEUlllE0_EEPmJS6_EEE10hipError_tPvRmT3_T4_T5_T6_T7_T9_mT8_P12ihipStream_tbDpT10_ENKUlT_T0_E_clISt17integral_constantIbLb0EES1B_IbLb1EEEEDaS17_S18_EUlS17_E_NS1_11comp_targetILNS1_3genE9ELNS1_11target_archE1100ELNS1_3gpuE3ELNS1_3repE0EEENS1_30default_config_static_selectorELNS0_4arch9wavefront6targetE1EEEvT1_.has_recursion, 0
	.set _ZN7rocprim17ROCPRIM_400000_NS6detail17trampoline_kernelINS0_14default_configENS1_25partition_config_selectorILNS1_17partition_subalgoE8ElNS0_10empty_typeEbEEZZNS1_14partition_implILS5_8ELb0ES3_jPlPS6_PKS6_NS0_5tupleIJS9_S6_EEENSD_IJSA_SA_EEENS0_18inequality_wrapperIZN2at6native12_GLOBAL__N_124unique_dim_cuda_templateIaEESt5tupleIJNSH_6TensorESM_SM_EERKSM_lbbbEUlllE0_EEPmJS6_EEE10hipError_tPvRmT3_T4_T5_T6_T7_T9_mT8_P12ihipStream_tbDpT10_ENKUlT_T0_E_clISt17integral_constantIbLb0EES1B_IbLb1EEEEDaS17_S18_EUlS17_E_NS1_11comp_targetILNS1_3genE9ELNS1_11target_archE1100ELNS1_3gpuE3ELNS1_3repE0EEENS1_30default_config_static_selectorELNS0_4arch9wavefront6targetE1EEEvT1_.has_indirect_call, 0
	.section	.AMDGPU.csdata,"",@progbits
; Kernel info:
; codeLenInByte = 0
; TotalNumSgprs: 6
; NumVgprs: 0
; NumAgprs: 0
; TotalNumVgprs: 0
; ScratchSize: 0
; MemoryBound: 0
; FloatMode: 240
; IeeeMode: 1
; LDSByteSize: 0 bytes/workgroup (compile time only)
; SGPRBlocks: 0
; VGPRBlocks: 0
; NumSGPRsForWavesPerEU: 6
; NumVGPRsForWavesPerEU: 1
; AccumOffset: 4
; Occupancy: 8
; WaveLimiterHint : 0
; COMPUTE_PGM_RSRC2:SCRATCH_EN: 0
; COMPUTE_PGM_RSRC2:USER_SGPR: 2
; COMPUTE_PGM_RSRC2:TRAP_HANDLER: 0
; COMPUTE_PGM_RSRC2:TGID_X_EN: 1
; COMPUTE_PGM_RSRC2:TGID_Y_EN: 0
; COMPUTE_PGM_RSRC2:TGID_Z_EN: 0
; COMPUTE_PGM_RSRC2:TIDIG_COMP_CNT: 0
; COMPUTE_PGM_RSRC3_GFX90A:ACCUM_OFFSET: 0
; COMPUTE_PGM_RSRC3_GFX90A:TG_SPLIT: 0
	.section	.text._ZN7rocprim17ROCPRIM_400000_NS6detail17trampoline_kernelINS0_14default_configENS1_25partition_config_selectorILNS1_17partition_subalgoE8ElNS0_10empty_typeEbEEZZNS1_14partition_implILS5_8ELb0ES3_jPlPS6_PKS6_NS0_5tupleIJS9_S6_EEENSD_IJSA_SA_EEENS0_18inequality_wrapperIZN2at6native12_GLOBAL__N_124unique_dim_cuda_templateIaEESt5tupleIJNSH_6TensorESM_SM_EERKSM_lbbbEUlllE0_EEPmJS6_EEE10hipError_tPvRmT3_T4_T5_T6_T7_T9_mT8_P12ihipStream_tbDpT10_ENKUlT_T0_E_clISt17integral_constantIbLb0EES1B_IbLb1EEEEDaS17_S18_EUlS17_E_NS1_11comp_targetILNS1_3genE8ELNS1_11target_archE1030ELNS1_3gpuE2ELNS1_3repE0EEENS1_30default_config_static_selectorELNS0_4arch9wavefront6targetE1EEEvT1_,"axG",@progbits,_ZN7rocprim17ROCPRIM_400000_NS6detail17trampoline_kernelINS0_14default_configENS1_25partition_config_selectorILNS1_17partition_subalgoE8ElNS0_10empty_typeEbEEZZNS1_14partition_implILS5_8ELb0ES3_jPlPS6_PKS6_NS0_5tupleIJS9_S6_EEENSD_IJSA_SA_EEENS0_18inequality_wrapperIZN2at6native12_GLOBAL__N_124unique_dim_cuda_templateIaEESt5tupleIJNSH_6TensorESM_SM_EERKSM_lbbbEUlllE0_EEPmJS6_EEE10hipError_tPvRmT3_T4_T5_T6_T7_T9_mT8_P12ihipStream_tbDpT10_ENKUlT_T0_E_clISt17integral_constantIbLb0EES1B_IbLb1EEEEDaS17_S18_EUlS17_E_NS1_11comp_targetILNS1_3genE8ELNS1_11target_archE1030ELNS1_3gpuE2ELNS1_3repE0EEENS1_30default_config_static_selectorELNS0_4arch9wavefront6targetE1EEEvT1_,comdat
	.globl	_ZN7rocprim17ROCPRIM_400000_NS6detail17trampoline_kernelINS0_14default_configENS1_25partition_config_selectorILNS1_17partition_subalgoE8ElNS0_10empty_typeEbEEZZNS1_14partition_implILS5_8ELb0ES3_jPlPS6_PKS6_NS0_5tupleIJS9_S6_EEENSD_IJSA_SA_EEENS0_18inequality_wrapperIZN2at6native12_GLOBAL__N_124unique_dim_cuda_templateIaEESt5tupleIJNSH_6TensorESM_SM_EERKSM_lbbbEUlllE0_EEPmJS6_EEE10hipError_tPvRmT3_T4_T5_T6_T7_T9_mT8_P12ihipStream_tbDpT10_ENKUlT_T0_E_clISt17integral_constantIbLb0EES1B_IbLb1EEEEDaS17_S18_EUlS17_E_NS1_11comp_targetILNS1_3genE8ELNS1_11target_archE1030ELNS1_3gpuE2ELNS1_3repE0EEENS1_30default_config_static_selectorELNS0_4arch9wavefront6targetE1EEEvT1_ ; -- Begin function _ZN7rocprim17ROCPRIM_400000_NS6detail17trampoline_kernelINS0_14default_configENS1_25partition_config_selectorILNS1_17partition_subalgoE8ElNS0_10empty_typeEbEEZZNS1_14partition_implILS5_8ELb0ES3_jPlPS6_PKS6_NS0_5tupleIJS9_S6_EEENSD_IJSA_SA_EEENS0_18inequality_wrapperIZN2at6native12_GLOBAL__N_124unique_dim_cuda_templateIaEESt5tupleIJNSH_6TensorESM_SM_EERKSM_lbbbEUlllE0_EEPmJS6_EEE10hipError_tPvRmT3_T4_T5_T6_T7_T9_mT8_P12ihipStream_tbDpT10_ENKUlT_T0_E_clISt17integral_constantIbLb0EES1B_IbLb1EEEEDaS17_S18_EUlS17_E_NS1_11comp_targetILNS1_3genE8ELNS1_11target_archE1030ELNS1_3gpuE2ELNS1_3repE0EEENS1_30default_config_static_selectorELNS0_4arch9wavefront6targetE1EEEvT1_
	.p2align	8
	.type	_ZN7rocprim17ROCPRIM_400000_NS6detail17trampoline_kernelINS0_14default_configENS1_25partition_config_selectorILNS1_17partition_subalgoE8ElNS0_10empty_typeEbEEZZNS1_14partition_implILS5_8ELb0ES3_jPlPS6_PKS6_NS0_5tupleIJS9_S6_EEENSD_IJSA_SA_EEENS0_18inequality_wrapperIZN2at6native12_GLOBAL__N_124unique_dim_cuda_templateIaEESt5tupleIJNSH_6TensorESM_SM_EERKSM_lbbbEUlllE0_EEPmJS6_EEE10hipError_tPvRmT3_T4_T5_T6_T7_T9_mT8_P12ihipStream_tbDpT10_ENKUlT_T0_E_clISt17integral_constantIbLb0EES1B_IbLb1EEEEDaS17_S18_EUlS17_E_NS1_11comp_targetILNS1_3genE8ELNS1_11target_archE1030ELNS1_3gpuE2ELNS1_3repE0EEENS1_30default_config_static_selectorELNS0_4arch9wavefront6targetE1EEEvT1_,@function
_ZN7rocprim17ROCPRIM_400000_NS6detail17trampoline_kernelINS0_14default_configENS1_25partition_config_selectorILNS1_17partition_subalgoE8ElNS0_10empty_typeEbEEZZNS1_14partition_implILS5_8ELb0ES3_jPlPS6_PKS6_NS0_5tupleIJS9_S6_EEENSD_IJSA_SA_EEENS0_18inequality_wrapperIZN2at6native12_GLOBAL__N_124unique_dim_cuda_templateIaEESt5tupleIJNSH_6TensorESM_SM_EERKSM_lbbbEUlllE0_EEPmJS6_EEE10hipError_tPvRmT3_T4_T5_T6_T7_T9_mT8_P12ihipStream_tbDpT10_ENKUlT_T0_E_clISt17integral_constantIbLb0EES1B_IbLb1EEEEDaS17_S18_EUlS17_E_NS1_11comp_targetILNS1_3genE8ELNS1_11target_archE1030ELNS1_3gpuE2ELNS1_3repE0EEENS1_30default_config_static_selectorELNS0_4arch9wavefront6targetE1EEEvT1_: ; @_ZN7rocprim17ROCPRIM_400000_NS6detail17trampoline_kernelINS0_14default_configENS1_25partition_config_selectorILNS1_17partition_subalgoE8ElNS0_10empty_typeEbEEZZNS1_14partition_implILS5_8ELb0ES3_jPlPS6_PKS6_NS0_5tupleIJS9_S6_EEENSD_IJSA_SA_EEENS0_18inequality_wrapperIZN2at6native12_GLOBAL__N_124unique_dim_cuda_templateIaEESt5tupleIJNSH_6TensorESM_SM_EERKSM_lbbbEUlllE0_EEPmJS6_EEE10hipError_tPvRmT3_T4_T5_T6_T7_T9_mT8_P12ihipStream_tbDpT10_ENKUlT_T0_E_clISt17integral_constantIbLb0EES1B_IbLb1EEEEDaS17_S18_EUlS17_E_NS1_11comp_targetILNS1_3genE8ELNS1_11target_archE1030ELNS1_3gpuE2ELNS1_3repE0EEENS1_30default_config_static_selectorELNS0_4arch9wavefront6targetE1EEEvT1_
; %bb.0:
	.section	.rodata,"a",@progbits
	.p2align	6, 0x0
	.amdhsa_kernel _ZN7rocprim17ROCPRIM_400000_NS6detail17trampoline_kernelINS0_14default_configENS1_25partition_config_selectorILNS1_17partition_subalgoE8ElNS0_10empty_typeEbEEZZNS1_14partition_implILS5_8ELb0ES3_jPlPS6_PKS6_NS0_5tupleIJS9_S6_EEENSD_IJSA_SA_EEENS0_18inequality_wrapperIZN2at6native12_GLOBAL__N_124unique_dim_cuda_templateIaEESt5tupleIJNSH_6TensorESM_SM_EERKSM_lbbbEUlllE0_EEPmJS6_EEE10hipError_tPvRmT3_T4_T5_T6_T7_T9_mT8_P12ihipStream_tbDpT10_ENKUlT_T0_E_clISt17integral_constantIbLb0EES1B_IbLb1EEEEDaS17_S18_EUlS17_E_NS1_11comp_targetILNS1_3genE8ELNS1_11target_archE1030ELNS1_3gpuE2ELNS1_3repE0EEENS1_30default_config_static_selectorELNS0_4arch9wavefront6targetE1EEEvT1_
		.amdhsa_group_segment_fixed_size 0
		.amdhsa_private_segment_fixed_size 0
		.amdhsa_kernarg_size 136
		.amdhsa_user_sgpr_count 2
		.amdhsa_user_sgpr_dispatch_ptr 0
		.amdhsa_user_sgpr_queue_ptr 0
		.amdhsa_user_sgpr_kernarg_segment_ptr 1
		.amdhsa_user_sgpr_dispatch_id 0
		.amdhsa_user_sgpr_kernarg_preload_length 0
		.amdhsa_user_sgpr_kernarg_preload_offset 0
		.amdhsa_user_sgpr_private_segment_size 0
		.amdhsa_uses_dynamic_stack 0
		.amdhsa_enable_private_segment 0
		.amdhsa_system_sgpr_workgroup_id_x 1
		.amdhsa_system_sgpr_workgroup_id_y 0
		.amdhsa_system_sgpr_workgroup_id_z 0
		.amdhsa_system_sgpr_workgroup_info 0
		.amdhsa_system_vgpr_workitem_id 0
		.amdhsa_next_free_vgpr 1
		.amdhsa_next_free_sgpr 0
		.amdhsa_accum_offset 4
		.amdhsa_reserve_vcc 0
		.amdhsa_float_round_mode_32 0
		.amdhsa_float_round_mode_16_64 0
		.amdhsa_float_denorm_mode_32 3
		.amdhsa_float_denorm_mode_16_64 3
		.amdhsa_dx10_clamp 1
		.amdhsa_ieee_mode 1
		.amdhsa_fp16_overflow 0
		.amdhsa_tg_split 0
		.amdhsa_exception_fp_ieee_invalid_op 0
		.amdhsa_exception_fp_denorm_src 0
		.amdhsa_exception_fp_ieee_div_zero 0
		.amdhsa_exception_fp_ieee_overflow 0
		.amdhsa_exception_fp_ieee_underflow 0
		.amdhsa_exception_fp_ieee_inexact 0
		.amdhsa_exception_int_div_zero 0
	.end_amdhsa_kernel
	.section	.text._ZN7rocprim17ROCPRIM_400000_NS6detail17trampoline_kernelINS0_14default_configENS1_25partition_config_selectorILNS1_17partition_subalgoE8ElNS0_10empty_typeEbEEZZNS1_14partition_implILS5_8ELb0ES3_jPlPS6_PKS6_NS0_5tupleIJS9_S6_EEENSD_IJSA_SA_EEENS0_18inequality_wrapperIZN2at6native12_GLOBAL__N_124unique_dim_cuda_templateIaEESt5tupleIJNSH_6TensorESM_SM_EERKSM_lbbbEUlllE0_EEPmJS6_EEE10hipError_tPvRmT3_T4_T5_T6_T7_T9_mT8_P12ihipStream_tbDpT10_ENKUlT_T0_E_clISt17integral_constantIbLb0EES1B_IbLb1EEEEDaS17_S18_EUlS17_E_NS1_11comp_targetILNS1_3genE8ELNS1_11target_archE1030ELNS1_3gpuE2ELNS1_3repE0EEENS1_30default_config_static_selectorELNS0_4arch9wavefront6targetE1EEEvT1_,"axG",@progbits,_ZN7rocprim17ROCPRIM_400000_NS6detail17trampoline_kernelINS0_14default_configENS1_25partition_config_selectorILNS1_17partition_subalgoE8ElNS0_10empty_typeEbEEZZNS1_14partition_implILS5_8ELb0ES3_jPlPS6_PKS6_NS0_5tupleIJS9_S6_EEENSD_IJSA_SA_EEENS0_18inequality_wrapperIZN2at6native12_GLOBAL__N_124unique_dim_cuda_templateIaEESt5tupleIJNSH_6TensorESM_SM_EERKSM_lbbbEUlllE0_EEPmJS6_EEE10hipError_tPvRmT3_T4_T5_T6_T7_T9_mT8_P12ihipStream_tbDpT10_ENKUlT_T0_E_clISt17integral_constantIbLb0EES1B_IbLb1EEEEDaS17_S18_EUlS17_E_NS1_11comp_targetILNS1_3genE8ELNS1_11target_archE1030ELNS1_3gpuE2ELNS1_3repE0EEENS1_30default_config_static_selectorELNS0_4arch9wavefront6targetE1EEEvT1_,comdat
.Lfunc_end350:
	.size	_ZN7rocprim17ROCPRIM_400000_NS6detail17trampoline_kernelINS0_14default_configENS1_25partition_config_selectorILNS1_17partition_subalgoE8ElNS0_10empty_typeEbEEZZNS1_14partition_implILS5_8ELb0ES3_jPlPS6_PKS6_NS0_5tupleIJS9_S6_EEENSD_IJSA_SA_EEENS0_18inequality_wrapperIZN2at6native12_GLOBAL__N_124unique_dim_cuda_templateIaEESt5tupleIJNSH_6TensorESM_SM_EERKSM_lbbbEUlllE0_EEPmJS6_EEE10hipError_tPvRmT3_T4_T5_T6_T7_T9_mT8_P12ihipStream_tbDpT10_ENKUlT_T0_E_clISt17integral_constantIbLb0EES1B_IbLb1EEEEDaS17_S18_EUlS17_E_NS1_11comp_targetILNS1_3genE8ELNS1_11target_archE1030ELNS1_3gpuE2ELNS1_3repE0EEENS1_30default_config_static_selectorELNS0_4arch9wavefront6targetE1EEEvT1_, .Lfunc_end350-_ZN7rocprim17ROCPRIM_400000_NS6detail17trampoline_kernelINS0_14default_configENS1_25partition_config_selectorILNS1_17partition_subalgoE8ElNS0_10empty_typeEbEEZZNS1_14partition_implILS5_8ELb0ES3_jPlPS6_PKS6_NS0_5tupleIJS9_S6_EEENSD_IJSA_SA_EEENS0_18inequality_wrapperIZN2at6native12_GLOBAL__N_124unique_dim_cuda_templateIaEESt5tupleIJNSH_6TensorESM_SM_EERKSM_lbbbEUlllE0_EEPmJS6_EEE10hipError_tPvRmT3_T4_T5_T6_T7_T9_mT8_P12ihipStream_tbDpT10_ENKUlT_T0_E_clISt17integral_constantIbLb0EES1B_IbLb1EEEEDaS17_S18_EUlS17_E_NS1_11comp_targetILNS1_3genE8ELNS1_11target_archE1030ELNS1_3gpuE2ELNS1_3repE0EEENS1_30default_config_static_selectorELNS0_4arch9wavefront6targetE1EEEvT1_
                                        ; -- End function
	.set _ZN7rocprim17ROCPRIM_400000_NS6detail17trampoline_kernelINS0_14default_configENS1_25partition_config_selectorILNS1_17partition_subalgoE8ElNS0_10empty_typeEbEEZZNS1_14partition_implILS5_8ELb0ES3_jPlPS6_PKS6_NS0_5tupleIJS9_S6_EEENSD_IJSA_SA_EEENS0_18inequality_wrapperIZN2at6native12_GLOBAL__N_124unique_dim_cuda_templateIaEESt5tupleIJNSH_6TensorESM_SM_EERKSM_lbbbEUlllE0_EEPmJS6_EEE10hipError_tPvRmT3_T4_T5_T6_T7_T9_mT8_P12ihipStream_tbDpT10_ENKUlT_T0_E_clISt17integral_constantIbLb0EES1B_IbLb1EEEEDaS17_S18_EUlS17_E_NS1_11comp_targetILNS1_3genE8ELNS1_11target_archE1030ELNS1_3gpuE2ELNS1_3repE0EEENS1_30default_config_static_selectorELNS0_4arch9wavefront6targetE1EEEvT1_.num_vgpr, 0
	.set _ZN7rocprim17ROCPRIM_400000_NS6detail17trampoline_kernelINS0_14default_configENS1_25partition_config_selectorILNS1_17partition_subalgoE8ElNS0_10empty_typeEbEEZZNS1_14partition_implILS5_8ELb0ES3_jPlPS6_PKS6_NS0_5tupleIJS9_S6_EEENSD_IJSA_SA_EEENS0_18inequality_wrapperIZN2at6native12_GLOBAL__N_124unique_dim_cuda_templateIaEESt5tupleIJNSH_6TensorESM_SM_EERKSM_lbbbEUlllE0_EEPmJS6_EEE10hipError_tPvRmT3_T4_T5_T6_T7_T9_mT8_P12ihipStream_tbDpT10_ENKUlT_T0_E_clISt17integral_constantIbLb0EES1B_IbLb1EEEEDaS17_S18_EUlS17_E_NS1_11comp_targetILNS1_3genE8ELNS1_11target_archE1030ELNS1_3gpuE2ELNS1_3repE0EEENS1_30default_config_static_selectorELNS0_4arch9wavefront6targetE1EEEvT1_.num_agpr, 0
	.set _ZN7rocprim17ROCPRIM_400000_NS6detail17trampoline_kernelINS0_14default_configENS1_25partition_config_selectorILNS1_17partition_subalgoE8ElNS0_10empty_typeEbEEZZNS1_14partition_implILS5_8ELb0ES3_jPlPS6_PKS6_NS0_5tupleIJS9_S6_EEENSD_IJSA_SA_EEENS0_18inequality_wrapperIZN2at6native12_GLOBAL__N_124unique_dim_cuda_templateIaEESt5tupleIJNSH_6TensorESM_SM_EERKSM_lbbbEUlllE0_EEPmJS6_EEE10hipError_tPvRmT3_T4_T5_T6_T7_T9_mT8_P12ihipStream_tbDpT10_ENKUlT_T0_E_clISt17integral_constantIbLb0EES1B_IbLb1EEEEDaS17_S18_EUlS17_E_NS1_11comp_targetILNS1_3genE8ELNS1_11target_archE1030ELNS1_3gpuE2ELNS1_3repE0EEENS1_30default_config_static_selectorELNS0_4arch9wavefront6targetE1EEEvT1_.numbered_sgpr, 0
	.set _ZN7rocprim17ROCPRIM_400000_NS6detail17trampoline_kernelINS0_14default_configENS1_25partition_config_selectorILNS1_17partition_subalgoE8ElNS0_10empty_typeEbEEZZNS1_14partition_implILS5_8ELb0ES3_jPlPS6_PKS6_NS0_5tupleIJS9_S6_EEENSD_IJSA_SA_EEENS0_18inequality_wrapperIZN2at6native12_GLOBAL__N_124unique_dim_cuda_templateIaEESt5tupleIJNSH_6TensorESM_SM_EERKSM_lbbbEUlllE0_EEPmJS6_EEE10hipError_tPvRmT3_T4_T5_T6_T7_T9_mT8_P12ihipStream_tbDpT10_ENKUlT_T0_E_clISt17integral_constantIbLb0EES1B_IbLb1EEEEDaS17_S18_EUlS17_E_NS1_11comp_targetILNS1_3genE8ELNS1_11target_archE1030ELNS1_3gpuE2ELNS1_3repE0EEENS1_30default_config_static_selectorELNS0_4arch9wavefront6targetE1EEEvT1_.num_named_barrier, 0
	.set _ZN7rocprim17ROCPRIM_400000_NS6detail17trampoline_kernelINS0_14default_configENS1_25partition_config_selectorILNS1_17partition_subalgoE8ElNS0_10empty_typeEbEEZZNS1_14partition_implILS5_8ELb0ES3_jPlPS6_PKS6_NS0_5tupleIJS9_S6_EEENSD_IJSA_SA_EEENS0_18inequality_wrapperIZN2at6native12_GLOBAL__N_124unique_dim_cuda_templateIaEESt5tupleIJNSH_6TensorESM_SM_EERKSM_lbbbEUlllE0_EEPmJS6_EEE10hipError_tPvRmT3_T4_T5_T6_T7_T9_mT8_P12ihipStream_tbDpT10_ENKUlT_T0_E_clISt17integral_constantIbLb0EES1B_IbLb1EEEEDaS17_S18_EUlS17_E_NS1_11comp_targetILNS1_3genE8ELNS1_11target_archE1030ELNS1_3gpuE2ELNS1_3repE0EEENS1_30default_config_static_selectorELNS0_4arch9wavefront6targetE1EEEvT1_.private_seg_size, 0
	.set _ZN7rocprim17ROCPRIM_400000_NS6detail17trampoline_kernelINS0_14default_configENS1_25partition_config_selectorILNS1_17partition_subalgoE8ElNS0_10empty_typeEbEEZZNS1_14partition_implILS5_8ELb0ES3_jPlPS6_PKS6_NS0_5tupleIJS9_S6_EEENSD_IJSA_SA_EEENS0_18inequality_wrapperIZN2at6native12_GLOBAL__N_124unique_dim_cuda_templateIaEESt5tupleIJNSH_6TensorESM_SM_EERKSM_lbbbEUlllE0_EEPmJS6_EEE10hipError_tPvRmT3_T4_T5_T6_T7_T9_mT8_P12ihipStream_tbDpT10_ENKUlT_T0_E_clISt17integral_constantIbLb0EES1B_IbLb1EEEEDaS17_S18_EUlS17_E_NS1_11comp_targetILNS1_3genE8ELNS1_11target_archE1030ELNS1_3gpuE2ELNS1_3repE0EEENS1_30default_config_static_selectorELNS0_4arch9wavefront6targetE1EEEvT1_.uses_vcc, 0
	.set _ZN7rocprim17ROCPRIM_400000_NS6detail17trampoline_kernelINS0_14default_configENS1_25partition_config_selectorILNS1_17partition_subalgoE8ElNS0_10empty_typeEbEEZZNS1_14partition_implILS5_8ELb0ES3_jPlPS6_PKS6_NS0_5tupleIJS9_S6_EEENSD_IJSA_SA_EEENS0_18inequality_wrapperIZN2at6native12_GLOBAL__N_124unique_dim_cuda_templateIaEESt5tupleIJNSH_6TensorESM_SM_EERKSM_lbbbEUlllE0_EEPmJS6_EEE10hipError_tPvRmT3_T4_T5_T6_T7_T9_mT8_P12ihipStream_tbDpT10_ENKUlT_T0_E_clISt17integral_constantIbLb0EES1B_IbLb1EEEEDaS17_S18_EUlS17_E_NS1_11comp_targetILNS1_3genE8ELNS1_11target_archE1030ELNS1_3gpuE2ELNS1_3repE0EEENS1_30default_config_static_selectorELNS0_4arch9wavefront6targetE1EEEvT1_.uses_flat_scratch, 0
	.set _ZN7rocprim17ROCPRIM_400000_NS6detail17trampoline_kernelINS0_14default_configENS1_25partition_config_selectorILNS1_17partition_subalgoE8ElNS0_10empty_typeEbEEZZNS1_14partition_implILS5_8ELb0ES3_jPlPS6_PKS6_NS0_5tupleIJS9_S6_EEENSD_IJSA_SA_EEENS0_18inequality_wrapperIZN2at6native12_GLOBAL__N_124unique_dim_cuda_templateIaEESt5tupleIJNSH_6TensorESM_SM_EERKSM_lbbbEUlllE0_EEPmJS6_EEE10hipError_tPvRmT3_T4_T5_T6_T7_T9_mT8_P12ihipStream_tbDpT10_ENKUlT_T0_E_clISt17integral_constantIbLb0EES1B_IbLb1EEEEDaS17_S18_EUlS17_E_NS1_11comp_targetILNS1_3genE8ELNS1_11target_archE1030ELNS1_3gpuE2ELNS1_3repE0EEENS1_30default_config_static_selectorELNS0_4arch9wavefront6targetE1EEEvT1_.has_dyn_sized_stack, 0
	.set _ZN7rocprim17ROCPRIM_400000_NS6detail17trampoline_kernelINS0_14default_configENS1_25partition_config_selectorILNS1_17partition_subalgoE8ElNS0_10empty_typeEbEEZZNS1_14partition_implILS5_8ELb0ES3_jPlPS6_PKS6_NS0_5tupleIJS9_S6_EEENSD_IJSA_SA_EEENS0_18inequality_wrapperIZN2at6native12_GLOBAL__N_124unique_dim_cuda_templateIaEESt5tupleIJNSH_6TensorESM_SM_EERKSM_lbbbEUlllE0_EEPmJS6_EEE10hipError_tPvRmT3_T4_T5_T6_T7_T9_mT8_P12ihipStream_tbDpT10_ENKUlT_T0_E_clISt17integral_constantIbLb0EES1B_IbLb1EEEEDaS17_S18_EUlS17_E_NS1_11comp_targetILNS1_3genE8ELNS1_11target_archE1030ELNS1_3gpuE2ELNS1_3repE0EEENS1_30default_config_static_selectorELNS0_4arch9wavefront6targetE1EEEvT1_.has_recursion, 0
	.set _ZN7rocprim17ROCPRIM_400000_NS6detail17trampoline_kernelINS0_14default_configENS1_25partition_config_selectorILNS1_17partition_subalgoE8ElNS0_10empty_typeEbEEZZNS1_14partition_implILS5_8ELb0ES3_jPlPS6_PKS6_NS0_5tupleIJS9_S6_EEENSD_IJSA_SA_EEENS0_18inequality_wrapperIZN2at6native12_GLOBAL__N_124unique_dim_cuda_templateIaEESt5tupleIJNSH_6TensorESM_SM_EERKSM_lbbbEUlllE0_EEPmJS6_EEE10hipError_tPvRmT3_T4_T5_T6_T7_T9_mT8_P12ihipStream_tbDpT10_ENKUlT_T0_E_clISt17integral_constantIbLb0EES1B_IbLb1EEEEDaS17_S18_EUlS17_E_NS1_11comp_targetILNS1_3genE8ELNS1_11target_archE1030ELNS1_3gpuE2ELNS1_3repE0EEENS1_30default_config_static_selectorELNS0_4arch9wavefront6targetE1EEEvT1_.has_indirect_call, 0
	.section	.AMDGPU.csdata,"",@progbits
; Kernel info:
; codeLenInByte = 0
; TotalNumSgprs: 6
; NumVgprs: 0
; NumAgprs: 0
; TotalNumVgprs: 0
; ScratchSize: 0
; MemoryBound: 0
; FloatMode: 240
; IeeeMode: 1
; LDSByteSize: 0 bytes/workgroup (compile time only)
; SGPRBlocks: 0
; VGPRBlocks: 0
; NumSGPRsForWavesPerEU: 6
; NumVGPRsForWavesPerEU: 1
; AccumOffset: 4
; Occupancy: 8
; WaveLimiterHint : 0
; COMPUTE_PGM_RSRC2:SCRATCH_EN: 0
; COMPUTE_PGM_RSRC2:USER_SGPR: 2
; COMPUTE_PGM_RSRC2:TRAP_HANDLER: 0
; COMPUTE_PGM_RSRC2:TGID_X_EN: 1
; COMPUTE_PGM_RSRC2:TGID_Y_EN: 0
; COMPUTE_PGM_RSRC2:TGID_Z_EN: 0
; COMPUTE_PGM_RSRC2:TIDIG_COMP_CNT: 0
; COMPUTE_PGM_RSRC3_GFX90A:ACCUM_OFFSET: 0
; COMPUTE_PGM_RSRC3_GFX90A:TG_SPLIT: 0
	.section	.text._ZN7rocprim17ROCPRIM_400000_NS6detail17trampoline_kernelINS0_14default_configENS1_25partition_config_selectorILNS1_17partition_subalgoE9EllbEEZZNS1_14partition_implILS5_9ELb0ES3_jPlS8_PNS0_10empty_typeENS0_5tupleIJS8_S9_EEENSB_IJS8_SA_EEENS0_18inequality_wrapperIZN2at6native12_GLOBAL__N_124unique_dim_cuda_templateIaEESt5tupleIJNSF_6TensorESK_SK_EERKSK_lbbbEUlllE0_EEPmJS9_EEE10hipError_tPvRmT3_T4_T5_T6_T7_T9_mT8_P12ihipStream_tbDpT10_ENKUlT_T0_E_clISt17integral_constantIbLb0EES1A_EEDaS15_S16_EUlS15_E_NS1_11comp_targetILNS1_3genE0ELNS1_11target_archE4294967295ELNS1_3gpuE0ELNS1_3repE0EEENS1_30default_config_static_selectorELNS0_4arch9wavefront6targetE1EEEvT1_,"axG",@progbits,_ZN7rocprim17ROCPRIM_400000_NS6detail17trampoline_kernelINS0_14default_configENS1_25partition_config_selectorILNS1_17partition_subalgoE9EllbEEZZNS1_14partition_implILS5_9ELb0ES3_jPlS8_PNS0_10empty_typeENS0_5tupleIJS8_S9_EEENSB_IJS8_SA_EEENS0_18inequality_wrapperIZN2at6native12_GLOBAL__N_124unique_dim_cuda_templateIaEESt5tupleIJNSF_6TensorESK_SK_EERKSK_lbbbEUlllE0_EEPmJS9_EEE10hipError_tPvRmT3_T4_T5_T6_T7_T9_mT8_P12ihipStream_tbDpT10_ENKUlT_T0_E_clISt17integral_constantIbLb0EES1A_EEDaS15_S16_EUlS15_E_NS1_11comp_targetILNS1_3genE0ELNS1_11target_archE4294967295ELNS1_3gpuE0ELNS1_3repE0EEENS1_30default_config_static_selectorELNS0_4arch9wavefront6targetE1EEEvT1_,comdat
	.globl	_ZN7rocprim17ROCPRIM_400000_NS6detail17trampoline_kernelINS0_14default_configENS1_25partition_config_selectorILNS1_17partition_subalgoE9EllbEEZZNS1_14partition_implILS5_9ELb0ES3_jPlS8_PNS0_10empty_typeENS0_5tupleIJS8_S9_EEENSB_IJS8_SA_EEENS0_18inequality_wrapperIZN2at6native12_GLOBAL__N_124unique_dim_cuda_templateIaEESt5tupleIJNSF_6TensorESK_SK_EERKSK_lbbbEUlllE0_EEPmJS9_EEE10hipError_tPvRmT3_T4_T5_T6_T7_T9_mT8_P12ihipStream_tbDpT10_ENKUlT_T0_E_clISt17integral_constantIbLb0EES1A_EEDaS15_S16_EUlS15_E_NS1_11comp_targetILNS1_3genE0ELNS1_11target_archE4294967295ELNS1_3gpuE0ELNS1_3repE0EEENS1_30default_config_static_selectorELNS0_4arch9wavefront6targetE1EEEvT1_ ; -- Begin function _ZN7rocprim17ROCPRIM_400000_NS6detail17trampoline_kernelINS0_14default_configENS1_25partition_config_selectorILNS1_17partition_subalgoE9EllbEEZZNS1_14partition_implILS5_9ELb0ES3_jPlS8_PNS0_10empty_typeENS0_5tupleIJS8_S9_EEENSB_IJS8_SA_EEENS0_18inequality_wrapperIZN2at6native12_GLOBAL__N_124unique_dim_cuda_templateIaEESt5tupleIJNSF_6TensorESK_SK_EERKSK_lbbbEUlllE0_EEPmJS9_EEE10hipError_tPvRmT3_T4_T5_T6_T7_T9_mT8_P12ihipStream_tbDpT10_ENKUlT_T0_E_clISt17integral_constantIbLb0EES1A_EEDaS15_S16_EUlS15_E_NS1_11comp_targetILNS1_3genE0ELNS1_11target_archE4294967295ELNS1_3gpuE0ELNS1_3repE0EEENS1_30default_config_static_selectorELNS0_4arch9wavefront6targetE1EEEvT1_
	.p2align	8
	.type	_ZN7rocprim17ROCPRIM_400000_NS6detail17trampoline_kernelINS0_14default_configENS1_25partition_config_selectorILNS1_17partition_subalgoE9EllbEEZZNS1_14partition_implILS5_9ELb0ES3_jPlS8_PNS0_10empty_typeENS0_5tupleIJS8_S9_EEENSB_IJS8_SA_EEENS0_18inequality_wrapperIZN2at6native12_GLOBAL__N_124unique_dim_cuda_templateIaEESt5tupleIJNSF_6TensorESK_SK_EERKSK_lbbbEUlllE0_EEPmJS9_EEE10hipError_tPvRmT3_T4_T5_T6_T7_T9_mT8_P12ihipStream_tbDpT10_ENKUlT_T0_E_clISt17integral_constantIbLb0EES1A_EEDaS15_S16_EUlS15_E_NS1_11comp_targetILNS1_3genE0ELNS1_11target_archE4294967295ELNS1_3gpuE0ELNS1_3repE0EEENS1_30default_config_static_selectorELNS0_4arch9wavefront6targetE1EEEvT1_,@function
_ZN7rocprim17ROCPRIM_400000_NS6detail17trampoline_kernelINS0_14default_configENS1_25partition_config_selectorILNS1_17partition_subalgoE9EllbEEZZNS1_14partition_implILS5_9ELb0ES3_jPlS8_PNS0_10empty_typeENS0_5tupleIJS8_S9_EEENSB_IJS8_SA_EEENS0_18inequality_wrapperIZN2at6native12_GLOBAL__N_124unique_dim_cuda_templateIaEESt5tupleIJNSF_6TensorESK_SK_EERKSK_lbbbEUlllE0_EEPmJS9_EEE10hipError_tPvRmT3_T4_T5_T6_T7_T9_mT8_P12ihipStream_tbDpT10_ENKUlT_T0_E_clISt17integral_constantIbLb0EES1A_EEDaS15_S16_EUlS15_E_NS1_11comp_targetILNS1_3genE0ELNS1_11target_archE4294967295ELNS1_3gpuE0ELNS1_3repE0EEENS1_30default_config_static_selectorELNS0_4arch9wavefront6targetE1EEEvT1_: ; @_ZN7rocprim17ROCPRIM_400000_NS6detail17trampoline_kernelINS0_14default_configENS1_25partition_config_selectorILNS1_17partition_subalgoE9EllbEEZZNS1_14partition_implILS5_9ELb0ES3_jPlS8_PNS0_10empty_typeENS0_5tupleIJS8_S9_EEENSB_IJS8_SA_EEENS0_18inequality_wrapperIZN2at6native12_GLOBAL__N_124unique_dim_cuda_templateIaEESt5tupleIJNSF_6TensorESK_SK_EERKSK_lbbbEUlllE0_EEPmJS9_EEE10hipError_tPvRmT3_T4_T5_T6_T7_T9_mT8_P12ihipStream_tbDpT10_ENKUlT_T0_E_clISt17integral_constantIbLb0EES1A_EEDaS15_S16_EUlS15_E_NS1_11comp_targetILNS1_3genE0ELNS1_11target_archE4294967295ELNS1_3gpuE0ELNS1_3repE0EEENS1_30default_config_static_selectorELNS0_4arch9wavefront6targetE1EEEvT1_
; %bb.0:
	s_load_dwordx4 s[4:7], s[0:1], 0x8
	s_load_dwordx2 s[10:11], s[0:1], 0x18
	s_load_dwordx8 s[24:31], s[0:1], 0x40
	s_load_dword s3, s[0:1], 0x70
	s_mul_i32 s12, s2, 0x280
	s_waitcnt lgkmcnt(0)
	s_lshl_b64 s[14:15], s[6:7], 3
	s_add_u32 s18, s4, s14
	s_addc_u32 s19, s5, s15
	s_mul_i32 s4, s3, 0x280
	s_add_i32 s8, s3, -1
	s_add_i32 s3, s4, s6
	s_sub_i32 s3, s28, s3
	s_addk_i32 s3, 0x280
	s_add_u32 s4, s6, s4
	s_addc_u32 s5, s7, 0
	v_mov_b64_e32 v[2:3], s[4:5]
	s_cmp_eq_u32 s2, s8
	s_load_dwordx2 s[26:27], s[26:27], 0x0
	v_cmp_le_u64_e32 vcc, s[28:29], v[2:3]
	s_cselect_b64 s[28:29], -1, 0
	s_mov_b32 s13, 0
	s_and_b64 s[8:9], s[28:29], vcc
	s_xor_b64 s[34:35], s[8:9], -1
	s_lshl_b64 s[16:17], s[12:13], 3
	s_add_u32 s12, s18, s16
	s_mov_b64 s[4:5], -1
	s_addc_u32 s13, s19, s17
	s_and_b64 vcc, exec, s[34:35]
	v_lshlrev_b32_e32 v1, 3, v0
	s_cbranch_vccz .LBB351_2
; %bb.1:
	v_lshlrev_b32_e32 v2, 3, v0
	v_mov_b32_e32 v3, 0
	v_lshl_add_u64 v[4:5], s[12:13], 0, v[2:3]
	v_add_co_u32_e32 v4, vcc, 0x1000, v4
	global_load_dwordx2 v[6:7], v2, s[12:13] offset:3072
	s_nop 0
	v_addc_co_u32_e32 v5, vcc, 0, v5, vcc
	global_load_dwordx2 v[8:9], v2, s[12:13]
	global_load_dwordx2 v[10:11], v2, s[12:13] offset:1024
	global_load_dwordx2 v[12:13], v2, s[12:13] offset:2048
	global_load_dwordx2 v[14:15], v[4:5], off
	s_mov_b64 s[4:5], 0
	s_waitcnt vmcnt(2)
	ds_write2st64_b64 v2, v[8:9], v[10:11] offset1:2
	s_waitcnt vmcnt(1)
	ds_write2st64_b64 v2, v[12:13], v[6:7] offset0:4 offset1:6
	s_waitcnt vmcnt(0)
	ds_write_b64 v2, v[14:15] offset:4096
	s_waitcnt lgkmcnt(0)
	s_barrier
.LBB351_2:
	s_load_dwordx4 s[20:23], s[0:1], 0x60
	s_andn2_b64 vcc, exec, s[4:5]
	v_cmp_gt_u32_e64 s[4:5], s3, v0
	s_cbranch_vccnz .LBB351_14
; %bb.3:
	v_mov_b32_e32 v2, 0
	v_mov_b32_e32 v3, v2
	;; [unrolled: 1-line block ×10, first 2 shown]
	s_and_saveexec_b64 s[18:19], s[4:5]
	s_cbranch_execz .LBB351_5
; %bb.4:
	v_lshlrev_b32_e32 v3, 3, v0
	global_load_dwordx2 v[4:5], v3, s[12:13]
	v_mov_b32_e32 v6, v2
	v_mov_b32_e32 v7, v2
	;; [unrolled: 1-line block ×8, first 2 shown]
	s_waitcnt vmcnt(0)
	v_mov_b64_e32 v[2:3], v[4:5]
	v_mov_b64_e32 v[4:5], v[6:7]
	;; [unrolled: 1-line block ×8, first 2 shown]
.LBB351_5:
	s_or_b64 exec, exec, s[18:19]
	v_or_b32_e32 v12, 0x80, v0
	v_cmp_gt_u32_e32 vcc, s3, v12
	s_and_saveexec_b64 s[4:5], vcc
	s_cbranch_execz .LBB351_7
; %bb.6:
	v_lshlrev_b32_e32 v4, 3, v0
	global_load_dwordx2 v[4:5], v4, s[12:13] offset:1024
.LBB351_7:
	s_or_b64 exec, exec, s[4:5]
	v_or_b32_e32 v12, 0x100, v0
	v_cmp_gt_u32_e32 vcc, s3, v12
	s_and_saveexec_b64 s[4:5], vcc
	s_cbranch_execz .LBB351_9
; %bb.8:
	v_lshlrev_b32_e32 v6, 3, v0
	global_load_dwordx2 v[6:7], v6, s[12:13] offset:2048
.LBB351_9:
	;; [unrolled: 9-line block ×3, first 2 shown]
	s_or_b64 exec, exec, s[4:5]
	v_or_b32_e32 v12, 0x200, v0
	v_cmp_gt_u32_e32 vcc, s3, v12
	s_and_saveexec_b64 s[4:5], vcc
	s_cbranch_execz .LBB351_13
; %bb.12:
	v_lshlrev_b32_e32 v10, 3, v12
	global_load_dwordx2 v[10:11], v10, s[12:13]
.LBB351_13:
	s_or_b64 exec, exec, s[4:5]
	v_lshlrev_b32_e32 v12, 3, v0
	s_waitcnt vmcnt(0)
	ds_write2st64_b64 v12, v[2:3], v[4:5] offset1:2
	ds_write2st64_b64 v12, v[6:7], v[8:9] offset0:4 offset1:6
	ds_write_b64 v12, v[10:11] offset:4096
	s_waitcnt lgkmcnt(0)
	s_barrier
.LBB351_14:
	v_mul_u32_u24_e32 v22, 5, v0
	v_lshlrev_b32_e32 v20, 3, v22
	s_waitcnt lgkmcnt(0)
	ds_read2_b64 v[6:9], v20 offset1:1
	ds_read2_b64 v[2:5], v20 offset0:2 offset1:3
	ds_read_b64 v[12:13], v20 offset:32
	s_add_u32 s4, s10, s14
	s_addc_u32 s5, s11, s15
	s_add_u32 s4, s4, s16
	s_addc_u32 s5, s5, s17
	s_mov_b64 s[10:11], -1
	s_and_b64 vcc, exec, s[34:35]
	s_waitcnt lgkmcnt(0)
	s_barrier
	s_cbranch_vccz .LBB351_16
; %bb.15:
	v_lshlrev_b32_e32 v10, 3, v0
	v_mov_b32_e32 v11, 0
	v_lshl_add_u64 v[14:15], s[4:5], 0, v[10:11]
	v_add_co_u32_e32 v14, vcc, 0x1000, v14
	global_load_dwordx2 v[16:17], v10, s[4:5] offset:3072
	s_nop 0
	v_addc_co_u32_e32 v15, vcc, 0, v15, vcc
	global_load_dwordx2 v[18:19], v10, s[4:5]
	global_load_dwordx2 v[24:25], v10, s[4:5] offset:1024
	global_load_dwordx2 v[26:27], v10, s[4:5] offset:2048
	global_load_dwordx2 v[28:29], v[14:15], off
	s_mov_b64 s[10:11], 0
	s_waitcnt vmcnt(2)
	ds_write2st64_b64 v10, v[18:19], v[24:25] offset1:2
	s_waitcnt vmcnt(1)
	ds_write2st64_b64 v10, v[26:27], v[16:17] offset0:4 offset1:6
	s_waitcnt vmcnt(0)
	ds_write_b64 v10, v[28:29] offset:4096
	s_waitcnt lgkmcnt(0)
	s_barrier
.LBB351_16:
	s_andn2_b64 vcc, exec, s[10:11]
	s_cbranch_vccnz .LBB351_28
; %bb.17:
	v_cmp_gt_u32_e32 vcc, s3, v0
                                        ; implicit-def: $vgpr10_vgpr11
	s_and_saveexec_b64 s[10:11], vcc
	s_cbranch_execz .LBB351_19
; %bb.18:
	v_lshlrev_b32_e32 v10, 3, v0
	global_load_dwordx2 v[10:11], v10, s[4:5]
.LBB351_19:
	s_or_b64 exec, exec, s[10:11]
	v_or_b32_e32 v14, 0x80, v0
	v_cmp_gt_u32_e32 vcc, s3, v14
                                        ; implicit-def: $vgpr14_vgpr15
	s_and_saveexec_b64 s[10:11], vcc
	s_cbranch_execz .LBB351_21
; %bb.20:
	v_lshlrev_b32_e32 v14, 3, v0
	global_load_dwordx2 v[14:15], v14, s[4:5] offset:1024
.LBB351_21:
	s_or_b64 exec, exec, s[10:11]
	v_or_b32_e32 v16, 0x100, v0
	v_cmp_gt_u32_e32 vcc, s3, v16
                                        ; implicit-def: $vgpr16_vgpr17
	s_and_saveexec_b64 s[10:11], vcc
	s_cbranch_execz .LBB351_23
; %bb.22:
	v_lshlrev_b32_e32 v16, 3, v0
	global_load_dwordx2 v[16:17], v16, s[4:5] offset:2048
.LBB351_23:
	s_or_b64 exec, exec, s[10:11]
	v_or_b32_e32 v18, 0x180, v0
	v_cmp_gt_u32_e32 vcc, s3, v18
                                        ; implicit-def: $vgpr18_vgpr19
	s_and_saveexec_b64 s[10:11], vcc
	s_cbranch_execz .LBB351_25
; %bb.24:
	v_lshlrev_b32_e32 v18, 3, v0
	global_load_dwordx2 v[18:19], v18, s[4:5] offset:3072
.LBB351_25:
	s_or_b64 exec, exec, s[10:11]
	v_or_b32_e32 v21, 0x200, v0
	v_cmp_gt_u32_e32 vcc, s3, v21
                                        ; implicit-def: $vgpr24_vgpr25
	s_and_saveexec_b64 s[10:11], vcc
	s_cbranch_execz .LBB351_27
; %bb.26:
	v_lshlrev_b32_e32 v21, 3, v21
	global_load_dwordx2 v[24:25], v21, s[4:5]
.LBB351_27:
	s_or_b64 exec, exec, s[10:11]
	v_lshlrev_b32_e32 v21, 5, v0
	v_sub_u32_e32 v21, v20, v21
	s_waitcnt vmcnt(0)
	ds_write2st64_b64 v21, v[10:11], v[14:15] offset1:2
	ds_write2st64_b64 v21, v[16:17], v[18:19] offset0:4 offset1:6
	ds_write_b64 v21, v[24:25] offset:4096
	s_waitcnt lgkmcnt(0)
	s_barrier
.LBB351_28:
	ds_read_b64 v[10:11], v20 offset:32
	ds_read2_b64 v[52:55], v20 offset0:2 offset1:3
	ds_read2_b64 v[56:59], v20 offset1:1
	s_cmp_lg_u32 s2, 0
	s_cselect_b64 s[16:17], -1, 0
	s_cmp_lg_u64 s[6:7], 0
	s_cselect_b64 s[4:5], -1, 0
	s_or_b64 s[4:5], s[16:17], s[4:5]
	s_mov_b64 s[10:11], 0
	s_and_b64 vcc, exec, s[4:5]
	v_cmp_gt_i64_e64 s[4:5], s[30:31], 0
	s_waitcnt lgkmcnt(0)
	s_barrier
	s_cbranch_vccz .LBB351_40
; %bb.29:
	s_add_u32 s6, s12, -8
	s_addc_u32 s7, s13, -1
	s_load_dwordx2 s[10:11], s[6:7], 0x0
	v_cndmask_b32_e64 v14, 0, 1, s[4:5]
	v_lshlrev_b32_e32 v21, 3, v0
	s_mov_b64 s[6:7], 0
	s_and_b64 vcc, exec, s[34:35]
	v_cmp_ne_u32_e64 s[4:5], 1, v14
	ds_write_b64 v21, v[12:13]
	s_cbranch_vccz .LBB351_42
; %bb.30:
	s_and_b64 vcc, exec, s[4:5]
	s_cbranch_vccnz .LBB351_43
; %bb.31:
	v_mov_b64_e32 v[16:17], s[20:21]
	v_mad_u64_u32 v[14:15], s[6:7], v4, s30, v[16:17]
	v_mul_lo_u32 v18, v4, s31
	v_mul_lo_u32 v19, v5, s30
	s_add_u32 s14, s30, -1
	v_add3_u32 v15, v19, v15, v18
	v_mad_u64_u32 v[16:17], s[6:7], v12, s30, v[16:17]
	v_mul_lo_u32 v18, v12, s31
	v_mul_lo_u32 v19, v13, s30
	s_addc_u32 s15, s31, -1
	v_add3_u32 v17, v19, v17, v18
	s_mov_b64 s[18:19], 0
	s_mov_b64 s[36:37], s[14:15]
	v_mov_b64_e32 v[18:19], v[14:15]
                                        ; implicit-def: $sgpr12_sgpr13
.LBB351_32:                             ; =>This Inner Loop Header: Depth=1
	global_load_ubyte v23, v[18:19], off
	global_load_ubyte v24, v[16:17], off
	s_add_u32 s6, s36, -1
	s_addc_u32 s7, s37, -1
	s_cmp_eq_u64 s[36:37], 0
	s_mov_b64 s[36:37], s[6:7]
	s_cselect_b64 s[38:39], -1, 0
	v_lshl_add_u64 v[18:19], v[18:19], 0, 1
	v_lshl_add_u64 v[16:17], v[16:17], 0, 1
	s_waitcnt vmcnt(0)
	v_cmp_ne_u16_e64 s[6:7], v23, v24
	s_or_b64 s[6:7], s[6:7], s[38:39]
	s_and_b64 s[6:7], exec, s[6:7]
	v_cmp_eq_u16_e32 vcc, v23, v24
	s_or_b64 s[18:19], s[6:7], s[18:19]
	s_andn2_b64 s[6:7], s[12:13], exec
	s_and_b64 s[12:13], vcc, exec
	s_or_b64 s[12:13], s[6:7], s[12:13]
	s_andn2_b64 exec, exec, s[18:19]
	s_cbranch_execnz .LBB351_32
; %bb.33:
	s_or_b64 exec, exec, s[18:19]
	v_mov_b64_e32 v[16:17], s[20:21]
	v_mad_u64_u32 v[16:17], s[6:7], v2, s30, v[16:17]
	v_mul_lo_u32 v18, v2, s31
	v_mul_lo_u32 v19, v3, s30
	v_add3_u32 v17, v19, v17, v18
	s_mov_b64 s[36:37], 0
	s_mov_b64 s[38:39], s[14:15]
	v_mov_b64_e32 v[18:19], v[16:17]
                                        ; implicit-def: $sgpr18_sgpr19
.LBB351_34:                             ; =>This Inner Loop Header: Depth=1
	global_load_ubyte v23, v[18:19], off
	global_load_ubyte v24, v[14:15], off
	s_add_u32 s6, s38, -1
	s_addc_u32 s7, s39, -1
	s_cmp_eq_u64 s[38:39], 0
	s_mov_b64 s[38:39], s[6:7]
	s_cselect_b64 s[40:41], -1, 0
	v_lshl_add_u64 v[18:19], v[18:19], 0, 1
	v_lshl_add_u64 v[14:15], v[14:15], 0, 1
	s_waitcnt vmcnt(0)
	v_cmp_ne_u16_e64 s[6:7], v23, v24
	s_or_b64 s[6:7], s[6:7], s[40:41]
	s_and_b64 s[6:7], exec, s[6:7]
	v_cmp_eq_u16_e32 vcc, v23, v24
	s_or_b64 s[36:37], s[6:7], s[36:37]
	s_andn2_b64 s[6:7], s[18:19], exec
	s_and_b64 s[18:19], vcc, exec
	s_or_b64 s[18:19], s[6:7], s[18:19]
	s_andn2_b64 exec, exec, s[36:37]
	s_cbranch_execnz .LBB351_34
; %bb.35:
	s_or_b64 exec, exec, s[36:37]
	v_mov_b64_e32 v[14:15], s[20:21]
	v_mad_u64_u32 v[14:15], s[6:7], v8, s30, v[14:15]
	v_mul_lo_u32 v18, v8, s31
	v_mul_lo_u32 v19, v9, s30
	v_add3_u32 v15, v19, v15, v18
	s_mov_b64 s[38:39], 0
	s_mov_b64 s[40:41], s[14:15]
	v_mov_b64_e32 v[18:19], v[14:15]
                                        ; implicit-def: $sgpr36_sgpr37
.LBB351_36:                             ; =>This Inner Loop Header: Depth=1
	global_load_ubyte v23, v[18:19], off
	global_load_ubyte v24, v[16:17], off
	s_add_u32 s6, s40, -1
	s_addc_u32 s7, s41, -1
	s_cmp_eq_u64 s[40:41], 0
	s_mov_b64 s[40:41], s[6:7]
	s_cselect_b64 s[42:43], -1, 0
	v_lshl_add_u64 v[18:19], v[18:19], 0, 1
	v_lshl_add_u64 v[16:17], v[16:17], 0, 1
	s_waitcnt vmcnt(0)
	v_cmp_ne_u16_e64 s[6:7], v23, v24
	s_or_b64 s[6:7], s[6:7], s[42:43]
	s_and_b64 s[6:7], exec, s[6:7]
	v_cmp_eq_u16_e32 vcc, v23, v24
	s_or_b64 s[38:39], s[6:7], s[38:39]
	s_andn2_b64 s[6:7], s[36:37], exec
	s_and_b64 s[36:37], vcc, exec
	s_or_b64 s[36:37], s[6:7], s[36:37]
	s_andn2_b64 exec, exec, s[38:39]
	s_cbranch_execnz .LBB351_36
; %bb.37:
	s_or_b64 exec, exec, s[38:39]
	v_mov_b64_e32 v[16:17], s[20:21]
	v_mad_u64_u32 v[16:17], s[6:7], v6, s30, v[16:17]
	v_mul_lo_u32 v18, v6, s31
	v_mul_lo_u32 v19, v7, s30
	v_add3_u32 v17, v19, v17, v18
	s_mov_b64 s[40:41], 0
                                        ; implicit-def: $sgpr38_sgpr39
.LBB351_38:                             ; =>This Inner Loop Header: Depth=1
	global_load_ubyte v18, v[16:17], off
	global_load_ubyte v19, v[14:15], off
	s_add_u32 s6, s14, -1
	s_addc_u32 s7, s15, -1
	s_cmp_eq_u64 s[14:15], 0
	s_mov_b64 s[14:15], s[6:7]
	s_cselect_b64 s[42:43], -1, 0
	v_lshl_add_u64 v[16:17], v[16:17], 0, 1
	v_lshl_add_u64 v[14:15], v[14:15], 0, 1
	s_waitcnt vmcnt(0)
	v_cmp_ne_u16_e64 s[6:7], v18, v19
	s_or_b64 s[6:7], s[6:7], s[42:43]
	s_and_b64 s[6:7], exec, s[6:7]
	v_cmp_eq_u16_e32 vcc, v18, v19
	s_or_b64 s[40:41], s[6:7], s[40:41]
	s_andn2_b64 s[6:7], s[38:39], exec
	s_and_b64 s[38:39], vcc, exec
	s_or_b64 s[38:39], s[6:7], s[38:39]
	s_andn2_b64 exec, exec, s[40:41]
	s_cbranch_execnz .LBB351_38
; %bb.39:
	s_or_b64 exec, exec, s[40:41]
	s_xor_b64 s[6:7], s[12:13], -1
	v_cndmask_b32_e64 v32, 0, 1, s[6:7]
	s_xor_b64 s[6:7], s[18:19], -1
	v_cndmask_b32_e64 v14, 0, 1, s[6:7]
	v_lshlrev_b16_e32 v14, 8, v14
	v_mov_b32_e32 v15, 8
	s_xor_b64 s[12:13], s[36:37], -1
	v_lshrrev_b32_sdwa v14, v15, v14 dst_sel:BYTE_1 dst_unused:UNUSED_PAD src0_sel:DWORD src1_sel:DWORD
	v_cndmask_b32_e64 v15, 0, 1, s[12:13]
	s_xor_b64 s[6:7], s[38:39], -1
	v_or_b32_sdwa v14, v15, v14 dst_sel:WORD_1 dst_unused:UNUSED_PAD src0_sel:DWORD src1_sel:DWORD
	s_branch .LBB351_44
.LBB351_40:
                                        ; implicit-def: $sgpr6_sgpr7
                                        ; implicit-def: $vgpr32
                                        ; implicit-def: $vgpr15
	s_branch .LBB351_85
.LBB351_41:
                                        ; implicit-def: $vgpr16
                                        ; implicit-def: $vgpr34
                                        ; implicit-def: $vgpr33
                                        ; implicit-def: $vgpr14
	s_branch .LBB351_138
.LBB351_42:
                                        ; implicit-def: $sgpr6_sgpr7
                                        ; implicit-def: $vgpr32
                                        ; implicit-def: $vgpr15
	s_cbranch_execnz .LBB351_51
	s_branch .LBB351_84
.LBB351_43:
	v_mov_b32_e32 v14, 0
	v_mov_b32_e32 v32, 0
.LBB351_44:
	v_cmp_ne_u32_e32 vcc, 0, v0
	s_waitcnt lgkmcnt(0)
	v_mov_b64_e32 v[16:17], s[10:11]
	s_barrier
	s_and_saveexec_b64 s[12:13], vcc
; %bb.45:
	v_add_u32_e32 v15, -8, v21
	ds_read_b64 v[16:17], v15
; %bb.46:
	s_or_b64 exec, exec, s[12:13]
	v_cndmask_b32_e64 v15, 0, 1, s[6:7]
	v_lshrrev_b32_e32 v18, 16, v14
	s_mov_b32 s6, 0xc0c0304
	v_perm_b32 v18, v18, v14, s6
	v_lshlrev_b16_e32 v15, 8, v15
	s_movk_i32 s6, 0xff
	v_bitop3_b16 v14, v14, v15, s6 bitop3:0xec
	v_and_b32_e32 v19, 0xffff, v14
	s_mov_b64 s[12:13], 0
	s_and_b64 vcc, exec, s[4:5]
	s_mov_b64 s[6:7], 0
	s_cbranch_vccnz .LBB351_50
; %bb.47:
	v_mov_b64_e32 v[24:25], s[20:21]
	s_waitcnt lgkmcnt(0)
	v_mad_u64_u32 v[14:15], s[6:7], v16, s30, v[24:25]
	v_mul_lo_u32 v16, v16, s31
	v_mul_lo_u32 v17, v17, s30
	v_add3_u32 v15, v17, v15, v16
	v_mad_u64_u32 v[16:17], s[6:7], v6, s30, v[24:25]
	v_mul_lo_u32 v23, v6, s31
	v_mul_lo_u32 v24, v7, s30
	s_add_u32 s36, s30, -1
	v_add3_u32 v17, v24, v17, v23
	s_addc_u32 s37, s31, -1
	s_mov_b64 s[14:15], 0
                                        ; implicit-def: $sgpr18_sgpr19
.LBB351_48:                             ; =>This Inner Loop Header: Depth=1
	global_load_ubyte v23, v[14:15], off
	global_load_ubyte v24, v[16:17], off
	s_add_u32 s6, s36, -1
	s_addc_u32 s7, s37, -1
	s_cmp_eq_u64 s[36:37], 0
	s_mov_b64 s[36:37], s[6:7]
	s_cselect_b64 s[38:39], -1, 0
	v_lshl_add_u64 v[14:15], v[14:15], 0, 1
	v_lshl_add_u64 v[16:17], v[16:17], 0, 1
	s_waitcnt vmcnt(0)
	v_cmp_ne_u16_e64 s[6:7], v23, v24
	s_or_b64 s[6:7], s[6:7], s[38:39]
	s_and_b64 s[6:7], exec, s[6:7]
	v_cmp_eq_u16_e32 vcc, v23, v24
	s_or_b64 s[14:15], s[6:7], s[14:15]
	s_andn2_b64 s[6:7], s[18:19], exec
	s_and_b64 s[18:19], vcc, exec
	s_or_b64 s[18:19], s[6:7], s[18:19]
	s_andn2_b64 exec, exec, s[14:15]
	s_cbranch_execnz .LBB351_48
; %bb.49:
	s_or_b64 exec, exec, s[14:15]
	s_xor_b64 s[6:7], s[18:19], -1
.LBB351_50:
	v_lshl_or_b32 v15, v18, 16, v19
	s_and_b64 vcc, exec, s[12:13]
	s_cbranch_vccz .LBB351_84
.LBB351_51:
	v_add_u32_e32 v14, 4, v22
	v_cmp_gt_u32_e32 vcc, s3, v14
	s_mov_b64 s[14:15], 0
	s_mov_b64 s[12:13], 0
	s_and_saveexec_b64 s[18:19], vcc
	s_cbranch_execz .LBB351_57
; %bb.52:
	s_and_b64 vcc, exec, s[4:5]
	s_mov_b64 s[6:7], 0
	s_cbranch_vccnz .LBB351_56
; %bb.53:
	s_waitcnt lgkmcnt(0)
	v_mov_b64_e32 v[16:17], s[20:21]
	v_mad_u64_u32 v[14:15], s[6:7], v4, s30, v[16:17]
	v_mul_lo_u32 v18, v4, s31
	v_mul_lo_u32 v19, v5, s30
	v_add3_u32 v15, v19, v15, v18
	v_mad_u64_u32 v[16:17], s[6:7], v12, s30, v[16:17]
	v_mul_lo_u32 v18, v12, s31
	v_mul_lo_u32 v19, v13, s30
	s_add_u32 s38, s30, -1
	v_add3_u32 v17, v19, v17, v18
	s_addc_u32 s39, s31, -1
                                        ; implicit-def: $sgpr36_sgpr37
.LBB351_54:                             ; =>This Inner Loop Header: Depth=1
	global_load_ubyte v18, v[14:15], off
	global_load_ubyte v19, v[16:17], off
	s_add_u32 s6, s38, -1
	s_addc_u32 s7, s39, -1
	s_cmp_eq_u64 s[38:39], 0
	s_mov_b64 s[38:39], s[6:7]
	s_cselect_b64 s[40:41], -1, 0
	v_lshl_add_u64 v[14:15], v[14:15], 0, 1
	v_lshl_add_u64 v[16:17], v[16:17], 0, 1
	s_waitcnt vmcnt(0)
	v_cmp_ne_u16_e64 s[6:7], v18, v19
	s_or_b64 s[6:7], s[6:7], s[40:41]
	s_and_b64 s[6:7], exec, s[6:7]
	v_cmp_eq_u16_e32 vcc, v18, v19
	s_or_b64 s[12:13], s[6:7], s[12:13]
	s_andn2_b64 s[6:7], s[36:37], exec
	s_and_b64 s[36:37], vcc, exec
	s_or_b64 s[36:37], s[6:7], s[36:37]
	s_andn2_b64 exec, exec, s[12:13]
	s_cbranch_execnz .LBB351_54
; %bb.55:
	s_or_b64 exec, exec, s[12:13]
	s_xor_b64 s[6:7], s[36:37], -1
.LBB351_56:
	s_and_b64 s[12:13], s[6:7], exec
.LBB351_57:
	s_or_b64 exec, exec, s[18:19]
	v_add_u32_e32 v14, 3, v22
	v_cmp_gt_u32_e32 vcc, s3, v14
	s_and_saveexec_b64 s[18:19], vcc
	s_cbranch_execz .LBB351_63
; %bb.58:
	s_and_b64 vcc, exec, s[4:5]
	s_mov_b64 s[6:7], 0
	s_cbranch_vccnz .LBB351_62
; %bb.59:
	s_waitcnt lgkmcnt(0)
	v_mov_b64_e32 v[16:17], s[20:21]
	v_mad_u64_u32 v[14:15], s[6:7], v2, s30, v[16:17]
	v_mul_lo_u32 v18, v2, s31
	v_mul_lo_u32 v19, v3, s30
	v_add3_u32 v15, v19, v15, v18
	v_mad_u64_u32 v[16:17], s[6:7], v4, s30, v[16:17]
	v_mul_lo_u32 v18, v4, s31
	v_mul_lo_u32 v19, v5, s30
	s_add_u32 s38, s30, -1
	v_add3_u32 v17, v19, v17, v18
	s_addc_u32 s39, s31, -1
	s_mov_b64 s[14:15], 0
                                        ; implicit-def: $sgpr36_sgpr37
.LBB351_60:                             ; =>This Inner Loop Header: Depth=1
	global_load_ubyte v18, v[14:15], off
	global_load_ubyte v19, v[16:17], off
	s_add_u32 s6, s38, -1
	s_addc_u32 s7, s39, -1
	s_cmp_eq_u64 s[38:39], 0
	s_mov_b64 s[38:39], s[6:7]
	s_cselect_b64 s[40:41], -1, 0
	v_lshl_add_u64 v[14:15], v[14:15], 0, 1
	v_lshl_add_u64 v[16:17], v[16:17], 0, 1
	s_waitcnt vmcnt(0)
	v_cmp_ne_u16_e64 s[6:7], v18, v19
	s_or_b64 s[6:7], s[6:7], s[40:41]
	s_and_b64 s[6:7], exec, s[6:7]
	v_cmp_eq_u16_e32 vcc, v18, v19
	s_or_b64 s[14:15], s[6:7], s[14:15]
	s_andn2_b64 s[6:7], s[36:37], exec
	s_and_b64 s[36:37], vcc, exec
	s_or_b64 s[36:37], s[6:7], s[36:37]
	s_andn2_b64 exec, exec, s[14:15]
	s_cbranch_execnz .LBB351_60
; %bb.61:
	s_or_b64 exec, exec, s[14:15]
	s_xor_b64 s[6:7], s[36:37], -1
.LBB351_62:
	s_and_b64 s[14:15], s[6:7], exec
.LBB351_63:
	s_or_b64 exec, exec, s[18:19]
	v_add_u32_e32 v14, 2, v22
	v_cmp_gt_u32_e32 vcc, s3, v14
	s_mov_b64 s[18:19], 0
	s_mov_b64 s[36:37], 0
	s_and_saveexec_b64 s[38:39], vcc
	s_cbranch_execz .LBB351_69
; %bb.64:
	s_and_b64 vcc, exec, s[4:5]
	s_mov_b64 s[6:7], 0
	s_cbranch_vccnz .LBB351_68
; %bb.65:
	s_waitcnt lgkmcnt(0)
	v_mov_b64_e32 v[16:17], s[20:21]
	v_mad_u64_u32 v[14:15], s[6:7], v8, s30, v[16:17]
	v_mul_lo_u32 v18, v8, s31
	v_mul_lo_u32 v19, v9, s30
	v_add3_u32 v15, v19, v15, v18
	v_mad_u64_u32 v[16:17], s[6:7], v2, s30, v[16:17]
	v_mul_lo_u32 v18, v2, s31
	v_mul_lo_u32 v19, v3, s30
	s_add_u32 s42, s30, -1
	v_add3_u32 v17, v19, v17, v18
	s_addc_u32 s43, s31, -1
                                        ; implicit-def: $sgpr40_sgpr41
.LBB351_66:                             ; =>This Inner Loop Header: Depth=1
	global_load_ubyte v18, v[14:15], off
	global_load_ubyte v19, v[16:17], off
	s_add_u32 s6, s42, -1
	s_addc_u32 s7, s43, -1
	s_cmp_eq_u64 s[42:43], 0
	s_mov_b64 s[42:43], s[6:7]
	s_cselect_b64 s[44:45], -1, 0
	v_lshl_add_u64 v[14:15], v[14:15], 0, 1
	v_lshl_add_u64 v[16:17], v[16:17], 0, 1
	s_waitcnt vmcnt(0)
	v_cmp_ne_u16_e64 s[6:7], v18, v19
	s_or_b64 s[6:7], s[6:7], s[44:45]
	s_and_b64 s[6:7], exec, s[6:7]
	v_cmp_eq_u16_e32 vcc, v18, v19
	s_or_b64 s[36:37], s[6:7], s[36:37]
	s_andn2_b64 s[6:7], s[40:41], exec
	s_and_b64 s[40:41], vcc, exec
	s_or_b64 s[40:41], s[6:7], s[40:41]
	s_andn2_b64 exec, exec, s[36:37]
	s_cbranch_execnz .LBB351_66
; %bb.67:
	s_or_b64 exec, exec, s[36:37]
	s_xor_b64 s[6:7], s[40:41], -1
.LBB351_68:
	s_and_b64 s[36:37], s[6:7], exec
.LBB351_69:
	s_or_b64 exec, exec, s[38:39]
	v_add_u32_e32 v14, 1, v22
	v_cmp_gt_u32_e32 vcc, s3, v14
	s_and_saveexec_b64 s[38:39], vcc
	s_cbranch_execz .LBB351_75
; %bb.70:
	s_and_b64 vcc, exec, s[4:5]
	s_mov_b64 s[6:7], 0
	s_cbranch_vccnz .LBB351_74
; %bb.71:
	s_waitcnt lgkmcnt(0)
	v_mov_b64_e32 v[16:17], s[20:21]
	v_mad_u64_u32 v[14:15], s[6:7], v6, s30, v[16:17]
	v_mul_lo_u32 v18, v6, s31
	v_mul_lo_u32 v19, v7, s30
	v_add3_u32 v15, v19, v15, v18
	v_mad_u64_u32 v[16:17], s[6:7], v8, s30, v[16:17]
	v_mul_lo_u32 v18, v8, s31
	v_mul_lo_u32 v19, v9, s30
	s_add_u32 s42, s30, -1
	v_add3_u32 v17, v19, v17, v18
	s_addc_u32 s43, s31, -1
	s_mov_b64 s[18:19], 0
                                        ; implicit-def: $sgpr40_sgpr41
.LBB351_72:                             ; =>This Inner Loop Header: Depth=1
	global_load_ubyte v18, v[14:15], off
	global_load_ubyte v19, v[16:17], off
	s_add_u32 s6, s42, -1
	s_addc_u32 s7, s43, -1
	s_cmp_eq_u64 s[42:43], 0
	s_mov_b64 s[42:43], s[6:7]
	s_cselect_b64 s[44:45], -1, 0
	v_lshl_add_u64 v[14:15], v[14:15], 0, 1
	v_lshl_add_u64 v[16:17], v[16:17], 0, 1
	s_waitcnt vmcnt(0)
	v_cmp_ne_u16_e64 s[6:7], v18, v19
	s_or_b64 s[6:7], s[6:7], s[44:45]
	s_and_b64 s[6:7], exec, s[6:7]
	v_cmp_eq_u16_e32 vcc, v18, v19
	s_or_b64 s[18:19], s[6:7], s[18:19]
	s_andn2_b64 s[6:7], s[40:41], exec
	s_and_b64 s[40:41], vcc, exec
	s_or_b64 s[40:41], s[6:7], s[40:41]
	s_andn2_b64 exec, exec, s[18:19]
	s_cbranch_execnz .LBB351_72
; %bb.73:
	s_or_b64 exec, exec, s[18:19]
	s_xor_b64 s[6:7], s[40:41], -1
.LBB351_74:
	s_and_b64 s[18:19], s[6:7], exec
.LBB351_75:
	s_or_b64 exec, exec, s[38:39]
	v_cmp_ne_u32_e32 vcc, 0, v0
	s_waitcnt lgkmcnt(0)
	v_mov_b64_e32 v[16:17], s[10:11]
	s_barrier
	s_and_saveexec_b64 s[6:7], vcc
; %bb.76:
	v_add_u32_e32 v14, -8, v21
	ds_read_b64 v[16:17], v14
; %bb.77:
	s_or_b64 exec, exec, s[6:7]
	v_cndmask_b32_e64 v15, 0, 1, s[14:15]
	v_cndmask_b32_e64 v14, 0, 1, s[36:37]
	;; [unrolled: 1-line block ×3, first 2 shown]
	v_lshlrev_b16_e32 v15, 8, v15
	v_cmp_gt_u32_e32 vcc, s3, v22
	v_lshlrev_b16_e32 v18, 8, v18
	v_or_b32_sdwa v19, v14, v15 dst_sel:WORD_1 dst_unused:UNUSED_PAD src0_sel:DWORD src1_sel:DWORD
	s_mov_b64 s[6:7], 0
	s_and_saveexec_b64 s[10:11], vcc
	s_cbranch_execz .LBB351_83
; %bb.78:
	s_and_b64 vcc, exec, s[4:5]
	s_mov_b64 s[4:5], 0
	s_cbranch_vccnz .LBB351_82
; %bb.79:
	v_mov_b64_e32 v[24:25], s[20:21]
	s_waitcnt lgkmcnt(0)
	v_mad_u64_u32 v[14:15], s[4:5], v16, s30, v[24:25]
	v_mul_lo_u32 v16, v16, s31
	v_mul_lo_u32 v17, v17, s30
	v_add3_u32 v15, v17, v15, v16
	v_mad_u64_u32 v[16:17], s[4:5], v6, s30, v[24:25]
	v_mul_lo_u32 v21, v6, s31
	v_mul_lo_u32 v23, v7, s30
	s_add_u32 s18, s30, -1
	v_add3_u32 v17, v23, v17, v21
	s_addc_u32 s19, s31, -1
                                        ; implicit-def: $sgpr14_sgpr15
.LBB351_80:                             ; =>This Inner Loop Header: Depth=1
	global_load_ubyte v21, v[14:15], off
	global_load_ubyte v23, v[16:17], off
	s_add_u32 s4, s18, -1
	s_addc_u32 s5, s19, -1
	s_cmp_eq_u64 s[18:19], 0
	s_mov_b64 s[18:19], s[4:5]
	s_cselect_b64 s[36:37], -1, 0
	v_lshl_add_u64 v[14:15], v[14:15], 0, 1
	v_lshl_add_u64 v[16:17], v[16:17], 0, 1
	s_waitcnt vmcnt(0)
	v_cmp_ne_u16_e64 s[4:5], v21, v23
	s_or_b64 s[4:5], s[4:5], s[36:37]
	s_and_b64 s[4:5], exec, s[4:5]
	v_cmp_eq_u16_e32 vcc, v21, v23
	s_or_b64 s[6:7], s[4:5], s[6:7]
	s_andn2_b64 s[4:5], s[14:15], exec
	s_and_b64 s[14:15], vcc, exec
	s_or_b64 s[14:15], s[4:5], s[14:15]
	s_andn2_b64 exec, exec, s[6:7]
	s_cbranch_execnz .LBB351_80
; %bb.81:
	s_or_b64 exec, exec, s[6:7]
	s_xor_b64 s[4:5], s[14:15], -1
.LBB351_82:
	s_and_b64 s[6:7], s[4:5], exec
.LBB351_83:
	s_or_b64 exec, exec, s[10:11]
	v_cndmask_b32_e64 v32, 0, 1, s[12:13]
	v_or_b32_e32 v15, v18, v19
.LBB351_84:
	s_waitcnt lgkmcnt(0)
	s_mov_b64 s[10:11], -1
	s_cbranch_execnz .LBB351_41
.LBB351_85:
	v_lshlrev_b32_e32 v14, 5, v0
	v_sub_u32_e32 v23, v20, v14
	s_mov_b64 s[6:7], 0
	v_cmp_gt_i64_e64 s[12:13], s[30:31], 0
	s_and_b64 vcc, exec, s[34:35]
	ds_write_b64 v23, v[12:13]
	s_cbranch_vccz .LBB351_96
; %bb.86:
	v_cndmask_b32_e64 v14, 0, 1, s[12:13]
	v_cmp_ne_u32_e64 s[4:5], 1, v14
	s_andn2_b64 vcc, exec, s[12:13]
	s_cbranch_vccnz .LBB351_97
; %bb.87:
	v_mov_b64_e32 v[16:17], s[20:21]
	v_mad_u64_u32 v[14:15], s[6:7], v4, s30, v[16:17]
	v_mul_lo_u32 v18, v4, s31
	v_mul_lo_u32 v19, v5, s30
	s_add_u32 s18, s30, -1
	v_add3_u32 v15, v19, v15, v18
	v_mad_u64_u32 v[16:17], s[6:7], v12, s30, v[16:17]
	v_mul_lo_u32 v18, v12, s31
	v_mul_lo_u32 v19, v13, s30
	s_addc_u32 s19, s31, -1
	v_add3_u32 v17, v19, v17, v18
	s_mov_b64 s[36:37], 0
	s_mov_b64 s[38:39], s[18:19]
	v_mov_b64_e32 v[18:19], v[14:15]
                                        ; implicit-def: $sgpr14_sgpr15
.LBB351_88:                             ; =>This Inner Loop Header: Depth=1
	global_load_ubyte v20, v[18:19], off
	global_load_ubyte v21, v[16:17], off
	s_add_u32 s6, s38, -1
	s_addc_u32 s7, s39, -1
	s_cmp_eq_u64 s[38:39], 0
	s_mov_b64 s[38:39], s[6:7]
	s_cselect_b64 s[40:41], -1, 0
	v_lshl_add_u64 v[18:19], v[18:19], 0, 1
	v_lshl_add_u64 v[16:17], v[16:17], 0, 1
	s_waitcnt vmcnt(0)
	v_cmp_ne_u16_e64 s[6:7], v20, v21
	s_or_b64 s[6:7], s[6:7], s[40:41]
	s_and_b64 s[6:7], exec, s[6:7]
	v_cmp_eq_u16_e32 vcc, v20, v21
	s_or_b64 s[36:37], s[6:7], s[36:37]
	s_andn2_b64 s[6:7], s[14:15], exec
	s_and_b64 s[14:15], vcc, exec
	s_or_b64 s[14:15], s[6:7], s[14:15]
	s_andn2_b64 exec, exec, s[36:37]
	s_cbranch_execnz .LBB351_88
; %bb.89:
	s_or_b64 exec, exec, s[36:37]
	v_mov_b64_e32 v[16:17], s[20:21]
	v_mad_u64_u32 v[16:17], s[6:7], v2, s30, v[16:17]
	v_mul_lo_u32 v18, v2, s31
	v_mul_lo_u32 v19, v3, s30
	v_add3_u32 v17, v19, v17, v18
	s_mov_b64 s[38:39], 0
	s_mov_b64 s[40:41], s[18:19]
	v_mov_b64_e32 v[18:19], v[16:17]
                                        ; implicit-def: $sgpr36_sgpr37
.LBB351_90:                             ; =>This Inner Loop Header: Depth=1
	global_load_ubyte v20, v[18:19], off
	global_load_ubyte v21, v[14:15], off
	s_add_u32 s6, s40, -1
	s_addc_u32 s7, s41, -1
	s_cmp_eq_u64 s[40:41], 0
	s_mov_b64 s[40:41], s[6:7]
	s_cselect_b64 s[42:43], -1, 0
	v_lshl_add_u64 v[18:19], v[18:19], 0, 1
	v_lshl_add_u64 v[14:15], v[14:15], 0, 1
	s_waitcnt vmcnt(0)
	v_cmp_ne_u16_e64 s[6:7], v20, v21
	s_or_b64 s[6:7], s[6:7], s[42:43]
	s_and_b64 s[6:7], exec, s[6:7]
	v_cmp_eq_u16_e32 vcc, v20, v21
	s_or_b64 s[38:39], s[6:7], s[38:39]
	s_andn2_b64 s[6:7], s[36:37], exec
	s_and_b64 s[36:37], vcc, exec
	s_or_b64 s[36:37], s[6:7], s[36:37]
	s_andn2_b64 exec, exec, s[38:39]
	s_cbranch_execnz .LBB351_90
; %bb.91:
	s_or_b64 exec, exec, s[38:39]
	v_mov_b64_e32 v[14:15], s[20:21]
	v_mad_u64_u32 v[14:15], s[6:7], v8, s30, v[14:15]
	v_mul_lo_u32 v18, v8, s31
	v_mul_lo_u32 v19, v9, s30
	v_add3_u32 v15, v19, v15, v18
	s_mov_b64 s[40:41], 0
	s_mov_b64 s[42:43], s[18:19]
	v_mov_b64_e32 v[18:19], v[14:15]
                                        ; implicit-def: $sgpr38_sgpr39
.LBB351_92:                             ; =>This Inner Loop Header: Depth=1
	global_load_ubyte v20, v[18:19], off
	global_load_ubyte v21, v[16:17], off
	s_add_u32 s6, s42, -1
	s_addc_u32 s7, s43, -1
	s_cmp_eq_u64 s[42:43], 0
	s_mov_b64 s[42:43], s[6:7]
	s_cselect_b64 s[44:45], -1, 0
	v_lshl_add_u64 v[18:19], v[18:19], 0, 1
	v_lshl_add_u64 v[16:17], v[16:17], 0, 1
	s_waitcnt vmcnt(0)
	v_cmp_ne_u16_e64 s[6:7], v20, v21
	s_or_b64 s[6:7], s[6:7], s[44:45]
	s_and_b64 s[6:7], exec, s[6:7]
	v_cmp_eq_u16_e32 vcc, v20, v21
	s_or_b64 s[40:41], s[6:7], s[40:41]
	s_andn2_b64 s[6:7], s[38:39], exec
	s_and_b64 s[38:39], vcc, exec
	s_or_b64 s[38:39], s[6:7], s[38:39]
	s_andn2_b64 exec, exec, s[40:41]
	s_cbranch_execnz .LBB351_92
; %bb.93:
	s_or_b64 exec, exec, s[40:41]
	v_mov_b64_e32 v[16:17], s[20:21]
	v_mad_u64_u32 v[16:17], s[6:7], v6, s30, v[16:17]
	v_mul_lo_u32 v18, v6, s31
	v_mul_lo_u32 v19, v7, s30
	v_add3_u32 v17, v19, v17, v18
	s_mov_b64 s[42:43], 0
                                        ; implicit-def: $sgpr40_sgpr41
.LBB351_94:                             ; =>This Inner Loop Header: Depth=1
	global_load_ubyte v18, v[16:17], off
	global_load_ubyte v19, v[14:15], off
	s_add_u32 s6, s18, -1
	s_addc_u32 s7, s19, -1
	s_cmp_eq_u64 s[18:19], 0
	s_mov_b64 s[18:19], s[6:7]
	s_cselect_b64 s[44:45], -1, 0
	v_lshl_add_u64 v[16:17], v[16:17], 0, 1
	v_lshl_add_u64 v[14:15], v[14:15], 0, 1
	s_waitcnt vmcnt(0)
	v_cmp_ne_u16_e64 s[6:7], v18, v19
	s_or_b64 s[6:7], s[6:7], s[44:45]
	s_and_b64 s[6:7], exec, s[6:7]
	v_cmp_eq_u16_e32 vcc, v18, v19
	s_or_b64 s[42:43], s[6:7], s[42:43]
	s_andn2_b64 s[6:7], s[40:41], exec
	s_and_b64 s[40:41], vcc, exec
	s_or_b64 s[40:41], s[6:7], s[40:41]
	s_andn2_b64 exec, exec, s[42:43]
	s_cbranch_execnz .LBB351_94
; %bb.95:
	s_or_b64 exec, exec, s[42:43]
	s_xor_b64 s[6:7], s[14:15], -1
	v_cndmask_b32_e64 v32, 0, 1, s[6:7]
	s_xor_b64 s[6:7], s[36:37], -1
	v_cndmask_b32_e64 v14, 0, 1, s[6:7]
	v_lshlrev_b16_e32 v14, 8, v14
	v_mov_b32_e32 v15, 8
	s_xor_b64 s[14:15], s[38:39], -1
	v_lshrrev_b32_sdwa v14, v15, v14 dst_sel:BYTE_1 dst_unused:UNUSED_PAD src0_sel:DWORD src1_sel:DWORD
	v_cndmask_b32_e64 v15, 0, 1, s[14:15]
	s_xor_b64 s[6:7], s[40:41], -1
	v_or_b32_sdwa v14, v15, v14 dst_sel:WORD_1 dst_unused:UNUSED_PAD src0_sel:DWORD src1_sel:DWORD
	s_branch .LBB351_98
.LBB351_96:
                                        ; implicit-def: $sgpr6_sgpr7
                                        ; implicit-def: $vgpr32
                                        ; implicit-def: $vgpr15
                                        ; implicit-def: $vgpr16
                                        ; implicit-def: $vgpr34
                                        ; implicit-def: $vgpr33
                                        ; implicit-def: $vgpr14
	s_cbranch_execnz .LBB351_105
	s_branch .LBB351_138
.LBB351_97:
	v_mov_b32_e32 v14, 0
	v_mov_b32_e32 v32, 0
.LBB351_98:
	v_lshrrev_b32_e32 v33, 16, v14
	v_lshrrev_b32_e32 v14, 24, v14
	v_cndmask_b32_e64 v34, 0, 1, s[6:7]
	v_mov_b32_e32 v16, 1
	v_cmp_ne_u32_e32 vcc, 0, v0
	s_waitcnt lgkmcnt(0)
	s_barrier
                                        ; implicit-def: $sgpr6_sgpr7
                                        ; implicit-def: $vgpr15
	s_and_saveexec_b64 s[14:15], vcc
	s_xor_b64 s[14:15], exec, s[14:15]
	s_cbranch_execz .LBB351_104
; %bb.99:
	v_lshlrev_b16_e32 v15, 8, v14
	s_movk_i32 s6, 0xff
	v_bitop3_b16 v15, v33, v15, s6 bitop3:0xec
	v_lshlrev_b16_e32 v17, 8, v34
	v_lshlrev_b32_e32 v15, 16, v15
	v_or_b32_e32 v17, 1, v17
	v_or_b32_sdwa v15, v17, v15 dst_sel:DWORD dst_unused:UNUSED_PAD src0_sel:WORD_0 src1_sel:DWORD
	s_mov_b32 s33, 0x3020104
	s_and_b64 vcc, exec, s[4:5]
	s_mov_b64 s[6:7], 0
	s_cbranch_vccnz .LBB351_103
; %bb.100:
	v_add_u32_e32 v17, -8, v23
	ds_read_b64 v[18:19], v17
	v_mov_b64_e32 v[20:21], s[20:21]
	s_add_u32 s36, s30, -1
	s_addc_u32 s37, s31, -1
                                        ; implicit-def: $sgpr18_sgpr19
	s_waitcnt lgkmcnt(0)
	v_mul_lo_u32 v17, v18, s31
	v_mul_lo_u32 v24, v19, s30
	v_mad_u64_u32 v[18:19], s[4:5], v18, s30, v[20:21]
	v_add3_u32 v19, v24, v19, v17
	v_mad_u64_u32 v[20:21], s[4:5], v6, s30, v[20:21]
	v_mul_lo_u32 v17, v6, s31
	v_mul_lo_u32 v24, v7, s30
	v_add3_u32 v21, v24, v21, v17
.LBB351_101:                            ; =>This Inner Loop Header: Depth=1
	global_load_ubyte v17, v[18:19], off
	global_load_ubyte v24, v[20:21], off
	s_add_u32 s4, s36, -1
	s_addc_u32 s5, s37, -1
	s_cmp_eq_u64 s[36:37], 0
	s_mov_b64 s[36:37], s[4:5]
	s_cselect_b64 s[38:39], -1, 0
	v_lshl_add_u64 v[18:19], v[18:19], 0, 1
	v_lshl_add_u64 v[20:21], v[20:21], 0, 1
	s_waitcnt vmcnt(0)
	v_cmp_ne_u16_e64 s[4:5], v17, v24
	s_or_b64 s[4:5], s[4:5], s[38:39]
	s_and_b64 s[4:5], exec, s[4:5]
	v_cmp_eq_u16_e32 vcc, v17, v24
	s_or_b64 s[6:7], s[4:5], s[6:7]
	s_andn2_b64 s[4:5], s[18:19], exec
	s_and_b64 s[18:19], vcc, exec
	s_or_b64 s[18:19], s[4:5], s[18:19]
	s_andn2_b64 exec, exec, s[6:7]
	s_cbranch_execnz .LBB351_101
; %bb.102:
	s_or_b64 exec, exec, s[6:7]
	s_xor_b64 s[6:7], s[18:19], -1
.LBB351_103:
	v_perm_b32 v15, v15, v15, s33
	s_or_b64 s[10:11], s[10:11], exec
.LBB351_104:
	s_or_b64 exec, exec, s[14:15]
	s_branch .LBB351_138
.LBB351_105:
	v_add_u32_e32 v14, 4, v22
	v_cmp_gt_u32_e32 vcc, s3, v14
	s_mov_b64 s[6:7], 0
	s_mov_b64 s[14:15], 0
	s_and_saveexec_b64 s[18:19], vcc
	s_cbranch_execz .LBB351_111
; %bb.106:
	s_andn2_b64 vcc, exec, s[12:13]
	s_mov_b64 s[4:5], 0
	s_cbranch_vccnz .LBB351_110
; %bb.107:
	v_mov_b64_e32 v[16:17], s[20:21]
	v_mad_u64_u32 v[14:15], s[4:5], v4, s30, v[16:17]
	v_mul_lo_u32 v18, v4, s31
	v_mul_lo_u32 v19, v5, s30
	v_add3_u32 v15, v19, v15, v18
	v_mad_u64_u32 v[16:17], s[4:5], v12, s30, v[16:17]
	v_mul_lo_u32 v18, v12, s31
	v_mul_lo_u32 v19, v13, s30
	s_add_u32 s38, s30, -1
	v_add3_u32 v17, v19, v17, v18
	s_addc_u32 s39, s31, -1
                                        ; implicit-def: $sgpr36_sgpr37
.LBB351_108:                            ; =>This Inner Loop Header: Depth=1
	global_load_ubyte v18, v[14:15], off
	global_load_ubyte v19, v[16:17], off
	s_add_u32 s4, s38, -1
	s_addc_u32 s5, s39, -1
	s_cmp_eq_u64 s[38:39], 0
	s_mov_b64 s[38:39], s[4:5]
	s_cselect_b64 s[40:41], -1, 0
	v_lshl_add_u64 v[14:15], v[14:15], 0, 1
	v_lshl_add_u64 v[16:17], v[16:17], 0, 1
	s_waitcnt vmcnt(0)
	v_cmp_ne_u16_e64 s[4:5], v18, v19
	s_or_b64 s[4:5], s[4:5], s[40:41]
	s_and_b64 s[4:5], exec, s[4:5]
	v_cmp_eq_u16_e32 vcc, v18, v19
	s_or_b64 s[14:15], s[4:5], s[14:15]
	s_andn2_b64 s[4:5], s[36:37], exec
	s_and_b64 s[36:37], vcc, exec
	s_or_b64 s[36:37], s[4:5], s[36:37]
	s_andn2_b64 exec, exec, s[14:15]
	s_cbranch_execnz .LBB351_108
; %bb.109:
	s_or_b64 exec, exec, s[14:15]
	s_xor_b64 s[4:5], s[36:37], -1
.LBB351_110:
	s_and_b64 s[14:15], s[4:5], exec
.LBB351_111:
	s_or_b64 exec, exec, s[18:19]
	v_add_u32_e32 v14, 3, v22
	v_cmp_gt_u32_e32 vcc, s3, v14
	s_and_saveexec_b64 s[18:19], vcc
	s_cbranch_execz .LBB351_117
; %bb.112:
	s_andn2_b64 vcc, exec, s[12:13]
	s_mov_b64 s[4:5], 0
	s_cbranch_vccnz .LBB351_116
; %bb.113:
	v_mov_b64_e32 v[16:17], s[20:21]
	v_mad_u64_u32 v[14:15], s[4:5], v2, s30, v[16:17]
	v_mul_lo_u32 v18, v2, s31
	v_mul_lo_u32 v19, v3, s30
	v_add3_u32 v15, v19, v15, v18
	v_mad_u64_u32 v[16:17], s[4:5], v4, s30, v[16:17]
	v_mul_lo_u32 v18, v4, s31
	v_mul_lo_u32 v19, v5, s30
	s_add_u32 s38, s30, -1
	v_add3_u32 v17, v19, v17, v18
	s_addc_u32 s39, s31, -1
	s_mov_b64 s[6:7], 0
                                        ; implicit-def: $sgpr36_sgpr37
.LBB351_114:                            ; =>This Inner Loop Header: Depth=1
	global_load_ubyte v18, v[14:15], off
	global_load_ubyte v19, v[16:17], off
	s_add_u32 s4, s38, -1
	s_addc_u32 s5, s39, -1
	s_cmp_eq_u64 s[38:39], 0
	s_mov_b64 s[38:39], s[4:5]
	s_cselect_b64 s[40:41], -1, 0
	v_lshl_add_u64 v[14:15], v[14:15], 0, 1
	v_lshl_add_u64 v[16:17], v[16:17], 0, 1
	s_waitcnt vmcnt(0)
	v_cmp_ne_u16_e64 s[4:5], v18, v19
	s_or_b64 s[4:5], s[4:5], s[40:41]
	s_and_b64 s[4:5], exec, s[4:5]
	v_cmp_eq_u16_e32 vcc, v18, v19
	s_or_b64 s[6:7], s[4:5], s[6:7]
	s_andn2_b64 s[4:5], s[36:37], exec
	s_and_b64 s[36:37], vcc, exec
	s_or_b64 s[36:37], s[4:5], s[36:37]
	s_andn2_b64 exec, exec, s[6:7]
	s_cbranch_execnz .LBB351_114
; %bb.115:
	s_or_b64 exec, exec, s[6:7]
	s_xor_b64 s[4:5], s[36:37], -1
.LBB351_116:
	s_and_b64 s[6:7], s[4:5], exec
.LBB351_117:
	s_or_b64 exec, exec, s[18:19]
	v_add_u32_e32 v14, 2, v22
	v_cmp_gt_u32_e32 vcc, s3, v14
	s_mov_b64 s[18:19], 0
	s_mov_b64 s[36:37], 0
	s_and_saveexec_b64 s[38:39], vcc
	s_cbranch_execz .LBB351_123
; %bb.118:
	s_andn2_b64 vcc, exec, s[12:13]
	s_mov_b64 s[4:5], 0
	s_cbranch_vccnz .LBB351_122
; %bb.119:
	v_mov_b64_e32 v[16:17], s[20:21]
	v_mad_u64_u32 v[14:15], s[4:5], v8, s30, v[16:17]
	v_mul_lo_u32 v18, v8, s31
	v_mul_lo_u32 v19, v9, s30
	v_add3_u32 v15, v19, v15, v18
	v_mad_u64_u32 v[16:17], s[4:5], v2, s30, v[16:17]
	v_mul_lo_u32 v18, v2, s31
	v_mul_lo_u32 v19, v3, s30
	s_add_u32 s42, s30, -1
	v_add3_u32 v17, v19, v17, v18
	s_addc_u32 s43, s31, -1
                                        ; implicit-def: $sgpr40_sgpr41
.LBB351_120:                            ; =>This Inner Loop Header: Depth=1
	global_load_ubyte v18, v[14:15], off
	global_load_ubyte v19, v[16:17], off
	s_add_u32 s4, s42, -1
	s_addc_u32 s5, s43, -1
	s_cmp_eq_u64 s[42:43], 0
	s_mov_b64 s[42:43], s[4:5]
	s_cselect_b64 s[44:45], -1, 0
	v_lshl_add_u64 v[14:15], v[14:15], 0, 1
	v_lshl_add_u64 v[16:17], v[16:17], 0, 1
	s_waitcnt vmcnt(0)
	v_cmp_ne_u16_e64 s[4:5], v18, v19
	s_or_b64 s[4:5], s[4:5], s[44:45]
	s_and_b64 s[4:5], exec, s[4:5]
	v_cmp_eq_u16_e32 vcc, v18, v19
	s_or_b64 s[36:37], s[4:5], s[36:37]
	s_andn2_b64 s[4:5], s[40:41], exec
	s_and_b64 s[40:41], vcc, exec
	s_or_b64 s[40:41], s[4:5], s[40:41]
	s_andn2_b64 exec, exec, s[36:37]
	s_cbranch_execnz .LBB351_120
; %bb.121:
	s_or_b64 exec, exec, s[36:37]
	s_xor_b64 s[4:5], s[40:41], -1
.LBB351_122:
	s_and_b64 s[36:37], s[4:5], exec
.LBB351_123:
	s_or_b64 exec, exec, s[38:39]
	v_add_u32_e32 v14, 1, v22
	v_cmp_gt_u32_e32 vcc, s3, v14
	s_and_saveexec_b64 s[38:39], vcc
	s_cbranch_execz .LBB351_129
; %bb.124:
	s_andn2_b64 vcc, exec, s[12:13]
	s_mov_b64 s[4:5], 0
	s_cbranch_vccnz .LBB351_128
; %bb.125:
	v_mov_b64_e32 v[16:17], s[20:21]
	v_mad_u64_u32 v[14:15], s[4:5], v6, s30, v[16:17]
	v_mul_lo_u32 v18, v6, s31
	v_mul_lo_u32 v19, v7, s30
	v_add3_u32 v15, v19, v15, v18
	v_mad_u64_u32 v[16:17], s[4:5], v8, s30, v[16:17]
	v_mul_lo_u32 v18, v8, s31
	v_mul_lo_u32 v19, v9, s30
	s_add_u32 s42, s30, -1
	v_add3_u32 v17, v19, v17, v18
	s_addc_u32 s43, s31, -1
	s_mov_b64 s[18:19], 0
                                        ; implicit-def: $sgpr40_sgpr41
.LBB351_126:                            ; =>This Inner Loop Header: Depth=1
	global_load_ubyte v18, v[14:15], off
	global_load_ubyte v19, v[16:17], off
	s_add_u32 s4, s42, -1
	s_addc_u32 s5, s43, -1
	s_cmp_eq_u64 s[42:43], 0
	s_mov_b64 s[42:43], s[4:5]
	s_cselect_b64 s[44:45], -1, 0
	v_lshl_add_u64 v[14:15], v[14:15], 0, 1
	v_lshl_add_u64 v[16:17], v[16:17], 0, 1
	s_waitcnt vmcnt(0)
	v_cmp_ne_u16_e64 s[4:5], v18, v19
	s_or_b64 s[4:5], s[4:5], s[44:45]
	s_and_b64 s[4:5], exec, s[4:5]
	v_cmp_eq_u16_e32 vcc, v18, v19
	s_or_b64 s[18:19], s[4:5], s[18:19]
	s_andn2_b64 s[4:5], s[40:41], exec
	s_and_b64 s[40:41], vcc, exec
	s_or_b64 s[40:41], s[4:5], s[40:41]
	s_andn2_b64 exec, exec, s[18:19]
	s_cbranch_execnz .LBB351_126
; %bb.127:
	s_or_b64 exec, exec, s[18:19]
	s_xor_b64 s[4:5], s[40:41], -1
.LBB351_128:
	s_and_b64 s[18:19], s[4:5], exec
.LBB351_129:
	s_or_b64 exec, exec, s[38:39]
	v_cndmask_b32_e64 v32, 0, 1, s[14:15]
	v_cndmask_b32_e64 v33, 0, 1, s[36:37]
	;; [unrolled: 1-line block ×4, first 2 shown]
	v_mov_b32_e32 v16, 1
	v_cmp_ne_u32_e32 vcc, 0, v0
	s_waitcnt lgkmcnt(0)
	s_barrier
                                        ; implicit-def: $sgpr6_sgpr7
                                        ; implicit-def: $vgpr15
	s_and_saveexec_b64 s[14:15], vcc
	s_cbranch_execz .LBB351_137
; %bb.130:
	v_lshlrev_b16_e32 v15, 8, v34
	v_lshlrev_b16_e32 v17, 8, v14
	v_or_b32_e32 v15, 1, v15
	v_or_b32_sdwa v17, v33, v17 dst_sel:WORD_1 dst_unused:UNUSED_PAD src0_sel:DWORD src1_sel:DWORD
	v_cmp_gt_u32_e32 vcc, s3, v22
	v_or_b32_sdwa v15, v15, v17 dst_sel:DWORD dst_unused:UNUSED_PAD src0_sel:WORD_0 src1_sel:DWORD
	s_mov_b32 s33, 0x3020104
	s_mov_b64 s[6:7], 0
	s_and_saveexec_b64 s[18:19], vcc
	s_cbranch_execz .LBB351_136
; %bb.131:
	s_andn2_b64 vcc, exec, s[12:13]
	s_mov_b64 s[4:5], 0
	s_cbranch_vccnz .LBB351_135
; %bb.132:
	v_add_u32_e32 v17, -8, v23
	ds_read_b64 v[18:19], v17
	v_mov_b64_e32 v[20:21], s[20:21]
	s_add_u32 s20, s30, -1
	s_addc_u32 s21, s31, -1
                                        ; implicit-def: $sgpr12_sgpr13
	s_waitcnt lgkmcnt(0)
	v_mul_lo_u32 v17, v18, s31
	v_mul_lo_u32 v23, v19, s30
	v_mad_u64_u32 v[18:19], s[4:5], v18, s30, v[20:21]
	v_add3_u32 v19, v23, v19, v17
	v_mad_u64_u32 v[20:21], s[4:5], v6, s30, v[20:21]
	v_mul_lo_u32 v17, v6, s31
	v_mul_lo_u32 v23, v7, s30
	v_add3_u32 v21, v23, v21, v17
.LBB351_133:                            ; =>This Inner Loop Header: Depth=1
	global_load_ubyte v17, v[18:19], off
	global_load_ubyte v23, v[20:21], off
	s_add_u32 s4, s20, -1
	s_addc_u32 s5, s21, -1
	s_cmp_eq_u64 s[20:21], 0
	s_mov_b64 s[20:21], s[4:5]
	s_cselect_b64 s[30:31], -1, 0
	v_lshl_add_u64 v[18:19], v[18:19], 0, 1
	v_lshl_add_u64 v[20:21], v[20:21], 0, 1
	s_waitcnt vmcnt(0)
	v_cmp_ne_u16_e64 s[4:5], v17, v23
	s_or_b64 s[4:5], s[4:5], s[30:31]
	s_and_b64 s[4:5], exec, s[4:5]
	v_cmp_eq_u16_e32 vcc, v17, v23
	s_or_b64 s[6:7], s[4:5], s[6:7]
	s_andn2_b64 s[4:5], s[12:13], exec
	s_and_b64 s[12:13], vcc, exec
	s_or_b64 s[12:13], s[4:5], s[12:13]
	s_andn2_b64 exec, exec, s[6:7]
	s_cbranch_execnz .LBB351_133
; %bb.134:
	s_or_b64 exec, exec, s[6:7]
	s_xor_b64 s[4:5], s[12:13], -1
.LBB351_135:
	s_and_b64 s[6:7], s[4:5], exec
.LBB351_136:
	s_or_b64 exec, exec, s[18:19]
	v_perm_b32 v15, v15, v15, s33
	s_or_b64 s[10:11], s[10:11], exec
.LBB351_137:
	s_or_b64 exec, exec, s[14:15]
.LBB351_138:
	s_and_saveexec_b64 s[4:5], s[10:11]
; %bb.139:
	v_lshrrev_b32_e32 v14, 24, v15
	v_lshrrev_b32_e32 v33, 16, v15
	;; [unrolled: 1-line block ×3, first 2 shown]
	v_cndmask_b32_e64 v16, 0, 1, s[6:7]
; %bb.140:
	s_or_b64 exec, exec, s[4:5]
	s_andn2_b64 vcc, exec, s[8:9]
	s_cbranch_vccnz .LBB351_144
; %bb.141:
	s_mov_b32 s4, 0xc0c0004
	v_perm_b32 v14, v33, v14, s4
	v_perm_b32 v15, v16, v34, s4
	v_lshlrev_b32_e32 v14, 16, v14
	v_or_b32_e32 v15, v15, v14
	v_cmp_gt_u32_e32 vcc, s3, v22
	v_add_u32_e32 v16, 1, v22
	s_mov_b32 s4, 0x40c0100
	v_cndmask_b32_e32 v14, v14, v15, vcc
	v_and_b32_e32 v14, 0xffff00ff, v14
	v_cmp_gt_u32_e32 vcc, s3, v16
	v_add_u32_e32 v16, 2, v22
	v_and_b32_e32 v32, 0xff, v32
	v_cndmask_b32_e32 v14, v14, v15, vcc
	v_lshrrev_b32_e32 v18, 24, v14
	v_perm_b32 v14, v18, v14, s4
	v_cmp_gt_u32_e32 vcc, s3, v16
	v_add_u32_e32 v16, 3, v22
	v_and_b32_e32 v17, 0xffff, v32
	v_cndmask_b32_e32 v14, v14, v15, vcc
	v_and_b32_e32 v14, 0xffffff, v14
	v_cmp_gt_u32_e32 vcc, s3, v16
	s_nop 1
	v_cndmask_b32_e32 v16, v14, v15, vcc
	v_lshrrev_b64 v[14:15], 24, v[16:17]
	v_add_u32_e32 v15, 4, v22
	v_lshrrev_b32_e32 v33, 16, v16
	v_lshrrev_b32_e32 v34, 8, v16
	v_cmp_le_u32_e32 vcc, s3, v15
	s_and_saveexec_b64 s[4:5], vcc
; %bb.142:
	v_mov_b32_e32 v32, 0
; %bb.143:
	s_or_b64 exec, exec, s[4:5]
.LBB351_144:
	v_and_b32_e32 v15, 0xff, v16
	v_and_b32_e32 v17, 0xff, v34
	;; [unrolled: 1-line block ×5, first 2 shown]
	v_add3_u32 v19, v17, v15, v29
	v_add3_u32 v37, v19, v31, v18
	v_mbcnt_lo_u32_b32 v18, -1, 0
	v_mbcnt_hi_u32_b32 v35, -1, v18
	v_and_b32_e32 v18, 15, v35
	v_cmp_eq_u32_e64 s[14:15], 0, v18
	v_cmp_lt_u32_e64 s[12:13], 1, v18
	v_cmp_lt_u32_e64 s[10:11], 3, v18
	;; [unrolled: 1-line block ×3, first 2 shown]
	v_and_b32_e32 v18, 16, v35
	v_cmp_eq_u32_e64 s[6:7], 0, v18
	v_or_b32_e32 v18, 63, v0
	v_cmp_lt_u32_e64 s[18:19], 31, v35
	v_lshrrev_b32_e32 v36, 6, v0
	v_cmp_eq_u32_e64 s[4:5], v0, v18
	s_and_b64 vcc, exec, s[16:17]
	s_waitcnt lgkmcnt(0)
	s_barrier
	s_cbranch_vccz .LBB351_166
; %bb.145:
	v_mov_b32_dpp v18, v37 row_shr:1 row_mask:0xf bank_mask:0xf
	v_cndmask_b32_e64 v18, v18, 0, s[14:15]
	v_add_u32_e32 v18, v18, v37
	s_nop 1
	v_mov_b32_dpp v19, v18 row_shr:2 row_mask:0xf bank_mask:0xf
	v_cndmask_b32_e64 v19, 0, v19, s[12:13]
	v_add_u32_e32 v18, v18, v19
	s_nop 1
	;; [unrolled: 4-line block ×4, first 2 shown]
	v_mov_b32_dpp v19, v18 row_bcast:15 row_mask:0xf bank_mask:0xf
	v_cndmask_b32_e64 v19, v19, 0, s[6:7]
	v_add_u32_e32 v18, v18, v19
	s_nop 1
	v_mov_b32_dpp v19, v18 row_bcast:31 row_mask:0xf bank_mask:0xf
	v_cndmask_b32_e64 v19, 0, v19, s[18:19]
	v_add_u32_e32 v18, v18, v19
	s_and_saveexec_b64 s[16:17], s[4:5]
; %bb.146:
	v_lshlrev_b32_e32 v19, 2, v36
	ds_write_b32 v19, v18
; %bb.147:
	s_or_b64 exec, exec, s[16:17]
	v_cmp_gt_u32_e32 vcc, 2, v0
	s_waitcnt lgkmcnt(0)
	s_barrier
	s_and_saveexec_b64 s[16:17], vcc
	s_cbranch_execz .LBB351_149
; %bb.148:
	v_lshlrev_b32_e32 v19, 2, v0
	ds_read_b32 v20, v19
	v_bfe_i32 v21, v35, 0, 1
	s_waitcnt lgkmcnt(0)
	v_mov_b32_dpp v22, v20 row_shr:1 row_mask:0xf bank_mask:0xf
	v_and_b32_e32 v21, v21, v22
	v_add_u32_e32 v20, v21, v20
	ds_write_b32 v19, v20
.LBB351_149:
	s_or_b64 exec, exec, s[16:17]
	v_cmp_gt_u32_e32 vcc, 64, v0
	v_cmp_lt_u32_e64 s[16:17], 63, v0
	s_waitcnt lgkmcnt(0)
	s_barrier
                                        ; implicit-def: $vgpr28
	s_and_saveexec_b64 s[20:21], s[16:17]
	s_cbranch_execz .LBB351_151
; %bb.150:
	v_lshl_add_u32 v19, v36, 2, -4
	ds_read_b32 v28, v19
	s_waitcnt lgkmcnt(0)
	v_add_u32_e32 v18, v28, v18
.LBB351_151:
	s_or_b64 exec, exec, s[20:21]
	v_subrev_co_u32_e64 v19, s[16:17], 1, v35
	v_and_b32_e32 v20, 64, v35
	v_cmp_lt_i32_e64 s[20:21], v19, v20
	s_nop 1
	v_cndmask_b32_e64 v19, v19, v35, s[20:21]
	v_lshlrev_b32_e32 v19, 2, v19
	ds_bpermute_b32 v30, v19, v18
	s_and_saveexec_b64 s[20:21], vcc
	s_cbranch_execz .LBB351_171
; %bb.152:
	v_mov_b32_e32 v25, 0
	ds_read_b32 v18, v25 offset:4
	s_and_saveexec_b64 s[30:31], s[16:17]
	s_cbranch_execz .LBB351_154
; %bb.153:
	s_add_i32 s36, s2, 64
	s_mov_b32 s37, 0
	s_lshl_b64 s[36:37], s[36:37], 3
	s_add_u32 s36, s22, s36
	v_mov_b32_e32 v19, 1
	s_addc_u32 s37, s23, s37
	s_waitcnt lgkmcnt(0)
	global_store_dwordx2 v25, v[18:19], s[36:37] sc1
.LBB351_154:
	s_or_b64 exec, exec, s[30:31]
	v_xad_u32 v20, v35, -1, s2
	v_add_u32_e32 v24, 64, v20
	v_lshl_add_u64 v[26:27], v[24:25], 3, s[22:23]
	global_load_dwordx2 v[22:23], v[26:27], off sc1
	s_waitcnt vmcnt(0)
	v_cmp_eq_u16_sdwa s[36:37], v23, v25 src0_sel:BYTE_0 src1_sel:DWORD
	s_and_saveexec_b64 s[30:31], s[36:37]
	s_cbranch_execz .LBB351_158
; %bb.155:
	s_mov_b64 s[36:37], 0
	v_mov_b32_e32 v19, 0
.LBB351_156:                            ; =>This Inner Loop Header: Depth=1
	global_load_dwordx2 v[22:23], v[26:27], off sc1
	s_waitcnt vmcnt(0)
	v_cmp_ne_u16_sdwa s[38:39], v23, v19 src0_sel:BYTE_0 src1_sel:DWORD
	s_or_b64 s[36:37], s[38:39], s[36:37]
	s_andn2_b64 exec, exec, s[36:37]
	s_cbranch_execnz .LBB351_156
; %bb.157:
	s_or_b64 exec, exec, s[36:37]
.LBB351_158:
	s_or_b64 exec, exec, s[30:31]
	v_and_b32_e32 v39, 63, v35
	v_mov_b32_e32 v38, 2
	v_cmp_ne_u32_e32 vcc, 63, v39
	v_cmp_eq_u16_sdwa s[30:31], v23, v38 src0_sel:BYTE_0 src1_sel:DWORD
	v_lshlrev_b64 v[24:25], v35, -1
	v_addc_co_u32_e32 v26, vcc, 0, v35, vcc
	v_and_b32_e32 v19, s31, v25
	v_lshlrev_b32_e32 v40, 2, v26
	v_or_b32_e32 v19, 0x80000000, v19
	ds_bpermute_b32 v26, v40, v22
	v_and_b32_e32 v21, s30, v24
	v_ffbl_b32_e32 v19, v19
	v_add_u32_e32 v19, 32, v19
	v_ffbl_b32_e32 v21, v21
	v_min_u32_e32 v19, v21, v19
	v_cmp_lt_u32_e32 vcc, v39, v19
	v_add_u32_e32 v42, 2, v39
	v_add_u32_e32 v44, 4, v39
	s_waitcnt lgkmcnt(0)
	v_cndmask_b32_e32 v21, 0, v26, vcc
	v_cmp_gt_u32_e32 vcc, 62, v39
	v_add_u32_e32 v21, v21, v22
	v_add_u32_e32 v46, 8, v39
	v_cndmask_b32_e64 v22, 0, 2, vcc
	v_add_lshl_u32 v41, v22, v35, 2
	ds_bpermute_b32 v22, v41, v21
	v_cmp_le_u32_e32 vcc, v42, v19
	v_add_u32_e32 v48, 16, v39
	v_add_u32_e32 v50, 32, v39
	s_waitcnt lgkmcnt(0)
	v_cndmask_b32_e32 v22, 0, v22, vcc
	v_cmp_gt_u32_e32 vcc, 60, v39
	v_add_u32_e32 v21, v21, v22
	s_nop 0
	v_cndmask_b32_e64 v22, 0, 4, vcc
	v_add_lshl_u32 v43, v22, v35, 2
	ds_bpermute_b32 v22, v43, v21
	v_cmp_le_u32_e32 vcc, v44, v19
	s_waitcnt lgkmcnt(0)
	s_nop 0
	v_cndmask_b32_e32 v22, 0, v22, vcc
	v_cmp_gt_u32_e32 vcc, 56, v39
	v_add_u32_e32 v21, v21, v22
	s_nop 0
	v_cndmask_b32_e64 v22, 0, 8, vcc
	v_add_lshl_u32 v45, v22, v35, 2
	ds_bpermute_b32 v22, v45, v21
	v_cmp_le_u32_e32 vcc, v46, v19
	s_waitcnt lgkmcnt(0)
	s_nop 0
	;; [unrolled: 10-line block ×3, first 2 shown]
	v_cndmask_b32_e32 v22, 0, v22, vcc
	v_add_u32_e32 v21, v21, v22
	v_mov_b32_e32 v22, 0x80
	v_lshl_or_b32 v49, v35, 2, v22
	ds_bpermute_b32 v22, v49, v21
	v_cmp_le_u32_e32 vcc, v50, v19
	s_waitcnt lgkmcnt(0)
	s_nop 0
	v_cndmask_b32_e32 v19, 0, v22, vcc
	v_add_u32_e32 v22, v21, v19
	v_mov_b32_e32 v21, 0
	s_branch .LBB351_161
.LBB351_159:                            ;   in Loop: Header=BB351_161 Depth=1
	s_or_b64 exec, exec, s[30:31]
	v_cmp_eq_u16_sdwa s[30:31], v23, v38 src0_sel:BYTE_0 src1_sel:DWORD
	ds_bpermute_b32 v51, v40, v22
	v_subrev_u32_e32 v20, 64, v20
	v_and_b32_e32 v26, s31, v25
	v_or_b32_e32 v26, 0x80000000, v26
	v_and_b32_e32 v27, s30, v24
	v_ffbl_b32_e32 v26, v26
	v_add_u32_e32 v26, 32, v26
	v_ffbl_b32_e32 v27, v27
	v_min_u32_e32 v26, v27, v26
	v_cmp_lt_u32_e32 vcc, v39, v26
	s_mov_b64 s[30:31], 0
	s_waitcnt lgkmcnt(0)
	v_cndmask_b32_e32 v27, 0, v51, vcc
	v_add_u32_e32 v22, v27, v22
	ds_bpermute_b32 v27, v41, v22
	v_cmp_le_u32_e32 vcc, v42, v26
	s_waitcnt lgkmcnt(0)
	s_nop 0
	v_cndmask_b32_e32 v27, 0, v27, vcc
	v_add_u32_e32 v22, v22, v27
	ds_bpermute_b32 v27, v43, v22
	v_cmp_le_u32_e32 vcc, v44, v26
	s_waitcnt lgkmcnt(0)
	s_nop 0
	;; [unrolled: 6-line block ×5, first 2 shown]
	v_cndmask_b32_e32 v26, 0, v27, vcc
	v_add3_u32 v22, v26, v19, v22
.LBB351_160:                            ;   in Loop: Header=BB351_161 Depth=1
	s_and_b64 vcc, exec, s[30:31]
	s_cbranch_vccnz .LBB351_167
.LBB351_161:                            ; =>This Loop Header: Depth=1
                                        ;     Child Loop BB351_164 Depth 2
	v_cmp_ne_u16_sdwa s[30:31], v23, v38 src0_sel:BYTE_0 src1_sel:DWORD
	v_mov_b32_e32 v19, v22
	s_cmp_lg_u64 s[30:31], exec
	s_mov_b64 s[30:31], -1
                                        ; implicit-def: $vgpr22
                                        ; implicit-def: $vgpr23
	s_cbranch_scc1 .LBB351_160
; %bb.162:                              ;   in Loop: Header=BB351_161 Depth=1
	v_lshl_add_u64 v[26:27], v[20:21], 3, s[22:23]
	global_load_dwordx2 v[22:23], v[26:27], off sc1
	s_waitcnt vmcnt(0)
	v_cmp_eq_u16_sdwa s[36:37], v23, v21 src0_sel:BYTE_0 src1_sel:DWORD
	s_and_saveexec_b64 s[30:31], s[36:37]
	s_cbranch_execz .LBB351_159
; %bb.163:                              ;   in Loop: Header=BB351_161 Depth=1
	s_mov_b64 s[36:37], 0
.LBB351_164:                            ;   Parent Loop BB351_161 Depth=1
                                        ; =>  This Inner Loop Header: Depth=2
	global_load_dwordx2 v[22:23], v[26:27], off sc1
	s_waitcnt vmcnt(0)
	v_cmp_ne_u16_sdwa s[38:39], v23, v21 src0_sel:BYTE_0 src1_sel:DWORD
	s_or_b64 s[36:37], s[38:39], s[36:37]
	s_andn2_b64 exec, exec, s[36:37]
	s_cbranch_execnz .LBB351_164
; %bb.165:                              ;   in Loop: Header=BB351_161 Depth=1
	s_or_b64 exec, exec, s[36:37]
	s_branch .LBB351_159
.LBB351_166:
                                        ; implicit-def: $vgpr22
                                        ; implicit-def: $vgpr24
                                        ; implicit-def: $vgpr26
                                        ; implicit-def: $vgpr28
                                        ; implicit-def: $vgpr30
                                        ; implicit-def: $vgpr20
                                        ; implicit-def: $vgpr18
	s_cbranch_execnz .LBB351_172
	s_branch .LBB351_181
.LBB351_167:
	s_and_saveexec_b64 s[30:31], s[16:17]
	s_cbranch_execz .LBB351_169
; %bb.168:
	s_add_i32 s2, s2, 64
	s_mov_b32 s3, 0
	s_lshl_b64 s[2:3], s[2:3], 3
	s_add_u32 s2, s22, s2
	v_add_u32_e32 v20, v19, v18
	v_mov_b32_e32 v21, 2
	s_addc_u32 s3, s23, s3
	v_mov_b32_e32 v22, 0
	global_store_dwordx2 v22, v[20:21], s[2:3] sc1
	ds_write_b64 v22, v[18:19] offset:5120
.LBB351_169:
	s_or_b64 exec, exec, s[30:31]
	v_cmp_eq_u32_e32 vcc, 0, v0
	s_and_b64 exec, exec, vcc
; %bb.170:
	v_mov_b32_e32 v18, 0
	ds_write_b32 v18, v19 offset:4
.LBB351_171:
	s_or_b64 exec, exec, s[20:21]
	v_mov_b32_e32 v18, 0
	s_waitcnt lgkmcnt(0)
	s_barrier
	ds_read_b32 v19, v18 offset:4
	v_cndmask_b32_e64 v20, v30, v28, s[16:17]
	v_cmp_ne_u32_e32 vcc, 0, v0
	s_waitcnt lgkmcnt(0)
	s_barrier
	v_cndmask_b32_e32 v20, 0, v20, vcc
	v_add_u32_e32 v30, v19, v20
	ds_read_b64 v[18:19], v18 offset:5120
	v_add_u32_e32 v28, v30, v15
	v_add_u32_e32 v26, v28, v17
	;; [unrolled: 1-line block ×4, first 2 shown]
	s_waitcnt lgkmcnt(0)
	v_mov_b32_e32 v20, v19
	s_branch .LBB351_181
.LBB351_172:
	v_mov_b32_dpp v18, v37 row_shr:1 row_mask:0xf bank_mask:0xf
	v_cndmask_b32_e64 v18, v18, 0, s[14:15]
	v_add_u32_e32 v18, v18, v37
	s_nop 1
	v_mov_b32_dpp v19, v18 row_shr:2 row_mask:0xf bank_mask:0xf
	v_cndmask_b32_e64 v19, 0, v19, s[12:13]
	v_add_u32_e32 v18, v18, v19
	s_nop 1
	;; [unrolled: 4-line block ×4, first 2 shown]
	v_mov_b32_dpp v19, v18 row_bcast:15 row_mask:0xf bank_mask:0xf
	v_cndmask_b32_e64 v19, v19, 0, s[6:7]
	v_add_u32_e32 v18, v18, v19
	s_nop 1
	v_mov_b32_dpp v19, v18 row_bcast:31 row_mask:0xf bank_mask:0xf
	v_cndmask_b32_e64 v19, 0, v19, s[18:19]
	v_add_u32_e32 v18, v18, v19
	s_and_saveexec_b64 s[2:3], s[4:5]
; %bb.173:
	v_lshlrev_b32_e32 v19, 2, v36
	ds_write_b32 v19, v18
; %bb.174:
	s_or_b64 exec, exec, s[2:3]
	v_cmp_gt_u32_e32 vcc, 2, v0
	s_waitcnt lgkmcnt(0)
	s_barrier
	s_and_saveexec_b64 s[2:3], vcc
	s_cbranch_execz .LBB351_176
; %bb.175:
	v_lshlrev_b32_e32 v19, 2, v0
	ds_read_b32 v20, v19
	v_bfe_i32 v21, v35, 0, 1
	s_waitcnt lgkmcnt(0)
	v_mov_b32_dpp v22, v20 row_shr:1 row_mask:0xf bank_mask:0xf
	v_and_b32_e32 v21, v21, v22
	v_add_u32_e32 v20, v21, v20
	ds_write_b32 v19, v20
.LBB351_176:
	s_or_b64 exec, exec, s[2:3]
	v_cmp_lt_u32_e32 vcc, 63, v0
	v_mov_b32_e32 v19, 0
	v_mov_b32_e32 v20, 0
	s_waitcnt lgkmcnt(0)
	s_barrier
	s_and_saveexec_b64 s[2:3], vcc
; %bb.177:
	v_lshl_add_u32 v20, v36, 2, -4
	ds_read_b32 v20, v20
; %bb.178:
	s_or_b64 exec, exec, s[2:3]
	v_subrev_co_u32_e32 v21, vcc, 1, v35
	v_and_b32_e32 v22, 64, v35
	v_cmp_lt_i32_e64 s[2:3], v21, v22
	s_waitcnt lgkmcnt(0)
	v_add_u32_e32 v18, v20, v18
	v_cndmask_b32_e64 v21, v21, v35, s[2:3]
	v_lshlrev_b32_e32 v21, 2, v21
	ds_bpermute_b32 v21, v21, v18
	ds_read_b32 v18, v19 offset:4
	v_cmp_eq_u32_e64 s[2:3], 0, v0
	s_and_saveexec_b64 s[4:5], s[2:3]
	s_cbranch_execz .LBB351_180
; %bb.179:
	v_mov_b32_e32 v22, 0
	v_mov_b32_e32 v19, 2
	s_waitcnt lgkmcnt(0)
	global_store_dwordx2 v22, v[18:19], s[22:23] offset:512 sc1
.LBB351_180:
	s_or_b64 exec, exec, s[4:5]
	s_waitcnt lgkmcnt(1)
	v_cndmask_b32_e32 v19, v21, v20, vcc
	v_cndmask_b32_e64 v30, v19, 0, s[2:3]
	v_add_u32_e32 v28, v30, v15
	v_add_u32_e32 v26, v28, v17
	;; [unrolled: 1-line block ×4, first 2 shown]
	s_waitcnt lgkmcnt(0)
	s_barrier
	v_mov_b32_e32 v20, 0
.LBB351_181:
	s_load_dwordx4 s[8:11], s[0:1], 0x28
	s_movk_i32 s0, 0x81
	v_cmp_gt_u32_e64 s[0:1], s0, v18
	v_add_u32_e32 v17, v20, v18
	v_and_b32_e32 v15, 1, v16
	s_mov_b64 s[6:7], -1
	s_and_b64 vcc, exec, s[0:1]
	v_cmp_lt_u32_e64 s[2:3], v30, v17
	v_cmp_eq_u32_e64 s[4:5], 1, v15
	s_cbranch_vccz .LBB351_193
; %bb.182:
	s_or_b64 s[2:3], s[34:35], s[2:3]
	s_and_b64 s[4:5], s[2:3], s[4:5]
	s_and_saveexec_b64 s[2:3], s[4:5]
	s_cbranch_execz .LBB351_184
; %bb.183:
	s_lshl_b64 s[4:5], s[26:27], 3
	s_waitcnt lgkmcnt(0)
	s_add_u32 s4, s8, s4
	s_addc_u32 s5, s9, s5
	v_mov_b32_e32 v31, 0
	v_lshl_add_u64 v[36:37], v[30:31], 3, s[4:5]
	global_store_dwordx2 v[36:37], v[6:7], off
.LBB351_184:
	s_or_b64 exec, exec, s[2:3]
	v_cmp_lt_u32_e32 vcc, v28, v17
	v_and_b32_e32 v16, 1, v34
	s_or_b64 s[2:3], s[34:35], vcc
	v_cmp_eq_u32_e32 vcc, 1, v16
	s_and_b64 s[4:5], s[2:3], vcc
	s_and_saveexec_b64 s[2:3], s[4:5]
	s_cbranch_execz .LBB351_186
; %bb.185:
	s_lshl_b64 s[4:5], s[26:27], 3
	s_waitcnt lgkmcnt(0)
	s_add_u32 s4, s8, s4
	s_addc_u32 s5, s9, s5
	v_mov_b32_e32 v29, 0
	v_lshl_add_u64 v[36:37], v[28:29], 3, s[4:5]
	global_store_dwordx2 v[36:37], v[8:9], off
.LBB351_186:
	s_or_b64 exec, exec, s[2:3]
	v_cmp_lt_u32_e32 vcc, v26, v17
	v_and_b32_e32 v16, 1, v33
	s_or_b64 s[2:3], s[34:35], vcc
	v_cmp_eq_u32_e32 vcc, 1, v16
	s_and_b64 s[4:5], s[2:3], vcc
	;; [unrolled: 17-line block ×4, first 2 shown]
	s_and_saveexec_b64 s[2:3], s[4:5]
	s_cbranch_execz .LBB351_192
; %bb.191:
	s_lshl_b64 s[4:5], s[26:27], 3
	s_waitcnt lgkmcnt(0)
	s_add_u32 s4, s8, s4
	s_addc_u32 s5, s9, s5
	v_mov_b32_e32 v23, 0
	v_lshl_add_u64 v[36:37], v[22:23], 3, s[4:5]
	global_store_dwordx2 v[36:37], v[12:13], off
.LBB351_192:
	s_or_b64 exec, exec, s[2:3]
	s_mov_b64 s[6:7], 0
.LBB351_193:
	s_and_b64 vcc, exec, s[6:7]
	s_cbranch_vccz .LBB351_207
; %bb.194:
	v_cmp_eq_u32_e32 vcc, 1, v15
	s_and_saveexec_b64 s[2:3], vcc
; %bb.195:
	v_sub_u32_e32 v16, v30, v20
	v_lshlrev_b32_e32 v16, 3, v16
	ds_write_b64 v16, v[6:7]
; %bb.196:
	s_or_b64 exec, exec, s[2:3]
	v_and_b32_e32 v6, 1, v34
	v_cmp_eq_u32_e32 vcc, 1, v6
	s_and_saveexec_b64 s[2:3], vcc
; %bb.197:
	v_sub_u32_e32 v6, v28, v20
	v_lshlrev_b32_e32 v6, 3, v6
	ds_write_b64 v6, v[8:9]
; %bb.198:
	s_or_b64 exec, exec, s[2:3]
	v_and_b32_e32 v6, 1, v33
	;; [unrolled: 9-line block ×4, first 2 shown]
	v_cmp_eq_u32_e32 vcc, 1, v2
	s_and_saveexec_b64 s[2:3], vcc
; %bb.203:
	v_sub_u32_e32 v2, v22, v20
	v_lshlrev_b32_e32 v2, 3, v2
	ds_write_b64 v2, v[12:13]
; %bb.204:
	s_or_b64 exec, exec, s[2:3]
	v_mov_b32_e32 v3, 0
	v_mov_b32_e32 v21, v3
	v_lshlrev_b64 v[4:5], 3, v[20:21]
	s_waitcnt lgkmcnt(0)
	v_lshl_add_u64 v[4:5], s[8:9], 0, v[4:5]
	s_lshl_b64 s[2:3], s[26:27], 3
	v_lshl_add_u64 v[4:5], v[4:5], 0, s[2:3]
	v_lshlrev_b32_e32 v6, 3, v0
	s_mov_b64 s[2:3], 0
	v_mov_b32_e32 v2, v0
	s_barrier
.LBB351_205:                            ; =>This Inner Loop Header: Depth=1
	ds_read_b64 v[8:9], v6
	v_lshl_add_u64 v[12:13], v[2:3], 3, v[4:5]
	v_add_u32_e32 v2, 0x80, v2
	v_cmp_ge_u32_e32 vcc, v2, v18
	v_add_u32_e32 v6, 0x400, v6
	s_or_b64 s[2:3], vcc, s[2:3]
	s_waitcnt lgkmcnt(0)
	global_store_dwordx2 v[12:13], v[8:9], off
	s_andn2_b64 exec, exec, s[2:3]
	s_cbranch_execnz .LBB351_205
; %bb.206:
	s_or_b64 exec, exec, s[2:3]
.LBB351_207:
	s_mov_b64 s[2:3], -1
	s_and_b64 vcc, exec, s[0:1]
	s_waitcnt lgkmcnt(0)
	s_barrier
	s_cbranch_vccnz .LBB351_211
; %bb.208:
	s_and_b64 vcc, exec, s[2:3]
	s_cbranch_vccnz .LBB351_222
.LBB351_209:
	v_cmp_eq_u32_e32 vcc, 0, v0
	s_and_b64 s[0:1], vcc, s[28:29]
	s_and_saveexec_b64 s[2:3], s[0:1]
	s_cbranch_execnz .LBB351_235
.LBB351_210:
	s_endpgm
.LBB351_211:
	v_cmp_lt_u32_e32 vcc, v30, v17
	s_or_b64 s[0:1], s[34:35], vcc
	v_cmp_eq_u32_e32 vcc, 1, v15
	s_and_b64 s[2:3], s[0:1], vcc
	s_and_saveexec_b64 s[0:1], s[2:3]
	s_cbranch_execz .LBB351_213
; %bb.212:
	s_lshl_b64 s[2:3], s[26:27], 3
	s_add_u32 s2, s10, s2
	s_addc_u32 s3, s11, s3
	v_mov_b32_e32 v31, 0
	v_lshl_add_u64 v[2:3], v[30:31], 3, s[2:3]
	global_store_dwordx2 v[2:3], v[56:57], off
.LBB351_213:
	s_or_b64 exec, exec, s[0:1]
	v_cmp_lt_u32_e32 vcc, v28, v17
	v_and_b32_e32 v2, 1, v34
	s_or_b64 s[0:1], s[34:35], vcc
	v_cmp_eq_u32_e32 vcc, 1, v2
	s_and_b64 s[2:3], s[0:1], vcc
	s_and_saveexec_b64 s[0:1], s[2:3]
	s_cbranch_execz .LBB351_215
; %bb.214:
	s_lshl_b64 s[2:3], s[26:27], 3
	s_add_u32 s2, s10, s2
	s_addc_u32 s3, s11, s3
	v_mov_b32_e32 v29, 0
	v_lshl_add_u64 v[2:3], v[28:29], 3, s[2:3]
	global_store_dwordx2 v[2:3], v[58:59], off
.LBB351_215:
	s_or_b64 exec, exec, s[0:1]
	v_cmp_lt_u32_e32 vcc, v26, v17
	v_and_b32_e32 v2, 1, v33
	;; [unrolled: 16-line block ×4, first 2 shown]
	s_or_b64 s[0:1], s[34:35], vcc
	v_cmp_eq_u32_e32 vcc, 1, v2
	s_and_b64 s[2:3], s[0:1], vcc
	s_and_saveexec_b64 s[0:1], s[2:3]
	s_cbranch_execz .LBB351_221
; %bb.220:
	s_lshl_b64 s[2:3], s[26:27], 3
	s_add_u32 s2, s10, s2
	s_addc_u32 s3, s11, s3
	v_mov_b32_e32 v23, 0
	v_lshl_add_u64 v[2:3], v[22:23], 3, s[2:3]
	global_store_dwordx2 v[2:3], v[10:11], off
.LBB351_221:
	s_or_b64 exec, exec, s[0:1]
	s_branch .LBB351_209
.LBB351_222:
	v_cmp_eq_u32_e32 vcc, 1, v15
	s_and_saveexec_b64 s[0:1], vcc
; %bb.223:
	v_sub_u32_e32 v2, v30, v20
	v_lshlrev_b32_e32 v2, 3, v2
	ds_write_b64 v2, v[56:57]
; %bb.224:
	s_or_b64 exec, exec, s[0:1]
	v_and_b32_e32 v2, 1, v34
	v_cmp_eq_u32_e32 vcc, 1, v2
	s_and_saveexec_b64 s[0:1], vcc
; %bb.225:
	v_sub_u32_e32 v2, v28, v20
	v_lshlrev_b32_e32 v2, 3, v2
	ds_write_b64 v2, v[58:59]
; %bb.226:
	s_or_b64 exec, exec, s[0:1]
	v_and_b32_e32 v2, 1, v33
	;; [unrolled: 9-line block ×4, first 2 shown]
	v_cmp_eq_u32_e32 vcc, 1, v2
	s_and_saveexec_b64 s[0:1], vcc
; %bb.231:
	v_sub_u32_e32 v2, v22, v20
	v_lshlrev_b32_e32 v2, 3, v2
	ds_write_b64 v2, v[10:11]
; %bb.232:
	s_or_b64 exec, exec, s[0:1]
	v_mov_b32_e32 v3, 0
	v_mov_b32_e32 v21, v3
	v_lshlrev_b64 v[4:5], 3, v[20:21]
	v_lshl_add_u64 v[4:5], s[10:11], 0, v[4:5]
	s_lshl_b64 s[0:1], s[26:27], 3
	v_lshl_add_u64 v[4:5], v[4:5], 0, s[0:1]
	s_mov_b64 s[0:1], 0
	v_mov_b32_e32 v2, v0
	s_waitcnt lgkmcnt(0)
	s_barrier
.LBB351_233:                            ; =>This Inner Loop Header: Depth=1
	ds_read_b64 v[6:7], v1
	v_lshl_add_u64 v[8:9], v[2:3], 3, v[4:5]
	v_add_u32_e32 v2, 0x80, v2
	v_cmp_ge_u32_e32 vcc, v2, v18
	v_add_u32_e32 v1, 0x400, v1
	s_or_b64 s[0:1], vcc, s[0:1]
	s_waitcnt lgkmcnt(0)
	global_store_dwordx2 v[8:9], v[6:7], off
	s_andn2_b64 exec, exec, s[0:1]
	s_cbranch_execnz .LBB351_233
; %bb.234:
	s_or_b64 exec, exec, s[0:1]
	v_cmp_eq_u32_e32 vcc, 0, v0
	s_and_b64 s[0:1], vcc, s[28:29]
	s_and_saveexec_b64 s[2:3], s[0:1]
	s_cbranch_execz .LBB351_210
.LBB351_235:
	v_mov_b32_e32 v19, 0
	v_lshl_add_u64 v[0:1], s[26:27], 0, v[18:19]
	v_mov_b32_e32 v21, v19
	v_lshl_add_u64 v[0:1], v[0:1], 0, v[20:21]
	global_store_dwordx2 v19, v[0:1], s[24:25]
	s_endpgm
	.section	.rodata,"a",@progbits
	.p2align	6, 0x0
	.amdhsa_kernel _ZN7rocprim17ROCPRIM_400000_NS6detail17trampoline_kernelINS0_14default_configENS1_25partition_config_selectorILNS1_17partition_subalgoE9EllbEEZZNS1_14partition_implILS5_9ELb0ES3_jPlS8_PNS0_10empty_typeENS0_5tupleIJS8_S9_EEENSB_IJS8_SA_EEENS0_18inequality_wrapperIZN2at6native12_GLOBAL__N_124unique_dim_cuda_templateIaEESt5tupleIJNSF_6TensorESK_SK_EERKSK_lbbbEUlllE0_EEPmJS9_EEE10hipError_tPvRmT3_T4_T5_T6_T7_T9_mT8_P12ihipStream_tbDpT10_ENKUlT_T0_E_clISt17integral_constantIbLb0EES1A_EEDaS15_S16_EUlS15_E_NS1_11comp_targetILNS1_3genE0ELNS1_11target_archE4294967295ELNS1_3gpuE0ELNS1_3repE0EEENS1_30default_config_static_selectorELNS0_4arch9wavefront6targetE1EEEvT1_
		.amdhsa_group_segment_fixed_size 5128
		.amdhsa_private_segment_fixed_size 0
		.amdhsa_kernarg_size 120
		.amdhsa_user_sgpr_count 2
		.amdhsa_user_sgpr_dispatch_ptr 0
		.amdhsa_user_sgpr_queue_ptr 0
		.amdhsa_user_sgpr_kernarg_segment_ptr 1
		.amdhsa_user_sgpr_dispatch_id 0
		.amdhsa_user_sgpr_kernarg_preload_length 0
		.amdhsa_user_sgpr_kernarg_preload_offset 0
		.amdhsa_user_sgpr_private_segment_size 0
		.amdhsa_uses_dynamic_stack 0
		.amdhsa_enable_private_segment 0
		.amdhsa_system_sgpr_workgroup_id_x 1
		.amdhsa_system_sgpr_workgroup_id_y 0
		.amdhsa_system_sgpr_workgroup_id_z 0
		.amdhsa_system_sgpr_workgroup_info 0
		.amdhsa_system_vgpr_workitem_id 0
		.amdhsa_next_free_vgpr 60
		.amdhsa_next_free_sgpr 46
		.amdhsa_accum_offset 60
		.amdhsa_reserve_vcc 1
		.amdhsa_float_round_mode_32 0
		.amdhsa_float_round_mode_16_64 0
		.amdhsa_float_denorm_mode_32 3
		.amdhsa_float_denorm_mode_16_64 3
		.amdhsa_dx10_clamp 1
		.amdhsa_ieee_mode 1
		.amdhsa_fp16_overflow 0
		.amdhsa_tg_split 0
		.amdhsa_exception_fp_ieee_invalid_op 0
		.amdhsa_exception_fp_denorm_src 0
		.amdhsa_exception_fp_ieee_div_zero 0
		.amdhsa_exception_fp_ieee_overflow 0
		.amdhsa_exception_fp_ieee_underflow 0
		.amdhsa_exception_fp_ieee_inexact 0
		.amdhsa_exception_int_div_zero 0
	.end_amdhsa_kernel
	.section	.text._ZN7rocprim17ROCPRIM_400000_NS6detail17trampoline_kernelINS0_14default_configENS1_25partition_config_selectorILNS1_17partition_subalgoE9EllbEEZZNS1_14partition_implILS5_9ELb0ES3_jPlS8_PNS0_10empty_typeENS0_5tupleIJS8_S9_EEENSB_IJS8_SA_EEENS0_18inequality_wrapperIZN2at6native12_GLOBAL__N_124unique_dim_cuda_templateIaEESt5tupleIJNSF_6TensorESK_SK_EERKSK_lbbbEUlllE0_EEPmJS9_EEE10hipError_tPvRmT3_T4_T5_T6_T7_T9_mT8_P12ihipStream_tbDpT10_ENKUlT_T0_E_clISt17integral_constantIbLb0EES1A_EEDaS15_S16_EUlS15_E_NS1_11comp_targetILNS1_3genE0ELNS1_11target_archE4294967295ELNS1_3gpuE0ELNS1_3repE0EEENS1_30default_config_static_selectorELNS0_4arch9wavefront6targetE1EEEvT1_,"axG",@progbits,_ZN7rocprim17ROCPRIM_400000_NS6detail17trampoline_kernelINS0_14default_configENS1_25partition_config_selectorILNS1_17partition_subalgoE9EllbEEZZNS1_14partition_implILS5_9ELb0ES3_jPlS8_PNS0_10empty_typeENS0_5tupleIJS8_S9_EEENSB_IJS8_SA_EEENS0_18inequality_wrapperIZN2at6native12_GLOBAL__N_124unique_dim_cuda_templateIaEESt5tupleIJNSF_6TensorESK_SK_EERKSK_lbbbEUlllE0_EEPmJS9_EEE10hipError_tPvRmT3_T4_T5_T6_T7_T9_mT8_P12ihipStream_tbDpT10_ENKUlT_T0_E_clISt17integral_constantIbLb0EES1A_EEDaS15_S16_EUlS15_E_NS1_11comp_targetILNS1_3genE0ELNS1_11target_archE4294967295ELNS1_3gpuE0ELNS1_3repE0EEENS1_30default_config_static_selectorELNS0_4arch9wavefront6targetE1EEEvT1_,comdat
.Lfunc_end351:
	.size	_ZN7rocprim17ROCPRIM_400000_NS6detail17trampoline_kernelINS0_14default_configENS1_25partition_config_selectorILNS1_17partition_subalgoE9EllbEEZZNS1_14partition_implILS5_9ELb0ES3_jPlS8_PNS0_10empty_typeENS0_5tupleIJS8_S9_EEENSB_IJS8_SA_EEENS0_18inequality_wrapperIZN2at6native12_GLOBAL__N_124unique_dim_cuda_templateIaEESt5tupleIJNSF_6TensorESK_SK_EERKSK_lbbbEUlllE0_EEPmJS9_EEE10hipError_tPvRmT3_T4_T5_T6_T7_T9_mT8_P12ihipStream_tbDpT10_ENKUlT_T0_E_clISt17integral_constantIbLb0EES1A_EEDaS15_S16_EUlS15_E_NS1_11comp_targetILNS1_3genE0ELNS1_11target_archE4294967295ELNS1_3gpuE0ELNS1_3repE0EEENS1_30default_config_static_selectorELNS0_4arch9wavefront6targetE1EEEvT1_, .Lfunc_end351-_ZN7rocprim17ROCPRIM_400000_NS6detail17trampoline_kernelINS0_14default_configENS1_25partition_config_selectorILNS1_17partition_subalgoE9EllbEEZZNS1_14partition_implILS5_9ELb0ES3_jPlS8_PNS0_10empty_typeENS0_5tupleIJS8_S9_EEENSB_IJS8_SA_EEENS0_18inequality_wrapperIZN2at6native12_GLOBAL__N_124unique_dim_cuda_templateIaEESt5tupleIJNSF_6TensorESK_SK_EERKSK_lbbbEUlllE0_EEPmJS9_EEE10hipError_tPvRmT3_T4_T5_T6_T7_T9_mT8_P12ihipStream_tbDpT10_ENKUlT_T0_E_clISt17integral_constantIbLb0EES1A_EEDaS15_S16_EUlS15_E_NS1_11comp_targetILNS1_3genE0ELNS1_11target_archE4294967295ELNS1_3gpuE0ELNS1_3repE0EEENS1_30default_config_static_selectorELNS0_4arch9wavefront6targetE1EEEvT1_
                                        ; -- End function
	.set _ZN7rocprim17ROCPRIM_400000_NS6detail17trampoline_kernelINS0_14default_configENS1_25partition_config_selectorILNS1_17partition_subalgoE9EllbEEZZNS1_14partition_implILS5_9ELb0ES3_jPlS8_PNS0_10empty_typeENS0_5tupleIJS8_S9_EEENSB_IJS8_SA_EEENS0_18inequality_wrapperIZN2at6native12_GLOBAL__N_124unique_dim_cuda_templateIaEESt5tupleIJNSF_6TensorESK_SK_EERKSK_lbbbEUlllE0_EEPmJS9_EEE10hipError_tPvRmT3_T4_T5_T6_T7_T9_mT8_P12ihipStream_tbDpT10_ENKUlT_T0_E_clISt17integral_constantIbLb0EES1A_EEDaS15_S16_EUlS15_E_NS1_11comp_targetILNS1_3genE0ELNS1_11target_archE4294967295ELNS1_3gpuE0ELNS1_3repE0EEENS1_30default_config_static_selectorELNS0_4arch9wavefront6targetE1EEEvT1_.num_vgpr, 60
	.set _ZN7rocprim17ROCPRIM_400000_NS6detail17trampoline_kernelINS0_14default_configENS1_25partition_config_selectorILNS1_17partition_subalgoE9EllbEEZZNS1_14partition_implILS5_9ELb0ES3_jPlS8_PNS0_10empty_typeENS0_5tupleIJS8_S9_EEENSB_IJS8_SA_EEENS0_18inequality_wrapperIZN2at6native12_GLOBAL__N_124unique_dim_cuda_templateIaEESt5tupleIJNSF_6TensorESK_SK_EERKSK_lbbbEUlllE0_EEPmJS9_EEE10hipError_tPvRmT3_T4_T5_T6_T7_T9_mT8_P12ihipStream_tbDpT10_ENKUlT_T0_E_clISt17integral_constantIbLb0EES1A_EEDaS15_S16_EUlS15_E_NS1_11comp_targetILNS1_3genE0ELNS1_11target_archE4294967295ELNS1_3gpuE0ELNS1_3repE0EEENS1_30default_config_static_selectorELNS0_4arch9wavefront6targetE1EEEvT1_.num_agpr, 0
	.set _ZN7rocprim17ROCPRIM_400000_NS6detail17trampoline_kernelINS0_14default_configENS1_25partition_config_selectorILNS1_17partition_subalgoE9EllbEEZZNS1_14partition_implILS5_9ELb0ES3_jPlS8_PNS0_10empty_typeENS0_5tupleIJS8_S9_EEENSB_IJS8_SA_EEENS0_18inequality_wrapperIZN2at6native12_GLOBAL__N_124unique_dim_cuda_templateIaEESt5tupleIJNSF_6TensorESK_SK_EERKSK_lbbbEUlllE0_EEPmJS9_EEE10hipError_tPvRmT3_T4_T5_T6_T7_T9_mT8_P12ihipStream_tbDpT10_ENKUlT_T0_E_clISt17integral_constantIbLb0EES1A_EEDaS15_S16_EUlS15_E_NS1_11comp_targetILNS1_3genE0ELNS1_11target_archE4294967295ELNS1_3gpuE0ELNS1_3repE0EEENS1_30default_config_static_selectorELNS0_4arch9wavefront6targetE1EEEvT1_.numbered_sgpr, 46
	.set _ZN7rocprim17ROCPRIM_400000_NS6detail17trampoline_kernelINS0_14default_configENS1_25partition_config_selectorILNS1_17partition_subalgoE9EllbEEZZNS1_14partition_implILS5_9ELb0ES3_jPlS8_PNS0_10empty_typeENS0_5tupleIJS8_S9_EEENSB_IJS8_SA_EEENS0_18inequality_wrapperIZN2at6native12_GLOBAL__N_124unique_dim_cuda_templateIaEESt5tupleIJNSF_6TensorESK_SK_EERKSK_lbbbEUlllE0_EEPmJS9_EEE10hipError_tPvRmT3_T4_T5_T6_T7_T9_mT8_P12ihipStream_tbDpT10_ENKUlT_T0_E_clISt17integral_constantIbLb0EES1A_EEDaS15_S16_EUlS15_E_NS1_11comp_targetILNS1_3genE0ELNS1_11target_archE4294967295ELNS1_3gpuE0ELNS1_3repE0EEENS1_30default_config_static_selectorELNS0_4arch9wavefront6targetE1EEEvT1_.num_named_barrier, 0
	.set _ZN7rocprim17ROCPRIM_400000_NS6detail17trampoline_kernelINS0_14default_configENS1_25partition_config_selectorILNS1_17partition_subalgoE9EllbEEZZNS1_14partition_implILS5_9ELb0ES3_jPlS8_PNS0_10empty_typeENS0_5tupleIJS8_S9_EEENSB_IJS8_SA_EEENS0_18inequality_wrapperIZN2at6native12_GLOBAL__N_124unique_dim_cuda_templateIaEESt5tupleIJNSF_6TensorESK_SK_EERKSK_lbbbEUlllE0_EEPmJS9_EEE10hipError_tPvRmT3_T4_T5_T6_T7_T9_mT8_P12ihipStream_tbDpT10_ENKUlT_T0_E_clISt17integral_constantIbLb0EES1A_EEDaS15_S16_EUlS15_E_NS1_11comp_targetILNS1_3genE0ELNS1_11target_archE4294967295ELNS1_3gpuE0ELNS1_3repE0EEENS1_30default_config_static_selectorELNS0_4arch9wavefront6targetE1EEEvT1_.private_seg_size, 0
	.set _ZN7rocprim17ROCPRIM_400000_NS6detail17trampoline_kernelINS0_14default_configENS1_25partition_config_selectorILNS1_17partition_subalgoE9EllbEEZZNS1_14partition_implILS5_9ELb0ES3_jPlS8_PNS0_10empty_typeENS0_5tupleIJS8_S9_EEENSB_IJS8_SA_EEENS0_18inequality_wrapperIZN2at6native12_GLOBAL__N_124unique_dim_cuda_templateIaEESt5tupleIJNSF_6TensorESK_SK_EERKSK_lbbbEUlllE0_EEPmJS9_EEE10hipError_tPvRmT3_T4_T5_T6_T7_T9_mT8_P12ihipStream_tbDpT10_ENKUlT_T0_E_clISt17integral_constantIbLb0EES1A_EEDaS15_S16_EUlS15_E_NS1_11comp_targetILNS1_3genE0ELNS1_11target_archE4294967295ELNS1_3gpuE0ELNS1_3repE0EEENS1_30default_config_static_selectorELNS0_4arch9wavefront6targetE1EEEvT1_.uses_vcc, 1
	.set _ZN7rocprim17ROCPRIM_400000_NS6detail17trampoline_kernelINS0_14default_configENS1_25partition_config_selectorILNS1_17partition_subalgoE9EllbEEZZNS1_14partition_implILS5_9ELb0ES3_jPlS8_PNS0_10empty_typeENS0_5tupleIJS8_S9_EEENSB_IJS8_SA_EEENS0_18inequality_wrapperIZN2at6native12_GLOBAL__N_124unique_dim_cuda_templateIaEESt5tupleIJNSF_6TensorESK_SK_EERKSK_lbbbEUlllE0_EEPmJS9_EEE10hipError_tPvRmT3_T4_T5_T6_T7_T9_mT8_P12ihipStream_tbDpT10_ENKUlT_T0_E_clISt17integral_constantIbLb0EES1A_EEDaS15_S16_EUlS15_E_NS1_11comp_targetILNS1_3genE0ELNS1_11target_archE4294967295ELNS1_3gpuE0ELNS1_3repE0EEENS1_30default_config_static_selectorELNS0_4arch9wavefront6targetE1EEEvT1_.uses_flat_scratch, 0
	.set _ZN7rocprim17ROCPRIM_400000_NS6detail17trampoline_kernelINS0_14default_configENS1_25partition_config_selectorILNS1_17partition_subalgoE9EllbEEZZNS1_14partition_implILS5_9ELb0ES3_jPlS8_PNS0_10empty_typeENS0_5tupleIJS8_S9_EEENSB_IJS8_SA_EEENS0_18inequality_wrapperIZN2at6native12_GLOBAL__N_124unique_dim_cuda_templateIaEESt5tupleIJNSF_6TensorESK_SK_EERKSK_lbbbEUlllE0_EEPmJS9_EEE10hipError_tPvRmT3_T4_T5_T6_T7_T9_mT8_P12ihipStream_tbDpT10_ENKUlT_T0_E_clISt17integral_constantIbLb0EES1A_EEDaS15_S16_EUlS15_E_NS1_11comp_targetILNS1_3genE0ELNS1_11target_archE4294967295ELNS1_3gpuE0ELNS1_3repE0EEENS1_30default_config_static_selectorELNS0_4arch9wavefront6targetE1EEEvT1_.has_dyn_sized_stack, 0
	.set _ZN7rocprim17ROCPRIM_400000_NS6detail17trampoline_kernelINS0_14default_configENS1_25partition_config_selectorILNS1_17partition_subalgoE9EllbEEZZNS1_14partition_implILS5_9ELb0ES3_jPlS8_PNS0_10empty_typeENS0_5tupleIJS8_S9_EEENSB_IJS8_SA_EEENS0_18inequality_wrapperIZN2at6native12_GLOBAL__N_124unique_dim_cuda_templateIaEESt5tupleIJNSF_6TensorESK_SK_EERKSK_lbbbEUlllE0_EEPmJS9_EEE10hipError_tPvRmT3_T4_T5_T6_T7_T9_mT8_P12ihipStream_tbDpT10_ENKUlT_T0_E_clISt17integral_constantIbLb0EES1A_EEDaS15_S16_EUlS15_E_NS1_11comp_targetILNS1_3genE0ELNS1_11target_archE4294967295ELNS1_3gpuE0ELNS1_3repE0EEENS1_30default_config_static_selectorELNS0_4arch9wavefront6targetE1EEEvT1_.has_recursion, 0
	.set _ZN7rocprim17ROCPRIM_400000_NS6detail17trampoline_kernelINS0_14default_configENS1_25partition_config_selectorILNS1_17partition_subalgoE9EllbEEZZNS1_14partition_implILS5_9ELb0ES3_jPlS8_PNS0_10empty_typeENS0_5tupleIJS8_S9_EEENSB_IJS8_SA_EEENS0_18inequality_wrapperIZN2at6native12_GLOBAL__N_124unique_dim_cuda_templateIaEESt5tupleIJNSF_6TensorESK_SK_EERKSK_lbbbEUlllE0_EEPmJS9_EEE10hipError_tPvRmT3_T4_T5_T6_T7_T9_mT8_P12ihipStream_tbDpT10_ENKUlT_T0_E_clISt17integral_constantIbLb0EES1A_EEDaS15_S16_EUlS15_E_NS1_11comp_targetILNS1_3genE0ELNS1_11target_archE4294967295ELNS1_3gpuE0ELNS1_3repE0EEENS1_30default_config_static_selectorELNS0_4arch9wavefront6targetE1EEEvT1_.has_indirect_call, 0
	.section	.AMDGPU.csdata,"",@progbits
; Kernel info:
; codeLenInByte = 9312
; TotalNumSgprs: 52
; NumVgprs: 60
; NumAgprs: 0
; TotalNumVgprs: 60
; ScratchSize: 0
; MemoryBound: 0
; FloatMode: 240
; IeeeMode: 1
; LDSByteSize: 5128 bytes/workgroup (compile time only)
; SGPRBlocks: 6
; VGPRBlocks: 7
; NumSGPRsForWavesPerEU: 52
; NumVGPRsForWavesPerEU: 60
; AccumOffset: 60
; Occupancy: 8
; WaveLimiterHint : 1
; COMPUTE_PGM_RSRC2:SCRATCH_EN: 0
; COMPUTE_PGM_RSRC2:USER_SGPR: 2
; COMPUTE_PGM_RSRC2:TRAP_HANDLER: 0
; COMPUTE_PGM_RSRC2:TGID_X_EN: 1
; COMPUTE_PGM_RSRC2:TGID_Y_EN: 0
; COMPUTE_PGM_RSRC2:TGID_Z_EN: 0
; COMPUTE_PGM_RSRC2:TIDIG_COMP_CNT: 0
; COMPUTE_PGM_RSRC3_GFX90A:ACCUM_OFFSET: 14
; COMPUTE_PGM_RSRC3_GFX90A:TG_SPLIT: 0
	.section	.text._ZN7rocprim17ROCPRIM_400000_NS6detail17trampoline_kernelINS0_14default_configENS1_25partition_config_selectorILNS1_17partition_subalgoE9EllbEEZZNS1_14partition_implILS5_9ELb0ES3_jPlS8_PNS0_10empty_typeENS0_5tupleIJS8_S9_EEENSB_IJS8_SA_EEENS0_18inequality_wrapperIZN2at6native12_GLOBAL__N_124unique_dim_cuda_templateIaEESt5tupleIJNSF_6TensorESK_SK_EERKSK_lbbbEUlllE0_EEPmJS9_EEE10hipError_tPvRmT3_T4_T5_T6_T7_T9_mT8_P12ihipStream_tbDpT10_ENKUlT_T0_E_clISt17integral_constantIbLb0EES1A_EEDaS15_S16_EUlS15_E_NS1_11comp_targetILNS1_3genE5ELNS1_11target_archE942ELNS1_3gpuE9ELNS1_3repE0EEENS1_30default_config_static_selectorELNS0_4arch9wavefront6targetE1EEEvT1_,"axG",@progbits,_ZN7rocprim17ROCPRIM_400000_NS6detail17trampoline_kernelINS0_14default_configENS1_25partition_config_selectorILNS1_17partition_subalgoE9EllbEEZZNS1_14partition_implILS5_9ELb0ES3_jPlS8_PNS0_10empty_typeENS0_5tupleIJS8_S9_EEENSB_IJS8_SA_EEENS0_18inequality_wrapperIZN2at6native12_GLOBAL__N_124unique_dim_cuda_templateIaEESt5tupleIJNSF_6TensorESK_SK_EERKSK_lbbbEUlllE0_EEPmJS9_EEE10hipError_tPvRmT3_T4_T5_T6_T7_T9_mT8_P12ihipStream_tbDpT10_ENKUlT_T0_E_clISt17integral_constantIbLb0EES1A_EEDaS15_S16_EUlS15_E_NS1_11comp_targetILNS1_3genE5ELNS1_11target_archE942ELNS1_3gpuE9ELNS1_3repE0EEENS1_30default_config_static_selectorELNS0_4arch9wavefront6targetE1EEEvT1_,comdat
	.globl	_ZN7rocprim17ROCPRIM_400000_NS6detail17trampoline_kernelINS0_14default_configENS1_25partition_config_selectorILNS1_17partition_subalgoE9EllbEEZZNS1_14partition_implILS5_9ELb0ES3_jPlS8_PNS0_10empty_typeENS0_5tupleIJS8_S9_EEENSB_IJS8_SA_EEENS0_18inequality_wrapperIZN2at6native12_GLOBAL__N_124unique_dim_cuda_templateIaEESt5tupleIJNSF_6TensorESK_SK_EERKSK_lbbbEUlllE0_EEPmJS9_EEE10hipError_tPvRmT3_T4_T5_T6_T7_T9_mT8_P12ihipStream_tbDpT10_ENKUlT_T0_E_clISt17integral_constantIbLb0EES1A_EEDaS15_S16_EUlS15_E_NS1_11comp_targetILNS1_3genE5ELNS1_11target_archE942ELNS1_3gpuE9ELNS1_3repE0EEENS1_30default_config_static_selectorELNS0_4arch9wavefront6targetE1EEEvT1_ ; -- Begin function _ZN7rocprim17ROCPRIM_400000_NS6detail17trampoline_kernelINS0_14default_configENS1_25partition_config_selectorILNS1_17partition_subalgoE9EllbEEZZNS1_14partition_implILS5_9ELb0ES3_jPlS8_PNS0_10empty_typeENS0_5tupleIJS8_S9_EEENSB_IJS8_SA_EEENS0_18inequality_wrapperIZN2at6native12_GLOBAL__N_124unique_dim_cuda_templateIaEESt5tupleIJNSF_6TensorESK_SK_EERKSK_lbbbEUlllE0_EEPmJS9_EEE10hipError_tPvRmT3_T4_T5_T6_T7_T9_mT8_P12ihipStream_tbDpT10_ENKUlT_T0_E_clISt17integral_constantIbLb0EES1A_EEDaS15_S16_EUlS15_E_NS1_11comp_targetILNS1_3genE5ELNS1_11target_archE942ELNS1_3gpuE9ELNS1_3repE0EEENS1_30default_config_static_selectorELNS0_4arch9wavefront6targetE1EEEvT1_
	.p2align	8
	.type	_ZN7rocprim17ROCPRIM_400000_NS6detail17trampoline_kernelINS0_14default_configENS1_25partition_config_selectorILNS1_17partition_subalgoE9EllbEEZZNS1_14partition_implILS5_9ELb0ES3_jPlS8_PNS0_10empty_typeENS0_5tupleIJS8_S9_EEENSB_IJS8_SA_EEENS0_18inequality_wrapperIZN2at6native12_GLOBAL__N_124unique_dim_cuda_templateIaEESt5tupleIJNSF_6TensorESK_SK_EERKSK_lbbbEUlllE0_EEPmJS9_EEE10hipError_tPvRmT3_T4_T5_T6_T7_T9_mT8_P12ihipStream_tbDpT10_ENKUlT_T0_E_clISt17integral_constantIbLb0EES1A_EEDaS15_S16_EUlS15_E_NS1_11comp_targetILNS1_3genE5ELNS1_11target_archE942ELNS1_3gpuE9ELNS1_3repE0EEENS1_30default_config_static_selectorELNS0_4arch9wavefront6targetE1EEEvT1_,@function
_ZN7rocprim17ROCPRIM_400000_NS6detail17trampoline_kernelINS0_14default_configENS1_25partition_config_selectorILNS1_17partition_subalgoE9EllbEEZZNS1_14partition_implILS5_9ELb0ES3_jPlS8_PNS0_10empty_typeENS0_5tupleIJS8_S9_EEENSB_IJS8_SA_EEENS0_18inequality_wrapperIZN2at6native12_GLOBAL__N_124unique_dim_cuda_templateIaEESt5tupleIJNSF_6TensorESK_SK_EERKSK_lbbbEUlllE0_EEPmJS9_EEE10hipError_tPvRmT3_T4_T5_T6_T7_T9_mT8_P12ihipStream_tbDpT10_ENKUlT_T0_E_clISt17integral_constantIbLb0EES1A_EEDaS15_S16_EUlS15_E_NS1_11comp_targetILNS1_3genE5ELNS1_11target_archE942ELNS1_3gpuE9ELNS1_3repE0EEENS1_30default_config_static_selectorELNS0_4arch9wavefront6targetE1EEEvT1_: ; @_ZN7rocprim17ROCPRIM_400000_NS6detail17trampoline_kernelINS0_14default_configENS1_25partition_config_selectorILNS1_17partition_subalgoE9EllbEEZZNS1_14partition_implILS5_9ELb0ES3_jPlS8_PNS0_10empty_typeENS0_5tupleIJS8_S9_EEENSB_IJS8_SA_EEENS0_18inequality_wrapperIZN2at6native12_GLOBAL__N_124unique_dim_cuda_templateIaEESt5tupleIJNSF_6TensorESK_SK_EERKSK_lbbbEUlllE0_EEPmJS9_EEE10hipError_tPvRmT3_T4_T5_T6_T7_T9_mT8_P12ihipStream_tbDpT10_ENKUlT_T0_E_clISt17integral_constantIbLb0EES1A_EEDaS15_S16_EUlS15_E_NS1_11comp_targetILNS1_3genE5ELNS1_11target_archE942ELNS1_3gpuE9ELNS1_3repE0EEENS1_30default_config_static_selectorELNS0_4arch9wavefront6targetE1EEEvT1_
; %bb.0:
	.section	.rodata,"a",@progbits
	.p2align	6, 0x0
	.amdhsa_kernel _ZN7rocprim17ROCPRIM_400000_NS6detail17trampoline_kernelINS0_14default_configENS1_25partition_config_selectorILNS1_17partition_subalgoE9EllbEEZZNS1_14partition_implILS5_9ELb0ES3_jPlS8_PNS0_10empty_typeENS0_5tupleIJS8_S9_EEENSB_IJS8_SA_EEENS0_18inequality_wrapperIZN2at6native12_GLOBAL__N_124unique_dim_cuda_templateIaEESt5tupleIJNSF_6TensorESK_SK_EERKSK_lbbbEUlllE0_EEPmJS9_EEE10hipError_tPvRmT3_T4_T5_T6_T7_T9_mT8_P12ihipStream_tbDpT10_ENKUlT_T0_E_clISt17integral_constantIbLb0EES1A_EEDaS15_S16_EUlS15_E_NS1_11comp_targetILNS1_3genE5ELNS1_11target_archE942ELNS1_3gpuE9ELNS1_3repE0EEENS1_30default_config_static_selectorELNS0_4arch9wavefront6targetE1EEEvT1_
		.amdhsa_group_segment_fixed_size 0
		.amdhsa_private_segment_fixed_size 0
		.amdhsa_kernarg_size 120
		.amdhsa_user_sgpr_count 2
		.amdhsa_user_sgpr_dispatch_ptr 0
		.amdhsa_user_sgpr_queue_ptr 0
		.amdhsa_user_sgpr_kernarg_segment_ptr 1
		.amdhsa_user_sgpr_dispatch_id 0
		.amdhsa_user_sgpr_kernarg_preload_length 0
		.amdhsa_user_sgpr_kernarg_preload_offset 0
		.amdhsa_user_sgpr_private_segment_size 0
		.amdhsa_uses_dynamic_stack 0
		.amdhsa_enable_private_segment 0
		.amdhsa_system_sgpr_workgroup_id_x 1
		.amdhsa_system_sgpr_workgroup_id_y 0
		.amdhsa_system_sgpr_workgroup_id_z 0
		.amdhsa_system_sgpr_workgroup_info 0
		.amdhsa_system_vgpr_workitem_id 0
		.amdhsa_next_free_vgpr 1
		.amdhsa_next_free_sgpr 0
		.amdhsa_accum_offset 4
		.amdhsa_reserve_vcc 0
		.amdhsa_float_round_mode_32 0
		.amdhsa_float_round_mode_16_64 0
		.amdhsa_float_denorm_mode_32 3
		.amdhsa_float_denorm_mode_16_64 3
		.amdhsa_dx10_clamp 1
		.amdhsa_ieee_mode 1
		.amdhsa_fp16_overflow 0
		.amdhsa_tg_split 0
		.amdhsa_exception_fp_ieee_invalid_op 0
		.amdhsa_exception_fp_denorm_src 0
		.amdhsa_exception_fp_ieee_div_zero 0
		.amdhsa_exception_fp_ieee_overflow 0
		.amdhsa_exception_fp_ieee_underflow 0
		.amdhsa_exception_fp_ieee_inexact 0
		.amdhsa_exception_int_div_zero 0
	.end_amdhsa_kernel
	.section	.text._ZN7rocprim17ROCPRIM_400000_NS6detail17trampoline_kernelINS0_14default_configENS1_25partition_config_selectorILNS1_17partition_subalgoE9EllbEEZZNS1_14partition_implILS5_9ELb0ES3_jPlS8_PNS0_10empty_typeENS0_5tupleIJS8_S9_EEENSB_IJS8_SA_EEENS0_18inequality_wrapperIZN2at6native12_GLOBAL__N_124unique_dim_cuda_templateIaEESt5tupleIJNSF_6TensorESK_SK_EERKSK_lbbbEUlllE0_EEPmJS9_EEE10hipError_tPvRmT3_T4_T5_T6_T7_T9_mT8_P12ihipStream_tbDpT10_ENKUlT_T0_E_clISt17integral_constantIbLb0EES1A_EEDaS15_S16_EUlS15_E_NS1_11comp_targetILNS1_3genE5ELNS1_11target_archE942ELNS1_3gpuE9ELNS1_3repE0EEENS1_30default_config_static_selectorELNS0_4arch9wavefront6targetE1EEEvT1_,"axG",@progbits,_ZN7rocprim17ROCPRIM_400000_NS6detail17trampoline_kernelINS0_14default_configENS1_25partition_config_selectorILNS1_17partition_subalgoE9EllbEEZZNS1_14partition_implILS5_9ELb0ES3_jPlS8_PNS0_10empty_typeENS0_5tupleIJS8_S9_EEENSB_IJS8_SA_EEENS0_18inequality_wrapperIZN2at6native12_GLOBAL__N_124unique_dim_cuda_templateIaEESt5tupleIJNSF_6TensorESK_SK_EERKSK_lbbbEUlllE0_EEPmJS9_EEE10hipError_tPvRmT3_T4_T5_T6_T7_T9_mT8_P12ihipStream_tbDpT10_ENKUlT_T0_E_clISt17integral_constantIbLb0EES1A_EEDaS15_S16_EUlS15_E_NS1_11comp_targetILNS1_3genE5ELNS1_11target_archE942ELNS1_3gpuE9ELNS1_3repE0EEENS1_30default_config_static_selectorELNS0_4arch9wavefront6targetE1EEEvT1_,comdat
.Lfunc_end352:
	.size	_ZN7rocprim17ROCPRIM_400000_NS6detail17trampoline_kernelINS0_14default_configENS1_25partition_config_selectorILNS1_17partition_subalgoE9EllbEEZZNS1_14partition_implILS5_9ELb0ES3_jPlS8_PNS0_10empty_typeENS0_5tupleIJS8_S9_EEENSB_IJS8_SA_EEENS0_18inequality_wrapperIZN2at6native12_GLOBAL__N_124unique_dim_cuda_templateIaEESt5tupleIJNSF_6TensorESK_SK_EERKSK_lbbbEUlllE0_EEPmJS9_EEE10hipError_tPvRmT3_T4_T5_T6_T7_T9_mT8_P12ihipStream_tbDpT10_ENKUlT_T0_E_clISt17integral_constantIbLb0EES1A_EEDaS15_S16_EUlS15_E_NS1_11comp_targetILNS1_3genE5ELNS1_11target_archE942ELNS1_3gpuE9ELNS1_3repE0EEENS1_30default_config_static_selectorELNS0_4arch9wavefront6targetE1EEEvT1_, .Lfunc_end352-_ZN7rocprim17ROCPRIM_400000_NS6detail17trampoline_kernelINS0_14default_configENS1_25partition_config_selectorILNS1_17partition_subalgoE9EllbEEZZNS1_14partition_implILS5_9ELb0ES3_jPlS8_PNS0_10empty_typeENS0_5tupleIJS8_S9_EEENSB_IJS8_SA_EEENS0_18inequality_wrapperIZN2at6native12_GLOBAL__N_124unique_dim_cuda_templateIaEESt5tupleIJNSF_6TensorESK_SK_EERKSK_lbbbEUlllE0_EEPmJS9_EEE10hipError_tPvRmT3_T4_T5_T6_T7_T9_mT8_P12ihipStream_tbDpT10_ENKUlT_T0_E_clISt17integral_constantIbLb0EES1A_EEDaS15_S16_EUlS15_E_NS1_11comp_targetILNS1_3genE5ELNS1_11target_archE942ELNS1_3gpuE9ELNS1_3repE0EEENS1_30default_config_static_selectorELNS0_4arch9wavefront6targetE1EEEvT1_
                                        ; -- End function
	.set _ZN7rocprim17ROCPRIM_400000_NS6detail17trampoline_kernelINS0_14default_configENS1_25partition_config_selectorILNS1_17partition_subalgoE9EllbEEZZNS1_14partition_implILS5_9ELb0ES3_jPlS8_PNS0_10empty_typeENS0_5tupleIJS8_S9_EEENSB_IJS8_SA_EEENS0_18inequality_wrapperIZN2at6native12_GLOBAL__N_124unique_dim_cuda_templateIaEESt5tupleIJNSF_6TensorESK_SK_EERKSK_lbbbEUlllE0_EEPmJS9_EEE10hipError_tPvRmT3_T4_T5_T6_T7_T9_mT8_P12ihipStream_tbDpT10_ENKUlT_T0_E_clISt17integral_constantIbLb0EES1A_EEDaS15_S16_EUlS15_E_NS1_11comp_targetILNS1_3genE5ELNS1_11target_archE942ELNS1_3gpuE9ELNS1_3repE0EEENS1_30default_config_static_selectorELNS0_4arch9wavefront6targetE1EEEvT1_.num_vgpr, 0
	.set _ZN7rocprim17ROCPRIM_400000_NS6detail17trampoline_kernelINS0_14default_configENS1_25partition_config_selectorILNS1_17partition_subalgoE9EllbEEZZNS1_14partition_implILS5_9ELb0ES3_jPlS8_PNS0_10empty_typeENS0_5tupleIJS8_S9_EEENSB_IJS8_SA_EEENS0_18inequality_wrapperIZN2at6native12_GLOBAL__N_124unique_dim_cuda_templateIaEESt5tupleIJNSF_6TensorESK_SK_EERKSK_lbbbEUlllE0_EEPmJS9_EEE10hipError_tPvRmT3_T4_T5_T6_T7_T9_mT8_P12ihipStream_tbDpT10_ENKUlT_T0_E_clISt17integral_constantIbLb0EES1A_EEDaS15_S16_EUlS15_E_NS1_11comp_targetILNS1_3genE5ELNS1_11target_archE942ELNS1_3gpuE9ELNS1_3repE0EEENS1_30default_config_static_selectorELNS0_4arch9wavefront6targetE1EEEvT1_.num_agpr, 0
	.set _ZN7rocprim17ROCPRIM_400000_NS6detail17trampoline_kernelINS0_14default_configENS1_25partition_config_selectorILNS1_17partition_subalgoE9EllbEEZZNS1_14partition_implILS5_9ELb0ES3_jPlS8_PNS0_10empty_typeENS0_5tupleIJS8_S9_EEENSB_IJS8_SA_EEENS0_18inequality_wrapperIZN2at6native12_GLOBAL__N_124unique_dim_cuda_templateIaEESt5tupleIJNSF_6TensorESK_SK_EERKSK_lbbbEUlllE0_EEPmJS9_EEE10hipError_tPvRmT3_T4_T5_T6_T7_T9_mT8_P12ihipStream_tbDpT10_ENKUlT_T0_E_clISt17integral_constantIbLb0EES1A_EEDaS15_S16_EUlS15_E_NS1_11comp_targetILNS1_3genE5ELNS1_11target_archE942ELNS1_3gpuE9ELNS1_3repE0EEENS1_30default_config_static_selectorELNS0_4arch9wavefront6targetE1EEEvT1_.numbered_sgpr, 0
	.set _ZN7rocprim17ROCPRIM_400000_NS6detail17trampoline_kernelINS0_14default_configENS1_25partition_config_selectorILNS1_17partition_subalgoE9EllbEEZZNS1_14partition_implILS5_9ELb0ES3_jPlS8_PNS0_10empty_typeENS0_5tupleIJS8_S9_EEENSB_IJS8_SA_EEENS0_18inequality_wrapperIZN2at6native12_GLOBAL__N_124unique_dim_cuda_templateIaEESt5tupleIJNSF_6TensorESK_SK_EERKSK_lbbbEUlllE0_EEPmJS9_EEE10hipError_tPvRmT3_T4_T5_T6_T7_T9_mT8_P12ihipStream_tbDpT10_ENKUlT_T0_E_clISt17integral_constantIbLb0EES1A_EEDaS15_S16_EUlS15_E_NS1_11comp_targetILNS1_3genE5ELNS1_11target_archE942ELNS1_3gpuE9ELNS1_3repE0EEENS1_30default_config_static_selectorELNS0_4arch9wavefront6targetE1EEEvT1_.num_named_barrier, 0
	.set _ZN7rocprim17ROCPRIM_400000_NS6detail17trampoline_kernelINS0_14default_configENS1_25partition_config_selectorILNS1_17partition_subalgoE9EllbEEZZNS1_14partition_implILS5_9ELb0ES3_jPlS8_PNS0_10empty_typeENS0_5tupleIJS8_S9_EEENSB_IJS8_SA_EEENS0_18inequality_wrapperIZN2at6native12_GLOBAL__N_124unique_dim_cuda_templateIaEESt5tupleIJNSF_6TensorESK_SK_EERKSK_lbbbEUlllE0_EEPmJS9_EEE10hipError_tPvRmT3_T4_T5_T6_T7_T9_mT8_P12ihipStream_tbDpT10_ENKUlT_T0_E_clISt17integral_constantIbLb0EES1A_EEDaS15_S16_EUlS15_E_NS1_11comp_targetILNS1_3genE5ELNS1_11target_archE942ELNS1_3gpuE9ELNS1_3repE0EEENS1_30default_config_static_selectorELNS0_4arch9wavefront6targetE1EEEvT1_.private_seg_size, 0
	.set _ZN7rocprim17ROCPRIM_400000_NS6detail17trampoline_kernelINS0_14default_configENS1_25partition_config_selectorILNS1_17partition_subalgoE9EllbEEZZNS1_14partition_implILS5_9ELb0ES3_jPlS8_PNS0_10empty_typeENS0_5tupleIJS8_S9_EEENSB_IJS8_SA_EEENS0_18inequality_wrapperIZN2at6native12_GLOBAL__N_124unique_dim_cuda_templateIaEESt5tupleIJNSF_6TensorESK_SK_EERKSK_lbbbEUlllE0_EEPmJS9_EEE10hipError_tPvRmT3_T4_T5_T6_T7_T9_mT8_P12ihipStream_tbDpT10_ENKUlT_T0_E_clISt17integral_constantIbLb0EES1A_EEDaS15_S16_EUlS15_E_NS1_11comp_targetILNS1_3genE5ELNS1_11target_archE942ELNS1_3gpuE9ELNS1_3repE0EEENS1_30default_config_static_selectorELNS0_4arch9wavefront6targetE1EEEvT1_.uses_vcc, 0
	.set _ZN7rocprim17ROCPRIM_400000_NS6detail17trampoline_kernelINS0_14default_configENS1_25partition_config_selectorILNS1_17partition_subalgoE9EllbEEZZNS1_14partition_implILS5_9ELb0ES3_jPlS8_PNS0_10empty_typeENS0_5tupleIJS8_S9_EEENSB_IJS8_SA_EEENS0_18inequality_wrapperIZN2at6native12_GLOBAL__N_124unique_dim_cuda_templateIaEESt5tupleIJNSF_6TensorESK_SK_EERKSK_lbbbEUlllE0_EEPmJS9_EEE10hipError_tPvRmT3_T4_T5_T6_T7_T9_mT8_P12ihipStream_tbDpT10_ENKUlT_T0_E_clISt17integral_constantIbLb0EES1A_EEDaS15_S16_EUlS15_E_NS1_11comp_targetILNS1_3genE5ELNS1_11target_archE942ELNS1_3gpuE9ELNS1_3repE0EEENS1_30default_config_static_selectorELNS0_4arch9wavefront6targetE1EEEvT1_.uses_flat_scratch, 0
	.set _ZN7rocprim17ROCPRIM_400000_NS6detail17trampoline_kernelINS0_14default_configENS1_25partition_config_selectorILNS1_17partition_subalgoE9EllbEEZZNS1_14partition_implILS5_9ELb0ES3_jPlS8_PNS0_10empty_typeENS0_5tupleIJS8_S9_EEENSB_IJS8_SA_EEENS0_18inequality_wrapperIZN2at6native12_GLOBAL__N_124unique_dim_cuda_templateIaEESt5tupleIJNSF_6TensorESK_SK_EERKSK_lbbbEUlllE0_EEPmJS9_EEE10hipError_tPvRmT3_T4_T5_T6_T7_T9_mT8_P12ihipStream_tbDpT10_ENKUlT_T0_E_clISt17integral_constantIbLb0EES1A_EEDaS15_S16_EUlS15_E_NS1_11comp_targetILNS1_3genE5ELNS1_11target_archE942ELNS1_3gpuE9ELNS1_3repE0EEENS1_30default_config_static_selectorELNS0_4arch9wavefront6targetE1EEEvT1_.has_dyn_sized_stack, 0
	.set _ZN7rocprim17ROCPRIM_400000_NS6detail17trampoline_kernelINS0_14default_configENS1_25partition_config_selectorILNS1_17partition_subalgoE9EllbEEZZNS1_14partition_implILS5_9ELb0ES3_jPlS8_PNS0_10empty_typeENS0_5tupleIJS8_S9_EEENSB_IJS8_SA_EEENS0_18inequality_wrapperIZN2at6native12_GLOBAL__N_124unique_dim_cuda_templateIaEESt5tupleIJNSF_6TensorESK_SK_EERKSK_lbbbEUlllE0_EEPmJS9_EEE10hipError_tPvRmT3_T4_T5_T6_T7_T9_mT8_P12ihipStream_tbDpT10_ENKUlT_T0_E_clISt17integral_constantIbLb0EES1A_EEDaS15_S16_EUlS15_E_NS1_11comp_targetILNS1_3genE5ELNS1_11target_archE942ELNS1_3gpuE9ELNS1_3repE0EEENS1_30default_config_static_selectorELNS0_4arch9wavefront6targetE1EEEvT1_.has_recursion, 0
	.set _ZN7rocprim17ROCPRIM_400000_NS6detail17trampoline_kernelINS0_14default_configENS1_25partition_config_selectorILNS1_17partition_subalgoE9EllbEEZZNS1_14partition_implILS5_9ELb0ES3_jPlS8_PNS0_10empty_typeENS0_5tupleIJS8_S9_EEENSB_IJS8_SA_EEENS0_18inequality_wrapperIZN2at6native12_GLOBAL__N_124unique_dim_cuda_templateIaEESt5tupleIJNSF_6TensorESK_SK_EERKSK_lbbbEUlllE0_EEPmJS9_EEE10hipError_tPvRmT3_T4_T5_T6_T7_T9_mT8_P12ihipStream_tbDpT10_ENKUlT_T0_E_clISt17integral_constantIbLb0EES1A_EEDaS15_S16_EUlS15_E_NS1_11comp_targetILNS1_3genE5ELNS1_11target_archE942ELNS1_3gpuE9ELNS1_3repE0EEENS1_30default_config_static_selectorELNS0_4arch9wavefront6targetE1EEEvT1_.has_indirect_call, 0
	.section	.AMDGPU.csdata,"",@progbits
; Kernel info:
; codeLenInByte = 0
; TotalNumSgprs: 6
; NumVgprs: 0
; NumAgprs: 0
; TotalNumVgprs: 0
; ScratchSize: 0
; MemoryBound: 0
; FloatMode: 240
; IeeeMode: 1
; LDSByteSize: 0 bytes/workgroup (compile time only)
; SGPRBlocks: 0
; VGPRBlocks: 0
; NumSGPRsForWavesPerEU: 6
; NumVGPRsForWavesPerEU: 1
; AccumOffset: 4
; Occupancy: 8
; WaveLimiterHint : 0
; COMPUTE_PGM_RSRC2:SCRATCH_EN: 0
; COMPUTE_PGM_RSRC2:USER_SGPR: 2
; COMPUTE_PGM_RSRC2:TRAP_HANDLER: 0
; COMPUTE_PGM_RSRC2:TGID_X_EN: 1
; COMPUTE_PGM_RSRC2:TGID_Y_EN: 0
; COMPUTE_PGM_RSRC2:TGID_Z_EN: 0
; COMPUTE_PGM_RSRC2:TIDIG_COMP_CNT: 0
; COMPUTE_PGM_RSRC3_GFX90A:ACCUM_OFFSET: 0
; COMPUTE_PGM_RSRC3_GFX90A:TG_SPLIT: 0
	.section	.text._ZN7rocprim17ROCPRIM_400000_NS6detail17trampoline_kernelINS0_14default_configENS1_25partition_config_selectorILNS1_17partition_subalgoE9EllbEEZZNS1_14partition_implILS5_9ELb0ES3_jPlS8_PNS0_10empty_typeENS0_5tupleIJS8_S9_EEENSB_IJS8_SA_EEENS0_18inequality_wrapperIZN2at6native12_GLOBAL__N_124unique_dim_cuda_templateIaEESt5tupleIJNSF_6TensorESK_SK_EERKSK_lbbbEUlllE0_EEPmJS9_EEE10hipError_tPvRmT3_T4_T5_T6_T7_T9_mT8_P12ihipStream_tbDpT10_ENKUlT_T0_E_clISt17integral_constantIbLb0EES1A_EEDaS15_S16_EUlS15_E_NS1_11comp_targetILNS1_3genE4ELNS1_11target_archE910ELNS1_3gpuE8ELNS1_3repE0EEENS1_30default_config_static_selectorELNS0_4arch9wavefront6targetE1EEEvT1_,"axG",@progbits,_ZN7rocprim17ROCPRIM_400000_NS6detail17trampoline_kernelINS0_14default_configENS1_25partition_config_selectorILNS1_17partition_subalgoE9EllbEEZZNS1_14partition_implILS5_9ELb0ES3_jPlS8_PNS0_10empty_typeENS0_5tupleIJS8_S9_EEENSB_IJS8_SA_EEENS0_18inequality_wrapperIZN2at6native12_GLOBAL__N_124unique_dim_cuda_templateIaEESt5tupleIJNSF_6TensorESK_SK_EERKSK_lbbbEUlllE0_EEPmJS9_EEE10hipError_tPvRmT3_T4_T5_T6_T7_T9_mT8_P12ihipStream_tbDpT10_ENKUlT_T0_E_clISt17integral_constantIbLb0EES1A_EEDaS15_S16_EUlS15_E_NS1_11comp_targetILNS1_3genE4ELNS1_11target_archE910ELNS1_3gpuE8ELNS1_3repE0EEENS1_30default_config_static_selectorELNS0_4arch9wavefront6targetE1EEEvT1_,comdat
	.globl	_ZN7rocprim17ROCPRIM_400000_NS6detail17trampoline_kernelINS0_14default_configENS1_25partition_config_selectorILNS1_17partition_subalgoE9EllbEEZZNS1_14partition_implILS5_9ELb0ES3_jPlS8_PNS0_10empty_typeENS0_5tupleIJS8_S9_EEENSB_IJS8_SA_EEENS0_18inequality_wrapperIZN2at6native12_GLOBAL__N_124unique_dim_cuda_templateIaEESt5tupleIJNSF_6TensorESK_SK_EERKSK_lbbbEUlllE0_EEPmJS9_EEE10hipError_tPvRmT3_T4_T5_T6_T7_T9_mT8_P12ihipStream_tbDpT10_ENKUlT_T0_E_clISt17integral_constantIbLb0EES1A_EEDaS15_S16_EUlS15_E_NS1_11comp_targetILNS1_3genE4ELNS1_11target_archE910ELNS1_3gpuE8ELNS1_3repE0EEENS1_30default_config_static_selectorELNS0_4arch9wavefront6targetE1EEEvT1_ ; -- Begin function _ZN7rocprim17ROCPRIM_400000_NS6detail17trampoline_kernelINS0_14default_configENS1_25partition_config_selectorILNS1_17partition_subalgoE9EllbEEZZNS1_14partition_implILS5_9ELb0ES3_jPlS8_PNS0_10empty_typeENS0_5tupleIJS8_S9_EEENSB_IJS8_SA_EEENS0_18inequality_wrapperIZN2at6native12_GLOBAL__N_124unique_dim_cuda_templateIaEESt5tupleIJNSF_6TensorESK_SK_EERKSK_lbbbEUlllE0_EEPmJS9_EEE10hipError_tPvRmT3_T4_T5_T6_T7_T9_mT8_P12ihipStream_tbDpT10_ENKUlT_T0_E_clISt17integral_constantIbLb0EES1A_EEDaS15_S16_EUlS15_E_NS1_11comp_targetILNS1_3genE4ELNS1_11target_archE910ELNS1_3gpuE8ELNS1_3repE0EEENS1_30default_config_static_selectorELNS0_4arch9wavefront6targetE1EEEvT1_
	.p2align	8
	.type	_ZN7rocprim17ROCPRIM_400000_NS6detail17trampoline_kernelINS0_14default_configENS1_25partition_config_selectorILNS1_17partition_subalgoE9EllbEEZZNS1_14partition_implILS5_9ELb0ES3_jPlS8_PNS0_10empty_typeENS0_5tupleIJS8_S9_EEENSB_IJS8_SA_EEENS0_18inequality_wrapperIZN2at6native12_GLOBAL__N_124unique_dim_cuda_templateIaEESt5tupleIJNSF_6TensorESK_SK_EERKSK_lbbbEUlllE0_EEPmJS9_EEE10hipError_tPvRmT3_T4_T5_T6_T7_T9_mT8_P12ihipStream_tbDpT10_ENKUlT_T0_E_clISt17integral_constantIbLb0EES1A_EEDaS15_S16_EUlS15_E_NS1_11comp_targetILNS1_3genE4ELNS1_11target_archE910ELNS1_3gpuE8ELNS1_3repE0EEENS1_30default_config_static_selectorELNS0_4arch9wavefront6targetE1EEEvT1_,@function
_ZN7rocprim17ROCPRIM_400000_NS6detail17trampoline_kernelINS0_14default_configENS1_25partition_config_selectorILNS1_17partition_subalgoE9EllbEEZZNS1_14partition_implILS5_9ELb0ES3_jPlS8_PNS0_10empty_typeENS0_5tupleIJS8_S9_EEENSB_IJS8_SA_EEENS0_18inequality_wrapperIZN2at6native12_GLOBAL__N_124unique_dim_cuda_templateIaEESt5tupleIJNSF_6TensorESK_SK_EERKSK_lbbbEUlllE0_EEPmJS9_EEE10hipError_tPvRmT3_T4_T5_T6_T7_T9_mT8_P12ihipStream_tbDpT10_ENKUlT_T0_E_clISt17integral_constantIbLb0EES1A_EEDaS15_S16_EUlS15_E_NS1_11comp_targetILNS1_3genE4ELNS1_11target_archE910ELNS1_3gpuE8ELNS1_3repE0EEENS1_30default_config_static_selectorELNS0_4arch9wavefront6targetE1EEEvT1_: ; @_ZN7rocprim17ROCPRIM_400000_NS6detail17trampoline_kernelINS0_14default_configENS1_25partition_config_selectorILNS1_17partition_subalgoE9EllbEEZZNS1_14partition_implILS5_9ELb0ES3_jPlS8_PNS0_10empty_typeENS0_5tupleIJS8_S9_EEENSB_IJS8_SA_EEENS0_18inequality_wrapperIZN2at6native12_GLOBAL__N_124unique_dim_cuda_templateIaEESt5tupleIJNSF_6TensorESK_SK_EERKSK_lbbbEUlllE0_EEPmJS9_EEE10hipError_tPvRmT3_T4_T5_T6_T7_T9_mT8_P12ihipStream_tbDpT10_ENKUlT_T0_E_clISt17integral_constantIbLb0EES1A_EEDaS15_S16_EUlS15_E_NS1_11comp_targetILNS1_3genE4ELNS1_11target_archE910ELNS1_3gpuE8ELNS1_3repE0EEENS1_30default_config_static_selectorELNS0_4arch9wavefront6targetE1EEEvT1_
; %bb.0:
	.section	.rodata,"a",@progbits
	.p2align	6, 0x0
	.amdhsa_kernel _ZN7rocprim17ROCPRIM_400000_NS6detail17trampoline_kernelINS0_14default_configENS1_25partition_config_selectorILNS1_17partition_subalgoE9EllbEEZZNS1_14partition_implILS5_9ELb0ES3_jPlS8_PNS0_10empty_typeENS0_5tupleIJS8_S9_EEENSB_IJS8_SA_EEENS0_18inequality_wrapperIZN2at6native12_GLOBAL__N_124unique_dim_cuda_templateIaEESt5tupleIJNSF_6TensorESK_SK_EERKSK_lbbbEUlllE0_EEPmJS9_EEE10hipError_tPvRmT3_T4_T5_T6_T7_T9_mT8_P12ihipStream_tbDpT10_ENKUlT_T0_E_clISt17integral_constantIbLb0EES1A_EEDaS15_S16_EUlS15_E_NS1_11comp_targetILNS1_3genE4ELNS1_11target_archE910ELNS1_3gpuE8ELNS1_3repE0EEENS1_30default_config_static_selectorELNS0_4arch9wavefront6targetE1EEEvT1_
		.amdhsa_group_segment_fixed_size 0
		.amdhsa_private_segment_fixed_size 0
		.amdhsa_kernarg_size 120
		.amdhsa_user_sgpr_count 2
		.amdhsa_user_sgpr_dispatch_ptr 0
		.amdhsa_user_sgpr_queue_ptr 0
		.amdhsa_user_sgpr_kernarg_segment_ptr 1
		.amdhsa_user_sgpr_dispatch_id 0
		.amdhsa_user_sgpr_kernarg_preload_length 0
		.amdhsa_user_sgpr_kernarg_preload_offset 0
		.amdhsa_user_sgpr_private_segment_size 0
		.amdhsa_uses_dynamic_stack 0
		.amdhsa_enable_private_segment 0
		.amdhsa_system_sgpr_workgroup_id_x 1
		.amdhsa_system_sgpr_workgroup_id_y 0
		.amdhsa_system_sgpr_workgroup_id_z 0
		.amdhsa_system_sgpr_workgroup_info 0
		.amdhsa_system_vgpr_workitem_id 0
		.amdhsa_next_free_vgpr 1
		.amdhsa_next_free_sgpr 0
		.amdhsa_accum_offset 4
		.amdhsa_reserve_vcc 0
		.amdhsa_float_round_mode_32 0
		.amdhsa_float_round_mode_16_64 0
		.amdhsa_float_denorm_mode_32 3
		.amdhsa_float_denorm_mode_16_64 3
		.amdhsa_dx10_clamp 1
		.amdhsa_ieee_mode 1
		.amdhsa_fp16_overflow 0
		.amdhsa_tg_split 0
		.amdhsa_exception_fp_ieee_invalid_op 0
		.amdhsa_exception_fp_denorm_src 0
		.amdhsa_exception_fp_ieee_div_zero 0
		.amdhsa_exception_fp_ieee_overflow 0
		.amdhsa_exception_fp_ieee_underflow 0
		.amdhsa_exception_fp_ieee_inexact 0
		.amdhsa_exception_int_div_zero 0
	.end_amdhsa_kernel
	.section	.text._ZN7rocprim17ROCPRIM_400000_NS6detail17trampoline_kernelINS0_14default_configENS1_25partition_config_selectorILNS1_17partition_subalgoE9EllbEEZZNS1_14partition_implILS5_9ELb0ES3_jPlS8_PNS0_10empty_typeENS0_5tupleIJS8_S9_EEENSB_IJS8_SA_EEENS0_18inequality_wrapperIZN2at6native12_GLOBAL__N_124unique_dim_cuda_templateIaEESt5tupleIJNSF_6TensorESK_SK_EERKSK_lbbbEUlllE0_EEPmJS9_EEE10hipError_tPvRmT3_T4_T5_T6_T7_T9_mT8_P12ihipStream_tbDpT10_ENKUlT_T0_E_clISt17integral_constantIbLb0EES1A_EEDaS15_S16_EUlS15_E_NS1_11comp_targetILNS1_3genE4ELNS1_11target_archE910ELNS1_3gpuE8ELNS1_3repE0EEENS1_30default_config_static_selectorELNS0_4arch9wavefront6targetE1EEEvT1_,"axG",@progbits,_ZN7rocprim17ROCPRIM_400000_NS6detail17trampoline_kernelINS0_14default_configENS1_25partition_config_selectorILNS1_17partition_subalgoE9EllbEEZZNS1_14partition_implILS5_9ELb0ES3_jPlS8_PNS0_10empty_typeENS0_5tupleIJS8_S9_EEENSB_IJS8_SA_EEENS0_18inequality_wrapperIZN2at6native12_GLOBAL__N_124unique_dim_cuda_templateIaEESt5tupleIJNSF_6TensorESK_SK_EERKSK_lbbbEUlllE0_EEPmJS9_EEE10hipError_tPvRmT3_T4_T5_T6_T7_T9_mT8_P12ihipStream_tbDpT10_ENKUlT_T0_E_clISt17integral_constantIbLb0EES1A_EEDaS15_S16_EUlS15_E_NS1_11comp_targetILNS1_3genE4ELNS1_11target_archE910ELNS1_3gpuE8ELNS1_3repE0EEENS1_30default_config_static_selectorELNS0_4arch9wavefront6targetE1EEEvT1_,comdat
.Lfunc_end353:
	.size	_ZN7rocprim17ROCPRIM_400000_NS6detail17trampoline_kernelINS0_14default_configENS1_25partition_config_selectorILNS1_17partition_subalgoE9EllbEEZZNS1_14partition_implILS5_9ELb0ES3_jPlS8_PNS0_10empty_typeENS0_5tupleIJS8_S9_EEENSB_IJS8_SA_EEENS0_18inequality_wrapperIZN2at6native12_GLOBAL__N_124unique_dim_cuda_templateIaEESt5tupleIJNSF_6TensorESK_SK_EERKSK_lbbbEUlllE0_EEPmJS9_EEE10hipError_tPvRmT3_T4_T5_T6_T7_T9_mT8_P12ihipStream_tbDpT10_ENKUlT_T0_E_clISt17integral_constantIbLb0EES1A_EEDaS15_S16_EUlS15_E_NS1_11comp_targetILNS1_3genE4ELNS1_11target_archE910ELNS1_3gpuE8ELNS1_3repE0EEENS1_30default_config_static_selectorELNS0_4arch9wavefront6targetE1EEEvT1_, .Lfunc_end353-_ZN7rocprim17ROCPRIM_400000_NS6detail17trampoline_kernelINS0_14default_configENS1_25partition_config_selectorILNS1_17partition_subalgoE9EllbEEZZNS1_14partition_implILS5_9ELb0ES3_jPlS8_PNS0_10empty_typeENS0_5tupleIJS8_S9_EEENSB_IJS8_SA_EEENS0_18inequality_wrapperIZN2at6native12_GLOBAL__N_124unique_dim_cuda_templateIaEESt5tupleIJNSF_6TensorESK_SK_EERKSK_lbbbEUlllE0_EEPmJS9_EEE10hipError_tPvRmT3_T4_T5_T6_T7_T9_mT8_P12ihipStream_tbDpT10_ENKUlT_T0_E_clISt17integral_constantIbLb0EES1A_EEDaS15_S16_EUlS15_E_NS1_11comp_targetILNS1_3genE4ELNS1_11target_archE910ELNS1_3gpuE8ELNS1_3repE0EEENS1_30default_config_static_selectorELNS0_4arch9wavefront6targetE1EEEvT1_
                                        ; -- End function
	.set _ZN7rocprim17ROCPRIM_400000_NS6detail17trampoline_kernelINS0_14default_configENS1_25partition_config_selectorILNS1_17partition_subalgoE9EllbEEZZNS1_14partition_implILS5_9ELb0ES3_jPlS8_PNS0_10empty_typeENS0_5tupleIJS8_S9_EEENSB_IJS8_SA_EEENS0_18inequality_wrapperIZN2at6native12_GLOBAL__N_124unique_dim_cuda_templateIaEESt5tupleIJNSF_6TensorESK_SK_EERKSK_lbbbEUlllE0_EEPmJS9_EEE10hipError_tPvRmT3_T4_T5_T6_T7_T9_mT8_P12ihipStream_tbDpT10_ENKUlT_T0_E_clISt17integral_constantIbLb0EES1A_EEDaS15_S16_EUlS15_E_NS1_11comp_targetILNS1_3genE4ELNS1_11target_archE910ELNS1_3gpuE8ELNS1_3repE0EEENS1_30default_config_static_selectorELNS0_4arch9wavefront6targetE1EEEvT1_.num_vgpr, 0
	.set _ZN7rocprim17ROCPRIM_400000_NS6detail17trampoline_kernelINS0_14default_configENS1_25partition_config_selectorILNS1_17partition_subalgoE9EllbEEZZNS1_14partition_implILS5_9ELb0ES3_jPlS8_PNS0_10empty_typeENS0_5tupleIJS8_S9_EEENSB_IJS8_SA_EEENS0_18inequality_wrapperIZN2at6native12_GLOBAL__N_124unique_dim_cuda_templateIaEESt5tupleIJNSF_6TensorESK_SK_EERKSK_lbbbEUlllE0_EEPmJS9_EEE10hipError_tPvRmT3_T4_T5_T6_T7_T9_mT8_P12ihipStream_tbDpT10_ENKUlT_T0_E_clISt17integral_constantIbLb0EES1A_EEDaS15_S16_EUlS15_E_NS1_11comp_targetILNS1_3genE4ELNS1_11target_archE910ELNS1_3gpuE8ELNS1_3repE0EEENS1_30default_config_static_selectorELNS0_4arch9wavefront6targetE1EEEvT1_.num_agpr, 0
	.set _ZN7rocprim17ROCPRIM_400000_NS6detail17trampoline_kernelINS0_14default_configENS1_25partition_config_selectorILNS1_17partition_subalgoE9EllbEEZZNS1_14partition_implILS5_9ELb0ES3_jPlS8_PNS0_10empty_typeENS0_5tupleIJS8_S9_EEENSB_IJS8_SA_EEENS0_18inequality_wrapperIZN2at6native12_GLOBAL__N_124unique_dim_cuda_templateIaEESt5tupleIJNSF_6TensorESK_SK_EERKSK_lbbbEUlllE0_EEPmJS9_EEE10hipError_tPvRmT3_T4_T5_T6_T7_T9_mT8_P12ihipStream_tbDpT10_ENKUlT_T0_E_clISt17integral_constantIbLb0EES1A_EEDaS15_S16_EUlS15_E_NS1_11comp_targetILNS1_3genE4ELNS1_11target_archE910ELNS1_3gpuE8ELNS1_3repE0EEENS1_30default_config_static_selectorELNS0_4arch9wavefront6targetE1EEEvT1_.numbered_sgpr, 0
	.set _ZN7rocprim17ROCPRIM_400000_NS6detail17trampoline_kernelINS0_14default_configENS1_25partition_config_selectorILNS1_17partition_subalgoE9EllbEEZZNS1_14partition_implILS5_9ELb0ES3_jPlS8_PNS0_10empty_typeENS0_5tupleIJS8_S9_EEENSB_IJS8_SA_EEENS0_18inequality_wrapperIZN2at6native12_GLOBAL__N_124unique_dim_cuda_templateIaEESt5tupleIJNSF_6TensorESK_SK_EERKSK_lbbbEUlllE0_EEPmJS9_EEE10hipError_tPvRmT3_T4_T5_T6_T7_T9_mT8_P12ihipStream_tbDpT10_ENKUlT_T0_E_clISt17integral_constantIbLb0EES1A_EEDaS15_S16_EUlS15_E_NS1_11comp_targetILNS1_3genE4ELNS1_11target_archE910ELNS1_3gpuE8ELNS1_3repE0EEENS1_30default_config_static_selectorELNS0_4arch9wavefront6targetE1EEEvT1_.num_named_barrier, 0
	.set _ZN7rocprim17ROCPRIM_400000_NS6detail17trampoline_kernelINS0_14default_configENS1_25partition_config_selectorILNS1_17partition_subalgoE9EllbEEZZNS1_14partition_implILS5_9ELb0ES3_jPlS8_PNS0_10empty_typeENS0_5tupleIJS8_S9_EEENSB_IJS8_SA_EEENS0_18inequality_wrapperIZN2at6native12_GLOBAL__N_124unique_dim_cuda_templateIaEESt5tupleIJNSF_6TensorESK_SK_EERKSK_lbbbEUlllE0_EEPmJS9_EEE10hipError_tPvRmT3_T4_T5_T6_T7_T9_mT8_P12ihipStream_tbDpT10_ENKUlT_T0_E_clISt17integral_constantIbLb0EES1A_EEDaS15_S16_EUlS15_E_NS1_11comp_targetILNS1_3genE4ELNS1_11target_archE910ELNS1_3gpuE8ELNS1_3repE0EEENS1_30default_config_static_selectorELNS0_4arch9wavefront6targetE1EEEvT1_.private_seg_size, 0
	.set _ZN7rocprim17ROCPRIM_400000_NS6detail17trampoline_kernelINS0_14default_configENS1_25partition_config_selectorILNS1_17partition_subalgoE9EllbEEZZNS1_14partition_implILS5_9ELb0ES3_jPlS8_PNS0_10empty_typeENS0_5tupleIJS8_S9_EEENSB_IJS8_SA_EEENS0_18inequality_wrapperIZN2at6native12_GLOBAL__N_124unique_dim_cuda_templateIaEESt5tupleIJNSF_6TensorESK_SK_EERKSK_lbbbEUlllE0_EEPmJS9_EEE10hipError_tPvRmT3_T4_T5_T6_T7_T9_mT8_P12ihipStream_tbDpT10_ENKUlT_T0_E_clISt17integral_constantIbLb0EES1A_EEDaS15_S16_EUlS15_E_NS1_11comp_targetILNS1_3genE4ELNS1_11target_archE910ELNS1_3gpuE8ELNS1_3repE0EEENS1_30default_config_static_selectorELNS0_4arch9wavefront6targetE1EEEvT1_.uses_vcc, 0
	.set _ZN7rocprim17ROCPRIM_400000_NS6detail17trampoline_kernelINS0_14default_configENS1_25partition_config_selectorILNS1_17partition_subalgoE9EllbEEZZNS1_14partition_implILS5_9ELb0ES3_jPlS8_PNS0_10empty_typeENS0_5tupleIJS8_S9_EEENSB_IJS8_SA_EEENS0_18inequality_wrapperIZN2at6native12_GLOBAL__N_124unique_dim_cuda_templateIaEESt5tupleIJNSF_6TensorESK_SK_EERKSK_lbbbEUlllE0_EEPmJS9_EEE10hipError_tPvRmT3_T4_T5_T6_T7_T9_mT8_P12ihipStream_tbDpT10_ENKUlT_T0_E_clISt17integral_constantIbLb0EES1A_EEDaS15_S16_EUlS15_E_NS1_11comp_targetILNS1_3genE4ELNS1_11target_archE910ELNS1_3gpuE8ELNS1_3repE0EEENS1_30default_config_static_selectorELNS0_4arch9wavefront6targetE1EEEvT1_.uses_flat_scratch, 0
	.set _ZN7rocprim17ROCPRIM_400000_NS6detail17trampoline_kernelINS0_14default_configENS1_25partition_config_selectorILNS1_17partition_subalgoE9EllbEEZZNS1_14partition_implILS5_9ELb0ES3_jPlS8_PNS0_10empty_typeENS0_5tupleIJS8_S9_EEENSB_IJS8_SA_EEENS0_18inequality_wrapperIZN2at6native12_GLOBAL__N_124unique_dim_cuda_templateIaEESt5tupleIJNSF_6TensorESK_SK_EERKSK_lbbbEUlllE0_EEPmJS9_EEE10hipError_tPvRmT3_T4_T5_T6_T7_T9_mT8_P12ihipStream_tbDpT10_ENKUlT_T0_E_clISt17integral_constantIbLb0EES1A_EEDaS15_S16_EUlS15_E_NS1_11comp_targetILNS1_3genE4ELNS1_11target_archE910ELNS1_3gpuE8ELNS1_3repE0EEENS1_30default_config_static_selectorELNS0_4arch9wavefront6targetE1EEEvT1_.has_dyn_sized_stack, 0
	.set _ZN7rocprim17ROCPRIM_400000_NS6detail17trampoline_kernelINS0_14default_configENS1_25partition_config_selectorILNS1_17partition_subalgoE9EllbEEZZNS1_14partition_implILS5_9ELb0ES3_jPlS8_PNS0_10empty_typeENS0_5tupleIJS8_S9_EEENSB_IJS8_SA_EEENS0_18inequality_wrapperIZN2at6native12_GLOBAL__N_124unique_dim_cuda_templateIaEESt5tupleIJNSF_6TensorESK_SK_EERKSK_lbbbEUlllE0_EEPmJS9_EEE10hipError_tPvRmT3_T4_T5_T6_T7_T9_mT8_P12ihipStream_tbDpT10_ENKUlT_T0_E_clISt17integral_constantIbLb0EES1A_EEDaS15_S16_EUlS15_E_NS1_11comp_targetILNS1_3genE4ELNS1_11target_archE910ELNS1_3gpuE8ELNS1_3repE0EEENS1_30default_config_static_selectorELNS0_4arch9wavefront6targetE1EEEvT1_.has_recursion, 0
	.set _ZN7rocprim17ROCPRIM_400000_NS6detail17trampoline_kernelINS0_14default_configENS1_25partition_config_selectorILNS1_17partition_subalgoE9EllbEEZZNS1_14partition_implILS5_9ELb0ES3_jPlS8_PNS0_10empty_typeENS0_5tupleIJS8_S9_EEENSB_IJS8_SA_EEENS0_18inequality_wrapperIZN2at6native12_GLOBAL__N_124unique_dim_cuda_templateIaEESt5tupleIJNSF_6TensorESK_SK_EERKSK_lbbbEUlllE0_EEPmJS9_EEE10hipError_tPvRmT3_T4_T5_T6_T7_T9_mT8_P12ihipStream_tbDpT10_ENKUlT_T0_E_clISt17integral_constantIbLb0EES1A_EEDaS15_S16_EUlS15_E_NS1_11comp_targetILNS1_3genE4ELNS1_11target_archE910ELNS1_3gpuE8ELNS1_3repE0EEENS1_30default_config_static_selectorELNS0_4arch9wavefront6targetE1EEEvT1_.has_indirect_call, 0
	.section	.AMDGPU.csdata,"",@progbits
; Kernel info:
; codeLenInByte = 0
; TotalNumSgprs: 6
; NumVgprs: 0
; NumAgprs: 0
; TotalNumVgprs: 0
; ScratchSize: 0
; MemoryBound: 0
; FloatMode: 240
; IeeeMode: 1
; LDSByteSize: 0 bytes/workgroup (compile time only)
; SGPRBlocks: 0
; VGPRBlocks: 0
; NumSGPRsForWavesPerEU: 6
; NumVGPRsForWavesPerEU: 1
; AccumOffset: 4
; Occupancy: 8
; WaveLimiterHint : 0
; COMPUTE_PGM_RSRC2:SCRATCH_EN: 0
; COMPUTE_PGM_RSRC2:USER_SGPR: 2
; COMPUTE_PGM_RSRC2:TRAP_HANDLER: 0
; COMPUTE_PGM_RSRC2:TGID_X_EN: 1
; COMPUTE_PGM_RSRC2:TGID_Y_EN: 0
; COMPUTE_PGM_RSRC2:TGID_Z_EN: 0
; COMPUTE_PGM_RSRC2:TIDIG_COMP_CNT: 0
; COMPUTE_PGM_RSRC3_GFX90A:ACCUM_OFFSET: 0
; COMPUTE_PGM_RSRC3_GFX90A:TG_SPLIT: 0
	.section	.text._ZN7rocprim17ROCPRIM_400000_NS6detail17trampoline_kernelINS0_14default_configENS1_25partition_config_selectorILNS1_17partition_subalgoE9EllbEEZZNS1_14partition_implILS5_9ELb0ES3_jPlS8_PNS0_10empty_typeENS0_5tupleIJS8_S9_EEENSB_IJS8_SA_EEENS0_18inequality_wrapperIZN2at6native12_GLOBAL__N_124unique_dim_cuda_templateIaEESt5tupleIJNSF_6TensorESK_SK_EERKSK_lbbbEUlllE0_EEPmJS9_EEE10hipError_tPvRmT3_T4_T5_T6_T7_T9_mT8_P12ihipStream_tbDpT10_ENKUlT_T0_E_clISt17integral_constantIbLb0EES1A_EEDaS15_S16_EUlS15_E_NS1_11comp_targetILNS1_3genE3ELNS1_11target_archE908ELNS1_3gpuE7ELNS1_3repE0EEENS1_30default_config_static_selectorELNS0_4arch9wavefront6targetE1EEEvT1_,"axG",@progbits,_ZN7rocprim17ROCPRIM_400000_NS6detail17trampoline_kernelINS0_14default_configENS1_25partition_config_selectorILNS1_17partition_subalgoE9EllbEEZZNS1_14partition_implILS5_9ELb0ES3_jPlS8_PNS0_10empty_typeENS0_5tupleIJS8_S9_EEENSB_IJS8_SA_EEENS0_18inequality_wrapperIZN2at6native12_GLOBAL__N_124unique_dim_cuda_templateIaEESt5tupleIJNSF_6TensorESK_SK_EERKSK_lbbbEUlllE0_EEPmJS9_EEE10hipError_tPvRmT3_T4_T5_T6_T7_T9_mT8_P12ihipStream_tbDpT10_ENKUlT_T0_E_clISt17integral_constantIbLb0EES1A_EEDaS15_S16_EUlS15_E_NS1_11comp_targetILNS1_3genE3ELNS1_11target_archE908ELNS1_3gpuE7ELNS1_3repE0EEENS1_30default_config_static_selectorELNS0_4arch9wavefront6targetE1EEEvT1_,comdat
	.globl	_ZN7rocprim17ROCPRIM_400000_NS6detail17trampoline_kernelINS0_14default_configENS1_25partition_config_selectorILNS1_17partition_subalgoE9EllbEEZZNS1_14partition_implILS5_9ELb0ES3_jPlS8_PNS0_10empty_typeENS0_5tupleIJS8_S9_EEENSB_IJS8_SA_EEENS0_18inequality_wrapperIZN2at6native12_GLOBAL__N_124unique_dim_cuda_templateIaEESt5tupleIJNSF_6TensorESK_SK_EERKSK_lbbbEUlllE0_EEPmJS9_EEE10hipError_tPvRmT3_T4_T5_T6_T7_T9_mT8_P12ihipStream_tbDpT10_ENKUlT_T0_E_clISt17integral_constantIbLb0EES1A_EEDaS15_S16_EUlS15_E_NS1_11comp_targetILNS1_3genE3ELNS1_11target_archE908ELNS1_3gpuE7ELNS1_3repE0EEENS1_30default_config_static_selectorELNS0_4arch9wavefront6targetE1EEEvT1_ ; -- Begin function _ZN7rocprim17ROCPRIM_400000_NS6detail17trampoline_kernelINS0_14default_configENS1_25partition_config_selectorILNS1_17partition_subalgoE9EllbEEZZNS1_14partition_implILS5_9ELb0ES3_jPlS8_PNS0_10empty_typeENS0_5tupleIJS8_S9_EEENSB_IJS8_SA_EEENS0_18inequality_wrapperIZN2at6native12_GLOBAL__N_124unique_dim_cuda_templateIaEESt5tupleIJNSF_6TensorESK_SK_EERKSK_lbbbEUlllE0_EEPmJS9_EEE10hipError_tPvRmT3_T4_T5_T6_T7_T9_mT8_P12ihipStream_tbDpT10_ENKUlT_T0_E_clISt17integral_constantIbLb0EES1A_EEDaS15_S16_EUlS15_E_NS1_11comp_targetILNS1_3genE3ELNS1_11target_archE908ELNS1_3gpuE7ELNS1_3repE0EEENS1_30default_config_static_selectorELNS0_4arch9wavefront6targetE1EEEvT1_
	.p2align	8
	.type	_ZN7rocprim17ROCPRIM_400000_NS6detail17trampoline_kernelINS0_14default_configENS1_25partition_config_selectorILNS1_17partition_subalgoE9EllbEEZZNS1_14partition_implILS5_9ELb0ES3_jPlS8_PNS0_10empty_typeENS0_5tupleIJS8_S9_EEENSB_IJS8_SA_EEENS0_18inequality_wrapperIZN2at6native12_GLOBAL__N_124unique_dim_cuda_templateIaEESt5tupleIJNSF_6TensorESK_SK_EERKSK_lbbbEUlllE0_EEPmJS9_EEE10hipError_tPvRmT3_T4_T5_T6_T7_T9_mT8_P12ihipStream_tbDpT10_ENKUlT_T0_E_clISt17integral_constantIbLb0EES1A_EEDaS15_S16_EUlS15_E_NS1_11comp_targetILNS1_3genE3ELNS1_11target_archE908ELNS1_3gpuE7ELNS1_3repE0EEENS1_30default_config_static_selectorELNS0_4arch9wavefront6targetE1EEEvT1_,@function
_ZN7rocprim17ROCPRIM_400000_NS6detail17trampoline_kernelINS0_14default_configENS1_25partition_config_selectorILNS1_17partition_subalgoE9EllbEEZZNS1_14partition_implILS5_9ELb0ES3_jPlS8_PNS0_10empty_typeENS0_5tupleIJS8_S9_EEENSB_IJS8_SA_EEENS0_18inequality_wrapperIZN2at6native12_GLOBAL__N_124unique_dim_cuda_templateIaEESt5tupleIJNSF_6TensorESK_SK_EERKSK_lbbbEUlllE0_EEPmJS9_EEE10hipError_tPvRmT3_T4_T5_T6_T7_T9_mT8_P12ihipStream_tbDpT10_ENKUlT_T0_E_clISt17integral_constantIbLb0EES1A_EEDaS15_S16_EUlS15_E_NS1_11comp_targetILNS1_3genE3ELNS1_11target_archE908ELNS1_3gpuE7ELNS1_3repE0EEENS1_30default_config_static_selectorELNS0_4arch9wavefront6targetE1EEEvT1_: ; @_ZN7rocprim17ROCPRIM_400000_NS6detail17trampoline_kernelINS0_14default_configENS1_25partition_config_selectorILNS1_17partition_subalgoE9EllbEEZZNS1_14partition_implILS5_9ELb0ES3_jPlS8_PNS0_10empty_typeENS0_5tupleIJS8_S9_EEENSB_IJS8_SA_EEENS0_18inequality_wrapperIZN2at6native12_GLOBAL__N_124unique_dim_cuda_templateIaEESt5tupleIJNSF_6TensorESK_SK_EERKSK_lbbbEUlllE0_EEPmJS9_EEE10hipError_tPvRmT3_T4_T5_T6_T7_T9_mT8_P12ihipStream_tbDpT10_ENKUlT_T0_E_clISt17integral_constantIbLb0EES1A_EEDaS15_S16_EUlS15_E_NS1_11comp_targetILNS1_3genE3ELNS1_11target_archE908ELNS1_3gpuE7ELNS1_3repE0EEENS1_30default_config_static_selectorELNS0_4arch9wavefront6targetE1EEEvT1_
; %bb.0:
	.section	.rodata,"a",@progbits
	.p2align	6, 0x0
	.amdhsa_kernel _ZN7rocprim17ROCPRIM_400000_NS6detail17trampoline_kernelINS0_14default_configENS1_25partition_config_selectorILNS1_17partition_subalgoE9EllbEEZZNS1_14partition_implILS5_9ELb0ES3_jPlS8_PNS0_10empty_typeENS0_5tupleIJS8_S9_EEENSB_IJS8_SA_EEENS0_18inequality_wrapperIZN2at6native12_GLOBAL__N_124unique_dim_cuda_templateIaEESt5tupleIJNSF_6TensorESK_SK_EERKSK_lbbbEUlllE0_EEPmJS9_EEE10hipError_tPvRmT3_T4_T5_T6_T7_T9_mT8_P12ihipStream_tbDpT10_ENKUlT_T0_E_clISt17integral_constantIbLb0EES1A_EEDaS15_S16_EUlS15_E_NS1_11comp_targetILNS1_3genE3ELNS1_11target_archE908ELNS1_3gpuE7ELNS1_3repE0EEENS1_30default_config_static_selectorELNS0_4arch9wavefront6targetE1EEEvT1_
		.amdhsa_group_segment_fixed_size 0
		.amdhsa_private_segment_fixed_size 0
		.amdhsa_kernarg_size 120
		.amdhsa_user_sgpr_count 2
		.amdhsa_user_sgpr_dispatch_ptr 0
		.amdhsa_user_sgpr_queue_ptr 0
		.amdhsa_user_sgpr_kernarg_segment_ptr 1
		.amdhsa_user_sgpr_dispatch_id 0
		.amdhsa_user_sgpr_kernarg_preload_length 0
		.amdhsa_user_sgpr_kernarg_preload_offset 0
		.amdhsa_user_sgpr_private_segment_size 0
		.amdhsa_uses_dynamic_stack 0
		.amdhsa_enable_private_segment 0
		.amdhsa_system_sgpr_workgroup_id_x 1
		.amdhsa_system_sgpr_workgroup_id_y 0
		.amdhsa_system_sgpr_workgroup_id_z 0
		.amdhsa_system_sgpr_workgroup_info 0
		.amdhsa_system_vgpr_workitem_id 0
		.amdhsa_next_free_vgpr 1
		.amdhsa_next_free_sgpr 0
		.amdhsa_accum_offset 4
		.amdhsa_reserve_vcc 0
		.amdhsa_float_round_mode_32 0
		.amdhsa_float_round_mode_16_64 0
		.amdhsa_float_denorm_mode_32 3
		.amdhsa_float_denorm_mode_16_64 3
		.amdhsa_dx10_clamp 1
		.amdhsa_ieee_mode 1
		.amdhsa_fp16_overflow 0
		.amdhsa_tg_split 0
		.amdhsa_exception_fp_ieee_invalid_op 0
		.amdhsa_exception_fp_denorm_src 0
		.amdhsa_exception_fp_ieee_div_zero 0
		.amdhsa_exception_fp_ieee_overflow 0
		.amdhsa_exception_fp_ieee_underflow 0
		.amdhsa_exception_fp_ieee_inexact 0
		.amdhsa_exception_int_div_zero 0
	.end_amdhsa_kernel
	.section	.text._ZN7rocprim17ROCPRIM_400000_NS6detail17trampoline_kernelINS0_14default_configENS1_25partition_config_selectorILNS1_17partition_subalgoE9EllbEEZZNS1_14partition_implILS5_9ELb0ES3_jPlS8_PNS0_10empty_typeENS0_5tupleIJS8_S9_EEENSB_IJS8_SA_EEENS0_18inequality_wrapperIZN2at6native12_GLOBAL__N_124unique_dim_cuda_templateIaEESt5tupleIJNSF_6TensorESK_SK_EERKSK_lbbbEUlllE0_EEPmJS9_EEE10hipError_tPvRmT3_T4_T5_T6_T7_T9_mT8_P12ihipStream_tbDpT10_ENKUlT_T0_E_clISt17integral_constantIbLb0EES1A_EEDaS15_S16_EUlS15_E_NS1_11comp_targetILNS1_3genE3ELNS1_11target_archE908ELNS1_3gpuE7ELNS1_3repE0EEENS1_30default_config_static_selectorELNS0_4arch9wavefront6targetE1EEEvT1_,"axG",@progbits,_ZN7rocprim17ROCPRIM_400000_NS6detail17trampoline_kernelINS0_14default_configENS1_25partition_config_selectorILNS1_17partition_subalgoE9EllbEEZZNS1_14partition_implILS5_9ELb0ES3_jPlS8_PNS0_10empty_typeENS0_5tupleIJS8_S9_EEENSB_IJS8_SA_EEENS0_18inequality_wrapperIZN2at6native12_GLOBAL__N_124unique_dim_cuda_templateIaEESt5tupleIJNSF_6TensorESK_SK_EERKSK_lbbbEUlllE0_EEPmJS9_EEE10hipError_tPvRmT3_T4_T5_T6_T7_T9_mT8_P12ihipStream_tbDpT10_ENKUlT_T0_E_clISt17integral_constantIbLb0EES1A_EEDaS15_S16_EUlS15_E_NS1_11comp_targetILNS1_3genE3ELNS1_11target_archE908ELNS1_3gpuE7ELNS1_3repE0EEENS1_30default_config_static_selectorELNS0_4arch9wavefront6targetE1EEEvT1_,comdat
.Lfunc_end354:
	.size	_ZN7rocprim17ROCPRIM_400000_NS6detail17trampoline_kernelINS0_14default_configENS1_25partition_config_selectorILNS1_17partition_subalgoE9EllbEEZZNS1_14partition_implILS5_9ELb0ES3_jPlS8_PNS0_10empty_typeENS0_5tupleIJS8_S9_EEENSB_IJS8_SA_EEENS0_18inequality_wrapperIZN2at6native12_GLOBAL__N_124unique_dim_cuda_templateIaEESt5tupleIJNSF_6TensorESK_SK_EERKSK_lbbbEUlllE0_EEPmJS9_EEE10hipError_tPvRmT3_T4_T5_T6_T7_T9_mT8_P12ihipStream_tbDpT10_ENKUlT_T0_E_clISt17integral_constantIbLb0EES1A_EEDaS15_S16_EUlS15_E_NS1_11comp_targetILNS1_3genE3ELNS1_11target_archE908ELNS1_3gpuE7ELNS1_3repE0EEENS1_30default_config_static_selectorELNS0_4arch9wavefront6targetE1EEEvT1_, .Lfunc_end354-_ZN7rocprim17ROCPRIM_400000_NS6detail17trampoline_kernelINS0_14default_configENS1_25partition_config_selectorILNS1_17partition_subalgoE9EllbEEZZNS1_14partition_implILS5_9ELb0ES3_jPlS8_PNS0_10empty_typeENS0_5tupleIJS8_S9_EEENSB_IJS8_SA_EEENS0_18inequality_wrapperIZN2at6native12_GLOBAL__N_124unique_dim_cuda_templateIaEESt5tupleIJNSF_6TensorESK_SK_EERKSK_lbbbEUlllE0_EEPmJS9_EEE10hipError_tPvRmT3_T4_T5_T6_T7_T9_mT8_P12ihipStream_tbDpT10_ENKUlT_T0_E_clISt17integral_constantIbLb0EES1A_EEDaS15_S16_EUlS15_E_NS1_11comp_targetILNS1_3genE3ELNS1_11target_archE908ELNS1_3gpuE7ELNS1_3repE0EEENS1_30default_config_static_selectorELNS0_4arch9wavefront6targetE1EEEvT1_
                                        ; -- End function
	.set _ZN7rocprim17ROCPRIM_400000_NS6detail17trampoline_kernelINS0_14default_configENS1_25partition_config_selectorILNS1_17partition_subalgoE9EllbEEZZNS1_14partition_implILS5_9ELb0ES3_jPlS8_PNS0_10empty_typeENS0_5tupleIJS8_S9_EEENSB_IJS8_SA_EEENS0_18inequality_wrapperIZN2at6native12_GLOBAL__N_124unique_dim_cuda_templateIaEESt5tupleIJNSF_6TensorESK_SK_EERKSK_lbbbEUlllE0_EEPmJS9_EEE10hipError_tPvRmT3_T4_T5_T6_T7_T9_mT8_P12ihipStream_tbDpT10_ENKUlT_T0_E_clISt17integral_constantIbLb0EES1A_EEDaS15_S16_EUlS15_E_NS1_11comp_targetILNS1_3genE3ELNS1_11target_archE908ELNS1_3gpuE7ELNS1_3repE0EEENS1_30default_config_static_selectorELNS0_4arch9wavefront6targetE1EEEvT1_.num_vgpr, 0
	.set _ZN7rocprim17ROCPRIM_400000_NS6detail17trampoline_kernelINS0_14default_configENS1_25partition_config_selectorILNS1_17partition_subalgoE9EllbEEZZNS1_14partition_implILS5_9ELb0ES3_jPlS8_PNS0_10empty_typeENS0_5tupleIJS8_S9_EEENSB_IJS8_SA_EEENS0_18inequality_wrapperIZN2at6native12_GLOBAL__N_124unique_dim_cuda_templateIaEESt5tupleIJNSF_6TensorESK_SK_EERKSK_lbbbEUlllE0_EEPmJS9_EEE10hipError_tPvRmT3_T4_T5_T6_T7_T9_mT8_P12ihipStream_tbDpT10_ENKUlT_T0_E_clISt17integral_constantIbLb0EES1A_EEDaS15_S16_EUlS15_E_NS1_11comp_targetILNS1_3genE3ELNS1_11target_archE908ELNS1_3gpuE7ELNS1_3repE0EEENS1_30default_config_static_selectorELNS0_4arch9wavefront6targetE1EEEvT1_.num_agpr, 0
	.set _ZN7rocprim17ROCPRIM_400000_NS6detail17trampoline_kernelINS0_14default_configENS1_25partition_config_selectorILNS1_17partition_subalgoE9EllbEEZZNS1_14partition_implILS5_9ELb0ES3_jPlS8_PNS0_10empty_typeENS0_5tupleIJS8_S9_EEENSB_IJS8_SA_EEENS0_18inequality_wrapperIZN2at6native12_GLOBAL__N_124unique_dim_cuda_templateIaEESt5tupleIJNSF_6TensorESK_SK_EERKSK_lbbbEUlllE0_EEPmJS9_EEE10hipError_tPvRmT3_T4_T5_T6_T7_T9_mT8_P12ihipStream_tbDpT10_ENKUlT_T0_E_clISt17integral_constantIbLb0EES1A_EEDaS15_S16_EUlS15_E_NS1_11comp_targetILNS1_3genE3ELNS1_11target_archE908ELNS1_3gpuE7ELNS1_3repE0EEENS1_30default_config_static_selectorELNS0_4arch9wavefront6targetE1EEEvT1_.numbered_sgpr, 0
	.set _ZN7rocprim17ROCPRIM_400000_NS6detail17trampoline_kernelINS0_14default_configENS1_25partition_config_selectorILNS1_17partition_subalgoE9EllbEEZZNS1_14partition_implILS5_9ELb0ES3_jPlS8_PNS0_10empty_typeENS0_5tupleIJS8_S9_EEENSB_IJS8_SA_EEENS0_18inequality_wrapperIZN2at6native12_GLOBAL__N_124unique_dim_cuda_templateIaEESt5tupleIJNSF_6TensorESK_SK_EERKSK_lbbbEUlllE0_EEPmJS9_EEE10hipError_tPvRmT3_T4_T5_T6_T7_T9_mT8_P12ihipStream_tbDpT10_ENKUlT_T0_E_clISt17integral_constantIbLb0EES1A_EEDaS15_S16_EUlS15_E_NS1_11comp_targetILNS1_3genE3ELNS1_11target_archE908ELNS1_3gpuE7ELNS1_3repE0EEENS1_30default_config_static_selectorELNS0_4arch9wavefront6targetE1EEEvT1_.num_named_barrier, 0
	.set _ZN7rocprim17ROCPRIM_400000_NS6detail17trampoline_kernelINS0_14default_configENS1_25partition_config_selectorILNS1_17partition_subalgoE9EllbEEZZNS1_14partition_implILS5_9ELb0ES3_jPlS8_PNS0_10empty_typeENS0_5tupleIJS8_S9_EEENSB_IJS8_SA_EEENS0_18inequality_wrapperIZN2at6native12_GLOBAL__N_124unique_dim_cuda_templateIaEESt5tupleIJNSF_6TensorESK_SK_EERKSK_lbbbEUlllE0_EEPmJS9_EEE10hipError_tPvRmT3_T4_T5_T6_T7_T9_mT8_P12ihipStream_tbDpT10_ENKUlT_T0_E_clISt17integral_constantIbLb0EES1A_EEDaS15_S16_EUlS15_E_NS1_11comp_targetILNS1_3genE3ELNS1_11target_archE908ELNS1_3gpuE7ELNS1_3repE0EEENS1_30default_config_static_selectorELNS0_4arch9wavefront6targetE1EEEvT1_.private_seg_size, 0
	.set _ZN7rocprim17ROCPRIM_400000_NS6detail17trampoline_kernelINS0_14default_configENS1_25partition_config_selectorILNS1_17partition_subalgoE9EllbEEZZNS1_14partition_implILS5_9ELb0ES3_jPlS8_PNS0_10empty_typeENS0_5tupleIJS8_S9_EEENSB_IJS8_SA_EEENS0_18inequality_wrapperIZN2at6native12_GLOBAL__N_124unique_dim_cuda_templateIaEESt5tupleIJNSF_6TensorESK_SK_EERKSK_lbbbEUlllE0_EEPmJS9_EEE10hipError_tPvRmT3_T4_T5_T6_T7_T9_mT8_P12ihipStream_tbDpT10_ENKUlT_T0_E_clISt17integral_constantIbLb0EES1A_EEDaS15_S16_EUlS15_E_NS1_11comp_targetILNS1_3genE3ELNS1_11target_archE908ELNS1_3gpuE7ELNS1_3repE0EEENS1_30default_config_static_selectorELNS0_4arch9wavefront6targetE1EEEvT1_.uses_vcc, 0
	.set _ZN7rocprim17ROCPRIM_400000_NS6detail17trampoline_kernelINS0_14default_configENS1_25partition_config_selectorILNS1_17partition_subalgoE9EllbEEZZNS1_14partition_implILS5_9ELb0ES3_jPlS8_PNS0_10empty_typeENS0_5tupleIJS8_S9_EEENSB_IJS8_SA_EEENS0_18inequality_wrapperIZN2at6native12_GLOBAL__N_124unique_dim_cuda_templateIaEESt5tupleIJNSF_6TensorESK_SK_EERKSK_lbbbEUlllE0_EEPmJS9_EEE10hipError_tPvRmT3_T4_T5_T6_T7_T9_mT8_P12ihipStream_tbDpT10_ENKUlT_T0_E_clISt17integral_constantIbLb0EES1A_EEDaS15_S16_EUlS15_E_NS1_11comp_targetILNS1_3genE3ELNS1_11target_archE908ELNS1_3gpuE7ELNS1_3repE0EEENS1_30default_config_static_selectorELNS0_4arch9wavefront6targetE1EEEvT1_.uses_flat_scratch, 0
	.set _ZN7rocprim17ROCPRIM_400000_NS6detail17trampoline_kernelINS0_14default_configENS1_25partition_config_selectorILNS1_17partition_subalgoE9EllbEEZZNS1_14partition_implILS5_9ELb0ES3_jPlS8_PNS0_10empty_typeENS0_5tupleIJS8_S9_EEENSB_IJS8_SA_EEENS0_18inequality_wrapperIZN2at6native12_GLOBAL__N_124unique_dim_cuda_templateIaEESt5tupleIJNSF_6TensorESK_SK_EERKSK_lbbbEUlllE0_EEPmJS9_EEE10hipError_tPvRmT3_T4_T5_T6_T7_T9_mT8_P12ihipStream_tbDpT10_ENKUlT_T0_E_clISt17integral_constantIbLb0EES1A_EEDaS15_S16_EUlS15_E_NS1_11comp_targetILNS1_3genE3ELNS1_11target_archE908ELNS1_3gpuE7ELNS1_3repE0EEENS1_30default_config_static_selectorELNS0_4arch9wavefront6targetE1EEEvT1_.has_dyn_sized_stack, 0
	.set _ZN7rocprim17ROCPRIM_400000_NS6detail17trampoline_kernelINS0_14default_configENS1_25partition_config_selectorILNS1_17partition_subalgoE9EllbEEZZNS1_14partition_implILS5_9ELb0ES3_jPlS8_PNS0_10empty_typeENS0_5tupleIJS8_S9_EEENSB_IJS8_SA_EEENS0_18inequality_wrapperIZN2at6native12_GLOBAL__N_124unique_dim_cuda_templateIaEESt5tupleIJNSF_6TensorESK_SK_EERKSK_lbbbEUlllE0_EEPmJS9_EEE10hipError_tPvRmT3_T4_T5_T6_T7_T9_mT8_P12ihipStream_tbDpT10_ENKUlT_T0_E_clISt17integral_constantIbLb0EES1A_EEDaS15_S16_EUlS15_E_NS1_11comp_targetILNS1_3genE3ELNS1_11target_archE908ELNS1_3gpuE7ELNS1_3repE0EEENS1_30default_config_static_selectorELNS0_4arch9wavefront6targetE1EEEvT1_.has_recursion, 0
	.set _ZN7rocprim17ROCPRIM_400000_NS6detail17trampoline_kernelINS0_14default_configENS1_25partition_config_selectorILNS1_17partition_subalgoE9EllbEEZZNS1_14partition_implILS5_9ELb0ES3_jPlS8_PNS0_10empty_typeENS0_5tupleIJS8_S9_EEENSB_IJS8_SA_EEENS0_18inequality_wrapperIZN2at6native12_GLOBAL__N_124unique_dim_cuda_templateIaEESt5tupleIJNSF_6TensorESK_SK_EERKSK_lbbbEUlllE0_EEPmJS9_EEE10hipError_tPvRmT3_T4_T5_T6_T7_T9_mT8_P12ihipStream_tbDpT10_ENKUlT_T0_E_clISt17integral_constantIbLb0EES1A_EEDaS15_S16_EUlS15_E_NS1_11comp_targetILNS1_3genE3ELNS1_11target_archE908ELNS1_3gpuE7ELNS1_3repE0EEENS1_30default_config_static_selectorELNS0_4arch9wavefront6targetE1EEEvT1_.has_indirect_call, 0
	.section	.AMDGPU.csdata,"",@progbits
; Kernel info:
; codeLenInByte = 0
; TotalNumSgprs: 6
; NumVgprs: 0
; NumAgprs: 0
; TotalNumVgprs: 0
; ScratchSize: 0
; MemoryBound: 0
; FloatMode: 240
; IeeeMode: 1
; LDSByteSize: 0 bytes/workgroup (compile time only)
; SGPRBlocks: 0
; VGPRBlocks: 0
; NumSGPRsForWavesPerEU: 6
; NumVGPRsForWavesPerEU: 1
; AccumOffset: 4
; Occupancy: 8
; WaveLimiterHint : 0
; COMPUTE_PGM_RSRC2:SCRATCH_EN: 0
; COMPUTE_PGM_RSRC2:USER_SGPR: 2
; COMPUTE_PGM_RSRC2:TRAP_HANDLER: 0
; COMPUTE_PGM_RSRC2:TGID_X_EN: 1
; COMPUTE_PGM_RSRC2:TGID_Y_EN: 0
; COMPUTE_PGM_RSRC2:TGID_Z_EN: 0
; COMPUTE_PGM_RSRC2:TIDIG_COMP_CNT: 0
; COMPUTE_PGM_RSRC3_GFX90A:ACCUM_OFFSET: 0
; COMPUTE_PGM_RSRC3_GFX90A:TG_SPLIT: 0
	.section	.text._ZN7rocprim17ROCPRIM_400000_NS6detail17trampoline_kernelINS0_14default_configENS1_25partition_config_selectorILNS1_17partition_subalgoE9EllbEEZZNS1_14partition_implILS5_9ELb0ES3_jPlS8_PNS0_10empty_typeENS0_5tupleIJS8_S9_EEENSB_IJS8_SA_EEENS0_18inequality_wrapperIZN2at6native12_GLOBAL__N_124unique_dim_cuda_templateIaEESt5tupleIJNSF_6TensorESK_SK_EERKSK_lbbbEUlllE0_EEPmJS9_EEE10hipError_tPvRmT3_T4_T5_T6_T7_T9_mT8_P12ihipStream_tbDpT10_ENKUlT_T0_E_clISt17integral_constantIbLb0EES1A_EEDaS15_S16_EUlS15_E_NS1_11comp_targetILNS1_3genE2ELNS1_11target_archE906ELNS1_3gpuE6ELNS1_3repE0EEENS1_30default_config_static_selectorELNS0_4arch9wavefront6targetE1EEEvT1_,"axG",@progbits,_ZN7rocprim17ROCPRIM_400000_NS6detail17trampoline_kernelINS0_14default_configENS1_25partition_config_selectorILNS1_17partition_subalgoE9EllbEEZZNS1_14partition_implILS5_9ELb0ES3_jPlS8_PNS0_10empty_typeENS0_5tupleIJS8_S9_EEENSB_IJS8_SA_EEENS0_18inequality_wrapperIZN2at6native12_GLOBAL__N_124unique_dim_cuda_templateIaEESt5tupleIJNSF_6TensorESK_SK_EERKSK_lbbbEUlllE0_EEPmJS9_EEE10hipError_tPvRmT3_T4_T5_T6_T7_T9_mT8_P12ihipStream_tbDpT10_ENKUlT_T0_E_clISt17integral_constantIbLb0EES1A_EEDaS15_S16_EUlS15_E_NS1_11comp_targetILNS1_3genE2ELNS1_11target_archE906ELNS1_3gpuE6ELNS1_3repE0EEENS1_30default_config_static_selectorELNS0_4arch9wavefront6targetE1EEEvT1_,comdat
	.globl	_ZN7rocprim17ROCPRIM_400000_NS6detail17trampoline_kernelINS0_14default_configENS1_25partition_config_selectorILNS1_17partition_subalgoE9EllbEEZZNS1_14partition_implILS5_9ELb0ES3_jPlS8_PNS0_10empty_typeENS0_5tupleIJS8_S9_EEENSB_IJS8_SA_EEENS0_18inequality_wrapperIZN2at6native12_GLOBAL__N_124unique_dim_cuda_templateIaEESt5tupleIJNSF_6TensorESK_SK_EERKSK_lbbbEUlllE0_EEPmJS9_EEE10hipError_tPvRmT3_T4_T5_T6_T7_T9_mT8_P12ihipStream_tbDpT10_ENKUlT_T0_E_clISt17integral_constantIbLb0EES1A_EEDaS15_S16_EUlS15_E_NS1_11comp_targetILNS1_3genE2ELNS1_11target_archE906ELNS1_3gpuE6ELNS1_3repE0EEENS1_30default_config_static_selectorELNS0_4arch9wavefront6targetE1EEEvT1_ ; -- Begin function _ZN7rocprim17ROCPRIM_400000_NS6detail17trampoline_kernelINS0_14default_configENS1_25partition_config_selectorILNS1_17partition_subalgoE9EllbEEZZNS1_14partition_implILS5_9ELb0ES3_jPlS8_PNS0_10empty_typeENS0_5tupleIJS8_S9_EEENSB_IJS8_SA_EEENS0_18inequality_wrapperIZN2at6native12_GLOBAL__N_124unique_dim_cuda_templateIaEESt5tupleIJNSF_6TensorESK_SK_EERKSK_lbbbEUlllE0_EEPmJS9_EEE10hipError_tPvRmT3_T4_T5_T6_T7_T9_mT8_P12ihipStream_tbDpT10_ENKUlT_T0_E_clISt17integral_constantIbLb0EES1A_EEDaS15_S16_EUlS15_E_NS1_11comp_targetILNS1_3genE2ELNS1_11target_archE906ELNS1_3gpuE6ELNS1_3repE0EEENS1_30default_config_static_selectorELNS0_4arch9wavefront6targetE1EEEvT1_
	.p2align	8
	.type	_ZN7rocprim17ROCPRIM_400000_NS6detail17trampoline_kernelINS0_14default_configENS1_25partition_config_selectorILNS1_17partition_subalgoE9EllbEEZZNS1_14partition_implILS5_9ELb0ES3_jPlS8_PNS0_10empty_typeENS0_5tupleIJS8_S9_EEENSB_IJS8_SA_EEENS0_18inequality_wrapperIZN2at6native12_GLOBAL__N_124unique_dim_cuda_templateIaEESt5tupleIJNSF_6TensorESK_SK_EERKSK_lbbbEUlllE0_EEPmJS9_EEE10hipError_tPvRmT3_T4_T5_T6_T7_T9_mT8_P12ihipStream_tbDpT10_ENKUlT_T0_E_clISt17integral_constantIbLb0EES1A_EEDaS15_S16_EUlS15_E_NS1_11comp_targetILNS1_3genE2ELNS1_11target_archE906ELNS1_3gpuE6ELNS1_3repE0EEENS1_30default_config_static_selectorELNS0_4arch9wavefront6targetE1EEEvT1_,@function
_ZN7rocprim17ROCPRIM_400000_NS6detail17trampoline_kernelINS0_14default_configENS1_25partition_config_selectorILNS1_17partition_subalgoE9EllbEEZZNS1_14partition_implILS5_9ELb0ES3_jPlS8_PNS0_10empty_typeENS0_5tupleIJS8_S9_EEENSB_IJS8_SA_EEENS0_18inequality_wrapperIZN2at6native12_GLOBAL__N_124unique_dim_cuda_templateIaEESt5tupleIJNSF_6TensorESK_SK_EERKSK_lbbbEUlllE0_EEPmJS9_EEE10hipError_tPvRmT3_T4_T5_T6_T7_T9_mT8_P12ihipStream_tbDpT10_ENKUlT_T0_E_clISt17integral_constantIbLb0EES1A_EEDaS15_S16_EUlS15_E_NS1_11comp_targetILNS1_3genE2ELNS1_11target_archE906ELNS1_3gpuE6ELNS1_3repE0EEENS1_30default_config_static_selectorELNS0_4arch9wavefront6targetE1EEEvT1_: ; @_ZN7rocprim17ROCPRIM_400000_NS6detail17trampoline_kernelINS0_14default_configENS1_25partition_config_selectorILNS1_17partition_subalgoE9EllbEEZZNS1_14partition_implILS5_9ELb0ES3_jPlS8_PNS0_10empty_typeENS0_5tupleIJS8_S9_EEENSB_IJS8_SA_EEENS0_18inequality_wrapperIZN2at6native12_GLOBAL__N_124unique_dim_cuda_templateIaEESt5tupleIJNSF_6TensorESK_SK_EERKSK_lbbbEUlllE0_EEPmJS9_EEE10hipError_tPvRmT3_T4_T5_T6_T7_T9_mT8_P12ihipStream_tbDpT10_ENKUlT_T0_E_clISt17integral_constantIbLb0EES1A_EEDaS15_S16_EUlS15_E_NS1_11comp_targetILNS1_3genE2ELNS1_11target_archE906ELNS1_3gpuE6ELNS1_3repE0EEENS1_30default_config_static_selectorELNS0_4arch9wavefront6targetE1EEEvT1_
; %bb.0:
	.section	.rodata,"a",@progbits
	.p2align	6, 0x0
	.amdhsa_kernel _ZN7rocprim17ROCPRIM_400000_NS6detail17trampoline_kernelINS0_14default_configENS1_25partition_config_selectorILNS1_17partition_subalgoE9EllbEEZZNS1_14partition_implILS5_9ELb0ES3_jPlS8_PNS0_10empty_typeENS0_5tupleIJS8_S9_EEENSB_IJS8_SA_EEENS0_18inequality_wrapperIZN2at6native12_GLOBAL__N_124unique_dim_cuda_templateIaEESt5tupleIJNSF_6TensorESK_SK_EERKSK_lbbbEUlllE0_EEPmJS9_EEE10hipError_tPvRmT3_T4_T5_T6_T7_T9_mT8_P12ihipStream_tbDpT10_ENKUlT_T0_E_clISt17integral_constantIbLb0EES1A_EEDaS15_S16_EUlS15_E_NS1_11comp_targetILNS1_3genE2ELNS1_11target_archE906ELNS1_3gpuE6ELNS1_3repE0EEENS1_30default_config_static_selectorELNS0_4arch9wavefront6targetE1EEEvT1_
		.amdhsa_group_segment_fixed_size 0
		.amdhsa_private_segment_fixed_size 0
		.amdhsa_kernarg_size 120
		.amdhsa_user_sgpr_count 2
		.amdhsa_user_sgpr_dispatch_ptr 0
		.amdhsa_user_sgpr_queue_ptr 0
		.amdhsa_user_sgpr_kernarg_segment_ptr 1
		.amdhsa_user_sgpr_dispatch_id 0
		.amdhsa_user_sgpr_kernarg_preload_length 0
		.amdhsa_user_sgpr_kernarg_preload_offset 0
		.amdhsa_user_sgpr_private_segment_size 0
		.amdhsa_uses_dynamic_stack 0
		.amdhsa_enable_private_segment 0
		.amdhsa_system_sgpr_workgroup_id_x 1
		.amdhsa_system_sgpr_workgroup_id_y 0
		.amdhsa_system_sgpr_workgroup_id_z 0
		.amdhsa_system_sgpr_workgroup_info 0
		.amdhsa_system_vgpr_workitem_id 0
		.amdhsa_next_free_vgpr 1
		.amdhsa_next_free_sgpr 0
		.amdhsa_accum_offset 4
		.amdhsa_reserve_vcc 0
		.amdhsa_float_round_mode_32 0
		.amdhsa_float_round_mode_16_64 0
		.amdhsa_float_denorm_mode_32 3
		.amdhsa_float_denorm_mode_16_64 3
		.amdhsa_dx10_clamp 1
		.amdhsa_ieee_mode 1
		.amdhsa_fp16_overflow 0
		.amdhsa_tg_split 0
		.amdhsa_exception_fp_ieee_invalid_op 0
		.amdhsa_exception_fp_denorm_src 0
		.amdhsa_exception_fp_ieee_div_zero 0
		.amdhsa_exception_fp_ieee_overflow 0
		.amdhsa_exception_fp_ieee_underflow 0
		.amdhsa_exception_fp_ieee_inexact 0
		.amdhsa_exception_int_div_zero 0
	.end_amdhsa_kernel
	.section	.text._ZN7rocprim17ROCPRIM_400000_NS6detail17trampoline_kernelINS0_14default_configENS1_25partition_config_selectorILNS1_17partition_subalgoE9EllbEEZZNS1_14partition_implILS5_9ELb0ES3_jPlS8_PNS0_10empty_typeENS0_5tupleIJS8_S9_EEENSB_IJS8_SA_EEENS0_18inequality_wrapperIZN2at6native12_GLOBAL__N_124unique_dim_cuda_templateIaEESt5tupleIJNSF_6TensorESK_SK_EERKSK_lbbbEUlllE0_EEPmJS9_EEE10hipError_tPvRmT3_T4_T5_T6_T7_T9_mT8_P12ihipStream_tbDpT10_ENKUlT_T0_E_clISt17integral_constantIbLb0EES1A_EEDaS15_S16_EUlS15_E_NS1_11comp_targetILNS1_3genE2ELNS1_11target_archE906ELNS1_3gpuE6ELNS1_3repE0EEENS1_30default_config_static_selectorELNS0_4arch9wavefront6targetE1EEEvT1_,"axG",@progbits,_ZN7rocprim17ROCPRIM_400000_NS6detail17trampoline_kernelINS0_14default_configENS1_25partition_config_selectorILNS1_17partition_subalgoE9EllbEEZZNS1_14partition_implILS5_9ELb0ES3_jPlS8_PNS0_10empty_typeENS0_5tupleIJS8_S9_EEENSB_IJS8_SA_EEENS0_18inequality_wrapperIZN2at6native12_GLOBAL__N_124unique_dim_cuda_templateIaEESt5tupleIJNSF_6TensorESK_SK_EERKSK_lbbbEUlllE0_EEPmJS9_EEE10hipError_tPvRmT3_T4_T5_T6_T7_T9_mT8_P12ihipStream_tbDpT10_ENKUlT_T0_E_clISt17integral_constantIbLb0EES1A_EEDaS15_S16_EUlS15_E_NS1_11comp_targetILNS1_3genE2ELNS1_11target_archE906ELNS1_3gpuE6ELNS1_3repE0EEENS1_30default_config_static_selectorELNS0_4arch9wavefront6targetE1EEEvT1_,comdat
.Lfunc_end355:
	.size	_ZN7rocprim17ROCPRIM_400000_NS6detail17trampoline_kernelINS0_14default_configENS1_25partition_config_selectorILNS1_17partition_subalgoE9EllbEEZZNS1_14partition_implILS5_9ELb0ES3_jPlS8_PNS0_10empty_typeENS0_5tupleIJS8_S9_EEENSB_IJS8_SA_EEENS0_18inequality_wrapperIZN2at6native12_GLOBAL__N_124unique_dim_cuda_templateIaEESt5tupleIJNSF_6TensorESK_SK_EERKSK_lbbbEUlllE0_EEPmJS9_EEE10hipError_tPvRmT3_T4_T5_T6_T7_T9_mT8_P12ihipStream_tbDpT10_ENKUlT_T0_E_clISt17integral_constantIbLb0EES1A_EEDaS15_S16_EUlS15_E_NS1_11comp_targetILNS1_3genE2ELNS1_11target_archE906ELNS1_3gpuE6ELNS1_3repE0EEENS1_30default_config_static_selectorELNS0_4arch9wavefront6targetE1EEEvT1_, .Lfunc_end355-_ZN7rocprim17ROCPRIM_400000_NS6detail17trampoline_kernelINS0_14default_configENS1_25partition_config_selectorILNS1_17partition_subalgoE9EllbEEZZNS1_14partition_implILS5_9ELb0ES3_jPlS8_PNS0_10empty_typeENS0_5tupleIJS8_S9_EEENSB_IJS8_SA_EEENS0_18inequality_wrapperIZN2at6native12_GLOBAL__N_124unique_dim_cuda_templateIaEESt5tupleIJNSF_6TensorESK_SK_EERKSK_lbbbEUlllE0_EEPmJS9_EEE10hipError_tPvRmT3_T4_T5_T6_T7_T9_mT8_P12ihipStream_tbDpT10_ENKUlT_T0_E_clISt17integral_constantIbLb0EES1A_EEDaS15_S16_EUlS15_E_NS1_11comp_targetILNS1_3genE2ELNS1_11target_archE906ELNS1_3gpuE6ELNS1_3repE0EEENS1_30default_config_static_selectorELNS0_4arch9wavefront6targetE1EEEvT1_
                                        ; -- End function
	.set _ZN7rocprim17ROCPRIM_400000_NS6detail17trampoline_kernelINS0_14default_configENS1_25partition_config_selectorILNS1_17partition_subalgoE9EllbEEZZNS1_14partition_implILS5_9ELb0ES3_jPlS8_PNS0_10empty_typeENS0_5tupleIJS8_S9_EEENSB_IJS8_SA_EEENS0_18inequality_wrapperIZN2at6native12_GLOBAL__N_124unique_dim_cuda_templateIaEESt5tupleIJNSF_6TensorESK_SK_EERKSK_lbbbEUlllE0_EEPmJS9_EEE10hipError_tPvRmT3_T4_T5_T6_T7_T9_mT8_P12ihipStream_tbDpT10_ENKUlT_T0_E_clISt17integral_constantIbLb0EES1A_EEDaS15_S16_EUlS15_E_NS1_11comp_targetILNS1_3genE2ELNS1_11target_archE906ELNS1_3gpuE6ELNS1_3repE0EEENS1_30default_config_static_selectorELNS0_4arch9wavefront6targetE1EEEvT1_.num_vgpr, 0
	.set _ZN7rocprim17ROCPRIM_400000_NS6detail17trampoline_kernelINS0_14default_configENS1_25partition_config_selectorILNS1_17partition_subalgoE9EllbEEZZNS1_14partition_implILS5_9ELb0ES3_jPlS8_PNS0_10empty_typeENS0_5tupleIJS8_S9_EEENSB_IJS8_SA_EEENS0_18inequality_wrapperIZN2at6native12_GLOBAL__N_124unique_dim_cuda_templateIaEESt5tupleIJNSF_6TensorESK_SK_EERKSK_lbbbEUlllE0_EEPmJS9_EEE10hipError_tPvRmT3_T4_T5_T6_T7_T9_mT8_P12ihipStream_tbDpT10_ENKUlT_T0_E_clISt17integral_constantIbLb0EES1A_EEDaS15_S16_EUlS15_E_NS1_11comp_targetILNS1_3genE2ELNS1_11target_archE906ELNS1_3gpuE6ELNS1_3repE0EEENS1_30default_config_static_selectorELNS0_4arch9wavefront6targetE1EEEvT1_.num_agpr, 0
	.set _ZN7rocprim17ROCPRIM_400000_NS6detail17trampoline_kernelINS0_14default_configENS1_25partition_config_selectorILNS1_17partition_subalgoE9EllbEEZZNS1_14partition_implILS5_9ELb0ES3_jPlS8_PNS0_10empty_typeENS0_5tupleIJS8_S9_EEENSB_IJS8_SA_EEENS0_18inequality_wrapperIZN2at6native12_GLOBAL__N_124unique_dim_cuda_templateIaEESt5tupleIJNSF_6TensorESK_SK_EERKSK_lbbbEUlllE0_EEPmJS9_EEE10hipError_tPvRmT3_T4_T5_T6_T7_T9_mT8_P12ihipStream_tbDpT10_ENKUlT_T0_E_clISt17integral_constantIbLb0EES1A_EEDaS15_S16_EUlS15_E_NS1_11comp_targetILNS1_3genE2ELNS1_11target_archE906ELNS1_3gpuE6ELNS1_3repE0EEENS1_30default_config_static_selectorELNS0_4arch9wavefront6targetE1EEEvT1_.numbered_sgpr, 0
	.set _ZN7rocprim17ROCPRIM_400000_NS6detail17trampoline_kernelINS0_14default_configENS1_25partition_config_selectorILNS1_17partition_subalgoE9EllbEEZZNS1_14partition_implILS5_9ELb0ES3_jPlS8_PNS0_10empty_typeENS0_5tupleIJS8_S9_EEENSB_IJS8_SA_EEENS0_18inequality_wrapperIZN2at6native12_GLOBAL__N_124unique_dim_cuda_templateIaEESt5tupleIJNSF_6TensorESK_SK_EERKSK_lbbbEUlllE0_EEPmJS9_EEE10hipError_tPvRmT3_T4_T5_T6_T7_T9_mT8_P12ihipStream_tbDpT10_ENKUlT_T0_E_clISt17integral_constantIbLb0EES1A_EEDaS15_S16_EUlS15_E_NS1_11comp_targetILNS1_3genE2ELNS1_11target_archE906ELNS1_3gpuE6ELNS1_3repE0EEENS1_30default_config_static_selectorELNS0_4arch9wavefront6targetE1EEEvT1_.num_named_barrier, 0
	.set _ZN7rocprim17ROCPRIM_400000_NS6detail17trampoline_kernelINS0_14default_configENS1_25partition_config_selectorILNS1_17partition_subalgoE9EllbEEZZNS1_14partition_implILS5_9ELb0ES3_jPlS8_PNS0_10empty_typeENS0_5tupleIJS8_S9_EEENSB_IJS8_SA_EEENS0_18inequality_wrapperIZN2at6native12_GLOBAL__N_124unique_dim_cuda_templateIaEESt5tupleIJNSF_6TensorESK_SK_EERKSK_lbbbEUlllE0_EEPmJS9_EEE10hipError_tPvRmT3_T4_T5_T6_T7_T9_mT8_P12ihipStream_tbDpT10_ENKUlT_T0_E_clISt17integral_constantIbLb0EES1A_EEDaS15_S16_EUlS15_E_NS1_11comp_targetILNS1_3genE2ELNS1_11target_archE906ELNS1_3gpuE6ELNS1_3repE0EEENS1_30default_config_static_selectorELNS0_4arch9wavefront6targetE1EEEvT1_.private_seg_size, 0
	.set _ZN7rocprim17ROCPRIM_400000_NS6detail17trampoline_kernelINS0_14default_configENS1_25partition_config_selectorILNS1_17partition_subalgoE9EllbEEZZNS1_14partition_implILS5_9ELb0ES3_jPlS8_PNS0_10empty_typeENS0_5tupleIJS8_S9_EEENSB_IJS8_SA_EEENS0_18inequality_wrapperIZN2at6native12_GLOBAL__N_124unique_dim_cuda_templateIaEESt5tupleIJNSF_6TensorESK_SK_EERKSK_lbbbEUlllE0_EEPmJS9_EEE10hipError_tPvRmT3_T4_T5_T6_T7_T9_mT8_P12ihipStream_tbDpT10_ENKUlT_T0_E_clISt17integral_constantIbLb0EES1A_EEDaS15_S16_EUlS15_E_NS1_11comp_targetILNS1_3genE2ELNS1_11target_archE906ELNS1_3gpuE6ELNS1_3repE0EEENS1_30default_config_static_selectorELNS0_4arch9wavefront6targetE1EEEvT1_.uses_vcc, 0
	.set _ZN7rocprim17ROCPRIM_400000_NS6detail17trampoline_kernelINS0_14default_configENS1_25partition_config_selectorILNS1_17partition_subalgoE9EllbEEZZNS1_14partition_implILS5_9ELb0ES3_jPlS8_PNS0_10empty_typeENS0_5tupleIJS8_S9_EEENSB_IJS8_SA_EEENS0_18inequality_wrapperIZN2at6native12_GLOBAL__N_124unique_dim_cuda_templateIaEESt5tupleIJNSF_6TensorESK_SK_EERKSK_lbbbEUlllE0_EEPmJS9_EEE10hipError_tPvRmT3_T4_T5_T6_T7_T9_mT8_P12ihipStream_tbDpT10_ENKUlT_T0_E_clISt17integral_constantIbLb0EES1A_EEDaS15_S16_EUlS15_E_NS1_11comp_targetILNS1_3genE2ELNS1_11target_archE906ELNS1_3gpuE6ELNS1_3repE0EEENS1_30default_config_static_selectorELNS0_4arch9wavefront6targetE1EEEvT1_.uses_flat_scratch, 0
	.set _ZN7rocprim17ROCPRIM_400000_NS6detail17trampoline_kernelINS0_14default_configENS1_25partition_config_selectorILNS1_17partition_subalgoE9EllbEEZZNS1_14partition_implILS5_9ELb0ES3_jPlS8_PNS0_10empty_typeENS0_5tupleIJS8_S9_EEENSB_IJS8_SA_EEENS0_18inequality_wrapperIZN2at6native12_GLOBAL__N_124unique_dim_cuda_templateIaEESt5tupleIJNSF_6TensorESK_SK_EERKSK_lbbbEUlllE0_EEPmJS9_EEE10hipError_tPvRmT3_T4_T5_T6_T7_T9_mT8_P12ihipStream_tbDpT10_ENKUlT_T0_E_clISt17integral_constantIbLb0EES1A_EEDaS15_S16_EUlS15_E_NS1_11comp_targetILNS1_3genE2ELNS1_11target_archE906ELNS1_3gpuE6ELNS1_3repE0EEENS1_30default_config_static_selectorELNS0_4arch9wavefront6targetE1EEEvT1_.has_dyn_sized_stack, 0
	.set _ZN7rocprim17ROCPRIM_400000_NS6detail17trampoline_kernelINS0_14default_configENS1_25partition_config_selectorILNS1_17partition_subalgoE9EllbEEZZNS1_14partition_implILS5_9ELb0ES3_jPlS8_PNS0_10empty_typeENS0_5tupleIJS8_S9_EEENSB_IJS8_SA_EEENS0_18inequality_wrapperIZN2at6native12_GLOBAL__N_124unique_dim_cuda_templateIaEESt5tupleIJNSF_6TensorESK_SK_EERKSK_lbbbEUlllE0_EEPmJS9_EEE10hipError_tPvRmT3_T4_T5_T6_T7_T9_mT8_P12ihipStream_tbDpT10_ENKUlT_T0_E_clISt17integral_constantIbLb0EES1A_EEDaS15_S16_EUlS15_E_NS1_11comp_targetILNS1_3genE2ELNS1_11target_archE906ELNS1_3gpuE6ELNS1_3repE0EEENS1_30default_config_static_selectorELNS0_4arch9wavefront6targetE1EEEvT1_.has_recursion, 0
	.set _ZN7rocprim17ROCPRIM_400000_NS6detail17trampoline_kernelINS0_14default_configENS1_25partition_config_selectorILNS1_17partition_subalgoE9EllbEEZZNS1_14partition_implILS5_9ELb0ES3_jPlS8_PNS0_10empty_typeENS0_5tupleIJS8_S9_EEENSB_IJS8_SA_EEENS0_18inequality_wrapperIZN2at6native12_GLOBAL__N_124unique_dim_cuda_templateIaEESt5tupleIJNSF_6TensorESK_SK_EERKSK_lbbbEUlllE0_EEPmJS9_EEE10hipError_tPvRmT3_T4_T5_T6_T7_T9_mT8_P12ihipStream_tbDpT10_ENKUlT_T0_E_clISt17integral_constantIbLb0EES1A_EEDaS15_S16_EUlS15_E_NS1_11comp_targetILNS1_3genE2ELNS1_11target_archE906ELNS1_3gpuE6ELNS1_3repE0EEENS1_30default_config_static_selectorELNS0_4arch9wavefront6targetE1EEEvT1_.has_indirect_call, 0
	.section	.AMDGPU.csdata,"",@progbits
; Kernel info:
; codeLenInByte = 0
; TotalNumSgprs: 6
; NumVgprs: 0
; NumAgprs: 0
; TotalNumVgprs: 0
; ScratchSize: 0
; MemoryBound: 0
; FloatMode: 240
; IeeeMode: 1
; LDSByteSize: 0 bytes/workgroup (compile time only)
; SGPRBlocks: 0
; VGPRBlocks: 0
; NumSGPRsForWavesPerEU: 6
; NumVGPRsForWavesPerEU: 1
; AccumOffset: 4
; Occupancy: 8
; WaveLimiterHint : 0
; COMPUTE_PGM_RSRC2:SCRATCH_EN: 0
; COMPUTE_PGM_RSRC2:USER_SGPR: 2
; COMPUTE_PGM_RSRC2:TRAP_HANDLER: 0
; COMPUTE_PGM_RSRC2:TGID_X_EN: 1
; COMPUTE_PGM_RSRC2:TGID_Y_EN: 0
; COMPUTE_PGM_RSRC2:TGID_Z_EN: 0
; COMPUTE_PGM_RSRC2:TIDIG_COMP_CNT: 0
; COMPUTE_PGM_RSRC3_GFX90A:ACCUM_OFFSET: 0
; COMPUTE_PGM_RSRC3_GFX90A:TG_SPLIT: 0
	.section	.text._ZN7rocprim17ROCPRIM_400000_NS6detail17trampoline_kernelINS0_14default_configENS1_25partition_config_selectorILNS1_17partition_subalgoE9EllbEEZZNS1_14partition_implILS5_9ELb0ES3_jPlS8_PNS0_10empty_typeENS0_5tupleIJS8_S9_EEENSB_IJS8_SA_EEENS0_18inequality_wrapperIZN2at6native12_GLOBAL__N_124unique_dim_cuda_templateIaEESt5tupleIJNSF_6TensorESK_SK_EERKSK_lbbbEUlllE0_EEPmJS9_EEE10hipError_tPvRmT3_T4_T5_T6_T7_T9_mT8_P12ihipStream_tbDpT10_ENKUlT_T0_E_clISt17integral_constantIbLb0EES1A_EEDaS15_S16_EUlS15_E_NS1_11comp_targetILNS1_3genE10ELNS1_11target_archE1200ELNS1_3gpuE4ELNS1_3repE0EEENS1_30default_config_static_selectorELNS0_4arch9wavefront6targetE1EEEvT1_,"axG",@progbits,_ZN7rocprim17ROCPRIM_400000_NS6detail17trampoline_kernelINS0_14default_configENS1_25partition_config_selectorILNS1_17partition_subalgoE9EllbEEZZNS1_14partition_implILS5_9ELb0ES3_jPlS8_PNS0_10empty_typeENS0_5tupleIJS8_S9_EEENSB_IJS8_SA_EEENS0_18inequality_wrapperIZN2at6native12_GLOBAL__N_124unique_dim_cuda_templateIaEESt5tupleIJNSF_6TensorESK_SK_EERKSK_lbbbEUlllE0_EEPmJS9_EEE10hipError_tPvRmT3_T4_T5_T6_T7_T9_mT8_P12ihipStream_tbDpT10_ENKUlT_T0_E_clISt17integral_constantIbLb0EES1A_EEDaS15_S16_EUlS15_E_NS1_11comp_targetILNS1_3genE10ELNS1_11target_archE1200ELNS1_3gpuE4ELNS1_3repE0EEENS1_30default_config_static_selectorELNS0_4arch9wavefront6targetE1EEEvT1_,comdat
	.globl	_ZN7rocprim17ROCPRIM_400000_NS6detail17trampoline_kernelINS0_14default_configENS1_25partition_config_selectorILNS1_17partition_subalgoE9EllbEEZZNS1_14partition_implILS5_9ELb0ES3_jPlS8_PNS0_10empty_typeENS0_5tupleIJS8_S9_EEENSB_IJS8_SA_EEENS0_18inequality_wrapperIZN2at6native12_GLOBAL__N_124unique_dim_cuda_templateIaEESt5tupleIJNSF_6TensorESK_SK_EERKSK_lbbbEUlllE0_EEPmJS9_EEE10hipError_tPvRmT3_T4_T5_T6_T7_T9_mT8_P12ihipStream_tbDpT10_ENKUlT_T0_E_clISt17integral_constantIbLb0EES1A_EEDaS15_S16_EUlS15_E_NS1_11comp_targetILNS1_3genE10ELNS1_11target_archE1200ELNS1_3gpuE4ELNS1_3repE0EEENS1_30default_config_static_selectorELNS0_4arch9wavefront6targetE1EEEvT1_ ; -- Begin function _ZN7rocprim17ROCPRIM_400000_NS6detail17trampoline_kernelINS0_14default_configENS1_25partition_config_selectorILNS1_17partition_subalgoE9EllbEEZZNS1_14partition_implILS5_9ELb0ES3_jPlS8_PNS0_10empty_typeENS0_5tupleIJS8_S9_EEENSB_IJS8_SA_EEENS0_18inequality_wrapperIZN2at6native12_GLOBAL__N_124unique_dim_cuda_templateIaEESt5tupleIJNSF_6TensorESK_SK_EERKSK_lbbbEUlllE0_EEPmJS9_EEE10hipError_tPvRmT3_T4_T5_T6_T7_T9_mT8_P12ihipStream_tbDpT10_ENKUlT_T0_E_clISt17integral_constantIbLb0EES1A_EEDaS15_S16_EUlS15_E_NS1_11comp_targetILNS1_3genE10ELNS1_11target_archE1200ELNS1_3gpuE4ELNS1_3repE0EEENS1_30default_config_static_selectorELNS0_4arch9wavefront6targetE1EEEvT1_
	.p2align	8
	.type	_ZN7rocprim17ROCPRIM_400000_NS6detail17trampoline_kernelINS0_14default_configENS1_25partition_config_selectorILNS1_17partition_subalgoE9EllbEEZZNS1_14partition_implILS5_9ELb0ES3_jPlS8_PNS0_10empty_typeENS0_5tupleIJS8_S9_EEENSB_IJS8_SA_EEENS0_18inequality_wrapperIZN2at6native12_GLOBAL__N_124unique_dim_cuda_templateIaEESt5tupleIJNSF_6TensorESK_SK_EERKSK_lbbbEUlllE0_EEPmJS9_EEE10hipError_tPvRmT3_T4_T5_T6_T7_T9_mT8_P12ihipStream_tbDpT10_ENKUlT_T0_E_clISt17integral_constantIbLb0EES1A_EEDaS15_S16_EUlS15_E_NS1_11comp_targetILNS1_3genE10ELNS1_11target_archE1200ELNS1_3gpuE4ELNS1_3repE0EEENS1_30default_config_static_selectorELNS0_4arch9wavefront6targetE1EEEvT1_,@function
_ZN7rocprim17ROCPRIM_400000_NS6detail17trampoline_kernelINS0_14default_configENS1_25partition_config_selectorILNS1_17partition_subalgoE9EllbEEZZNS1_14partition_implILS5_9ELb0ES3_jPlS8_PNS0_10empty_typeENS0_5tupleIJS8_S9_EEENSB_IJS8_SA_EEENS0_18inequality_wrapperIZN2at6native12_GLOBAL__N_124unique_dim_cuda_templateIaEESt5tupleIJNSF_6TensorESK_SK_EERKSK_lbbbEUlllE0_EEPmJS9_EEE10hipError_tPvRmT3_T4_T5_T6_T7_T9_mT8_P12ihipStream_tbDpT10_ENKUlT_T0_E_clISt17integral_constantIbLb0EES1A_EEDaS15_S16_EUlS15_E_NS1_11comp_targetILNS1_3genE10ELNS1_11target_archE1200ELNS1_3gpuE4ELNS1_3repE0EEENS1_30default_config_static_selectorELNS0_4arch9wavefront6targetE1EEEvT1_: ; @_ZN7rocprim17ROCPRIM_400000_NS6detail17trampoline_kernelINS0_14default_configENS1_25partition_config_selectorILNS1_17partition_subalgoE9EllbEEZZNS1_14partition_implILS5_9ELb0ES3_jPlS8_PNS0_10empty_typeENS0_5tupleIJS8_S9_EEENSB_IJS8_SA_EEENS0_18inequality_wrapperIZN2at6native12_GLOBAL__N_124unique_dim_cuda_templateIaEESt5tupleIJNSF_6TensorESK_SK_EERKSK_lbbbEUlllE0_EEPmJS9_EEE10hipError_tPvRmT3_T4_T5_T6_T7_T9_mT8_P12ihipStream_tbDpT10_ENKUlT_T0_E_clISt17integral_constantIbLb0EES1A_EEDaS15_S16_EUlS15_E_NS1_11comp_targetILNS1_3genE10ELNS1_11target_archE1200ELNS1_3gpuE4ELNS1_3repE0EEENS1_30default_config_static_selectorELNS0_4arch9wavefront6targetE1EEEvT1_
; %bb.0:
	.section	.rodata,"a",@progbits
	.p2align	6, 0x0
	.amdhsa_kernel _ZN7rocprim17ROCPRIM_400000_NS6detail17trampoline_kernelINS0_14default_configENS1_25partition_config_selectorILNS1_17partition_subalgoE9EllbEEZZNS1_14partition_implILS5_9ELb0ES3_jPlS8_PNS0_10empty_typeENS0_5tupleIJS8_S9_EEENSB_IJS8_SA_EEENS0_18inequality_wrapperIZN2at6native12_GLOBAL__N_124unique_dim_cuda_templateIaEESt5tupleIJNSF_6TensorESK_SK_EERKSK_lbbbEUlllE0_EEPmJS9_EEE10hipError_tPvRmT3_T4_T5_T6_T7_T9_mT8_P12ihipStream_tbDpT10_ENKUlT_T0_E_clISt17integral_constantIbLb0EES1A_EEDaS15_S16_EUlS15_E_NS1_11comp_targetILNS1_3genE10ELNS1_11target_archE1200ELNS1_3gpuE4ELNS1_3repE0EEENS1_30default_config_static_selectorELNS0_4arch9wavefront6targetE1EEEvT1_
		.amdhsa_group_segment_fixed_size 0
		.amdhsa_private_segment_fixed_size 0
		.amdhsa_kernarg_size 120
		.amdhsa_user_sgpr_count 2
		.amdhsa_user_sgpr_dispatch_ptr 0
		.amdhsa_user_sgpr_queue_ptr 0
		.amdhsa_user_sgpr_kernarg_segment_ptr 1
		.amdhsa_user_sgpr_dispatch_id 0
		.amdhsa_user_sgpr_kernarg_preload_length 0
		.amdhsa_user_sgpr_kernarg_preload_offset 0
		.amdhsa_user_sgpr_private_segment_size 0
		.amdhsa_uses_dynamic_stack 0
		.amdhsa_enable_private_segment 0
		.amdhsa_system_sgpr_workgroup_id_x 1
		.amdhsa_system_sgpr_workgroup_id_y 0
		.amdhsa_system_sgpr_workgroup_id_z 0
		.amdhsa_system_sgpr_workgroup_info 0
		.amdhsa_system_vgpr_workitem_id 0
		.amdhsa_next_free_vgpr 1
		.amdhsa_next_free_sgpr 0
		.amdhsa_accum_offset 4
		.amdhsa_reserve_vcc 0
		.amdhsa_float_round_mode_32 0
		.amdhsa_float_round_mode_16_64 0
		.amdhsa_float_denorm_mode_32 3
		.amdhsa_float_denorm_mode_16_64 3
		.amdhsa_dx10_clamp 1
		.amdhsa_ieee_mode 1
		.amdhsa_fp16_overflow 0
		.amdhsa_tg_split 0
		.amdhsa_exception_fp_ieee_invalid_op 0
		.amdhsa_exception_fp_denorm_src 0
		.amdhsa_exception_fp_ieee_div_zero 0
		.amdhsa_exception_fp_ieee_overflow 0
		.amdhsa_exception_fp_ieee_underflow 0
		.amdhsa_exception_fp_ieee_inexact 0
		.amdhsa_exception_int_div_zero 0
	.end_amdhsa_kernel
	.section	.text._ZN7rocprim17ROCPRIM_400000_NS6detail17trampoline_kernelINS0_14default_configENS1_25partition_config_selectorILNS1_17partition_subalgoE9EllbEEZZNS1_14partition_implILS5_9ELb0ES3_jPlS8_PNS0_10empty_typeENS0_5tupleIJS8_S9_EEENSB_IJS8_SA_EEENS0_18inequality_wrapperIZN2at6native12_GLOBAL__N_124unique_dim_cuda_templateIaEESt5tupleIJNSF_6TensorESK_SK_EERKSK_lbbbEUlllE0_EEPmJS9_EEE10hipError_tPvRmT3_T4_T5_T6_T7_T9_mT8_P12ihipStream_tbDpT10_ENKUlT_T0_E_clISt17integral_constantIbLb0EES1A_EEDaS15_S16_EUlS15_E_NS1_11comp_targetILNS1_3genE10ELNS1_11target_archE1200ELNS1_3gpuE4ELNS1_3repE0EEENS1_30default_config_static_selectorELNS0_4arch9wavefront6targetE1EEEvT1_,"axG",@progbits,_ZN7rocprim17ROCPRIM_400000_NS6detail17trampoline_kernelINS0_14default_configENS1_25partition_config_selectorILNS1_17partition_subalgoE9EllbEEZZNS1_14partition_implILS5_9ELb0ES3_jPlS8_PNS0_10empty_typeENS0_5tupleIJS8_S9_EEENSB_IJS8_SA_EEENS0_18inequality_wrapperIZN2at6native12_GLOBAL__N_124unique_dim_cuda_templateIaEESt5tupleIJNSF_6TensorESK_SK_EERKSK_lbbbEUlllE0_EEPmJS9_EEE10hipError_tPvRmT3_T4_T5_T6_T7_T9_mT8_P12ihipStream_tbDpT10_ENKUlT_T0_E_clISt17integral_constantIbLb0EES1A_EEDaS15_S16_EUlS15_E_NS1_11comp_targetILNS1_3genE10ELNS1_11target_archE1200ELNS1_3gpuE4ELNS1_3repE0EEENS1_30default_config_static_selectorELNS0_4arch9wavefront6targetE1EEEvT1_,comdat
.Lfunc_end356:
	.size	_ZN7rocprim17ROCPRIM_400000_NS6detail17trampoline_kernelINS0_14default_configENS1_25partition_config_selectorILNS1_17partition_subalgoE9EllbEEZZNS1_14partition_implILS5_9ELb0ES3_jPlS8_PNS0_10empty_typeENS0_5tupleIJS8_S9_EEENSB_IJS8_SA_EEENS0_18inequality_wrapperIZN2at6native12_GLOBAL__N_124unique_dim_cuda_templateIaEESt5tupleIJNSF_6TensorESK_SK_EERKSK_lbbbEUlllE0_EEPmJS9_EEE10hipError_tPvRmT3_T4_T5_T6_T7_T9_mT8_P12ihipStream_tbDpT10_ENKUlT_T0_E_clISt17integral_constantIbLb0EES1A_EEDaS15_S16_EUlS15_E_NS1_11comp_targetILNS1_3genE10ELNS1_11target_archE1200ELNS1_3gpuE4ELNS1_3repE0EEENS1_30default_config_static_selectorELNS0_4arch9wavefront6targetE1EEEvT1_, .Lfunc_end356-_ZN7rocprim17ROCPRIM_400000_NS6detail17trampoline_kernelINS0_14default_configENS1_25partition_config_selectorILNS1_17partition_subalgoE9EllbEEZZNS1_14partition_implILS5_9ELb0ES3_jPlS8_PNS0_10empty_typeENS0_5tupleIJS8_S9_EEENSB_IJS8_SA_EEENS0_18inequality_wrapperIZN2at6native12_GLOBAL__N_124unique_dim_cuda_templateIaEESt5tupleIJNSF_6TensorESK_SK_EERKSK_lbbbEUlllE0_EEPmJS9_EEE10hipError_tPvRmT3_T4_T5_T6_T7_T9_mT8_P12ihipStream_tbDpT10_ENKUlT_T0_E_clISt17integral_constantIbLb0EES1A_EEDaS15_S16_EUlS15_E_NS1_11comp_targetILNS1_3genE10ELNS1_11target_archE1200ELNS1_3gpuE4ELNS1_3repE0EEENS1_30default_config_static_selectorELNS0_4arch9wavefront6targetE1EEEvT1_
                                        ; -- End function
	.set _ZN7rocprim17ROCPRIM_400000_NS6detail17trampoline_kernelINS0_14default_configENS1_25partition_config_selectorILNS1_17partition_subalgoE9EllbEEZZNS1_14partition_implILS5_9ELb0ES3_jPlS8_PNS0_10empty_typeENS0_5tupleIJS8_S9_EEENSB_IJS8_SA_EEENS0_18inequality_wrapperIZN2at6native12_GLOBAL__N_124unique_dim_cuda_templateIaEESt5tupleIJNSF_6TensorESK_SK_EERKSK_lbbbEUlllE0_EEPmJS9_EEE10hipError_tPvRmT3_T4_T5_T6_T7_T9_mT8_P12ihipStream_tbDpT10_ENKUlT_T0_E_clISt17integral_constantIbLb0EES1A_EEDaS15_S16_EUlS15_E_NS1_11comp_targetILNS1_3genE10ELNS1_11target_archE1200ELNS1_3gpuE4ELNS1_3repE0EEENS1_30default_config_static_selectorELNS0_4arch9wavefront6targetE1EEEvT1_.num_vgpr, 0
	.set _ZN7rocprim17ROCPRIM_400000_NS6detail17trampoline_kernelINS0_14default_configENS1_25partition_config_selectorILNS1_17partition_subalgoE9EllbEEZZNS1_14partition_implILS5_9ELb0ES3_jPlS8_PNS0_10empty_typeENS0_5tupleIJS8_S9_EEENSB_IJS8_SA_EEENS0_18inequality_wrapperIZN2at6native12_GLOBAL__N_124unique_dim_cuda_templateIaEESt5tupleIJNSF_6TensorESK_SK_EERKSK_lbbbEUlllE0_EEPmJS9_EEE10hipError_tPvRmT3_T4_T5_T6_T7_T9_mT8_P12ihipStream_tbDpT10_ENKUlT_T0_E_clISt17integral_constantIbLb0EES1A_EEDaS15_S16_EUlS15_E_NS1_11comp_targetILNS1_3genE10ELNS1_11target_archE1200ELNS1_3gpuE4ELNS1_3repE0EEENS1_30default_config_static_selectorELNS0_4arch9wavefront6targetE1EEEvT1_.num_agpr, 0
	.set _ZN7rocprim17ROCPRIM_400000_NS6detail17trampoline_kernelINS0_14default_configENS1_25partition_config_selectorILNS1_17partition_subalgoE9EllbEEZZNS1_14partition_implILS5_9ELb0ES3_jPlS8_PNS0_10empty_typeENS0_5tupleIJS8_S9_EEENSB_IJS8_SA_EEENS0_18inequality_wrapperIZN2at6native12_GLOBAL__N_124unique_dim_cuda_templateIaEESt5tupleIJNSF_6TensorESK_SK_EERKSK_lbbbEUlllE0_EEPmJS9_EEE10hipError_tPvRmT3_T4_T5_T6_T7_T9_mT8_P12ihipStream_tbDpT10_ENKUlT_T0_E_clISt17integral_constantIbLb0EES1A_EEDaS15_S16_EUlS15_E_NS1_11comp_targetILNS1_3genE10ELNS1_11target_archE1200ELNS1_3gpuE4ELNS1_3repE0EEENS1_30default_config_static_selectorELNS0_4arch9wavefront6targetE1EEEvT1_.numbered_sgpr, 0
	.set _ZN7rocprim17ROCPRIM_400000_NS6detail17trampoline_kernelINS0_14default_configENS1_25partition_config_selectorILNS1_17partition_subalgoE9EllbEEZZNS1_14partition_implILS5_9ELb0ES3_jPlS8_PNS0_10empty_typeENS0_5tupleIJS8_S9_EEENSB_IJS8_SA_EEENS0_18inequality_wrapperIZN2at6native12_GLOBAL__N_124unique_dim_cuda_templateIaEESt5tupleIJNSF_6TensorESK_SK_EERKSK_lbbbEUlllE0_EEPmJS9_EEE10hipError_tPvRmT3_T4_T5_T6_T7_T9_mT8_P12ihipStream_tbDpT10_ENKUlT_T0_E_clISt17integral_constantIbLb0EES1A_EEDaS15_S16_EUlS15_E_NS1_11comp_targetILNS1_3genE10ELNS1_11target_archE1200ELNS1_3gpuE4ELNS1_3repE0EEENS1_30default_config_static_selectorELNS0_4arch9wavefront6targetE1EEEvT1_.num_named_barrier, 0
	.set _ZN7rocprim17ROCPRIM_400000_NS6detail17trampoline_kernelINS0_14default_configENS1_25partition_config_selectorILNS1_17partition_subalgoE9EllbEEZZNS1_14partition_implILS5_9ELb0ES3_jPlS8_PNS0_10empty_typeENS0_5tupleIJS8_S9_EEENSB_IJS8_SA_EEENS0_18inequality_wrapperIZN2at6native12_GLOBAL__N_124unique_dim_cuda_templateIaEESt5tupleIJNSF_6TensorESK_SK_EERKSK_lbbbEUlllE0_EEPmJS9_EEE10hipError_tPvRmT3_T4_T5_T6_T7_T9_mT8_P12ihipStream_tbDpT10_ENKUlT_T0_E_clISt17integral_constantIbLb0EES1A_EEDaS15_S16_EUlS15_E_NS1_11comp_targetILNS1_3genE10ELNS1_11target_archE1200ELNS1_3gpuE4ELNS1_3repE0EEENS1_30default_config_static_selectorELNS0_4arch9wavefront6targetE1EEEvT1_.private_seg_size, 0
	.set _ZN7rocprim17ROCPRIM_400000_NS6detail17trampoline_kernelINS0_14default_configENS1_25partition_config_selectorILNS1_17partition_subalgoE9EllbEEZZNS1_14partition_implILS5_9ELb0ES3_jPlS8_PNS0_10empty_typeENS0_5tupleIJS8_S9_EEENSB_IJS8_SA_EEENS0_18inequality_wrapperIZN2at6native12_GLOBAL__N_124unique_dim_cuda_templateIaEESt5tupleIJNSF_6TensorESK_SK_EERKSK_lbbbEUlllE0_EEPmJS9_EEE10hipError_tPvRmT3_T4_T5_T6_T7_T9_mT8_P12ihipStream_tbDpT10_ENKUlT_T0_E_clISt17integral_constantIbLb0EES1A_EEDaS15_S16_EUlS15_E_NS1_11comp_targetILNS1_3genE10ELNS1_11target_archE1200ELNS1_3gpuE4ELNS1_3repE0EEENS1_30default_config_static_selectorELNS0_4arch9wavefront6targetE1EEEvT1_.uses_vcc, 0
	.set _ZN7rocprim17ROCPRIM_400000_NS6detail17trampoline_kernelINS0_14default_configENS1_25partition_config_selectorILNS1_17partition_subalgoE9EllbEEZZNS1_14partition_implILS5_9ELb0ES3_jPlS8_PNS0_10empty_typeENS0_5tupleIJS8_S9_EEENSB_IJS8_SA_EEENS0_18inequality_wrapperIZN2at6native12_GLOBAL__N_124unique_dim_cuda_templateIaEESt5tupleIJNSF_6TensorESK_SK_EERKSK_lbbbEUlllE0_EEPmJS9_EEE10hipError_tPvRmT3_T4_T5_T6_T7_T9_mT8_P12ihipStream_tbDpT10_ENKUlT_T0_E_clISt17integral_constantIbLb0EES1A_EEDaS15_S16_EUlS15_E_NS1_11comp_targetILNS1_3genE10ELNS1_11target_archE1200ELNS1_3gpuE4ELNS1_3repE0EEENS1_30default_config_static_selectorELNS0_4arch9wavefront6targetE1EEEvT1_.uses_flat_scratch, 0
	.set _ZN7rocprim17ROCPRIM_400000_NS6detail17trampoline_kernelINS0_14default_configENS1_25partition_config_selectorILNS1_17partition_subalgoE9EllbEEZZNS1_14partition_implILS5_9ELb0ES3_jPlS8_PNS0_10empty_typeENS0_5tupleIJS8_S9_EEENSB_IJS8_SA_EEENS0_18inequality_wrapperIZN2at6native12_GLOBAL__N_124unique_dim_cuda_templateIaEESt5tupleIJNSF_6TensorESK_SK_EERKSK_lbbbEUlllE0_EEPmJS9_EEE10hipError_tPvRmT3_T4_T5_T6_T7_T9_mT8_P12ihipStream_tbDpT10_ENKUlT_T0_E_clISt17integral_constantIbLb0EES1A_EEDaS15_S16_EUlS15_E_NS1_11comp_targetILNS1_3genE10ELNS1_11target_archE1200ELNS1_3gpuE4ELNS1_3repE0EEENS1_30default_config_static_selectorELNS0_4arch9wavefront6targetE1EEEvT1_.has_dyn_sized_stack, 0
	.set _ZN7rocprim17ROCPRIM_400000_NS6detail17trampoline_kernelINS0_14default_configENS1_25partition_config_selectorILNS1_17partition_subalgoE9EllbEEZZNS1_14partition_implILS5_9ELb0ES3_jPlS8_PNS0_10empty_typeENS0_5tupleIJS8_S9_EEENSB_IJS8_SA_EEENS0_18inequality_wrapperIZN2at6native12_GLOBAL__N_124unique_dim_cuda_templateIaEESt5tupleIJNSF_6TensorESK_SK_EERKSK_lbbbEUlllE0_EEPmJS9_EEE10hipError_tPvRmT3_T4_T5_T6_T7_T9_mT8_P12ihipStream_tbDpT10_ENKUlT_T0_E_clISt17integral_constantIbLb0EES1A_EEDaS15_S16_EUlS15_E_NS1_11comp_targetILNS1_3genE10ELNS1_11target_archE1200ELNS1_3gpuE4ELNS1_3repE0EEENS1_30default_config_static_selectorELNS0_4arch9wavefront6targetE1EEEvT1_.has_recursion, 0
	.set _ZN7rocprim17ROCPRIM_400000_NS6detail17trampoline_kernelINS0_14default_configENS1_25partition_config_selectorILNS1_17partition_subalgoE9EllbEEZZNS1_14partition_implILS5_9ELb0ES3_jPlS8_PNS0_10empty_typeENS0_5tupleIJS8_S9_EEENSB_IJS8_SA_EEENS0_18inequality_wrapperIZN2at6native12_GLOBAL__N_124unique_dim_cuda_templateIaEESt5tupleIJNSF_6TensorESK_SK_EERKSK_lbbbEUlllE0_EEPmJS9_EEE10hipError_tPvRmT3_T4_T5_T6_T7_T9_mT8_P12ihipStream_tbDpT10_ENKUlT_T0_E_clISt17integral_constantIbLb0EES1A_EEDaS15_S16_EUlS15_E_NS1_11comp_targetILNS1_3genE10ELNS1_11target_archE1200ELNS1_3gpuE4ELNS1_3repE0EEENS1_30default_config_static_selectorELNS0_4arch9wavefront6targetE1EEEvT1_.has_indirect_call, 0
	.section	.AMDGPU.csdata,"",@progbits
; Kernel info:
; codeLenInByte = 0
; TotalNumSgprs: 6
; NumVgprs: 0
; NumAgprs: 0
; TotalNumVgprs: 0
; ScratchSize: 0
; MemoryBound: 0
; FloatMode: 240
; IeeeMode: 1
; LDSByteSize: 0 bytes/workgroup (compile time only)
; SGPRBlocks: 0
; VGPRBlocks: 0
; NumSGPRsForWavesPerEU: 6
; NumVGPRsForWavesPerEU: 1
; AccumOffset: 4
; Occupancy: 8
; WaveLimiterHint : 0
; COMPUTE_PGM_RSRC2:SCRATCH_EN: 0
; COMPUTE_PGM_RSRC2:USER_SGPR: 2
; COMPUTE_PGM_RSRC2:TRAP_HANDLER: 0
; COMPUTE_PGM_RSRC2:TGID_X_EN: 1
; COMPUTE_PGM_RSRC2:TGID_Y_EN: 0
; COMPUTE_PGM_RSRC2:TGID_Z_EN: 0
; COMPUTE_PGM_RSRC2:TIDIG_COMP_CNT: 0
; COMPUTE_PGM_RSRC3_GFX90A:ACCUM_OFFSET: 0
; COMPUTE_PGM_RSRC3_GFX90A:TG_SPLIT: 0
	.section	.text._ZN7rocprim17ROCPRIM_400000_NS6detail17trampoline_kernelINS0_14default_configENS1_25partition_config_selectorILNS1_17partition_subalgoE9EllbEEZZNS1_14partition_implILS5_9ELb0ES3_jPlS8_PNS0_10empty_typeENS0_5tupleIJS8_S9_EEENSB_IJS8_SA_EEENS0_18inequality_wrapperIZN2at6native12_GLOBAL__N_124unique_dim_cuda_templateIaEESt5tupleIJNSF_6TensorESK_SK_EERKSK_lbbbEUlllE0_EEPmJS9_EEE10hipError_tPvRmT3_T4_T5_T6_T7_T9_mT8_P12ihipStream_tbDpT10_ENKUlT_T0_E_clISt17integral_constantIbLb0EES1A_EEDaS15_S16_EUlS15_E_NS1_11comp_targetILNS1_3genE9ELNS1_11target_archE1100ELNS1_3gpuE3ELNS1_3repE0EEENS1_30default_config_static_selectorELNS0_4arch9wavefront6targetE1EEEvT1_,"axG",@progbits,_ZN7rocprim17ROCPRIM_400000_NS6detail17trampoline_kernelINS0_14default_configENS1_25partition_config_selectorILNS1_17partition_subalgoE9EllbEEZZNS1_14partition_implILS5_9ELb0ES3_jPlS8_PNS0_10empty_typeENS0_5tupleIJS8_S9_EEENSB_IJS8_SA_EEENS0_18inequality_wrapperIZN2at6native12_GLOBAL__N_124unique_dim_cuda_templateIaEESt5tupleIJNSF_6TensorESK_SK_EERKSK_lbbbEUlllE0_EEPmJS9_EEE10hipError_tPvRmT3_T4_T5_T6_T7_T9_mT8_P12ihipStream_tbDpT10_ENKUlT_T0_E_clISt17integral_constantIbLb0EES1A_EEDaS15_S16_EUlS15_E_NS1_11comp_targetILNS1_3genE9ELNS1_11target_archE1100ELNS1_3gpuE3ELNS1_3repE0EEENS1_30default_config_static_selectorELNS0_4arch9wavefront6targetE1EEEvT1_,comdat
	.globl	_ZN7rocprim17ROCPRIM_400000_NS6detail17trampoline_kernelINS0_14default_configENS1_25partition_config_selectorILNS1_17partition_subalgoE9EllbEEZZNS1_14partition_implILS5_9ELb0ES3_jPlS8_PNS0_10empty_typeENS0_5tupleIJS8_S9_EEENSB_IJS8_SA_EEENS0_18inequality_wrapperIZN2at6native12_GLOBAL__N_124unique_dim_cuda_templateIaEESt5tupleIJNSF_6TensorESK_SK_EERKSK_lbbbEUlllE0_EEPmJS9_EEE10hipError_tPvRmT3_T4_T5_T6_T7_T9_mT8_P12ihipStream_tbDpT10_ENKUlT_T0_E_clISt17integral_constantIbLb0EES1A_EEDaS15_S16_EUlS15_E_NS1_11comp_targetILNS1_3genE9ELNS1_11target_archE1100ELNS1_3gpuE3ELNS1_3repE0EEENS1_30default_config_static_selectorELNS0_4arch9wavefront6targetE1EEEvT1_ ; -- Begin function _ZN7rocprim17ROCPRIM_400000_NS6detail17trampoline_kernelINS0_14default_configENS1_25partition_config_selectorILNS1_17partition_subalgoE9EllbEEZZNS1_14partition_implILS5_9ELb0ES3_jPlS8_PNS0_10empty_typeENS0_5tupleIJS8_S9_EEENSB_IJS8_SA_EEENS0_18inequality_wrapperIZN2at6native12_GLOBAL__N_124unique_dim_cuda_templateIaEESt5tupleIJNSF_6TensorESK_SK_EERKSK_lbbbEUlllE0_EEPmJS9_EEE10hipError_tPvRmT3_T4_T5_T6_T7_T9_mT8_P12ihipStream_tbDpT10_ENKUlT_T0_E_clISt17integral_constantIbLb0EES1A_EEDaS15_S16_EUlS15_E_NS1_11comp_targetILNS1_3genE9ELNS1_11target_archE1100ELNS1_3gpuE3ELNS1_3repE0EEENS1_30default_config_static_selectorELNS0_4arch9wavefront6targetE1EEEvT1_
	.p2align	8
	.type	_ZN7rocprim17ROCPRIM_400000_NS6detail17trampoline_kernelINS0_14default_configENS1_25partition_config_selectorILNS1_17partition_subalgoE9EllbEEZZNS1_14partition_implILS5_9ELb0ES3_jPlS8_PNS0_10empty_typeENS0_5tupleIJS8_S9_EEENSB_IJS8_SA_EEENS0_18inequality_wrapperIZN2at6native12_GLOBAL__N_124unique_dim_cuda_templateIaEESt5tupleIJNSF_6TensorESK_SK_EERKSK_lbbbEUlllE0_EEPmJS9_EEE10hipError_tPvRmT3_T4_T5_T6_T7_T9_mT8_P12ihipStream_tbDpT10_ENKUlT_T0_E_clISt17integral_constantIbLb0EES1A_EEDaS15_S16_EUlS15_E_NS1_11comp_targetILNS1_3genE9ELNS1_11target_archE1100ELNS1_3gpuE3ELNS1_3repE0EEENS1_30default_config_static_selectorELNS0_4arch9wavefront6targetE1EEEvT1_,@function
_ZN7rocprim17ROCPRIM_400000_NS6detail17trampoline_kernelINS0_14default_configENS1_25partition_config_selectorILNS1_17partition_subalgoE9EllbEEZZNS1_14partition_implILS5_9ELb0ES3_jPlS8_PNS0_10empty_typeENS0_5tupleIJS8_S9_EEENSB_IJS8_SA_EEENS0_18inequality_wrapperIZN2at6native12_GLOBAL__N_124unique_dim_cuda_templateIaEESt5tupleIJNSF_6TensorESK_SK_EERKSK_lbbbEUlllE0_EEPmJS9_EEE10hipError_tPvRmT3_T4_T5_T6_T7_T9_mT8_P12ihipStream_tbDpT10_ENKUlT_T0_E_clISt17integral_constantIbLb0EES1A_EEDaS15_S16_EUlS15_E_NS1_11comp_targetILNS1_3genE9ELNS1_11target_archE1100ELNS1_3gpuE3ELNS1_3repE0EEENS1_30default_config_static_selectorELNS0_4arch9wavefront6targetE1EEEvT1_: ; @_ZN7rocprim17ROCPRIM_400000_NS6detail17trampoline_kernelINS0_14default_configENS1_25partition_config_selectorILNS1_17partition_subalgoE9EllbEEZZNS1_14partition_implILS5_9ELb0ES3_jPlS8_PNS0_10empty_typeENS0_5tupleIJS8_S9_EEENSB_IJS8_SA_EEENS0_18inequality_wrapperIZN2at6native12_GLOBAL__N_124unique_dim_cuda_templateIaEESt5tupleIJNSF_6TensorESK_SK_EERKSK_lbbbEUlllE0_EEPmJS9_EEE10hipError_tPvRmT3_T4_T5_T6_T7_T9_mT8_P12ihipStream_tbDpT10_ENKUlT_T0_E_clISt17integral_constantIbLb0EES1A_EEDaS15_S16_EUlS15_E_NS1_11comp_targetILNS1_3genE9ELNS1_11target_archE1100ELNS1_3gpuE3ELNS1_3repE0EEENS1_30default_config_static_selectorELNS0_4arch9wavefront6targetE1EEEvT1_
; %bb.0:
	.section	.rodata,"a",@progbits
	.p2align	6, 0x0
	.amdhsa_kernel _ZN7rocprim17ROCPRIM_400000_NS6detail17trampoline_kernelINS0_14default_configENS1_25partition_config_selectorILNS1_17partition_subalgoE9EllbEEZZNS1_14partition_implILS5_9ELb0ES3_jPlS8_PNS0_10empty_typeENS0_5tupleIJS8_S9_EEENSB_IJS8_SA_EEENS0_18inequality_wrapperIZN2at6native12_GLOBAL__N_124unique_dim_cuda_templateIaEESt5tupleIJNSF_6TensorESK_SK_EERKSK_lbbbEUlllE0_EEPmJS9_EEE10hipError_tPvRmT3_T4_T5_T6_T7_T9_mT8_P12ihipStream_tbDpT10_ENKUlT_T0_E_clISt17integral_constantIbLb0EES1A_EEDaS15_S16_EUlS15_E_NS1_11comp_targetILNS1_3genE9ELNS1_11target_archE1100ELNS1_3gpuE3ELNS1_3repE0EEENS1_30default_config_static_selectorELNS0_4arch9wavefront6targetE1EEEvT1_
		.amdhsa_group_segment_fixed_size 0
		.amdhsa_private_segment_fixed_size 0
		.amdhsa_kernarg_size 120
		.amdhsa_user_sgpr_count 2
		.amdhsa_user_sgpr_dispatch_ptr 0
		.amdhsa_user_sgpr_queue_ptr 0
		.amdhsa_user_sgpr_kernarg_segment_ptr 1
		.amdhsa_user_sgpr_dispatch_id 0
		.amdhsa_user_sgpr_kernarg_preload_length 0
		.amdhsa_user_sgpr_kernarg_preload_offset 0
		.amdhsa_user_sgpr_private_segment_size 0
		.amdhsa_uses_dynamic_stack 0
		.amdhsa_enable_private_segment 0
		.amdhsa_system_sgpr_workgroup_id_x 1
		.amdhsa_system_sgpr_workgroup_id_y 0
		.amdhsa_system_sgpr_workgroup_id_z 0
		.amdhsa_system_sgpr_workgroup_info 0
		.amdhsa_system_vgpr_workitem_id 0
		.amdhsa_next_free_vgpr 1
		.amdhsa_next_free_sgpr 0
		.amdhsa_accum_offset 4
		.amdhsa_reserve_vcc 0
		.amdhsa_float_round_mode_32 0
		.amdhsa_float_round_mode_16_64 0
		.amdhsa_float_denorm_mode_32 3
		.amdhsa_float_denorm_mode_16_64 3
		.amdhsa_dx10_clamp 1
		.amdhsa_ieee_mode 1
		.amdhsa_fp16_overflow 0
		.amdhsa_tg_split 0
		.amdhsa_exception_fp_ieee_invalid_op 0
		.amdhsa_exception_fp_denorm_src 0
		.amdhsa_exception_fp_ieee_div_zero 0
		.amdhsa_exception_fp_ieee_overflow 0
		.amdhsa_exception_fp_ieee_underflow 0
		.amdhsa_exception_fp_ieee_inexact 0
		.amdhsa_exception_int_div_zero 0
	.end_amdhsa_kernel
	.section	.text._ZN7rocprim17ROCPRIM_400000_NS6detail17trampoline_kernelINS0_14default_configENS1_25partition_config_selectorILNS1_17partition_subalgoE9EllbEEZZNS1_14partition_implILS5_9ELb0ES3_jPlS8_PNS0_10empty_typeENS0_5tupleIJS8_S9_EEENSB_IJS8_SA_EEENS0_18inequality_wrapperIZN2at6native12_GLOBAL__N_124unique_dim_cuda_templateIaEESt5tupleIJNSF_6TensorESK_SK_EERKSK_lbbbEUlllE0_EEPmJS9_EEE10hipError_tPvRmT3_T4_T5_T6_T7_T9_mT8_P12ihipStream_tbDpT10_ENKUlT_T0_E_clISt17integral_constantIbLb0EES1A_EEDaS15_S16_EUlS15_E_NS1_11comp_targetILNS1_3genE9ELNS1_11target_archE1100ELNS1_3gpuE3ELNS1_3repE0EEENS1_30default_config_static_selectorELNS0_4arch9wavefront6targetE1EEEvT1_,"axG",@progbits,_ZN7rocprim17ROCPRIM_400000_NS6detail17trampoline_kernelINS0_14default_configENS1_25partition_config_selectorILNS1_17partition_subalgoE9EllbEEZZNS1_14partition_implILS5_9ELb0ES3_jPlS8_PNS0_10empty_typeENS0_5tupleIJS8_S9_EEENSB_IJS8_SA_EEENS0_18inequality_wrapperIZN2at6native12_GLOBAL__N_124unique_dim_cuda_templateIaEESt5tupleIJNSF_6TensorESK_SK_EERKSK_lbbbEUlllE0_EEPmJS9_EEE10hipError_tPvRmT3_T4_T5_T6_T7_T9_mT8_P12ihipStream_tbDpT10_ENKUlT_T0_E_clISt17integral_constantIbLb0EES1A_EEDaS15_S16_EUlS15_E_NS1_11comp_targetILNS1_3genE9ELNS1_11target_archE1100ELNS1_3gpuE3ELNS1_3repE0EEENS1_30default_config_static_selectorELNS0_4arch9wavefront6targetE1EEEvT1_,comdat
.Lfunc_end357:
	.size	_ZN7rocprim17ROCPRIM_400000_NS6detail17trampoline_kernelINS0_14default_configENS1_25partition_config_selectorILNS1_17partition_subalgoE9EllbEEZZNS1_14partition_implILS5_9ELb0ES3_jPlS8_PNS0_10empty_typeENS0_5tupleIJS8_S9_EEENSB_IJS8_SA_EEENS0_18inequality_wrapperIZN2at6native12_GLOBAL__N_124unique_dim_cuda_templateIaEESt5tupleIJNSF_6TensorESK_SK_EERKSK_lbbbEUlllE0_EEPmJS9_EEE10hipError_tPvRmT3_T4_T5_T6_T7_T9_mT8_P12ihipStream_tbDpT10_ENKUlT_T0_E_clISt17integral_constantIbLb0EES1A_EEDaS15_S16_EUlS15_E_NS1_11comp_targetILNS1_3genE9ELNS1_11target_archE1100ELNS1_3gpuE3ELNS1_3repE0EEENS1_30default_config_static_selectorELNS0_4arch9wavefront6targetE1EEEvT1_, .Lfunc_end357-_ZN7rocprim17ROCPRIM_400000_NS6detail17trampoline_kernelINS0_14default_configENS1_25partition_config_selectorILNS1_17partition_subalgoE9EllbEEZZNS1_14partition_implILS5_9ELb0ES3_jPlS8_PNS0_10empty_typeENS0_5tupleIJS8_S9_EEENSB_IJS8_SA_EEENS0_18inequality_wrapperIZN2at6native12_GLOBAL__N_124unique_dim_cuda_templateIaEESt5tupleIJNSF_6TensorESK_SK_EERKSK_lbbbEUlllE0_EEPmJS9_EEE10hipError_tPvRmT3_T4_T5_T6_T7_T9_mT8_P12ihipStream_tbDpT10_ENKUlT_T0_E_clISt17integral_constantIbLb0EES1A_EEDaS15_S16_EUlS15_E_NS1_11comp_targetILNS1_3genE9ELNS1_11target_archE1100ELNS1_3gpuE3ELNS1_3repE0EEENS1_30default_config_static_selectorELNS0_4arch9wavefront6targetE1EEEvT1_
                                        ; -- End function
	.set _ZN7rocprim17ROCPRIM_400000_NS6detail17trampoline_kernelINS0_14default_configENS1_25partition_config_selectorILNS1_17partition_subalgoE9EllbEEZZNS1_14partition_implILS5_9ELb0ES3_jPlS8_PNS0_10empty_typeENS0_5tupleIJS8_S9_EEENSB_IJS8_SA_EEENS0_18inequality_wrapperIZN2at6native12_GLOBAL__N_124unique_dim_cuda_templateIaEESt5tupleIJNSF_6TensorESK_SK_EERKSK_lbbbEUlllE0_EEPmJS9_EEE10hipError_tPvRmT3_T4_T5_T6_T7_T9_mT8_P12ihipStream_tbDpT10_ENKUlT_T0_E_clISt17integral_constantIbLb0EES1A_EEDaS15_S16_EUlS15_E_NS1_11comp_targetILNS1_3genE9ELNS1_11target_archE1100ELNS1_3gpuE3ELNS1_3repE0EEENS1_30default_config_static_selectorELNS0_4arch9wavefront6targetE1EEEvT1_.num_vgpr, 0
	.set _ZN7rocprim17ROCPRIM_400000_NS6detail17trampoline_kernelINS0_14default_configENS1_25partition_config_selectorILNS1_17partition_subalgoE9EllbEEZZNS1_14partition_implILS5_9ELb0ES3_jPlS8_PNS0_10empty_typeENS0_5tupleIJS8_S9_EEENSB_IJS8_SA_EEENS0_18inequality_wrapperIZN2at6native12_GLOBAL__N_124unique_dim_cuda_templateIaEESt5tupleIJNSF_6TensorESK_SK_EERKSK_lbbbEUlllE0_EEPmJS9_EEE10hipError_tPvRmT3_T4_T5_T6_T7_T9_mT8_P12ihipStream_tbDpT10_ENKUlT_T0_E_clISt17integral_constantIbLb0EES1A_EEDaS15_S16_EUlS15_E_NS1_11comp_targetILNS1_3genE9ELNS1_11target_archE1100ELNS1_3gpuE3ELNS1_3repE0EEENS1_30default_config_static_selectorELNS0_4arch9wavefront6targetE1EEEvT1_.num_agpr, 0
	.set _ZN7rocprim17ROCPRIM_400000_NS6detail17trampoline_kernelINS0_14default_configENS1_25partition_config_selectorILNS1_17partition_subalgoE9EllbEEZZNS1_14partition_implILS5_9ELb0ES3_jPlS8_PNS0_10empty_typeENS0_5tupleIJS8_S9_EEENSB_IJS8_SA_EEENS0_18inequality_wrapperIZN2at6native12_GLOBAL__N_124unique_dim_cuda_templateIaEESt5tupleIJNSF_6TensorESK_SK_EERKSK_lbbbEUlllE0_EEPmJS9_EEE10hipError_tPvRmT3_T4_T5_T6_T7_T9_mT8_P12ihipStream_tbDpT10_ENKUlT_T0_E_clISt17integral_constantIbLb0EES1A_EEDaS15_S16_EUlS15_E_NS1_11comp_targetILNS1_3genE9ELNS1_11target_archE1100ELNS1_3gpuE3ELNS1_3repE0EEENS1_30default_config_static_selectorELNS0_4arch9wavefront6targetE1EEEvT1_.numbered_sgpr, 0
	.set _ZN7rocprim17ROCPRIM_400000_NS6detail17trampoline_kernelINS0_14default_configENS1_25partition_config_selectorILNS1_17partition_subalgoE9EllbEEZZNS1_14partition_implILS5_9ELb0ES3_jPlS8_PNS0_10empty_typeENS0_5tupleIJS8_S9_EEENSB_IJS8_SA_EEENS0_18inequality_wrapperIZN2at6native12_GLOBAL__N_124unique_dim_cuda_templateIaEESt5tupleIJNSF_6TensorESK_SK_EERKSK_lbbbEUlllE0_EEPmJS9_EEE10hipError_tPvRmT3_T4_T5_T6_T7_T9_mT8_P12ihipStream_tbDpT10_ENKUlT_T0_E_clISt17integral_constantIbLb0EES1A_EEDaS15_S16_EUlS15_E_NS1_11comp_targetILNS1_3genE9ELNS1_11target_archE1100ELNS1_3gpuE3ELNS1_3repE0EEENS1_30default_config_static_selectorELNS0_4arch9wavefront6targetE1EEEvT1_.num_named_barrier, 0
	.set _ZN7rocprim17ROCPRIM_400000_NS6detail17trampoline_kernelINS0_14default_configENS1_25partition_config_selectorILNS1_17partition_subalgoE9EllbEEZZNS1_14partition_implILS5_9ELb0ES3_jPlS8_PNS0_10empty_typeENS0_5tupleIJS8_S9_EEENSB_IJS8_SA_EEENS0_18inequality_wrapperIZN2at6native12_GLOBAL__N_124unique_dim_cuda_templateIaEESt5tupleIJNSF_6TensorESK_SK_EERKSK_lbbbEUlllE0_EEPmJS9_EEE10hipError_tPvRmT3_T4_T5_T6_T7_T9_mT8_P12ihipStream_tbDpT10_ENKUlT_T0_E_clISt17integral_constantIbLb0EES1A_EEDaS15_S16_EUlS15_E_NS1_11comp_targetILNS1_3genE9ELNS1_11target_archE1100ELNS1_3gpuE3ELNS1_3repE0EEENS1_30default_config_static_selectorELNS0_4arch9wavefront6targetE1EEEvT1_.private_seg_size, 0
	.set _ZN7rocprim17ROCPRIM_400000_NS6detail17trampoline_kernelINS0_14default_configENS1_25partition_config_selectorILNS1_17partition_subalgoE9EllbEEZZNS1_14partition_implILS5_9ELb0ES3_jPlS8_PNS0_10empty_typeENS0_5tupleIJS8_S9_EEENSB_IJS8_SA_EEENS0_18inequality_wrapperIZN2at6native12_GLOBAL__N_124unique_dim_cuda_templateIaEESt5tupleIJNSF_6TensorESK_SK_EERKSK_lbbbEUlllE0_EEPmJS9_EEE10hipError_tPvRmT3_T4_T5_T6_T7_T9_mT8_P12ihipStream_tbDpT10_ENKUlT_T0_E_clISt17integral_constantIbLb0EES1A_EEDaS15_S16_EUlS15_E_NS1_11comp_targetILNS1_3genE9ELNS1_11target_archE1100ELNS1_3gpuE3ELNS1_3repE0EEENS1_30default_config_static_selectorELNS0_4arch9wavefront6targetE1EEEvT1_.uses_vcc, 0
	.set _ZN7rocprim17ROCPRIM_400000_NS6detail17trampoline_kernelINS0_14default_configENS1_25partition_config_selectorILNS1_17partition_subalgoE9EllbEEZZNS1_14partition_implILS5_9ELb0ES3_jPlS8_PNS0_10empty_typeENS0_5tupleIJS8_S9_EEENSB_IJS8_SA_EEENS0_18inequality_wrapperIZN2at6native12_GLOBAL__N_124unique_dim_cuda_templateIaEESt5tupleIJNSF_6TensorESK_SK_EERKSK_lbbbEUlllE0_EEPmJS9_EEE10hipError_tPvRmT3_T4_T5_T6_T7_T9_mT8_P12ihipStream_tbDpT10_ENKUlT_T0_E_clISt17integral_constantIbLb0EES1A_EEDaS15_S16_EUlS15_E_NS1_11comp_targetILNS1_3genE9ELNS1_11target_archE1100ELNS1_3gpuE3ELNS1_3repE0EEENS1_30default_config_static_selectorELNS0_4arch9wavefront6targetE1EEEvT1_.uses_flat_scratch, 0
	.set _ZN7rocprim17ROCPRIM_400000_NS6detail17trampoline_kernelINS0_14default_configENS1_25partition_config_selectorILNS1_17partition_subalgoE9EllbEEZZNS1_14partition_implILS5_9ELb0ES3_jPlS8_PNS0_10empty_typeENS0_5tupleIJS8_S9_EEENSB_IJS8_SA_EEENS0_18inequality_wrapperIZN2at6native12_GLOBAL__N_124unique_dim_cuda_templateIaEESt5tupleIJNSF_6TensorESK_SK_EERKSK_lbbbEUlllE0_EEPmJS9_EEE10hipError_tPvRmT3_T4_T5_T6_T7_T9_mT8_P12ihipStream_tbDpT10_ENKUlT_T0_E_clISt17integral_constantIbLb0EES1A_EEDaS15_S16_EUlS15_E_NS1_11comp_targetILNS1_3genE9ELNS1_11target_archE1100ELNS1_3gpuE3ELNS1_3repE0EEENS1_30default_config_static_selectorELNS0_4arch9wavefront6targetE1EEEvT1_.has_dyn_sized_stack, 0
	.set _ZN7rocprim17ROCPRIM_400000_NS6detail17trampoline_kernelINS0_14default_configENS1_25partition_config_selectorILNS1_17partition_subalgoE9EllbEEZZNS1_14partition_implILS5_9ELb0ES3_jPlS8_PNS0_10empty_typeENS0_5tupleIJS8_S9_EEENSB_IJS8_SA_EEENS0_18inequality_wrapperIZN2at6native12_GLOBAL__N_124unique_dim_cuda_templateIaEESt5tupleIJNSF_6TensorESK_SK_EERKSK_lbbbEUlllE0_EEPmJS9_EEE10hipError_tPvRmT3_T4_T5_T6_T7_T9_mT8_P12ihipStream_tbDpT10_ENKUlT_T0_E_clISt17integral_constantIbLb0EES1A_EEDaS15_S16_EUlS15_E_NS1_11comp_targetILNS1_3genE9ELNS1_11target_archE1100ELNS1_3gpuE3ELNS1_3repE0EEENS1_30default_config_static_selectorELNS0_4arch9wavefront6targetE1EEEvT1_.has_recursion, 0
	.set _ZN7rocprim17ROCPRIM_400000_NS6detail17trampoline_kernelINS0_14default_configENS1_25partition_config_selectorILNS1_17partition_subalgoE9EllbEEZZNS1_14partition_implILS5_9ELb0ES3_jPlS8_PNS0_10empty_typeENS0_5tupleIJS8_S9_EEENSB_IJS8_SA_EEENS0_18inequality_wrapperIZN2at6native12_GLOBAL__N_124unique_dim_cuda_templateIaEESt5tupleIJNSF_6TensorESK_SK_EERKSK_lbbbEUlllE0_EEPmJS9_EEE10hipError_tPvRmT3_T4_T5_T6_T7_T9_mT8_P12ihipStream_tbDpT10_ENKUlT_T0_E_clISt17integral_constantIbLb0EES1A_EEDaS15_S16_EUlS15_E_NS1_11comp_targetILNS1_3genE9ELNS1_11target_archE1100ELNS1_3gpuE3ELNS1_3repE0EEENS1_30default_config_static_selectorELNS0_4arch9wavefront6targetE1EEEvT1_.has_indirect_call, 0
	.section	.AMDGPU.csdata,"",@progbits
; Kernel info:
; codeLenInByte = 0
; TotalNumSgprs: 6
; NumVgprs: 0
; NumAgprs: 0
; TotalNumVgprs: 0
; ScratchSize: 0
; MemoryBound: 0
; FloatMode: 240
; IeeeMode: 1
; LDSByteSize: 0 bytes/workgroup (compile time only)
; SGPRBlocks: 0
; VGPRBlocks: 0
; NumSGPRsForWavesPerEU: 6
; NumVGPRsForWavesPerEU: 1
; AccumOffset: 4
; Occupancy: 8
; WaveLimiterHint : 0
; COMPUTE_PGM_RSRC2:SCRATCH_EN: 0
; COMPUTE_PGM_RSRC2:USER_SGPR: 2
; COMPUTE_PGM_RSRC2:TRAP_HANDLER: 0
; COMPUTE_PGM_RSRC2:TGID_X_EN: 1
; COMPUTE_PGM_RSRC2:TGID_Y_EN: 0
; COMPUTE_PGM_RSRC2:TGID_Z_EN: 0
; COMPUTE_PGM_RSRC2:TIDIG_COMP_CNT: 0
; COMPUTE_PGM_RSRC3_GFX90A:ACCUM_OFFSET: 0
; COMPUTE_PGM_RSRC3_GFX90A:TG_SPLIT: 0
	.section	.text._ZN7rocprim17ROCPRIM_400000_NS6detail17trampoline_kernelINS0_14default_configENS1_25partition_config_selectorILNS1_17partition_subalgoE9EllbEEZZNS1_14partition_implILS5_9ELb0ES3_jPlS8_PNS0_10empty_typeENS0_5tupleIJS8_S9_EEENSB_IJS8_SA_EEENS0_18inequality_wrapperIZN2at6native12_GLOBAL__N_124unique_dim_cuda_templateIaEESt5tupleIJNSF_6TensorESK_SK_EERKSK_lbbbEUlllE0_EEPmJS9_EEE10hipError_tPvRmT3_T4_T5_T6_T7_T9_mT8_P12ihipStream_tbDpT10_ENKUlT_T0_E_clISt17integral_constantIbLb0EES1A_EEDaS15_S16_EUlS15_E_NS1_11comp_targetILNS1_3genE8ELNS1_11target_archE1030ELNS1_3gpuE2ELNS1_3repE0EEENS1_30default_config_static_selectorELNS0_4arch9wavefront6targetE1EEEvT1_,"axG",@progbits,_ZN7rocprim17ROCPRIM_400000_NS6detail17trampoline_kernelINS0_14default_configENS1_25partition_config_selectorILNS1_17partition_subalgoE9EllbEEZZNS1_14partition_implILS5_9ELb0ES3_jPlS8_PNS0_10empty_typeENS0_5tupleIJS8_S9_EEENSB_IJS8_SA_EEENS0_18inequality_wrapperIZN2at6native12_GLOBAL__N_124unique_dim_cuda_templateIaEESt5tupleIJNSF_6TensorESK_SK_EERKSK_lbbbEUlllE0_EEPmJS9_EEE10hipError_tPvRmT3_T4_T5_T6_T7_T9_mT8_P12ihipStream_tbDpT10_ENKUlT_T0_E_clISt17integral_constantIbLb0EES1A_EEDaS15_S16_EUlS15_E_NS1_11comp_targetILNS1_3genE8ELNS1_11target_archE1030ELNS1_3gpuE2ELNS1_3repE0EEENS1_30default_config_static_selectorELNS0_4arch9wavefront6targetE1EEEvT1_,comdat
	.globl	_ZN7rocprim17ROCPRIM_400000_NS6detail17trampoline_kernelINS0_14default_configENS1_25partition_config_selectorILNS1_17partition_subalgoE9EllbEEZZNS1_14partition_implILS5_9ELb0ES3_jPlS8_PNS0_10empty_typeENS0_5tupleIJS8_S9_EEENSB_IJS8_SA_EEENS0_18inequality_wrapperIZN2at6native12_GLOBAL__N_124unique_dim_cuda_templateIaEESt5tupleIJNSF_6TensorESK_SK_EERKSK_lbbbEUlllE0_EEPmJS9_EEE10hipError_tPvRmT3_T4_T5_T6_T7_T9_mT8_P12ihipStream_tbDpT10_ENKUlT_T0_E_clISt17integral_constantIbLb0EES1A_EEDaS15_S16_EUlS15_E_NS1_11comp_targetILNS1_3genE8ELNS1_11target_archE1030ELNS1_3gpuE2ELNS1_3repE0EEENS1_30default_config_static_selectorELNS0_4arch9wavefront6targetE1EEEvT1_ ; -- Begin function _ZN7rocprim17ROCPRIM_400000_NS6detail17trampoline_kernelINS0_14default_configENS1_25partition_config_selectorILNS1_17partition_subalgoE9EllbEEZZNS1_14partition_implILS5_9ELb0ES3_jPlS8_PNS0_10empty_typeENS0_5tupleIJS8_S9_EEENSB_IJS8_SA_EEENS0_18inequality_wrapperIZN2at6native12_GLOBAL__N_124unique_dim_cuda_templateIaEESt5tupleIJNSF_6TensorESK_SK_EERKSK_lbbbEUlllE0_EEPmJS9_EEE10hipError_tPvRmT3_T4_T5_T6_T7_T9_mT8_P12ihipStream_tbDpT10_ENKUlT_T0_E_clISt17integral_constantIbLb0EES1A_EEDaS15_S16_EUlS15_E_NS1_11comp_targetILNS1_3genE8ELNS1_11target_archE1030ELNS1_3gpuE2ELNS1_3repE0EEENS1_30default_config_static_selectorELNS0_4arch9wavefront6targetE1EEEvT1_
	.p2align	8
	.type	_ZN7rocprim17ROCPRIM_400000_NS6detail17trampoline_kernelINS0_14default_configENS1_25partition_config_selectorILNS1_17partition_subalgoE9EllbEEZZNS1_14partition_implILS5_9ELb0ES3_jPlS8_PNS0_10empty_typeENS0_5tupleIJS8_S9_EEENSB_IJS8_SA_EEENS0_18inequality_wrapperIZN2at6native12_GLOBAL__N_124unique_dim_cuda_templateIaEESt5tupleIJNSF_6TensorESK_SK_EERKSK_lbbbEUlllE0_EEPmJS9_EEE10hipError_tPvRmT3_T4_T5_T6_T7_T9_mT8_P12ihipStream_tbDpT10_ENKUlT_T0_E_clISt17integral_constantIbLb0EES1A_EEDaS15_S16_EUlS15_E_NS1_11comp_targetILNS1_3genE8ELNS1_11target_archE1030ELNS1_3gpuE2ELNS1_3repE0EEENS1_30default_config_static_selectorELNS0_4arch9wavefront6targetE1EEEvT1_,@function
_ZN7rocprim17ROCPRIM_400000_NS6detail17trampoline_kernelINS0_14default_configENS1_25partition_config_selectorILNS1_17partition_subalgoE9EllbEEZZNS1_14partition_implILS5_9ELb0ES3_jPlS8_PNS0_10empty_typeENS0_5tupleIJS8_S9_EEENSB_IJS8_SA_EEENS0_18inequality_wrapperIZN2at6native12_GLOBAL__N_124unique_dim_cuda_templateIaEESt5tupleIJNSF_6TensorESK_SK_EERKSK_lbbbEUlllE0_EEPmJS9_EEE10hipError_tPvRmT3_T4_T5_T6_T7_T9_mT8_P12ihipStream_tbDpT10_ENKUlT_T0_E_clISt17integral_constantIbLb0EES1A_EEDaS15_S16_EUlS15_E_NS1_11comp_targetILNS1_3genE8ELNS1_11target_archE1030ELNS1_3gpuE2ELNS1_3repE0EEENS1_30default_config_static_selectorELNS0_4arch9wavefront6targetE1EEEvT1_: ; @_ZN7rocprim17ROCPRIM_400000_NS6detail17trampoline_kernelINS0_14default_configENS1_25partition_config_selectorILNS1_17partition_subalgoE9EllbEEZZNS1_14partition_implILS5_9ELb0ES3_jPlS8_PNS0_10empty_typeENS0_5tupleIJS8_S9_EEENSB_IJS8_SA_EEENS0_18inequality_wrapperIZN2at6native12_GLOBAL__N_124unique_dim_cuda_templateIaEESt5tupleIJNSF_6TensorESK_SK_EERKSK_lbbbEUlllE0_EEPmJS9_EEE10hipError_tPvRmT3_T4_T5_T6_T7_T9_mT8_P12ihipStream_tbDpT10_ENKUlT_T0_E_clISt17integral_constantIbLb0EES1A_EEDaS15_S16_EUlS15_E_NS1_11comp_targetILNS1_3genE8ELNS1_11target_archE1030ELNS1_3gpuE2ELNS1_3repE0EEENS1_30default_config_static_selectorELNS0_4arch9wavefront6targetE1EEEvT1_
; %bb.0:
	.section	.rodata,"a",@progbits
	.p2align	6, 0x0
	.amdhsa_kernel _ZN7rocprim17ROCPRIM_400000_NS6detail17trampoline_kernelINS0_14default_configENS1_25partition_config_selectorILNS1_17partition_subalgoE9EllbEEZZNS1_14partition_implILS5_9ELb0ES3_jPlS8_PNS0_10empty_typeENS0_5tupleIJS8_S9_EEENSB_IJS8_SA_EEENS0_18inequality_wrapperIZN2at6native12_GLOBAL__N_124unique_dim_cuda_templateIaEESt5tupleIJNSF_6TensorESK_SK_EERKSK_lbbbEUlllE0_EEPmJS9_EEE10hipError_tPvRmT3_T4_T5_T6_T7_T9_mT8_P12ihipStream_tbDpT10_ENKUlT_T0_E_clISt17integral_constantIbLb0EES1A_EEDaS15_S16_EUlS15_E_NS1_11comp_targetILNS1_3genE8ELNS1_11target_archE1030ELNS1_3gpuE2ELNS1_3repE0EEENS1_30default_config_static_selectorELNS0_4arch9wavefront6targetE1EEEvT1_
		.amdhsa_group_segment_fixed_size 0
		.amdhsa_private_segment_fixed_size 0
		.amdhsa_kernarg_size 120
		.amdhsa_user_sgpr_count 2
		.amdhsa_user_sgpr_dispatch_ptr 0
		.amdhsa_user_sgpr_queue_ptr 0
		.amdhsa_user_sgpr_kernarg_segment_ptr 1
		.amdhsa_user_sgpr_dispatch_id 0
		.amdhsa_user_sgpr_kernarg_preload_length 0
		.amdhsa_user_sgpr_kernarg_preload_offset 0
		.amdhsa_user_sgpr_private_segment_size 0
		.amdhsa_uses_dynamic_stack 0
		.amdhsa_enable_private_segment 0
		.amdhsa_system_sgpr_workgroup_id_x 1
		.amdhsa_system_sgpr_workgroup_id_y 0
		.amdhsa_system_sgpr_workgroup_id_z 0
		.amdhsa_system_sgpr_workgroup_info 0
		.amdhsa_system_vgpr_workitem_id 0
		.amdhsa_next_free_vgpr 1
		.amdhsa_next_free_sgpr 0
		.amdhsa_accum_offset 4
		.amdhsa_reserve_vcc 0
		.amdhsa_float_round_mode_32 0
		.amdhsa_float_round_mode_16_64 0
		.amdhsa_float_denorm_mode_32 3
		.amdhsa_float_denorm_mode_16_64 3
		.amdhsa_dx10_clamp 1
		.amdhsa_ieee_mode 1
		.amdhsa_fp16_overflow 0
		.amdhsa_tg_split 0
		.amdhsa_exception_fp_ieee_invalid_op 0
		.amdhsa_exception_fp_denorm_src 0
		.amdhsa_exception_fp_ieee_div_zero 0
		.amdhsa_exception_fp_ieee_overflow 0
		.amdhsa_exception_fp_ieee_underflow 0
		.amdhsa_exception_fp_ieee_inexact 0
		.amdhsa_exception_int_div_zero 0
	.end_amdhsa_kernel
	.section	.text._ZN7rocprim17ROCPRIM_400000_NS6detail17trampoline_kernelINS0_14default_configENS1_25partition_config_selectorILNS1_17partition_subalgoE9EllbEEZZNS1_14partition_implILS5_9ELb0ES3_jPlS8_PNS0_10empty_typeENS0_5tupleIJS8_S9_EEENSB_IJS8_SA_EEENS0_18inequality_wrapperIZN2at6native12_GLOBAL__N_124unique_dim_cuda_templateIaEESt5tupleIJNSF_6TensorESK_SK_EERKSK_lbbbEUlllE0_EEPmJS9_EEE10hipError_tPvRmT3_T4_T5_T6_T7_T9_mT8_P12ihipStream_tbDpT10_ENKUlT_T0_E_clISt17integral_constantIbLb0EES1A_EEDaS15_S16_EUlS15_E_NS1_11comp_targetILNS1_3genE8ELNS1_11target_archE1030ELNS1_3gpuE2ELNS1_3repE0EEENS1_30default_config_static_selectorELNS0_4arch9wavefront6targetE1EEEvT1_,"axG",@progbits,_ZN7rocprim17ROCPRIM_400000_NS6detail17trampoline_kernelINS0_14default_configENS1_25partition_config_selectorILNS1_17partition_subalgoE9EllbEEZZNS1_14partition_implILS5_9ELb0ES3_jPlS8_PNS0_10empty_typeENS0_5tupleIJS8_S9_EEENSB_IJS8_SA_EEENS0_18inequality_wrapperIZN2at6native12_GLOBAL__N_124unique_dim_cuda_templateIaEESt5tupleIJNSF_6TensorESK_SK_EERKSK_lbbbEUlllE0_EEPmJS9_EEE10hipError_tPvRmT3_T4_T5_T6_T7_T9_mT8_P12ihipStream_tbDpT10_ENKUlT_T0_E_clISt17integral_constantIbLb0EES1A_EEDaS15_S16_EUlS15_E_NS1_11comp_targetILNS1_3genE8ELNS1_11target_archE1030ELNS1_3gpuE2ELNS1_3repE0EEENS1_30default_config_static_selectorELNS0_4arch9wavefront6targetE1EEEvT1_,comdat
.Lfunc_end358:
	.size	_ZN7rocprim17ROCPRIM_400000_NS6detail17trampoline_kernelINS0_14default_configENS1_25partition_config_selectorILNS1_17partition_subalgoE9EllbEEZZNS1_14partition_implILS5_9ELb0ES3_jPlS8_PNS0_10empty_typeENS0_5tupleIJS8_S9_EEENSB_IJS8_SA_EEENS0_18inequality_wrapperIZN2at6native12_GLOBAL__N_124unique_dim_cuda_templateIaEESt5tupleIJNSF_6TensorESK_SK_EERKSK_lbbbEUlllE0_EEPmJS9_EEE10hipError_tPvRmT3_T4_T5_T6_T7_T9_mT8_P12ihipStream_tbDpT10_ENKUlT_T0_E_clISt17integral_constantIbLb0EES1A_EEDaS15_S16_EUlS15_E_NS1_11comp_targetILNS1_3genE8ELNS1_11target_archE1030ELNS1_3gpuE2ELNS1_3repE0EEENS1_30default_config_static_selectorELNS0_4arch9wavefront6targetE1EEEvT1_, .Lfunc_end358-_ZN7rocprim17ROCPRIM_400000_NS6detail17trampoline_kernelINS0_14default_configENS1_25partition_config_selectorILNS1_17partition_subalgoE9EllbEEZZNS1_14partition_implILS5_9ELb0ES3_jPlS8_PNS0_10empty_typeENS0_5tupleIJS8_S9_EEENSB_IJS8_SA_EEENS0_18inequality_wrapperIZN2at6native12_GLOBAL__N_124unique_dim_cuda_templateIaEESt5tupleIJNSF_6TensorESK_SK_EERKSK_lbbbEUlllE0_EEPmJS9_EEE10hipError_tPvRmT3_T4_T5_T6_T7_T9_mT8_P12ihipStream_tbDpT10_ENKUlT_T0_E_clISt17integral_constantIbLb0EES1A_EEDaS15_S16_EUlS15_E_NS1_11comp_targetILNS1_3genE8ELNS1_11target_archE1030ELNS1_3gpuE2ELNS1_3repE0EEENS1_30default_config_static_selectorELNS0_4arch9wavefront6targetE1EEEvT1_
                                        ; -- End function
	.set _ZN7rocprim17ROCPRIM_400000_NS6detail17trampoline_kernelINS0_14default_configENS1_25partition_config_selectorILNS1_17partition_subalgoE9EllbEEZZNS1_14partition_implILS5_9ELb0ES3_jPlS8_PNS0_10empty_typeENS0_5tupleIJS8_S9_EEENSB_IJS8_SA_EEENS0_18inequality_wrapperIZN2at6native12_GLOBAL__N_124unique_dim_cuda_templateIaEESt5tupleIJNSF_6TensorESK_SK_EERKSK_lbbbEUlllE0_EEPmJS9_EEE10hipError_tPvRmT3_T4_T5_T6_T7_T9_mT8_P12ihipStream_tbDpT10_ENKUlT_T0_E_clISt17integral_constantIbLb0EES1A_EEDaS15_S16_EUlS15_E_NS1_11comp_targetILNS1_3genE8ELNS1_11target_archE1030ELNS1_3gpuE2ELNS1_3repE0EEENS1_30default_config_static_selectorELNS0_4arch9wavefront6targetE1EEEvT1_.num_vgpr, 0
	.set _ZN7rocprim17ROCPRIM_400000_NS6detail17trampoline_kernelINS0_14default_configENS1_25partition_config_selectorILNS1_17partition_subalgoE9EllbEEZZNS1_14partition_implILS5_9ELb0ES3_jPlS8_PNS0_10empty_typeENS0_5tupleIJS8_S9_EEENSB_IJS8_SA_EEENS0_18inequality_wrapperIZN2at6native12_GLOBAL__N_124unique_dim_cuda_templateIaEESt5tupleIJNSF_6TensorESK_SK_EERKSK_lbbbEUlllE0_EEPmJS9_EEE10hipError_tPvRmT3_T4_T5_T6_T7_T9_mT8_P12ihipStream_tbDpT10_ENKUlT_T0_E_clISt17integral_constantIbLb0EES1A_EEDaS15_S16_EUlS15_E_NS1_11comp_targetILNS1_3genE8ELNS1_11target_archE1030ELNS1_3gpuE2ELNS1_3repE0EEENS1_30default_config_static_selectorELNS0_4arch9wavefront6targetE1EEEvT1_.num_agpr, 0
	.set _ZN7rocprim17ROCPRIM_400000_NS6detail17trampoline_kernelINS0_14default_configENS1_25partition_config_selectorILNS1_17partition_subalgoE9EllbEEZZNS1_14partition_implILS5_9ELb0ES3_jPlS8_PNS0_10empty_typeENS0_5tupleIJS8_S9_EEENSB_IJS8_SA_EEENS0_18inequality_wrapperIZN2at6native12_GLOBAL__N_124unique_dim_cuda_templateIaEESt5tupleIJNSF_6TensorESK_SK_EERKSK_lbbbEUlllE0_EEPmJS9_EEE10hipError_tPvRmT3_T4_T5_T6_T7_T9_mT8_P12ihipStream_tbDpT10_ENKUlT_T0_E_clISt17integral_constantIbLb0EES1A_EEDaS15_S16_EUlS15_E_NS1_11comp_targetILNS1_3genE8ELNS1_11target_archE1030ELNS1_3gpuE2ELNS1_3repE0EEENS1_30default_config_static_selectorELNS0_4arch9wavefront6targetE1EEEvT1_.numbered_sgpr, 0
	.set _ZN7rocprim17ROCPRIM_400000_NS6detail17trampoline_kernelINS0_14default_configENS1_25partition_config_selectorILNS1_17partition_subalgoE9EllbEEZZNS1_14partition_implILS5_9ELb0ES3_jPlS8_PNS0_10empty_typeENS0_5tupleIJS8_S9_EEENSB_IJS8_SA_EEENS0_18inequality_wrapperIZN2at6native12_GLOBAL__N_124unique_dim_cuda_templateIaEESt5tupleIJNSF_6TensorESK_SK_EERKSK_lbbbEUlllE0_EEPmJS9_EEE10hipError_tPvRmT3_T4_T5_T6_T7_T9_mT8_P12ihipStream_tbDpT10_ENKUlT_T0_E_clISt17integral_constantIbLb0EES1A_EEDaS15_S16_EUlS15_E_NS1_11comp_targetILNS1_3genE8ELNS1_11target_archE1030ELNS1_3gpuE2ELNS1_3repE0EEENS1_30default_config_static_selectorELNS0_4arch9wavefront6targetE1EEEvT1_.num_named_barrier, 0
	.set _ZN7rocprim17ROCPRIM_400000_NS6detail17trampoline_kernelINS0_14default_configENS1_25partition_config_selectorILNS1_17partition_subalgoE9EllbEEZZNS1_14partition_implILS5_9ELb0ES3_jPlS8_PNS0_10empty_typeENS0_5tupleIJS8_S9_EEENSB_IJS8_SA_EEENS0_18inequality_wrapperIZN2at6native12_GLOBAL__N_124unique_dim_cuda_templateIaEESt5tupleIJNSF_6TensorESK_SK_EERKSK_lbbbEUlllE0_EEPmJS9_EEE10hipError_tPvRmT3_T4_T5_T6_T7_T9_mT8_P12ihipStream_tbDpT10_ENKUlT_T0_E_clISt17integral_constantIbLb0EES1A_EEDaS15_S16_EUlS15_E_NS1_11comp_targetILNS1_3genE8ELNS1_11target_archE1030ELNS1_3gpuE2ELNS1_3repE0EEENS1_30default_config_static_selectorELNS0_4arch9wavefront6targetE1EEEvT1_.private_seg_size, 0
	.set _ZN7rocprim17ROCPRIM_400000_NS6detail17trampoline_kernelINS0_14default_configENS1_25partition_config_selectorILNS1_17partition_subalgoE9EllbEEZZNS1_14partition_implILS5_9ELb0ES3_jPlS8_PNS0_10empty_typeENS0_5tupleIJS8_S9_EEENSB_IJS8_SA_EEENS0_18inequality_wrapperIZN2at6native12_GLOBAL__N_124unique_dim_cuda_templateIaEESt5tupleIJNSF_6TensorESK_SK_EERKSK_lbbbEUlllE0_EEPmJS9_EEE10hipError_tPvRmT3_T4_T5_T6_T7_T9_mT8_P12ihipStream_tbDpT10_ENKUlT_T0_E_clISt17integral_constantIbLb0EES1A_EEDaS15_S16_EUlS15_E_NS1_11comp_targetILNS1_3genE8ELNS1_11target_archE1030ELNS1_3gpuE2ELNS1_3repE0EEENS1_30default_config_static_selectorELNS0_4arch9wavefront6targetE1EEEvT1_.uses_vcc, 0
	.set _ZN7rocprim17ROCPRIM_400000_NS6detail17trampoline_kernelINS0_14default_configENS1_25partition_config_selectorILNS1_17partition_subalgoE9EllbEEZZNS1_14partition_implILS5_9ELb0ES3_jPlS8_PNS0_10empty_typeENS0_5tupleIJS8_S9_EEENSB_IJS8_SA_EEENS0_18inequality_wrapperIZN2at6native12_GLOBAL__N_124unique_dim_cuda_templateIaEESt5tupleIJNSF_6TensorESK_SK_EERKSK_lbbbEUlllE0_EEPmJS9_EEE10hipError_tPvRmT3_T4_T5_T6_T7_T9_mT8_P12ihipStream_tbDpT10_ENKUlT_T0_E_clISt17integral_constantIbLb0EES1A_EEDaS15_S16_EUlS15_E_NS1_11comp_targetILNS1_3genE8ELNS1_11target_archE1030ELNS1_3gpuE2ELNS1_3repE0EEENS1_30default_config_static_selectorELNS0_4arch9wavefront6targetE1EEEvT1_.uses_flat_scratch, 0
	.set _ZN7rocprim17ROCPRIM_400000_NS6detail17trampoline_kernelINS0_14default_configENS1_25partition_config_selectorILNS1_17partition_subalgoE9EllbEEZZNS1_14partition_implILS5_9ELb0ES3_jPlS8_PNS0_10empty_typeENS0_5tupleIJS8_S9_EEENSB_IJS8_SA_EEENS0_18inequality_wrapperIZN2at6native12_GLOBAL__N_124unique_dim_cuda_templateIaEESt5tupleIJNSF_6TensorESK_SK_EERKSK_lbbbEUlllE0_EEPmJS9_EEE10hipError_tPvRmT3_T4_T5_T6_T7_T9_mT8_P12ihipStream_tbDpT10_ENKUlT_T0_E_clISt17integral_constantIbLb0EES1A_EEDaS15_S16_EUlS15_E_NS1_11comp_targetILNS1_3genE8ELNS1_11target_archE1030ELNS1_3gpuE2ELNS1_3repE0EEENS1_30default_config_static_selectorELNS0_4arch9wavefront6targetE1EEEvT1_.has_dyn_sized_stack, 0
	.set _ZN7rocprim17ROCPRIM_400000_NS6detail17trampoline_kernelINS0_14default_configENS1_25partition_config_selectorILNS1_17partition_subalgoE9EllbEEZZNS1_14partition_implILS5_9ELb0ES3_jPlS8_PNS0_10empty_typeENS0_5tupleIJS8_S9_EEENSB_IJS8_SA_EEENS0_18inequality_wrapperIZN2at6native12_GLOBAL__N_124unique_dim_cuda_templateIaEESt5tupleIJNSF_6TensorESK_SK_EERKSK_lbbbEUlllE0_EEPmJS9_EEE10hipError_tPvRmT3_T4_T5_T6_T7_T9_mT8_P12ihipStream_tbDpT10_ENKUlT_T0_E_clISt17integral_constantIbLb0EES1A_EEDaS15_S16_EUlS15_E_NS1_11comp_targetILNS1_3genE8ELNS1_11target_archE1030ELNS1_3gpuE2ELNS1_3repE0EEENS1_30default_config_static_selectorELNS0_4arch9wavefront6targetE1EEEvT1_.has_recursion, 0
	.set _ZN7rocprim17ROCPRIM_400000_NS6detail17trampoline_kernelINS0_14default_configENS1_25partition_config_selectorILNS1_17partition_subalgoE9EllbEEZZNS1_14partition_implILS5_9ELb0ES3_jPlS8_PNS0_10empty_typeENS0_5tupleIJS8_S9_EEENSB_IJS8_SA_EEENS0_18inequality_wrapperIZN2at6native12_GLOBAL__N_124unique_dim_cuda_templateIaEESt5tupleIJNSF_6TensorESK_SK_EERKSK_lbbbEUlllE0_EEPmJS9_EEE10hipError_tPvRmT3_T4_T5_T6_T7_T9_mT8_P12ihipStream_tbDpT10_ENKUlT_T0_E_clISt17integral_constantIbLb0EES1A_EEDaS15_S16_EUlS15_E_NS1_11comp_targetILNS1_3genE8ELNS1_11target_archE1030ELNS1_3gpuE2ELNS1_3repE0EEENS1_30default_config_static_selectorELNS0_4arch9wavefront6targetE1EEEvT1_.has_indirect_call, 0
	.section	.AMDGPU.csdata,"",@progbits
; Kernel info:
; codeLenInByte = 0
; TotalNumSgprs: 6
; NumVgprs: 0
; NumAgprs: 0
; TotalNumVgprs: 0
; ScratchSize: 0
; MemoryBound: 0
; FloatMode: 240
; IeeeMode: 1
; LDSByteSize: 0 bytes/workgroup (compile time only)
; SGPRBlocks: 0
; VGPRBlocks: 0
; NumSGPRsForWavesPerEU: 6
; NumVGPRsForWavesPerEU: 1
; AccumOffset: 4
; Occupancy: 8
; WaveLimiterHint : 0
; COMPUTE_PGM_RSRC2:SCRATCH_EN: 0
; COMPUTE_PGM_RSRC2:USER_SGPR: 2
; COMPUTE_PGM_RSRC2:TRAP_HANDLER: 0
; COMPUTE_PGM_RSRC2:TGID_X_EN: 1
; COMPUTE_PGM_RSRC2:TGID_Y_EN: 0
; COMPUTE_PGM_RSRC2:TGID_Z_EN: 0
; COMPUTE_PGM_RSRC2:TIDIG_COMP_CNT: 0
; COMPUTE_PGM_RSRC3_GFX90A:ACCUM_OFFSET: 0
; COMPUTE_PGM_RSRC3_GFX90A:TG_SPLIT: 0
	.section	.text._ZN7rocprim17ROCPRIM_400000_NS6detail17trampoline_kernelINS0_14default_configENS1_25partition_config_selectorILNS1_17partition_subalgoE9EllbEEZZNS1_14partition_implILS5_9ELb0ES3_jPlS8_PNS0_10empty_typeENS0_5tupleIJS8_S9_EEENSB_IJS8_SA_EEENS0_18inequality_wrapperIZN2at6native12_GLOBAL__N_124unique_dim_cuda_templateIaEESt5tupleIJNSF_6TensorESK_SK_EERKSK_lbbbEUlllE0_EEPmJS9_EEE10hipError_tPvRmT3_T4_T5_T6_T7_T9_mT8_P12ihipStream_tbDpT10_ENKUlT_T0_E_clISt17integral_constantIbLb1EES1A_EEDaS15_S16_EUlS15_E_NS1_11comp_targetILNS1_3genE0ELNS1_11target_archE4294967295ELNS1_3gpuE0ELNS1_3repE0EEENS1_30default_config_static_selectorELNS0_4arch9wavefront6targetE1EEEvT1_,"axG",@progbits,_ZN7rocprim17ROCPRIM_400000_NS6detail17trampoline_kernelINS0_14default_configENS1_25partition_config_selectorILNS1_17partition_subalgoE9EllbEEZZNS1_14partition_implILS5_9ELb0ES3_jPlS8_PNS0_10empty_typeENS0_5tupleIJS8_S9_EEENSB_IJS8_SA_EEENS0_18inequality_wrapperIZN2at6native12_GLOBAL__N_124unique_dim_cuda_templateIaEESt5tupleIJNSF_6TensorESK_SK_EERKSK_lbbbEUlllE0_EEPmJS9_EEE10hipError_tPvRmT3_T4_T5_T6_T7_T9_mT8_P12ihipStream_tbDpT10_ENKUlT_T0_E_clISt17integral_constantIbLb1EES1A_EEDaS15_S16_EUlS15_E_NS1_11comp_targetILNS1_3genE0ELNS1_11target_archE4294967295ELNS1_3gpuE0ELNS1_3repE0EEENS1_30default_config_static_selectorELNS0_4arch9wavefront6targetE1EEEvT1_,comdat
	.globl	_ZN7rocprim17ROCPRIM_400000_NS6detail17trampoline_kernelINS0_14default_configENS1_25partition_config_selectorILNS1_17partition_subalgoE9EllbEEZZNS1_14partition_implILS5_9ELb0ES3_jPlS8_PNS0_10empty_typeENS0_5tupleIJS8_S9_EEENSB_IJS8_SA_EEENS0_18inequality_wrapperIZN2at6native12_GLOBAL__N_124unique_dim_cuda_templateIaEESt5tupleIJNSF_6TensorESK_SK_EERKSK_lbbbEUlllE0_EEPmJS9_EEE10hipError_tPvRmT3_T4_T5_T6_T7_T9_mT8_P12ihipStream_tbDpT10_ENKUlT_T0_E_clISt17integral_constantIbLb1EES1A_EEDaS15_S16_EUlS15_E_NS1_11comp_targetILNS1_3genE0ELNS1_11target_archE4294967295ELNS1_3gpuE0ELNS1_3repE0EEENS1_30default_config_static_selectorELNS0_4arch9wavefront6targetE1EEEvT1_ ; -- Begin function _ZN7rocprim17ROCPRIM_400000_NS6detail17trampoline_kernelINS0_14default_configENS1_25partition_config_selectorILNS1_17partition_subalgoE9EllbEEZZNS1_14partition_implILS5_9ELb0ES3_jPlS8_PNS0_10empty_typeENS0_5tupleIJS8_S9_EEENSB_IJS8_SA_EEENS0_18inequality_wrapperIZN2at6native12_GLOBAL__N_124unique_dim_cuda_templateIaEESt5tupleIJNSF_6TensorESK_SK_EERKSK_lbbbEUlllE0_EEPmJS9_EEE10hipError_tPvRmT3_T4_T5_T6_T7_T9_mT8_P12ihipStream_tbDpT10_ENKUlT_T0_E_clISt17integral_constantIbLb1EES1A_EEDaS15_S16_EUlS15_E_NS1_11comp_targetILNS1_3genE0ELNS1_11target_archE4294967295ELNS1_3gpuE0ELNS1_3repE0EEENS1_30default_config_static_selectorELNS0_4arch9wavefront6targetE1EEEvT1_
	.p2align	8
	.type	_ZN7rocprim17ROCPRIM_400000_NS6detail17trampoline_kernelINS0_14default_configENS1_25partition_config_selectorILNS1_17partition_subalgoE9EllbEEZZNS1_14partition_implILS5_9ELb0ES3_jPlS8_PNS0_10empty_typeENS0_5tupleIJS8_S9_EEENSB_IJS8_SA_EEENS0_18inequality_wrapperIZN2at6native12_GLOBAL__N_124unique_dim_cuda_templateIaEESt5tupleIJNSF_6TensorESK_SK_EERKSK_lbbbEUlllE0_EEPmJS9_EEE10hipError_tPvRmT3_T4_T5_T6_T7_T9_mT8_P12ihipStream_tbDpT10_ENKUlT_T0_E_clISt17integral_constantIbLb1EES1A_EEDaS15_S16_EUlS15_E_NS1_11comp_targetILNS1_3genE0ELNS1_11target_archE4294967295ELNS1_3gpuE0ELNS1_3repE0EEENS1_30default_config_static_selectorELNS0_4arch9wavefront6targetE1EEEvT1_,@function
_ZN7rocprim17ROCPRIM_400000_NS6detail17trampoline_kernelINS0_14default_configENS1_25partition_config_selectorILNS1_17partition_subalgoE9EllbEEZZNS1_14partition_implILS5_9ELb0ES3_jPlS8_PNS0_10empty_typeENS0_5tupleIJS8_S9_EEENSB_IJS8_SA_EEENS0_18inequality_wrapperIZN2at6native12_GLOBAL__N_124unique_dim_cuda_templateIaEESt5tupleIJNSF_6TensorESK_SK_EERKSK_lbbbEUlllE0_EEPmJS9_EEE10hipError_tPvRmT3_T4_T5_T6_T7_T9_mT8_P12ihipStream_tbDpT10_ENKUlT_T0_E_clISt17integral_constantIbLb1EES1A_EEDaS15_S16_EUlS15_E_NS1_11comp_targetILNS1_3genE0ELNS1_11target_archE4294967295ELNS1_3gpuE0ELNS1_3repE0EEENS1_30default_config_static_selectorELNS0_4arch9wavefront6targetE1EEEvT1_: ; @_ZN7rocprim17ROCPRIM_400000_NS6detail17trampoline_kernelINS0_14default_configENS1_25partition_config_selectorILNS1_17partition_subalgoE9EllbEEZZNS1_14partition_implILS5_9ELb0ES3_jPlS8_PNS0_10empty_typeENS0_5tupleIJS8_S9_EEENSB_IJS8_SA_EEENS0_18inequality_wrapperIZN2at6native12_GLOBAL__N_124unique_dim_cuda_templateIaEESt5tupleIJNSF_6TensorESK_SK_EERKSK_lbbbEUlllE0_EEPmJS9_EEE10hipError_tPvRmT3_T4_T5_T6_T7_T9_mT8_P12ihipStream_tbDpT10_ENKUlT_T0_E_clISt17integral_constantIbLb1EES1A_EEDaS15_S16_EUlS15_E_NS1_11comp_targetILNS1_3genE0ELNS1_11target_archE4294967295ELNS1_3gpuE0ELNS1_3repE0EEENS1_30default_config_static_selectorELNS0_4arch9wavefront6targetE1EEEvT1_
; %bb.0:
	s_endpgm
	.section	.rodata,"a",@progbits
	.p2align	6, 0x0
	.amdhsa_kernel _ZN7rocprim17ROCPRIM_400000_NS6detail17trampoline_kernelINS0_14default_configENS1_25partition_config_selectorILNS1_17partition_subalgoE9EllbEEZZNS1_14partition_implILS5_9ELb0ES3_jPlS8_PNS0_10empty_typeENS0_5tupleIJS8_S9_EEENSB_IJS8_SA_EEENS0_18inequality_wrapperIZN2at6native12_GLOBAL__N_124unique_dim_cuda_templateIaEESt5tupleIJNSF_6TensorESK_SK_EERKSK_lbbbEUlllE0_EEPmJS9_EEE10hipError_tPvRmT3_T4_T5_T6_T7_T9_mT8_P12ihipStream_tbDpT10_ENKUlT_T0_E_clISt17integral_constantIbLb1EES1A_EEDaS15_S16_EUlS15_E_NS1_11comp_targetILNS1_3genE0ELNS1_11target_archE4294967295ELNS1_3gpuE0ELNS1_3repE0EEENS1_30default_config_static_selectorELNS0_4arch9wavefront6targetE1EEEvT1_
		.amdhsa_group_segment_fixed_size 0
		.amdhsa_private_segment_fixed_size 0
		.amdhsa_kernarg_size 136
		.amdhsa_user_sgpr_count 2
		.amdhsa_user_sgpr_dispatch_ptr 0
		.amdhsa_user_sgpr_queue_ptr 0
		.amdhsa_user_sgpr_kernarg_segment_ptr 1
		.amdhsa_user_sgpr_dispatch_id 0
		.amdhsa_user_sgpr_kernarg_preload_length 0
		.amdhsa_user_sgpr_kernarg_preload_offset 0
		.amdhsa_user_sgpr_private_segment_size 0
		.amdhsa_uses_dynamic_stack 0
		.amdhsa_enable_private_segment 0
		.amdhsa_system_sgpr_workgroup_id_x 1
		.amdhsa_system_sgpr_workgroup_id_y 0
		.amdhsa_system_sgpr_workgroup_id_z 0
		.amdhsa_system_sgpr_workgroup_info 0
		.amdhsa_system_vgpr_workitem_id 0
		.amdhsa_next_free_vgpr 1
		.amdhsa_next_free_sgpr 0
		.amdhsa_accum_offset 4
		.amdhsa_reserve_vcc 0
		.amdhsa_float_round_mode_32 0
		.amdhsa_float_round_mode_16_64 0
		.amdhsa_float_denorm_mode_32 3
		.amdhsa_float_denorm_mode_16_64 3
		.amdhsa_dx10_clamp 1
		.amdhsa_ieee_mode 1
		.amdhsa_fp16_overflow 0
		.amdhsa_tg_split 0
		.amdhsa_exception_fp_ieee_invalid_op 0
		.amdhsa_exception_fp_denorm_src 0
		.amdhsa_exception_fp_ieee_div_zero 0
		.amdhsa_exception_fp_ieee_overflow 0
		.amdhsa_exception_fp_ieee_underflow 0
		.amdhsa_exception_fp_ieee_inexact 0
		.amdhsa_exception_int_div_zero 0
	.end_amdhsa_kernel
	.section	.text._ZN7rocprim17ROCPRIM_400000_NS6detail17trampoline_kernelINS0_14default_configENS1_25partition_config_selectorILNS1_17partition_subalgoE9EllbEEZZNS1_14partition_implILS5_9ELb0ES3_jPlS8_PNS0_10empty_typeENS0_5tupleIJS8_S9_EEENSB_IJS8_SA_EEENS0_18inequality_wrapperIZN2at6native12_GLOBAL__N_124unique_dim_cuda_templateIaEESt5tupleIJNSF_6TensorESK_SK_EERKSK_lbbbEUlllE0_EEPmJS9_EEE10hipError_tPvRmT3_T4_T5_T6_T7_T9_mT8_P12ihipStream_tbDpT10_ENKUlT_T0_E_clISt17integral_constantIbLb1EES1A_EEDaS15_S16_EUlS15_E_NS1_11comp_targetILNS1_3genE0ELNS1_11target_archE4294967295ELNS1_3gpuE0ELNS1_3repE0EEENS1_30default_config_static_selectorELNS0_4arch9wavefront6targetE1EEEvT1_,"axG",@progbits,_ZN7rocprim17ROCPRIM_400000_NS6detail17trampoline_kernelINS0_14default_configENS1_25partition_config_selectorILNS1_17partition_subalgoE9EllbEEZZNS1_14partition_implILS5_9ELb0ES3_jPlS8_PNS0_10empty_typeENS0_5tupleIJS8_S9_EEENSB_IJS8_SA_EEENS0_18inequality_wrapperIZN2at6native12_GLOBAL__N_124unique_dim_cuda_templateIaEESt5tupleIJNSF_6TensorESK_SK_EERKSK_lbbbEUlllE0_EEPmJS9_EEE10hipError_tPvRmT3_T4_T5_T6_T7_T9_mT8_P12ihipStream_tbDpT10_ENKUlT_T0_E_clISt17integral_constantIbLb1EES1A_EEDaS15_S16_EUlS15_E_NS1_11comp_targetILNS1_3genE0ELNS1_11target_archE4294967295ELNS1_3gpuE0ELNS1_3repE0EEENS1_30default_config_static_selectorELNS0_4arch9wavefront6targetE1EEEvT1_,comdat
.Lfunc_end359:
	.size	_ZN7rocprim17ROCPRIM_400000_NS6detail17trampoline_kernelINS0_14default_configENS1_25partition_config_selectorILNS1_17partition_subalgoE9EllbEEZZNS1_14partition_implILS5_9ELb0ES3_jPlS8_PNS0_10empty_typeENS0_5tupleIJS8_S9_EEENSB_IJS8_SA_EEENS0_18inequality_wrapperIZN2at6native12_GLOBAL__N_124unique_dim_cuda_templateIaEESt5tupleIJNSF_6TensorESK_SK_EERKSK_lbbbEUlllE0_EEPmJS9_EEE10hipError_tPvRmT3_T4_T5_T6_T7_T9_mT8_P12ihipStream_tbDpT10_ENKUlT_T0_E_clISt17integral_constantIbLb1EES1A_EEDaS15_S16_EUlS15_E_NS1_11comp_targetILNS1_3genE0ELNS1_11target_archE4294967295ELNS1_3gpuE0ELNS1_3repE0EEENS1_30default_config_static_selectorELNS0_4arch9wavefront6targetE1EEEvT1_, .Lfunc_end359-_ZN7rocprim17ROCPRIM_400000_NS6detail17trampoline_kernelINS0_14default_configENS1_25partition_config_selectorILNS1_17partition_subalgoE9EllbEEZZNS1_14partition_implILS5_9ELb0ES3_jPlS8_PNS0_10empty_typeENS0_5tupleIJS8_S9_EEENSB_IJS8_SA_EEENS0_18inequality_wrapperIZN2at6native12_GLOBAL__N_124unique_dim_cuda_templateIaEESt5tupleIJNSF_6TensorESK_SK_EERKSK_lbbbEUlllE0_EEPmJS9_EEE10hipError_tPvRmT3_T4_T5_T6_T7_T9_mT8_P12ihipStream_tbDpT10_ENKUlT_T0_E_clISt17integral_constantIbLb1EES1A_EEDaS15_S16_EUlS15_E_NS1_11comp_targetILNS1_3genE0ELNS1_11target_archE4294967295ELNS1_3gpuE0ELNS1_3repE0EEENS1_30default_config_static_selectorELNS0_4arch9wavefront6targetE1EEEvT1_
                                        ; -- End function
	.set _ZN7rocprim17ROCPRIM_400000_NS6detail17trampoline_kernelINS0_14default_configENS1_25partition_config_selectorILNS1_17partition_subalgoE9EllbEEZZNS1_14partition_implILS5_9ELb0ES3_jPlS8_PNS0_10empty_typeENS0_5tupleIJS8_S9_EEENSB_IJS8_SA_EEENS0_18inequality_wrapperIZN2at6native12_GLOBAL__N_124unique_dim_cuda_templateIaEESt5tupleIJNSF_6TensorESK_SK_EERKSK_lbbbEUlllE0_EEPmJS9_EEE10hipError_tPvRmT3_T4_T5_T6_T7_T9_mT8_P12ihipStream_tbDpT10_ENKUlT_T0_E_clISt17integral_constantIbLb1EES1A_EEDaS15_S16_EUlS15_E_NS1_11comp_targetILNS1_3genE0ELNS1_11target_archE4294967295ELNS1_3gpuE0ELNS1_3repE0EEENS1_30default_config_static_selectorELNS0_4arch9wavefront6targetE1EEEvT1_.num_vgpr, 0
	.set _ZN7rocprim17ROCPRIM_400000_NS6detail17trampoline_kernelINS0_14default_configENS1_25partition_config_selectorILNS1_17partition_subalgoE9EllbEEZZNS1_14partition_implILS5_9ELb0ES3_jPlS8_PNS0_10empty_typeENS0_5tupleIJS8_S9_EEENSB_IJS8_SA_EEENS0_18inequality_wrapperIZN2at6native12_GLOBAL__N_124unique_dim_cuda_templateIaEESt5tupleIJNSF_6TensorESK_SK_EERKSK_lbbbEUlllE0_EEPmJS9_EEE10hipError_tPvRmT3_T4_T5_T6_T7_T9_mT8_P12ihipStream_tbDpT10_ENKUlT_T0_E_clISt17integral_constantIbLb1EES1A_EEDaS15_S16_EUlS15_E_NS1_11comp_targetILNS1_3genE0ELNS1_11target_archE4294967295ELNS1_3gpuE0ELNS1_3repE0EEENS1_30default_config_static_selectorELNS0_4arch9wavefront6targetE1EEEvT1_.num_agpr, 0
	.set _ZN7rocprim17ROCPRIM_400000_NS6detail17trampoline_kernelINS0_14default_configENS1_25partition_config_selectorILNS1_17partition_subalgoE9EllbEEZZNS1_14partition_implILS5_9ELb0ES3_jPlS8_PNS0_10empty_typeENS0_5tupleIJS8_S9_EEENSB_IJS8_SA_EEENS0_18inequality_wrapperIZN2at6native12_GLOBAL__N_124unique_dim_cuda_templateIaEESt5tupleIJNSF_6TensorESK_SK_EERKSK_lbbbEUlllE0_EEPmJS9_EEE10hipError_tPvRmT3_T4_T5_T6_T7_T9_mT8_P12ihipStream_tbDpT10_ENKUlT_T0_E_clISt17integral_constantIbLb1EES1A_EEDaS15_S16_EUlS15_E_NS1_11comp_targetILNS1_3genE0ELNS1_11target_archE4294967295ELNS1_3gpuE0ELNS1_3repE0EEENS1_30default_config_static_selectorELNS0_4arch9wavefront6targetE1EEEvT1_.numbered_sgpr, 0
	.set _ZN7rocprim17ROCPRIM_400000_NS6detail17trampoline_kernelINS0_14default_configENS1_25partition_config_selectorILNS1_17partition_subalgoE9EllbEEZZNS1_14partition_implILS5_9ELb0ES3_jPlS8_PNS0_10empty_typeENS0_5tupleIJS8_S9_EEENSB_IJS8_SA_EEENS0_18inequality_wrapperIZN2at6native12_GLOBAL__N_124unique_dim_cuda_templateIaEESt5tupleIJNSF_6TensorESK_SK_EERKSK_lbbbEUlllE0_EEPmJS9_EEE10hipError_tPvRmT3_T4_T5_T6_T7_T9_mT8_P12ihipStream_tbDpT10_ENKUlT_T0_E_clISt17integral_constantIbLb1EES1A_EEDaS15_S16_EUlS15_E_NS1_11comp_targetILNS1_3genE0ELNS1_11target_archE4294967295ELNS1_3gpuE0ELNS1_3repE0EEENS1_30default_config_static_selectorELNS0_4arch9wavefront6targetE1EEEvT1_.num_named_barrier, 0
	.set _ZN7rocprim17ROCPRIM_400000_NS6detail17trampoline_kernelINS0_14default_configENS1_25partition_config_selectorILNS1_17partition_subalgoE9EllbEEZZNS1_14partition_implILS5_9ELb0ES3_jPlS8_PNS0_10empty_typeENS0_5tupleIJS8_S9_EEENSB_IJS8_SA_EEENS0_18inequality_wrapperIZN2at6native12_GLOBAL__N_124unique_dim_cuda_templateIaEESt5tupleIJNSF_6TensorESK_SK_EERKSK_lbbbEUlllE0_EEPmJS9_EEE10hipError_tPvRmT3_T4_T5_T6_T7_T9_mT8_P12ihipStream_tbDpT10_ENKUlT_T0_E_clISt17integral_constantIbLb1EES1A_EEDaS15_S16_EUlS15_E_NS1_11comp_targetILNS1_3genE0ELNS1_11target_archE4294967295ELNS1_3gpuE0ELNS1_3repE0EEENS1_30default_config_static_selectorELNS0_4arch9wavefront6targetE1EEEvT1_.private_seg_size, 0
	.set _ZN7rocprim17ROCPRIM_400000_NS6detail17trampoline_kernelINS0_14default_configENS1_25partition_config_selectorILNS1_17partition_subalgoE9EllbEEZZNS1_14partition_implILS5_9ELb0ES3_jPlS8_PNS0_10empty_typeENS0_5tupleIJS8_S9_EEENSB_IJS8_SA_EEENS0_18inequality_wrapperIZN2at6native12_GLOBAL__N_124unique_dim_cuda_templateIaEESt5tupleIJNSF_6TensorESK_SK_EERKSK_lbbbEUlllE0_EEPmJS9_EEE10hipError_tPvRmT3_T4_T5_T6_T7_T9_mT8_P12ihipStream_tbDpT10_ENKUlT_T0_E_clISt17integral_constantIbLb1EES1A_EEDaS15_S16_EUlS15_E_NS1_11comp_targetILNS1_3genE0ELNS1_11target_archE4294967295ELNS1_3gpuE0ELNS1_3repE0EEENS1_30default_config_static_selectorELNS0_4arch9wavefront6targetE1EEEvT1_.uses_vcc, 0
	.set _ZN7rocprim17ROCPRIM_400000_NS6detail17trampoline_kernelINS0_14default_configENS1_25partition_config_selectorILNS1_17partition_subalgoE9EllbEEZZNS1_14partition_implILS5_9ELb0ES3_jPlS8_PNS0_10empty_typeENS0_5tupleIJS8_S9_EEENSB_IJS8_SA_EEENS0_18inequality_wrapperIZN2at6native12_GLOBAL__N_124unique_dim_cuda_templateIaEESt5tupleIJNSF_6TensorESK_SK_EERKSK_lbbbEUlllE0_EEPmJS9_EEE10hipError_tPvRmT3_T4_T5_T6_T7_T9_mT8_P12ihipStream_tbDpT10_ENKUlT_T0_E_clISt17integral_constantIbLb1EES1A_EEDaS15_S16_EUlS15_E_NS1_11comp_targetILNS1_3genE0ELNS1_11target_archE4294967295ELNS1_3gpuE0ELNS1_3repE0EEENS1_30default_config_static_selectorELNS0_4arch9wavefront6targetE1EEEvT1_.uses_flat_scratch, 0
	.set _ZN7rocprim17ROCPRIM_400000_NS6detail17trampoline_kernelINS0_14default_configENS1_25partition_config_selectorILNS1_17partition_subalgoE9EllbEEZZNS1_14partition_implILS5_9ELb0ES3_jPlS8_PNS0_10empty_typeENS0_5tupleIJS8_S9_EEENSB_IJS8_SA_EEENS0_18inequality_wrapperIZN2at6native12_GLOBAL__N_124unique_dim_cuda_templateIaEESt5tupleIJNSF_6TensorESK_SK_EERKSK_lbbbEUlllE0_EEPmJS9_EEE10hipError_tPvRmT3_T4_T5_T6_T7_T9_mT8_P12ihipStream_tbDpT10_ENKUlT_T0_E_clISt17integral_constantIbLb1EES1A_EEDaS15_S16_EUlS15_E_NS1_11comp_targetILNS1_3genE0ELNS1_11target_archE4294967295ELNS1_3gpuE0ELNS1_3repE0EEENS1_30default_config_static_selectorELNS0_4arch9wavefront6targetE1EEEvT1_.has_dyn_sized_stack, 0
	.set _ZN7rocprim17ROCPRIM_400000_NS6detail17trampoline_kernelINS0_14default_configENS1_25partition_config_selectorILNS1_17partition_subalgoE9EllbEEZZNS1_14partition_implILS5_9ELb0ES3_jPlS8_PNS0_10empty_typeENS0_5tupleIJS8_S9_EEENSB_IJS8_SA_EEENS0_18inequality_wrapperIZN2at6native12_GLOBAL__N_124unique_dim_cuda_templateIaEESt5tupleIJNSF_6TensorESK_SK_EERKSK_lbbbEUlllE0_EEPmJS9_EEE10hipError_tPvRmT3_T4_T5_T6_T7_T9_mT8_P12ihipStream_tbDpT10_ENKUlT_T0_E_clISt17integral_constantIbLb1EES1A_EEDaS15_S16_EUlS15_E_NS1_11comp_targetILNS1_3genE0ELNS1_11target_archE4294967295ELNS1_3gpuE0ELNS1_3repE0EEENS1_30default_config_static_selectorELNS0_4arch9wavefront6targetE1EEEvT1_.has_recursion, 0
	.set _ZN7rocprim17ROCPRIM_400000_NS6detail17trampoline_kernelINS0_14default_configENS1_25partition_config_selectorILNS1_17partition_subalgoE9EllbEEZZNS1_14partition_implILS5_9ELb0ES3_jPlS8_PNS0_10empty_typeENS0_5tupleIJS8_S9_EEENSB_IJS8_SA_EEENS0_18inequality_wrapperIZN2at6native12_GLOBAL__N_124unique_dim_cuda_templateIaEESt5tupleIJNSF_6TensorESK_SK_EERKSK_lbbbEUlllE0_EEPmJS9_EEE10hipError_tPvRmT3_T4_T5_T6_T7_T9_mT8_P12ihipStream_tbDpT10_ENKUlT_T0_E_clISt17integral_constantIbLb1EES1A_EEDaS15_S16_EUlS15_E_NS1_11comp_targetILNS1_3genE0ELNS1_11target_archE4294967295ELNS1_3gpuE0ELNS1_3repE0EEENS1_30default_config_static_selectorELNS0_4arch9wavefront6targetE1EEEvT1_.has_indirect_call, 0
	.section	.AMDGPU.csdata,"",@progbits
; Kernel info:
; codeLenInByte = 4
; TotalNumSgprs: 6
; NumVgprs: 0
; NumAgprs: 0
; TotalNumVgprs: 0
; ScratchSize: 0
; MemoryBound: 0
; FloatMode: 240
; IeeeMode: 1
; LDSByteSize: 0 bytes/workgroup (compile time only)
; SGPRBlocks: 0
; VGPRBlocks: 0
; NumSGPRsForWavesPerEU: 6
; NumVGPRsForWavesPerEU: 1
; AccumOffset: 4
; Occupancy: 8
; WaveLimiterHint : 0
; COMPUTE_PGM_RSRC2:SCRATCH_EN: 0
; COMPUTE_PGM_RSRC2:USER_SGPR: 2
; COMPUTE_PGM_RSRC2:TRAP_HANDLER: 0
; COMPUTE_PGM_RSRC2:TGID_X_EN: 1
; COMPUTE_PGM_RSRC2:TGID_Y_EN: 0
; COMPUTE_PGM_RSRC2:TGID_Z_EN: 0
; COMPUTE_PGM_RSRC2:TIDIG_COMP_CNT: 0
; COMPUTE_PGM_RSRC3_GFX90A:ACCUM_OFFSET: 0
; COMPUTE_PGM_RSRC3_GFX90A:TG_SPLIT: 0
	.section	.text._ZN7rocprim17ROCPRIM_400000_NS6detail17trampoline_kernelINS0_14default_configENS1_25partition_config_selectorILNS1_17partition_subalgoE9EllbEEZZNS1_14partition_implILS5_9ELb0ES3_jPlS8_PNS0_10empty_typeENS0_5tupleIJS8_S9_EEENSB_IJS8_SA_EEENS0_18inequality_wrapperIZN2at6native12_GLOBAL__N_124unique_dim_cuda_templateIaEESt5tupleIJNSF_6TensorESK_SK_EERKSK_lbbbEUlllE0_EEPmJS9_EEE10hipError_tPvRmT3_T4_T5_T6_T7_T9_mT8_P12ihipStream_tbDpT10_ENKUlT_T0_E_clISt17integral_constantIbLb1EES1A_EEDaS15_S16_EUlS15_E_NS1_11comp_targetILNS1_3genE5ELNS1_11target_archE942ELNS1_3gpuE9ELNS1_3repE0EEENS1_30default_config_static_selectorELNS0_4arch9wavefront6targetE1EEEvT1_,"axG",@progbits,_ZN7rocprim17ROCPRIM_400000_NS6detail17trampoline_kernelINS0_14default_configENS1_25partition_config_selectorILNS1_17partition_subalgoE9EllbEEZZNS1_14partition_implILS5_9ELb0ES3_jPlS8_PNS0_10empty_typeENS0_5tupleIJS8_S9_EEENSB_IJS8_SA_EEENS0_18inequality_wrapperIZN2at6native12_GLOBAL__N_124unique_dim_cuda_templateIaEESt5tupleIJNSF_6TensorESK_SK_EERKSK_lbbbEUlllE0_EEPmJS9_EEE10hipError_tPvRmT3_T4_T5_T6_T7_T9_mT8_P12ihipStream_tbDpT10_ENKUlT_T0_E_clISt17integral_constantIbLb1EES1A_EEDaS15_S16_EUlS15_E_NS1_11comp_targetILNS1_3genE5ELNS1_11target_archE942ELNS1_3gpuE9ELNS1_3repE0EEENS1_30default_config_static_selectorELNS0_4arch9wavefront6targetE1EEEvT1_,comdat
	.globl	_ZN7rocprim17ROCPRIM_400000_NS6detail17trampoline_kernelINS0_14default_configENS1_25partition_config_selectorILNS1_17partition_subalgoE9EllbEEZZNS1_14partition_implILS5_9ELb0ES3_jPlS8_PNS0_10empty_typeENS0_5tupleIJS8_S9_EEENSB_IJS8_SA_EEENS0_18inequality_wrapperIZN2at6native12_GLOBAL__N_124unique_dim_cuda_templateIaEESt5tupleIJNSF_6TensorESK_SK_EERKSK_lbbbEUlllE0_EEPmJS9_EEE10hipError_tPvRmT3_T4_T5_T6_T7_T9_mT8_P12ihipStream_tbDpT10_ENKUlT_T0_E_clISt17integral_constantIbLb1EES1A_EEDaS15_S16_EUlS15_E_NS1_11comp_targetILNS1_3genE5ELNS1_11target_archE942ELNS1_3gpuE9ELNS1_3repE0EEENS1_30default_config_static_selectorELNS0_4arch9wavefront6targetE1EEEvT1_ ; -- Begin function _ZN7rocprim17ROCPRIM_400000_NS6detail17trampoline_kernelINS0_14default_configENS1_25partition_config_selectorILNS1_17partition_subalgoE9EllbEEZZNS1_14partition_implILS5_9ELb0ES3_jPlS8_PNS0_10empty_typeENS0_5tupleIJS8_S9_EEENSB_IJS8_SA_EEENS0_18inequality_wrapperIZN2at6native12_GLOBAL__N_124unique_dim_cuda_templateIaEESt5tupleIJNSF_6TensorESK_SK_EERKSK_lbbbEUlllE0_EEPmJS9_EEE10hipError_tPvRmT3_T4_T5_T6_T7_T9_mT8_P12ihipStream_tbDpT10_ENKUlT_T0_E_clISt17integral_constantIbLb1EES1A_EEDaS15_S16_EUlS15_E_NS1_11comp_targetILNS1_3genE5ELNS1_11target_archE942ELNS1_3gpuE9ELNS1_3repE0EEENS1_30default_config_static_selectorELNS0_4arch9wavefront6targetE1EEEvT1_
	.p2align	8
	.type	_ZN7rocprim17ROCPRIM_400000_NS6detail17trampoline_kernelINS0_14default_configENS1_25partition_config_selectorILNS1_17partition_subalgoE9EllbEEZZNS1_14partition_implILS5_9ELb0ES3_jPlS8_PNS0_10empty_typeENS0_5tupleIJS8_S9_EEENSB_IJS8_SA_EEENS0_18inequality_wrapperIZN2at6native12_GLOBAL__N_124unique_dim_cuda_templateIaEESt5tupleIJNSF_6TensorESK_SK_EERKSK_lbbbEUlllE0_EEPmJS9_EEE10hipError_tPvRmT3_T4_T5_T6_T7_T9_mT8_P12ihipStream_tbDpT10_ENKUlT_T0_E_clISt17integral_constantIbLb1EES1A_EEDaS15_S16_EUlS15_E_NS1_11comp_targetILNS1_3genE5ELNS1_11target_archE942ELNS1_3gpuE9ELNS1_3repE0EEENS1_30default_config_static_selectorELNS0_4arch9wavefront6targetE1EEEvT1_,@function
_ZN7rocprim17ROCPRIM_400000_NS6detail17trampoline_kernelINS0_14default_configENS1_25partition_config_selectorILNS1_17partition_subalgoE9EllbEEZZNS1_14partition_implILS5_9ELb0ES3_jPlS8_PNS0_10empty_typeENS0_5tupleIJS8_S9_EEENSB_IJS8_SA_EEENS0_18inequality_wrapperIZN2at6native12_GLOBAL__N_124unique_dim_cuda_templateIaEESt5tupleIJNSF_6TensorESK_SK_EERKSK_lbbbEUlllE0_EEPmJS9_EEE10hipError_tPvRmT3_T4_T5_T6_T7_T9_mT8_P12ihipStream_tbDpT10_ENKUlT_T0_E_clISt17integral_constantIbLb1EES1A_EEDaS15_S16_EUlS15_E_NS1_11comp_targetILNS1_3genE5ELNS1_11target_archE942ELNS1_3gpuE9ELNS1_3repE0EEENS1_30default_config_static_selectorELNS0_4arch9wavefront6targetE1EEEvT1_: ; @_ZN7rocprim17ROCPRIM_400000_NS6detail17trampoline_kernelINS0_14default_configENS1_25partition_config_selectorILNS1_17partition_subalgoE9EllbEEZZNS1_14partition_implILS5_9ELb0ES3_jPlS8_PNS0_10empty_typeENS0_5tupleIJS8_S9_EEENSB_IJS8_SA_EEENS0_18inequality_wrapperIZN2at6native12_GLOBAL__N_124unique_dim_cuda_templateIaEESt5tupleIJNSF_6TensorESK_SK_EERKSK_lbbbEUlllE0_EEPmJS9_EEE10hipError_tPvRmT3_T4_T5_T6_T7_T9_mT8_P12ihipStream_tbDpT10_ENKUlT_T0_E_clISt17integral_constantIbLb1EES1A_EEDaS15_S16_EUlS15_E_NS1_11comp_targetILNS1_3genE5ELNS1_11target_archE942ELNS1_3gpuE9ELNS1_3repE0EEENS1_30default_config_static_selectorELNS0_4arch9wavefront6targetE1EEEvT1_
; %bb.0:
	.section	.rodata,"a",@progbits
	.p2align	6, 0x0
	.amdhsa_kernel _ZN7rocprim17ROCPRIM_400000_NS6detail17trampoline_kernelINS0_14default_configENS1_25partition_config_selectorILNS1_17partition_subalgoE9EllbEEZZNS1_14partition_implILS5_9ELb0ES3_jPlS8_PNS0_10empty_typeENS0_5tupleIJS8_S9_EEENSB_IJS8_SA_EEENS0_18inequality_wrapperIZN2at6native12_GLOBAL__N_124unique_dim_cuda_templateIaEESt5tupleIJNSF_6TensorESK_SK_EERKSK_lbbbEUlllE0_EEPmJS9_EEE10hipError_tPvRmT3_T4_T5_T6_T7_T9_mT8_P12ihipStream_tbDpT10_ENKUlT_T0_E_clISt17integral_constantIbLb1EES1A_EEDaS15_S16_EUlS15_E_NS1_11comp_targetILNS1_3genE5ELNS1_11target_archE942ELNS1_3gpuE9ELNS1_3repE0EEENS1_30default_config_static_selectorELNS0_4arch9wavefront6targetE1EEEvT1_
		.amdhsa_group_segment_fixed_size 0
		.amdhsa_private_segment_fixed_size 0
		.amdhsa_kernarg_size 136
		.amdhsa_user_sgpr_count 2
		.amdhsa_user_sgpr_dispatch_ptr 0
		.amdhsa_user_sgpr_queue_ptr 0
		.amdhsa_user_sgpr_kernarg_segment_ptr 1
		.amdhsa_user_sgpr_dispatch_id 0
		.amdhsa_user_sgpr_kernarg_preload_length 0
		.amdhsa_user_sgpr_kernarg_preload_offset 0
		.amdhsa_user_sgpr_private_segment_size 0
		.amdhsa_uses_dynamic_stack 0
		.amdhsa_enable_private_segment 0
		.amdhsa_system_sgpr_workgroup_id_x 1
		.amdhsa_system_sgpr_workgroup_id_y 0
		.amdhsa_system_sgpr_workgroup_id_z 0
		.amdhsa_system_sgpr_workgroup_info 0
		.amdhsa_system_vgpr_workitem_id 0
		.amdhsa_next_free_vgpr 1
		.amdhsa_next_free_sgpr 0
		.amdhsa_accum_offset 4
		.amdhsa_reserve_vcc 0
		.amdhsa_float_round_mode_32 0
		.amdhsa_float_round_mode_16_64 0
		.amdhsa_float_denorm_mode_32 3
		.amdhsa_float_denorm_mode_16_64 3
		.amdhsa_dx10_clamp 1
		.amdhsa_ieee_mode 1
		.amdhsa_fp16_overflow 0
		.amdhsa_tg_split 0
		.amdhsa_exception_fp_ieee_invalid_op 0
		.amdhsa_exception_fp_denorm_src 0
		.amdhsa_exception_fp_ieee_div_zero 0
		.amdhsa_exception_fp_ieee_overflow 0
		.amdhsa_exception_fp_ieee_underflow 0
		.amdhsa_exception_fp_ieee_inexact 0
		.amdhsa_exception_int_div_zero 0
	.end_amdhsa_kernel
	.section	.text._ZN7rocprim17ROCPRIM_400000_NS6detail17trampoline_kernelINS0_14default_configENS1_25partition_config_selectorILNS1_17partition_subalgoE9EllbEEZZNS1_14partition_implILS5_9ELb0ES3_jPlS8_PNS0_10empty_typeENS0_5tupleIJS8_S9_EEENSB_IJS8_SA_EEENS0_18inequality_wrapperIZN2at6native12_GLOBAL__N_124unique_dim_cuda_templateIaEESt5tupleIJNSF_6TensorESK_SK_EERKSK_lbbbEUlllE0_EEPmJS9_EEE10hipError_tPvRmT3_T4_T5_T6_T7_T9_mT8_P12ihipStream_tbDpT10_ENKUlT_T0_E_clISt17integral_constantIbLb1EES1A_EEDaS15_S16_EUlS15_E_NS1_11comp_targetILNS1_3genE5ELNS1_11target_archE942ELNS1_3gpuE9ELNS1_3repE0EEENS1_30default_config_static_selectorELNS0_4arch9wavefront6targetE1EEEvT1_,"axG",@progbits,_ZN7rocprim17ROCPRIM_400000_NS6detail17trampoline_kernelINS0_14default_configENS1_25partition_config_selectorILNS1_17partition_subalgoE9EllbEEZZNS1_14partition_implILS5_9ELb0ES3_jPlS8_PNS0_10empty_typeENS0_5tupleIJS8_S9_EEENSB_IJS8_SA_EEENS0_18inequality_wrapperIZN2at6native12_GLOBAL__N_124unique_dim_cuda_templateIaEESt5tupleIJNSF_6TensorESK_SK_EERKSK_lbbbEUlllE0_EEPmJS9_EEE10hipError_tPvRmT3_T4_T5_T6_T7_T9_mT8_P12ihipStream_tbDpT10_ENKUlT_T0_E_clISt17integral_constantIbLb1EES1A_EEDaS15_S16_EUlS15_E_NS1_11comp_targetILNS1_3genE5ELNS1_11target_archE942ELNS1_3gpuE9ELNS1_3repE0EEENS1_30default_config_static_selectorELNS0_4arch9wavefront6targetE1EEEvT1_,comdat
.Lfunc_end360:
	.size	_ZN7rocprim17ROCPRIM_400000_NS6detail17trampoline_kernelINS0_14default_configENS1_25partition_config_selectorILNS1_17partition_subalgoE9EllbEEZZNS1_14partition_implILS5_9ELb0ES3_jPlS8_PNS0_10empty_typeENS0_5tupleIJS8_S9_EEENSB_IJS8_SA_EEENS0_18inequality_wrapperIZN2at6native12_GLOBAL__N_124unique_dim_cuda_templateIaEESt5tupleIJNSF_6TensorESK_SK_EERKSK_lbbbEUlllE0_EEPmJS9_EEE10hipError_tPvRmT3_T4_T5_T6_T7_T9_mT8_P12ihipStream_tbDpT10_ENKUlT_T0_E_clISt17integral_constantIbLb1EES1A_EEDaS15_S16_EUlS15_E_NS1_11comp_targetILNS1_3genE5ELNS1_11target_archE942ELNS1_3gpuE9ELNS1_3repE0EEENS1_30default_config_static_selectorELNS0_4arch9wavefront6targetE1EEEvT1_, .Lfunc_end360-_ZN7rocprim17ROCPRIM_400000_NS6detail17trampoline_kernelINS0_14default_configENS1_25partition_config_selectorILNS1_17partition_subalgoE9EllbEEZZNS1_14partition_implILS5_9ELb0ES3_jPlS8_PNS0_10empty_typeENS0_5tupleIJS8_S9_EEENSB_IJS8_SA_EEENS0_18inequality_wrapperIZN2at6native12_GLOBAL__N_124unique_dim_cuda_templateIaEESt5tupleIJNSF_6TensorESK_SK_EERKSK_lbbbEUlllE0_EEPmJS9_EEE10hipError_tPvRmT3_T4_T5_T6_T7_T9_mT8_P12ihipStream_tbDpT10_ENKUlT_T0_E_clISt17integral_constantIbLb1EES1A_EEDaS15_S16_EUlS15_E_NS1_11comp_targetILNS1_3genE5ELNS1_11target_archE942ELNS1_3gpuE9ELNS1_3repE0EEENS1_30default_config_static_selectorELNS0_4arch9wavefront6targetE1EEEvT1_
                                        ; -- End function
	.set _ZN7rocprim17ROCPRIM_400000_NS6detail17trampoline_kernelINS0_14default_configENS1_25partition_config_selectorILNS1_17partition_subalgoE9EllbEEZZNS1_14partition_implILS5_9ELb0ES3_jPlS8_PNS0_10empty_typeENS0_5tupleIJS8_S9_EEENSB_IJS8_SA_EEENS0_18inequality_wrapperIZN2at6native12_GLOBAL__N_124unique_dim_cuda_templateIaEESt5tupleIJNSF_6TensorESK_SK_EERKSK_lbbbEUlllE0_EEPmJS9_EEE10hipError_tPvRmT3_T4_T5_T6_T7_T9_mT8_P12ihipStream_tbDpT10_ENKUlT_T0_E_clISt17integral_constantIbLb1EES1A_EEDaS15_S16_EUlS15_E_NS1_11comp_targetILNS1_3genE5ELNS1_11target_archE942ELNS1_3gpuE9ELNS1_3repE0EEENS1_30default_config_static_selectorELNS0_4arch9wavefront6targetE1EEEvT1_.num_vgpr, 0
	.set _ZN7rocprim17ROCPRIM_400000_NS6detail17trampoline_kernelINS0_14default_configENS1_25partition_config_selectorILNS1_17partition_subalgoE9EllbEEZZNS1_14partition_implILS5_9ELb0ES3_jPlS8_PNS0_10empty_typeENS0_5tupleIJS8_S9_EEENSB_IJS8_SA_EEENS0_18inequality_wrapperIZN2at6native12_GLOBAL__N_124unique_dim_cuda_templateIaEESt5tupleIJNSF_6TensorESK_SK_EERKSK_lbbbEUlllE0_EEPmJS9_EEE10hipError_tPvRmT3_T4_T5_T6_T7_T9_mT8_P12ihipStream_tbDpT10_ENKUlT_T0_E_clISt17integral_constantIbLb1EES1A_EEDaS15_S16_EUlS15_E_NS1_11comp_targetILNS1_3genE5ELNS1_11target_archE942ELNS1_3gpuE9ELNS1_3repE0EEENS1_30default_config_static_selectorELNS0_4arch9wavefront6targetE1EEEvT1_.num_agpr, 0
	.set _ZN7rocprim17ROCPRIM_400000_NS6detail17trampoline_kernelINS0_14default_configENS1_25partition_config_selectorILNS1_17partition_subalgoE9EllbEEZZNS1_14partition_implILS5_9ELb0ES3_jPlS8_PNS0_10empty_typeENS0_5tupleIJS8_S9_EEENSB_IJS8_SA_EEENS0_18inequality_wrapperIZN2at6native12_GLOBAL__N_124unique_dim_cuda_templateIaEESt5tupleIJNSF_6TensorESK_SK_EERKSK_lbbbEUlllE0_EEPmJS9_EEE10hipError_tPvRmT3_T4_T5_T6_T7_T9_mT8_P12ihipStream_tbDpT10_ENKUlT_T0_E_clISt17integral_constantIbLb1EES1A_EEDaS15_S16_EUlS15_E_NS1_11comp_targetILNS1_3genE5ELNS1_11target_archE942ELNS1_3gpuE9ELNS1_3repE0EEENS1_30default_config_static_selectorELNS0_4arch9wavefront6targetE1EEEvT1_.numbered_sgpr, 0
	.set _ZN7rocprim17ROCPRIM_400000_NS6detail17trampoline_kernelINS0_14default_configENS1_25partition_config_selectorILNS1_17partition_subalgoE9EllbEEZZNS1_14partition_implILS5_9ELb0ES3_jPlS8_PNS0_10empty_typeENS0_5tupleIJS8_S9_EEENSB_IJS8_SA_EEENS0_18inequality_wrapperIZN2at6native12_GLOBAL__N_124unique_dim_cuda_templateIaEESt5tupleIJNSF_6TensorESK_SK_EERKSK_lbbbEUlllE0_EEPmJS9_EEE10hipError_tPvRmT3_T4_T5_T6_T7_T9_mT8_P12ihipStream_tbDpT10_ENKUlT_T0_E_clISt17integral_constantIbLb1EES1A_EEDaS15_S16_EUlS15_E_NS1_11comp_targetILNS1_3genE5ELNS1_11target_archE942ELNS1_3gpuE9ELNS1_3repE0EEENS1_30default_config_static_selectorELNS0_4arch9wavefront6targetE1EEEvT1_.num_named_barrier, 0
	.set _ZN7rocprim17ROCPRIM_400000_NS6detail17trampoline_kernelINS0_14default_configENS1_25partition_config_selectorILNS1_17partition_subalgoE9EllbEEZZNS1_14partition_implILS5_9ELb0ES3_jPlS8_PNS0_10empty_typeENS0_5tupleIJS8_S9_EEENSB_IJS8_SA_EEENS0_18inequality_wrapperIZN2at6native12_GLOBAL__N_124unique_dim_cuda_templateIaEESt5tupleIJNSF_6TensorESK_SK_EERKSK_lbbbEUlllE0_EEPmJS9_EEE10hipError_tPvRmT3_T4_T5_T6_T7_T9_mT8_P12ihipStream_tbDpT10_ENKUlT_T0_E_clISt17integral_constantIbLb1EES1A_EEDaS15_S16_EUlS15_E_NS1_11comp_targetILNS1_3genE5ELNS1_11target_archE942ELNS1_3gpuE9ELNS1_3repE0EEENS1_30default_config_static_selectorELNS0_4arch9wavefront6targetE1EEEvT1_.private_seg_size, 0
	.set _ZN7rocprim17ROCPRIM_400000_NS6detail17trampoline_kernelINS0_14default_configENS1_25partition_config_selectorILNS1_17partition_subalgoE9EllbEEZZNS1_14partition_implILS5_9ELb0ES3_jPlS8_PNS0_10empty_typeENS0_5tupleIJS8_S9_EEENSB_IJS8_SA_EEENS0_18inequality_wrapperIZN2at6native12_GLOBAL__N_124unique_dim_cuda_templateIaEESt5tupleIJNSF_6TensorESK_SK_EERKSK_lbbbEUlllE0_EEPmJS9_EEE10hipError_tPvRmT3_T4_T5_T6_T7_T9_mT8_P12ihipStream_tbDpT10_ENKUlT_T0_E_clISt17integral_constantIbLb1EES1A_EEDaS15_S16_EUlS15_E_NS1_11comp_targetILNS1_3genE5ELNS1_11target_archE942ELNS1_3gpuE9ELNS1_3repE0EEENS1_30default_config_static_selectorELNS0_4arch9wavefront6targetE1EEEvT1_.uses_vcc, 0
	.set _ZN7rocprim17ROCPRIM_400000_NS6detail17trampoline_kernelINS0_14default_configENS1_25partition_config_selectorILNS1_17partition_subalgoE9EllbEEZZNS1_14partition_implILS5_9ELb0ES3_jPlS8_PNS0_10empty_typeENS0_5tupleIJS8_S9_EEENSB_IJS8_SA_EEENS0_18inequality_wrapperIZN2at6native12_GLOBAL__N_124unique_dim_cuda_templateIaEESt5tupleIJNSF_6TensorESK_SK_EERKSK_lbbbEUlllE0_EEPmJS9_EEE10hipError_tPvRmT3_T4_T5_T6_T7_T9_mT8_P12ihipStream_tbDpT10_ENKUlT_T0_E_clISt17integral_constantIbLb1EES1A_EEDaS15_S16_EUlS15_E_NS1_11comp_targetILNS1_3genE5ELNS1_11target_archE942ELNS1_3gpuE9ELNS1_3repE0EEENS1_30default_config_static_selectorELNS0_4arch9wavefront6targetE1EEEvT1_.uses_flat_scratch, 0
	.set _ZN7rocprim17ROCPRIM_400000_NS6detail17trampoline_kernelINS0_14default_configENS1_25partition_config_selectorILNS1_17partition_subalgoE9EllbEEZZNS1_14partition_implILS5_9ELb0ES3_jPlS8_PNS0_10empty_typeENS0_5tupleIJS8_S9_EEENSB_IJS8_SA_EEENS0_18inequality_wrapperIZN2at6native12_GLOBAL__N_124unique_dim_cuda_templateIaEESt5tupleIJNSF_6TensorESK_SK_EERKSK_lbbbEUlllE0_EEPmJS9_EEE10hipError_tPvRmT3_T4_T5_T6_T7_T9_mT8_P12ihipStream_tbDpT10_ENKUlT_T0_E_clISt17integral_constantIbLb1EES1A_EEDaS15_S16_EUlS15_E_NS1_11comp_targetILNS1_3genE5ELNS1_11target_archE942ELNS1_3gpuE9ELNS1_3repE0EEENS1_30default_config_static_selectorELNS0_4arch9wavefront6targetE1EEEvT1_.has_dyn_sized_stack, 0
	.set _ZN7rocprim17ROCPRIM_400000_NS6detail17trampoline_kernelINS0_14default_configENS1_25partition_config_selectorILNS1_17partition_subalgoE9EllbEEZZNS1_14partition_implILS5_9ELb0ES3_jPlS8_PNS0_10empty_typeENS0_5tupleIJS8_S9_EEENSB_IJS8_SA_EEENS0_18inequality_wrapperIZN2at6native12_GLOBAL__N_124unique_dim_cuda_templateIaEESt5tupleIJNSF_6TensorESK_SK_EERKSK_lbbbEUlllE0_EEPmJS9_EEE10hipError_tPvRmT3_T4_T5_T6_T7_T9_mT8_P12ihipStream_tbDpT10_ENKUlT_T0_E_clISt17integral_constantIbLb1EES1A_EEDaS15_S16_EUlS15_E_NS1_11comp_targetILNS1_3genE5ELNS1_11target_archE942ELNS1_3gpuE9ELNS1_3repE0EEENS1_30default_config_static_selectorELNS0_4arch9wavefront6targetE1EEEvT1_.has_recursion, 0
	.set _ZN7rocprim17ROCPRIM_400000_NS6detail17trampoline_kernelINS0_14default_configENS1_25partition_config_selectorILNS1_17partition_subalgoE9EllbEEZZNS1_14partition_implILS5_9ELb0ES3_jPlS8_PNS0_10empty_typeENS0_5tupleIJS8_S9_EEENSB_IJS8_SA_EEENS0_18inequality_wrapperIZN2at6native12_GLOBAL__N_124unique_dim_cuda_templateIaEESt5tupleIJNSF_6TensorESK_SK_EERKSK_lbbbEUlllE0_EEPmJS9_EEE10hipError_tPvRmT3_T4_T5_T6_T7_T9_mT8_P12ihipStream_tbDpT10_ENKUlT_T0_E_clISt17integral_constantIbLb1EES1A_EEDaS15_S16_EUlS15_E_NS1_11comp_targetILNS1_3genE5ELNS1_11target_archE942ELNS1_3gpuE9ELNS1_3repE0EEENS1_30default_config_static_selectorELNS0_4arch9wavefront6targetE1EEEvT1_.has_indirect_call, 0
	.section	.AMDGPU.csdata,"",@progbits
; Kernel info:
; codeLenInByte = 0
; TotalNumSgprs: 6
; NumVgprs: 0
; NumAgprs: 0
; TotalNumVgprs: 0
; ScratchSize: 0
; MemoryBound: 0
; FloatMode: 240
; IeeeMode: 1
; LDSByteSize: 0 bytes/workgroup (compile time only)
; SGPRBlocks: 0
; VGPRBlocks: 0
; NumSGPRsForWavesPerEU: 6
; NumVGPRsForWavesPerEU: 1
; AccumOffset: 4
; Occupancy: 8
; WaveLimiterHint : 0
; COMPUTE_PGM_RSRC2:SCRATCH_EN: 0
; COMPUTE_PGM_RSRC2:USER_SGPR: 2
; COMPUTE_PGM_RSRC2:TRAP_HANDLER: 0
; COMPUTE_PGM_RSRC2:TGID_X_EN: 1
; COMPUTE_PGM_RSRC2:TGID_Y_EN: 0
; COMPUTE_PGM_RSRC2:TGID_Z_EN: 0
; COMPUTE_PGM_RSRC2:TIDIG_COMP_CNT: 0
; COMPUTE_PGM_RSRC3_GFX90A:ACCUM_OFFSET: 0
; COMPUTE_PGM_RSRC3_GFX90A:TG_SPLIT: 0
	.section	.text._ZN7rocprim17ROCPRIM_400000_NS6detail17trampoline_kernelINS0_14default_configENS1_25partition_config_selectorILNS1_17partition_subalgoE9EllbEEZZNS1_14partition_implILS5_9ELb0ES3_jPlS8_PNS0_10empty_typeENS0_5tupleIJS8_S9_EEENSB_IJS8_SA_EEENS0_18inequality_wrapperIZN2at6native12_GLOBAL__N_124unique_dim_cuda_templateIaEESt5tupleIJNSF_6TensorESK_SK_EERKSK_lbbbEUlllE0_EEPmJS9_EEE10hipError_tPvRmT3_T4_T5_T6_T7_T9_mT8_P12ihipStream_tbDpT10_ENKUlT_T0_E_clISt17integral_constantIbLb1EES1A_EEDaS15_S16_EUlS15_E_NS1_11comp_targetILNS1_3genE4ELNS1_11target_archE910ELNS1_3gpuE8ELNS1_3repE0EEENS1_30default_config_static_selectorELNS0_4arch9wavefront6targetE1EEEvT1_,"axG",@progbits,_ZN7rocprim17ROCPRIM_400000_NS6detail17trampoline_kernelINS0_14default_configENS1_25partition_config_selectorILNS1_17partition_subalgoE9EllbEEZZNS1_14partition_implILS5_9ELb0ES3_jPlS8_PNS0_10empty_typeENS0_5tupleIJS8_S9_EEENSB_IJS8_SA_EEENS0_18inequality_wrapperIZN2at6native12_GLOBAL__N_124unique_dim_cuda_templateIaEESt5tupleIJNSF_6TensorESK_SK_EERKSK_lbbbEUlllE0_EEPmJS9_EEE10hipError_tPvRmT3_T4_T5_T6_T7_T9_mT8_P12ihipStream_tbDpT10_ENKUlT_T0_E_clISt17integral_constantIbLb1EES1A_EEDaS15_S16_EUlS15_E_NS1_11comp_targetILNS1_3genE4ELNS1_11target_archE910ELNS1_3gpuE8ELNS1_3repE0EEENS1_30default_config_static_selectorELNS0_4arch9wavefront6targetE1EEEvT1_,comdat
	.globl	_ZN7rocprim17ROCPRIM_400000_NS6detail17trampoline_kernelINS0_14default_configENS1_25partition_config_selectorILNS1_17partition_subalgoE9EllbEEZZNS1_14partition_implILS5_9ELb0ES3_jPlS8_PNS0_10empty_typeENS0_5tupleIJS8_S9_EEENSB_IJS8_SA_EEENS0_18inequality_wrapperIZN2at6native12_GLOBAL__N_124unique_dim_cuda_templateIaEESt5tupleIJNSF_6TensorESK_SK_EERKSK_lbbbEUlllE0_EEPmJS9_EEE10hipError_tPvRmT3_T4_T5_T6_T7_T9_mT8_P12ihipStream_tbDpT10_ENKUlT_T0_E_clISt17integral_constantIbLb1EES1A_EEDaS15_S16_EUlS15_E_NS1_11comp_targetILNS1_3genE4ELNS1_11target_archE910ELNS1_3gpuE8ELNS1_3repE0EEENS1_30default_config_static_selectorELNS0_4arch9wavefront6targetE1EEEvT1_ ; -- Begin function _ZN7rocprim17ROCPRIM_400000_NS6detail17trampoline_kernelINS0_14default_configENS1_25partition_config_selectorILNS1_17partition_subalgoE9EllbEEZZNS1_14partition_implILS5_9ELb0ES3_jPlS8_PNS0_10empty_typeENS0_5tupleIJS8_S9_EEENSB_IJS8_SA_EEENS0_18inequality_wrapperIZN2at6native12_GLOBAL__N_124unique_dim_cuda_templateIaEESt5tupleIJNSF_6TensorESK_SK_EERKSK_lbbbEUlllE0_EEPmJS9_EEE10hipError_tPvRmT3_T4_T5_T6_T7_T9_mT8_P12ihipStream_tbDpT10_ENKUlT_T0_E_clISt17integral_constantIbLb1EES1A_EEDaS15_S16_EUlS15_E_NS1_11comp_targetILNS1_3genE4ELNS1_11target_archE910ELNS1_3gpuE8ELNS1_3repE0EEENS1_30default_config_static_selectorELNS0_4arch9wavefront6targetE1EEEvT1_
	.p2align	8
	.type	_ZN7rocprim17ROCPRIM_400000_NS6detail17trampoline_kernelINS0_14default_configENS1_25partition_config_selectorILNS1_17partition_subalgoE9EllbEEZZNS1_14partition_implILS5_9ELb0ES3_jPlS8_PNS0_10empty_typeENS0_5tupleIJS8_S9_EEENSB_IJS8_SA_EEENS0_18inequality_wrapperIZN2at6native12_GLOBAL__N_124unique_dim_cuda_templateIaEESt5tupleIJNSF_6TensorESK_SK_EERKSK_lbbbEUlllE0_EEPmJS9_EEE10hipError_tPvRmT3_T4_T5_T6_T7_T9_mT8_P12ihipStream_tbDpT10_ENKUlT_T0_E_clISt17integral_constantIbLb1EES1A_EEDaS15_S16_EUlS15_E_NS1_11comp_targetILNS1_3genE4ELNS1_11target_archE910ELNS1_3gpuE8ELNS1_3repE0EEENS1_30default_config_static_selectorELNS0_4arch9wavefront6targetE1EEEvT1_,@function
_ZN7rocprim17ROCPRIM_400000_NS6detail17trampoline_kernelINS0_14default_configENS1_25partition_config_selectorILNS1_17partition_subalgoE9EllbEEZZNS1_14partition_implILS5_9ELb0ES3_jPlS8_PNS0_10empty_typeENS0_5tupleIJS8_S9_EEENSB_IJS8_SA_EEENS0_18inequality_wrapperIZN2at6native12_GLOBAL__N_124unique_dim_cuda_templateIaEESt5tupleIJNSF_6TensorESK_SK_EERKSK_lbbbEUlllE0_EEPmJS9_EEE10hipError_tPvRmT3_T4_T5_T6_T7_T9_mT8_P12ihipStream_tbDpT10_ENKUlT_T0_E_clISt17integral_constantIbLb1EES1A_EEDaS15_S16_EUlS15_E_NS1_11comp_targetILNS1_3genE4ELNS1_11target_archE910ELNS1_3gpuE8ELNS1_3repE0EEENS1_30default_config_static_selectorELNS0_4arch9wavefront6targetE1EEEvT1_: ; @_ZN7rocprim17ROCPRIM_400000_NS6detail17trampoline_kernelINS0_14default_configENS1_25partition_config_selectorILNS1_17partition_subalgoE9EllbEEZZNS1_14partition_implILS5_9ELb0ES3_jPlS8_PNS0_10empty_typeENS0_5tupleIJS8_S9_EEENSB_IJS8_SA_EEENS0_18inequality_wrapperIZN2at6native12_GLOBAL__N_124unique_dim_cuda_templateIaEESt5tupleIJNSF_6TensorESK_SK_EERKSK_lbbbEUlllE0_EEPmJS9_EEE10hipError_tPvRmT3_T4_T5_T6_T7_T9_mT8_P12ihipStream_tbDpT10_ENKUlT_T0_E_clISt17integral_constantIbLb1EES1A_EEDaS15_S16_EUlS15_E_NS1_11comp_targetILNS1_3genE4ELNS1_11target_archE910ELNS1_3gpuE8ELNS1_3repE0EEENS1_30default_config_static_selectorELNS0_4arch9wavefront6targetE1EEEvT1_
; %bb.0:
	.section	.rodata,"a",@progbits
	.p2align	6, 0x0
	.amdhsa_kernel _ZN7rocprim17ROCPRIM_400000_NS6detail17trampoline_kernelINS0_14default_configENS1_25partition_config_selectorILNS1_17partition_subalgoE9EllbEEZZNS1_14partition_implILS5_9ELb0ES3_jPlS8_PNS0_10empty_typeENS0_5tupleIJS8_S9_EEENSB_IJS8_SA_EEENS0_18inequality_wrapperIZN2at6native12_GLOBAL__N_124unique_dim_cuda_templateIaEESt5tupleIJNSF_6TensorESK_SK_EERKSK_lbbbEUlllE0_EEPmJS9_EEE10hipError_tPvRmT3_T4_T5_T6_T7_T9_mT8_P12ihipStream_tbDpT10_ENKUlT_T0_E_clISt17integral_constantIbLb1EES1A_EEDaS15_S16_EUlS15_E_NS1_11comp_targetILNS1_3genE4ELNS1_11target_archE910ELNS1_3gpuE8ELNS1_3repE0EEENS1_30default_config_static_selectorELNS0_4arch9wavefront6targetE1EEEvT1_
		.amdhsa_group_segment_fixed_size 0
		.amdhsa_private_segment_fixed_size 0
		.amdhsa_kernarg_size 136
		.amdhsa_user_sgpr_count 2
		.amdhsa_user_sgpr_dispatch_ptr 0
		.amdhsa_user_sgpr_queue_ptr 0
		.amdhsa_user_sgpr_kernarg_segment_ptr 1
		.amdhsa_user_sgpr_dispatch_id 0
		.amdhsa_user_sgpr_kernarg_preload_length 0
		.amdhsa_user_sgpr_kernarg_preload_offset 0
		.amdhsa_user_sgpr_private_segment_size 0
		.amdhsa_uses_dynamic_stack 0
		.amdhsa_enable_private_segment 0
		.amdhsa_system_sgpr_workgroup_id_x 1
		.amdhsa_system_sgpr_workgroup_id_y 0
		.amdhsa_system_sgpr_workgroup_id_z 0
		.amdhsa_system_sgpr_workgroup_info 0
		.amdhsa_system_vgpr_workitem_id 0
		.amdhsa_next_free_vgpr 1
		.amdhsa_next_free_sgpr 0
		.amdhsa_accum_offset 4
		.amdhsa_reserve_vcc 0
		.amdhsa_float_round_mode_32 0
		.amdhsa_float_round_mode_16_64 0
		.amdhsa_float_denorm_mode_32 3
		.amdhsa_float_denorm_mode_16_64 3
		.amdhsa_dx10_clamp 1
		.amdhsa_ieee_mode 1
		.amdhsa_fp16_overflow 0
		.amdhsa_tg_split 0
		.amdhsa_exception_fp_ieee_invalid_op 0
		.amdhsa_exception_fp_denorm_src 0
		.amdhsa_exception_fp_ieee_div_zero 0
		.amdhsa_exception_fp_ieee_overflow 0
		.amdhsa_exception_fp_ieee_underflow 0
		.amdhsa_exception_fp_ieee_inexact 0
		.amdhsa_exception_int_div_zero 0
	.end_amdhsa_kernel
	.section	.text._ZN7rocprim17ROCPRIM_400000_NS6detail17trampoline_kernelINS0_14default_configENS1_25partition_config_selectorILNS1_17partition_subalgoE9EllbEEZZNS1_14partition_implILS5_9ELb0ES3_jPlS8_PNS0_10empty_typeENS0_5tupleIJS8_S9_EEENSB_IJS8_SA_EEENS0_18inequality_wrapperIZN2at6native12_GLOBAL__N_124unique_dim_cuda_templateIaEESt5tupleIJNSF_6TensorESK_SK_EERKSK_lbbbEUlllE0_EEPmJS9_EEE10hipError_tPvRmT3_T4_T5_T6_T7_T9_mT8_P12ihipStream_tbDpT10_ENKUlT_T0_E_clISt17integral_constantIbLb1EES1A_EEDaS15_S16_EUlS15_E_NS1_11comp_targetILNS1_3genE4ELNS1_11target_archE910ELNS1_3gpuE8ELNS1_3repE0EEENS1_30default_config_static_selectorELNS0_4arch9wavefront6targetE1EEEvT1_,"axG",@progbits,_ZN7rocprim17ROCPRIM_400000_NS6detail17trampoline_kernelINS0_14default_configENS1_25partition_config_selectorILNS1_17partition_subalgoE9EllbEEZZNS1_14partition_implILS5_9ELb0ES3_jPlS8_PNS0_10empty_typeENS0_5tupleIJS8_S9_EEENSB_IJS8_SA_EEENS0_18inequality_wrapperIZN2at6native12_GLOBAL__N_124unique_dim_cuda_templateIaEESt5tupleIJNSF_6TensorESK_SK_EERKSK_lbbbEUlllE0_EEPmJS9_EEE10hipError_tPvRmT3_T4_T5_T6_T7_T9_mT8_P12ihipStream_tbDpT10_ENKUlT_T0_E_clISt17integral_constantIbLb1EES1A_EEDaS15_S16_EUlS15_E_NS1_11comp_targetILNS1_3genE4ELNS1_11target_archE910ELNS1_3gpuE8ELNS1_3repE0EEENS1_30default_config_static_selectorELNS0_4arch9wavefront6targetE1EEEvT1_,comdat
.Lfunc_end361:
	.size	_ZN7rocprim17ROCPRIM_400000_NS6detail17trampoline_kernelINS0_14default_configENS1_25partition_config_selectorILNS1_17partition_subalgoE9EllbEEZZNS1_14partition_implILS5_9ELb0ES3_jPlS8_PNS0_10empty_typeENS0_5tupleIJS8_S9_EEENSB_IJS8_SA_EEENS0_18inequality_wrapperIZN2at6native12_GLOBAL__N_124unique_dim_cuda_templateIaEESt5tupleIJNSF_6TensorESK_SK_EERKSK_lbbbEUlllE0_EEPmJS9_EEE10hipError_tPvRmT3_T4_T5_T6_T7_T9_mT8_P12ihipStream_tbDpT10_ENKUlT_T0_E_clISt17integral_constantIbLb1EES1A_EEDaS15_S16_EUlS15_E_NS1_11comp_targetILNS1_3genE4ELNS1_11target_archE910ELNS1_3gpuE8ELNS1_3repE0EEENS1_30default_config_static_selectorELNS0_4arch9wavefront6targetE1EEEvT1_, .Lfunc_end361-_ZN7rocprim17ROCPRIM_400000_NS6detail17trampoline_kernelINS0_14default_configENS1_25partition_config_selectorILNS1_17partition_subalgoE9EllbEEZZNS1_14partition_implILS5_9ELb0ES3_jPlS8_PNS0_10empty_typeENS0_5tupleIJS8_S9_EEENSB_IJS8_SA_EEENS0_18inequality_wrapperIZN2at6native12_GLOBAL__N_124unique_dim_cuda_templateIaEESt5tupleIJNSF_6TensorESK_SK_EERKSK_lbbbEUlllE0_EEPmJS9_EEE10hipError_tPvRmT3_T4_T5_T6_T7_T9_mT8_P12ihipStream_tbDpT10_ENKUlT_T0_E_clISt17integral_constantIbLb1EES1A_EEDaS15_S16_EUlS15_E_NS1_11comp_targetILNS1_3genE4ELNS1_11target_archE910ELNS1_3gpuE8ELNS1_3repE0EEENS1_30default_config_static_selectorELNS0_4arch9wavefront6targetE1EEEvT1_
                                        ; -- End function
	.set _ZN7rocprim17ROCPRIM_400000_NS6detail17trampoline_kernelINS0_14default_configENS1_25partition_config_selectorILNS1_17partition_subalgoE9EllbEEZZNS1_14partition_implILS5_9ELb0ES3_jPlS8_PNS0_10empty_typeENS0_5tupleIJS8_S9_EEENSB_IJS8_SA_EEENS0_18inequality_wrapperIZN2at6native12_GLOBAL__N_124unique_dim_cuda_templateIaEESt5tupleIJNSF_6TensorESK_SK_EERKSK_lbbbEUlllE0_EEPmJS9_EEE10hipError_tPvRmT3_T4_T5_T6_T7_T9_mT8_P12ihipStream_tbDpT10_ENKUlT_T0_E_clISt17integral_constantIbLb1EES1A_EEDaS15_S16_EUlS15_E_NS1_11comp_targetILNS1_3genE4ELNS1_11target_archE910ELNS1_3gpuE8ELNS1_3repE0EEENS1_30default_config_static_selectorELNS0_4arch9wavefront6targetE1EEEvT1_.num_vgpr, 0
	.set _ZN7rocprim17ROCPRIM_400000_NS6detail17trampoline_kernelINS0_14default_configENS1_25partition_config_selectorILNS1_17partition_subalgoE9EllbEEZZNS1_14partition_implILS5_9ELb0ES3_jPlS8_PNS0_10empty_typeENS0_5tupleIJS8_S9_EEENSB_IJS8_SA_EEENS0_18inequality_wrapperIZN2at6native12_GLOBAL__N_124unique_dim_cuda_templateIaEESt5tupleIJNSF_6TensorESK_SK_EERKSK_lbbbEUlllE0_EEPmJS9_EEE10hipError_tPvRmT3_T4_T5_T6_T7_T9_mT8_P12ihipStream_tbDpT10_ENKUlT_T0_E_clISt17integral_constantIbLb1EES1A_EEDaS15_S16_EUlS15_E_NS1_11comp_targetILNS1_3genE4ELNS1_11target_archE910ELNS1_3gpuE8ELNS1_3repE0EEENS1_30default_config_static_selectorELNS0_4arch9wavefront6targetE1EEEvT1_.num_agpr, 0
	.set _ZN7rocprim17ROCPRIM_400000_NS6detail17trampoline_kernelINS0_14default_configENS1_25partition_config_selectorILNS1_17partition_subalgoE9EllbEEZZNS1_14partition_implILS5_9ELb0ES3_jPlS8_PNS0_10empty_typeENS0_5tupleIJS8_S9_EEENSB_IJS8_SA_EEENS0_18inequality_wrapperIZN2at6native12_GLOBAL__N_124unique_dim_cuda_templateIaEESt5tupleIJNSF_6TensorESK_SK_EERKSK_lbbbEUlllE0_EEPmJS9_EEE10hipError_tPvRmT3_T4_T5_T6_T7_T9_mT8_P12ihipStream_tbDpT10_ENKUlT_T0_E_clISt17integral_constantIbLb1EES1A_EEDaS15_S16_EUlS15_E_NS1_11comp_targetILNS1_3genE4ELNS1_11target_archE910ELNS1_3gpuE8ELNS1_3repE0EEENS1_30default_config_static_selectorELNS0_4arch9wavefront6targetE1EEEvT1_.numbered_sgpr, 0
	.set _ZN7rocprim17ROCPRIM_400000_NS6detail17trampoline_kernelINS0_14default_configENS1_25partition_config_selectorILNS1_17partition_subalgoE9EllbEEZZNS1_14partition_implILS5_9ELb0ES3_jPlS8_PNS0_10empty_typeENS0_5tupleIJS8_S9_EEENSB_IJS8_SA_EEENS0_18inequality_wrapperIZN2at6native12_GLOBAL__N_124unique_dim_cuda_templateIaEESt5tupleIJNSF_6TensorESK_SK_EERKSK_lbbbEUlllE0_EEPmJS9_EEE10hipError_tPvRmT3_T4_T5_T6_T7_T9_mT8_P12ihipStream_tbDpT10_ENKUlT_T0_E_clISt17integral_constantIbLb1EES1A_EEDaS15_S16_EUlS15_E_NS1_11comp_targetILNS1_3genE4ELNS1_11target_archE910ELNS1_3gpuE8ELNS1_3repE0EEENS1_30default_config_static_selectorELNS0_4arch9wavefront6targetE1EEEvT1_.num_named_barrier, 0
	.set _ZN7rocprim17ROCPRIM_400000_NS6detail17trampoline_kernelINS0_14default_configENS1_25partition_config_selectorILNS1_17partition_subalgoE9EllbEEZZNS1_14partition_implILS5_9ELb0ES3_jPlS8_PNS0_10empty_typeENS0_5tupleIJS8_S9_EEENSB_IJS8_SA_EEENS0_18inequality_wrapperIZN2at6native12_GLOBAL__N_124unique_dim_cuda_templateIaEESt5tupleIJNSF_6TensorESK_SK_EERKSK_lbbbEUlllE0_EEPmJS9_EEE10hipError_tPvRmT3_T4_T5_T6_T7_T9_mT8_P12ihipStream_tbDpT10_ENKUlT_T0_E_clISt17integral_constantIbLb1EES1A_EEDaS15_S16_EUlS15_E_NS1_11comp_targetILNS1_3genE4ELNS1_11target_archE910ELNS1_3gpuE8ELNS1_3repE0EEENS1_30default_config_static_selectorELNS0_4arch9wavefront6targetE1EEEvT1_.private_seg_size, 0
	.set _ZN7rocprim17ROCPRIM_400000_NS6detail17trampoline_kernelINS0_14default_configENS1_25partition_config_selectorILNS1_17partition_subalgoE9EllbEEZZNS1_14partition_implILS5_9ELb0ES3_jPlS8_PNS0_10empty_typeENS0_5tupleIJS8_S9_EEENSB_IJS8_SA_EEENS0_18inequality_wrapperIZN2at6native12_GLOBAL__N_124unique_dim_cuda_templateIaEESt5tupleIJNSF_6TensorESK_SK_EERKSK_lbbbEUlllE0_EEPmJS9_EEE10hipError_tPvRmT3_T4_T5_T6_T7_T9_mT8_P12ihipStream_tbDpT10_ENKUlT_T0_E_clISt17integral_constantIbLb1EES1A_EEDaS15_S16_EUlS15_E_NS1_11comp_targetILNS1_3genE4ELNS1_11target_archE910ELNS1_3gpuE8ELNS1_3repE0EEENS1_30default_config_static_selectorELNS0_4arch9wavefront6targetE1EEEvT1_.uses_vcc, 0
	.set _ZN7rocprim17ROCPRIM_400000_NS6detail17trampoline_kernelINS0_14default_configENS1_25partition_config_selectorILNS1_17partition_subalgoE9EllbEEZZNS1_14partition_implILS5_9ELb0ES3_jPlS8_PNS0_10empty_typeENS0_5tupleIJS8_S9_EEENSB_IJS8_SA_EEENS0_18inequality_wrapperIZN2at6native12_GLOBAL__N_124unique_dim_cuda_templateIaEESt5tupleIJNSF_6TensorESK_SK_EERKSK_lbbbEUlllE0_EEPmJS9_EEE10hipError_tPvRmT3_T4_T5_T6_T7_T9_mT8_P12ihipStream_tbDpT10_ENKUlT_T0_E_clISt17integral_constantIbLb1EES1A_EEDaS15_S16_EUlS15_E_NS1_11comp_targetILNS1_3genE4ELNS1_11target_archE910ELNS1_3gpuE8ELNS1_3repE0EEENS1_30default_config_static_selectorELNS0_4arch9wavefront6targetE1EEEvT1_.uses_flat_scratch, 0
	.set _ZN7rocprim17ROCPRIM_400000_NS6detail17trampoline_kernelINS0_14default_configENS1_25partition_config_selectorILNS1_17partition_subalgoE9EllbEEZZNS1_14partition_implILS5_9ELb0ES3_jPlS8_PNS0_10empty_typeENS0_5tupleIJS8_S9_EEENSB_IJS8_SA_EEENS0_18inequality_wrapperIZN2at6native12_GLOBAL__N_124unique_dim_cuda_templateIaEESt5tupleIJNSF_6TensorESK_SK_EERKSK_lbbbEUlllE0_EEPmJS9_EEE10hipError_tPvRmT3_T4_T5_T6_T7_T9_mT8_P12ihipStream_tbDpT10_ENKUlT_T0_E_clISt17integral_constantIbLb1EES1A_EEDaS15_S16_EUlS15_E_NS1_11comp_targetILNS1_3genE4ELNS1_11target_archE910ELNS1_3gpuE8ELNS1_3repE0EEENS1_30default_config_static_selectorELNS0_4arch9wavefront6targetE1EEEvT1_.has_dyn_sized_stack, 0
	.set _ZN7rocprim17ROCPRIM_400000_NS6detail17trampoline_kernelINS0_14default_configENS1_25partition_config_selectorILNS1_17partition_subalgoE9EllbEEZZNS1_14partition_implILS5_9ELb0ES3_jPlS8_PNS0_10empty_typeENS0_5tupleIJS8_S9_EEENSB_IJS8_SA_EEENS0_18inequality_wrapperIZN2at6native12_GLOBAL__N_124unique_dim_cuda_templateIaEESt5tupleIJNSF_6TensorESK_SK_EERKSK_lbbbEUlllE0_EEPmJS9_EEE10hipError_tPvRmT3_T4_T5_T6_T7_T9_mT8_P12ihipStream_tbDpT10_ENKUlT_T0_E_clISt17integral_constantIbLb1EES1A_EEDaS15_S16_EUlS15_E_NS1_11comp_targetILNS1_3genE4ELNS1_11target_archE910ELNS1_3gpuE8ELNS1_3repE0EEENS1_30default_config_static_selectorELNS0_4arch9wavefront6targetE1EEEvT1_.has_recursion, 0
	.set _ZN7rocprim17ROCPRIM_400000_NS6detail17trampoline_kernelINS0_14default_configENS1_25partition_config_selectorILNS1_17partition_subalgoE9EllbEEZZNS1_14partition_implILS5_9ELb0ES3_jPlS8_PNS0_10empty_typeENS0_5tupleIJS8_S9_EEENSB_IJS8_SA_EEENS0_18inequality_wrapperIZN2at6native12_GLOBAL__N_124unique_dim_cuda_templateIaEESt5tupleIJNSF_6TensorESK_SK_EERKSK_lbbbEUlllE0_EEPmJS9_EEE10hipError_tPvRmT3_T4_T5_T6_T7_T9_mT8_P12ihipStream_tbDpT10_ENKUlT_T0_E_clISt17integral_constantIbLb1EES1A_EEDaS15_S16_EUlS15_E_NS1_11comp_targetILNS1_3genE4ELNS1_11target_archE910ELNS1_3gpuE8ELNS1_3repE0EEENS1_30default_config_static_selectorELNS0_4arch9wavefront6targetE1EEEvT1_.has_indirect_call, 0
	.section	.AMDGPU.csdata,"",@progbits
; Kernel info:
; codeLenInByte = 0
; TotalNumSgprs: 6
; NumVgprs: 0
; NumAgprs: 0
; TotalNumVgprs: 0
; ScratchSize: 0
; MemoryBound: 0
; FloatMode: 240
; IeeeMode: 1
; LDSByteSize: 0 bytes/workgroup (compile time only)
; SGPRBlocks: 0
; VGPRBlocks: 0
; NumSGPRsForWavesPerEU: 6
; NumVGPRsForWavesPerEU: 1
; AccumOffset: 4
; Occupancy: 8
; WaveLimiterHint : 0
; COMPUTE_PGM_RSRC2:SCRATCH_EN: 0
; COMPUTE_PGM_RSRC2:USER_SGPR: 2
; COMPUTE_PGM_RSRC2:TRAP_HANDLER: 0
; COMPUTE_PGM_RSRC2:TGID_X_EN: 1
; COMPUTE_PGM_RSRC2:TGID_Y_EN: 0
; COMPUTE_PGM_RSRC2:TGID_Z_EN: 0
; COMPUTE_PGM_RSRC2:TIDIG_COMP_CNT: 0
; COMPUTE_PGM_RSRC3_GFX90A:ACCUM_OFFSET: 0
; COMPUTE_PGM_RSRC3_GFX90A:TG_SPLIT: 0
	.section	.text._ZN7rocprim17ROCPRIM_400000_NS6detail17trampoline_kernelINS0_14default_configENS1_25partition_config_selectorILNS1_17partition_subalgoE9EllbEEZZNS1_14partition_implILS5_9ELb0ES3_jPlS8_PNS0_10empty_typeENS0_5tupleIJS8_S9_EEENSB_IJS8_SA_EEENS0_18inequality_wrapperIZN2at6native12_GLOBAL__N_124unique_dim_cuda_templateIaEESt5tupleIJNSF_6TensorESK_SK_EERKSK_lbbbEUlllE0_EEPmJS9_EEE10hipError_tPvRmT3_T4_T5_T6_T7_T9_mT8_P12ihipStream_tbDpT10_ENKUlT_T0_E_clISt17integral_constantIbLb1EES1A_EEDaS15_S16_EUlS15_E_NS1_11comp_targetILNS1_3genE3ELNS1_11target_archE908ELNS1_3gpuE7ELNS1_3repE0EEENS1_30default_config_static_selectorELNS0_4arch9wavefront6targetE1EEEvT1_,"axG",@progbits,_ZN7rocprim17ROCPRIM_400000_NS6detail17trampoline_kernelINS0_14default_configENS1_25partition_config_selectorILNS1_17partition_subalgoE9EllbEEZZNS1_14partition_implILS5_9ELb0ES3_jPlS8_PNS0_10empty_typeENS0_5tupleIJS8_S9_EEENSB_IJS8_SA_EEENS0_18inequality_wrapperIZN2at6native12_GLOBAL__N_124unique_dim_cuda_templateIaEESt5tupleIJNSF_6TensorESK_SK_EERKSK_lbbbEUlllE0_EEPmJS9_EEE10hipError_tPvRmT3_T4_T5_T6_T7_T9_mT8_P12ihipStream_tbDpT10_ENKUlT_T0_E_clISt17integral_constantIbLb1EES1A_EEDaS15_S16_EUlS15_E_NS1_11comp_targetILNS1_3genE3ELNS1_11target_archE908ELNS1_3gpuE7ELNS1_3repE0EEENS1_30default_config_static_selectorELNS0_4arch9wavefront6targetE1EEEvT1_,comdat
	.globl	_ZN7rocprim17ROCPRIM_400000_NS6detail17trampoline_kernelINS0_14default_configENS1_25partition_config_selectorILNS1_17partition_subalgoE9EllbEEZZNS1_14partition_implILS5_9ELb0ES3_jPlS8_PNS0_10empty_typeENS0_5tupleIJS8_S9_EEENSB_IJS8_SA_EEENS0_18inequality_wrapperIZN2at6native12_GLOBAL__N_124unique_dim_cuda_templateIaEESt5tupleIJNSF_6TensorESK_SK_EERKSK_lbbbEUlllE0_EEPmJS9_EEE10hipError_tPvRmT3_T4_T5_T6_T7_T9_mT8_P12ihipStream_tbDpT10_ENKUlT_T0_E_clISt17integral_constantIbLb1EES1A_EEDaS15_S16_EUlS15_E_NS1_11comp_targetILNS1_3genE3ELNS1_11target_archE908ELNS1_3gpuE7ELNS1_3repE0EEENS1_30default_config_static_selectorELNS0_4arch9wavefront6targetE1EEEvT1_ ; -- Begin function _ZN7rocprim17ROCPRIM_400000_NS6detail17trampoline_kernelINS0_14default_configENS1_25partition_config_selectorILNS1_17partition_subalgoE9EllbEEZZNS1_14partition_implILS5_9ELb0ES3_jPlS8_PNS0_10empty_typeENS0_5tupleIJS8_S9_EEENSB_IJS8_SA_EEENS0_18inequality_wrapperIZN2at6native12_GLOBAL__N_124unique_dim_cuda_templateIaEESt5tupleIJNSF_6TensorESK_SK_EERKSK_lbbbEUlllE0_EEPmJS9_EEE10hipError_tPvRmT3_T4_T5_T6_T7_T9_mT8_P12ihipStream_tbDpT10_ENKUlT_T0_E_clISt17integral_constantIbLb1EES1A_EEDaS15_S16_EUlS15_E_NS1_11comp_targetILNS1_3genE3ELNS1_11target_archE908ELNS1_3gpuE7ELNS1_3repE0EEENS1_30default_config_static_selectorELNS0_4arch9wavefront6targetE1EEEvT1_
	.p2align	8
	.type	_ZN7rocprim17ROCPRIM_400000_NS6detail17trampoline_kernelINS0_14default_configENS1_25partition_config_selectorILNS1_17partition_subalgoE9EllbEEZZNS1_14partition_implILS5_9ELb0ES3_jPlS8_PNS0_10empty_typeENS0_5tupleIJS8_S9_EEENSB_IJS8_SA_EEENS0_18inequality_wrapperIZN2at6native12_GLOBAL__N_124unique_dim_cuda_templateIaEESt5tupleIJNSF_6TensorESK_SK_EERKSK_lbbbEUlllE0_EEPmJS9_EEE10hipError_tPvRmT3_T4_T5_T6_T7_T9_mT8_P12ihipStream_tbDpT10_ENKUlT_T0_E_clISt17integral_constantIbLb1EES1A_EEDaS15_S16_EUlS15_E_NS1_11comp_targetILNS1_3genE3ELNS1_11target_archE908ELNS1_3gpuE7ELNS1_3repE0EEENS1_30default_config_static_selectorELNS0_4arch9wavefront6targetE1EEEvT1_,@function
_ZN7rocprim17ROCPRIM_400000_NS6detail17trampoline_kernelINS0_14default_configENS1_25partition_config_selectorILNS1_17partition_subalgoE9EllbEEZZNS1_14partition_implILS5_9ELb0ES3_jPlS8_PNS0_10empty_typeENS0_5tupleIJS8_S9_EEENSB_IJS8_SA_EEENS0_18inequality_wrapperIZN2at6native12_GLOBAL__N_124unique_dim_cuda_templateIaEESt5tupleIJNSF_6TensorESK_SK_EERKSK_lbbbEUlllE0_EEPmJS9_EEE10hipError_tPvRmT3_T4_T5_T6_T7_T9_mT8_P12ihipStream_tbDpT10_ENKUlT_T0_E_clISt17integral_constantIbLb1EES1A_EEDaS15_S16_EUlS15_E_NS1_11comp_targetILNS1_3genE3ELNS1_11target_archE908ELNS1_3gpuE7ELNS1_3repE0EEENS1_30default_config_static_selectorELNS0_4arch9wavefront6targetE1EEEvT1_: ; @_ZN7rocprim17ROCPRIM_400000_NS6detail17trampoline_kernelINS0_14default_configENS1_25partition_config_selectorILNS1_17partition_subalgoE9EllbEEZZNS1_14partition_implILS5_9ELb0ES3_jPlS8_PNS0_10empty_typeENS0_5tupleIJS8_S9_EEENSB_IJS8_SA_EEENS0_18inequality_wrapperIZN2at6native12_GLOBAL__N_124unique_dim_cuda_templateIaEESt5tupleIJNSF_6TensorESK_SK_EERKSK_lbbbEUlllE0_EEPmJS9_EEE10hipError_tPvRmT3_T4_T5_T6_T7_T9_mT8_P12ihipStream_tbDpT10_ENKUlT_T0_E_clISt17integral_constantIbLb1EES1A_EEDaS15_S16_EUlS15_E_NS1_11comp_targetILNS1_3genE3ELNS1_11target_archE908ELNS1_3gpuE7ELNS1_3repE0EEENS1_30default_config_static_selectorELNS0_4arch9wavefront6targetE1EEEvT1_
; %bb.0:
	.section	.rodata,"a",@progbits
	.p2align	6, 0x0
	.amdhsa_kernel _ZN7rocprim17ROCPRIM_400000_NS6detail17trampoline_kernelINS0_14default_configENS1_25partition_config_selectorILNS1_17partition_subalgoE9EllbEEZZNS1_14partition_implILS5_9ELb0ES3_jPlS8_PNS0_10empty_typeENS0_5tupleIJS8_S9_EEENSB_IJS8_SA_EEENS0_18inequality_wrapperIZN2at6native12_GLOBAL__N_124unique_dim_cuda_templateIaEESt5tupleIJNSF_6TensorESK_SK_EERKSK_lbbbEUlllE0_EEPmJS9_EEE10hipError_tPvRmT3_T4_T5_T6_T7_T9_mT8_P12ihipStream_tbDpT10_ENKUlT_T0_E_clISt17integral_constantIbLb1EES1A_EEDaS15_S16_EUlS15_E_NS1_11comp_targetILNS1_3genE3ELNS1_11target_archE908ELNS1_3gpuE7ELNS1_3repE0EEENS1_30default_config_static_selectorELNS0_4arch9wavefront6targetE1EEEvT1_
		.amdhsa_group_segment_fixed_size 0
		.amdhsa_private_segment_fixed_size 0
		.amdhsa_kernarg_size 136
		.amdhsa_user_sgpr_count 2
		.amdhsa_user_sgpr_dispatch_ptr 0
		.amdhsa_user_sgpr_queue_ptr 0
		.amdhsa_user_sgpr_kernarg_segment_ptr 1
		.amdhsa_user_sgpr_dispatch_id 0
		.amdhsa_user_sgpr_kernarg_preload_length 0
		.amdhsa_user_sgpr_kernarg_preload_offset 0
		.amdhsa_user_sgpr_private_segment_size 0
		.amdhsa_uses_dynamic_stack 0
		.amdhsa_enable_private_segment 0
		.amdhsa_system_sgpr_workgroup_id_x 1
		.amdhsa_system_sgpr_workgroup_id_y 0
		.amdhsa_system_sgpr_workgroup_id_z 0
		.amdhsa_system_sgpr_workgroup_info 0
		.amdhsa_system_vgpr_workitem_id 0
		.amdhsa_next_free_vgpr 1
		.amdhsa_next_free_sgpr 0
		.amdhsa_accum_offset 4
		.amdhsa_reserve_vcc 0
		.amdhsa_float_round_mode_32 0
		.amdhsa_float_round_mode_16_64 0
		.amdhsa_float_denorm_mode_32 3
		.amdhsa_float_denorm_mode_16_64 3
		.amdhsa_dx10_clamp 1
		.amdhsa_ieee_mode 1
		.amdhsa_fp16_overflow 0
		.amdhsa_tg_split 0
		.amdhsa_exception_fp_ieee_invalid_op 0
		.amdhsa_exception_fp_denorm_src 0
		.amdhsa_exception_fp_ieee_div_zero 0
		.amdhsa_exception_fp_ieee_overflow 0
		.amdhsa_exception_fp_ieee_underflow 0
		.amdhsa_exception_fp_ieee_inexact 0
		.amdhsa_exception_int_div_zero 0
	.end_amdhsa_kernel
	.section	.text._ZN7rocprim17ROCPRIM_400000_NS6detail17trampoline_kernelINS0_14default_configENS1_25partition_config_selectorILNS1_17partition_subalgoE9EllbEEZZNS1_14partition_implILS5_9ELb0ES3_jPlS8_PNS0_10empty_typeENS0_5tupleIJS8_S9_EEENSB_IJS8_SA_EEENS0_18inequality_wrapperIZN2at6native12_GLOBAL__N_124unique_dim_cuda_templateIaEESt5tupleIJNSF_6TensorESK_SK_EERKSK_lbbbEUlllE0_EEPmJS9_EEE10hipError_tPvRmT3_T4_T5_T6_T7_T9_mT8_P12ihipStream_tbDpT10_ENKUlT_T0_E_clISt17integral_constantIbLb1EES1A_EEDaS15_S16_EUlS15_E_NS1_11comp_targetILNS1_3genE3ELNS1_11target_archE908ELNS1_3gpuE7ELNS1_3repE0EEENS1_30default_config_static_selectorELNS0_4arch9wavefront6targetE1EEEvT1_,"axG",@progbits,_ZN7rocprim17ROCPRIM_400000_NS6detail17trampoline_kernelINS0_14default_configENS1_25partition_config_selectorILNS1_17partition_subalgoE9EllbEEZZNS1_14partition_implILS5_9ELb0ES3_jPlS8_PNS0_10empty_typeENS0_5tupleIJS8_S9_EEENSB_IJS8_SA_EEENS0_18inequality_wrapperIZN2at6native12_GLOBAL__N_124unique_dim_cuda_templateIaEESt5tupleIJNSF_6TensorESK_SK_EERKSK_lbbbEUlllE0_EEPmJS9_EEE10hipError_tPvRmT3_T4_T5_T6_T7_T9_mT8_P12ihipStream_tbDpT10_ENKUlT_T0_E_clISt17integral_constantIbLb1EES1A_EEDaS15_S16_EUlS15_E_NS1_11comp_targetILNS1_3genE3ELNS1_11target_archE908ELNS1_3gpuE7ELNS1_3repE0EEENS1_30default_config_static_selectorELNS0_4arch9wavefront6targetE1EEEvT1_,comdat
.Lfunc_end362:
	.size	_ZN7rocprim17ROCPRIM_400000_NS6detail17trampoline_kernelINS0_14default_configENS1_25partition_config_selectorILNS1_17partition_subalgoE9EllbEEZZNS1_14partition_implILS5_9ELb0ES3_jPlS8_PNS0_10empty_typeENS0_5tupleIJS8_S9_EEENSB_IJS8_SA_EEENS0_18inequality_wrapperIZN2at6native12_GLOBAL__N_124unique_dim_cuda_templateIaEESt5tupleIJNSF_6TensorESK_SK_EERKSK_lbbbEUlllE0_EEPmJS9_EEE10hipError_tPvRmT3_T4_T5_T6_T7_T9_mT8_P12ihipStream_tbDpT10_ENKUlT_T0_E_clISt17integral_constantIbLb1EES1A_EEDaS15_S16_EUlS15_E_NS1_11comp_targetILNS1_3genE3ELNS1_11target_archE908ELNS1_3gpuE7ELNS1_3repE0EEENS1_30default_config_static_selectorELNS0_4arch9wavefront6targetE1EEEvT1_, .Lfunc_end362-_ZN7rocprim17ROCPRIM_400000_NS6detail17trampoline_kernelINS0_14default_configENS1_25partition_config_selectorILNS1_17partition_subalgoE9EllbEEZZNS1_14partition_implILS5_9ELb0ES3_jPlS8_PNS0_10empty_typeENS0_5tupleIJS8_S9_EEENSB_IJS8_SA_EEENS0_18inequality_wrapperIZN2at6native12_GLOBAL__N_124unique_dim_cuda_templateIaEESt5tupleIJNSF_6TensorESK_SK_EERKSK_lbbbEUlllE0_EEPmJS9_EEE10hipError_tPvRmT3_T4_T5_T6_T7_T9_mT8_P12ihipStream_tbDpT10_ENKUlT_T0_E_clISt17integral_constantIbLb1EES1A_EEDaS15_S16_EUlS15_E_NS1_11comp_targetILNS1_3genE3ELNS1_11target_archE908ELNS1_3gpuE7ELNS1_3repE0EEENS1_30default_config_static_selectorELNS0_4arch9wavefront6targetE1EEEvT1_
                                        ; -- End function
	.set _ZN7rocprim17ROCPRIM_400000_NS6detail17trampoline_kernelINS0_14default_configENS1_25partition_config_selectorILNS1_17partition_subalgoE9EllbEEZZNS1_14partition_implILS5_9ELb0ES3_jPlS8_PNS0_10empty_typeENS0_5tupleIJS8_S9_EEENSB_IJS8_SA_EEENS0_18inequality_wrapperIZN2at6native12_GLOBAL__N_124unique_dim_cuda_templateIaEESt5tupleIJNSF_6TensorESK_SK_EERKSK_lbbbEUlllE0_EEPmJS9_EEE10hipError_tPvRmT3_T4_T5_T6_T7_T9_mT8_P12ihipStream_tbDpT10_ENKUlT_T0_E_clISt17integral_constantIbLb1EES1A_EEDaS15_S16_EUlS15_E_NS1_11comp_targetILNS1_3genE3ELNS1_11target_archE908ELNS1_3gpuE7ELNS1_3repE0EEENS1_30default_config_static_selectorELNS0_4arch9wavefront6targetE1EEEvT1_.num_vgpr, 0
	.set _ZN7rocprim17ROCPRIM_400000_NS6detail17trampoline_kernelINS0_14default_configENS1_25partition_config_selectorILNS1_17partition_subalgoE9EllbEEZZNS1_14partition_implILS5_9ELb0ES3_jPlS8_PNS0_10empty_typeENS0_5tupleIJS8_S9_EEENSB_IJS8_SA_EEENS0_18inequality_wrapperIZN2at6native12_GLOBAL__N_124unique_dim_cuda_templateIaEESt5tupleIJNSF_6TensorESK_SK_EERKSK_lbbbEUlllE0_EEPmJS9_EEE10hipError_tPvRmT3_T4_T5_T6_T7_T9_mT8_P12ihipStream_tbDpT10_ENKUlT_T0_E_clISt17integral_constantIbLb1EES1A_EEDaS15_S16_EUlS15_E_NS1_11comp_targetILNS1_3genE3ELNS1_11target_archE908ELNS1_3gpuE7ELNS1_3repE0EEENS1_30default_config_static_selectorELNS0_4arch9wavefront6targetE1EEEvT1_.num_agpr, 0
	.set _ZN7rocprim17ROCPRIM_400000_NS6detail17trampoline_kernelINS0_14default_configENS1_25partition_config_selectorILNS1_17partition_subalgoE9EllbEEZZNS1_14partition_implILS5_9ELb0ES3_jPlS8_PNS0_10empty_typeENS0_5tupleIJS8_S9_EEENSB_IJS8_SA_EEENS0_18inequality_wrapperIZN2at6native12_GLOBAL__N_124unique_dim_cuda_templateIaEESt5tupleIJNSF_6TensorESK_SK_EERKSK_lbbbEUlllE0_EEPmJS9_EEE10hipError_tPvRmT3_T4_T5_T6_T7_T9_mT8_P12ihipStream_tbDpT10_ENKUlT_T0_E_clISt17integral_constantIbLb1EES1A_EEDaS15_S16_EUlS15_E_NS1_11comp_targetILNS1_3genE3ELNS1_11target_archE908ELNS1_3gpuE7ELNS1_3repE0EEENS1_30default_config_static_selectorELNS0_4arch9wavefront6targetE1EEEvT1_.numbered_sgpr, 0
	.set _ZN7rocprim17ROCPRIM_400000_NS6detail17trampoline_kernelINS0_14default_configENS1_25partition_config_selectorILNS1_17partition_subalgoE9EllbEEZZNS1_14partition_implILS5_9ELb0ES3_jPlS8_PNS0_10empty_typeENS0_5tupleIJS8_S9_EEENSB_IJS8_SA_EEENS0_18inequality_wrapperIZN2at6native12_GLOBAL__N_124unique_dim_cuda_templateIaEESt5tupleIJNSF_6TensorESK_SK_EERKSK_lbbbEUlllE0_EEPmJS9_EEE10hipError_tPvRmT3_T4_T5_T6_T7_T9_mT8_P12ihipStream_tbDpT10_ENKUlT_T0_E_clISt17integral_constantIbLb1EES1A_EEDaS15_S16_EUlS15_E_NS1_11comp_targetILNS1_3genE3ELNS1_11target_archE908ELNS1_3gpuE7ELNS1_3repE0EEENS1_30default_config_static_selectorELNS0_4arch9wavefront6targetE1EEEvT1_.num_named_barrier, 0
	.set _ZN7rocprim17ROCPRIM_400000_NS6detail17trampoline_kernelINS0_14default_configENS1_25partition_config_selectorILNS1_17partition_subalgoE9EllbEEZZNS1_14partition_implILS5_9ELb0ES3_jPlS8_PNS0_10empty_typeENS0_5tupleIJS8_S9_EEENSB_IJS8_SA_EEENS0_18inequality_wrapperIZN2at6native12_GLOBAL__N_124unique_dim_cuda_templateIaEESt5tupleIJNSF_6TensorESK_SK_EERKSK_lbbbEUlllE0_EEPmJS9_EEE10hipError_tPvRmT3_T4_T5_T6_T7_T9_mT8_P12ihipStream_tbDpT10_ENKUlT_T0_E_clISt17integral_constantIbLb1EES1A_EEDaS15_S16_EUlS15_E_NS1_11comp_targetILNS1_3genE3ELNS1_11target_archE908ELNS1_3gpuE7ELNS1_3repE0EEENS1_30default_config_static_selectorELNS0_4arch9wavefront6targetE1EEEvT1_.private_seg_size, 0
	.set _ZN7rocprim17ROCPRIM_400000_NS6detail17trampoline_kernelINS0_14default_configENS1_25partition_config_selectorILNS1_17partition_subalgoE9EllbEEZZNS1_14partition_implILS5_9ELb0ES3_jPlS8_PNS0_10empty_typeENS0_5tupleIJS8_S9_EEENSB_IJS8_SA_EEENS0_18inequality_wrapperIZN2at6native12_GLOBAL__N_124unique_dim_cuda_templateIaEESt5tupleIJNSF_6TensorESK_SK_EERKSK_lbbbEUlllE0_EEPmJS9_EEE10hipError_tPvRmT3_T4_T5_T6_T7_T9_mT8_P12ihipStream_tbDpT10_ENKUlT_T0_E_clISt17integral_constantIbLb1EES1A_EEDaS15_S16_EUlS15_E_NS1_11comp_targetILNS1_3genE3ELNS1_11target_archE908ELNS1_3gpuE7ELNS1_3repE0EEENS1_30default_config_static_selectorELNS0_4arch9wavefront6targetE1EEEvT1_.uses_vcc, 0
	.set _ZN7rocprim17ROCPRIM_400000_NS6detail17trampoline_kernelINS0_14default_configENS1_25partition_config_selectorILNS1_17partition_subalgoE9EllbEEZZNS1_14partition_implILS5_9ELb0ES3_jPlS8_PNS0_10empty_typeENS0_5tupleIJS8_S9_EEENSB_IJS8_SA_EEENS0_18inequality_wrapperIZN2at6native12_GLOBAL__N_124unique_dim_cuda_templateIaEESt5tupleIJNSF_6TensorESK_SK_EERKSK_lbbbEUlllE0_EEPmJS9_EEE10hipError_tPvRmT3_T4_T5_T6_T7_T9_mT8_P12ihipStream_tbDpT10_ENKUlT_T0_E_clISt17integral_constantIbLb1EES1A_EEDaS15_S16_EUlS15_E_NS1_11comp_targetILNS1_3genE3ELNS1_11target_archE908ELNS1_3gpuE7ELNS1_3repE0EEENS1_30default_config_static_selectorELNS0_4arch9wavefront6targetE1EEEvT1_.uses_flat_scratch, 0
	.set _ZN7rocprim17ROCPRIM_400000_NS6detail17trampoline_kernelINS0_14default_configENS1_25partition_config_selectorILNS1_17partition_subalgoE9EllbEEZZNS1_14partition_implILS5_9ELb0ES3_jPlS8_PNS0_10empty_typeENS0_5tupleIJS8_S9_EEENSB_IJS8_SA_EEENS0_18inequality_wrapperIZN2at6native12_GLOBAL__N_124unique_dim_cuda_templateIaEESt5tupleIJNSF_6TensorESK_SK_EERKSK_lbbbEUlllE0_EEPmJS9_EEE10hipError_tPvRmT3_T4_T5_T6_T7_T9_mT8_P12ihipStream_tbDpT10_ENKUlT_T0_E_clISt17integral_constantIbLb1EES1A_EEDaS15_S16_EUlS15_E_NS1_11comp_targetILNS1_3genE3ELNS1_11target_archE908ELNS1_3gpuE7ELNS1_3repE0EEENS1_30default_config_static_selectorELNS0_4arch9wavefront6targetE1EEEvT1_.has_dyn_sized_stack, 0
	.set _ZN7rocprim17ROCPRIM_400000_NS6detail17trampoline_kernelINS0_14default_configENS1_25partition_config_selectorILNS1_17partition_subalgoE9EllbEEZZNS1_14partition_implILS5_9ELb0ES3_jPlS8_PNS0_10empty_typeENS0_5tupleIJS8_S9_EEENSB_IJS8_SA_EEENS0_18inequality_wrapperIZN2at6native12_GLOBAL__N_124unique_dim_cuda_templateIaEESt5tupleIJNSF_6TensorESK_SK_EERKSK_lbbbEUlllE0_EEPmJS9_EEE10hipError_tPvRmT3_T4_T5_T6_T7_T9_mT8_P12ihipStream_tbDpT10_ENKUlT_T0_E_clISt17integral_constantIbLb1EES1A_EEDaS15_S16_EUlS15_E_NS1_11comp_targetILNS1_3genE3ELNS1_11target_archE908ELNS1_3gpuE7ELNS1_3repE0EEENS1_30default_config_static_selectorELNS0_4arch9wavefront6targetE1EEEvT1_.has_recursion, 0
	.set _ZN7rocprim17ROCPRIM_400000_NS6detail17trampoline_kernelINS0_14default_configENS1_25partition_config_selectorILNS1_17partition_subalgoE9EllbEEZZNS1_14partition_implILS5_9ELb0ES3_jPlS8_PNS0_10empty_typeENS0_5tupleIJS8_S9_EEENSB_IJS8_SA_EEENS0_18inequality_wrapperIZN2at6native12_GLOBAL__N_124unique_dim_cuda_templateIaEESt5tupleIJNSF_6TensorESK_SK_EERKSK_lbbbEUlllE0_EEPmJS9_EEE10hipError_tPvRmT3_T4_T5_T6_T7_T9_mT8_P12ihipStream_tbDpT10_ENKUlT_T0_E_clISt17integral_constantIbLb1EES1A_EEDaS15_S16_EUlS15_E_NS1_11comp_targetILNS1_3genE3ELNS1_11target_archE908ELNS1_3gpuE7ELNS1_3repE0EEENS1_30default_config_static_selectorELNS0_4arch9wavefront6targetE1EEEvT1_.has_indirect_call, 0
	.section	.AMDGPU.csdata,"",@progbits
; Kernel info:
; codeLenInByte = 0
; TotalNumSgprs: 6
; NumVgprs: 0
; NumAgprs: 0
; TotalNumVgprs: 0
; ScratchSize: 0
; MemoryBound: 0
; FloatMode: 240
; IeeeMode: 1
; LDSByteSize: 0 bytes/workgroup (compile time only)
; SGPRBlocks: 0
; VGPRBlocks: 0
; NumSGPRsForWavesPerEU: 6
; NumVGPRsForWavesPerEU: 1
; AccumOffset: 4
; Occupancy: 8
; WaveLimiterHint : 0
; COMPUTE_PGM_RSRC2:SCRATCH_EN: 0
; COMPUTE_PGM_RSRC2:USER_SGPR: 2
; COMPUTE_PGM_RSRC2:TRAP_HANDLER: 0
; COMPUTE_PGM_RSRC2:TGID_X_EN: 1
; COMPUTE_PGM_RSRC2:TGID_Y_EN: 0
; COMPUTE_PGM_RSRC2:TGID_Z_EN: 0
; COMPUTE_PGM_RSRC2:TIDIG_COMP_CNT: 0
; COMPUTE_PGM_RSRC3_GFX90A:ACCUM_OFFSET: 0
; COMPUTE_PGM_RSRC3_GFX90A:TG_SPLIT: 0
	.section	.text._ZN7rocprim17ROCPRIM_400000_NS6detail17trampoline_kernelINS0_14default_configENS1_25partition_config_selectorILNS1_17partition_subalgoE9EllbEEZZNS1_14partition_implILS5_9ELb0ES3_jPlS8_PNS0_10empty_typeENS0_5tupleIJS8_S9_EEENSB_IJS8_SA_EEENS0_18inequality_wrapperIZN2at6native12_GLOBAL__N_124unique_dim_cuda_templateIaEESt5tupleIJNSF_6TensorESK_SK_EERKSK_lbbbEUlllE0_EEPmJS9_EEE10hipError_tPvRmT3_T4_T5_T6_T7_T9_mT8_P12ihipStream_tbDpT10_ENKUlT_T0_E_clISt17integral_constantIbLb1EES1A_EEDaS15_S16_EUlS15_E_NS1_11comp_targetILNS1_3genE2ELNS1_11target_archE906ELNS1_3gpuE6ELNS1_3repE0EEENS1_30default_config_static_selectorELNS0_4arch9wavefront6targetE1EEEvT1_,"axG",@progbits,_ZN7rocprim17ROCPRIM_400000_NS6detail17trampoline_kernelINS0_14default_configENS1_25partition_config_selectorILNS1_17partition_subalgoE9EllbEEZZNS1_14partition_implILS5_9ELb0ES3_jPlS8_PNS0_10empty_typeENS0_5tupleIJS8_S9_EEENSB_IJS8_SA_EEENS0_18inequality_wrapperIZN2at6native12_GLOBAL__N_124unique_dim_cuda_templateIaEESt5tupleIJNSF_6TensorESK_SK_EERKSK_lbbbEUlllE0_EEPmJS9_EEE10hipError_tPvRmT3_T4_T5_T6_T7_T9_mT8_P12ihipStream_tbDpT10_ENKUlT_T0_E_clISt17integral_constantIbLb1EES1A_EEDaS15_S16_EUlS15_E_NS1_11comp_targetILNS1_3genE2ELNS1_11target_archE906ELNS1_3gpuE6ELNS1_3repE0EEENS1_30default_config_static_selectorELNS0_4arch9wavefront6targetE1EEEvT1_,comdat
	.globl	_ZN7rocprim17ROCPRIM_400000_NS6detail17trampoline_kernelINS0_14default_configENS1_25partition_config_selectorILNS1_17partition_subalgoE9EllbEEZZNS1_14partition_implILS5_9ELb0ES3_jPlS8_PNS0_10empty_typeENS0_5tupleIJS8_S9_EEENSB_IJS8_SA_EEENS0_18inequality_wrapperIZN2at6native12_GLOBAL__N_124unique_dim_cuda_templateIaEESt5tupleIJNSF_6TensorESK_SK_EERKSK_lbbbEUlllE0_EEPmJS9_EEE10hipError_tPvRmT3_T4_T5_T6_T7_T9_mT8_P12ihipStream_tbDpT10_ENKUlT_T0_E_clISt17integral_constantIbLb1EES1A_EEDaS15_S16_EUlS15_E_NS1_11comp_targetILNS1_3genE2ELNS1_11target_archE906ELNS1_3gpuE6ELNS1_3repE0EEENS1_30default_config_static_selectorELNS0_4arch9wavefront6targetE1EEEvT1_ ; -- Begin function _ZN7rocprim17ROCPRIM_400000_NS6detail17trampoline_kernelINS0_14default_configENS1_25partition_config_selectorILNS1_17partition_subalgoE9EllbEEZZNS1_14partition_implILS5_9ELb0ES3_jPlS8_PNS0_10empty_typeENS0_5tupleIJS8_S9_EEENSB_IJS8_SA_EEENS0_18inequality_wrapperIZN2at6native12_GLOBAL__N_124unique_dim_cuda_templateIaEESt5tupleIJNSF_6TensorESK_SK_EERKSK_lbbbEUlllE0_EEPmJS9_EEE10hipError_tPvRmT3_T4_T5_T6_T7_T9_mT8_P12ihipStream_tbDpT10_ENKUlT_T0_E_clISt17integral_constantIbLb1EES1A_EEDaS15_S16_EUlS15_E_NS1_11comp_targetILNS1_3genE2ELNS1_11target_archE906ELNS1_3gpuE6ELNS1_3repE0EEENS1_30default_config_static_selectorELNS0_4arch9wavefront6targetE1EEEvT1_
	.p2align	8
	.type	_ZN7rocprim17ROCPRIM_400000_NS6detail17trampoline_kernelINS0_14default_configENS1_25partition_config_selectorILNS1_17partition_subalgoE9EllbEEZZNS1_14partition_implILS5_9ELb0ES3_jPlS8_PNS0_10empty_typeENS0_5tupleIJS8_S9_EEENSB_IJS8_SA_EEENS0_18inequality_wrapperIZN2at6native12_GLOBAL__N_124unique_dim_cuda_templateIaEESt5tupleIJNSF_6TensorESK_SK_EERKSK_lbbbEUlllE0_EEPmJS9_EEE10hipError_tPvRmT3_T4_T5_T6_T7_T9_mT8_P12ihipStream_tbDpT10_ENKUlT_T0_E_clISt17integral_constantIbLb1EES1A_EEDaS15_S16_EUlS15_E_NS1_11comp_targetILNS1_3genE2ELNS1_11target_archE906ELNS1_3gpuE6ELNS1_3repE0EEENS1_30default_config_static_selectorELNS0_4arch9wavefront6targetE1EEEvT1_,@function
_ZN7rocprim17ROCPRIM_400000_NS6detail17trampoline_kernelINS0_14default_configENS1_25partition_config_selectorILNS1_17partition_subalgoE9EllbEEZZNS1_14partition_implILS5_9ELb0ES3_jPlS8_PNS0_10empty_typeENS0_5tupleIJS8_S9_EEENSB_IJS8_SA_EEENS0_18inequality_wrapperIZN2at6native12_GLOBAL__N_124unique_dim_cuda_templateIaEESt5tupleIJNSF_6TensorESK_SK_EERKSK_lbbbEUlllE0_EEPmJS9_EEE10hipError_tPvRmT3_T4_T5_T6_T7_T9_mT8_P12ihipStream_tbDpT10_ENKUlT_T0_E_clISt17integral_constantIbLb1EES1A_EEDaS15_S16_EUlS15_E_NS1_11comp_targetILNS1_3genE2ELNS1_11target_archE906ELNS1_3gpuE6ELNS1_3repE0EEENS1_30default_config_static_selectorELNS0_4arch9wavefront6targetE1EEEvT1_: ; @_ZN7rocprim17ROCPRIM_400000_NS6detail17trampoline_kernelINS0_14default_configENS1_25partition_config_selectorILNS1_17partition_subalgoE9EllbEEZZNS1_14partition_implILS5_9ELb0ES3_jPlS8_PNS0_10empty_typeENS0_5tupleIJS8_S9_EEENSB_IJS8_SA_EEENS0_18inequality_wrapperIZN2at6native12_GLOBAL__N_124unique_dim_cuda_templateIaEESt5tupleIJNSF_6TensorESK_SK_EERKSK_lbbbEUlllE0_EEPmJS9_EEE10hipError_tPvRmT3_T4_T5_T6_T7_T9_mT8_P12ihipStream_tbDpT10_ENKUlT_T0_E_clISt17integral_constantIbLb1EES1A_EEDaS15_S16_EUlS15_E_NS1_11comp_targetILNS1_3genE2ELNS1_11target_archE906ELNS1_3gpuE6ELNS1_3repE0EEENS1_30default_config_static_selectorELNS0_4arch9wavefront6targetE1EEEvT1_
; %bb.0:
	.section	.rodata,"a",@progbits
	.p2align	6, 0x0
	.amdhsa_kernel _ZN7rocprim17ROCPRIM_400000_NS6detail17trampoline_kernelINS0_14default_configENS1_25partition_config_selectorILNS1_17partition_subalgoE9EllbEEZZNS1_14partition_implILS5_9ELb0ES3_jPlS8_PNS0_10empty_typeENS0_5tupleIJS8_S9_EEENSB_IJS8_SA_EEENS0_18inequality_wrapperIZN2at6native12_GLOBAL__N_124unique_dim_cuda_templateIaEESt5tupleIJNSF_6TensorESK_SK_EERKSK_lbbbEUlllE0_EEPmJS9_EEE10hipError_tPvRmT3_T4_T5_T6_T7_T9_mT8_P12ihipStream_tbDpT10_ENKUlT_T0_E_clISt17integral_constantIbLb1EES1A_EEDaS15_S16_EUlS15_E_NS1_11comp_targetILNS1_3genE2ELNS1_11target_archE906ELNS1_3gpuE6ELNS1_3repE0EEENS1_30default_config_static_selectorELNS0_4arch9wavefront6targetE1EEEvT1_
		.amdhsa_group_segment_fixed_size 0
		.amdhsa_private_segment_fixed_size 0
		.amdhsa_kernarg_size 136
		.amdhsa_user_sgpr_count 2
		.amdhsa_user_sgpr_dispatch_ptr 0
		.amdhsa_user_sgpr_queue_ptr 0
		.amdhsa_user_sgpr_kernarg_segment_ptr 1
		.amdhsa_user_sgpr_dispatch_id 0
		.amdhsa_user_sgpr_kernarg_preload_length 0
		.amdhsa_user_sgpr_kernarg_preload_offset 0
		.amdhsa_user_sgpr_private_segment_size 0
		.amdhsa_uses_dynamic_stack 0
		.amdhsa_enable_private_segment 0
		.amdhsa_system_sgpr_workgroup_id_x 1
		.amdhsa_system_sgpr_workgroup_id_y 0
		.amdhsa_system_sgpr_workgroup_id_z 0
		.amdhsa_system_sgpr_workgroup_info 0
		.amdhsa_system_vgpr_workitem_id 0
		.amdhsa_next_free_vgpr 1
		.amdhsa_next_free_sgpr 0
		.amdhsa_accum_offset 4
		.amdhsa_reserve_vcc 0
		.amdhsa_float_round_mode_32 0
		.amdhsa_float_round_mode_16_64 0
		.amdhsa_float_denorm_mode_32 3
		.amdhsa_float_denorm_mode_16_64 3
		.amdhsa_dx10_clamp 1
		.amdhsa_ieee_mode 1
		.amdhsa_fp16_overflow 0
		.amdhsa_tg_split 0
		.amdhsa_exception_fp_ieee_invalid_op 0
		.amdhsa_exception_fp_denorm_src 0
		.amdhsa_exception_fp_ieee_div_zero 0
		.amdhsa_exception_fp_ieee_overflow 0
		.amdhsa_exception_fp_ieee_underflow 0
		.amdhsa_exception_fp_ieee_inexact 0
		.amdhsa_exception_int_div_zero 0
	.end_amdhsa_kernel
	.section	.text._ZN7rocprim17ROCPRIM_400000_NS6detail17trampoline_kernelINS0_14default_configENS1_25partition_config_selectorILNS1_17partition_subalgoE9EllbEEZZNS1_14partition_implILS5_9ELb0ES3_jPlS8_PNS0_10empty_typeENS0_5tupleIJS8_S9_EEENSB_IJS8_SA_EEENS0_18inequality_wrapperIZN2at6native12_GLOBAL__N_124unique_dim_cuda_templateIaEESt5tupleIJNSF_6TensorESK_SK_EERKSK_lbbbEUlllE0_EEPmJS9_EEE10hipError_tPvRmT3_T4_T5_T6_T7_T9_mT8_P12ihipStream_tbDpT10_ENKUlT_T0_E_clISt17integral_constantIbLb1EES1A_EEDaS15_S16_EUlS15_E_NS1_11comp_targetILNS1_3genE2ELNS1_11target_archE906ELNS1_3gpuE6ELNS1_3repE0EEENS1_30default_config_static_selectorELNS0_4arch9wavefront6targetE1EEEvT1_,"axG",@progbits,_ZN7rocprim17ROCPRIM_400000_NS6detail17trampoline_kernelINS0_14default_configENS1_25partition_config_selectorILNS1_17partition_subalgoE9EllbEEZZNS1_14partition_implILS5_9ELb0ES3_jPlS8_PNS0_10empty_typeENS0_5tupleIJS8_S9_EEENSB_IJS8_SA_EEENS0_18inequality_wrapperIZN2at6native12_GLOBAL__N_124unique_dim_cuda_templateIaEESt5tupleIJNSF_6TensorESK_SK_EERKSK_lbbbEUlllE0_EEPmJS9_EEE10hipError_tPvRmT3_T4_T5_T6_T7_T9_mT8_P12ihipStream_tbDpT10_ENKUlT_T0_E_clISt17integral_constantIbLb1EES1A_EEDaS15_S16_EUlS15_E_NS1_11comp_targetILNS1_3genE2ELNS1_11target_archE906ELNS1_3gpuE6ELNS1_3repE0EEENS1_30default_config_static_selectorELNS0_4arch9wavefront6targetE1EEEvT1_,comdat
.Lfunc_end363:
	.size	_ZN7rocprim17ROCPRIM_400000_NS6detail17trampoline_kernelINS0_14default_configENS1_25partition_config_selectorILNS1_17partition_subalgoE9EllbEEZZNS1_14partition_implILS5_9ELb0ES3_jPlS8_PNS0_10empty_typeENS0_5tupleIJS8_S9_EEENSB_IJS8_SA_EEENS0_18inequality_wrapperIZN2at6native12_GLOBAL__N_124unique_dim_cuda_templateIaEESt5tupleIJNSF_6TensorESK_SK_EERKSK_lbbbEUlllE0_EEPmJS9_EEE10hipError_tPvRmT3_T4_T5_T6_T7_T9_mT8_P12ihipStream_tbDpT10_ENKUlT_T0_E_clISt17integral_constantIbLb1EES1A_EEDaS15_S16_EUlS15_E_NS1_11comp_targetILNS1_3genE2ELNS1_11target_archE906ELNS1_3gpuE6ELNS1_3repE0EEENS1_30default_config_static_selectorELNS0_4arch9wavefront6targetE1EEEvT1_, .Lfunc_end363-_ZN7rocprim17ROCPRIM_400000_NS6detail17trampoline_kernelINS0_14default_configENS1_25partition_config_selectorILNS1_17partition_subalgoE9EllbEEZZNS1_14partition_implILS5_9ELb0ES3_jPlS8_PNS0_10empty_typeENS0_5tupleIJS8_S9_EEENSB_IJS8_SA_EEENS0_18inequality_wrapperIZN2at6native12_GLOBAL__N_124unique_dim_cuda_templateIaEESt5tupleIJNSF_6TensorESK_SK_EERKSK_lbbbEUlllE0_EEPmJS9_EEE10hipError_tPvRmT3_T4_T5_T6_T7_T9_mT8_P12ihipStream_tbDpT10_ENKUlT_T0_E_clISt17integral_constantIbLb1EES1A_EEDaS15_S16_EUlS15_E_NS1_11comp_targetILNS1_3genE2ELNS1_11target_archE906ELNS1_3gpuE6ELNS1_3repE0EEENS1_30default_config_static_selectorELNS0_4arch9wavefront6targetE1EEEvT1_
                                        ; -- End function
	.set _ZN7rocprim17ROCPRIM_400000_NS6detail17trampoline_kernelINS0_14default_configENS1_25partition_config_selectorILNS1_17partition_subalgoE9EllbEEZZNS1_14partition_implILS5_9ELb0ES3_jPlS8_PNS0_10empty_typeENS0_5tupleIJS8_S9_EEENSB_IJS8_SA_EEENS0_18inequality_wrapperIZN2at6native12_GLOBAL__N_124unique_dim_cuda_templateIaEESt5tupleIJNSF_6TensorESK_SK_EERKSK_lbbbEUlllE0_EEPmJS9_EEE10hipError_tPvRmT3_T4_T5_T6_T7_T9_mT8_P12ihipStream_tbDpT10_ENKUlT_T0_E_clISt17integral_constantIbLb1EES1A_EEDaS15_S16_EUlS15_E_NS1_11comp_targetILNS1_3genE2ELNS1_11target_archE906ELNS1_3gpuE6ELNS1_3repE0EEENS1_30default_config_static_selectorELNS0_4arch9wavefront6targetE1EEEvT1_.num_vgpr, 0
	.set _ZN7rocprim17ROCPRIM_400000_NS6detail17trampoline_kernelINS0_14default_configENS1_25partition_config_selectorILNS1_17partition_subalgoE9EllbEEZZNS1_14partition_implILS5_9ELb0ES3_jPlS8_PNS0_10empty_typeENS0_5tupleIJS8_S9_EEENSB_IJS8_SA_EEENS0_18inequality_wrapperIZN2at6native12_GLOBAL__N_124unique_dim_cuda_templateIaEESt5tupleIJNSF_6TensorESK_SK_EERKSK_lbbbEUlllE0_EEPmJS9_EEE10hipError_tPvRmT3_T4_T5_T6_T7_T9_mT8_P12ihipStream_tbDpT10_ENKUlT_T0_E_clISt17integral_constantIbLb1EES1A_EEDaS15_S16_EUlS15_E_NS1_11comp_targetILNS1_3genE2ELNS1_11target_archE906ELNS1_3gpuE6ELNS1_3repE0EEENS1_30default_config_static_selectorELNS0_4arch9wavefront6targetE1EEEvT1_.num_agpr, 0
	.set _ZN7rocprim17ROCPRIM_400000_NS6detail17trampoline_kernelINS0_14default_configENS1_25partition_config_selectorILNS1_17partition_subalgoE9EllbEEZZNS1_14partition_implILS5_9ELb0ES3_jPlS8_PNS0_10empty_typeENS0_5tupleIJS8_S9_EEENSB_IJS8_SA_EEENS0_18inequality_wrapperIZN2at6native12_GLOBAL__N_124unique_dim_cuda_templateIaEESt5tupleIJNSF_6TensorESK_SK_EERKSK_lbbbEUlllE0_EEPmJS9_EEE10hipError_tPvRmT3_T4_T5_T6_T7_T9_mT8_P12ihipStream_tbDpT10_ENKUlT_T0_E_clISt17integral_constantIbLb1EES1A_EEDaS15_S16_EUlS15_E_NS1_11comp_targetILNS1_3genE2ELNS1_11target_archE906ELNS1_3gpuE6ELNS1_3repE0EEENS1_30default_config_static_selectorELNS0_4arch9wavefront6targetE1EEEvT1_.numbered_sgpr, 0
	.set _ZN7rocprim17ROCPRIM_400000_NS6detail17trampoline_kernelINS0_14default_configENS1_25partition_config_selectorILNS1_17partition_subalgoE9EllbEEZZNS1_14partition_implILS5_9ELb0ES3_jPlS8_PNS0_10empty_typeENS0_5tupleIJS8_S9_EEENSB_IJS8_SA_EEENS0_18inequality_wrapperIZN2at6native12_GLOBAL__N_124unique_dim_cuda_templateIaEESt5tupleIJNSF_6TensorESK_SK_EERKSK_lbbbEUlllE0_EEPmJS9_EEE10hipError_tPvRmT3_T4_T5_T6_T7_T9_mT8_P12ihipStream_tbDpT10_ENKUlT_T0_E_clISt17integral_constantIbLb1EES1A_EEDaS15_S16_EUlS15_E_NS1_11comp_targetILNS1_3genE2ELNS1_11target_archE906ELNS1_3gpuE6ELNS1_3repE0EEENS1_30default_config_static_selectorELNS0_4arch9wavefront6targetE1EEEvT1_.num_named_barrier, 0
	.set _ZN7rocprim17ROCPRIM_400000_NS6detail17trampoline_kernelINS0_14default_configENS1_25partition_config_selectorILNS1_17partition_subalgoE9EllbEEZZNS1_14partition_implILS5_9ELb0ES3_jPlS8_PNS0_10empty_typeENS0_5tupleIJS8_S9_EEENSB_IJS8_SA_EEENS0_18inequality_wrapperIZN2at6native12_GLOBAL__N_124unique_dim_cuda_templateIaEESt5tupleIJNSF_6TensorESK_SK_EERKSK_lbbbEUlllE0_EEPmJS9_EEE10hipError_tPvRmT3_T4_T5_T6_T7_T9_mT8_P12ihipStream_tbDpT10_ENKUlT_T0_E_clISt17integral_constantIbLb1EES1A_EEDaS15_S16_EUlS15_E_NS1_11comp_targetILNS1_3genE2ELNS1_11target_archE906ELNS1_3gpuE6ELNS1_3repE0EEENS1_30default_config_static_selectorELNS0_4arch9wavefront6targetE1EEEvT1_.private_seg_size, 0
	.set _ZN7rocprim17ROCPRIM_400000_NS6detail17trampoline_kernelINS0_14default_configENS1_25partition_config_selectorILNS1_17partition_subalgoE9EllbEEZZNS1_14partition_implILS5_9ELb0ES3_jPlS8_PNS0_10empty_typeENS0_5tupleIJS8_S9_EEENSB_IJS8_SA_EEENS0_18inequality_wrapperIZN2at6native12_GLOBAL__N_124unique_dim_cuda_templateIaEESt5tupleIJNSF_6TensorESK_SK_EERKSK_lbbbEUlllE0_EEPmJS9_EEE10hipError_tPvRmT3_T4_T5_T6_T7_T9_mT8_P12ihipStream_tbDpT10_ENKUlT_T0_E_clISt17integral_constantIbLb1EES1A_EEDaS15_S16_EUlS15_E_NS1_11comp_targetILNS1_3genE2ELNS1_11target_archE906ELNS1_3gpuE6ELNS1_3repE0EEENS1_30default_config_static_selectorELNS0_4arch9wavefront6targetE1EEEvT1_.uses_vcc, 0
	.set _ZN7rocprim17ROCPRIM_400000_NS6detail17trampoline_kernelINS0_14default_configENS1_25partition_config_selectorILNS1_17partition_subalgoE9EllbEEZZNS1_14partition_implILS5_9ELb0ES3_jPlS8_PNS0_10empty_typeENS0_5tupleIJS8_S9_EEENSB_IJS8_SA_EEENS0_18inequality_wrapperIZN2at6native12_GLOBAL__N_124unique_dim_cuda_templateIaEESt5tupleIJNSF_6TensorESK_SK_EERKSK_lbbbEUlllE0_EEPmJS9_EEE10hipError_tPvRmT3_T4_T5_T6_T7_T9_mT8_P12ihipStream_tbDpT10_ENKUlT_T0_E_clISt17integral_constantIbLb1EES1A_EEDaS15_S16_EUlS15_E_NS1_11comp_targetILNS1_3genE2ELNS1_11target_archE906ELNS1_3gpuE6ELNS1_3repE0EEENS1_30default_config_static_selectorELNS0_4arch9wavefront6targetE1EEEvT1_.uses_flat_scratch, 0
	.set _ZN7rocprim17ROCPRIM_400000_NS6detail17trampoline_kernelINS0_14default_configENS1_25partition_config_selectorILNS1_17partition_subalgoE9EllbEEZZNS1_14partition_implILS5_9ELb0ES3_jPlS8_PNS0_10empty_typeENS0_5tupleIJS8_S9_EEENSB_IJS8_SA_EEENS0_18inequality_wrapperIZN2at6native12_GLOBAL__N_124unique_dim_cuda_templateIaEESt5tupleIJNSF_6TensorESK_SK_EERKSK_lbbbEUlllE0_EEPmJS9_EEE10hipError_tPvRmT3_T4_T5_T6_T7_T9_mT8_P12ihipStream_tbDpT10_ENKUlT_T0_E_clISt17integral_constantIbLb1EES1A_EEDaS15_S16_EUlS15_E_NS1_11comp_targetILNS1_3genE2ELNS1_11target_archE906ELNS1_3gpuE6ELNS1_3repE0EEENS1_30default_config_static_selectorELNS0_4arch9wavefront6targetE1EEEvT1_.has_dyn_sized_stack, 0
	.set _ZN7rocprim17ROCPRIM_400000_NS6detail17trampoline_kernelINS0_14default_configENS1_25partition_config_selectorILNS1_17partition_subalgoE9EllbEEZZNS1_14partition_implILS5_9ELb0ES3_jPlS8_PNS0_10empty_typeENS0_5tupleIJS8_S9_EEENSB_IJS8_SA_EEENS0_18inequality_wrapperIZN2at6native12_GLOBAL__N_124unique_dim_cuda_templateIaEESt5tupleIJNSF_6TensorESK_SK_EERKSK_lbbbEUlllE0_EEPmJS9_EEE10hipError_tPvRmT3_T4_T5_T6_T7_T9_mT8_P12ihipStream_tbDpT10_ENKUlT_T0_E_clISt17integral_constantIbLb1EES1A_EEDaS15_S16_EUlS15_E_NS1_11comp_targetILNS1_3genE2ELNS1_11target_archE906ELNS1_3gpuE6ELNS1_3repE0EEENS1_30default_config_static_selectorELNS0_4arch9wavefront6targetE1EEEvT1_.has_recursion, 0
	.set _ZN7rocprim17ROCPRIM_400000_NS6detail17trampoline_kernelINS0_14default_configENS1_25partition_config_selectorILNS1_17partition_subalgoE9EllbEEZZNS1_14partition_implILS5_9ELb0ES3_jPlS8_PNS0_10empty_typeENS0_5tupleIJS8_S9_EEENSB_IJS8_SA_EEENS0_18inequality_wrapperIZN2at6native12_GLOBAL__N_124unique_dim_cuda_templateIaEESt5tupleIJNSF_6TensorESK_SK_EERKSK_lbbbEUlllE0_EEPmJS9_EEE10hipError_tPvRmT3_T4_T5_T6_T7_T9_mT8_P12ihipStream_tbDpT10_ENKUlT_T0_E_clISt17integral_constantIbLb1EES1A_EEDaS15_S16_EUlS15_E_NS1_11comp_targetILNS1_3genE2ELNS1_11target_archE906ELNS1_3gpuE6ELNS1_3repE0EEENS1_30default_config_static_selectorELNS0_4arch9wavefront6targetE1EEEvT1_.has_indirect_call, 0
	.section	.AMDGPU.csdata,"",@progbits
; Kernel info:
; codeLenInByte = 0
; TotalNumSgprs: 6
; NumVgprs: 0
; NumAgprs: 0
; TotalNumVgprs: 0
; ScratchSize: 0
; MemoryBound: 0
; FloatMode: 240
; IeeeMode: 1
; LDSByteSize: 0 bytes/workgroup (compile time only)
; SGPRBlocks: 0
; VGPRBlocks: 0
; NumSGPRsForWavesPerEU: 6
; NumVGPRsForWavesPerEU: 1
; AccumOffset: 4
; Occupancy: 8
; WaveLimiterHint : 0
; COMPUTE_PGM_RSRC2:SCRATCH_EN: 0
; COMPUTE_PGM_RSRC2:USER_SGPR: 2
; COMPUTE_PGM_RSRC2:TRAP_HANDLER: 0
; COMPUTE_PGM_RSRC2:TGID_X_EN: 1
; COMPUTE_PGM_RSRC2:TGID_Y_EN: 0
; COMPUTE_PGM_RSRC2:TGID_Z_EN: 0
; COMPUTE_PGM_RSRC2:TIDIG_COMP_CNT: 0
; COMPUTE_PGM_RSRC3_GFX90A:ACCUM_OFFSET: 0
; COMPUTE_PGM_RSRC3_GFX90A:TG_SPLIT: 0
	.section	.text._ZN7rocprim17ROCPRIM_400000_NS6detail17trampoline_kernelINS0_14default_configENS1_25partition_config_selectorILNS1_17partition_subalgoE9EllbEEZZNS1_14partition_implILS5_9ELb0ES3_jPlS8_PNS0_10empty_typeENS0_5tupleIJS8_S9_EEENSB_IJS8_SA_EEENS0_18inequality_wrapperIZN2at6native12_GLOBAL__N_124unique_dim_cuda_templateIaEESt5tupleIJNSF_6TensorESK_SK_EERKSK_lbbbEUlllE0_EEPmJS9_EEE10hipError_tPvRmT3_T4_T5_T6_T7_T9_mT8_P12ihipStream_tbDpT10_ENKUlT_T0_E_clISt17integral_constantIbLb1EES1A_EEDaS15_S16_EUlS15_E_NS1_11comp_targetILNS1_3genE10ELNS1_11target_archE1200ELNS1_3gpuE4ELNS1_3repE0EEENS1_30default_config_static_selectorELNS0_4arch9wavefront6targetE1EEEvT1_,"axG",@progbits,_ZN7rocprim17ROCPRIM_400000_NS6detail17trampoline_kernelINS0_14default_configENS1_25partition_config_selectorILNS1_17partition_subalgoE9EllbEEZZNS1_14partition_implILS5_9ELb0ES3_jPlS8_PNS0_10empty_typeENS0_5tupleIJS8_S9_EEENSB_IJS8_SA_EEENS0_18inequality_wrapperIZN2at6native12_GLOBAL__N_124unique_dim_cuda_templateIaEESt5tupleIJNSF_6TensorESK_SK_EERKSK_lbbbEUlllE0_EEPmJS9_EEE10hipError_tPvRmT3_T4_T5_T6_T7_T9_mT8_P12ihipStream_tbDpT10_ENKUlT_T0_E_clISt17integral_constantIbLb1EES1A_EEDaS15_S16_EUlS15_E_NS1_11comp_targetILNS1_3genE10ELNS1_11target_archE1200ELNS1_3gpuE4ELNS1_3repE0EEENS1_30default_config_static_selectorELNS0_4arch9wavefront6targetE1EEEvT1_,comdat
	.globl	_ZN7rocprim17ROCPRIM_400000_NS6detail17trampoline_kernelINS0_14default_configENS1_25partition_config_selectorILNS1_17partition_subalgoE9EllbEEZZNS1_14partition_implILS5_9ELb0ES3_jPlS8_PNS0_10empty_typeENS0_5tupleIJS8_S9_EEENSB_IJS8_SA_EEENS0_18inequality_wrapperIZN2at6native12_GLOBAL__N_124unique_dim_cuda_templateIaEESt5tupleIJNSF_6TensorESK_SK_EERKSK_lbbbEUlllE0_EEPmJS9_EEE10hipError_tPvRmT3_T4_T5_T6_T7_T9_mT8_P12ihipStream_tbDpT10_ENKUlT_T0_E_clISt17integral_constantIbLb1EES1A_EEDaS15_S16_EUlS15_E_NS1_11comp_targetILNS1_3genE10ELNS1_11target_archE1200ELNS1_3gpuE4ELNS1_3repE0EEENS1_30default_config_static_selectorELNS0_4arch9wavefront6targetE1EEEvT1_ ; -- Begin function _ZN7rocprim17ROCPRIM_400000_NS6detail17trampoline_kernelINS0_14default_configENS1_25partition_config_selectorILNS1_17partition_subalgoE9EllbEEZZNS1_14partition_implILS5_9ELb0ES3_jPlS8_PNS0_10empty_typeENS0_5tupleIJS8_S9_EEENSB_IJS8_SA_EEENS0_18inequality_wrapperIZN2at6native12_GLOBAL__N_124unique_dim_cuda_templateIaEESt5tupleIJNSF_6TensorESK_SK_EERKSK_lbbbEUlllE0_EEPmJS9_EEE10hipError_tPvRmT3_T4_T5_T6_T7_T9_mT8_P12ihipStream_tbDpT10_ENKUlT_T0_E_clISt17integral_constantIbLb1EES1A_EEDaS15_S16_EUlS15_E_NS1_11comp_targetILNS1_3genE10ELNS1_11target_archE1200ELNS1_3gpuE4ELNS1_3repE0EEENS1_30default_config_static_selectorELNS0_4arch9wavefront6targetE1EEEvT1_
	.p2align	8
	.type	_ZN7rocprim17ROCPRIM_400000_NS6detail17trampoline_kernelINS0_14default_configENS1_25partition_config_selectorILNS1_17partition_subalgoE9EllbEEZZNS1_14partition_implILS5_9ELb0ES3_jPlS8_PNS0_10empty_typeENS0_5tupleIJS8_S9_EEENSB_IJS8_SA_EEENS0_18inequality_wrapperIZN2at6native12_GLOBAL__N_124unique_dim_cuda_templateIaEESt5tupleIJNSF_6TensorESK_SK_EERKSK_lbbbEUlllE0_EEPmJS9_EEE10hipError_tPvRmT3_T4_T5_T6_T7_T9_mT8_P12ihipStream_tbDpT10_ENKUlT_T0_E_clISt17integral_constantIbLb1EES1A_EEDaS15_S16_EUlS15_E_NS1_11comp_targetILNS1_3genE10ELNS1_11target_archE1200ELNS1_3gpuE4ELNS1_3repE0EEENS1_30default_config_static_selectorELNS0_4arch9wavefront6targetE1EEEvT1_,@function
_ZN7rocprim17ROCPRIM_400000_NS6detail17trampoline_kernelINS0_14default_configENS1_25partition_config_selectorILNS1_17partition_subalgoE9EllbEEZZNS1_14partition_implILS5_9ELb0ES3_jPlS8_PNS0_10empty_typeENS0_5tupleIJS8_S9_EEENSB_IJS8_SA_EEENS0_18inequality_wrapperIZN2at6native12_GLOBAL__N_124unique_dim_cuda_templateIaEESt5tupleIJNSF_6TensorESK_SK_EERKSK_lbbbEUlllE0_EEPmJS9_EEE10hipError_tPvRmT3_T4_T5_T6_T7_T9_mT8_P12ihipStream_tbDpT10_ENKUlT_T0_E_clISt17integral_constantIbLb1EES1A_EEDaS15_S16_EUlS15_E_NS1_11comp_targetILNS1_3genE10ELNS1_11target_archE1200ELNS1_3gpuE4ELNS1_3repE0EEENS1_30default_config_static_selectorELNS0_4arch9wavefront6targetE1EEEvT1_: ; @_ZN7rocprim17ROCPRIM_400000_NS6detail17trampoline_kernelINS0_14default_configENS1_25partition_config_selectorILNS1_17partition_subalgoE9EllbEEZZNS1_14partition_implILS5_9ELb0ES3_jPlS8_PNS0_10empty_typeENS0_5tupleIJS8_S9_EEENSB_IJS8_SA_EEENS0_18inequality_wrapperIZN2at6native12_GLOBAL__N_124unique_dim_cuda_templateIaEESt5tupleIJNSF_6TensorESK_SK_EERKSK_lbbbEUlllE0_EEPmJS9_EEE10hipError_tPvRmT3_T4_T5_T6_T7_T9_mT8_P12ihipStream_tbDpT10_ENKUlT_T0_E_clISt17integral_constantIbLb1EES1A_EEDaS15_S16_EUlS15_E_NS1_11comp_targetILNS1_3genE10ELNS1_11target_archE1200ELNS1_3gpuE4ELNS1_3repE0EEENS1_30default_config_static_selectorELNS0_4arch9wavefront6targetE1EEEvT1_
; %bb.0:
	.section	.rodata,"a",@progbits
	.p2align	6, 0x0
	.amdhsa_kernel _ZN7rocprim17ROCPRIM_400000_NS6detail17trampoline_kernelINS0_14default_configENS1_25partition_config_selectorILNS1_17partition_subalgoE9EllbEEZZNS1_14partition_implILS5_9ELb0ES3_jPlS8_PNS0_10empty_typeENS0_5tupleIJS8_S9_EEENSB_IJS8_SA_EEENS0_18inequality_wrapperIZN2at6native12_GLOBAL__N_124unique_dim_cuda_templateIaEESt5tupleIJNSF_6TensorESK_SK_EERKSK_lbbbEUlllE0_EEPmJS9_EEE10hipError_tPvRmT3_T4_T5_T6_T7_T9_mT8_P12ihipStream_tbDpT10_ENKUlT_T0_E_clISt17integral_constantIbLb1EES1A_EEDaS15_S16_EUlS15_E_NS1_11comp_targetILNS1_3genE10ELNS1_11target_archE1200ELNS1_3gpuE4ELNS1_3repE0EEENS1_30default_config_static_selectorELNS0_4arch9wavefront6targetE1EEEvT1_
		.amdhsa_group_segment_fixed_size 0
		.amdhsa_private_segment_fixed_size 0
		.amdhsa_kernarg_size 136
		.amdhsa_user_sgpr_count 2
		.amdhsa_user_sgpr_dispatch_ptr 0
		.amdhsa_user_sgpr_queue_ptr 0
		.amdhsa_user_sgpr_kernarg_segment_ptr 1
		.amdhsa_user_sgpr_dispatch_id 0
		.amdhsa_user_sgpr_kernarg_preload_length 0
		.amdhsa_user_sgpr_kernarg_preload_offset 0
		.amdhsa_user_sgpr_private_segment_size 0
		.amdhsa_uses_dynamic_stack 0
		.amdhsa_enable_private_segment 0
		.amdhsa_system_sgpr_workgroup_id_x 1
		.amdhsa_system_sgpr_workgroup_id_y 0
		.amdhsa_system_sgpr_workgroup_id_z 0
		.amdhsa_system_sgpr_workgroup_info 0
		.amdhsa_system_vgpr_workitem_id 0
		.amdhsa_next_free_vgpr 1
		.amdhsa_next_free_sgpr 0
		.amdhsa_accum_offset 4
		.amdhsa_reserve_vcc 0
		.amdhsa_float_round_mode_32 0
		.amdhsa_float_round_mode_16_64 0
		.amdhsa_float_denorm_mode_32 3
		.amdhsa_float_denorm_mode_16_64 3
		.amdhsa_dx10_clamp 1
		.amdhsa_ieee_mode 1
		.amdhsa_fp16_overflow 0
		.amdhsa_tg_split 0
		.amdhsa_exception_fp_ieee_invalid_op 0
		.amdhsa_exception_fp_denorm_src 0
		.amdhsa_exception_fp_ieee_div_zero 0
		.amdhsa_exception_fp_ieee_overflow 0
		.amdhsa_exception_fp_ieee_underflow 0
		.amdhsa_exception_fp_ieee_inexact 0
		.amdhsa_exception_int_div_zero 0
	.end_amdhsa_kernel
	.section	.text._ZN7rocprim17ROCPRIM_400000_NS6detail17trampoline_kernelINS0_14default_configENS1_25partition_config_selectorILNS1_17partition_subalgoE9EllbEEZZNS1_14partition_implILS5_9ELb0ES3_jPlS8_PNS0_10empty_typeENS0_5tupleIJS8_S9_EEENSB_IJS8_SA_EEENS0_18inequality_wrapperIZN2at6native12_GLOBAL__N_124unique_dim_cuda_templateIaEESt5tupleIJNSF_6TensorESK_SK_EERKSK_lbbbEUlllE0_EEPmJS9_EEE10hipError_tPvRmT3_T4_T5_T6_T7_T9_mT8_P12ihipStream_tbDpT10_ENKUlT_T0_E_clISt17integral_constantIbLb1EES1A_EEDaS15_S16_EUlS15_E_NS1_11comp_targetILNS1_3genE10ELNS1_11target_archE1200ELNS1_3gpuE4ELNS1_3repE0EEENS1_30default_config_static_selectorELNS0_4arch9wavefront6targetE1EEEvT1_,"axG",@progbits,_ZN7rocprim17ROCPRIM_400000_NS6detail17trampoline_kernelINS0_14default_configENS1_25partition_config_selectorILNS1_17partition_subalgoE9EllbEEZZNS1_14partition_implILS5_9ELb0ES3_jPlS8_PNS0_10empty_typeENS0_5tupleIJS8_S9_EEENSB_IJS8_SA_EEENS0_18inequality_wrapperIZN2at6native12_GLOBAL__N_124unique_dim_cuda_templateIaEESt5tupleIJNSF_6TensorESK_SK_EERKSK_lbbbEUlllE0_EEPmJS9_EEE10hipError_tPvRmT3_T4_T5_T6_T7_T9_mT8_P12ihipStream_tbDpT10_ENKUlT_T0_E_clISt17integral_constantIbLb1EES1A_EEDaS15_S16_EUlS15_E_NS1_11comp_targetILNS1_3genE10ELNS1_11target_archE1200ELNS1_3gpuE4ELNS1_3repE0EEENS1_30default_config_static_selectorELNS0_4arch9wavefront6targetE1EEEvT1_,comdat
.Lfunc_end364:
	.size	_ZN7rocprim17ROCPRIM_400000_NS6detail17trampoline_kernelINS0_14default_configENS1_25partition_config_selectorILNS1_17partition_subalgoE9EllbEEZZNS1_14partition_implILS5_9ELb0ES3_jPlS8_PNS0_10empty_typeENS0_5tupleIJS8_S9_EEENSB_IJS8_SA_EEENS0_18inequality_wrapperIZN2at6native12_GLOBAL__N_124unique_dim_cuda_templateIaEESt5tupleIJNSF_6TensorESK_SK_EERKSK_lbbbEUlllE0_EEPmJS9_EEE10hipError_tPvRmT3_T4_T5_T6_T7_T9_mT8_P12ihipStream_tbDpT10_ENKUlT_T0_E_clISt17integral_constantIbLb1EES1A_EEDaS15_S16_EUlS15_E_NS1_11comp_targetILNS1_3genE10ELNS1_11target_archE1200ELNS1_3gpuE4ELNS1_3repE0EEENS1_30default_config_static_selectorELNS0_4arch9wavefront6targetE1EEEvT1_, .Lfunc_end364-_ZN7rocprim17ROCPRIM_400000_NS6detail17trampoline_kernelINS0_14default_configENS1_25partition_config_selectorILNS1_17partition_subalgoE9EllbEEZZNS1_14partition_implILS5_9ELb0ES3_jPlS8_PNS0_10empty_typeENS0_5tupleIJS8_S9_EEENSB_IJS8_SA_EEENS0_18inequality_wrapperIZN2at6native12_GLOBAL__N_124unique_dim_cuda_templateIaEESt5tupleIJNSF_6TensorESK_SK_EERKSK_lbbbEUlllE0_EEPmJS9_EEE10hipError_tPvRmT3_T4_T5_T6_T7_T9_mT8_P12ihipStream_tbDpT10_ENKUlT_T0_E_clISt17integral_constantIbLb1EES1A_EEDaS15_S16_EUlS15_E_NS1_11comp_targetILNS1_3genE10ELNS1_11target_archE1200ELNS1_3gpuE4ELNS1_3repE0EEENS1_30default_config_static_selectorELNS0_4arch9wavefront6targetE1EEEvT1_
                                        ; -- End function
	.set _ZN7rocprim17ROCPRIM_400000_NS6detail17trampoline_kernelINS0_14default_configENS1_25partition_config_selectorILNS1_17partition_subalgoE9EllbEEZZNS1_14partition_implILS5_9ELb0ES3_jPlS8_PNS0_10empty_typeENS0_5tupleIJS8_S9_EEENSB_IJS8_SA_EEENS0_18inequality_wrapperIZN2at6native12_GLOBAL__N_124unique_dim_cuda_templateIaEESt5tupleIJNSF_6TensorESK_SK_EERKSK_lbbbEUlllE0_EEPmJS9_EEE10hipError_tPvRmT3_T4_T5_T6_T7_T9_mT8_P12ihipStream_tbDpT10_ENKUlT_T0_E_clISt17integral_constantIbLb1EES1A_EEDaS15_S16_EUlS15_E_NS1_11comp_targetILNS1_3genE10ELNS1_11target_archE1200ELNS1_3gpuE4ELNS1_3repE0EEENS1_30default_config_static_selectorELNS0_4arch9wavefront6targetE1EEEvT1_.num_vgpr, 0
	.set _ZN7rocprim17ROCPRIM_400000_NS6detail17trampoline_kernelINS0_14default_configENS1_25partition_config_selectorILNS1_17partition_subalgoE9EllbEEZZNS1_14partition_implILS5_9ELb0ES3_jPlS8_PNS0_10empty_typeENS0_5tupleIJS8_S9_EEENSB_IJS8_SA_EEENS0_18inequality_wrapperIZN2at6native12_GLOBAL__N_124unique_dim_cuda_templateIaEESt5tupleIJNSF_6TensorESK_SK_EERKSK_lbbbEUlllE0_EEPmJS9_EEE10hipError_tPvRmT3_T4_T5_T6_T7_T9_mT8_P12ihipStream_tbDpT10_ENKUlT_T0_E_clISt17integral_constantIbLb1EES1A_EEDaS15_S16_EUlS15_E_NS1_11comp_targetILNS1_3genE10ELNS1_11target_archE1200ELNS1_3gpuE4ELNS1_3repE0EEENS1_30default_config_static_selectorELNS0_4arch9wavefront6targetE1EEEvT1_.num_agpr, 0
	.set _ZN7rocprim17ROCPRIM_400000_NS6detail17trampoline_kernelINS0_14default_configENS1_25partition_config_selectorILNS1_17partition_subalgoE9EllbEEZZNS1_14partition_implILS5_9ELb0ES3_jPlS8_PNS0_10empty_typeENS0_5tupleIJS8_S9_EEENSB_IJS8_SA_EEENS0_18inequality_wrapperIZN2at6native12_GLOBAL__N_124unique_dim_cuda_templateIaEESt5tupleIJNSF_6TensorESK_SK_EERKSK_lbbbEUlllE0_EEPmJS9_EEE10hipError_tPvRmT3_T4_T5_T6_T7_T9_mT8_P12ihipStream_tbDpT10_ENKUlT_T0_E_clISt17integral_constantIbLb1EES1A_EEDaS15_S16_EUlS15_E_NS1_11comp_targetILNS1_3genE10ELNS1_11target_archE1200ELNS1_3gpuE4ELNS1_3repE0EEENS1_30default_config_static_selectorELNS0_4arch9wavefront6targetE1EEEvT1_.numbered_sgpr, 0
	.set _ZN7rocprim17ROCPRIM_400000_NS6detail17trampoline_kernelINS0_14default_configENS1_25partition_config_selectorILNS1_17partition_subalgoE9EllbEEZZNS1_14partition_implILS5_9ELb0ES3_jPlS8_PNS0_10empty_typeENS0_5tupleIJS8_S9_EEENSB_IJS8_SA_EEENS0_18inequality_wrapperIZN2at6native12_GLOBAL__N_124unique_dim_cuda_templateIaEESt5tupleIJNSF_6TensorESK_SK_EERKSK_lbbbEUlllE0_EEPmJS9_EEE10hipError_tPvRmT3_T4_T5_T6_T7_T9_mT8_P12ihipStream_tbDpT10_ENKUlT_T0_E_clISt17integral_constantIbLb1EES1A_EEDaS15_S16_EUlS15_E_NS1_11comp_targetILNS1_3genE10ELNS1_11target_archE1200ELNS1_3gpuE4ELNS1_3repE0EEENS1_30default_config_static_selectorELNS0_4arch9wavefront6targetE1EEEvT1_.num_named_barrier, 0
	.set _ZN7rocprim17ROCPRIM_400000_NS6detail17trampoline_kernelINS0_14default_configENS1_25partition_config_selectorILNS1_17partition_subalgoE9EllbEEZZNS1_14partition_implILS5_9ELb0ES3_jPlS8_PNS0_10empty_typeENS0_5tupleIJS8_S9_EEENSB_IJS8_SA_EEENS0_18inequality_wrapperIZN2at6native12_GLOBAL__N_124unique_dim_cuda_templateIaEESt5tupleIJNSF_6TensorESK_SK_EERKSK_lbbbEUlllE0_EEPmJS9_EEE10hipError_tPvRmT3_T4_T5_T6_T7_T9_mT8_P12ihipStream_tbDpT10_ENKUlT_T0_E_clISt17integral_constantIbLb1EES1A_EEDaS15_S16_EUlS15_E_NS1_11comp_targetILNS1_3genE10ELNS1_11target_archE1200ELNS1_3gpuE4ELNS1_3repE0EEENS1_30default_config_static_selectorELNS0_4arch9wavefront6targetE1EEEvT1_.private_seg_size, 0
	.set _ZN7rocprim17ROCPRIM_400000_NS6detail17trampoline_kernelINS0_14default_configENS1_25partition_config_selectorILNS1_17partition_subalgoE9EllbEEZZNS1_14partition_implILS5_9ELb0ES3_jPlS8_PNS0_10empty_typeENS0_5tupleIJS8_S9_EEENSB_IJS8_SA_EEENS0_18inequality_wrapperIZN2at6native12_GLOBAL__N_124unique_dim_cuda_templateIaEESt5tupleIJNSF_6TensorESK_SK_EERKSK_lbbbEUlllE0_EEPmJS9_EEE10hipError_tPvRmT3_T4_T5_T6_T7_T9_mT8_P12ihipStream_tbDpT10_ENKUlT_T0_E_clISt17integral_constantIbLb1EES1A_EEDaS15_S16_EUlS15_E_NS1_11comp_targetILNS1_3genE10ELNS1_11target_archE1200ELNS1_3gpuE4ELNS1_3repE0EEENS1_30default_config_static_selectorELNS0_4arch9wavefront6targetE1EEEvT1_.uses_vcc, 0
	.set _ZN7rocprim17ROCPRIM_400000_NS6detail17trampoline_kernelINS0_14default_configENS1_25partition_config_selectorILNS1_17partition_subalgoE9EllbEEZZNS1_14partition_implILS5_9ELb0ES3_jPlS8_PNS0_10empty_typeENS0_5tupleIJS8_S9_EEENSB_IJS8_SA_EEENS0_18inequality_wrapperIZN2at6native12_GLOBAL__N_124unique_dim_cuda_templateIaEESt5tupleIJNSF_6TensorESK_SK_EERKSK_lbbbEUlllE0_EEPmJS9_EEE10hipError_tPvRmT3_T4_T5_T6_T7_T9_mT8_P12ihipStream_tbDpT10_ENKUlT_T0_E_clISt17integral_constantIbLb1EES1A_EEDaS15_S16_EUlS15_E_NS1_11comp_targetILNS1_3genE10ELNS1_11target_archE1200ELNS1_3gpuE4ELNS1_3repE0EEENS1_30default_config_static_selectorELNS0_4arch9wavefront6targetE1EEEvT1_.uses_flat_scratch, 0
	.set _ZN7rocprim17ROCPRIM_400000_NS6detail17trampoline_kernelINS0_14default_configENS1_25partition_config_selectorILNS1_17partition_subalgoE9EllbEEZZNS1_14partition_implILS5_9ELb0ES3_jPlS8_PNS0_10empty_typeENS0_5tupleIJS8_S9_EEENSB_IJS8_SA_EEENS0_18inequality_wrapperIZN2at6native12_GLOBAL__N_124unique_dim_cuda_templateIaEESt5tupleIJNSF_6TensorESK_SK_EERKSK_lbbbEUlllE0_EEPmJS9_EEE10hipError_tPvRmT3_T4_T5_T6_T7_T9_mT8_P12ihipStream_tbDpT10_ENKUlT_T0_E_clISt17integral_constantIbLb1EES1A_EEDaS15_S16_EUlS15_E_NS1_11comp_targetILNS1_3genE10ELNS1_11target_archE1200ELNS1_3gpuE4ELNS1_3repE0EEENS1_30default_config_static_selectorELNS0_4arch9wavefront6targetE1EEEvT1_.has_dyn_sized_stack, 0
	.set _ZN7rocprim17ROCPRIM_400000_NS6detail17trampoline_kernelINS0_14default_configENS1_25partition_config_selectorILNS1_17partition_subalgoE9EllbEEZZNS1_14partition_implILS5_9ELb0ES3_jPlS8_PNS0_10empty_typeENS0_5tupleIJS8_S9_EEENSB_IJS8_SA_EEENS0_18inequality_wrapperIZN2at6native12_GLOBAL__N_124unique_dim_cuda_templateIaEESt5tupleIJNSF_6TensorESK_SK_EERKSK_lbbbEUlllE0_EEPmJS9_EEE10hipError_tPvRmT3_T4_T5_T6_T7_T9_mT8_P12ihipStream_tbDpT10_ENKUlT_T0_E_clISt17integral_constantIbLb1EES1A_EEDaS15_S16_EUlS15_E_NS1_11comp_targetILNS1_3genE10ELNS1_11target_archE1200ELNS1_3gpuE4ELNS1_3repE0EEENS1_30default_config_static_selectorELNS0_4arch9wavefront6targetE1EEEvT1_.has_recursion, 0
	.set _ZN7rocprim17ROCPRIM_400000_NS6detail17trampoline_kernelINS0_14default_configENS1_25partition_config_selectorILNS1_17partition_subalgoE9EllbEEZZNS1_14partition_implILS5_9ELb0ES3_jPlS8_PNS0_10empty_typeENS0_5tupleIJS8_S9_EEENSB_IJS8_SA_EEENS0_18inequality_wrapperIZN2at6native12_GLOBAL__N_124unique_dim_cuda_templateIaEESt5tupleIJNSF_6TensorESK_SK_EERKSK_lbbbEUlllE0_EEPmJS9_EEE10hipError_tPvRmT3_T4_T5_T6_T7_T9_mT8_P12ihipStream_tbDpT10_ENKUlT_T0_E_clISt17integral_constantIbLb1EES1A_EEDaS15_S16_EUlS15_E_NS1_11comp_targetILNS1_3genE10ELNS1_11target_archE1200ELNS1_3gpuE4ELNS1_3repE0EEENS1_30default_config_static_selectorELNS0_4arch9wavefront6targetE1EEEvT1_.has_indirect_call, 0
	.section	.AMDGPU.csdata,"",@progbits
; Kernel info:
; codeLenInByte = 0
; TotalNumSgprs: 6
; NumVgprs: 0
; NumAgprs: 0
; TotalNumVgprs: 0
; ScratchSize: 0
; MemoryBound: 0
; FloatMode: 240
; IeeeMode: 1
; LDSByteSize: 0 bytes/workgroup (compile time only)
; SGPRBlocks: 0
; VGPRBlocks: 0
; NumSGPRsForWavesPerEU: 6
; NumVGPRsForWavesPerEU: 1
; AccumOffset: 4
; Occupancy: 8
; WaveLimiterHint : 0
; COMPUTE_PGM_RSRC2:SCRATCH_EN: 0
; COMPUTE_PGM_RSRC2:USER_SGPR: 2
; COMPUTE_PGM_RSRC2:TRAP_HANDLER: 0
; COMPUTE_PGM_RSRC2:TGID_X_EN: 1
; COMPUTE_PGM_RSRC2:TGID_Y_EN: 0
; COMPUTE_PGM_RSRC2:TGID_Z_EN: 0
; COMPUTE_PGM_RSRC2:TIDIG_COMP_CNT: 0
; COMPUTE_PGM_RSRC3_GFX90A:ACCUM_OFFSET: 0
; COMPUTE_PGM_RSRC3_GFX90A:TG_SPLIT: 0
	.section	.text._ZN7rocprim17ROCPRIM_400000_NS6detail17trampoline_kernelINS0_14default_configENS1_25partition_config_selectorILNS1_17partition_subalgoE9EllbEEZZNS1_14partition_implILS5_9ELb0ES3_jPlS8_PNS0_10empty_typeENS0_5tupleIJS8_S9_EEENSB_IJS8_SA_EEENS0_18inequality_wrapperIZN2at6native12_GLOBAL__N_124unique_dim_cuda_templateIaEESt5tupleIJNSF_6TensorESK_SK_EERKSK_lbbbEUlllE0_EEPmJS9_EEE10hipError_tPvRmT3_T4_T5_T6_T7_T9_mT8_P12ihipStream_tbDpT10_ENKUlT_T0_E_clISt17integral_constantIbLb1EES1A_EEDaS15_S16_EUlS15_E_NS1_11comp_targetILNS1_3genE9ELNS1_11target_archE1100ELNS1_3gpuE3ELNS1_3repE0EEENS1_30default_config_static_selectorELNS0_4arch9wavefront6targetE1EEEvT1_,"axG",@progbits,_ZN7rocprim17ROCPRIM_400000_NS6detail17trampoline_kernelINS0_14default_configENS1_25partition_config_selectorILNS1_17partition_subalgoE9EllbEEZZNS1_14partition_implILS5_9ELb0ES3_jPlS8_PNS0_10empty_typeENS0_5tupleIJS8_S9_EEENSB_IJS8_SA_EEENS0_18inequality_wrapperIZN2at6native12_GLOBAL__N_124unique_dim_cuda_templateIaEESt5tupleIJNSF_6TensorESK_SK_EERKSK_lbbbEUlllE0_EEPmJS9_EEE10hipError_tPvRmT3_T4_T5_T6_T7_T9_mT8_P12ihipStream_tbDpT10_ENKUlT_T0_E_clISt17integral_constantIbLb1EES1A_EEDaS15_S16_EUlS15_E_NS1_11comp_targetILNS1_3genE9ELNS1_11target_archE1100ELNS1_3gpuE3ELNS1_3repE0EEENS1_30default_config_static_selectorELNS0_4arch9wavefront6targetE1EEEvT1_,comdat
	.globl	_ZN7rocprim17ROCPRIM_400000_NS6detail17trampoline_kernelINS0_14default_configENS1_25partition_config_selectorILNS1_17partition_subalgoE9EllbEEZZNS1_14partition_implILS5_9ELb0ES3_jPlS8_PNS0_10empty_typeENS0_5tupleIJS8_S9_EEENSB_IJS8_SA_EEENS0_18inequality_wrapperIZN2at6native12_GLOBAL__N_124unique_dim_cuda_templateIaEESt5tupleIJNSF_6TensorESK_SK_EERKSK_lbbbEUlllE0_EEPmJS9_EEE10hipError_tPvRmT3_T4_T5_T6_T7_T9_mT8_P12ihipStream_tbDpT10_ENKUlT_T0_E_clISt17integral_constantIbLb1EES1A_EEDaS15_S16_EUlS15_E_NS1_11comp_targetILNS1_3genE9ELNS1_11target_archE1100ELNS1_3gpuE3ELNS1_3repE0EEENS1_30default_config_static_selectorELNS0_4arch9wavefront6targetE1EEEvT1_ ; -- Begin function _ZN7rocprim17ROCPRIM_400000_NS6detail17trampoline_kernelINS0_14default_configENS1_25partition_config_selectorILNS1_17partition_subalgoE9EllbEEZZNS1_14partition_implILS5_9ELb0ES3_jPlS8_PNS0_10empty_typeENS0_5tupleIJS8_S9_EEENSB_IJS8_SA_EEENS0_18inequality_wrapperIZN2at6native12_GLOBAL__N_124unique_dim_cuda_templateIaEESt5tupleIJNSF_6TensorESK_SK_EERKSK_lbbbEUlllE0_EEPmJS9_EEE10hipError_tPvRmT3_T4_T5_T6_T7_T9_mT8_P12ihipStream_tbDpT10_ENKUlT_T0_E_clISt17integral_constantIbLb1EES1A_EEDaS15_S16_EUlS15_E_NS1_11comp_targetILNS1_3genE9ELNS1_11target_archE1100ELNS1_3gpuE3ELNS1_3repE0EEENS1_30default_config_static_selectorELNS0_4arch9wavefront6targetE1EEEvT1_
	.p2align	8
	.type	_ZN7rocprim17ROCPRIM_400000_NS6detail17trampoline_kernelINS0_14default_configENS1_25partition_config_selectorILNS1_17partition_subalgoE9EllbEEZZNS1_14partition_implILS5_9ELb0ES3_jPlS8_PNS0_10empty_typeENS0_5tupleIJS8_S9_EEENSB_IJS8_SA_EEENS0_18inequality_wrapperIZN2at6native12_GLOBAL__N_124unique_dim_cuda_templateIaEESt5tupleIJNSF_6TensorESK_SK_EERKSK_lbbbEUlllE0_EEPmJS9_EEE10hipError_tPvRmT3_T4_T5_T6_T7_T9_mT8_P12ihipStream_tbDpT10_ENKUlT_T0_E_clISt17integral_constantIbLb1EES1A_EEDaS15_S16_EUlS15_E_NS1_11comp_targetILNS1_3genE9ELNS1_11target_archE1100ELNS1_3gpuE3ELNS1_3repE0EEENS1_30default_config_static_selectorELNS0_4arch9wavefront6targetE1EEEvT1_,@function
_ZN7rocprim17ROCPRIM_400000_NS6detail17trampoline_kernelINS0_14default_configENS1_25partition_config_selectorILNS1_17partition_subalgoE9EllbEEZZNS1_14partition_implILS5_9ELb0ES3_jPlS8_PNS0_10empty_typeENS0_5tupleIJS8_S9_EEENSB_IJS8_SA_EEENS0_18inequality_wrapperIZN2at6native12_GLOBAL__N_124unique_dim_cuda_templateIaEESt5tupleIJNSF_6TensorESK_SK_EERKSK_lbbbEUlllE0_EEPmJS9_EEE10hipError_tPvRmT3_T4_T5_T6_T7_T9_mT8_P12ihipStream_tbDpT10_ENKUlT_T0_E_clISt17integral_constantIbLb1EES1A_EEDaS15_S16_EUlS15_E_NS1_11comp_targetILNS1_3genE9ELNS1_11target_archE1100ELNS1_3gpuE3ELNS1_3repE0EEENS1_30default_config_static_selectorELNS0_4arch9wavefront6targetE1EEEvT1_: ; @_ZN7rocprim17ROCPRIM_400000_NS6detail17trampoline_kernelINS0_14default_configENS1_25partition_config_selectorILNS1_17partition_subalgoE9EllbEEZZNS1_14partition_implILS5_9ELb0ES3_jPlS8_PNS0_10empty_typeENS0_5tupleIJS8_S9_EEENSB_IJS8_SA_EEENS0_18inequality_wrapperIZN2at6native12_GLOBAL__N_124unique_dim_cuda_templateIaEESt5tupleIJNSF_6TensorESK_SK_EERKSK_lbbbEUlllE0_EEPmJS9_EEE10hipError_tPvRmT3_T4_T5_T6_T7_T9_mT8_P12ihipStream_tbDpT10_ENKUlT_T0_E_clISt17integral_constantIbLb1EES1A_EEDaS15_S16_EUlS15_E_NS1_11comp_targetILNS1_3genE9ELNS1_11target_archE1100ELNS1_3gpuE3ELNS1_3repE0EEENS1_30default_config_static_selectorELNS0_4arch9wavefront6targetE1EEEvT1_
; %bb.0:
	.section	.rodata,"a",@progbits
	.p2align	6, 0x0
	.amdhsa_kernel _ZN7rocprim17ROCPRIM_400000_NS6detail17trampoline_kernelINS0_14default_configENS1_25partition_config_selectorILNS1_17partition_subalgoE9EllbEEZZNS1_14partition_implILS5_9ELb0ES3_jPlS8_PNS0_10empty_typeENS0_5tupleIJS8_S9_EEENSB_IJS8_SA_EEENS0_18inequality_wrapperIZN2at6native12_GLOBAL__N_124unique_dim_cuda_templateIaEESt5tupleIJNSF_6TensorESK_SK_EERKSK_lbbbEUlllE0_EEPmJS9_EEE10hipError_tPvRmT3_T4_T5_T6_T7_T9_mT8_P12ihipStream_tbDpT10_ENKUlT_T0_E_clISt17integral_constantIbLb1EES1A_EEDaS15_S16_EUlS15_E_NS1_11comp_targetILNS1_3genE9ELNS1_11target_archE1100ELNS1_3gpuE3ELNS1_3repE0EEENS1_30default_config_static_selectorELNS0_4arch9wavefront6targetE1EEEvT1_
		.amdhsa_group_segment_fixed_size 0
		.amdhsa_private_segment_fixed_size 0
		.amdhsa_kernarg_size 136
		.amdhsa_user_sgpr_count 2
		.amdhsa_user_sgpr_dispatch_ptr 0
		.amdhsa_user_sgpr_queue_ptr 0
		.amdhsa_user_sgpr_kernarg_segment_ptr 1
		.amdhsa_user_sgpr_dispatch_id 0
		.amdhsa_user_sgpr_kernarg_preload_length 0
		.amdhsa_user_sgpr_kernarg_preload_offset 0
		.amdhsa_user_sgpr_private_segment_size 0
		.amdhsa_uses_dynamic_stack 0
		.amdhsa_enable_private_segment 0
		.amdhsa_system_sgpr_workgroup_id_x 1
		.amdhsa_system_sgpr_workgroup_id_y 0
		.amdhsa_system_sgpr_workgroup_id_z 0
		.amdhsa_system_sgpr_workgroup_info 0
		.amdhsa_system_vgpr_workitem_id 0
		.amdhsa_next_free_vgpr 1
		.amdhsa_next_free_sgpr 0
		.amdhsa_accum_offset 4
		.amdhsa_reserve_vcc 0
		.amdhsa_float_round_mode_32 0
		.amdhsa_float_round_mode_16_64 0
		.amdhsa_float_denorm_mode_32 3
		.amdhsa_float_denorm_mode_16_64 3
		.amdhsa_dx10_clamp 1
		.amdhsa_ieee_mode 1
		.amdhsa_fp16_overflow 0
		.amdhsa_tg_split 0
		.amdhsa_exception_fp_ieee_invalid_op 0
		.amdhsa_exception_fp_denorm_src 0
		.amdhsa_exception_fp_ieee_div_zero 0
		.amdhsa_exception_fp_ieee_overflow 0
		.amdhsa_exception_fp_ieee_underflow 0
		.amdhsa_exception_fp_ieee_inexact 0
		.amdhsa_exception_int_div_zero 0
	.end_amdhsa_kernel
	.section	.text._ZN7rocprim17ROCPRIM_400000_NS6detail17trampoline_kernelINS0_14default_configENS1_25partition_config_selectorILNS1_17partition_subalgoE9EllbEEZZNS1_14partition_implILS5_9ELb0ES3_jPlS8_PNS0_10empty_typeENS0_5tupleIJS8_S9_EEENSB_IJS8_SA_EEENS0_18inequality_wrapperIZN2at6native12_GLOBAL__N_124unique_dim_cuda_templateIaEESt5tupleIJNSF_6TensorESK_SK_EERKSK_lbbbEUlllE0_EEPmJS9_EEE10hipError_tPvRmT3_T4_T5_T6_T7_T9_mT8_P12ihipStream_tbDpT10_ENKUlT_T0_E_clISt17integral_constantIbLb1EES1A_EEDaS15_S16_EUlS15_E_NS1_11comp_targetILNS1_3genE9ELNS1_11target_archE1100ELNS1_3gpuE3ELNS1_3repE0EEENS1_30default_config_static_selectorELNS0_4arch9wavefront6targetE1EEEvT1_,"axG",@progbits,_ZN7rocprim17ROCPRIM_400000_NS6detail17trampoline_kernelINS0_14default_configENS1_25partition_config_selectorILNS1_17partition_subalgoE9EllbEEZZNS1_14partition_implILS5_9ELb0ES3_jPlS8_PNS0_10empty_typeENS0_5tupleIJS8_S9_EEENSB_IJS8_SA_EEENS0_18inequality_wrapperIZN2at6native12_GLOBAL__N_124unique_dim_cuda_templateIaEESt5tupleIJNSF_6TensorESK_SK_EERKSK_lbbbEUlllE0_EEPmJS9_EEE10hipError_tPvRmT3_T4_T5_T6_T7_T9_mT8_P12ihipStream_tbDpT10_ENKUlT_T0_E_clISt17integral_constantIbLb1EES1A_EEDaS15_S16_EUlS15_E_NS1_11comp_targetILNS1_3genE9ELNS1_11target_archE1100ELNS1_3gpuE3ELNS1_3repE0EEENS1_30default_config_static_selectorELNS0_4arch9wavefront6targetE1EEEvT1_,comdat
.Lfunc_end365:
	.size	_ZN7rocprim17ROCPRIM_400000_NS6detail17trampoline_kernelINS0_14default_configENS1_25partition_config_selectorILNS1_17partition_subalgoE9EllbEEZZNS1_14partition_implILS5_9ELb0ES3_jPlS8_PNS0_10empty_typeENS0_5tupleIJS8_S9_EEENSB_IJS8_SA_EEENS0_18inequality_wrapperIZN2at6native12_GLOBAL__N_124unique_dim_cuda_templateIaEESt5tupleIJNSF_6TensorESK_SK_EERKSK_lbbbEUlllE0_EEPmJS9_EEE10hipError_tPvRmT3_T4_T5_T6_T7_T9_mT8_P12ihipStream_tbDpT10_ENKUlT_T0_E_clISt17integral_constantIbLb1EES1A_EEDaS15_S16_EUlS15_E_NS1_11comp_targetILNS1_3genE9ELNS1_11target_archE1100ELNS1_3gpuE3ELNS1_3repE0EEENS1_30default_config_static_selectorELNS0_4arch9wavefront6targetE1EEEvT1_, .Lfunc_end365-_ZN7rocprim17ROCPRIM_400000_NS6detail17trampoline_kernelINS0_14default_configENS1_25partition_config_selectorILNS1_17partition_subalgoE9EllbEEZZNS1_14partition_implILS5_9ELb0ES3_jPlS8_PNS0_10empty_typeENS0_5tupleIJS8_S9_EEENSB_IJS8_SA_EEENS0_18inequality_wrapperIZN2at6native12_GLOBAL__N_124unique_dim_cuda_templateIaEESt5tupleIJNSF_6TensorESK_SK_EERKSK_lbbbEUlllE0_EEPmJS9_EEE10hipError_tPvRmT3_T4_T5_T6_T7_T9_mT8_P12ihipStream_tbDpT10_ENKUlT_T0_E_clISt17integral_constantIbLb1EES1A_EEDaS15_S16_EUlS15_E_NS1_11comp_targetILNS1_3genE9ELNS1_11target_archE1100ELNS1_3gpuE3ELNS1_3repE0EEENS1_30default_config_static_selectorELNS0_4arch9wavefront6targetE1EEEvT1_
                                        ; -- End function
	.set _ZN7rocprim17ROCPRIM_400000_NS6detail17trampoline_kernelINS0_14default_configENS1_25partition_config_selectorILNS1_17partition_subalgoE9EllbEEZZNS1_14partition_implILS5_9ELb0ES3_jPlS8_PNS0_10empty_typeENS0_5tupleIJS8_S9_EEENSB_IJS8_SA_EEENS0_18inequality_wrapperIZN2at6native12_GLOBAL__N_124unique_dim_cuda_templateIaEESt5tupleIJNSF_6TensorESK_SK_EERKSK_lbbbEUlllE0_EEPmJS9_EEE10hipError_tPvRmT3_T4_T5_T6_T7_T9_mT8_P12ihipStream_tbDpT10_ENKUlT_T0_E_clISt17integral_constantIbLb1EES1A_EEDaS15_S16_EUlS15_E_NS1_11comp_targetILNS1_3genE9ELNS1_11target_archE1100ELNS1_3gpuE3ELNS1_3repE0EEENS1_30default_config_static_selectorELNS0_4arch9wavefront6targetE1EEEvT1_.num_vgpr, 0
	.set _ZN7rocprim17ROCPRIM_400000_NS6detail17trampoline_kernelINS0_14default_configENS1_25partition_config_selectorILNS1_17partition_subalgoE9EllbEEZZNS1_14partition_implILS5_9ELb0ES3_jPlS8_PNS0_10empty_typeENS0_5tupleIJS8_S9_EEENSB_IJS8_SA_EEENS0_18inequality_wrapperIZN2at6native12_GLOBAL__N_124unique_dim_cuda_templateIaEESt5tupleIJNSF_6TensorESK_SK_EERKSK_lbbbEUlllE0_EEPmJS9_EEE10hipError_tPvRmT3_T4_T5_T6_T7_T9_mT8_P12ihipStream_tbDpT10_ENKUlT_T0_E_clISt17integral_constantIbLb1EES1A_EEDaS15_S16_EUlS15_E_NS1_11comp_targetILNS1_3genE9ELNS1_11target_archE1100ELNS1_3gpuE3ELNS1_3repE0EEENS1_30default_config_static_selectorELNS0_4arch9wavefront6targetE1EEEvT1_.num_agpr, 0
	.set _ZN7rocprim17ROCPRIM_400000_NS6detail17trampoline_kernelINS0_14default_configENS1_25partition_config_selectorILNS1_17partition_subalgoE9EllbEEZZNS1_14partition_implILS5_9ELb0ES3_jPlS8_PNS0_10empty_typeENS0_5tupleIJS8_S9_EEENSB_IJS8_SA_EEENS0_18inequality_wrapperIZN2at6native12_GLOBAL__N_124unique_dim_cuda_templateIaEESt5tupleIJNSF_6TensorESK_SK_EERKSK_lbbbEUlllE0_EEPmJS9_EEE10hipError_tPvRmT3_T4_T5_T6_T7_T9_mT8_P12ihipStream_tbDpT10_ENKUlT_T0_E_clISt17integral_constantIbLb1EES1A_EEDaS15_S16_EUlS15_E_NS1_11comp_targetILNS1_3genE9ELNS1_11target_archE1100ELNS1_3gpuE3ELNS1_3repE0EEENS1_30default_config_static_selectorELNS0_4arch9wavefront6targetE1EEEvT1_.numbered_sgpr, 0
	.set _ZN7rocprim17ROCPRIM_400000_NS6detail17trampoline_kernelINS0_14default_configENS1_25partition_config_selectorILNS1_17partition_subalgoE9EllbEEZZNS1_14partition_implILS5_9ELb0ES3_jPlS8_PNS0_10empty_typeENS0_5tupleIJS8_S9_EEENSB_IJS8_SA_EEENS0_18inequality_wrapperIZN2at6native12_GLOBAL__N_124unique_dim_cuda_templateIaEESt5tupleIJNSF_6TensorESK_SK_EERKSK_lbbbEUlllE0_EEPmJS9_EEE10hipError_tPvRmT3_T4_T5_T6_T7_T9_mT8_P12ihipStream_tbDpT10_ENKUlT_T0_E_clISt17integral_constantIbLb1EES1A_EEDaS15_S16_EUlS15_E_NS1_11comp_targetILNS1_3genE9ELNS1_11target_archE1100ELNS1_3gpuE3ELNS1_3repE0EEENS1_30default_config_static_selectorELNS0_4arch9wavefront6targetE1EEEvT1_.num_named_barrier, 0
	.set _ZN7rocprim17ROCPRIM_400000_NS6detail17trampoline_kernelINS0_14default_configENS1_25partition_config_selectorILNS1_17partition_subalgoE9EllbEEZZNS1_14partition_implILS5_9ELb0ES3_jPlS8_PNS0_10empty_typeENS0_5tupleIJS8_S9_EEENSB_IJS8_SA_EEENS0_18inequality_wrapperIZN2at6native12_GLOBAL__N_124unique_dim_cuda_templateIaEESt5tupleIJNSF_6TensorESK_SK_EERKSK_lbbbEUlllE0_EEPmJS9_EEE10hipError_tPvRmT3_T4_T5_T6_T7_T9_mT8_P12ihipStream_tbDpT10_ENKUlT_T0_E_clISt17integral_constantIbLb1EES1A_EEDaS15_S16_EUlS15_E_NS1_11comp_targetILNS1_3genE9ELNS1_11target_archE1100ELNS1_3gpuE3ELNS1_3repE0EEENS1_30default_config_static_selectorELNS0_4arch9wavefront6targetE1EEEvT1_.private_seg_size, 0
	.set _ZN7rocprim17ROCPRIM_400000_NS6detail17trampoline_kernelINS0_14default_configENS1_25partition_config_selectorILNS1_17partition_subalgoE9EllbEEZZNS1_14partition_implILS5_9ELb0ES3_jPlS8_PNS0_10empty_typeENS0_5tupleIJS8_S9_EEENSB_IJS8_SA_EEENS0_18inequality_wrapperIZN2at6native12_GLOBAL__N_124unique_dim_cuda_templateIaEESt5tupleIJNSF_6TensorESK_SK_EERKSK_lbbbEUlllE0_EEPmJS9_EEE10hipError_tPvRmT3_T4_T5_T6_T7_T9_mT8_P12ihipStream_tbDpT10_ENKUlT_T0_E_clISt17integral_constantIbLb1EES1A_EEDaS15_S16_EUlS15_E_NS1_11comp_targetILNS1_3genE9ELNS1_11target_archE1100ELNS1_3gpuE3ELNS1_3repE0EEENS1_30default_config_static_selectorELNS0_4arch9wavefront6targetE1EEEvT1_.uses_vcc, 0
	.set _ZN7rocprim17ROCPRIM_400000_NS6detail17trampoline_kernelINS0_14default_configENS1_25partition_config_selectorILNS1_17partition_subalgoE9EllbEEZZNS1_14partition_implILS5_9ELb0ES3_jPlS8_PNS0_10empty_typeENS0_5tupleIJS8_S9_EEENSB_IJS8_SA_EEENS0_18inequality_wrapperIZN2at6native12_GLOBAL__N_124unique_dim_cuda_templateIaEESt5tupleIJNSF_6TensorESK_SK_EERKSK_lbbbEUlllE0_EEPmJS9_EEE10hipError_tPvRmT3_T4_T5_T6_T7_T9_mT8_P12ihipStream_tbDpT10_ENKUlT_T0_E_clISt17integral_constantIbLb1EES1A_EEDaS15_S16_EUlS15_E_NS1_11comp_targetILNS1_3genE9ELNS1_11target_archE1100ELNS1_3gpuE3ELNS1_3repE0EEENS1_30default_config_static_selectorELNS0_4arch9wavefront6targetE1EEEvT1_.uses_flat_scratch, 0
	.set _ZN7rocprim17ROCPRIM_400000_NS6detail17trampoline_kernelINS0_14default_configENS1_25partition_config_selectorILNS1_17partition_subalgoE9EllbEEZZNS1_14partition_implILS5_9ELb0ES3_jPlS8_PNS0_10empty_typeENS0_5tupleIJS8_S9_EEENSB_IJS8_SA_EEENS0_18inequality_wrapperIZN2at6native12_GLOBAL__N_124unique_dim_cuda_templateIaEESt5tupleIJNSF_6TensorESK_SK_EERKSK_lbbbEUlllE0_EEPmJS9_EEE10hipError_tPvRmT3_T4_T5_T6_T7_T9_mT8_P12ihipStream_tbDpT10_ENKUlT_T0_E_clISt17integral_constantIbLb1EES1A_EEDaS15_S16_EUlS15_E_NS1_11comp_targetILNS1_3genE9ELNS1_11target_archE1100ELNS1_3gpuE3ELNS1_3repE0EEENS1_30default_config_static_selectorELNS0_4arch9wavefront6targetE1EEEvT1_.has_dyn_sized_stack, 0
	.set _ZN7rocprim17ROCPRIM_400000_NS6detail17trampoline_kernelINS0_14default_configENS1_25partition_config_selectorILNS1_17partition_subalgoE9EllbEEZZNS1_14partition_implILS5_9ELb0ES3_jPlS8_PNS0_10empty_typeENS0_5tupleIJS8_S9_EEENSB_IJS8_SA_EEENS0_18inequality_wrapperIZN2at6native12_GLOBAL__N_124unique_dim_cuda_templateIaEESt5tupleIJNSF_6TensorESK_SK_EERKSK_lbbbEUlllE0_EEPmJS9_EEE10hipError_tPvRmT3_T4_T5_T6_T7_T9_mT8_P12ihipStream_tbDpT10_ENKUlT_T0_E_clISt17integral_constantIbLb1EES1A_EEDaS15_S16_EUlS15_E_NS1_11comp_targetILNS1_3genE9ELNS1_11target_archE1100ELNS1_3gpuE3ELNS1_3repE0EEENS1_30default_config_static_selectorELNS0_4arch9wavefront6targetE1EEEvT1_.has_recursion, 0
	.set _ZN7rocprim17ROCPRIM_400000_NS6detail17trampoline_kernelINS0_14default_configENS1_25partition_config_selectorILNS1_17partition_subalgoE9EllbEEZZNS1_14partition_implILS5_9ELb0ES3_jPlS8_PNS0_10empty_typeENS0_5tupleIJS8_S9_EEENSB_IJS8_SA_EEENS0_18inequality_wrapperIZN2at6native12_GLOBAL__N_124unique_dim_cuda_templateIaEESt5tupleIJNSF_6TensorESK_SK_EERKSK_lbbbEUlllE0_EEPmJS9_EEE10hipError_tPvRmT3_T4_T5_T6_T7_T9_mT8_P12ihipStream_tbDpT10_ENKUlT_T0_E_clISt17integral_constantIbLb1EES1A_EEDaS15_S16_EUlS15_E_NS1_11comp_targetILNS1_3genE9ELNS1_11target_archE1100ELNS1_3gpuE3ELNS1_3repE0EEENS1_30default_config_static_selectorELNS0_4arch9wavefront6targetE1EEEvT1_.has_indirect_call, 0
	.section	.AMDGPU.csdata,"",@progbits
; Kernel info:
; codeLenInByte = 0
; TotalNumSgprs: 6
; NumVgprs: 0
; NumAgprs: 0
; TotalNumVgprs: 0
; ScratchSize: 0
; MemoryBound: 0
; FloatMode: 240
; IeeeMode: 1
; LDSByteSize: 0 bytes/workgroup (compile time only)
; SGPRBlocks: 0
; VGPRBlocks: 0
; NumSGPRsForWavesPerEU: 6
; NumVGPRsForWavesPerEU: 1
; AccumOffset: 4
; Occupancy: 8
; WaveLimiterHint : 0
; COMPUTE_PGM_RSRC2:SCRATCH_EN: 0
; COMPUTE_PGM_RSRC2:USER_SGPR: 2
; COMPUTE_PGM_RSRC2:TRAP_HANDLER: 0
; COMPUTE_PGM_RSRC2:TGID_X_EN: 1
; COMPUTE_PGM_RSRC2:TGID_Y_EN: 0
; COMPUTE_PGM_RSRC2:TGID_Z_EN: 0
; COMPUTE_PGM_RSRC2:TIDIG_COMP_CNT: 0
; COMPUTE_PGM_RSRC3_GFX90A:ACCUM_OFFSET: 0
; COMPUTE_PGM_RSRC3_GFX90A:TG_SPLIT: 0
	.section	.text._ZN7rocprim17ROCPRIM_400000_NS6detail17trampoline_kernelINS0_14default_configENS1_25partition_config_selectorILNS1_17partition_subalgoE9EllbEEZZNS1_14partition_implILS5_9ELb0ES3_jPlS8_PNS0_10empty_typeENS0_5tupleIJS8_S9_EEENSB_IJS8_SA_EEENS0_18inequality_wrapperIZN2at6native12_GLOBAL__N_124unique_dim_cuda_templateIaEESt5tupleIJNSF_6TensorESK_SK_EERKSK_lbbbEUlllE0_EEPmJS9_EEE10hipError_tPvRmT3_T4_T5_T6_T7_T9_mT8_P12ihipStream_tbDpT10_ENKUlT_T0_E_clISt17integral_constantIbLb1EES1A_EEDaS15_S16_EUlS15_E_NS1_11comp_targetILNS1_3genE8ELNS1_11target_archE1030ELNS1_3gpuE2ELNS1_3repE0EEENS1_30default_config_static_selectorELNS0_4arch9wavefront6targetE1EEEvT1_,"axG",@progbits,_ZN7rocprim17ROCPRIM_400000_NS6detail17trampoline_kernelINS0_14default_configENS1_25partition_config_selectorILNS1_17partition_subalgoE9EllbEEZZNS1_14partition_implILS5_9ELb0ES3_jPlS8_PNS0_10empty_typeENS0_5tupleIJS8_S9_EEENSB_IJS8_SA_EEENS0_18inequality_wrapperIZN2at6native12_GLOBAL__N_124unique_dim_cuda_templateIaEESt5tupleIJNSF_6TensorESK_SK_EERKSK_lbbbEUlllE0_EEPmJS9_EEE10hipError_tPvRmT3_T4_T5_T6_T7_T9_mT8_P12ihipStream_tbDpT10_ENKUlT_T0_E_clISt17integral_constantIbLb1EES1A_EEDaS15_S16_EUlS15_E_NS1_11comp_targetILNS1_3genE8ELNS1_11target_archE1030ELNS1_3gpuE2ELNS1_3repE0EEENS1_30default_config_static_selectorELNS0_4arch9wavefront6targetE1EEEvT1_,comdat
	.globl	_ZN7rocprim17ROCPRIM_400000_NS6detail17trampoline_kernelINS0_14default_configENS1_25partition_config_selectorILNS1_17partition_subalgoE9EllbEEZZNS1_14partition_implILS5_9ELb0ES3_jPlS8_PNS0_10empty_typeENS0_5tupleIJS8_S9_EEENSB_IJS8_SA_EEENS0_18inequality_wrapperIZN2at6native12_GLOBAL__N_124unique_dim_cuda_templateIaEESt5tupleIJNSF_6TensorESK_SK_EERKSK_lbbbEUlllE0_EEPmJS9_EEE10hipError_tPvRmT3_T4_T5_T6_T7_T9_mT8_P12ihipStream_tbDpT10_ENKUlT_T0_E_clISt17integral_constantIbLb1EES1A_EEDaS15_S16_EUlS15_E_NS1_11comp_targetILNS1_3genE8ELNS1_11target_archE1030ELNS1_3gpuE2ELNS1_3repE0EEENS1_30default_config_static_selectorELNS0_4arch9wavefront6targetE1EEEvT1_ ; -- Begin function _ZN7rocprim17ROCPRIM_400000_NS6detail17trampoline_kernelINS0_14default_configENS1_25partition_config_selectorILNS1_17partition_subalgoE9EllbEEZZNS1_14partition_implILS5_9ELb0ES3_jPlS8_PNS0_10empty_typeENS0_5tupleIJS8_S9_EEENSB_IJS8_SA_EEENS0_18inequality_wrapperIZN2at6native12_GLOBAL__N_124unique_dim_cuda_templateIaEESt5tupleIJNSF_6TensorESK_SK_EERKSK_lbbbEUlllE0_EEPmJS9_EEE10hipError_tPvRmT3_T4_T5_T6_T7_T9_mT8_P12ihipStream_tbDpT10_ENKUlT_T0_E_clISt17integral_constantIbLb1EES1A_EEDaS15_S16_EUlS15_E_NS1_11comp_targetILNS1_3genE8ELNS1_11target_archE1030ELNS1_3gpuE2ELNS1_3repE0EEENS1_30default_config_static_selectorELNS0_4arch9wavefront6targetE1EEEvT1_
	.p2align	8
	.type	_ZN7rocprim17ROCPRIM_400000_NS6detail17trampoline_kernelINS0_14default_configENS1_25partition_config_selectorILNS1_17partition_subalgoE9EllbEEZZNS1_14partition_implILS5_9ELb0ES3_jPlS8_PNS0_10empty_typeENS0_5tupleIJS8_S9_EEENSB_IJS8_SA_EEENS0_18inequality_wrapperIZN2at6native12_GLOBAL__N_124unique_dim_cuda_templateIaEESt5tupleIJNSF_6TensorESK_SK_EERKSK_lbbbEUlllE0_EEPmJS9_EEE10hipError_tPvRmT3_T4_T5_T6_T7_T9_mT8_P12ihipStream_tbDpT10_ENKUlT_T0_E_clISt17integral_constantIbLb1EES1A_EEDaS15_S16_EUlS15_E_NS1_11comp_targetILNS1_3genE8ELNS1_11target_archE1030ELNS1_3gpuE2ELNS1_3repE0EEENS1_30default_config_static_selectorELNS0_4arch9wavefront6targetE1EEEvT1_,@function
_ZN7rocprim17ROCPRIM_400000_NS6detail17trampoline_kernelINS0_14default_configENS1_25partition_config_selectorILNS1_17partition_subalgoE9EllbEEZZNS1_14partition_implILS5_9ELb0ES3_jPlS8_PNS0_10empty_typeENS0_5tupleIJS8_S9_EEENSB_IJS8_SA_EEENS0_18inequality_wrapperIZN2at6native12_GLOBAL__N_124unique_dim_cuda_templateIaEESt5tupleIJNSF_6TensorESK_SK_EERKSK_lbbbEUlllE0_EEPmJS9_EEE10hipError_tPvRmT3_T4_T5_T6_T7_T9_mT8_P12ihipStream_tbDpT10_ENKUlT_T0_E_clISt17integral_constantIbLb1EES1A_EEDaS15_S16_EUlS15_E_NS1_11comp_targetILNS1_3genE8ELNS1_11target_archE1030ELNS1_3gpuE2ELNS1_3repE0EEENS1_30default_config_static_selectorELNS0_4arch9wavefront6targetE1EEEvT1_: ; @_ZN7rocprim17ROCPRIM_400000_NS6detail17trampoline_kernelINS0_14default_configENS1_25partition_config_selectorILNS1_17partition_subalgoE9EllbEEZZNS1_14partition_implILS5_9ELb0ES3_jPlS8_PNS0_10empty_typeENS0_5tupleIJS8_S9_EEENSB_IJS8_SA_EEENS0_18inequality_wrapperIZN2at6native12_GLOBAL__N_124unique_dim_cuda_templateIaEESt5tupleIJNSF_6TensorESK_SK_EERKSK_lbbbEUlllE0_EEPmJS9_EEE10hipError_tPvRmT3_T4_T5_T6_T7_T9_mT8_P12ihipStream_tbDpT10_ENKUlT_T0_E_clISt17integral_constantIbLb1EES1A_EEDaS15_S16_EUlS15_E_NS1_11comp_targetILNS1_3genE8ELNS1_11target_archE1030ELNS1_3gpuE2ELNS1_3repE0EEENS1_30default_config_static_selectorELNS0_4arch9wavefront6targetE1EEEvT1_
; %bb.0:
	.section	.rodata,"a",@progbits
	.p2align	6, 0x0
	.amdhsa_kernel _ZN7rocprim17ROCPRIM_400000_NS6detail17trampoline_kernelINS0_14default_configENS1_25partition_config_selectorILNS1_17partition_subalgoE9EllbEEZZNS1_14partition_implILS5_9ELb0ES3_jPlS8_PNS0_10empty_typeENS0_5tupleIJS8_S9_EEENSB_IJS8_SA_EEENS0_18inequality_wrapperIZN2at6native12_GLOBAL__N_124unique_dim_cuda_templateIaEESt5tupleIJNSF_6TensorESK_SK_EERKSK_lbbbEUlllE0_EEPmJS9_EEE10hipError_tPvRmT3_T4_T5_T6_T7_T9_mT8_P12ihipStream_tbDpT10_ENKUlT_T0_E_clISt17integral_constantIbLb1EES1A_EEDaS15_S16_EUlS15_E_NS1_11comp_targetILNS1_3genE8ELNS1_11target_archE1030ELNS1_3gpuE2ELNS1_3repE0EEENS1_30default_config_static_selectorELNS0_4arch9wavefront6targetE1EEEvT1_
		.amdhsa_group_segment_fixed_size 0
		.amdhsa_private_segment_fixed_size 0
		.amdhsa_kernarg_size 136
		.amdhsa_user_sgpr_count 2
		.amdhsa_user_sgpr_dispatch_ptr 0
		.amdhsa_user_sgpr_queue_ptr 0
		.amdhsa_user_sgpr_kernarg_segment_ptr 1
		.amdhsa_user_sgpr_dispatch_id 0
		.amdhsa_user_sgpr_kernarg_preload_length 0
		.amdhsa_user_sgpr_kernarg_preload_offset 0
		.amdhsa_user_sgpr_private_segment_size 0
		.amdhsa_uses_dynamic_stack 0
		.amdhsa_enable_private_segment 0
		.amdhsa_system_sgpr_workgroup_id_x 1
		.amdhsa_system_sgpr_workgroup_id_y 0
		.amdhsa_system_sgpr_workgroup_id_z 0
		.amdhsa_system_sgpr_workgroup_info 0
		.amdhsa_system_vgpr_workitem_id 0
		.amdhsa_next_free_vgpr 1
		.amdhsa_next_free_sgpr 0
		.amdhsa_accum_offset 4
		.amdhsa_reserve_vcc 0
		.amdhsa_float_round_mode_32 0
		.amdhsa_float_round_mode_16_64 0
		.amdhsa_float_denorm_mode_32 3
		.amdhsa_float_denorm_mode_16_64 3
		.amdhsa_dx10_clamp 1
		.amdhsa_ieee_mode 1
		.amdhsa_fp16_overflow 0
		.amdhsa_tg_split 0
		.amdhsa_exception_fp_ieee_invalid_op 0
		.amdhsa_exception_fp_denorm_src 0
		.amdhsa_exception_fp_ieee_div_zero 0
		.amdhsa_exception_fp_ieee_overflow 0
		.amdhsa_exception_fp_ieee_underflow 0
		.amdhsa_exception_fp_ieee_inexact 0
		.amdhsa_exception_int_div_zero 0
	.end_amdhsa_kernel
	.section	.text._ZN7rocprim17ROCPRIM_400000_NS6detail17trampoline_kernelINS0_14default_configENS1_25partition_config_selectorILNS1_17partition_subalgoE9EllbEEZZNS1_14partition_implILS5_9ELb0ES3_jPlS8_PNS0_10empty_typeENS0_5tupleIJS8_S9_EEENSB_IJS8_SA_EEENS0_18inequality_wrapperIZN2at6native12_GLOBAL__N_124unique_dim_cuda_templateIaEESt5tupleIJNSF_6TensorESK_SK_EERKSK_lbbbEUlllE0_EEPmJS9_EEE10hipError_tPvRmT3_T4_T5_T6_T7_T9_mT8_P12ihipStream_tbDpT10_ENKUlT_T0_E_clISt17integral_constantIbLb1EES1A_EEDaS15_S16_EUlS15_E_NS1_11comp_targetILNS1_3genE8ELNS1_11target_archE1030ELNS1_3gpuE2ELNS1_3repE0EEENS1_30default_config_static_selectorELNS0_4arch9wavefront6targetE1EEEvT1_,"axG",@progbits,_ZN7rocprim17ROCPRIM_400000_NS6detail17trampoline_kernelINS0_14default_configENS1_25partition_config_selectorILNS1_17partition_subalgoE9EllbEEZZNS1_14partition_implILS5_9ELb0ES3_jPlS8_PNS0_10empty_typeENS0_5tupleIJS8_S9_EEENSB_IJS8_SA_EEENS0_18inequality_wrapperIZN2at6native12_GLOBAL__N_124unique_dim_cuda_templateIaEESt5tupleIJNSF_6TensorESK_SK_EERKSK_lbbbEUlllE0_EEPmJS9_EEE10hipError_tPvRmT3_T4_T5_T6_T7_T9_mT8_P12ihipStream_tbDpT10_ENKUlT_T0_E_clISt17integral_constantIbLb1EES1A_EEDaS15_S16_EUlS15_E_NS1_11comp_targetILNS1_3genE8ELNS1_11target_archE1030ELNS1_3gpuE2ELNS1_3repE0EEENS1_30default_config_static_selectorELNS0_4arch9wavefront6targetE1EEEvT1_,comdat
.Lfunc_end366:
	.size	_ZN7rocprim17ROCPRIM_400000_NS6detail17trampoline_kernelINS0_14default_configENS1_25partition_config_selectorILNS1_17partition_subalgoE9EllbEEZZNS1_14partition_implILS5_9ELb0ES3_jPlS8_PNS0_10empty_typeENS0_5tupleIJS8_S9_EEENSB_IJS8_SA_EEENS0_18inequality_wrapperIZN2at6native12_GLOBAL__N_124unique_dim_cuda_templateIaEESt5tupleIJNSF_6TensorESK_SK_EERKSK_lbbbEUlllE0_EEPmJS9_EEE10hipError_tPvRmT3_T4_T5_T6_T7_T9_mT8_P12ihipStream_tbDpT10_ENKUlT_T0_E_clISt17integral_constantIbLb1EES1A_EEDaS15_S16_EUlS15_E_NS1_11comp_targetILNS1_3genE8ELNS1_11target_archE1030ELNS1_3gpuE2ELNS1_3repE0EEENS1_30default_config_static_selectorELNS0_4arch9wavefront6targetE1EEEvT1_, .Lfunc_end366-_ZN7rocprim17ROCPRIM_400000_NS6detail17trampoline_kernelINS0_14default_configENS1_25partition_config_selectorILNS1_17partition_subalgoE9EllbEEZZNS1_14partition_implILS5_9ELb0ES3_jPlS8_PNS0_10empty_typeENS0_5tupleIJS8_S9_EEENSB_IJS8_SA_EEENS0_18inequality_wrapperIZN2at6native12_GLOBAL__N_124unique_dim_cuda_templateIaEESt5tupleIJNSF_6TensorESK_SK_EERKSK_lbbbEUlllE0_EEPmJS9_EEE10hipError_tPvRmT3_T4_T5_T6_T7_T9_mT8_P12ihipStream_tbDpT10_ENKUlT_T0_E_clISt17integral_constantIbLb1EES1A_EEDaS15_S16_EUlS15_E_NS1_11comp_targetILNS1_3genE8ELNS1_11target_archE1030ELNS1_3gpuE2ELNS1_3repE0EEENS1_30default_config_static_selectorELNS0_4arch9wavefront6targetE1EEEvT1_
                                        ; -- End function
	.set _ZN7rocprim17ROCPRIM_400000_NS6detail17trampoline_kernelINS0_14default_configENS1_25partition_config_selectorILNS1_17partition_subalgoE9EllbEEZZNS1_14partition_implILS5_9ELb0ES3_jPlS8_PNS0_10empty_typeENS0_5tupleIJS8_S9_EEENSB_IJS8_SA_EEENS0_18inequality_wrapperIZN2at6native12_GLOBAL__N_124unique_dim_cuda_templateIaEESt5tupleIJNSF_6TensorESK_SK_EERKSK_lbbbEUlllE0_EEPmJS9_EEE10hipError_tPvRmT3_T4_T5_T6_T7_T9_mT8_P12ihipStream_tbDpT10_ENKUlT_T0_E_clISt17integral_constantIbLb1EES1A_EEDaS15_S16_EUlS15_E_NS1_11comp_targetILNS1_3genE8ELNS1_11target_archE1030ELNS1_3gpuE2ELNS1_3repE0EEENS1_30default_config_static_selectorELNS0_4arch9wavefront6targetE1EEEvT1_.num_vgpr, 0
	.set _ZN7rocprim17ROCPRIM_400000_NS6detail17trampoline_kernelINS0_14default_configENS1_25partition_config_selectorILNS1_17partition_subalgoE9EllbEEZZNS1_14partition_implILS5_9ELb0ES3_jPlS8_PNS0_10empty_typeENS0_5tupleIJS8_S9_EEENSB_IJS8_SA_EEENS0_18inequality_wrapperIZN2at6native12_GLOBAL__N_124unique_dim_cuda_templateIaEESt5tupleIJNSF_6TensorESK_SK_EERKSK_lbbbEUlllE0_EEPmJS9_EEE10hipError_tPvRmT3_T4_T5_T6_T7_T9_mT8_P12ihipStream_tbDpT10_ENKUlT_T0_E_clISt17integral_constantIbLb1EES1A_EEDaS15_S16_EUlS15_E_NS1_11comp_targetILNS1_3genE8ELNS1_11target_archE1030ELNS1_3gpuE2ELNS1_3repE0EEENS1_30default_config_static_selectorELNS0_4arch9wavefront6targetE1EEEvT1_.num_agpr, 0
	.set _ZN7rocprim17ROCPRIM_400000_NS6detail17trampoline_kernelINS0_14default_configENS1_25partition_config_selectorILNS1_17partition_subalgoE9EllbEEZZNS1_14partition_implILS5_9ELb0ES3_jPlS8_PNS0_10empty_typeENS0_5tupleIJS8_S9_EEENSB_IJS8_SA_EEENS0_18inequality_wrapperIZN2at6native12_GLOBAL__N_124unique_dim_cuda_templateIaEESt5tupleIJNSF_6TensorESK_SK_EERKSK_lbbbEUlllE0_EEPmJS9_EEE10hipError_tPvRmT3_T4_T5_T6_T7_T9_mT8_P12ihipStream_tbDpT10_ENKUlT_T0_E_clISt17integral_constantIbLb1EES1A_EEDaS15_S16_EUlS15_E_NS1_11comp_targetILNS1_3genE8ELNS1_11target_archE1030ELNS1_3gpuE2ELNS1_3repE0EEENS1_30default_config_static_selectorELNS0_4arch9wavefront6targetE1EEEvT1_.numbered_sgpr, 0
	.set _ZN7rocprim17ROCPRIM_400000_NS6detail17trampoline_kernelINS0_14default_configENS1_25partition_config_selectorILNS1_17partition_subalgoE9EllbEEZZNS1_14partition_implILS5_9ELb0ES3_jPlS8_PNS0_10empty_typeENS0_5tupleIJS8_S9_EEENSB_IJS8_SA_EEENS0_18inequality_wrapperIZN2at6native12_GLOBAL__N_124unique_dim_cuda_templateIaEESt5tupleIJNSF_6TensorESK_SK_EERKSK_lbbbEUlllE0_EEPmJS9_EEE10hipError_tPvRmT3_T4_T5_T6_T7_T9_mT8_P12ihipStream_tbDpT10_ENKUlT_T0_E_clISt17integral_constantIbLb1EES1A_EEDaS15_S16_EUlS15_E_NS1_11comp_targetILNS1_3genE8ELNS1_11target_archE1030ELNS1_3gpuE2ELNS1_3repE0EEENS1_30default_config_static_selectorELNS0_4arch9wavefront6targetE1EEEvT1_.num_named_barrier, 0
	.set _ZN7rocprim17ROCPRIM_400000_NS6detail17trampoline_kernelINS0_14default_configENS1_25partition_config_selectorILNS1_17partition_subalgoE9EllbEEZZNS1_14partition_implILS5_9ELb0ES3_jPlS8_PNS0_10empty_typeENS0_5tupleIJS8_S9_EEENSB_IJS8_SA_EEENS0_18inequality_wrapperIZN2at6native12_GLOBAL__N_124unique_dim_cuda_templateIaEESt5tupleIJNSF_6TensorESK_SK_EERKSK_lbbbEUlllE0_EEPmJS9_EEE10hipError_tPvRmT3_T4_T5_T6_T7_T9_mT8_P12ihipStream_tbDpT10_ENKUlT_T0_E_clISt17integral_constantIbLb1EES1A_EEDaS15_S16_EUlS15_E_NS1_11comp_targetILNS1_3genE8ELNS1_11target_archE1030ELNS1_3gpuE2ELNS1_3repE0EEENS1_30default_config_static_selectorELNS0_4arch9wavefront6targetE1EEEvT1_.private_seg_size, 0
	.set _ZN7rocprim17ROCPRIM_400000_NS6detail17trampoline_kernelINS0_14default_configENS1_25partition_config_selectorILNS1_17partition_subalgoE9EllbEEZZNS1_14partition_implILS5_9ELb0ES3_jPlS8_PNS0_10empty_typeENS0_5tupleIJS8_S9_EEENSB_IJS8_SA_EEENS0_18inequality_wrapperIZN2at6native12_GLOBAL__N_124unique_dim_cuda_templateIaEESt5tupleIJNSF_6TensorESK_SK_EERKSK_lbbbEUlllE0_EEPmJS9_EEE10hipError_tPvRmT3_T4_T5_T6_T7_T9_mT8_P12ihipStream_tbDpT10_ENKUlT_T0_E_clISt17integral_constantIbLb1EES1A_EEDaS15_S16_EUlS15_E_NS1_11comp_targetILNS1_3genE8ELNS1_11target_archE1030ELNS1_3gpuE2ELNS1_3repE0EEENS1_30default_config_static_selectorELNS0_4arch9wavefront6targetE1EEEvT1_.uses_vcc, 0
	.set _ZN7rocprim17ROCPRIM_400000_NS6detail17trampoline_kernelINS0_14default_configENS1_25partition_config_selectorILNS1_17partition_subalgoE9EllbEEZZNS1_14partition_implILS5_9ELb0ES3_jPlS8_PNS0_10empty_typeENS0_5tupleIJS8_S9_EEENSB_IJS8_SA_EEENS0_18inequality_wrapperIZN2at6native12_GLOBAL__N_124unique_dim_cuda_templateIaEESt5tupleIJNSF_6TensorESK_SK_EERKSK_lbbbEUlllE0_EEPmJS9_EEE10hipError_tPvRmT3_T4_T5_T6_T7_T9_mT8_P12ihipStream_tbDpT10_ENKUlT_T0_E_clISt17integral_constantIbLb1EES1A_EEDaS15_S16_EUlS15_E_NS1_11comp_targetILNS1_3genE8ELNS1_11target_archE1030ELNS1_3gpuE2ELNS1_3repE0EEENS1_30default_config_static_selectorELNS0_4arch9wavefront6targetE1EEEvT1_.uses_flat_scratch, 0
	.set _ZN7rocprim17ROCPRIM_400000_NS6detail17trampoline_kernelINS0_14default_configENS1_25partition_config_selectorILNS1_17partition_subalgoE9EllbEEZZNS1_14partition_implILS5_9ELb0ES3_jPlS8_PNS0_10empty_typeENS0_5tupleIJS8_S9_EEENSB_IJS8_SA_EEENS0_18inequality_wrapperIZN2at6native12_GLOBAL__N_124unique_dim_cuda_templateIaEESt5tupleIJNSF_6TensorESK_SK_EERKSK_lbbbEUlllE0_EEPmJS9_EEE10hipError_tPvRmT3_T4_T5_T6_T7_T9_mT8_P12ihipStream_tbDpT10_ENKUlT_T0_E_clISt17integral_constantIbLb1EES1A_EEDaS15_S16_EUlS15_E_NS1_11comp_targetILNS1_3genE8ELNS1_11target_archE1030ELNS1_3gpuE2ELNS1_3repE0EEENS1_30default_config_static_selectorELNS0_4arch9wavefront6targetE1EEEvT1_.has_dyn_sized_stack, 0
	.set _ZN7rocprim17ROCPRIM_400000_NS6detail17trampoline_kernelINS0_14default_configENS1_25partition_config_selectorILNS1_17partition_subalgoE9EllbEEZZNS1_14partition_implILS5_9ELb0ES3_jPlS8_PNS0_10empty_typeENS0_5tupleIJS8_S9_EEENSB_IJS8_SA_EEENS0_18inequality_wrapperIZN2at6native12_GLOBAL__N_124unique_dim_cuda_templateIaEESt5tupleIJNSF_6TensorESK_SK_EERKSK_lbbbEUlllE0_EEPmJS9_EEE10hipError_tPvRmT3_T4_T5_T6_T7_T9_mT8_P12ihipStream_tbDpT10_ENKUlT_T0_E_clISt17integral_constantIbLb1EES1A_EEDaS15_S16_EUlS15_E_NS1_11comp_targetILNS1_3genE8ELNS1_11target_archE1030ELNS1_3gpuE2ELNS1_3repE0EEENS1_30default_config_static_selectorELNS0_4arch9wavefront6targetE1EEEvT1_.has_recursion, 0
	.set _ZN7rocprim17ROCPRIM_400000_NS6detail17trampoline_kernelINS0_14default_configENS1_25partition_config_selectorILNS1_17partition_subalgoE9EllbEEZZNS1_14partition_implILS5_9ELb0ES3_jPlS8_PNS0_10empty_typeENS0_5tupleIJS8_S9_EEENSB_IJS8_SA_EEENS0_18inequality_wrapperIZN2at6native12_GLOBAL__N_124unique_dim_cuda_templateIaEESt5tupleIJNSF_6TensorESK_SK_EERKSK_lbbbEUlllE0_EEPmJS9_EEE10hipError_tPvRmT3_T4_T5_T6_T7_T9_mT8_P12ihipStream_tbDpT10_ENKUlT_T0_E_clISt17integral_constantIbLb1EES1A_EEDaS15_S16_EUlS15_E_NS1_11comp_targetILNS1_3genE8ELNS1_11target_archE1030ELNS1_3gpuE2ELNS1_3repE0EEENS1_30default_config_static_selectorELNS0_4arch9wavefront6targetE1EEEvT1_.has_indirect_call, 0
	.section	.AMDGPU.csdata,"",@progbits
; Kernel info:
; codeLenInByte = 0
; TotalNumSgprs: 6
; NumVgprs: 0
; NumAgprs: 0
; TotalNumVgprs: 0
; ScratchSize: 0
; MemoryBound: 0
; FloatMode: 240
; IeeeMode: 1
; LDSByteSize: 0 bytes/workgroup (compile time only)
; SGPRBlocks: 0
; VGPRBlocks: 0
; NumSGPRsForWavesPerEU: 6
; NumVGPRsForWavesPerEU: 1
; AccumOffset: 4
; Occupancy: 8
; WaveLimiterHint : 0
; COMPUTE_PGM_RSRC2:SCRATCH_EN: 0
; COMPUTE_PGM_RSRC2:USER_SGPR: 2
; COMPUTE_PGM_RSRC2:TRAP_HANDLER: 0
; COMPUTE_PGM_RSRC2:TGID_X_EN: 1
; COMPUTE_PGM_RSRC2:TGID_Y_EN: 0
; COMPUTE_PGM_RSRC2:TGID_Z_EN: 0
; COMPUTE_PGM_RSRC2:TIDIG_COMP_CNT: 0
; COMPUTE_PGM_RSRC3_GFX90A:ACCUM_OFFSET: 0
; COMPUTE_PGM_RSRC3_GFX90A:TG_SPLIT: 0
	.section	.text._ZN7rocprim17ROCPRIM_400000_NS6detail17trampoline_kernelINS0_14default_configENS1_25partition_config_selectorILNS1_17partition_subalgoE9EllbEEZZNS1_14partition_implILS5_9ELb0ES3_jPlS8_PNS0_10empty_typeENS0_5tupleIJS8_S9_EEENSB_IJS8_SA_EEENS0_18inequality_wrapperIZN2at6native12_GLOBAL__N_124unique_dim_cuda_templateIaEESt5tupleIJNSF_6TensorESK_SK_EERKSK_lbbbEUlllE0_EEPmJS9_EEE10hipError_tPvRmT3_T4_T5_T6_T7_T9_mT8_P12ihipStream_tbDpT10_ENKUlT_T0_E_clISt17integral_constantIbLb1EES19_IbLb0EEEEDaS15_S16_EUlS15_E_NS1_11comp_targetILNS1_3genE0ELNS1_11target_archE4294967295ELNS1_3gpuE0ELNS1_3repE0EEENS1_30default_config_static_selectorELNS0_4arch9wavefront6targetE1EEEvT1_,"axG",@progbits,_ZN7rocprim17ROCPRIM_400000_NS6detail17trampoline_kernelINS0_14default_configENS1_25partition_config_selectorILNS1_17partition_subalgoE9EllbEEZZNS1_14partition_implILS5_9ELb0ES3_jPlS8_PNS0_10empty_typeENS0_5tupleIJS8_S9_EEENSB_IJS8_SA_EEENS0_18inequality_wrapperIZN2at6native12_GLOBAL__N_124unique_dim_cuda_templateIaEESt5tupleIJNSF_6TensorESK_SK_EERKSK_lbbbEUlllE0_EEPmJS9_EEE10hipError_tPvRmT3_T4_T5_T6_T7_T9_mT8_P12ihipStream_tbDpT10_ENKUlT_T0_E_clISt17integral_constantIbLb1EES19_IbLb0EEEEDaS15_S16_EUlS15_E_NS1_11comp_targetILNS1_3genE0ELNS1_11target_archE4294967295ELNS1_3gpuE0ELNS1_3repE0EEENS1_30default_config_static_selectorELNS0_4arch9wavefront6targetE1EEEvT1_,comdat
	.globl	_ZN7rocprim17ROCPRIM_400000_NS6detail17trampoline_kernelINS0_14default_configENS1_25partition_config_selectorILNS1_17partition_subalgoE9EllbEEZZNS1_14partition_implILS5_9ELb0ES3_jPlS8_PNS0_10empty_typeENS0_5tupleIJS8_S9_EEENSB_IJS8_SA_EEENS0_18inequality_wrapperIZN2at6native12_GLOBAL__N_124unique_dim_cuda_templateIaEESt5tupleIJNSF_6TensorESK_SK_EERKSK_lbbbEUlllE0_EEPmJS9_EEE10hipError_tPvRmT3_T4_T5_T6_T7_T9_mT8_P12ihipStream_tbDpT10_ENKUlT_T0_E_clISt17integral_constantIbLb1EES19_IbLb0EEEEDaS15_S16_EUlS15_E_NS1_11comp_targetILNS1_3genE0ELNS1_11target_archE4294967295ELNS1_3gpuE0ELNS1_3repE0EEENS1_30default_config_static_selectorELNS0_4arch9wavefront6targetE1EEEvT1_ ; -- Begin function _ZN7rocprim17ROCPRIM_400000_NS6detail17trampoline_kernelINS0_14default_configENS1_25partition_config_selectorILNS1_17partition_subalgoE9EllbEEZZNS1_14partition_implILS5_9ELb0ES3_jPlS8_PNS0_10empty_typeENS0_5tupleIJS8_S9_EEENSB_IJS8_SA_EEENS0_18inequality_wrapperIZN2at6native12_GLOBAL__N_124unique_dim_cuda_templateIaEESt5tupleIJNSF_6TensorESK_SK_EERKSK_lbbbEUlllE0_EEPmJS9_EEE10hipError_tPvRmT3_T4_T5_T6_T7_T9_mT8_P12ihipStream_tbDpT10_ENKUlT_T0_E_clISt17integral_constantIbLb1EES19_IbLb0EEEEDaS15_S16_EUlS15_E_NS1_11comp_targetILNS1_3genE0ELNS1_11target_archE4294967295ELNS1_3gpuE0ELNS1_3repE0EEENS1_30default_config_static_selectorELNS0_4arch9wavefront6targetE1EEEvT1_
	.p2align	8
	.type	_ZN7rocprim17ROCPRIM_400000_NS6detail17trampoline_kernelINS0_14default_configENS1_25partition_config_selectorILNS1_17partition_subalgoE9EllbEEZZNS1_14partition_implILS5_9ELb0ES3_jPlS8_PNS0_10empty_typeENS0_5tupleIJS8_S9_EEENSB_IJS8_SA_EEENS0_18inequality_wrapperIZN2at6native12_GLOBAL__N_124unique_dim_cuda_templateIaEESt5tupleIJNSF_6TensorESK_SK_EERKSK_lbbbEUlllE0_EEPmJS9_EEE10hipError_tPvRmT3_T4_T5_T6_T7_T9_mT8_P12ihipStream_tbDpT10_ENKUlT_T0_E_clISt17integral_constantIbLb1EES19_IbLb0EEEEDaS15_S16_EUlS15_E_NS1_11comp_targetILNS1_3genE0ELNS1_11target_archE4294967295ELNS1_3gpuE0ELNS1_3repE0EEENS1_30default_config_static_selectorELNS0_4arch9wavefront6targetE1EEEvT1_,@function
_ZN7rocprim17ROCPRIM_400000_NS6detail17trampoline_kernelINS0_14default_configENS1_25partition_config_selectorILNS1_17partition_subalgoE9EllbEEZZNS1_14partition_implILS5_9ELb0ES3_jPlS8_PNS0_10empty_typeENS0_5tupleIJS8_S9_EEENSB_IJS8_SA_EEENS0_18inequality_wrapperIZN2at6native12_GLOBAL__N_124unique_dim_cuda_templateIaEESt5tupleIJNSF_6TensorESK_SK_EERKSK_lbbbEUlllE0_EEPmJS9_EEE10hipError_tPvRmT3_T4_T5_T6_T7_T9_mT8_P12ihipStream_tbDpT10_ENKUlT_T0_E_clISt17integral_constantIbLb1EES19_IbLb0EEEEDaS15_S16_EUlS15_E_NS1_11comp_targetILNS1_3genE0ELNS1_11target_archE4294967295ELNS1_3gpuE0ELNS1_3repE0EEENS1_30default_config_static_selectorELNS0_4arch9wavefront6targetE1EEEvT1_: ; @_ZN7rocprim17ROCPRIM_400000_NS6detail17trampoline_kernelINS0_14default_configENS1_25partition_config_selectorILNS1_17partition_subalgoE9EllbEEZZNS1_14partition_implILS5_9ELb0ES3_jPlS8_PNS0_10empty_typeENS0_5tupleIJS8_S9_EEENSB_IJS8_SA_EEENS0_18inequality_wrapperIZN2at6native12_GLOBAL__N_124unique_dim_cuda_templateIaEESt5tupleIJNSF_6TensorESK_SK_EERKSK_lbbbEUlllE0_EEPmJS9_EEE10hipError_tPvRmT3_T4_T5_T6_T7_T9_mT8_P12ihipStream_tbDpT10_ENKUlT_T0_E_clISt17integral_constantIbLb1EES19_IbLb0EEEEDaS15_S16_EUlS15_E_NS1_11comp_targetILNS1_3genE0ELNS1_11target_archE4294967295ELNS1_3gpuE0ELNS1_3repE0EEENS1_30default_config_static_selectorELNS0_4arch9wavefront6targetE1EEEvT1_
; %bb.0:
	s_endpgm
	.section	.rodata,"a",@progbits
	.p2align	6, 0x0
	.amdhsa_kernel _ZN7rocprim17ROCPRIM_400000_NS6detail17trampoline_kernelINS0_14default_configENS1_25partition_config_selectorILNS1_17partition_subalgoE9EllbEEZZNS1_14partition_implILS5_9ELb0ES3_jPlS8_PNS0_10empty_typeENS0_5tupleIJS8_S9_EEENSB_IJS8_SA_EEENS0_18inequality_wrapperIZN2at6native12_GLOBAL__N_124unique_dim_cuda_templateIaEESt5tupleIJNSF_6TensorESK_SK_EERKSK_lbbbEUlllE0_EEPmJS9_EEE10hipError_tPvRmT3_T4_T5_T6_T7_T9_mT8_P12ihipStream_tbDpT10_ENKUlT_T0_E_clISt17integral_constantIbLb1EES19_IbLb0EEEEDaS15_S16_EUlS15_E_NS1_11comp_targetILNS1_3genE0ELNS1_11target_archE4294967295ELNS1_3gpuE0ELNS1_3repE0EEENS1_30default_config_static_selectorELNS0_4arch9wavefront6targetE1EEEvT1_
		.amdhsa_group_segment_fixed_size 0
		.amdhsa_private_segment_fixed_size 0
		.amdhsa_kernarg_size 120
		.amdhsa_user_sgpr_count 2
		.amdhsa_user_sgpr_dispatch_ptr 0
		.amdhsa_user_sgpr_queue_ptr 0
		.amdhsa_user_sgpr_kernarg_segment_ptr 1
		.amdhsa_user_sgpr_dispatch_id 0
		.amdhsa_user_sgpr_kernarg_preload_length 0
		.amdhsa_user_sgpr_kernarg_preload_offset 0
		.amdhsa_user_sgpr_private_segment_size 0
		.amdhsa_uses_dynamic_stack 0
		.amdhsa_enable_private_segment 0
		.amdhsa_system_sgpr_workgroup_id_x 1
		.amdhsa_system_sgpr_workgroup_id_y 0
		.amdhsa_system_sgpr_workgroup_id_z 0
		.amdhsa_system_sgpr_workgroup_info 0
		.amdhsa_system_vgpr_workitem_id 0
		.amdhsa_next_free_vgpr 1
		.amdhsa_next_free_sgpr 0
		.amdhsa_accum_offset 4
		.amdhsa_reserve_vcc 0
		.amdhsa_float_round_mode_32 0
		.amdhsa_float_round_mode_16_64 0
		.amdhsa_float_denorm_mode_32 3
		.amdhsa_float_denorm_mode_16_64 3
		.amdhsa_dx10_clamp 1
		.amdhsa_ieee_mode 1
		.amdhsa_fp16_overflow 0
		.amdhsa_tg_split 0
		.amdhsa_exception_fp_ieee_invalid_op 0
		.amdhsa_exception_fp_denorm_src 0
		.amdhsa_exception_fp_ieee_div_zero 0
		.amdhsa_exception_fp_ieee_overflow 0
		.amdhsa_exception_fp_ieee_underflow 0
		.amdhsa_exception_fp_ieee_inexact 0
		.amdhsa_exception_int_div_zero 0
	.end_amdhsa_kernel
	.section	.text._ZN7rocprim17ROCPRIM_400000_NS6detail17trampoline_kernelINS0_14default_configENS1_25partition_config_selectorILNS1_17partition_subalgoE9EllbEEZZNS1_14partition_implILS5_9ELb0ES3_jPlS8_PNS0_10empty_typeENS0_5tupleIJS8_S9_EEENSB_IJS8_SA_EEENS0_18inequality_wrapperIZN2at6native12_GLOBAL__N_124unique_dim_cuda_templateIaEESt5tupleIJNSF_6TensorESK_SK_EERKSK_lbbbEUlllE0_EEPmJS9_EEE10hipError_tPvRmT3_T4_T5_T6_T7_T9_mT8_P12ihipStream_tbDpT10_ENKUlT_T0_E_clISt17integral_constantIbLb1EES19_IbLb0EEEEDaS15_S16_EUlS15_E_NS1_11comp_targetILNS1_3genE0ELNS1_11target_archE4294967295ELNS1_3gpuE0ELNS1_3repE0EEENS1_30default_config_static_selectorELNS0_4arch9wavefront6targetE1EEEvT1_,"axG",@progbits,_ZN7rocprim17ROCPRIM_400000_NS6detail17trampoline_kernelINS0_14default_configENS1_25partition_config_selectorILNS1_17partition_subalgoE9EllbEEZZNS1_14partition_implILS5_9ELb0ES3_jPlS8_PNS0_10empty_typeENS0_5tupleIJS8_S9_EEENSB_IJS8_SA_EEENS0_18inequality_wrapperIZN2at6native12_GLOBAL__N_124unique_dim_cuda_templateIaEESt5tupleIJNSF_6TensorESK_SK_EERKSK_lbbbEUlllE0_EEPmJS9_EEE10hipError_tPvRmT3_T4_T5_T6_T7_T9_mT8_P12ihipStream_tbDpT10_ENKUlT_T0_E_clISt17integral_constantIbLb1EES19_IbLb0EEEEDaS15_S16_EUlS15_E_NS1_11comp_targetILNS1_3genE0ELNS1_11target_archE4294967295ELNS1_3gpuE0ELNS1_3repE0EEENS1_30default_config_static_selectorELNS0_4arch9wavefront6targetE1EEEvT1_,comdat
.Lfunc_end367:
	.size	_ZN7rocprim17ROCPRIM_400000_NS6detail17trampoline_kernelINS0_14default_configENS1_25partition_config_selectorILNS1_17partition_subalgoE9EllbEEZZNS1_14partition_implILS5_9ELb0ES3_jPlS8_PNS0_10empty_typeENS0_5tupleIJS8_S9_EEENSB_IJS8_SA_EEENS0_18inequality_wrapperIZN2at6native12_GLOBAL__N_124unique_dim_cuda_templateIaEESt5tupleIJNSF_6TensorESK_SK_EERKSK_lbbbEUlllE0_EEPmJS9_EEE10hipError_tPvRmT3_T4_T5_T6_T7_T9_mT8_P12ihipStream_tbDpT10_ENKUlT_T0_E_clISt17integral_constantIbLb1EES19_IbLb0EEEEDaS15_S16_EUlS15_E_NS1_11comp_targetILNS1_3genE0ELNS1_11target_archE4294967295ELNS1_3gpuE0ELNS1_3repE0EEENS1_30default_config_static_selectorELNS0_4arch9wavefront6targetE1EEEvT1_, .Lfunc_end367-_ZN7rocprim17ROCPRIM_400000_NS6detail17trampoline_kernelINS0_14default_configENS1_25partition_config_selectorILNS1_17partition_subalgoE9EllbEEZZNS1_14partition_implILS5_9ELb0ES3_jPlS8_PNS0_10empty_typeENS0_5tupleIJS8_S9_EEENSB_IJS8_SA_EEENS0_18inequality_wrapperIZN2at6native12_GLOBAL__N_124unique_dim_cuda_templateIaEESt5tupleIJNSF_6TensorESK_SK_EERKSK_lbbbEUlllE0_EEPmJS9_EEE10hipError_tPvRmT3_T4_T5_T6_T7_T9_mT8_P12ihipStream_tbDpT10_ENKUlT_T0_E_clISt17integral_constantIbLb1EES19_IbLb0EEEEDaS15_S16_EUlS15_E_NS1_11comp_targetILNS1_3genE0ELNS1_11target_archE4294967295ELNS1_3gpuE0ELNS1_3repE0EEENS1_30default_config_static_selectorELNS0_4arch9wavefront6targetE1EEEvT1_
                                        ; -- End function
	.set _ZN7rocprim17ROCPRIM_400000_NS6detail17trampoline_kernelINS0_14default_configENS1_25partition_config_selectorILNS1_17partition_subalgoE9EllbEEZZNS1_14partition_implILS5_9ELb0ES3_jPlS8_PNS0_10empty_typeENS0_5tupleIJS8_S9_EEENSB_IJS8_SA_EEENS0_18inequality_wrapperIZN2at6native12_GLOBAL__N_124unique_dim_cuda_templateIaEESt5tupleIJNSF_6TensorESK_SK_EERKSK_lbbbEUlllE0_EEPmJS9_EEE10hipError_tPvRmT3_T4_T5_T6_T7_T9_mT8_P12ihipStream_tbDpT10_ENKUlT_T0_E_clISt17integral_constantIbLb1EES19_IbLb0EEEEDaS15_S16_EUlS15_E_NS1_11comp_targetILNS1_3genE0ELNS1_11target_archE4294967295ELNS1_3gpuE0ELNS1_3repE0EEENS1_30default_config_static_selectorELNS0_4arch9wavefront6targetE1EEEvT1_.num_vgpr, 0
	.set _ZN7rocprim17ROCPRIM_400000_NS6detail17trampoline_kernelINS0_14default_configENS1_25partition_config_selectorILNS1_17partition_subalgoE9EllbEEZZNS1_14partition_implILS5_9ELb0ES3_jPlS8_PNS0_10empty_typeENS0_5tupleIJS8_S9_EEENSB_IJS8_SA_EEENS0_18inequality_wrapperIZN2at6native12_GLOBAL__N_124unique_dim_cuda_templateIaEESt5tupleIJNSF_6TensorESK_SK_EERKSK_lbbbEUlllE0_EEPmJS9_EEE10hipError_tPvRmT3_T4_T5_T6_T7_T9_mT8_P12ihipStream_tbDpT10_ENKUlT_T0_E_clISt17integral_constantIbLb1EES19_IbLb0EEEEDaS15_S16_EUlS15_E_NS1_11comp_targetILNS1_3genE0ELNS1_11target_archE4294967295ELNS1_3gpuE0ELNS1_3repE0EEENS1_30default_config_static_selectorELNS0_4arch9wavefront6targetE1EEEvT1_.num_agpr, 0
	.set _ZN7rocprim17ROCPRIM_400000_NS6detail17trampoline_kernelINS0_14default_configENS1_25partition_config_selectorILNS1_17partition_subalgoE9EllbEEZZNS1_14partition_implILS5_9ELb0ES3_jPlS8_PNS0_10empty_typeENS0_5tupleIJS8_S9_EEENSB_IJS8_SA_EEENS0_18inequality_wrapperIZN2at6native12_GLOBAL__N_124unique_dim_cuda_templateIaEESt5tupleIJNSF_6TensorESK_SK_EERKSK_lbbbEUlllE0_EEPmJS9_EEE10hipError_tPvRmT3_T4_T5_T6_T7_T9_mT8_P12ihipStream_tbDpT10_ENKUlT_T0_E_clISt17integral_constantIbLb1EES19_IbLb0EEEEDaS15_S16_EUlS15_E_NS1_11comp_targetILNS1_3genE0ELNS1_11target_archE4294967295ELNS1_3gpuE0ELNS1_3repE0EEENS1_30default_config_static_selectorELNS0_4arch9wavefront6targetE1EEEvT1_.numbered_sgpr, 0
	.set _ZN7rocprim17ROCPRIM_400000_NS6detail17trampoline_kernelINS0_14default_configENS1_25partition_config_selectorILNS1_17partition_subalgoE9EllbEEZZNS1_14partition_implILS5_9ELb0ES3_jPlS8_PNS0_10empty_typeENS0_5tupleIJS8_S9_EEENSB_IJS8_SA_EEENS0_18inequality_wrapperIZN2at6native12_GLOBAL__N_124unique_dim_cuda_templateIaEESt5tupleIJNSF_6TensorESK_SK_EERKSK_lbbbEUlllE0_EEPmJS9_EEE10hipError_tPvRmT3_T4_T5_T6_T7_T9_mT8_P12ihipStream_tbDpT10_ENKUlT_T0_E_clISt17integral_constantIbLb1EES19_IbLb0EEEEDaS15_S16_EUlS15_E_NS1_11comp_targetILNS1_3genE0ELNS1_11target_archE4294967295ELNS1_3gpuE0ELNS1_3repE0EEENS1_30default_config_static_selectorELNS0_4arch9wavefront6targetE1EEEvT1_.num_named_barrier, 0
	.set _ZN7rocprim17ROCPRIM_400000_NS6detail17trampoline_kernelINS0_14default_configENS1_25partition_config_selectorILNS1_17partition_subalgoE9EllbEEZZNS1_14partition_implILS5_9ELb0ES3_jPlS8_PNS0_10empty_typeENS0_5tupleIJS8_S9_EEENSB_IJS8_SA_EEENS0_18inequality_wrapperIZN2at6native12_GLOBAL__N_124unique_dim_cuda_templateIaEESt5tupleIJNSF_6TensorESK_SK_EERKSK_lbbbEUlllE0_EEPmJS9_EEE10hipError_tPvRmT3_T4_T5_T6_T7_T9_mT8_P12ihipStream_tbDpT10_ENKUlT_T0_E_clISt17integral_constantIbLb1EES19_IbLb0EEEEDaS15_S16_EUlS15_E_NS1_11comp_targetILNS1_3genE0ELNS1_11target_archE4294967295ELNS1_3gpuE0ELNS1_3repE0EEENS1_30default_config_static_selectorELNS0_4arch9wavefront6targetE1EEEvT1_.private_seg_size, 0
	.set _ZN7rocprim17ROCPRIM_400000_NS6detail17trampoline_kernelINS0_14default_configENS1_25partition_config_selectorILNS1_17partition_subalgoE9EllbEEZZNS1_14partition_implILS5_9ELb0ES3_jPlS8_PNS0_10empty_typeENS0_5tupleIJS8_S9_EEENSB_IJS8_SA_EEENS0_18inequality_wrapperIZN2at6native12_GLOBAL__N_124unique_dim_cuda_templateIaEESt5tupleIJNSF_6TensorESK_SK_EERKSK_lbbbEUlllE0_EEPmJS9_EEE10hipError_tPvRmT3_T4_T5_T6_T7_T9_mT8_P12ihipStream_tbDpT10_ENKUlT_T0_E_clISt17integral_constantIbLb1EES19_IbLb0EEEEDaS15_S16_EUlS15_E_NS1_11comp_targetILNS1_3genE0ELNS1_11target_archE4294967295ELNS1_3gpuE0ELNS1_3repE0EEENS1_30default_config_static_selectorELNS0_4arch9wavefront6targetE1EEEvT1_.uses_vcc, 0
	.set _ZN7rocprim17ROCPRIM_400000_NS6detail17trampoline_kernelINS0_14default_configENS1_25partition_config_selectorILNS1_17partition_subalgoE9EllbEEZZNS1_14partition_implILS5_9ELb0ES3_jPlS8_PNS0_10empty_typeENS0_5tupleIJS8_S9_EEENSB_IJS8_SA_EEENS0_18inequality_wrapperIZN2at6native12_GLOBAL__N_124unique_dim_cuda_templateIaEESt5tupleIJNSF_6TensorESK_SK_EERKSK_lbbbEUlllE0_EEPmJS9_EEE10hipError_tPvRmT3_T4_T5_T6_T7_T9_mT8_P12ihipStream_tbDpT10_ENKUlT_T0_E_clISt17integral_constantIbLb1EES19_IbLb0EEEEDaS15_S16_EUlS15_E_NS1_11comp_targetILNS1_3genE0ELNS1_11target_archE4294967295ELNS1_3gpuE0ELNS1_3repE0EEENS1_30default_config_static_selectorELNS0_4arch9wavefront6targetE1EEEvT1_.uses_flat_scratch, 0
	.set _ZN7rocprim17ROCPRIM_400000_NS6detail17trampoline_kernelINS0_14default_configENS1_25partition_config_selectorILNS1_17partition_subalgoE9EllbEEZZNS1_14partition_implILS5_9ELb0ES3_jPlS8_PNS0_10empty_typeENS0_5tupleIJS8_S9_EEENSB_IJS8_SA_EEENS0_18inequality_wrapperIZN2at6native12_GLOBAL__N_124unique_dim_cuda_templateIaEESt5tupleIJNSF_6TensorESK_SK_EERKSK_lbbbEUlllE0_EEPmJS9_EEE10hipError_tPvRmT3_T4_T5_T6_T7_T9_mT8_P12ihipStream_tbDpT10_ENKUlT_T0_E_clISt17integral_constantIbLb1EES19_IbLb0EEEEDaS15_S16_EUlS15_E_NS1_11comp_targetILNS1_3genE0ELNS1_11target_archE4294967295ELNS1_3gpuE0ELNS1_3repE0EEENS1_30default_config_static_selectorELNS0_4arch9wavefront6targetE1EEEvT1_.has_dyn_sized_stack, 0
	.set _ZN7rocprim17ROCPRIM_400000_NS6detail17trampoline_kernelINS0_14default_configENS1_25partition_config_selectorILNS1_17partition_subalgoE9EllbEEZZNS1_14partition_implILS5_9ELb0ES3_jPlS8_PNS0_10empty_typeENS0_5tupleIJS8_S9_EEENSB_IJS8_SA_EEENS0_18inequality_wrapperIZN2at6native12_GLOBAL__N_124unique_dim_cuda_templateIaEESt5tupleIJNSF_6TensorESK_SK_EERKSK_lbbbEUlllE0_EEPmJS9_EEE10hipError_tPvRmT3_T4_T5_T6_T7_T9_mT8_P12ihipStream_tbDpT10_ENKUlT_T0_E_clISt17integral_constantIbLb1EES19_IbLb0EEEEDaS15_S16_EUlS15_E_NS1_11comp_targetILNS1_3genE0ELNS1_11target_archE4294967295ELNS1_3gpuE0ELNS1_3repE0EEENS1_30default_config_static_selectorELNS0_4arch9wavefront6targetE1EEEvT1_.has_recursion, 0
	.set _ZN7rocprim17ROCPRIM_400000_NS6detail17trampoline_kernelINS0_14default_configENS1_25partition_config_selectorILNS1_17partition_subalgoE9EllbEEZZNS1_14partition_implILS5_9ELb0ES3_jPlS8_PNS0_10empty_typeENS0_5tupleIJS8_S9_EEENSB_IJS8_SA_EEENS0_18inequality_wrapperIZN2at6native12_GLOBAL__N_124unique_dim_cuda_templateIaEESt5tupleIJNSF_6TensorESK_SK_EERKSK_lbbbEUlllE0_EEPmJS9_EEE10hipError_tPvRmT3_T4_T5_T6_T7_T9_mT8_P12ihipStream_tbDpT10_ENKUlT_T0_E_clISt17integral_constantIbLb1EES19_IbLb0EEEEDaS15_S16_EUlS15_E_NS1_11comp_targetILNS1_3genE0ELNS1_11target_archE4294967295ELNS1_3gpuE0ELNS1_3repE0EEENS1_30default_config_static_selectorELNS0_4arch9wavefront6targetE1EEEvT1_.has_indirect_call, 0
	.section	.AMDGPU.csdata,"",@progbits
; Kernel info:
; codeLenInByte = 4
; TotalNumSgprs: 6
; NumVgprs: 0
; NumAgprs: 0
; TotalNumVgprs: 0
; ScratchSize: 0
; MemoryBound: 0
; FloatMode: 240
; IeeeMode: 1
; LDSByteSize: 0 bytes/workgroup (compile time only)
; SGPRBlocks: 0
; VGPRBlocks: 0
; NumSGPRsForWavesPerEU: 6
; NumVGPRsForWavesPerEU: 1
; AccumOffset: 4
; Occupancy: 8
; WaveLimiterHint : 0
; COMPUTE_PGM_RSRC2:SCRATCH_EN: 0
; COMPUTE_PGM_RSRC2:USER_SGPR: 2
; COMPUTE_PGM_RSRC2:TRAP_HANDLER: 0
; COMPUTE_PGM_RSRC2:TGID_X_EN: 1
; COMPUTE_PGM_RSRC2:TGID_Y_EN: 0
; COMPUTE_PGM_RSRC2:TGID_Z_EN: 0
; COMPUTE_PGM_RSRC2:TIDIG_COMP_CNT: 0
; COMPUTE_PGM_RSRC3_GFX90A:ACCUM_OFFSET: 0
; COMPUTE_PGM_RSRC3_GFX90A:TG_SPLIT: 0
	.section	.text._ZN7rocprim17ROCPRIM_400000_NS6detail17trampoline_kernelINS0_14default_configENS1_25partition_config_selectorILNS1_17partition_subalgoE9EllbEEZZNS1_14partition_implILS5_9ELb0ES3_jPlS8_PNS0_10empty_typeENS0_5tupleIJS8_S9_EEENSB_IJS8_SA_EEENS0_18inequality_wrapperIZN2at6native12_GLOBAL__N_124unique_dim_cuda_templateIaEESt5tupleIJNSF_6TensorESK_SK_EERKSK_lbbbEUlllE0_EEPmJS9_EEE10hipError_tPvRmT3_T4_T5_T6_T7_T9_mT8_P12ihipStream_tbDpT10_ENKUlT_T0_E_clISt17integral_constantIbLb1EES19_IbLb0EEEEDaS15_S16_EUlS15_E_NS1_11comp_targetILNS1_3genE5ELNS1_11target_archE942ELNS1_3gpuE9ELNS1_3repE0EEENS1_30default_config_static_selectorELNS0_4arch9wavefront6targetE1EEEvT1_,"axG",@progbits,_ZN7rocprim17ROCPRIM_400000_NS6detail17trampoline_kernelINS0_14default_configENS1_25partition_config_selectorILNS1_17partition_subalgoE9EllbEEZZNS1_14partition_implILS5_9ELb0ES3_jPlS8_PNS0_10empty_typeENS0_5tupleIJS8_S9_EEENSB_IJS8_SA_EEENS0_18inequality_wrapperIZN2at6native12_GLOBAL__N_124unique_dim_cuda_templateIaEESt5tupleIJNSF_6TensorESK_SK_EERKSK_lbbbEUlllE0_EEPmJS9_EEE10hipError_tPvRmT3_T4_T5_T6_T7_T9_mT8_P12ihipStream_tbDpT10_ENKUlT_T0_E_clISt17integral_constantIbLb1EES19_IbLb0EEEEDaS15_S16_EUlS15_E_NS1_11comp_targetILNS1_3genE5ELNS1_11target_archE942ELNS1_3gpuE9ELNS1_3repE0EEENS1_30default_config_static_selectorELNS0_4arch9wavefront6targetE1EEEvT1_,comdat
	.globl	_ZN7rocprim17ROCPRIM_400000_NS6detail17trampoline_kernelINS0_14default_configENS1_25partition_config_selectorILNS1_17partition_subalgoE9EllbEEZZNS1_14partition_implILS5_9ELb0ES3_jPlS8_PNS0_10empty_typeENS0_5tupleIJS8_S9_EEENSB_IJS8_SA_EEENS0_18inequality_wrapperIZN2at6native12_GLOBAL__N_124unique_dim_cuda_templateIaEESt5tupleIJNSF_6TensorESK_SK_EERKSK_lbbbEUlllE0_EEPmJS9_EEE10hipError_tPvRmT3_T4_T5_T6_T7_T9_mT8_P12ihipStream_tbDpT10_ENKUlT_T0_E_clISt17integral_constantIbLb1EES19_IbLb0EEEEDaS15_S16_EUlS15_E_NS1_11comp_targetILNS1_3genE5ELNS1_11target_archE942ELNS1_3gpuE9ELNS1_3repE0EEENS1_30default_config_static_selectorELNS0_4arch9wavefront6targetE1EEEvT1_ ; -- Begin function _ZN7rocprim17ROCPRIM_400000_NS6detail17trampoline_kernelINS0_14default_configENS1_25partition_config_selectorILNS1_17partition_subalgoE9EllbEEZZNS1_14partition_implILS5_9ELb0ES3_jPlS8_PNS0_10empty_typeENS0_5tupleIJS8_S9_EEENSB_IJS8_SA_EEENS0_18inequality_wrapperIZN2at6native12_GLOBAL__N_124unique_dim_cuda_templateIaEESt5tupleIJNSF_6TensorESK_SK_EERKSK_lbbbEUlllE0_EEPmJS9_EEE10hipError_tPvRmT3_T4_T5_T6_T7_T9_mT8_P12ihipStream_tbDpT10_ENKUlT_T0_E_clISt17integral_constantIbLb1EES19_IbLb0EEEEDaS15_S16_EUlS15_E_NS1_11comp_targetILNS1_3genE5ELNS1_11target_archE942ELNS1_3gpuE9ELNS1_3repE0EEENS1_30default_config_static_selectorELNS0_4arch9wavefront6targetE1EEEvT1_
	.p2align	8
	.type	_ZN7rocprim17ROCPRIM_400000_NS6detail17trampoline_kernelINS0_14default_configENS1_25partition_config_selectorILNS1_17partition_subalgoE9EllbEEZZNS1_14partition_implILS5_9ELb0ES3_jPlS8_PNS0_10empty_typeENS0_5tupleIJS8_S9_EEENSB_IJS8_SA_EEENS0_18inequality_wrapperIZN2at6native12_GLOBAL__N_124unique_dim_cuda_templateIaEESt5tupleIJNSF_6TensorESK_SK_EERKSK_lbbbEUlllE0_EEPmJS9_EEE10hipError_tPvRmT3_T4_T5_T6_T7_T9_mT8_P12ihipStream_tbDpT10_ENKUlT_T0_E_clISt17integral_constantIbLb1EES19_IbLb0EEEEDaS15_S16_EUlS15_E_NS1_11comp_targetILNS1_3genE5ELNS1_11target_archE942ELNS1_3gpuE9ELNS1_3repE0EEENS1_30default_config_static_selectorELNS0_4arch9wavefront6targetE1EEEvT1_,@function
_ZN7rocprim17ROCPRIM_400000_NS6detail17trampoline_kernelINS0_14default_configENS1_25partition_config_selectorILNS1_17partition_subalgoE9EllbEEZZNS1_14partition_implILS5_9ELb0ES3_jPlS8_PNS0_10empty_typeENS0_5tupleIJS8_S9_EEENSB_IJS8_SA_EEENS0_18inequality_wrapperIZN2at6native12_GLOBAL__N_124unique_dim_cuda_templateIaEESt5tupleIJNSF_6TensorESK_SK_EERKSK_lbbbEUlllE0_EEPmJS9_EEE10hipError_tPvRmT3_T4_T5_T6_T7_T9_mT8_P12ihipStream_tbDpT10_ENKUlT_T0_E_clISt17integral_constantIbLb1EES19_IbLb0EEEEDaS15_S16_EUlS15_E_NS1_11comp_targetILNS1_3genE5ELNS1_11target_archE942ELNS1_3gpuE9ELNS1_3repE0EEENS1_30default_config_static_selectorELNS0_4arch9wavefront6targetE1EEEvT1_: ; @_ZN7rocprim17ROCPRIM_400000_NS6detail17trampoline_kernelINS0_14default_configENS1_25partition_config_selectorILNS1_17partition_subalgoE9EllbEEZZNS1_14partition_implILS5_9ELb0ES3_jPlS8_PNS0_10empty_typeENS0_5tupleIJS8_S9_EEENSB_IJS8_SA_EEENS0_18inequality_wrapperIZN2at6native12_GLOBAL__N_124unique_dim_cuda_templateIaEESt5tupleIJNSF_6TensorESK_SK_EERKSK_lbbbEUlllE0_EEPmJS9_EEE10hipError_tPvRmT3_T4_T5_T6_T7_T9_mT8_P12ihipStream_tbDpT10_ENKUlT_T0_E_clISt17integral_constantIbLb1EES19_IbLb0EEEEDaS15_S16_EUlS15_E_NS1_11comp_targetILNS1_3genE5ELNS1_11target_archE942ELNS1_3gpuE9ELNS1_3repE0EEENS1_30default_config_static_selectorELNS0_4arch9wavefront6targetE1EEEvT1_
; %bb.0:
	.section	.rodata,"a",@progbits
	.p2align	6, 0x0
	.amdhsa_kernel _ZN7rocprim17ROCPRIM_400000_NS6detail17trampoline_kernelINS0_14default_configENS1_25partition_config_selectorILNS1_17partition_subalgoE9EllbEEZZNS1_14partition_implILS5_9ELb0ES3_jPlS8_PNS0_10empty_typeENS0_5tupleIJS8_S9_EEENSB_IJS8_SA_EEENS0_18inequality_wrapperIZN2at6native12_GLOBAL__N_124unique_dim_cuda_templateIaEESt5tupleIJNSF_6TensorESK_SK_EERKSK_lbbbEUlllE0_EEPmJS9_EEE10hipError_tPvRmT3_T4_T5_T6_T7_T9_mT8_P12ihipStream_tbDpT10_ENKUlT_T0_E_clISt17integral_constantIbLb1EES19_IbLb0EEEEDaS15_S16_EUlS15_E_NS1_11comp_targetILNS1_3genE5ELNS1_11target_archE942ELNS1_3gpuE9ELNS1_3repE0EEENS1_30default_config_static_selectorELNS0_4arch9wavefront6targetE1EEEvT1_
		.amdhsa_group_segment_fixed_size 0
		.amdhsa_private_segment_fixed_size 0
		.amdhsa_kernarg_size 120
		.amdhsa_user_sgpr_count 2
		.amdhsa_user_sgpr_dispatch_ptr 0
		.amdhsa_user_sgpr_queue_ptr 0
		.amdhsa_user_sgpr_kernarg_segment_ptr 1
		.amdhsa_user_sgpr_dispatch_id 0
		.amdhsa_user_sgpr_kernarg_preload_length 0
		.amdhsa_user_sgpr_kernarg_preload_offset 0
		.amdhsa_user_sgpr_private_segment_size 0
		.amdhsa_uses_dynamic_stack 0
		.amdhsa_enable_private_segment 0
		.amdhsa_system_sgpr_workgroup_id_x 1
		.amdhsa_system_sgpr_workgroup_id_y 0
		.amdhsa_system_sgpr_workgroup_id_z 0
		.amdhsa_system_sgpr_workgroup_info 0
		.amdhsa_system_vgpr_workitem_id 0
		.amdhsa_next_free_vgpr 1
		.amdhsa_next_free_sgpr 0
		.amdhsa_accum_offset 4
		.amdhsa_reserve_vcc 0
		.amdhsa_float_round_mode_32 0
		.amdhsa_float_round_mode_16_64 0
		.amdhsa_float_denorm_mode_32 3
		.amdhsa_float_denorm_mode_16_64 3
		.amdhsa_dx10_clamp 1
		.amdhsa_ieee_mode 1
		.amdhsa_fp16_overflow 0
		.amdhsa_tg_split 0
		.amdhsa_exception_fp_ieee_invalid_op 0
		.amdhsa_exception_fp_denorm_src 0
		.amdhsa_exception_fp_ieee_div_zero 0
		.amdhsa_exception_fp_ieee_overflow 0
		.amdhsa_exception_fp_ieee_underflow 0
		.amdhsa_exception_fp_ieee_inexact 0
		.amdhsa_exception_int_div_zero 0
	.end_amdhsa_kernel
	.section	.text._ZN7rocprim17ROCPRIM_400000_NS6detail17trampoline_kernelINS0_14default_configENS1_25partition_config_selectorILNS1_17partition_subalgoE9EllbEEZZNS1_14partition_implILS5_9ELb0ES3_jPlS8_PNS0_10empty_typeENS0_5tupleIJS8_S9_EEENSB_IJS8_SA_EEENS0_18inequality_wrapperIZN2at6native12_GLOBAL__N_124unique_dim_cuda_templateIaEESt5tupleIJNSF_6TensorESK_SK_EERKSK_lbbbEUlllE0_EEPmJS9_EEE10hipError_tPvRmT3_T4_T5_T6_T7_T9_mT8_P12ihipStream_tbDpT10_ENKUlT_T0_E_clISt17integral_constantIbLb1EES19_IbLb0EEEEDaS15_S16_EUlS15_E_NS1_11comp_targetILNS1_3genE5ELNS1_11target_archE942ELNS1_3gpuE9ELNS1_3repE0EEENS1_30default_config_static_selectorELNS0_4arch9wavefront6targetE1EEEvT1_,"axG",@progbits,_ZN7rocprim17ROCPRIM_400000_NS6detail17trampoline_kernelINS0_14default_configENS1_25partition_config_selectorILNS1_17partition_subalgoE9EllbEEZZNS1_14partition_implILS5_9ELb0ES3_jPlS8_PNS0_10empty_typeENS0_5tupleIJS8_S9_EEENSB_IJS8_SA_EEENS0_18inequality_wrapperIZN2at6native12_GLOBAL__N_124unique_dim_cuda_templateIaEESt5tupleIJNSF_6TensorESK_SK_EERKSK_lbbbEUlllE0_EEPmJS9_EEE10hipError_tPvRmT3_T4_T5_T6_T7_T9_mT8_P12ihipStream_tbDpT10_ENKUlT_T0_E_clISt17integral_constantIbLb1EES19_IbLb0EEEEDaS15_S16_EUlS15_E_NS1_11comp_targetILNS1_3genE5ELNS1_11target_archE942ELNS1_3gpuE9ELNS1_3repE0EEENS1_30default_config_static_selectorELNS0_4arch9wavefront6targetE1EEEvT1_,comdat
.Lfunc_end368:
	.size	_ZN7rocprim17ROCPRIM_400000_NS6detail17trampoline_kernelINS0_14default_configENS1_25partition_config_selectorILNS1_17partition_subalgoE9EllbEEZZNS1_14partition_implILS5_9ELb0ES3_jPlS8_PNS0_10empty_typeENS0_5tupleIJS8_S9_EEENSB_IJS8_SA_EEENS0_18inequality_wrapperIZN2at6native12_GLOBAL__N_124unique_dim_cuda_templateIaEESt5tupleIJNSF_6TensorESK_SK_EERKSK_lbbbEUlllE0_EEPmJS9_EEE10hipError_tPvRmT3_T4_T5_T6_T7_T9_mT8_P12ihipStream_tbDpT10_ENKUlT_T0_E_clISt17integral_constantIbLb1EES19_IbLb0EEEEDaS15_S16_EUlS15_E_NS1_11comp_targetILNS1_3genE5ELNS1_11target_archE942ELNS1_3gpuE9ELNS1_3repE0EEENS1_30default_config_static_selectorELNS0_4arch9wavefront6targetE1EEEvT1_, .Lfunc_end368-_ZN7rocprim17ROCPRIM_400000_NS6detail17trampoline_kernelINS0_14default_configENS1_25partition_config_selectorILNS1_17partition_subalgoE9EllbEEZZNS1_14partition_implILS5_9ELb0ES3_jPlS8_PNS0_10empty_typeENS0_5tupleIJS8_S9_EEENSB_IJS8_SA_EEENS0_18inequality_wrapperIZN2at6native12_GLOBAL__N_124unique_dim_cuda_templateIaEESt5tupleIJNSF_6TensorESK_SK_EERKSK_lbbbEUlllE0_EEPmJS9_EEE10hipError_tPvRmT3_T4_T5_T6_T7_T9_mT8_P12ihipStream_tbDpT10_ENKUlT_T0_E_clISt17integral_constantIbLb1EES19_IbLb0EEEEDaS15_S16_EUlS15_E_NS1_11comp_targetILNS1_3genE5ELNS1_11target_archE942ELNS1_3gpuE9ELNS1_3repE0EEENS1_30default_config_static_selectorELNS0_4arch9wavefront6targetE1EEEvT1_
                                        ; -- End function
	.set _ZN7rocprim17ROCPRIM_400000_NS6detail17trampoline_kernelINS0_14default_configENS1_25partition_config_selectorILNS1_17partition_subalgoE9EllbEEZZNS1_14partition_implILS5_9ELb0ES3_jPlS8_PNS0_10empty_typeENS0_5tupleIJS8_S9_EEENSB_IJS8_SA_EEENS0_18inequality_wrapperIZN2at6native12_GLOBAL__N_124unique_dim_cuda_templateIaEESt5tupleIJNSF_6TensorESK_SK_EERKSK_lbbbEUlllE0_EEPmJS9_EEE10hipError_tPvRmT3_T4_T5_T6_T7_T9_mT8_P12ihipStream_tbDpT10_ENKUlT_T0_E_clISt17integral_constantIbLb1EES19_IbLb0EEEEDaS15_S16_EUlS15_E_NS1_11comp_targetILNS1_3genE5ELNS1_11target_archE942ELNS1_3gpuE9ELNS1_3repE0EEENS1_30default_config_static_selectorELNS0_4arch9wavefront6targetE1EEEvT1_.num_vgpr, 0
	.set _ZN7rocprim17ROCPRIM_400000_NS6detail17trampoline_kernelINS0_14default_configENS1_25partition_config_selectorILNS1_17partition_subalgoE9EllbEEZZNS1_14partition_implILS5_9ELb0ES3_jPlS8_PNS0_10empty_typeENS0_5tupleIJS8_S9_EEENSB_IJS8_SA_EEENS0_18inequality_wrapperIZN2at6native12_GLOBAL__N_124unique_dim_cuda_templateIaEESt5tupleIJNSF_6TensorESK_SK_EERKSK_lbbbEUlllE0_EEPmJS9_EEE10hipError_tPvRmT3_T4_T5_T6_T7_T9_mT8_P12ihipStream_tbDpT10_ENKUlT_T0_E_clISt17integral_constantIbLb1EES19_IbLb0EEEEDaS15_S16_EUlS15_E_NS1_11comp_targetILNS1_3genE5ELNS1_11target_archE942ELNS1_3gpuE9ELNS1_3repE0EEENS1_30default_config_static_selectorELNS0_4arch9wavefront6targetE1EEEvT1_.num_agpr, 0
	.set _ZN7rocprim17ROCPRIM_400000_NS6detail17trampoline_kernelINS0_14default_configENS1_25partition_config_selectorILNS1_17partition_subalgoE9EllbEEZZNS1_14partition_implILS5_9ELb0ES3_jPlS8_PNS0_10empty_typeENS0_5tupleIJS8_S9_EEENSB_IJS8_SA_EEENS0_18inequality_wrapperIZN2at6native12_GLOBAL__N_124unique_dim_cuda_templateIaEESt5tupleIJNSF_6TensorESK_SK_EERKSK_lbbbEUlllE0_EEPmJS9_EEE10hipError_tPvRmT3_T4_T5_T6_T7_T9_mT8_P12ihipStream_tbDpT10_ENKUlT_T0_E_clISt17integral_constantIbLb1EES19_IbLb0EEEEDaS15_S16_EUlS15_E_NS1_11comp_targetILNS1_3genE5ELNS1_11target_archE942ELNS1_3gpuE9ELNS1_3repE0EEENS1_30default_config_static_selectorELNS0_4arch9wavefront6targetE1EEEvT1_.numbered_sgpr, 0
	.set _ZN7rocprim17ROCPRIM_400000_NS6detail17trampoline_kernelINS0_14default_configENS1_25partition_config_selectorILNS1_17partition_subalgoE9EllbEEZZNS1_14partition_implILS5_9ELb0ES3_jPlS8_PNS0_10empty_typeENS0_5tupleIJS8_S9_EEENSB_IJS8_SA_EEENS0_18inequality_wrapperIZN2at6native12_GLOBAL__N_124unique_dim_cuda_templateIaEESt5tupleIJNSF_6TensorESK_SK_EERKSK_lbbbEUlllE0_EEPmJS9_EEE10hipError_tPvRmT3_T4_T5_T6_T7_T9_mT8_P12ihipStream_tbDpT10_ENKUlT_T0_E_clISt17integral_constantIbLb1EES19_IbLb0EEEEDaS15_S16_EUlS15_E_NS1_11comp_targetILNS1_3genE5ELNS1_11target_archE942ELNS1_3gpuE9ELNS1_3repE0EEENS1_30default_config_static_selectorELNS0_4arch9wavefront6targetE1EEEvT1_.num_named_barrier, 0
	.set _ZN7rocprim17ROCPRIM_400000_NS6detail17trampoline_kernelINS0_14default_configENS1_25partition_config_selectorILNS1_17partition_subalgoE9EllbEEZZNS1_14partition_implILS5_9ELb0ES3_jPlS8_PNS0_10empty_typeENS0_5tupleIJS8_S9_EEENSB_IJS8_SA_EEENS0_18inequality_wrapperIZN2at6native12_GLOBAL__N_124unique_dim_cuda_templateIaEESt5tupleIJNSF_6TensorESK_SK_EERKSK_lbbbEUlllE0_EEPmJS9_EEE10hipError_tPvRmT3_T4_T5_T6_T7_T9_mT8_P12ihipStream_tbDpT10_ENKUlT_T0_E_clISt17integral_constantIbLb1EES19_IbLb0EEEEDaS15_S16_EUlS15_E_NS1_11comp_targetILNS1_3genE5ELNS1_11target_archE942ELNS1_3gpuE9ELNS1_3repE0EEENS1_30default_config_static_selectorELNS0_4arch9wavefront6targetE1EEEvT1_.private_seg_size, 0
	.set _ZN7rocprim17ROCPRIM_400000_NS6detail17trampoline_kernelINS0_14default_configENS1_25partition_config_selectorILNS1_17partition_subalgoE9EllbEEZZNS1_14partition_implILS5_9ELb0ES3_jPlS8_PNS0_10empty_typeENS0_5tupleIJS8_S9_EEENSB_IJS8_SA_EEENS0_18inequality_wrapperIZN2at6native12_GLOBAL__N_124unique_dim_cuda_templateIaEESt5tupleIJNSF_6TensorESK_SK_EERKSK_lbbbEUlllE0_EEPmJS9_EEE10hipError_tPvRmT3_T4_T5_T6_T7_T9_mT8_P12ihipStream_tbDpT10_ENKUlT_T0_E_clISt17integral_constantIbLb1EES19_IbLb0EEEEDaS15_S16_EUlS15_E_NS1_11comp_targetILNS1_3genE5ELNS1_11target_archE942ELNS1_3gpuE9ELNS1_3repE0EEENS1_30default_config_static_selectorELNS0_4arch9wavefront6targetE1EEEvT1_.uses_vcc, 0
	.set _ZN7rocprim17ROCPRIM_400000_NS6detail17trampoline_kernelINS0_14default_configENS1_25partition_config_selectorILNS1_17partition_subalgoE9EllbEEZZNS1_14partition_implILS5_9ELb0ES3_jPlS8_PNS0_10empty_typeENS0_5tupleIJS8_S9_EEENSB_IJS8_SA_EEENS0_18inequality_wrapperIZN2at6native12_GLOBAL__N_124unique_dim_cuda_templateIaEESt5tupleIJNSF_6TensorESK_SK_EERKSK_lbbbEUlllE0_EEPmJS9_EEE10hipError_tPvRmT3_T4_T5_T6_T7_T9_mT8_P12ihipStream_tbDpT10_ENKUlT_T0_E_clISt17integral_constantIbLb1EES19_IbLb0EEEEDaS15_S16_EUlS15_E_NS1_11comp_targetILNS1_3genE5ELNS1_11target_archE942ELNS1_3gpuE9ELNS1_3repE0EEENS1_30default_config_static_selectorELNS0_4arch9wavefront6targetE1EEEvT1_.uses_flat_scratch, 0
	.set _ZN7rocprim17ROCPRIM_400000_NS6detail17trampoline_kernelINS0_14default_configENS1_25partition_config_selectorILNS1_17partition_subalgoE9EllbEEZZNS1_14partition_implILS5_9ELb0ES3_jPlS8_PNS0_10empty_typeENS0_5tupleIJS8_S9_EEENSB_IJS8_SA_EEENS0_18inequality_wrapperIZN2at6native12_GLOBAL__N_124unique_dim_cuda_templateIaEESt5tupleIJNSF_6TensorESK_SK_EERKSK_lbbbEUlllE0_EEPmJS9_EEE10hipError_tPvRmT3_T4_T5_T6_T7_T9_mT8_P12ihipStream_tbDpT10_ENKUlT_T0_E_clISt17integral_constantIbLb1EES19_IbLb0EEEEDaS15_S16_EUlS15_E_NS1_11comp_targetILNS1_3genE5ELNS1_11target_archE942ELNS1_3gpuE9ELNS1_3repE0EEENS1_30default_config_static_selectorELNS0_4arch9wavefront6targetE1EEEvT1_.has_dyn_sized_stack, 0
	.set _ZN7rocprim17ROCPRIM_400000_NS6detail17trampoline_kernelINS0_14default_configENS1_25partition_config_selectorILNS1_17partition_subalgoE9EllbEEZZNS1_14partition_implILS5_9ELb0ES3_jPlS8_PNS0_10empty_typeENS0_5tupleIJS8_S9_EEENSB_IJS8_SA_EEENS0_18inequality_wrapperIZN2at6native12_GLOBAL__N_124unique_dim_cuda_templateIaEESt5tupleIJNSF_6TensorESK_SK_EERKSK_lbbbEUlllE0_EEPmJS9_EEE10hipError_tPvRmT3_T4_T5_T6_T7_T9_mT8_P12ihipStream_tbDpT10_ENKUlT_T0_E_clISt17integral_constantIbLb1EES19_IbLb0EEEEDaS15_S16_EUlS15_E_NS1_11comp_targetILNS1_3genE5ELNS1_11target_archE942ELNS1_3gpuE9ELNS1_3repE0EEENS1_30default_config_static_selectorELNS0_4arch9wavefront6targetE1EEEvT1_.has_recursion, 0
	.set _ZN7rocprim17ROCPRIM_400000_NS6detail17trampoline_kernelINS0_14default_configENS1_25partition_config_selectorILNS1_17partition_subalgoE9EllbEEZZNS1_14partition_implILS5_9ELb0ES3_jPlS8_PNS0_10empty_typeENS0_5tupleIJS8_S9_EEENSB_IJS8_SA_EEENS0_18inequality_wrapperIZN2at6native12_GLOBAL__N_124unique_dim_cuda_templateIaEESt5tupleIJNSF_6TensorESK_SK_EERKSK_lbbbEUlllE0_EEPmJS9_EEE10hipError_tPvRmT3_T4_T5_T6_T7_T9_mT8_P12ihipStream_tbDpT10_ENKUlT_T0_E_clISt17integral_constantIbLb1EES19_IbLb0EEEEDaS15_S16_EUlS15_E_NS1_11comp_targetILNS1_3genE5ELNS1_11target_archE942ELNS1_3gpuE9ELNS1_3repE0EEENS1_30default_config_static_selectorELNS0_4arch9wavefront6targetE1EEEvT1_.has_indirect_call, 0
	.section	.AMDGPU.csdata,"",@progbits
; Kernel info:
; codeLenInByte = 0
; TotalNumSgprs: 6
; NumVgprs: 0
; NumAgprs: 0
; TotalNumVgprs: 0
; ScratchSize: 0
; MemoryBound: 0
; FloatMode: 240
; IeeeMode: 1
; LDSByteSize: 0 bytes/workgroup (compile time only)
; SGPRBlocks: 0
; VGPRBlocks: 0
; NumSGPRsForWavesPerEU: 6
; NumVGPRsForWavesPerEU: 1
; AccumOffset: 4
; Occupancy: 8
; WaveLimiterHint : 0
; COMPUTE_PGM_RSRC2:SCRATCH_EN: 0
; COMPUTE_PGM_RSRC2:USER_SGPR: 2
; COMPUTE_PGM_RSRC2:TRAP_HANDLER: 0
; COMPUTE_PGM_RSRC2:TGID_X_EN: 1
; COMPUTE_PGM_RSRC2:TGID_Y_EN: 0
; COMPUTE_PGM_RSRC2:TGID_Z_EN: 0
; COMPUTE_PGM_RSRC2:TIDIG_COMP_CNT: 0
; COMPUTE_PGM_RSRC3_GFX90A:ACCUM_OFFSET: 0
; COMPUTE_PGM_RSRC3_GFX90A:TG_SPLIT: 0
	.section	.text._ZN7rocprim17ROCPRIM_400000_NS6detail17trampoline_kernelINS0_14default_configENS1_25partition_config_selectorILNS1_17partition_subalgoE9EllbEEZZNS1_14partition_implILS5_9ELb0ES3_jPlS8_PNS0_10empty_typeENS0_5tupleIJS8_S9_EEENSB_IJS8_SA_EEENS0_18inequality_wrapperIZN2at6native12_GLOBAL__N_124unique_dim_cuda_templateIaEESt5tupleIJNSF_6TensorESK_SK_EERKSK_lbbbEUlllE0_EEPmJS9_EEE10hipError_tPvRmT3_T4_T5_T6_T7_T9_mT8_P12ihipStream_tbDpT10_ENKUlT_T0_E_clISt17integral_constantIbLb1EES19_IbLb0EEEEDaS15_S16_EUlS15_E_NS1_11comp_targetILNS1_3genE4ELNS1_11target_archE910ELNS1_3gpuE8ELNS1_3repE0EEENS1_30default_config_static_selectorELNS0_4arch9wavefront6targetE1EEEvT1_,"axG",@progbits,_ZN7rocprim17ROCPRIM_400000_NS6detail17trampoline_kernelINS0_14default_configENS1_25partition_config_selectorILNS1_17partition_subalgoE9EllbEEZZNS1_14partition_implILS5_9ELb0ES3_jPlS8_PNS0_10empty_typeENS0_5tupleIJS8_S9_EEENSB_IJS8_SA_EEENS0_18inequality_wrapperIZN2at6native12_GLOBAL__N_124unique_dim_cuda_templateIaEESt5tupleIJNSF_6TensorESK_SK_EERKSK_lbbbEUlllE0_EEPmJS9_EEE10hipError_tPvRmT3_T4_T5_T6_T7_T9_mT8_P12ihipStream_tbDpT10_ENKUlT_T0_E_clISt17integral_constantIbLb1EES19_IbLb0EEEEDaS15_S16_EUlS15_E_NS1_11comp_targetILNS1_3genE4ELNS1_11target_archE910ELNS1_3gpuE8ELNS1_3repE0EEENS1_30default_config_static_selectorELNS0_4arch9wavefront6targetE1EEEvT1_,comdat
	.globl	_ZN7rocprim17ROCPRIM_400000_NS6detail17trampoline_kernelINS0_14default_configENS1_25partition_config_selectorILNS1_17partition_subalgoE9EllbEEZZNS1_14partition_implILS5_9ELb0ES3_jPlS8_PNS0_10empty_typeENS0_5tupleIJS8_S9_EEENSB_IJS8_SA_EEENS0_18inequality_wrapperIZN2at6native12_GLOBAL__N_124unique_dim_cuda_templateIaEESt5tupleIJNSF_6TensorESK_SK_EERKSK_lbbbEUlllE0_EEPmJS9_EEE10hipError_tPvRmT3_T4_T5_T6_T7_T9_mT8_P12ihipStream_tbDpT10_ENKUlT_T0_E_clISt17integral_constantIbLb1EES19_IbLb0EEEEDaS15_S16_EUlS15_E_NS1_11comp_targetILNS1_3genE4ELNS1_11target_archE910ELNS1_3gpuE8ELNS1_3repE0EEENS1_30default_config_static_selectorELNS0_4arch9wavefront6targetE1EEEvT1_ ; -- Begin function _ZN7rocprim17ROCPRIM_400000_NS6detail17trampoline_kernelINS0_14default_configENS1_25partition_config_selectorILNS1_17partition_subalgoE9EllbEEZZNS1_14partition_implILS5_9ELb0ES3_jPlS8_PNS0_10empty_typeENS0_5tupleIJS8_S9_EEENSB_IJS8_SA_EEENS0_18inequality_wrapperIZN2at6native12_GLOBAL__N_124unique_dim_cuda_templateIaEESt5tupleIJNSF_6TensorESK_SK_EERKSK_lbbbEUlllE0_EEPmJS9_EEE10hipError_tPvRmT3_T4_T5_T6_T7_T9_mT8_P12ihipStream_tbDpT10_ENKUlT_T0_E_clISt17integral_constantIbLb1EES19_IbLb0EEEEDaS15_S16_EUlS15_E_NS1_11comp_targetILNS1_3genE4ELNS1_11target_archE910ELNS1_3gpuE8ELNS1_3repE0EEENS1_30default_config_static_selectorELNS0_4arch9wavefront6targetE1EEEvT1_
	.p2align	8
	.type	_ZN7rocprim17ROCPRIM_400000_NS6detail17trampoline_kernelINS0_14default_configENS1_25partition_config_selectorILNS1_17partition_subalgoE9EllbEEZZNS1_14partition_implILS5_9ELb0ES3_jPlS8_PNS0_10empty_typeENS0_5tupleIJS8_S9_EEENSB_IJS8_SA_EEENS0_18inequality_wrapperIZN2at6native12_GLOBAL__N_124unique_dim_cuda_templateIaEESt5tupleIJNSF_6TensorESK_SK_EERKSK_lbbbEUlllE0_EEPmJS9_EEE10hipError_tPvRmT3_T4_T5_T6_T7_T9_mT8_P12ihipStream_tbDpT10_ENKUlT_T0_E_clISt17integral_constantIbLb1EES19_IbLb0EEEEDaS15_S16_EUlS15_E_NS1_11comp_targetILNS1_3genE4ELNS1_11target_archE910ELNS1_3gpuE8ELNS1_3repE0EEENS1_30default_config_static_selectorELNS0_4arch9wavefront6targetE1EEEvT1_,@function
_ZN7rocprim17ROCPRIM_400000_NS6detail17trampoline_kernelINS0_14default_configENS1_25partition_config_selectorILNS1_17partition_subalgoE9EllbEEZZNS1_14partition_implILS5_9ELb0ES3_jPlS8_PNS0_10empty_typeENS0_5tupleIJS8_S9_EEENSB_IJS8_SA_EEENS0_18inequality_wrapperIZN2at6native12_GLOBAL__N_124unique_dim_cuda_templateIaEESt5tupleIJNSF_6TensorESK_SK_EERKSK_lbbbEUlllE0_EEPmJS9_EEE10hipError_tPvRmT3_T4_T5_T6_T7_T9_mT8_P12ihipStream_tbDpT10_ENKUlT_T0_E_clISt17integral_constantIbLb1EES19_IbLb0EEEEDaS15_S16_EUlS15_E_NS1_11comp_targetILNS1_3genE4ELNS1_11target_archE910ELNS1_3gpuE8ELNS1_3repE0EEENS1_30default_config_static_selectorELNS0_4arch9wavefront6targetE1EEEvT1_: ; @_ZN7rocprim17ROCPRIM_400000_NS6detail17trampoline_kernelINS0_14default_configENS1_25partition_config_selectorILNS1_17partition_subalgoE9EllbEEZZNS1_14partition_implILS5_9ELb0ES3_jPlS8_PNS0_10empty_typeENS0_5tupleIJS8_S9_EEENSB_IJS8_SA_EEENS0_18inequality_wrapperIZN2at6native12_GLOBAL__N_124unique_dim_cuda_templateIaEESt5tupleIJNSF_6TensorESK_SK_EERKSK_lbbbEUlllE0_EEPmJS9_EEE10hipError_tPvRmT3_T4_T5_T6_T7_T9_mT8_P12ihipStream_tbDpT10_ENKUlT_T0_E_clISt17integral_constantIbLb1EES19_IbLb0EEEEDaS15_S16_EUlS15_E_NS1_11comp_targetILNS1_3genE4ELNS1_11target_archE910ELNS1_3gpuE8ELNS1_3repE0EEENS1_30default_config_static_selectorELNS0_4arch9wavefront6targetE1EEEvT1_
; %bb.0:
	.section	.rodata,"a",@progbits
	.p2align	6, 0x0
	.amdhsa_kernel _ZN7rocprim17ROCPRIM_400000_NS6detail17trampoline_kernelINS0_14default_configENS1_25partition_config_selectorILNS1_17partition_subalgoE9EllbEEZZNS1_14partition_implILS5_9ELb0ES3_jPlS8_PNS0_10empty_typeENS0_5tupleIJS8_S9_EEENSB_IJS8_SA_EEENS0_18inequality_wrapperIZN2at6native12_GLOBAL__N_124unique_dim_cuda_templateIaEESt5tupleIJNSF_6TensorESK_SK_EERKSK_lbbbEUlllE0_EEPmJS9_EEE10hipError_tPvRmT3_T4_T5_T6_T7_T9_mT8_P12ihipStream_tbDpT10_ENKUlT_T0_E_clISt17integral_constantIbLb1EES19_IbLb0EEEEDaS15_S16_EUlS15_E_NS1_11comp_targetILNS1_3genE4ELNS1_11target_archE910ELNS1_3gpuE8ELNS1_3repE0EEENS1_30default_config_static_selectorELNS0_4arch9wavefront6targetE1EEEvT1_
		.amdhsa_group_segment_fixed_size 0
		.amdhsa_private_segment_fixed_size 0
		.amdhsa_kernarg_size 120
		.amdhsa_user_sgpr_count 2
		.amdhsa_user_sgpr_dispatch_ptr 0
		.amdhsa_user_sgpr_queue_ptr 0
		.amdhsa_user_sgpr_kernarg_segment_ptr 1
		.amdhsa_user_sgpr_dispatch_id 0
		.amdhsa_user_sgpr_kernarg_preload_length 0
		.amdhsa_user_sgpr_kernarg_preload_offset 0
		.amdhsa_user_sgpr_private_segment_size 0
		.amdhsa_uses_dynamic_stack 0
		.amdhsa_enable_private_segment 0
		.amdhsa_system_sgpr_workgroup_id_x 1
		.amdhsa_system_sgpr_workgroup_id_y 0
		.amdhsa_system_sgpr_workgroup_id_z 0
		.amdhsa_system_sgpr_workgroup_info 0
		.amdhsa_system_vgpr_workitem_id 0
		.amdhsa_next_free_vgpr 1
		.amdhsa_next_free_sgpr 0
		.amdhsa_accum_offset 4
		.amdhsa_reserve_vcc 0
		.amdhsa_float_round_mode_32 0
		.amdhsa_float_round_mode_16_64 0
		.amdhsa_float_denorm_mode_32 3
		.amdhsa_float_denorm_mode_16_64 3
		.amdhsa_dx10_clamp 1
		.amdhsa_ieee_mode 1
		.amdhsa_fp16_overflow 0
		.amdhsa_tg_split 0
		.amdhsa_exception_fp_ieee_invalid_op 0
		.amdhsa_exception_fp_denorm_src 0
		.amdhsa_exception_fp_ieee_div_zero 0
		.amdhsa_exception_fp_ieee_overflow 0
		.amdhsa_exception_fp_ieee_underflow 0
		.amdhsa_exception_fp_ieee_inexact 0
		.amdhsa_exception_int_div_zero 0
	.end_amdhsa_kernel
	.section	.text._ZN7rocprim17ROCPRIM_400000_NS6detail17trampoline_kernelINS0_14default_configENS1_25partition_config_selectorILNS1_17partition_subalgoE9EllbEEZZNS1_14partition_implILS5_9ELb0ES3_jPlS8_PNS0_10empty_typeENS0_5tupleIJS8_S9_EEENSB_IJS8_SA_EEENS0_18inequality_wrapperIZN2at6native12_GLOBAL__N_124unique_dim_cuda_templateIaEESt5tupleIJNSF_6TensorESK_SK_EERKSK_lbbbEUlllE0_EEPmJS9_EEE10hipError_tPvRmT3_T4_T5_T6_T7_T9_mT8_P12ihipStream_tbDpT10_ENKUlT_T0_E_clISt17integral_constantIbLb1EES19_IbLb0EEEEDaS15_S16_EUlS15_E_NS1_11comp_targetILNS1_3genE4ELNS1_11target_archE910ELNS1_3gpuE8ELNS1_3repE0EEENS1_30default_config_static_selectorELNS0_4arch9wavefront6targetE1EEEvT1_,"axG",@progbits,_ZN7rocprim17ROCPRIM_400000_NS6detail17trampoline_kernelINS0_14default_configENS1_25partition_config_selectorILNS1_17partition_subalgoE9EllbEEZZNS1_14partition_implILS5_9ELb0ES3_jPlS8_PNS0_10empty_typeENS0_5tupleIJS8_S9_EEENSB_IJS8_SA_EEENS0_18inequality_wrapperIZN2at6native12_GLOBAL__N_124unique_dim_cuda_templateIaEESt5tupleIJNSF_6TensorESK_SK_EERKSK_lbbbEUlllE0_EEPmJS9_EEE10hipError_tPvRmT3_T4_T5_T6_T7_T9_mT8_P12ihipStream_tbDpT10_ENKUlT_T0_E_clISt17integral_constantIbLb1EES19_IbLb0EEEEDaS15_S16_EUlS15_E_NS1_11comp_targetILNS1_3genE4ELNS1_11target_archE910ELNS1_3gpuE8ELNS1_3repE0EEENS1_30default_config_static_selectorELNS0_4arch9wavefront6targetE1EEEvT1_,comdat
.Lfunc_end369:
	.size	_ZN7rocprim17ROCPRIM_400000_NS6detail17trampoline_kernelINS0_14default_configENS1_25partition_config_selectorILNS1_17partition_subalgoE9EllbEEZZNS1_14partition_implILS5_9ELb0ES3_jPlS8_PNS0_10empty_typeENS0_5tupleIJS8_S9_EEENSB_IJS8_SA_EEENS0_18inequality_wrapperIZN2at6native12_GLOBAL__N_124unique_dim_cuda_templateIaEESt5tupleIJNSF_6TensorESK_SK_EERKSK_lbbbEUlllE0_EEPmJS9_EEE10hipError_tPvRmT3_T4_T5_T6_T7_T9_mT8_P12ihipStream_tbDpT10_ENKUlT_T0_E_clISt17integral_constantIbLb1EES19_IbLb0EEEEDaS15_S16_EUlS15_E_NS1_11comp_targetILNS1_3genE4ELNS1_11target_archE910ELNS1_3gpuE8ELNS1_3repE0EEENS1_30default_config_static_selectorELNS0_4arch9wavefront6targetE1EEEvT1_, .Lfunc_end369-_ZN7rocprim17ROCPRIM_400000_NS6detail17trampoline_kernelINS0_14default_configENS1_25partition_config_selectorILNS1_17partition_subalgoE9EllbEEZZNS1_14partition_implILS5_9ELb0ES3_jPlS8_PNS0_10empty_typeENS0_5tupleIJS8_S9_EEENSB_IJS8_SA_EEENS0_18inequality_wrapperIZN2at6native12_GLOBAL__N_124unique_dim_cuda_templateIaEESt5tupleIJNSF_6TensorESK_SK_EERKSK_lbbbEUlllE0_EEPmJS9_EEE10hipError_tPvRmT3_T4_T5_T6_T7_T9_mT8_P12ihipStream_tbDpT10_ENKUlT_T0_E_clISt17integral_constantIbLb1EES19_IbLb0EEEEDaS15_S16_EUlS15_E_NS1_11comp_targetILNS1_3genE4ELNS1_11target_archE910ELNS1_3gpuE8ELNS1_3repE0EEENS1_30default_config_static_selectorELNS0_4arch9wavefront6targetE1EEEvT1_
                                        ; -- End function
	.set _ZN7rocprim17ROCPRIM_400000_NS6detail17trampoline_kernelINS0_14default_configENS1_25partition_config_selectorILNS1_17partition_subalgoE9EllbEEZZNS1_14partition_implILS5_9ELb0ES3_jPlS8_PNS0_10empty_typeENS0_5tupleIJS8_S9_EEENSB_IJS8_SA_EEENS0_18inequality_wrapperIZN2at6native12_GLOBAL__N_124unique_dim_cuda_templateIaEESt5tupleIJNSF_6TensorESK_SK_EERKSK_lbbbEUlllE0_EEPmJS9_EEE10hipError_tPvRmT3_T4_T5_T6_T7_T9_mT8_P12ihipStream_tbDpT10_ENKUlT_T0_E_clISt17integral_constantIbLb1EES19_IbLb0EEEEDaS15_S16_EUlS15_E_NS1_11comp_targetILNS1_3genE4ELNS1_11target_archE910ELNS1_3gpuE8ELNS1_3repE0EEENS1_30default_config_static_selectorELNS0_4arch9wavefront6targetE1EEEvT1_.num_vgpr, 0
	.set _ZN7rocprim17ROCPRIM_400000_NS6detail17trampoline_kernelINS0_14default_configENS1_25partition_config_selectorILNS1_17partition_subalgoE9EllbEEZZNS1_14partition_implILS5_9ELb0ES3_jPlS8_PNS0_10empty_typeENS0_5tupleIJS8_S9_EEENSB_IJS8_SA_EEENS0_18inequality_wrapperIZN2at6native12_GLOBAL__N_124unique_dim_cuda_templateIaEESt5tupleIJNSF_6TensorESK_SK_EERKSK_lbbbEUlllE0_EEPmJS9_EEE10hipError_tPvRmT3_T4_T5_T6_T7_T9_mT8_P12ihipStream_tbDpT10_ENKUlT_T0_E_clISt17integral_constantIbLb1EES19_IbLb0EEEEDaS15_S16_EUlS15_E_NS1_11comp_targetILNS1_3genE4ELNS1_11target_archE910ELNS1_3gpuE8ELNS1_3repE0EEENS1_30default_config_static_selectorELNS0_4arch9wavefront6targetE1EEEvT1_.num_agpr, 0
	.set _ZN7rocprim17ROCPRIM_400000_NS6detail17trampoline_kernelINS0_14default_configENS1_25partition_config_selectorILNS1_17partition_subalgoE9EllbEEZZNS1_14partition_implILS5_9ELb0ES3_jPlS8_PNS0_10empty_typeENS0_5tupleIJS8_S9_EEENSB_IJS8_SA_EEENS0_18inequality_wrapperIZN2at6native12_GLOBAL__N_124unique_dim_cuda_templateIaEESt5tupleIJNSF_6TensorESK_SK_EERKSK_lbbbEUlllE0_EEPmJS9_EEE10hipError_tPvRmT3_T4_T5_T6_T7_T9_mT8_P12ihipStream_tbDpT10_ENKUlT_T0_E_clISt17integral_constantIbLb1EES19_IbLb0EEEEDaS15_S16_EUlS15_E_NS1_11comp_targetILNS1_3genE4ELNS1_11target_archE910ELNS1_3gpuE8ELNS1_3repE0EEENS1_30default_config_static_selectorELNS0_4arch9wavefront6targetE1EEEvT1_.numbered_sgpr, 0
	.set _ZN7rocprim17ROCPRIM_400000_NS6detail17trampoline_kernelINS0_14default_configENS1_25partition_config_selectorILNS1_17partition_subalgoE9EllbEEZZNS1_14partition_implILS5_9ELb0ES3_jPlS8_PNS0_10empty_typeENS0_5tupleIJS8_S9_EEENSB_IJS8_SA_EEENS0_18inequality_wrapperIZN2at6native12_GLOBAL__N_124unique_dim_cuda_templateIaEESt5tupleIJNSF_6TensorESK_SK_EERKSK_lbbbEUlllE0_EEPmJS9_EEE10hipError_tPvRmT3_T4_T5_T6_T7_T9_mT8_P12ihipStream_tbDpT10_ENKUlT_T0_E_clISt17integral_constantIbLb1EES19_IbLb0EEEEDaS15_S16_EUlS15_E_NS1_11comp_targetILNS1_3genE4ELNS1_11target_archE910ELNS1_3gpuE8ELNS1_3repE0EEENS1_30default_config_static_selectorELNS0_4arch9wavefront6targetE1EEEvT1_.num_named_barrier, 0
	.set _ZN7rocprim17ROCPRIM_400000_NS6detail17trampoline_kernelINS0_14default_configENS1_25partition_config_selectorILNS1_17partition_subalgoE9EllbEEZZNS1_14partition_implILS5_9ELb0ES3_jPlS8_PNS0_10empty_typeENS0_5tupleIJS8_S9_EEENSB_IJS8_SA_EEENS0_18inequality_wrapperIZN2at6native12_GLOBAL__N_124unique_dim_cuda_templateIaEESt5tupleIJNSF_6TensorESK_SK_EERKSK_lbbbEUlllE0_EEPmJS9_EEE10hipError_tPvRmT3_T4_T5_T6_T7_T9_mT8_P12ihipStream_tbDpT10_ENKUlT_T0_E_clISt17integral_constantIbLb1EES19_IbLb0EEEEDaS15_S16_EUlS15_E_NS1_11comp_targetILNS1_3genE4ELNS1_11target_archE910ELNS1_3gpuE8ELNS1_3repE0EEENS1_30default_config_static_selectorELNS0_4arch9wavefront6targetE1EEEvT1_.private_seg_size, 0
	.set _ZN7rocprim17ROCPRIM_400000_NS6detail17trampoline_kernelINS0_14default_configENS1_25partition_config_selectorILNS1_17partition_subalgoE9EllbEEZZNS1_14partition_implILS5_9ELb0ES3_jPlS8_PNS0_10empty_typeENS0_5tupleIJS8_S9_EEENSB_IJS8_SA_EEENS0_18inequality_wrapperIZN2at6native12_GLOBAL__N_124unique_dim_cuda_templateIaEESt5tupleIJNSF_6TensorESK_SK_EERKSK_lbbbEUlllE0_EEPmJS9_EEE10hipError_tPvRmT3_T4_T5_T6_T7_T9_mT8_P12ihipStream_tbDpT10_ENKUlT_T0_E_clISt17integral_constantIbLb1EES19_IbLb0EEEEDaS15_S16_EUlS15_E_NS1_11comp_targetILNS1_3genE4ELNS1_11target_archE910ELNS1_3gpuE8ELNS1_3repE0EEENS1_30default_config_static_selectorELNS0_4arch9wavefront6targetE1EEEvT1_.uses_vcc, 0
	.set _ZN7rocprim17ROCPRIM_400000_NS6detail17trampoline_kernelINS0_14default_configENS1_25partition_config_selectorILNS1_17partition_subalgoE9EllbEEZZNS1_14partition_implILS5_9ELb0ES3_jPlS8_PNS0_10empty_typeENS0_5tupleIJS8_S9_EEENSB_IJS8_SA_EEENS0_18inequality_wrapperIZN2at6native12_GLOBAL__N_124unique_dim_cuda_templateIaEESt5tupleIJNSF_6TensorESK_SK_EERKSK_lbbbEUlllE0_EEPmJS9_EEE10hipError_tPvRmT3_T4_T5_T6_T7_T9_mT8_P12ihipStream_tbDpT10_ENKUlT_T0_E_clISt17integral_constantIbLb1EES19_IbLb0EEEEDaS15_S16_EUlS15_E_NS1_11comp_targetILNS1_3genE4ELNS1_11target_archE910ELNS1_3gpuE8ELNS1_3repE0EEENS1_30default_config_static_selectorELNS0_4arch9wavefront6targetE1EEEvT1_.uses_flat_scratch, 0
	.set _ZN7rocprim17ROCPRIM_400000_NS6detail17trampoline_kernelINS0_14default_configENS1_25partition_config_selectorILNS1_17partition_subalgoE9EllbEEZZNS1_14partition_implILS5_9ELb0ES3_jPlS8_PNS0_10empty_typeENS0_5tupleIJS8_S9_EEENSB_IJS8_SA_EEENS0_18inequality_wrapperIZN2at6native12_GLOBAL__N_124unique_dim_cuda_templateIaEESt5tupleIJNSF_6TensorESK_SK_EERKSK_lbbbEUlllE0_EEPmJS9_EEE10hipError_tPvRmT3_T4_T5_T6_T7_T9_mT8_P12ihipStream_tbDpT10_ENKUlT_T0_E_clISt17integral_constantIbLb1EES19_IbLb0EEEEDaS15_S16_EUlS15_E_NS1_11comp_targetILNS1_3genE4ELNS1_11target_archE910ELNS1_3gpuE8ELNS1_3repE0EEENS1_30default_config_static_selectorELNS0_4arch9wavefront6targetE1EEEvT1_.has_dyn_sized_stack, 0
	.set _ZN7rocprim17ROCPRIM_400000_NS6detail17trampoline_kernelINS0_14default_configENS1_25partition_config_selectorILNS1_17partition_subalgoE9EllbEEZZNS1_14partition_implILS5_9ELb0ES3_jPlS8_PNS0_10empty_typeENS0_5tupleIJS8_S9_EEENSB_IJS8_SA_EEENS0_18inequality_wrapperIZN2at6native12_GLOBAL__N_124unique_dim_cuda_templateIaEESt5tupleIJNSF_6TensorESK_SK_EERKSK_lbbbEUlllE0_EEPmJS9_EEE10hipError_tPvRmT3_T4_T5_T6_T7_T9_mT8_P12ihipStream_tbDpT10_ENKUlT_T0_E_clISt17integral_constantIbLb1EES19_IbLb0EEEEDaS15_S16_EUlS15_E_NS1_11comp_targetILNS1_3genE4ELNS1_11target_archE910ELNS1_3gpuE8ELNS1_3repE0EEENS1_30default_config_static_selectorELNS0_4arch9wavefront6targetE1EEEvT1_.has_recursion, 0
	.set _ZN7rocprim17ROCPRIM_400000_NS6detail17trampoline_kernelINS0_14default_configENS1_25partition_config_selectorILNS1_17partition_subalgoE9EllbEEZZNS1_14partition_implILS5_9ELb0ES3_jPlS8_PNS0_10empty_typeENS0_5tupleIJS8_S9_EEENSB_IJS8_SA_EEENS0_18inequality_wrapperIZN2at6native12_GLOBAL__N_124unique_dim_cuda_templateIaEESt5tupleIJNSF_6TensorESK_SK_EERKSK_lbbbEUlllE0_EEPmJS9_EEE10hipError_tPvRmT3_T4_T5_T6_T7_T9_mT8_P12ihipStream_tbDpT10_ENKUlT_T0_E_clISt17integral_constantIbLb1EES19_IbLb0EEEEDaS15_S16_EUlS15_E_NS1_11comp_targetILNS1_3genE4ELNS1_11target_archE910ELNS1_3gpuE8ELNS1_3repE0EEENS1_30default_config_static_selectorELNS0_4arch9wavefront6targetE1EEEvT1_.has_indirect_call, 0
	.section	.AMDGPU.csdata,"",@progbits
; Kernel info:
; codeLenInByte = 0
; TotalNumSgprs: 6
; NumVgprs: 0
; NumAgprs: 0
; TotalNumVgprs: 0
; ScratchSize: 0
; MemoryBound: 0
; FloatMode: 240
; IeeeMode: 1
; LDSByteSize: 0 bytes/workgroup (compile time only)
; SGPRBlocks: 0
; VGPRBlocks: 0
; NumSGPRsForWavesPerEU: 6
; NumVGPRsForWavesPerEU: 1
; AccumOffset: 4
; Occupancy: 8
; WaveLimiterHint : 0
; COMPUTE_PGM_RSRC2:SCRATCH_EN: 0
; COMPUTE_PGM_RSRC2:USER_SGPR: 2
; COMPUTE_PGM_RSRC2:TRAP_HANDLER: 0
; COMPUTE_PGM_RSRC2:TGID_X_EN: 1
; COMPUTE_PGM_RSRC2:TGID_Y_EN: 0
; COMPUTE_PGM_RSRC2:TGID_Z_EN: 0
; COMPUTE_PGM_RSRC2:TIDIG_COMP_CNT: 0
; COMPUTE_PGM_RSRC3_GFX90A:ACCUM_OFFSET: 0
; COMPUTE_PGM_RSRC3_GFX90A:TG_SPLIT: 0
	.section	.text._ZN7rocprim17ROCPRIM_400000_NS6detail17trampoline_kernelINS0_14default_configENS1_25partition_config_selectorILNS1_17partition_subalgoE9EllbEEZZNS1_14partition_implILS5_9ELb0ES3_jPlS8_PNS0_10empty_typeENS0_5tupleIJS8_S9_EEENSB_IJS8_SA_EEENS0_18inequality_wrapperIZN2at6native12_GLOBAL__N_124unique_dim_cuda_templateIaEESt5tupleIJNSF_6TensorESK_SK_EERKSK_lbbbEUlllE0_EEPmJS9_EEE10hipError_tPvRmT3_T4_T5_T6_T7_T9_mT8_P12ihipStream_tbDpT10_ENKUlT_T0_E_clISt17integral_constantIbLb1EES19_IbLb0EEEEDaS15_S16_EUlS15_E_NS1_11comp_targetILNS1_3genE3ELNS1_11target_archE908ELNS1_3gpuE7ELNS1_3repE0EEENS1_30default_config_static_selectorELNS0_4arch9wavefront6targetE1EEEvT1_,"axG",@progbits,_ZN7rocprim17ROCPRIM_400000_NS6detail17trampoline_kernelINS0_14default_configENS1_25partition_config_selectorILNS1_17partition_subalgoE9EllbEEZZNS1_14partition_implILS5_9ELb0ES3_jPlS8_PNS0_10empty_typeENS0_5tupleIJS8_S9_EEENSB_IJS8_SA_EEENS0_18inequality_wrapperIZN2at6native12_GLOBAL__N_124unique_dim_cuda_templateIaEESt5tupleIJNSF_6TensorESK_SK_EERKSK_lbbbEUlllE0_EEPmJS9_EEE10hipError_tPvRmT3_T4_T5_T6_T7_T9_mT8_P12ihipStream_tbDpT10_ENKUlT_T0_E_clISt17integral_constantIbLb1EES19_IbLb0EEEEDaS15_S16_EUlS15_E_NS1_11comp_targetILNS1_3genE3ELNS1_11target_archE908ELNS1_3gpuE7ELNS1_3repE0EEENS1_30default_config_static_selectorELNS0_4arch9wavefront6targetE1EEEvT1_,comdat
	.globl	_ZN7rocprim17ROCPRIM_400000_NS6detail17trampoline_kernelINS0_14default_configENS1_25partition_config_selectorILNS1_17partition_subalgoE9EllbEEZZNS1_14partition_implILS5_9ELb0ES3_jPlS8_PNS0_10empty_typeENS0_5tupleIJS8_S9_EEENSB_IJS8_SA_EEENS0_18inequality_wrapperIZN2at6native12_GLOBAL__N_124unique_dim_cuda_templateIaEESt5tupleIJNSF_6TensorESK_SK_EERKSK_lbbbEUlllE0_EEPmJS9_EEE10hipError_tPvRmT3_T4_T5_T6_T7_T9_mT8_P12ihipStream_tbDpT10_ENKUlT_T0_E_clISt17integral_constantIbLb1EES19_IbLb0EEEEDaS15_S16_EUlS15_E_NS1_11comp_targetILNS1_3genE3ELNS1_11target_archE908ELNS1_3gpuE7ELNS1_3repE0EEENS1_30default_config_static_selectorELNS0_4arch9wavefront6targetE1EEEvT1_ ; -- Begin function _ZN7rocprim17ROCPRIM_400000_NS6detail17trampoline_kernelINS0_14default_configENS1_25partition_config_selectorILNS1_17partition_subalgoE9EllbEEZZNS1_14partition_implILS5_9ELb0ES3_jPlS8_PNS0_10empty_typeENS0_5tupleIJS8_S9_EEENSB_IJS8_SA_EEENS0_18inequality_wrapperIZN2at6native12_GLOBAL__N_124unique_dim_cuda_templateIaEESt5tupleIJNSF_6TensorESK_SK_EERKSK_lbbbEUlllE0_EEPmJS9_EEE10hipError_tPvRmT3_T4_T5_T6_T7_T9_mT8_P12ihipStream_tbDpT10_ENKUlT_T0_E_clISt17integral_constantIbLb1EES19_IbLb0EEEEDaS15_S16_EUlS15_E_NS1_11comp_targetILNS1_3genE3ELNS1_11target_archE908ELNS1_3gpuE7ELNS1_3repE0EEENS1_30default_config_static_selectorELNS0_4arch9wavefront6targetE1EEEvT1_
	.p2align	8
	.type	_ZN7rocprim17ROCPRIM_400000_NS6detail17trampoline_kernelINS0_14default_configENS1_25partition_config_selectorILNS1_17partition_subalgoE9EllbEEZZNS1_14partition_implILS5_9ELb0ES3_jPlS8_PNS0_10empty_typeENS0_5tupleIJS8_S9_EEENSB_IJS8_SA_EEENS0_18inequality_wrapperIZN2at6native12_GLOBAL__N_124unique_dim_cuda_templateIaEESt5tupleIJNSF_6TensorESK_SK_EERKSK_lbbbEUlllE0_EEPmJS9_EEE10hipError_tPvRmT3_T4_T5_T6_T7_T9_mT8_P12ihipStream_tbDpT10_ENKUlT_T0_E_clISt17integral_constantIbLb1EES19_IbLb0EEEEDaS15_S16_EUlS15_E_NS1_11comp_targetILNS1_3genE3ELNS1_11target_archE908ELNS1_3gpuE7ELNS1_3repE0EEENS1_30default_config_static_selectorELNS0_4arch9wavefront6targetE1EEEvT1_,@function
_ZN7rocprim17ROCPRIM_400000_NS6detail17trampoline_kernelINS0_14default_configENS1_25partition_config_selectorILNS1_17partition_subalgoE9EllbEEZZNS1_14partition_implILS5_9ELb0ES3_jPlS8_PNS0_10empty_typeENS0_5tupleIJS8_S9_EEENSB_IJS8_SA_EEENS0_18inequality_wrapperIZN2at6native12_GLOBAL__N_124unique_dim_cuda_templateIaEESt5tupleIJNSF_6TensorESK_SK_EERKSK_lbbbEUlllE0_EEPmJS9_EEE10hipError_tPvRmT3_T4_T5_T6_T7_T9_mT8_P12ihipStream_tbDpT10_ENKUlT_T0_E_clISt17integral_constantIbLb1EES19_IbLb0EEEEDaS15_S16_EUlS15_E_NS1_11comp_targetILNS1_3genE3ELNS1_11target_archE908ELNS1_3gpuE7ELNS1_3repE0EEENS1_30default_config_static_selectorELNS0_4arch9wavefront6targetE1EEEvT1_: ; @_ZN7rocprim17ROCPRIM_400000_NS6detail17trampoline_kernelINS0_14default_configENS1_25partition_config_selectorILNS1_17partition_subalgoE9EllbEEZZNS1_14partition_implILS5_9ELb0ES3_jPlS8_PNS0_10empty_typeENS0_5tupleIJS8_S9_EEENSB_IJS8_SA_EEENS0_18inequality_wrapperIZN2at6native12_GLOBAL__N_124unique_dim_cuda_templateIaEESt5tupleIJNSF_6TensorESK_SK_EERKSK_lbbbEUlllE0_EEPmJS9_EEE10hipError_tPvRmT3_T4_T5_T6_T7_T9_mT8_P12ihipStream_tbDpT10_ENKUlT_T0_E_clISt17integral_constantIbLb1EES19_IbLb0EEEEDaS15_S16_EUlS15_E_NS1_11comp_targetILNS1_3genE3ELNS1_11target_archE908ELNS1_3gpuE7ELNS1_3repE0EEENS1_30default_config_static_selectorELNS0_4arch9wavefront6targetE1EEEvT1_
; %bb.0:
	.section	.rodata,"a",@progbits
	.p2align	6, 0x0
	.amdhsa_kernel _ZN7rocprim17ROCPRIM_400000_NS6detail17trampoline_kernelINS0_14default_configENS1_25partition_config_selectorILNS1_17partition_subalgoE9EllbEEZZNS1_14partition_implILS5_9ELb0ES3_jPlS8_PNS0_10empty_typeENS0_5tupleIJS8_S9_EEENSB_IJS8_SA_EEENS0_18inequality_wrapperIZN2at6native12_GLOBAL__N_124unique_dim_cuda_templateIaEESt5tupleIJNSF_6TensorESK_SK_EERKSK_lbbbEUlllE0_EEPmJS9_EEE10hipError_tPvRmT3_T4_T5_T6_T7_T9_mT8_P12ihipStream_tbDpT10_ENKUlT_T0_E_clISt17integral_constantIbLb1EES19_IbLb0EEEEDaS15_S16_EUlS15_E_NS1_11comp_targetILNS1_3genE3ELNS1_11target_archE908ELNS1_3gpuE7ELNS1_3repE0EEENS1_30default_config_static_selectorELNS0_4arch9wavefront6targetE1EEEvT1_
		.amdhsa_group_segment_fixed_size 0
		.amdhsa_private_segment_fixed_size 0
		.amdhsa_kernarg_size 120
		.amdhsa_user_sgpr_count 2
		.amdhsa_user_sgpr_dispatch_ptr 0
		.amdhsa_user_sgpr_queue_ptr 0
		.amdhsa_user_sgpr_kernarg_segment_ptr 1
		.amdhsa_user_sgpr_dispatch_id 0
		.amdhsa_user_sgpr_kernarg_preload_length 0
		.amdhsa_user_sgpr_kernarg_preload_offset 0
		.amdhsa_user_sgpr_private_segment_size 0
		.amdhsa_uses_dynamic_stack 0
		.amdhsa_enable_private_segment 0
		.amdhsa_system_sgpr_workgroup_id_x 1
		.amdhsa_system_sgpr_workgroup_id_y 0
		.amdhsa_system_sgpr_workgroup_id_z 0
		.amdhsa_system_sgpr_workgroup_info 0
		.amdhsa_system_vgpr_workitem_id 0
		.amdhsa_next_free_vgpr 1
		.amdhsa_next_free_sgpr 0
		.amdhsa_accum_offset 4
		.amdhsa_reserve_vcc 0
		.amdhsa_float_round_mode_32 0
		.amdhsa_float_round_mode_16_64 0
		.amdhsa_float_denorm_mode_32 3
		.amdhsa_float_denorm_mode_16_64 3
		.amdhsa_dx10_clamp 1
		.amdhsa_ieee_mode 1
		.amdhsa_fp16_overflow 0
		.amdhsa_tg_split 0
		.amdhsa_exception_fp_ieee_invalid_op 0
		.amdhsa_exception_fp_denorm_src 0
		.amdhsa_exception_fp_ieee_div_zero 0
		.amdhsa_exception_fp_ieee_overflow 0
		.amdhsa_exception_fp_ieee_underflow 0
		.amdhsa_exception_fp_ieee_inexact 0
		.amdhsa_exception_int_div_zero 0
	.end_amdhsa_kernel
	.section	.text._ZN7rocprim17ROCPRIM_400000_NS6detail17trampoline_kernelINS0_14default_configENS1_25partition_config_selectorILNS1_17partition_subalgoE9EllbEEZZNS1_14partition_implILS5_9ELb0ES3_jPlS8_PNS0_10empty_typeENS0_5tupleIJS8_S9_EEENSB_IJS8_SA_EEENS0_18inequality_wrapperIZN2at6native12_GLOBAL__N_124unique_dim_cuda_templateIaEESt5tupleIJNSF_6TensorESK_SK_EERKSK_lbbbEUlllE0_EEPmJS9_EEE10hipError_tPvRmT3_T4_T5_T6_T7_T9_mT8_P12ihipStream_tbDpT10_ENKUlT_T0_E_clISt17integral_constantIbLb1EES19_IbLb0EEEEDaS15_S16_EUlS15_E_NS1_11comp_targetILNS1_3genE3ELNS1_11target_archE908ELNS1_3gpuE7ELNS1_3repE0EEENS1_30default_config_static_selectorELNS0_4arch9wavefront6targetE1EEEvT1_,"axG",@progbits,_ZN7rocprim17ROCPRIM_400000_NS6detail17trampoline_kernelINS0_14default_configENS1_25partition_config_selectorILNS1_17partition_subalgoE9EllbEEZZNS1_14partition_implILS5_9ELb0ES3_jPlS8_PNS0_10empty_typeENS0_5tupleIJS8_S9_EEENSB_IJS8_SA_EEENS0_18inequality_wrapperIZN2at6native12_GLOBAL__N_124unique_dim_cuda_templateIaEESt5tupleIJNSF_6TensorESK_SK_EERKSK_lbbbEUlllE0_EEPmJS9_EEE10hipError_tPvRmT3_T4_T5_T6_T7_T9_mT8_P12ihipStream_tbDpT10_ENKUlT_T0_E_clISt17integral_constantIbLb1EES19_IbLb0EEEEDaS15_S16_EUlS15_E_NS1_11comp_targetILNS1_3genE3ELNS1_11target_archE908ELNS1_3gpuE7ELNS1_3repE0EEENS1_30default_config_static_selectorELNS0_4arch9wavefront6targetE1EEEvT1_,comdat
.Lfunc_end370:
	.size	_ZN7rocprim17ROCPRIM_400000_NS6detail17trampoline_kernelINS0_14default_configENS1_25partition_config_selectorILNS1_17partition_subalgoE9EllbEEZZNS1_14partition_implILS5_9ELb0ES3_jPlS8_PNS0_10empty_typeENS0_5tupleIJS8_S9_EEENSB_IJS8_SA_EEENS0_18inequality_wrapperIZN2at6native12_GLOBAL__N_124unique_dim_cuda_templateIaEESt5tupleIJNSF_6TensorESK_SK_EERKSK_lbbbEUlllE0_EEPmJS9_EEE10hipError_tPvRmT3_T4_T5_T6_T7_T9_mT8_P12ihipStream_tbDpT10_ENKUlT_T0_E_clISt17integral_constantIbLb1EES19_IbLb0EEEEDaS15_S16_EUlS15_E_NS1_11comp_targetILNS1_3genE3ELNS1_11target_archE908ELNS1_3gpuE7ELNS1_3repE0EEENS1_30default_config_static_selectorELNS0_4arch9wavefront6targetE1EEEvT1_, .Lfunc_end370-_ZN7rocprim17ROCPRIM_400000_NS6detail17trampoline_kernelINS0_14default_configENS1_25partition_config_selectorILNS1_17partition_subalgoE9EllbEEZZNS1_14partition_implILS5_9ELb0ES3_jPlS8_PNS0_10empty_typeENS0_5tupleIJS8_S9_EEENSB_IJS8_SA_EEENS0_18inequality_wrapperIZN2at6native12_GLOBAL__N_124unique_dim_cuda_templateIaEESt5tupleIJNSF_6TensorESK_SK_EERKSK_lbbbEUlllE0_EEPmJS9_EEE10hipError_tPvRmT3_T4_T5_T6_T7_T9_mT8_P12ihipStream_tbDpT10_ENKUlT_T0_E_clISt17integral_constantIbLb1EES19_IbLb0EEEEDaS15_S16_EUlS15_E_NS1_11comp_targetILNS1_3genE3ELNS1_11target_archE908ELNS1_3gpuE7ELNS1_3repE0EEENS1_30default_config_static_selectorELNS0_4arch9wavefront6targetE1EEEvT1_
                                        ; -- End function
	.set _ZN7rocprim17ROCPRIM_400000_NS6detail17trampoline_kernelINS0_14default_configENS1_25partition_config_selectorILNS1_17partition_subalgoE9EllbEEZZNS1_14partition_implILS5_9ELb0ES3_jPlS8_PNS0_10empty_typeENS0_5tupleIJS8_S9_EEENSB_IJS8_SA_EEENS0_18inequality_wrapperIZN2at6native12_GLOBAL__N_124unique_dim_cuda_templateIaEESt5tupleIJNSF_6TensorESK_SK_EERKSK_lbbbEUlllE0_EEPmJS9_EEE10hipError_tPvRmT3_T4_T5_T6_T7_T9_mT8_P12ihipStream_tbDpT10_ENKUlT_T0_E_clISt17integral_constantIbLb1EES19_IbLb0EEEEDaS15_S16_EUlS15_E_NS1_11comp_targetILNS1_3genE3ELNS1_11target_archE908ELNS1_3gpuE7ELNS1_3repE0EEENS1_30default_config_static_selectorELNS0_4arch9wavefront6targetE1EEEvT1_.num_vgpr, 0
	.set _ZN7rocprim17ROCPRIM_400000_NS6detail17trampoline_kernelINS0_14default_configENS1_25partition_config_selectorILNS1_17partition_subalgoE9EllbEEZZNS1_14partition_implILS5_9ELb0ES3_jPlS8_PNS0_10empty_typeENS0_5tupleIJS8_S9_EEENSB_IJS8_SA_EEENS0_18inequality_wrapperIZN2at6native12_GLOBAL__N_124unique_dim_cuda_templateIaEESt5tupleIJNSF_6TensorESK_SK_EERKSK_lbbbEUlllE0_EEPmJS9_EEE10hipError_tPvRmT3_T4_T5_T6_T7_T9_mT8_P12ihipStream_tbDpT10_ENKUlT_T0_E_clISt17integral_constantIbLb1EES19_IbLb0EEEEDaS15_S16_EUlS15_E_NS1_11comp_targetILNS1_3genE3ELNS1_11target_archE908ELNS1_3gpuE7ELNS1_3repE0EEENS1_30default_config_static_selectorELNS0_4arch9wavefront6targetE1EEEvT1_.num_agpr, 0
	.set _ZN7rocprim17ROCPRIM_400000_NS6detail17trampoline_kernelINS0_14default_configENS1_25partition_config_selectorILNS1_17partition_subalgoE9EllbEEZZNS1_14partition_implILS5_9ELb0ES3_jPlS8_PNS0_10empty_typeENS0_5tupleIJS8_S9_EEENSB_IJS8_SA_EEENS0_18inequality_wrapperIZN2at6native12_GLOBAL__N_124unique_dim_cuda_templateIaEESt5tupleIJNSF_6TensorESK_SK_EERKSK_lbbbEUlllE0_EEPmJS9_EEE10hipError_tPvRmT3_T4_T5_T6_T7_T9_mT8_P12ihipStream_tbDpT10_ENKUlT_T0_E_clISt17integral_constantIbLb1EES19_IbLb0EEEEDaS15_S16_EUlS15_E_NS1_11comp_targetILNS1_3genE3ELNS1_11target_archE908ELNS1_3gpuE7ELNS1_3repE0EEENS1_30default_config_static_selectorELNS0_4arch9wavefront6targetE1EEEvT1_.numbered_sgpr, 0
	.set _ZN7rocprim17ROCPRIM_400000_NS6detail17trampoline_kernelINS0_14default_configENS1_25partition_config_selectorILNS1_17partition_subalgoE9EllbEEZZNS1_14partition_implILS5_9ELb0ES3_jPlS8_PNS0_10empty_typeENS0_5tupleIJS8_S9_EEENSB_IJS8_SA_EEENS0_18inequality_wrapperIZN2at6native12_GLOBAL__N_124unique_dim_cuda_templateIaEESt5tupleIJNSF_6TensorESK_SK_EERKSK_lbbbEUlllE0_EEPmJS9_EEE10hipError_tPvRmT3_T4_T5_T6_T7_T9_mT8_P12ihipStream_tbDpT10_ENKUlT_T0_E_clISt17integral_constantIbLb1EES19_IbLb0EEEEDaS15_S16_EUlS15_E_NS1_11comp_targetILNS1_3genE3ELNS1_11target_archE908ELNS1_3gpuE7ELNS1_3repE0EEENS1_30default_config_static_selectorELNS0_4arch9wavefront6targetE1EEEvT1_.num_named_barrier, 0
	.set _ZN7rocprim17ROCPRIM_400000_NS6detail17trampoline_kernelINS0_14default_configENS1_25partition_config_selectorILNS1_17partition_subalgoE9EllbEEZZNS1_14partition_implILS5_9ELb0ES3_jPlS8_PNS0_10empty_typeENS0_5tupleIJS8_S9_EEENSB_IJS8_SA_EEENS0_18inequality_wrapperIZN2at6native12_GLOBAL__N_124unique_dim_cuda_templateIaEESt5tupleIJNSF_6TensorESK_SK_EERKSK_lbbbEUlllE0_EEPmJS9_EEE10hipError_tPvRmT3_T4_T5_T6_T7_T9_mT8_P12ihipStream_tbDpT10_ENKUlT_T0_E_clISt17integral_constantIbLb1EES19_IbLb0EEEEDaS15_S16_EUlS15_E_NS1_11comp_targetILNS1_3genE3ELNS1_11target_archE908ELNS1_3gpuE7ELNS1_3repE0EEENS1_30default_config_static_selectorELNS0_4arch9wavefront6targetE1EEEvT1_.private_seg_size, 0
	.set _ZN7rocprim17ROCPRIM_400000_NS6detail17trampoline_kernelINS0_14default_configENS1_25partition_config_selectorILNS1_17partition_subalgoE9EllbEEZZNS1_14partition_implILS5_9ELb0ES3_jPlS8_PNS0_10empty_typeENS0_5tupleIJS8_S9_EEENSB_IJS8_SA_EEENS0_18inequality_wrapperIZN2at6native12_GLOBAL__N_124unique_dim_cuda_templateIaEESt5tupleIJNSF_6TensorESK_SK_EERKSK_lbbbEUlllE0_EEPmJS9_EEE10hipError_tPvRmT3_T4_T5_T6_T7_T9_mT8_P12ihipStream_tbDpT10_ENKUlT_T0_E_clISt17integral_constantIbLb1EES19_IbLb0EEEEDaS15_S16_EUlS15_E_NS1_11comp_targetILNS1_3genE3ELNS1_11target_archE908ELNS1_3gpuE7ELNS1_3repE0EEENS1_30default_config_static_selectorELNS0_4arch9wavefront6targetE1EEEvT1_.uses_vcc, 0
	.set _ZN7rocprim17ROCPRIM_400000_NS6detail17trampoline_kernelINS0_14default_configENS1_25partition_config_selectorILNS1_17partition_subalgoE9EllbEEZZNS1_14partition_implILS5_9ELb0ES3_jPlS8_PNS0_10empty_typeENS0_5tupleIJS8_S9_EEENSB_IJS8_SA_EEENS0_18inequality_wrapperIZN2at6native12_GLOBAL__N_124unique_dim_cuda_templateIaEESt5tupleIJNSF_6TensorESK_SK_EERKSK_lbbbEUlllE0_EEPmJS9_EEE10hipError_tPvRmT3_T4_T5_T6_T7_T9_mT8_P12ihipStream_tbDpT10_ENKUlT_T0_E_clISt17integral_constantIbLb1EES19_IbLb0EEEEDaS15_S16_EUlS15_E_NS1_11comp_targetILNS1_3genE3ELNS1_11target_archE908ELNS1_3gpuE7ELNS1_3repE0EEENS1_30default_config_static_selectorELNS0_4arch9wavefront6targetE1EEEvT1_.uses_flat_scratch, 0
	.set _ZN7rocprim17ROCPRIM_400000_NS6detail17trampoline_kernelINS0_14default_configENS1_25partition_config_selectorILNS1_17partition_subalgoE9EllbEEZZNS1_14partition_implILS5_9ELb0ES3_jPlS8_PNS0_10empty_typeENS0_5tupleIJS8_S9_EEENSB_IJS8_SA_EEENS0_18inequality_wrapperIZN2at6native12_GLOBAL__N_124unique_dim_cuda_templateIaEESt5tupleIJNSF_6TensorESK_SK_EERKSK_lbbbEUlllE0_EEPmJS9_EEE10hipError_tPvRmT3_T4_T5_T6_T7_T9_mT8_P12ihipStream_tbDpT10_ENKUlT_T0_E_clISt17integral_constantIbLb1EES19_IbLb0EEEEDaS15_S16_EUlS15_E_NS1_11comp_targetILNS1_3genE3ELNS1_11target_archE908ELNS1_3gpuE7ELNS1_3repE0EEENS1_30default_config_static_selectorELNS0_4arch9wavefront6targetE1EEEvT1_.has_dyn_sized_stack, 0
	.set _ZN7rocprim17ROCPRIM_400000_NS6detail17trampoline_kernelINS0_14default_configENS1_25partition_config_selectorILNS1_17partition_subalgoE9EllbEEZZNS1_14partition_implILS5_9ELb0ES3_jPlS8_PNS0_10empty_typeENS0_5tupleIJS8_S9_EEENSB_IJS8_SA_EEENS0_18inequality_wrapperIZN2at6native12_GLOBAL__N_124unique_dim_cuda_templateIaEESt5tupleIJNSF_6TensorESK_SK_EERKSK_lbbbEUlllE0_EEPmJS9_EEE10hipError_tPvRmT3_T4_T5_T6_T7_T9_mT8_P12ihipStream_tbDpT10_ENKUlT_T0_E_clISt17integral_constantIbLb1EES19_IbLb0EEEEDaS15_S16_EUlS15_E_NS1_11comp_targetILNS1_3genE3ELNS1_11target_archE908ELNS1_3gpuE7ELNS1_3repE0EEENS1_30default_config_static_selectorELNS0_4arch9wavefront6targetE1EEEvT1_.has_recursion, 0
	.set _ZN7rocprim17ROCPRIM_400000_NS6detail17trampoline_kernelINS0_14default_configENS1_25partition_config_selectorILNS1_17partition_subalgoE9EllbEEZZNS1_14partition_implILS5_9ELb0ES3_jPlS8_PNS0_10empty_typeENS0_5tupleIJS8_S9_EEENSB_IJS8_SA_EEENS0_18inequality_wrapperIZN2at6native12_GLOBAL__N_124unique_dim_cuda_templateIaEESt5tupleIJNSF_6TensorESK_SK_EERKSK_lbbbEUlllE0_EEPmJS9_EEE10hipError_tPvRmT3_T4_T5_T6_T7_T9_mT8_P12ihipStream_tbDpT10_ENKUlT_T0_E_clISt17integral_constantIbLb1EES19_IbLb0EEEEDaS15_S16_EUlS15_E_NS1_11comp_targetILNS1_3genE3ELNS1_11target_archE908ELNS1_3gpuE7ELNS1_3repE0EEENS1_30default_config_static_selectorELNS0_4arch9wavefront6targetE1EEEvT1_.has_indirect_call, 0
	.section	.AMDGPU.csdata,"",@progbits
; Kernel info:
; codeLenInByte = 0
; TotalNumSgprs: 6
; NumVgprs: 0
; NumAgprs: 0
; TotalNumVgprs: 0
; ScratchSize: 0
; MemoryBound: 0
; FloatMode: 240
; IeeeMode: 1
; LDSByteSize: 0 bytes/workgroup (compile time only)
; SGPRBlocks: 0
; VGPRBlocks: 0
; NumSGPRsForWavesPerEU: 6
; NumVGPRsForWavesPerEU: 1
; AccumOffset: 4
; Occupancy: 8
; WaveLimiterHint : 0
; COMPUTE_PGM_RSRC2:SCRATCH_EN: 0
; COMPUTE_PGM_RSRC2:USER_SGPR: 2
; COMPUTE_PGM_RSRC2:TRAP_HANDLER: 0
; COMPUTE_PGM_RSRC2:TGID_X_EN: 1
; COMPUTE_PGM_RSRC2:TGID_Y_EN: 0
; COMPUTE_PGM_RSRC2:TGID_Z_EN: 0
; COMPUTE_PGM_RSRC2:TIDIG_COMP_CNT: 0
; COMPUTE_PGM_RSRC3_GFX90A:ACCUM_OFFSET: 0
; COMPUTE_PGM_RSRC3_GFX90A:TG_SPLIT: 0
	.section	.text._ZN7rocprim17ROCPRIM_400000_NS6detail17trampoline_kernelINS0_14default_configENS1_25partition_config_selectorILNS1_17partition_subalgoE9EllbEEZZNS1_14partition_implILS5_9ELb0ES3_jPlS8_PNS0_10empty_typeENS0_5tupleIJS8_S9_EEENSB_IJS8_SA_EEENS0_18inequality_wrapperIZN2at6native12_GLOBAL__N_124unique_dim_cuda_templateIaEESt5tupleIJNSF_6TensorESK_SK_EERKSK_lbbbEUlllE0_EEPmJS9_EEE10hipError_tPvRmT3_T4_T5_T6_T7_T9_mT8_P12ihipStream_tbDpT10_ENKUlT_T0_E_clISt17integral_constantIbLb1EES19_IbLb0EEEEDaS15_S16_EUlS15_E_NS1_11comp_targetILNS1_3genE2ELNS1_11target_archE906ELNS1_3gpuE6ELNS1_3repE0EEENS1_30default_config_static_selectorELNS0_4arch9wavefront6targetE1EEEvT1_,"axG",@progbits,_ZN7rocprim17ROCPRIM_400000_NS6detail17trampoline_kernelINS0_14default_configENS1_25partition_config_selectorILNS1_17partition_subalgoE9EllbEEZZNS1_14partition_implILS5_9ELb0ES3_jPlS8_PNS0_10empty_typeENS0_5tupleIJS8_S9_EEENSB_IJS8_SA_EEENS0_18inequality_wrapperIZN2at6native12_GLOBAL__N_124unique_dim_cuda_templateIaEESt5tupleIJNSF_6TensorESK_SK_EERKSK_lbbbEUlllE0_EEPmJS9_EEE10hipError_tPvRmT3_T4_T5_T6_T7_T9_mT8_P12ihipStream_tbDpT10_ENKUlT_T0_E_clISt17integral_constantIbLb1EES19_IbLb0EEEEDaS15_S16_EUlS15_E_NS1_11comp_targetILNS1_3genE2ELNS1_11target_archE906ELNS1_3gpuE6ELNS1_3repE0EEENS1_30default_config_static_selectorELNS0_4arch9wavefront6targetE1EEEvT1_,comdat
	.globl	_ZN7rocprim17ROCPRIM_400000_NS6detail17trampoline_kernelINS0_14default_configENS1_25partition_config_selectorILNS1_17partition_subalgoE9EllbEEZZNS1_14partition_implILS5_9ELb0ES3_jPlS8_PNS0_10empty_typeENS0_5tupleIJS8_S9_EEENSB_IJS8_SA_EEENS0_18inequality_wrapperIZN2at6native12_GLOBAL__N_124unique_dim_cuda_templateIaEESt5tupleIJNSF_6TensorESK_SK_EERKSK_lbbbEUlllE0_EEPmJS9_EEE10hipError_tPvRmT3_T4_T5_T6_T7_T9_mT8_P12ihipStream_tbDpT10_ENKUlT_T0_E_clISt17integral_constantIbLb1EES19_IbLb0EEEEDaS15_S16_EUlS15_E_NS1_11comp_targetILNS1_3genE2ELNS1_11target_archE906ELNS1_3gpuE6ELNS1_3repE0EEENS1_30default_config_static_selectorELNS0_4arch9wavefront6targetE1EEEvT1_ ; -- Begin function _ZN7rocprim17ROCPRIM_400000_NS6detail17trampoline_kernelINS0_14default_configENS1_25partition_config_selectorILNS1_17partition_subalgoE9EllbEEZZNS1_14partition_implILS5_9ELb0ES3_jPlS8_PNS0_10empty_typeENS0_5tupleIJS8_S9_EEENSB_IJS8_SA_EEENS0_18inequality_wrapperIZN2at6native12_GLOBAL__N_124unique_dim_cuda_templateIaEESt5tupleIJNSF_6TensorESK_SK_EERKSK_lbbbEUlllE0_EEPmJS9_EEE10hipError_tPvRmT3_T4_T5_T6_T7_T9_mT8_P12ihipStream_tbDpT10_ENKUlT_T0_E_clISt17integral_constantIbLb1EES19_IbLb0EEEEDaS15_S16_EUlS15_E_NS1_11comp_targetILNS1_3genE2ELNS1_11target_archE906ELNS1_3gpuE6ELNS1_3repE0EEENS1_30default_config_static_selectorELNS0_4arch9wavefront6targetE1EEEvT1_
	.p2align	8
	.type	_ZN7rocprim17ROCPRIM_400000_NS6detail17trampoline_kernelINS0_14default_configENS1_25partition_config_selectorILNS1_17partition_subalgoE9EllbEEZZNS1_14partition_implILS5_9ELb0ES3_jPlS8_PNS0_10empty_typeENS0_5tupleIJS8_S9_EEENSB_IJS8_SA_EEENS0_18inequality_wrapperIZN2at6native12_GLOBAL__N_124unique_dim_cuda_templateIaEESt5tupleIJNSF_6TensorESK_SK_EERKSK_lbbbEUlllE0_EEPmJS9_EEE10hipError_tPvRmT3_T4_T5_T6_T7_T9_mT8_P12ihipStream_tbDpT10_ENKUlT_T0_E_clISt17integral_constantIbLb1EES19_IbLb0EEEEDaS15_S16_EUlS15_E_NS1_11comp_targetILNS1_3genE2ELNS1_11target_archE906ELNS1_3gpuE6ELNS1_3repE0EEENS1_30default_config_static_selectorELNS0_4arch9wavefront6targetE1EEEvT1_,@function
_ZN7rocprim17ROCPRIM_400000_NS6detail17trampoline_kernelINS0_14default_configENS1_25partition_config_selectorILNS1_17partition_subalgoE9EllbEEZZNS1_14partition_implILS5_9ELb0ES3_jPlS8_PNS0_10empty_typeENS0_5tupleIJS8_S9_EEENSB_IJS8_SA_EEENS0_18inequality_wrapperIZN2at6native12_GLOBAL__N_124unique_dim_cuda_templateIaEESt5tupleIJNSF_6TensorESK_SK_EERKSK_lbbbEUlllE0_EEPmJS9_EEE10hipError_tPvRmT3_T4_T5_T6_T7_T9_mT8_P12ihipStream_tbDpT10_ENKUlT_T0_E_clISt17integral_constantIbLb1EES19_IbLb0EEEEDaS15_S16_EUlS15_E_NS1_11comp_targetILNS1_3genE2ELNS1_11target_archE906ELNS1_3gpuE6ELNS1_3repE0EEENS1_30default_config_static_selectorELNS0_4arch9wavefront6targetE1EEEvT1_: ; @_ZN7rocprim17ROCPRIM_400000_NS6detail17trampoline_kernelINS0_14default_configENS1_25partition_config_selectorILNS1_17partition_subalgoE9EllbEEZZNS1_14partition_implILS5_9ELb0ES3_jPlS8_PNS0_10empty_typeENS0_5tupleIJS8_S9_EEENSB_IJS8_SA_EEENS0_18inequality_wrapperIZN2at6native12_GLOBAL__N_124unique_dim_cuda_templateIaEESt5tupleIJNSF_6TensorESK_SK_EERKSK_lbbbEUlllE0_EEPmJS9_EEE10hipError_tPvRmT3_T4_T5_T6_T7_T9_mT8_P12ihipStream_tbDpT10_ENKUlT_T0_E_clISt17integral_constantIbLb1EES19_IbLb0EEEEDaS15_S16_EUlS15_E_NS1_11comp_targetILNS1_3genE2ELNS1_11target_archE906ELNS1_3gpuE6ELNS1_3repE0EEENS1_30default_config_static_selectorELNS0_4arch9wavefront6targetE1EEEvT1_
; %bb.0:
	.section	.rodata,"a",@progbits
	.p2align	6, 0x0
	.amdhsa_kernel _ZN7rocprim17ROCPRIM_400000_NS6detail17trampoline_kernelINS0_14default_configENS1_25partition_config_selectorILNS1_17partition_subalgoE9EllbEEZZNS1_14partition_implILS5_9ELb0ES3_jPlS8_PNS0_10empty_typeENS0_5tupleIJS8_S9_EEENSB_IJS8_SA_EEENS0_18inequality_wrapperIZN2at6native12_GLOBAL__N_124unique_dim_cuda_templateIaEESt5tupleIJNSF_6TensorESK_SK_EERKSK_lbbbEUlllE0_EEPmJS9_EEE10hipError_tPvRmT3_T4_T5_T6_T7_T9_mT8_P12ihipStream_tbDpT10_ENKUlT_T0_E_clISt17integral_constantIbLb1EES19_IbLb0EEEEDaS15_S16_EUlS15_E_NS1_11comp_targetILNS1_3genE2ELNS1_11target_archE906ELNS1_3gpuE6ELNS1_3repE0EEENS1_30default_config_static_selectorELNS0_4arch9wavefront6targetE1EEEvT1_
		.amdhsa_group_segment_fixed_size 0
		.amdhsa_private_segment_fixed_size 0
		.amdhsa_kernarg_size 120
		.amdhsa_user_sgpr_count 2
		.amdhsa_user_sgpr_dispatch_ptr 0
		.amdhsa_user_sgpr_queue_ptr 0
		.amdhsa_user_sgpr_kernarg_segment_ptr 1
		.amdhsa_user_sgpr_dispatch_id 0
		.amdhsa_user_sgpr_kernarg_preload_length 0
		.amdhsa_user_sgpr_kernarg_preload_offset 0
		.amdhsa_user_sgpr_private_segment_size 0
		.amdhsa_uses_dynamic_stack 0
		.amdhsa_enable_private_segment 0
		.amdhsa_system_sgpr_workgroup_id_x 1
		.amdhsa_system_sgpr_workgroup_id_y 0
		.amdhsa_system_sgpr_workgroup_id_z 0
		.amdhsa_system_sgpr_workgroup_info 0
		.amdhsa_system_vgpr_workitem_id 0
		.amdhsa_next_free_vgpr 1
		.amdhsa_next_free_sgpr 0
		.amdhsa_accum_offset 4
		.amdhsa_reserve_vcc 0
		.amdhsa_float_round_mode_32 0
		.amdhsa_float_round_mode_16_64 0
		.amdhsa_float_denorm_mode_32 3
		.amdhsa_float_denorm_mode_16_64 3
		.amdhsa_dx10_clamp 1
		.amdhsa_ieee_mode 1
		.amdhsa_fp16_overflow 0
		.amdhsa_tg_split 0
		.amdhsa_exception_fp_ieee_invalid_op 0
		.amdhsa_exception_fp_denorm_src 0
		.amdhsa_exception_fp_ieee_div_zero 0
		.amdhsa_exception_fp_ieee_overflow 0
		.amdhsa_exception_fp_ieee_underflow 0
		.amdhsa_exception_fp_ieee_inexact 0
		.amdhsa_exception_int_div_zero 0
	.end_amdhsa_kernel
	.section	.text._ZN7rocprim17ROCPRIM_400000_NS6detail17trampoline_kernelINS0_14default_configENS1_25partition_config_selectorILNS1_17partition_subalgoE9EllbEEZZNS1_14partition_implILS5_9ELb0ES3_jPlS8_PNS0_10empty_typeENS0_5tupleIJS8_S9_EEENSB_IJS8_SA_EEENS0_18inequality_wrapperIZN2at6native12_GLOBAL__N_124unique_dim_cuda_templateIaEESt5tupleIJNSF_6TensorESK_SK_EERKSK_lbbbEUlllE0_EEPmJS9_EEE10hipError_tPvRmT3_T4_T5_T6_T7_T9_mT8_P12ihipStream_tbDpT10_ENKUlT_T0_E_clISt17integral_constantIbLb1EES19_IbLb0EEEEDaS15_S16_EUlS15_E_NS1_11comp_targetILNS1_3genE2ELNS1_11target_archE906ELNS1_3gpuE6ELNS1_3repE0EEENS1_30default_config_static_selectorELNS0_4arch9wavefront6targetE1EEEvT1_,"axG",@progbits,_ZN7rocprim17ROCPRIM_400000_NS6detail17trampoline_kernelINS0_14default_configENS1_25partition_config_selectorILNS1_17partition_subalgoE9EllbEEZZNS1_14partition_implILS5_9ELb0ES3_jPlS8_PNS0_10empty_typeENS0_5tupleIJS8_S9_EEENSB_IJS8_SA_EEENS0_18inequality_wrapperIZN2at6native12_GLOBAL__N_124unique_dim_cuda_templateIaEESt5tupleIJNSF_6TensorESK_SK_EERKSK_lbbbEUlllE0_EEPmJS9_EEE10hipError_tPvRmT3_T4_T5_T6_T7_T9_mT8_P12ihipStream_tbDpT10_ENKUlT_T0_E_clISt17integral_constantIbLb1EES19_IbLb0EEEEDaS15_S16_EUlS15_E_NS1_11comp_targetILNS1_3genE2ELNS1_11target_archE906ELNS1_3gpuE6ELNS1_3repE0EEENS1_30default_config_static_selectorELNS0_4arch9wavefront6targetE1EEEvT1_,comdat
.Lfunc_end371:
	.size	_ZN7rocprim17ROCPRIM_400000_NS6detail17trampoline_kernelINS0_14default_configENS1_25partition_config_selectorILNS1_17partition_subalgoE9EllbEEZZNS1_14partition_implILS5_9ELb0ES3_jPlS8_PNS0_10empty_typeENS0_5tupleIJS8_S9_EEENSB_IJS8_SA_EEENS0_18inequality_wrapperIZN2at6native12_GLOBAL__N_124unique_dim_cuda_templateIaEESt5tupleIJNSF_6TensorESK_SK_EERKSK_lbbbEUlllE0_EEPmJS9_EEE10hipError_tPvRmT3_T4_T5_T6_T7_T9_mT8_P12ihipStream_tbDpT10_ENKUlT_T0_E_clISt17integral_constantIbLb1EES19_IbLb0EEEEDaS15_S16_EUlS15_E_NS1_11comp_targetILNS1_3genE2ELNS1_11target_archE906ELNS1_3gpuE6ELNS1_3repE0EEENS1_30default_config_static_selectorELNS0_4arch9wavefront6targetE1EEEvT1_, .Lfunc_end371-_ZN7rocprim17ROCPRIM_400000_NS6detail17trampoline_kernelINS0_14default_configENS1_25partition_config_selectorILNS1_17partition_subalgoE9EllbEEZZNS1_14partition_implILS5_9ELb0ES3_jPlS8_PNS0_10empty_typeENS0_5tupleIJS8_S9_EEENSB_IJS8_SA_EEENS0_18inequality_wrapperIZN2at6native12_GLOBAL__N_124unique_dim_cuda_templateIaEESt5tupleIJNSF_6TensorESK_SK_EERKSK_lbbbEUlllE0_EEPmJS9_EEE10hipError_tPvRmT3_T4_T5_T6_T7_T9_mT8_P12ihipStream_tbDpT10_ENKUlT_T0_E_clISt17integral_constantIbLb1EES19_IbLb0EEEEDaS15_S16_EUlS15_E_NS1_11comp_targetILNS1_3genE2ELNS1_11target_archE906ELNS1_3gpuE6ELNS1_3repE0EEENS1_30default_config_static_selectorELNS0_4arch9wavefront6targetE1EEEvT1_
                                        ; -- End function
	.set _ZN7rocprim17ROCPRIM_400000_NS6detail17trampoline_kernelINS0_14default_configENS1_25partition_config_selectorILNS1_17partition_subalgoE9EllbEEZZNS1_14partition_implILS5_9ELb0ES3_jPlS8_PNS0_10empty_typeENS0_5tupleIJS8_S9_EEENSB_IJS8_SA_EEENS0_18inequality_wrapperIZN2at6native12_GLOBAL__N_124unique_dim_cuda_templateIaEESt5tupleIJNSF_6TensorESK_SK_EERKSK_lbbbEUlllE0_EEPmJS9_EEE10hipError_tPvRmT3_T4_T5_T6_T7_T9_mT8_P12ihipStream_tbDpT10_ENKUlT_T0_E_clISt17integral_constantIbLb1EES19_IbLb0EEEEDaS15_S16_EUlS15_E_NS1_11comp_targetILNS1_3genE2ELNS1_11target_archE906ELNS1_3gpuE6ELNS1_3repE0EEENS1_30default_config_static_selectorELNS0_4arch9wavefront6targetE1EEEvT1_.num_vgpr, 0
	.set _ZN7rocprim17ROCPRIM_400000_NS6detail17trampoline_kernelINS0_14default_configENS1_25partition_config_selectorILNS1_17partition_subalgoE9EllbEEZZNS1_14partition_implILS5_9ELb0ES3_jPlS8_PNS0_10empty_typeENS0_5tupleIJS8_S9_EEENSB_IJS8_SA_EEENS0_18inequality_wrapperIZN2at6native12_GLOBAL__N_124unique_dim_cuda_templateIaEESt5tupleIJNSF_6TensorESK_SK_EERKSK_lbbbEUlllE0_EEPmJS9_EEE10hipError_tPvRmT3_T4_T5_T6_T7_T9_mT8_P12ihipStream_tbDpT10_ENKUlT_T0_E_clISt17integral_constantIbLb1EES19_IbLb0EEEEDaS15_S16_EUlS15_E_NS1_11comp_targetILNS1_3genE2ELNS1_11target_archE906ELNS1_3gpuE6ELNS1_3repE0EEENS1_30default_config_static_selectorELNS0_4arch9wavefront6targetE1EEEvT1_.num_agpr, 0
	.set _ZN7rocprim17ROCPRIM_400000_NS6detail17trampoline_kernelINS0_14default_configENS1_25partition_config_selectorILNS1_17partition_subalgoE9EllbEEZZNS1_14partition_implILS5_9ELb0ES3_jPlS8_PNS0_10empty_typeENS0_5tupleIJS8_S9_EEENSB_IJS8_SA_EEENS0_18inequality_wrapperIZN2at6native12_GLOBAL__N_124unique_dim_cuda_templateIaEESt5tupleIJNSF_6TensorESK_SK_EERKSK_lbbbEUlllE0_EEPmJS9_EEE10hipError_tPvRmT3_T4_T5_T6_T7_T9_mT8_P12ihipStream_tbDpT10_ENKUlT_T0_E_clISt17integral_constantIbLb1EES19_IbLb0EEEEDaS15_S16_EUlS15_E_NS1_11comp_targetILNS1_3genE2ELNS1_11target_archE906ELNS1_3gpuE6ELNS1_3repE0EEENS1_30default_config_static_selectorELNS0_4arch9wavefront6targetE1EEEvT1_.numbered_sgpr, 0
	.set _ZN7rocprim17ROCPRIM_400000_NS6detail17trampoline_kernelINS0_14default_configENS1_25partition_config_selectorILNS1_17partition_subalgoE9EllbEEZZNS1_14partition_implILS5_9ELb0ES3_jPlS8_PNS0_10empty_typeENS0_5tupleIJS8_S9_EEENSB_IJS8_SA_EEENS0_18inequality_wrapperIZN2at6native12_GLOBAL__N_124unique_dim_cuda_templateIaEESt5tupleIJNSF_6TensorESK_SK_EERKSK_lbbbEUlllE0_EEPmJS9_EEE10hipError_tPvRmT3_T4_T5_T6_T7_T9_mT8_P12ihipStream_tbDpT10_ENKUlT_T0_E_clISt17integral_constantIbLb1EES19_IbLb0EEEEDaS15_S16_EUlS15_E_NS1_11comp_targetILNS1_3genE2ELNS1_11target_archE906ELNS1_3gpuE6ELNS1_3repE0EEENS1_30default_config_static_selectorELNS0_4arch9wavefront6targetE1EEEvT1_.num_named_barrier, 0
	.set _ZN7rocprim17ROCPRIM_400000_NS6detail17trampoline_kernelINS0_14default_configENS1_25partition_config_selectorILNS1_17partition_subalgoE9EllbEEZZNS1_14partition_implILS5_9ELb0ES3_jPlS8_PNS0_10empty_typeENS0_5tupleIJS8_S9_EEENSB_IJS8_SA_EEENS0_18inequality_wrapperIZN2at6native12_GLOBAL__N_124unique_dim_cuda_templateIaEESt5tupleIJNSF_6TensorESK_SK_EERKSK_lbbbEUlllE0_EEPmJS9_EEE10hipError_tPvRmT3_T4_T5_T6_T7_T9_mT8_P12ihipStream_tbDpT10_ENKUlT_T0_E_clISt17integral_constantIbLb1EES19_IbLb0EEEEDaS15_S16_EUlS15_E_NS1_11comp_targetILNS1_3genE2ELNS1_11target_archE906ELNS1_3gpuE6ELNS1_3repE0EEENS1_30default_config_static_selectorELNS0_4arch9wavefront6targetE1EEEvT1_.private_seg_size, 0
	.set _ZN7rocprim17ROCPRIM_400000_NS6detail17trampoline_kernelINS0_14default_configENS1_25partition_config_selectorILNS1_17partition_subalgoE9EllbEEZZNS1_14partition_implILS5_9ELb0ES3_jPlS8_PNS0_10empty_typeENS0_5tupleIJS8_S9_EEENSB_IJS8_SA_EEENS0_18inequality_wrapperIZN2at6native12_GLOBAL__N_124unique_dim_cuda_templateIaEESt5tupleIJNSF_6TensorESK_SK_EERKSK_lbbbEUlllE0_EEPmJS9_EEE10hipError_tPvRmT3_T4_T5_T6_T7_T9_mT8_P12ihipStream_tbDpT10_ENKUlT_T0_E_clISt17integral_constantIbLb1EES19_IbLb0EEEEDaS15_S16_EUlS15_E_NS1_11comp_targetILNS1_3genE2ELNS1_11target_archE906ELNS1_3gpuE6ELNS1_3repE0EEENS1_30default_config_static_selectorELNS0_4arch9wavefront6targetE1EEEvT1_.uses_vcc, 0
	.set _ZN7rocprim17ROCPRIM_400000_NS6detail17trampoline_kernelINS0_14default_configENS1_25partition_config_selectorILNS1_17partition_subalgoE9EllbEEZZNS1_14partition_implILS5_9ELb0ES3_jPlS8_PNS0_10empty_typeENS0_5tupleIJS8_S9_EEENSB_IJS8_SA_EEENS0_18inequality_wrapperIZN2at6native12_GLOBAL__N_124unique_dim_cuda_templateIaEESt5tupleIJNSF_6TensorESK_SK_EERKSK_lbbbEUlllE0_EEPmJS9_EEE10hipError_tPvRmT3_T4_T5_T6_T7_T9_mT8_P12ihipStream_tbDpT10_ENKUlT_T0_E_clISt17integral_constantIbLb1EES19_IbLb0EEEEDaS15_S16_EUlS15_E_NS1_11comp_targetILNS1_3genE2ELNS1_11target_archE906ELNS1_3gpuE6ELNS1_3repE0EEENS1_30default_config_static_selectorELNS0_4arch9wavefront6targetE1EEEvT1_.uses_flat_scratch, 0
	.set _ZN7rocprim17ROCPRIM_400000_NS6detail17trampoline_kernelINS0_14default_configENS1_25partition_config_selectorILNS1_17partition_subalgoE9EllbEEZZNS1_14partition_implILS5_9ELb0ES3_jPlS8_PNS0_10empty_typeENS0_5tupleIJS8_S9_EEENSB_IJS8_SA_EEENS0_18inequality_wrapperIZN2at6native12_GLOBAL__N_124unique_dim_cuda_templateIaEESt5tupleIJNSF_6TensorESK_SK_EERKSK_lbbbEUlllE0_EEPmJS9_EEE10hipError_tPvRmT3_T4_T5_T6_T7_T9_mT8_P12ihipStream_tbDpT10_ENKUlT_T0_E_clISt17integral_constantIbLb1EES19_IbLb0EEEEDaS15_S16_EUlS15_E_NS1_11comp_targetILNS1_3genE2ELNS1_11target_archE906ELNS1_3gpuE6ELNS1_3repE0EEENS1_30default_config_static_selectorELNS0_4arch9wavefront6targetE1EEEvT1_.has_dyn_sized_stack, 0
	.set _ZN7rocprim17ROCPRIM_400000_NS6detail17trampoline_kernelINS0_14default_configENS1_25partition_config_selectorILNS1_17partition_subalgoE9EllbEEZZNS1_14partition_implILS5_9ELb0ES3_jPlS8_PNS0_10empty_typeENS0_5tupleIJS8_S9_EEENSB_IJS8_SA_EEENS0_18inequality_wrapperIZN2at6native12_GLOBAL__N_124unique_dim_cuda_templateIaEESt5tupleIJNSF_6TensorESK_SK_EERKSK_lbbbEUlllE0_EEPmJS9_EEE10hipError_tPvRmT3_T4_T5_T6_T7_T9_mT8_P12ihipStream_tbDpT10_ENKUlT_T0_E_clISt17integral_constantIbLb1EES19_IbLb0EEEEDaS15_S16_EUlS15_E_NS1_11comp_targetILNS1_3genE2ELNS1_11target_archE906ELNS1_3gpuE6ELNS1_3repE0EEENS1_30default_config_static_selectorELNS0_4arch9wavefront6targetE1EEEvT1_.has_recursion, 0
	.set _ZN7rocprim17ROCPRIM_400000_NS6detail17trampoline_kernelINS0_14default_configENS1_25partition_config_selectorILNS1_17partition_subalgoE9EllbEEZZNS1_14partition_implILS5_9ELb0ES3_jPlS8_PNS0_10empty_typeENS0_5tupleIJS8_S9_EEENSB_IJS8_SA_EEENS0_18inequality_wrapperIZN2at6native12_GLOBAL__N_124unique_dim_cuda_templateIaEESt5tupleIJNSF_6TensorESK_SK_EERKSK_lbbbEUlllE0_EEPmJS9_EEE10hipError_tPvRmT3_T4_T5_T6_T7_T9_mT8_P12ihipStream_tbDpT10_ENKUlT_T0_E_clISt17integral_constantIbLb1EES19_IbLb0EEEEDaS15_S16_EUlS15_E_NS1_11comp_targetILNS1_3genE2ELNS1_11target_archE906ELNS1_3gpuE6ELNS1_3repE0EEENS1_30default_config_static_selectorELNS0_4arch9wavefront6targetE1EEEvT1_.has_indirect_call, 0
	.section	.AMDGPU.csdata,"",@progbits
; Kernel info:
; codeLenInByte = 0
; TotalNumSgprs: 6
; NumVgprs: 0
; NumAgprs: 0
; TotalNumVgprs: 0
; ScratchSize: 0
; MemoryBound: 0
; FloatMode: 240
; IeeeMode: 1
; LDSByteSize: 0 bytes/workgroup (compile time only)
; SGPRBlocks: 0
; VGPRBlocks: 0
; NumSGPRsForWavesPerEU: 6
; NumVGPRsForWavesPerEU: 1
; AccumOffset: 4
; Occupancy: 8
; WaveLimiterHint : 0
; COMPUTE_PGM_RSRC2:SCRATCH_EN: 0
; COMPUTE_PGM_RSRC2:USER_SGPR: 2
; COMPUTE_PGM_RSRC2:TRAP_HANDLER: 0
; COMPUTE_PGM_RSRC2:TGID_X_EN: 1
; COMPUTE_PGM_RSRC2:TGID_Y_EN: 0
; COMPUTE_PGM_RSRC2:TGID_Z_EN: 0
; COMPUTE_PGM_RSRC2:TIDIG_COMP_CNT: 0
; COMPUTE_PGM_RSRC3_GFX90A:ACCUM_OFFSET: 0
; COMPUTE_PGM_RSRC3_GFX90A:TG_SPLIT: 0
	.section	.text._ZN7rocprim17ROCPRIM_400000_NS6detail17trampoline_kernelINS0_14default_configENS1_25partition_config_selectorILNS1_17partition_subalgoE9EllbEEZZNS1_14partition_implILS5_9ELb0ES3_jPlS8_PNS0_10empty_typeENS0_5tupleIJS8_S9_EEENSB_IJS8_SA_EEENS0_18inequality_wrapperIZN2at6native12_GLOBAL__N_124unique_dim_cuda_templateIaEESt5tupleIJNSF_6TensorESK_SK_EERKSK_lbbbEUlllE0_EEPmJS9_EEE10hipError_tPvRmT3_T4_T5_T6_T7_T9_mT8_P12ihipStream_tbDpT10_ENKUlT_T0_E_clISt17integral_constantIbLb1EES19_IbLb0EEEEDaS15_S16_EUlS15_E_NS1_11comp_targetILNS1_3genE10ELNS1_11target_archE1200ELNS1_3gpuE4ELNS1_3repE0EEENS1_30default_config_static_selectorELNS0_4arch9wavefront6targetE1EEEvT1_,"axG",@progbits,_ZN7rocprim17ROCPRIM_400000_NS6detail17trampoline_kernelINS0_14default_configENS1_25partition_config_selectorILNS1_17partition_subalgoE9EllbEEZZNS1_14partition_implILS5_9ELb0ES3_jPlS8_PNS0_10empty_typeENS0_5tupleIJS8_S9_EEENSB_IJS8_SA_EEENS0_18inequality_wrapperIZN2at6native12_GLOBAL__N_124unique_dim_cuda_templateIaEESt5tupleIJNSF_6TensorESK_SK_EERKSK_lbbbEUlllE0_EEPmJS9_EEE10hipError_tPvRmT3_T4_T5_T6_T7_T9_mT8_P12ihipStream_tbDpT10_ENKUlT_T0_E_clISt17integral_constantIbLb1EES19_IbLb0EEEEDaS15_S16_EUlS15_E_NS1_11comp_targetILNS1_3genE10ELNS1_11target_archE1200ELNS1_3gpuE4ELNS1_3repE0EEENS1_30default_config_static_selectorELNS0_4arch9wavefront6targetE1EEEvT1_,comdat
	.globl	_ZN7rocprim17ROCPRIM_400000_NS6detail17trampoline_kernelINS0_14default_configENS1_25partition_config_selectorILNS1_17partition_subalgoE9EllbEEZZNS1_14partition_implILS5_9ELb0ES3_jPlS8_PNS0_10empty_typeENS0_5tupleIJS8_S9_EEENSB_IJS8_SA_EEENS0_18inequality_wrapperIZN2at6native12_GLOBAL__N_124unique_dim_cuda_templateIaEESt5tupleIJNSF_6TensorESK_SK_EERKSK_lbbbEUlllE0_EEPmJS9_EEE10hipError_tPvRmT3_T4_T5_T6_T7_T9_mT8_P12ihipStream_tbDpT10_ENKUlT_T0_E_clISt17integral_constantIbLb1EES19_IbLb0EEEEDaS15_S16_EUlS15_E_NS1_11comp_targetILNS1_3genE10ELNS1_11target_archE1200ELNS1_3gpuE4ELNS1_3repE0EEENS1_30default_config_static_selectorELNS0_4arch9wavefront6targetE1EEEvT1_ ; -- Begin function _ZN7rocprim17ROCPRIM_400000_NS6detail17trampoline_kernelINS0_14default_configENS1_25partition_config_selectorILNS1_17partition_subalgoE9EllbEEZZNS1_14partition_implILS5_9ELb0ES3_jPlS8_PNS0_10empty_typeENS0_5tupleIJS8_S9_EEENSB_IJS8_SA_EEENS0_18inequality_wrapperIZN2at6native12_GLOBAL__N_124unique_dim_cuda_templateIaEESt5tupleIJNSF_6TensorESK_SK_EERKSK_lbbbEUlllE0_EEPmJS9_EEE10hipError_tPvRmT3_T4_T5_T6_T7_T9_mT8_P12ihipStream_tbDpT10_ENKUlT_T0_E_clISt17integral_constantIbLb1EES19_IbLb0EEEEDaS15_S16_EUlS15_E_NS1_11comp_targetILNS1_3genE10ELNS1_11target_archE1200ELNS1_3gpuE4ELNS1_3repE0EEENS1_30default_config_static_selectorELNS0_4arch9wavefront6targetE1EEEvT1_
	.p2align	8
	.type	_ZN7rocprim17ROCPRIM_400000_NS6detail17trampoline_kernelINS0_14default_configENS1_25partition_config_selectorILNS1_17partition_subalgoE9EllbEEZZNS1_14partition_implILS5_9ELb0ES3_jPlS8_PNS0_10empty_typeENS0_5tupleIJS8_S9_EEENSB_IJS8_SA_EEENS0_18inequality_wrapperIZN2at6native12_GLOBAL__N_124unique_dim_cuda_templateIaEESt5tupleIJNSF_6TensorESK_SK_EERKSK_lbbbEUlllE0_EEPmJS9_EEE10hipError_tPvRmT3_T4_T5_T6_T7_T9_mT8_P12ihipStream_tbDpT10_ENKUlT_T0_E_clISt17integral_constantIbLb1EES19_IbLb0EEEEDaS15_S16_EUlS15_E_NS1_11comp_targetILNS1_3genE10ELNS1_11target_archE1200ELNS1_3gpuE4ELNS1_3repE0EEENS1_30default_config_static_selectorELNS0_4arch9wavefront6targetE1EEEvT1_,@function
_ZN7rocprim17ROCPRIM_400000_NS6detail17trampoline_kernelINS0_14default_configENS1_25partition_config_selectorILNS1_17partition_subalgoE9EllbEEZZNS1_14partition_implILS5_9ELb0ES3_jPlS8_PNS0_10empty_typeENS0_5tupleIJS8_S9_EEENSB_IJS8_SA_EEENS0_18inequality_wrapperIZN2at6native12_GLOBAL__N_124unique_dim_cuda_templateIaEESt5tupleIJNSF_6TensorESK_SK_EERKSK_lbbbEUlllE0_EEPmJS9_EEE10hipError_tPvRmT3_T4_T5_T6_T7_T9_mT8_P12ihipStream_tbDpT10_ENKUlT_T0_E_clISt17integral_constantIbLb1EES19_IbLb0EEEEDaS15_S16_EUlS15_E_NS1_11comp_targetILNS1_3genE10ELNS1_11target_archE1200ELNS1_3gpuE4ELNS1_3repE0EEENS1_30default_config_static_selectorELNS0_4arch9wavefront6targetE1EEEvT1_: ; @_ZN7rocprim17ROCPRIM_400000_NS6detail17trampoline_kernelINS0_14default_configENS1_25partition_config_selectorILNS1_17partition_subalgoE9EllbEEZZNS1_14partition_implILS5_9ELb0ES3_jPlS8_PNS0_10empty_typeENS0_5tupleIJS8_S9_EEENSB_IJS8_SA_EEENS0_18inequality_wrapperIZN2at6native12_GLOBAL__N_124unique_dim_cuda_templateIaEESt5tupleIJNSF_6TensorESK_SK_EERKSK_lbbbEUlllE0_EEPmJS9_EEE10hipError_tPvRmT3_T4_T5_T6_T7_T9_mT8_P12ihipStream_tbDpT10_ENKUlT_T0_E_clISt17integral_constantIbLb1EES19_IbLb0EEEEDaS15_S16_EUlS15_E_NS1_11comp_targetILNS1_3genE10ELNS1_11target_archE1200ELNS1_3gpuE4ELNS1_3repE0EEENS1_30default_config_static_selectorELNS0_4arch9wavefront6targetE1EEEvT1_
; %bb.0:
	.section	.rodata,"a",@progbits
	.p2align	6, 0x0
	.amdhsa_kernel _ZN7rocprim17ROCPRIM_400000_NS6detail17trampoline_kernelINS0_14default_configENS1_25partition_config_selectorILNS1_17partition_subalgoE9EllbEEZZNS1_14partition_implILS5_9ELb0ES3_jPlS8_PNS0_10empty_typeENS0_5tupleIJS8_S9_EEENSB_IJS8_SA_EEENS0_18inequality_wrapperIZN2at6native12_GLOBAL__N_124unique_dim_cuda_templateIaEESt5tupleIJNSF_6TensorESK_SK_EERKSK_lbbbEUlllE0_EEPmJS9_EEE10hipError_tPvRmT3_T4_T5_T6_T7_T9_mT8_P12ihipStream_tbDpT10_ENKUlT_T0_E_clISt17integral_constantIbLb1EES19_IbLb0EEEEDaS15_S16_EUlS15_E_NS1_11comp_targetILNS1_3genE10ELNS1_11target_archE1200ELNS1_3gpuE4ELNS1_3repE0EEENS1_30default_config_static_selectorELNS0_4arch9wavefront6targetE1EEEvT1_
		.amdhsa_group_segment_fixed_size 0
		.amdhsa_private_segment_fixed_size 0
		.amdhsa_kernarg_size 120
		.amdhsa_user_sgpr_count 2
		.amdhsa_user_sgpr_dispatch_ptr 0
		.amdhsa_user_sgpr_queue_ptr 0
		.amdhsa_user_sgpr_kernarg_segment_ptr 1
		.amdhsa_user_sgpr_dispatch_id 0
		.amdhsa_user_sgpr_kernarg_preload_length 0
		.amdhsa_user_sgpr_kernarg_preload_offset 0
		.amdhsa_user_sgpr_private_segment_size 0
		.amdhsa_uses_dynamic_stack 0
		.amdhsa_enable_private_segment 0
		.amdhsa_system_sgpr_workgroup_id_x 1
		.amdhsa_system_sgpr_workgroup_id_y 0
		.amdhsa_system_sgpr_workgroup_id_z 0
		.amdhsa_system_sgpr_workgroup_info 0
		.amdhsa_system_vgpr_workitem_id 0
		.amdhsa_next_free_vgpr 1
		.amdhsa_next_free_sgpr 0
		.amdhsa_accum_offset 4
		.amdhsa_reserve_vcc 0
		.amdhsa_float_round_mode_32 0
		.amdhsa_float_round_mode_16_64 0
		.amdhsa_float_denorm_mode_32 3
		.amdhsa_float_denorm_mode_16_64 3
		.amdhsa_dx10_clamp 1
		.amdhsa_ieee_mode 1
		.amdhsa_fp16_overflow 0
		.amdhsa_tg_split 0
		.amdhsa_exception_fp_ieee_invalid_op 0
		.amdhsa_exception_fp_denorm_src 0
		.amdhsa_exception_fp_ieee_div_zero 0
		.amdhsa_exception_fp_ieee_overflow 0
		.amdhsa_exception_fp_ieee_underflow 0
		.amdhsa_exception_fp_ieee_inexact 0
		.amdhsa_exception_int_div_zero 0
	.end_amdhsa_kernel
	.section	.text._ZN7rocprim17ROCPRIM_400000_NS6detail17trampoline_kernelINS0_14default_configENS1_25partition_config_selectorILNS1_17partition_subalgoE9EllbEEZZNS1_14partition_implILS5_9ELb0ES3_jPlS8_PNS0_10empty_typeENS0_5tupleIJS8_S9_EEENSB_IJS8_SA_EEENS0_18inequality_wrapperIZN2at6native12_GLOBAL__N_124unique_dim_cuda_templateIaEESt5tupleIJNSF_6TensorESK_SK_EERKSK_lbbbEUlllE0_EEPmJS9_EEE10hipError_tPvRmT3_T4_T5_T6_T7_T9_mT8_P12ihipStream_tbDpT10_ENKUlT_T0_E_clISt17integral_constantIbLb1EES19_IbLb0EEEEDaS15_S16_EUlS15_E_NS1_11comp_targetILNS1_3genE10ELNS1_11target_archE1200ELNS1_3gpuE4ELNS1_3repE0EEENS1_30default_config_static_selectorELNS0_4arch9wavefront6targetE1EEEvT1_,"axG",@progbits,_ZN7rocprim17ROCPRIM_400000_NS6detail17trampoline_kernelINS0_14default_configENS1_25partition_config_selectorILNS1_17partition_subalgoE9EllbEEZZNS1_14partition_implILS5_9ELb0ES3_jPlS8_PNS0_10empty_typeENS0_5tupleIJS8_S9_EEENSB_IJS8_SA_EEENS0_18inequality_wrapperIZN2at6native12_GLOBAL__N_124unique_dim_cuda_templateIaEESt5tupleIJNSF_6TensorESK_SK_EERKSK_lbbbEUlllE0_EEPmJS9_EEE10hipError_tPvRmT3_T4_T5_T6_T7_T9_mT8_P12ihipStream_tbDpT10_ENKUlT_T0_E_clISt17integral_constantIbLb1EES19_IbLb0EEEEDaS15_S16_EUlS15_E_NS1_11comp_targetILNS1_3genE10ELNS1_11target_archE1200ELNS1_3gpuE4ELNS1_3repE0EEENS1_30default_config_static_selectorELNS0_4arch9wavefront6targetE1EEEvT1_,comdat
.Lfunc_end372:
	.size	_ZN7rocprim17ROCPRIM_400000_NS6detail17trampoline_kernelINS0_14default_configENS1_25partition_config_selectorILNS1_17partition_subalgoE9EllbEEZZNS1_14partition_implILS5_9ELb0ES3_jPlS8_PNS0_10empty_typeENS0_5tupleIJS8_S9_EEENSB_IJS8_SA_EEENS0_18inequality_wrapperIZN2at6native12_GLOBAL__N_124unique_dim_cuda_templateIaEESt5tupleIJNSF_6TensorESK_SK_EERKSK_lbbbEUlllE0_EEPmJS9_EEE10hipError_tPvRmT3_T4_T5_T6_T7_T9_mT8_P12ihipStream_tbDpT10_ENKUlT_T0_E_clISt17integral_constantIbLb1EES19_IbLb0EEEEDaS15_S16_EUlS15_E_NS1_11comp_targetILNS1_3genE10ELNS1_11target_archE1200ELNS1_3gpuE4ELNS1_3repE0EEENS1_30default_config_static_selectorELNS0_4arch9wavefront6targetE1EEEvT1_, .Lfunc_end372-_ZN7rocprim17ROCPRIM_400000_NS6detail17trampoline_kernelINS0_14default_configENS1_25partition_config_selectorILNS1_17partition_subalgoE9EllbEEZZNS1_14partition_implILS5_9ELb0ES3_jPlS8_PNS0_10empty_typeENS0_5tupleIJS8_S9_EEENSB_IJS8_SA_EEENS0_18inequality_wrapperIZN2at6native12_GLOBAL__N_124unique_dim_cuda_templateIaEESt5tupleIJNSF_6TensorESK_SK_EERKSK_lbbbEUlllE0_EEPmJS9_EEE10hipError_tPvRmT3_T4_T5_T6_T7_T9_mT8_P12ihipStream_tbDpT10_ENKUlT_T0_E_clISt17integral_constantIbLb1EES19_IbLb0EEEEDaS15_S16_EUlS15_E_NS1_11comp_targetILNS1_3genE10ELNS1_11target_archE1200ELNS1_3gpuE4ELNS1_3repE0EEENS1_30default_config_static_selectorELNS0_4arch9wavefront6targetE1EEEvT1_
                                        ; -- End function
	.set _ZN7rocprim17ROCPRIM_400000_NS6detail17trampoline_kernelINS0_14default_configENS1_25partition_config_selectorILNS1_17partition_subalgoE9EllbEEZZNS1_14partition_implILS5_9ELb0ES3_jPlS8_PNS0_10empty_typeENS0_5tupleIJS8_S9_EEENSB_IJS8_SA_EEENS0_18inequality_wrapperIZN2at6native12_GLOBAL__N_124unique_dim_cuda_templateIaEESt5tupleIJNSF_6TensorESK_SK_EERKSK_lbbbEUlllE0_EEPmJS9_EEE10hipError_tPvRmT3_T4_T5_T6_T7_T9_mT8_P12ihipStream_tbDpT10_ENKUlT_T0_E_clISt17integral_constantIbLb1EES19_IbLb0EEEEDaS15_S16_EUlS15_E_NS1_11comp_targetILNS1_3genE10ELNS1_11target_archE1200ELNS1_3gpuE4ELNS1_3repE0EEENS1_30default_config_static_selectorELNS0_4arch9wavefront6targetE1EEEvT1_.num_vgpr, 0
	.set _ZN7rocprim17ROCPRIM_400000_NS6detail17trampoline_kernelINS0_14default_configENS1_25partition_config_selectorILNS1_17partition_subalgoE9EllbEEZZNS1_14partition_implILS5_9ELb0ES3_jPlS8_PNS0_10empty_typeENS0_5tupleIJS8_S9_EEENSB_IJS8_SA_EEENS0_18inequality_wrapperIZN2at6native12_GLOBAL__N_124unique_dim_cuda_templateIaEESt5tupleIJNSF_6TensorESK_SK_EERKSK_lbbbEUlllE0_EEPmJS9_EEE10hipError_tPvRmT3_T4_T5_T6_T7_T9_mT8_P12ihipStream_tbDpT10_ENKUlT_T0_E_clISt17integral_constantIbLb1EES19_IbLb0EEEEDaS15_S16_EUlS15_E_NS1_11comp_targetILNS1_3genE10ELNS1_11target_archE1200ELNS1_3gpuE4ELNS1_3repE0EEENS1_30default_config_static_selectorELNS0_4arch9wavefront6targetE1EEEvT1_.num_agpr, 0
	.set _ZN7rocprim17ROCPRIM_400000_NS6detail17trampoline_kernelINS0_14default_configENS1_25partition_config_selectorILNS1_17partition_subalgoE9EllbEEZZNS1_14partition_implILS5_9ELb0ES3_jPlS8_PNS0_10empty_typeENS0_5tupleIJS8_S9_EEENSB_IJS8_SA_EEENS0_18inequality_wrapperIZN2at6native12_GLOBAL__N_124unique_dim_cuda_templateIaEESt5tupleIJNSF_6TensorESK_SK_EERKSK_lbbbEUlllE0_EEPmJS9_EEE10hipError_tPvRmT3_T4_T5_T6_T7_T9_mT8_P12ihipStream_tbDpT10_ENKUlT_T0_E_clISt17integral_constantIbLb1EES19_IbLb0EEEEDaS15_S16_EUlS15_E_NS1_11comp_targetILNS1_3genE10ELNS1_11target_archE1200ELNS1_3gpuE4ELNS1_3repE0EEENS1_30default_config_static_selectorELNS0_4arch9wavefront6targetE1EEEvT1_.numbered_sgpr, 0
	.set _ZN7rocprim17ROCPRIM_400000_NS6detail17trampoline_kernelINS0_14default_configENS1_25partition_config_selectorILNS1_17partition_subalgoE9EllbEEZZNS1_14partition_implILS5_9ELb0ES3_jPlS8_PNS0_10empty_typeENS0_5tupleIJS8_S9_EEENSB_IJS8_SA_EEENS0_18inequality_wrapperIZN2at6native12_GLOBAL__N_124unique_dim_cuda_templateIaEESt5tupleIJNSF_6TensorESK_SK_EERKSK_lbbbEUlllE0_EEPmJS9_EEE10hipError_tPvRmT3_T4_T5_T6_T7_T9_mT8_P12ihipStream_tbDpT10_ENKUlT_T0_E_clISt17integral_constantIbLb1EES19_IbLb0EEEEDaS15_S16_EUlS15_E_NS1_11comp_targetILNS1_3genE10ELNS1_11target_archE1200ELNS1_3gpuE4ELNS1_3repE0EEENS1_30default_config_static_selectorELNS0_4arch9wavefront6targetE1EEEvT1_.num_named_barrier, 0
	.set _ZN7rocprim17ROCPRIM_400000_NS6detail17trampoline_kernelINS0_14default_configENS1_25partition_config_selectorILNS1_17partition_subalgoE9EllbEEZZNS1_14partition_implILS5_9ELb0ES3_jPlS8_PNS0_10empty_typeENS0_5tupleIJS8_S9_EEENSB_IJS8_SA_EEENS0_18inequality_wrapperIZN2at6native12_GLOBAL__N_124unique_dim_cuda_templateIaEESt5tupleIJNSF_6TensorESK_SK_EERKSK_lbbbEUlllE0_EEPmJS9_EEE10hipError_tPvRmT3_T4_T5_T6_T7_T9_mT8_P12ihipStream_tbDpT10_ENKUlT_T0_E_clISt17integral_constantIbLb1EES19_IbLb0EEEEDaS15_S16_EUlS15_E_NS1_11comp_targetILNS1_3genE10ELNS1_11target_archE1200ELNS1_3gpuE4ELNS1_3repE0EEENS1_30default_config_static_selectorELNS0_4arch9wavefront6targetE1EEEvT1_.private_seg_size, 0
	.set _ZN7rocprim17ROCPRIM_400000_NS6detail17trampoline_kernelINS0_14default_configENS1_25partition_config_selectorILNS1_17partition_subalgoE9EllbEEZZNS1_14partition_implILS5_9ELb0ES3_jPlS8_PNS0_10empty_typeENS0_5tupleIJS8_S9_EEENSB_IJS8_SA_EEENS0_18inequality_wrapperIZN2at6native12_GLOBAL__N_124unique_dim_cuda_templateIaEESt5tupleIJNSF_6TensorESK_SK_EERKSK_lbbbEUlllE0_EEPmJS9_EEE10hipError_tPvRmT3_T4_T5_T6_T7_T9_mT8_P12ihipStream_tbDpT10_ENKUlT_T0_E_clISt17integral_constantIbLb1EES19_IbLb0EEEEDaS15_S16_EUlS15_E_NS1_11comp_targetILNS1_3genE10ELNS1_11target_archE1200ELNS1_3gpuE4ELNS1_3repE0EEENS1_30default_config_static_selectorELNS0_4arch9wavefront6targetE1EEEvT1_.uses_vcc, 0
	.set _ZN7rocprim17ROCPRIM_400000_NS6detail17trampoline_kernelINS0_14default_configENS1_25partition_config_selectorILNS1_17partition_subalgoE9EllbEEZZNS1_14partition_implILS5_9ELb0ES3_jPlS8_PNS0_10empty_typeENS0_5tupleIJS8_S9_EEENSB_IJS8_SA_EEENS0_18inequality_wrapperIZN2at6native12_GLOBAL__N_124unique_dim_cuda_templateIaEESt5tupleIJNSF_6TensorESK_SK_EERKSK_lbbbEUlllE0_EEPmJS9_EEE10hipError_tPvRmT3_T4_T5_T6_T7_T9_mT8_P12ihipStream_tbDpT10_ENKUlT_T0_E_clISt17integral_constantIbLb1EES19_IbLb0EEEEDaS15_S16_EUlS15_E_NS1_11comp_targetILNS1_3genE10ELNS1_11target_archE1200ELNS1_3gpuE4ELNS1_3repE0EEENS1_30default_config_static_selectorELNS0_4arch9wavefront6targetE1EEEvT1_.uses_flat_scratch, 0
	.set _ZN7rocprim17ROCPRIM_400000_NS6detail17trampoline_kernelINS0_14default_configENS1_25partition_config_selectorILNS1_17partition_subalgoE9EllbEEZZNS1_14partition_implILS5_9ELb0ES3_jPlS8_PNS0_10empty_typeENS0_5tupleIJS8_S9_EEENSB_IJS8_SA_EEENS0_18inequality_wrapperIZN2at6native12_GLOBAL__N_124unique_dim_cuda_templateIaEESt5tupleIJNSF_6TensorESK_SK_EERKSK_lbbbEUlllE0_EEPmJS9_EEE10hipError_tPvRmT3_T4_T5_T6_T7_T9_mT8_P12ihipStream_tbDpT10_ENKUlT_T0_E_clISt17integral_constantIbLb1EES19_IbLb0EEEEDaS15_S16_EUlS15_E_NS1_11comp_targetILNS1_3genE10ELNS1_11target_archE1200ELNS1_3gpuE4ELNS1_3repE0EEENS1_30default_config_static_selectorELNS0_4arch9wavefront6targetE1EEEvT1_.has_dyn_sized_stack, 0
	.set _ZN7rocprim17ROCPRIM_400000_NS6detail17trampoline_kernelINS0_14default_configENS1_25partition_config_selectorILNS1_17partition_subalgoE9EllbEEZZNS1_14partition_implILS5_9ELb0ES3_jPlS8_PNS0_10empty_typeENS0_5tupleIJS8_S9_EEENSB_IJS8_SA_EEENS0_18inequality_wrapperIZN2at6native12_GLOBAL__N_124unique_dim_cuda_templateIaEESt5tupleIJNSF_6TensorESK_SK_EERKSK_lbbbEUlllE0_EEPmJS9_EEE10hipError_tPvRmT3_T4_T5_T6_T7_T9_mT8_P12ihipStream_tbDpT10_ENKUlT_T0_E_clISt17integral_constantIbLb1EES19_IbLb0EEEEDaS15_S16_EUlS15_E_NS1_11comp_targetILNS1_3genE10ELNS1_11target_archE1200ELNS1_3gpuE4ELNS1_3repE0EEENS1_30default_config_static_selectorELNS0_4arch9wavefront6targetE1EEEvT1_.has_recursion, 0
	.set _ZN7rocprim17ROCPRIM_400000_NS6detail17trampoline_kernelINS0_14default_configENS1_25partition_config_selectorILNS1_17partition_subalgoE9EllbEEZZNS1_14partition_implILS5_9ELb0ES3_jPlS8_PNS0_10empty_typeENS0_5tupleIJS8_S9_EEENSB_IJS8_SA_EEENS0_18inequality_wrapperIZN2at6native12_GLOBAL__N_124unique_dim_cuda_templateIaEESt5tupleIJNSF_6TensorESK_SK_EERKSK_lbbbEUlllE0_EEPmJS9_EEE10hipError_tPvRmT3_T4_T5_T6_T7_T9_mT8_P12ihipStream_tbDpT10_ENKUlT_T0_E_clISt17integral_constantIbLb1EES19_IbLb0EEEEDaS15_S16_EUlS15_E_NS1_11comp_targetILNS1_3genE10ELNS1_11target_archE1200ELNS1_3gpuE4ELNS1_3repE0EEENS1_30default_config_static_selectorELNS0_4arch9wavefront6targetE1EEEvT1_.has_indirect_call, 0
	.section	.AMDGPU.csdata,"",@progbits
; Kernel info:
; codeLenInByte = 0
; TotalNumSgprs: 6
; NumVgprs: 0
; NumAgprs: 0
; TotalNumVgprs: 0
; ScratchSize: 0
; MemoryBound: 0
; FloatMode: 240
; IeeeMode: 1
; LDSByteSize: 0 bytes/workgroup (compile time only)
; SGPRBlocks: 0
; VGPRBlocks: 0
; NumSGPRsForWavesPerEU: 6
; NumVGPRsForWavesPerEU: 1
; AccumOffset: 4
; Occupancy: 8
; WaveLimiterHint : 0
; COMPUTE_PGM_RSRC2:SCRATCH_EN: 0
; COMPUTE_PGM_RSRC2:USER_SGPR: 2
; COMPUTE_PGM_RSRC2:TRAP_HANDLER: 0
; COMPUTE_PGM_RSRC2:TGID_X_EN: 1
; COMPUTE_PGM_RSRC2:TGID_Y_EN: 0
; COMPUTE_PGM_RSRC2:TGID_Z_EN: 0
; COMPUTE_PGM_RSRC2:TIDIG_COMP_CNT: 0
; COMPUTE_PGM_RSRC3_GFX90A:ACCUM_OFFSET: 0
; COMPUTE_PGM_RSRC3_GFX90A:TG_SPLIT: 0
	.section	.text._ZN7rocprim17ROCPRIM_400000_NS6detail17trampoline_kernelINS0_14default_configENS1_25partition_config_selectorILNS1_17partition_subalgoE9EllbEEZZNS1_14partition_implILS5_9ELb0ES3_jPlS8_PNS0_10empty_typeENS0_5tupleIJS8_S9_EEENSB_IJS8_SA_EEENS0_18inequality_wrapperIZN2at6native12_GLOBAL__N_124unique_dim_cuda_templateIaEESt5tupleIJNSF_6TensorESK_SK_EERKSK_lbbbEUlllE0_EEPmJS9_EEE10hipError_tPvRmT3_T4_T5_T6_T7_T9_mT8_P12ihipStream_tbDpT10_ENKUlT_T0_E_clISt17integral_constantIbLb1EES19_IbLb0EEEEDaS15_S16_EUlS15_E_NS1_11comp_targetILNS1_3genE9ELNS1_11target_archE1100ELNS1_3gpuE3ELNS1_3repE0EEENS1_30default_config_static_selectorELNS0_4arch9wavefront6targetE1EEEvT1_,"axG",@progbits,_ZN7rocprim17ROCPRIM_400000_NS6detail17trampoline_kernelINS0_14default_configENS1_25partition_config_selectorILNS1_17partition_subalgoE9EllbEEZZNS1_14partition_implILS5_9ELb0ES3_jPlS8_PNS0_10empty_typeENS0_5tupleIJS8_S9_EEENSB_IJS8_SA_EEENS0_18inequality_wrapperIZN2at6native12_GLOBAL__N_124unique_dim_cuda_templateIaEESt5tupleIJNSF_6TensorESK_SK_EERKSK_lbbbEUlllE0_EEPmJS9_EEE10hipError_tPvRmT3_T4_T5_T6_T7_T9_mT8_P12ihipStream_tbDpT10_ENKUlT_T0_E_clISt17integral_constantIbLb1EES19_IbLb0EEEEDaS15_S16_EUlS15_E_NS1_11comp_targetILNS1_3genE9ELNS1_11target_archE1100ELNS1_3gpuE3ELNS1_3repE0EEENS1_30default_config_static_selectorELNS0_4arch9wavefront6targetE1EEEvT1_,comdat
	.globl	_ZN7rocprim17ROCPRIM_400000_NS6detail17trampoline_kernelINS0_14default_configENS1_25partition_config_selectorILNS1_17partition_subalgoE9EllbEEZZNS1_14partition_implILS5_9ELb0ES3_jPlS8_PNS0_10empty_typeENS0_5tupleIJS8_S9_EEENSB_IJS8_SA_EEENS0_18inequality_wrapperIZN2at6native12_GLOBAL__N_124unique_dim_cuda_templateIaEESt5tupleIJNSF_6TensorESK_SK_EERKSK_lbbbEUlllE0_EEPmJS9_EEE10hipError_tPvRmT3_T4_T5_T6_T7_T9_mT8_P12ihipStream_tbDpT10_ENKUlT_T0_E_clISt17integral_constantIbLb1EES19_IbLb0EEEEDaS15_S16_EUlS15_E_NS1_11comp_targetILNS1_3genE9ELNS1_11target_archE1100ELNS1_3gpuE3ELNS1_3repE0EEENS1_30default_config_static_selectorELNS0_4arch9wavefront6targetE1EEEvT1_ ; -- Begin function _ZN7rocprim17ROCPRIM_400000_NS6detail17trampoline_kernelINS0_14default_configENS1_25partition_config_selectorILNS1_17partition_subalgoE9EllbEEZZNS1_14partition_implILS5_9ELb0ES3_jPlS8_PNS0_10empty_typeENS0_5tupleIJS8_S9_EEENSB_IJS8_SA_EEENS0_18inequality_wrapperIZN2at6native12_GLOBAL__N_124unique_dim_cuda_templateIaEESt5tupleIJNSF_6TensorESK_SK_EERKSK_lbbbEUlllE0_EEPmJS9_EEE10hipError_tPvRmT3_T4_T5_T6_T7_T9_mT8_P12ihipStream_tbDpT10_ENKUlT_T0_E_clISt17integral_constantIbLb1EES19_IbLb0EEEEDaS15_S16_EUlS15_E_NS1_11comp_targetILNS1_3genE9ELNS1_11target_archE1100ELNS1_3gpuE3ELNS1_3repE0EEENS1_30default_config_static_selectorELNS0_4arch9wavefront6targetE1EEEvT1_
	.p2align	8
	.type	_ZN7rocprim17ROCPRIM_400000_NS6detail17trampoline_kernelINS0_14default_configENS1_25partition_config_selectorILNS1_17partition_subalgoE9EllbEEZZNS1_14partition_implILS5_9ELb0ES3_jPlS8_PNS0_10empty_typeENS0_5tupleIJS8_S9_EEENSB_IJS8_SA_EEENS0_18inequality_wrapperIZN2at6native12_GLOBAL__N_124unique_dim_cuda_templateIaEESt5tupleIJNSF_6TensorESK_SK_EERKSK_lbbbEUlllE0_EEPmJS9_EEE10hipError_tPvRmT3_T4_T5_T6_T7_T9_mT8_P12ihipStream_tbDpT10_ENKUlT_T0_E_clISt17integral_constantIbLb1EES19_IbLb0EEEEDaS15_S16_EUlS15_E_NS1_11comp_targetILNS1_3genE9ELNS1_11target_archE1100ELNS1_3gpuE3ELNS1_3repE0EEENS1_30default_config_static_selectorELNS0_4arch9wavefront6targetE1EEEvT1_,@function
_ZN7rocprim17ROCPRIM_400000_NS6detail17trampoline_kernelINS0_14default_configENS1_25partition_config_selectorILNS1_17partition_subalgoE9EllbEEZZNS1_14partition_implILS5_9ELb0ES3_jPlS8_PNS0_10empty_typeENS0_5tupleIJS8_S9_EEENSB_IJS8_SA_EEENS0_18inequality_wrapperIZN2at6native12_GLOBAL__N_124unique_dim_cuda_templateIaEESt5tupleIJNSF_6TensorESK_SK_EERKSK_lbbbEUlllE0_EEPmJS9_EEE10hipError_tPvRmT3_T4_T5_T6_T7_T9_mT8_P12ihipStream_tbDpT10_ENKUlT_T0_E_clISt17integral_constantIbLb1EES19_IbLb0EEEEDaS15_S16_EUlS15_E_NS1_11comp_targetILNS1_3genE9ELNS1_11target_archE1100ELNS1_3gpuE3ELNS1_3repE0EEENS1_30default_config_static_selectorELNS0_4arch9wavefront6targetE1EEEvT1_: ; @_ZN7rocprim17ROCPRIM_400000_NS6detail17trampoline_kernelINS0_14default_configENS1_25partition_config_selectorILNS1_17partition_subalgoE9EllbEEZZNS1_14partition_implILS5_9ELb0ES3_jPlS8_PNS0_10empty_typeENS0_5tupleIJS8_S9_EEENSB_IJS8_SA_EEENS0_18inequality_wrapperIZN2at6native12_GLOBAL__N_124unique_dim_cuda_templateIaEESt5tupleIJNSF_6TensorESK_SK_EERKSK_lbbbEUlllE0_EEPmJS9_EEE10hipError_tPvRmT3_T4_T5_T6_T7_T9_mT8_P12ihipStream_tbDpT10_ENKUlT_T0_E_clISt17integral_constantIbLb1EES19_IbLb0EEEEDaS15_S16_EUlS15_E_NS1_11comp_targetILNS1_3genE9ELNS1_11target_archE1100ELNS1_3gpuE3ELNS1_3repE0EEENS1_30default_config_static_selectorELNS0_4arch9wavefront6targetE1EEEvT1_
; %bb.0:
	.section	.rodata,"a",@progbits
	.p2align	6, 0x0
	.amdhsa_kernel _ZN7rocprim17ROCPRIM_400000_NS6detail17trampoline_kernelINS0_14default_configENS1_25partition_config_selectorILNS1_17partition_subalgoE9EllbEEZZNS1_14partition_implILS5_9ELb0ES3_jPlS8_PNS0_10empty_typeENS0_5tupleIJS8_S9_EEENSB_IJS8_SA_EEENS0_18inequality_wrapperIZN2at6native12_GLOBAL__N_124unique_dim_cuda_templateIaEESt5tupleIJNSF_6TensorESK_SK_EERKSK_lbbbEUlllE0_EEPmJS9_EEE10hipError_tPvRmT3_T4_T5_T6_T7_T9_mT8_P12ihipStream_tbDpT10_ENKUlT_T0_E_clISt17integral_constantIbLb1EES19_IbLb0EEEEDaS15_S16_EUlS15_E_NS1_11comp_targetILNS1_3genE9ELNS1_11target_archE1100ELNS1_3gpuE3ELNS1_3repE0EEENS1_30default_config_static_selectorELNS0_4arch9wavefront6targetE1EEEvT1_
		.amdhsa_group_segment_fixed_size 0
		.amdhsa_private_segment_fixed_size 0
		.amdhsa_kernarg_size 120
		.amdhsa_user_sgpr_count 2
		.amdhsa_user_sgpr_dispatch_ptr 0
		.amdhsa_user_sgpr_queue_ptr 0
		.amdhsa_user_sgpr_kernarg_segment_ptr 1
		.amdhsa_user_sgpr_dispatch_id 0
		.amdhsa_user_sgpr_kernarg_preload_length 0
		.amdhsa_user_sgpr_kernarg_preload_offset 0
		.amdhsa_user_sgpr_private_segment_size 0
		.amdhsa_uses_dynamic_stack 0
		.amdhsa_enable_private_segment 0
		.amdhsa_system_sgpr_workgroup_id_x 1
		.amdhsa_system_sgpr_workgroup_id_y 0
		.amdhsa_system_sgpr_workgroup_id_z 0
		.amdhsa_system_sgpr_workgroup_info 0
		.amdhsa_system_vgpr_workitem_id 0
		.amdhsa_next_free_vgpr 1
		.amdhsa_next_free_sgpr 0
		.amdhsa_accum_offset 4
		.amdhsa_reserve_vcc 0
		.amdhsa_float_round_mode_32 0
		.amdhsa_float_round_mode_16_64 0
		.amdhsa_float_denorm_mode_32 3
		.amdhsa_float_denorm_mode_16_64 3
		.amdhsa_dx10_clamp 1
		.amdhsa_ieee_mode 1
		.amdhsa_fp16_overflow 0
		.amdhsa_tg_split 0
		.amdhsa_exception_fp_ieee_invalid_op 0
		.amdhsa_exception_fp_denorm_src 0
		.amdhsa_exception_fp_ieee_div_zero 0
		.amdhsa_exception_fp_ieee_overflow 0
		.amdhsa_exception_fp_ieee_underflow 0
		.amdhsa_exception_fp_ieee_inexact 0
		.amdhsa_exception_int_div_zero 0
	.end_amdhsa_kernel
	.section	.text._ZN7rocprim17ROCPRIM_400000_NS6detail17trampoline_kernelINS0_14default_configENS1_25partition_config_selectorILNS1_17partition_subalgoE9EllbEEZZNS1_14partition_implILS5_9ELb0ES3_jPlS8_PNS0_10empty_typeENS0_5tupleIJS8_S9_EEENSB_IJS8_SA_EEENS0_18inequality_wrapperIZN2at6native12_GLOBAL__N_124unique_dim_cuda_templateIaEESt5tupleIJNSF_6TensorESK_SK_EERKSK_lbbbEUlllE0_EEPmJS9_EEE10hipError_tPvRmT3_T4_T5_T6_T7_T9_mT8_P12ihipStream_tbDpT10_ENKUlT_T0_E_clISt17integral_constantIbLb1EES19_IbLb0EEEEDaS15_S16_EUlS15_E_NS1_11comp_targetILNS1_3genE9ELNS1_11target_archE1100ELNS1_3gpuE3ELNS1_3repE0EEENS1_30default_config_static_selectorELNS0_4arch9wavefront6targetE1EEEvT1_,"axG",@progbits,_ZN7rocprim17ROCPRIM_400000_NS6detail17trampoline_kernelINS0_14default_configENS1_25partition_config_selectorILNS1_17partition_subalgoE9EllbEEZZNS1_14partition_implILS5_9ELb0ES3_jPlS8_PNS0_10empty_typeENS0_5tupleIJS8_S9_EEENSB_IJS8_SA_EEENS0_18inequality_wrapperIZN2at6native12_GLOBAL__N_124unique_dim_cuda_templateIaEESt5tupleIJNSF_6TensorESK_SK_EERKSK_lbbbEUlllE0_EEPmJS9_EEE10hipError_tPvRmT3_T4_T5_T6_T7_T9_mT8_P12ihipStream_tbDpT10_ENKUlT_T0_E_clISt17integral_constantIbLb1EES19_IbLb0EEEEDaS15_S16_EUlS15_E_NS1_11comp_targetILNS1_3genE9ELNS1_11target_archE1100ELNS1_3gpuE3ELNS1_3repE0EEENS1_30default_config_static_selectorELNS0_4arch9wavefront6targetE1EEEvT1_,comdat
.Lfunc_end373:
	.size	_ZN7rocprim17ROCPRIM_400000_NS6detail17trampoline_kernelINS0_14default_configENS1_25partition_config_selectorILNS1_17partition_subalgoE9EllbEEZZNS1_14partition_implILS5_9ELb0ES3_jPlS8_PNS0_10empty_typeENS0_5tupleIJS8_S9_EEENSB_IJS8_SA_EEENS0_18inequality_wrapperIZN2at6native12_GLOBAL__N_124unique_dim_cuda_templateIaEESt5tupleIJNSF_6TensorESK_SK_EERKSK_lbbbEUlllE0_EEPmJS9_EEE10hipError_tPvRmT3_T4_T5_T6_T7_T9_mT8_P12ihipStream_tbDpT10_ENKUlT_T0_E_clISt17integral_constantIbLb1EES19_IbLb0EEEEDaS15_S16_EUlS15_E_NS1_11comp_targetILNS1_3genE9ELNS1_11target_archE1100ELNS1_3gpuE3ELNS1_3repE0EEENS1_30default_config_static_selectorELNS0_4arch9wavefront6targetE1EEEvT1_, .Lfunc_end373-_ZN7rocprim17ROCPRIM_400000_NS6detail17trampoline_kernelINS0_14default_configENS1_25partition_config_selectorILNS1_17partition_subalgoE9EllbEEZZNS1_14partition_implILS5_9ELb0ES3_jPlS8_PNS0_10empty_typeENS0_5tupleIJS8_S9_EEENSB_IJS8_SA_EEENS0_18inequality_wrapperIZN2at6native12_GLOBAL__N_124unique_dim_cuda_templateIaEESt5tupleIJNSF_6TensorESK_SK_EERKSK_lbbbEUlllE0_EEPmJS9_EEE10hipError_tPvRmT3_T4_T5_T6_T7_T9_mT8_P12ihipStream_tbDpT10_ENKUlT_T0_E_clISt17integral_constantIbLb1EES19_IbLb0EEEEDaS15_S16_EUlS15_E_NS1_11comp_targetILNS1_3genE9ELNS1_11target_archE1100ELNS1_3gpuE3ELNS1_3repE0EEENS1_30default_config_static_selectorELNS0_4arch9wavefront6targetE1EEEvT1_
                                        ; -- End function
	.set _ZN7rocprim17ROCPRIM_400000_NS6detail17trampoline_kernelINS0_14default_configENS1_25partition_config_selectorILNS1_17partition_subalgoE9EllbEEZZNS1_14partition_implILS5_9ELb0ES3_jPlS8_PNS0_10empty_typeENS0_5tupleIJS8_S9_EEENSB_IJS8_SA_EEENS0_18inequality_wrapperIZN2at6native12_GLOBAL__N_124unique_dim_cuda_templateIaEESt5tupleIJNSF_6TensorESK_SK_EERKSK_lbbbEUlllE0_EEPmJS9_EEE10hipError_tPvRmT3_T4_T5_T6_T7_T9_mT8_P12ihipStream_tbDpT10_ENKUlT_T0_E_clISt17integral_constantIbLb1EES19_IbLb0EEEEDaS15_S16_EUlS15_E_NS1_11comp_targetILNS1_3genE9ELNS1_11target_archE1100ELNS1_3gpuE3ELNS1_3repE0EEENS1_30default_config_static_selectorELNS0_4arch9wavefront6targetE1EEEvT1_.num_vgpr, 0
	.set _ZN7rocprim17ROCPRIM_400000_NS6detail17trampoline_kernelINS0_14default_configENS1_25partition_config_selectorILNS1_17partition_subalgoE9EllbEEZZNS1_14partition_implILS5_9ELb0ES3_jPlS8_PNS0_10empty_typeENS0_5tupleIJS8_S9_EEENSB_IJS8_SA_EEENS0_18inequality_wrapperIZN2at6native12_GLOBAL__N_124unique_dim_cuda_templateIaEESt5tupleIJNSF_6TensorESK_SK_EERKSK_lbbbEUlllE0_EEPmJS9_EEE10hipError_tPvRmT3_T4_T5_T6_T7_T9_mT8_P12ihipStream_tbDpT10_ENKUlT_T0_E_clISt17integral_constantIbLb1EES19_IbLb0EEEEDaS15_S16_EUlS15_E_NS1_11comp_targetILNS1_3genE9ELNS1_11target_archE1100ELNS1_3gpuE3ELNS1_3repE0EEENS1_30default_config_static_selectorELNS0_4arch9wavefront6targetE1EEEvT1_.num_agpr, 0
	.set _ZN7rocprim17ROCPRIM_400000_NS6detail17trampoline_kernelINS0_14default_configENS1_25partition_config_selectorILNS1_17partition_subalgoE9EllbEEZZNS1_14partition_implILS5_9ELb0ES3_jPlS8_PNS0_10empty_typeENS0_5tupleIJS8_S9_EEENSB_IJS8_SA_EEENS0_18inequality_wrapperIZN2at6native12_GLOBAL__N_124unique_dim_cuda_templateIaEESt5tupleIJNSF_6TensorESK_SK_EERKSK_lbbbEUlllE0_EEPmJS9_EEE10hipError_tPvRmT3_T4_T5_T6_T7_T9_mT8_P12ihipStream_tbDpT10_ENKUlT_T0_E_clISt17integral_constantIbLb1EES19_IbLb0EEEEDaS15_S16_EUlS15_E_NS1_11comp_targetILNS1_3genE9ELNS1_11target_archE1100ELNS1_3gpuE3ELNS1_3repE0EEENS1_30default_config_static_selectorELNS0_4arch9wavefront6targetE1EEEvT1_.numbered_sgpr, 0
	.set _ZN7rocprim17ROCPRIM_400000_NS6detail17trampoline_kernelINS0_14default_configENS1_25partition_config_selectorILNS1_17partition_subalgoE9EllbEEZZNS1_14partition_implILS5_9ELb0ES3_jPlS8_PNS0_10empty_typeENS0_5tupleIJS8_S9_EEENSB_IJS8_SA_EEENS0_18inequality_wrapperIZN2at6native12_GLOBAL__N_124unique_dim_cuda_templateIaEESt5tupleIJNSF_6TensorESK_SK_EERKSK_lbbbEUlllE0_EEPmJS9_EEE10hipError_tPvRmT3_T4_T5_T6_T7_T9_mT8_P12ihipStream_tbDpT10_ENKUlT_T0_E_clISt17integral_constantIbLb1EES19_IbLb0EEEEDaS15_S16_EUlS15_E_NS1_11comp_targetILNS1_3genE9ELNS1_11target_archE1100ELNS1_3gpuE3ELNS1_3repE0EEENS1_30default_config_static_selectorELNS0_4arch9wavefront6targetE1EEEvT1_.num_named_barrier, 0
	.set _ZN7rocprim17ROCPRIM_400000_NS6detail17trampoline_kernelINS0_14default_configENS1_25partition_config_selectorILNS1_17partition_subalgoE9EllbEEZZNS1_14partition_implILS5_9ELb0ES3_jPlS8_PNS0_10empty_typeENS0_5tupleIJS8_S9_EEENSB_IJS8_SA_EEENS0_18inequality_wrapperIZN2at6native12_GLOBAL__N_124unique_dim_cuda_templateIaEESt5tupleIJNSF_6TensorESK_SK_EERKSK_lbbbEUlllE0_EEPmJS9_EEE10hipError_tPvRmT3_T4_T5_T6_T7_T9_mT8_P12ihipStream_tbDpT10_ENKUlT_T0_E_clISt17integral_constantIbLb1EES19_IbLb0EEEEDaS15_S16_EUlS15_E_NS1_11comp_targetILNS1_3genE9ELNS1_11target_archE1100ELNS1_3gpuE3ELNS1_3repE0EEENS1_30default_config_static_selectorELNS0_4arch9wavefront6targetE1EEEvT1_.private_seg_size, 0
	.set _ZN7rocprim17ROCPRIM_400000_NS6detail17trampoline_kernelINS0_14default_configENS1_25partition_config_selectorILNS1_17partition_subalgoE9EllbEEZZNS1_14partition_implILS5_9ELb0ES3_jPlS8_PNS0_10empty_typeENS0_5tupleIJS8_S9_EEENSB_IJS8_SA_EEENS0_18inequality_wrapperIZN2at6native12_GLOBAL__N_124unique_dim_cuda_templateIaEESt5tupleIJNSF_6TensorESK_SK_EERKSK_lbbbEUlllE0_EEPmJS9_EEE10hipError_tPvRmT3_T4_T5_T6_T7_T9_mT8_P12ihipStream_tbDpT10_ENKUlT_T0_E_clISt17integral_constantIbLb1EES19_IbLb0EEEEDaS15_S16_EUlS15_E_NS1_11comp_targetILNS1_3genE9ELNS1_11target_archE1100ELNS1_3gpuE3ELNS1_3repE0EEENS1_30default_config_static_selectorELNS0_4arch9wavefront6targetE1EEEvT1_.uses_vcc, 0
	.set _ZN7rocprim17ROCPRIM_400000_NS6detail17trampoline_kernelINS0_14default_configENS1_25partition_config_selectorILNS1_17partition_subalgoE9EllbEEZZNS1_14partition_implILS5_9ELb0ES3_jPlS8_PNS0_10empty_typeENS0_5tupleIJS8_S9_EEENSB_IJS8_SA_EEENS0_18inequality_wrapperIZN2at6native12_GLOBAL__N_124unique_dim_cuda_templateIaEESt5tupleIJNSF_6TensorESK_SK_EERKSK_lbbbEUlllE0_EEPmJS9_EEE10hipError_tPvRmT3_T4_T5_T6_T7_T9_mT8_P12ihipStream_tbDpT10_ENKUlT_T0_E_clISt17integral_constantIbLb1EES19_IbLb0EEEEDaS15_S16_EUlS15_E_NS1_11comp_targetILNS1_3genE9ELNS1_11target_archE1100ELNS1_3gpuE3ELNS1_3repE0EEENS1_30default_config_static_selectorELNS0_4arch9wavefront6targetE1EEEvT1_.uses_flat_scratch, 0
	.set _ZN7rocprim17ROCPRIM_400000_NS6detail17trampoline_kernelINS0_14default_configENS1_25partition_config_selectorILNS1_17partition_subalgoE9EllbEEZZNS1_14partition_implILS5_9ELb0ES3_jPlS8_PNS0_10empty_typeENS0_5tupleIJS8_S9_EEENSB_IJS8_SA_EEENS0_18inequality_wrapperIZN2at6native12_GLOBAL__N_124unique_dim_cuda_templateIaEESt5tupleIJNSF_6TensorESK_SK_EERKSK_lbbbEUlllE0_EEPmJS9_EEE10hipError_tPvRmT3_T4_T5_T6_T7_T9_mT8_P12ihipStream_tbDpT10_ENKUlT_T0_E_clISt17integral_constantIbLb1EES19_IbLb0EEEEDaS15_S16_EUlS15_E_NS1_11comp_targetILNS1_3genE9ELNS1_11target_archE1100ELNS1_3gpuE3ELNS1_3repE0EEENS1_30default_config_static_selectorELNS0_4arch9wavefront6targetE1EEEvT1_.has_dyn_sized_stack, 0
	.set _ZN7rocprim17ROCPRIM_400000_NS6detail17trampoline_kernelINS0_14default_configENS1_25partition_config_selectorILNS1_17partition_subalgoE9EllbEEZZNS1_14partition_implILS5_9ELb0ES3_jPlS8_PNS0_10empty_typeENS0_5tupleIJS8_S9_EEENSB_IJS8_SA_EEENS0_18inequality_wrapperIZN2at6native12_GLOBAL__N_124unique_dim_cuda_templateIaEESt5tupleIJNSF_6TensorESK_SK_EERKSK_lbbbEUlllE0_EEPmJS9_EEE10hipError_tPvRmT3_T4_T5_T6_T7_T9_mT8_P12ihipStream_tbDpT10_ENKUlT_T0_E_clISt17integral_constantIbLb1EES19_IbLb0EEEEDaS15_S16_EUlS15_E_NS1_11comp_targetILNS1_3genE9ELNS1_11target_archE1100ELNS1_3gpuE3ELNS1_3repE0EEENS1_30default_config_static_selectorELNS0_4arch9wavefront6targetE1EEEvT1_.has_recursion, 0
	.set _ZN7rocprim17ROCPRIM_400000_NS6detail17trampoline_kernelINS0_14default_configENS1_25partition_config_selectorILNS1_17partition_subalgoE9EllbEEZZNS1_14partition_implILS5_9ELb0ES3_jPlS8_PNS0_10empty_typeENS0_5tupleIJS8_S9_EEENSB_IJS8_SA_EEENS0_18inequality_wrapperIZN2at6native12_GLOBAL__N_124unique_dim_cuda_templateIaEESt5tupleIJNSF_6TensorESK_SK_EERKSK_lbbbEUlllE0_EEPmJS9_EEE10hipError_tPvRmT3_T4_T5_T6_T7_T9_mT8_P12ihipStream_tbDpT10_ENKUlT_T0_E_clISt17integral_constantIbLb1EES19_IbLb0EEEEDaS15_S16_EUlS15_E_NS1_11comp_targetILNS1_3genE9ELNS1_11target_archE1100ELNS1_3gpuE3ELNS1_3repE0EEENS1_30default_config_static_selectorELNS0_4arch9wavefront6targetE1EEEvT1_.has_indirect_call, 0
	.section	.AMDGPU.csdata,"",@progbits
; Kernel info:
; codeLenInByte = 0
; TotalNumSgprs: 6
; NumVgprs: 0
; NumAgprs: 0
; TotalNumVgprs: 0
; ScratchSize: 0
; MemoryBound: 0
; FloatMode: 240
; IeeeMode: 1
; LDSByteSize: 0 bytes/workgroup (compile time only)
; SGPRBlocks: 0
; VGPRBlocks: 0
; NumSGPRsForWavesPerEU: 6
; NumVGPRsForWavesPerEU: 1
; AccumOffset: 4
; Occupancy: 8
; WaveLimiterHint : 0
; COMPUTE_PGM_RSRC2:SCRATCH_EN: 0
; COMPUTE_PGM_RSRC2:USER_SGPR: 2
; COMPUTE_PGM_RSRC2:TRAP_HANDLER: 0
; COMPUTE_PGM_RSRC2:TGID_X_EN: 1
; COMPUTE_PGM_RSRC2:TGID_Y_EN: 0
; COMPUTE_PGM_RSRC2:TGID_Z_EN: 0
; COMPUTE_PGM_RSRC2:TIDIG_COMP_CNT: 0
; COMPUTE_PGM_RSRC3_GFX90A:ACCUM_OFFSET: 0
; COMPUTE_PGM_RSRC3_GFX90A:TG_SPLIT: 0
	.section	.text._ZN7rocprim17ROCPRIM_400000_NS6detail17trampoline_kernelINS0_14default_configENS1_25partition_config_selectorILNS1_17partition_subalgoE9EllbEEZZNS1_14partition_implILS5_9ELb0ES3_jPlS8_PNS0_10empty_typeENS0_5tupleIJS8_S9_EEENSB_IJS8_SA_EEENS0_18inequality_wrapperIZN2at6native12_GLOBAL__N_124unique_dim_cuda_templateIaEESt5tupleIJNSF_6TensorESK_SK_EERKSK_lbbbEUlllE0_EEPmJS9_EEE10hipError_tPvRmT3_T4_T5_T6_T7_T9_mT8_P12ihipStream_tbDpT10_ENKUlT_T0_E_clISt17integral_constantIbLb1EES19_IbLb0EEEEDaS15_S16_EUlS15_E_NS1_11comp_targetILNS1_3genE8ELNS1_11target_archE1030ELNS1_3gpuE2ELNS1_3repE0EEENS1_30default_config_static_selectorELNS0_4arch9wavefront6targetE1EEEvT1_,"axG",@progbits,_ZN7rocprim17ROCPRIM_400000_NS6detail17trampoline_kernelINS0_14default_configENS1_25partition_config_selectorILNS1_17partition_subalgoE9EllbEEZZNS1_14partition_implILS5_9ELb0ES3_jPlS8_PNS0_10empty_typeENS0_5tupleIJS8_S9_EEENSB_IJS8_SA_EEENS0_18inequality_wrapperIZN2at6native12_GLOBAL__N_124unique_dim_cuda_templateIaEESt5tupleIJNSF_6TensorESK_SK_EERKSK_lbbbEUlllE0_EEPmJS9_EEE10hipError_tPvRmT3_T4_T5_T6_T7_T9_mT8_P12ihipStream_tbDpT10_ENKUlT_T0_E_clISt17integral_constantIbLb1EES19_IbLb0EEEEDaS15_S16_EUlS15_E_NS1_11comp_targetILNS1_3genE8ELNS1_11target_archE1030ELNS1_3gpuE2ELNS1_3repE0EEENS1_30default_config_static_selectorELNS0_4arch9wavefront6targetE1EEEvT1_,comdat
	.globl	_ZN7rocprim17ROCPRIM_400000_NS6detail17trampoline_kernelINS0_14default_configENS1_25partition_config_selectorILNS1_17partition_subalgoE9EllbEEZZNS1_14partition_implILS5_9ELb0ES3_jPlS8_PNS0_10empty_typeENS0_5tupleIJS8_S9_EEENSB_IJS8_SA_EEENS0_18inequality_wrapperIZN2at6native12_GLOBAL__N_124unique_dim_cuda_templateIaEESt5tupleIJNSF_6TensorESK_SK_EERKSK_lbbbEUlllE0_EEPmJS9_EEE10hipError_tPvRmT3_T4_T5_T6_T7_T9_mT8_P12ihipStream_tbDpT10_ENKUlT_T0_E_clISt17integral_constantIbLb1EES19_IbLb0EEEEDaS15_S16_EUlS15_E_NS1_11comp_targetILNS1_3genE8ELNS1_11target_archE1030ELNS1_3gpuE2ELNS1_3repE0EEENS1_30default_config_static_selectorELNS0_4arch9wavefront6targetE1EEEvT1_ ; -- Begin function _ZN7rocprim17ROCPRIM_400000_NS6detail17trampoline_kernelINS0_14default_configENS1_25partition_config_selectorILNS1_17partition_subalgoE9EllbEEZZNS1_14partition_implILS5_9ELb0ES3_jPlS8_PNS0_10empty_typeENS0_5tupleIJS8_S9_EEENSB_IJS8_SA_EEENS0_18inequality_wrapperIZN2at6native12_GLOBAL__N_124unique_dim_cuda_templateIaEESt5tupleIJNSF_6TensorESK_SK_EERKSK_lbbbEUlllE0_EEPmJS9_EEE10hipError_tPvRmT3_T4_T5_T6_T7_T9_mT8_P12ihipStream_tbDpT10_ENKUlT_T0_E_clISt17integral_constantIbLb1EES19_IbLb0EEEEDaS15_S16_EUlS15_E_NS1_11comp_targetILNS1_3genE8ELNS1_11target_archE1030ELNS1_3gpuE2ELNS1_3repE0EEENS1_30default_config_static_selectorELNS0_4arch9wavefront6targetE1EEEvT1_
	.p2align	8
	.type	_ZN7rocprim17ROCPRIM_400000_NS6detail17trampoline_kernelINS0_14default_configENS1_25partition_config_selectorILNS1_17partition_subalgoE9EllbEEZZNS1_14partition_implILS5_9ELb0ES3_jPlS8_PNS0_10empty_typeENS0_5tupleIJS8_S9_EEENSB_IJS8_SA_EEENS0_18inequality_wrapperIZN2at6native12_GLOBAL__N_124unique_dim_cuda_templateIaEESt5tupleIJNSF_6TensorESK_SK_EERKSK_lbbbEUlllE0_EEPmJS9_EEE10hipError_tPvRmT3_T4_T5_T6_T7_T9_mT8_P12ihipStream_tbDpT10_ENKUlT_T0_E_clISt17integral_constantIbLb1EES19_IbLb0EEEEDaS15_S16_EUlS15_E_NS1_11comp_targetILNS1_3genE8ELNS1_11target_archE1030ELNS1_3gpuE2ELNS1_3repE0EEENS1_30default_config_static_selectorELNS0_4arch9wavefront6targetE1EEEvT1_,@function
_ZN7rocprim17ROCPRIM_400000_NS6detail17trampoline_kernelINS0_14default_configENS1_25partition_config_selectorILNS1_17partition_subalgoE9EllbEEZZNS1_14partition_implILS5_9ELb0ES3_jPlS8_PNS0_10empty_typeENS0_5tupleIJS8_S9_EEENSB_IJS8_SA_EEENS0_18inequality_wrapperIZN2at6native12_GLOBAL__N_124unique_dim_cuda_templateIaEESt5tupleIJNSF_6TensorESK_SK_EERKSK_lbbbEUlllE0_EEPmJS9_EEE10hipError_tPvRmT3_T4_T5_T6_T7_T9_mT8_P12ihipStream_tbDpT10_ENKUlT_T0_E_clISt17integral_constantIbLb1EES19_IbLb0EEEEDaS15_S16_EUlS15_E_NS1_11comp_targetILNS1_3genE8ELNS1_11target_archE1030ELNS1_3gpuE2ELNS1_3repE0EEENS1_30default_config_static_selectorELNS0_4arch9wavefront6targetE1EEEvT1_: ; @_ZN7rocprim17ROCPRIM_400000_NS6detail17trampoline_kernelINS0_14default_configENS1_25partition_config_selectorILNS1_17partition_subalgoE9EllbEEZZNS1_14partition_implILS5_9ELb0ES3_jPlS8_PNS0_10empty_typeENS0_5tupleIJS8_S9_EEENSB_IJS8_SA_EEENS0_18inequality_wrapperIZN2at6native12_GLOBAL__N_124unique_dim_cuda_templateIaEESt5tupleIJNSF_6TensorESK_SK_EERKSK_lbbbEUlllE0_EEPmJS9_EEE10hipError_tPvRmT3_T4_T5_T6_T7_T9_mT8_P12ihipStream_tbDpT10_ENKUlT_T0_E_clISt17integral_constantIbLb1EES19_IbLb0EEEEDaS15_S16_EUlS15_E_NS1_11comp_targetILNS1_3genE8ELNS1_11target_archE1030ELNS1_3gpuE2ELNS1_3repE0EEENS1_30default_config_static_selectorELNS0_4arch9wavefront6targetE1EEEvT1_
; %bb.0:
	.section	.rodata,"a",@progbits
	.p2align	6, 0x0
	.amdhsa_kernel _ZN7rocprim17ROCPRIM_400000_NS6detail17trampoline_kernelINS0_14default_configENS1_25partition_config_selectorILNS1_17partition_subalgoE9EllbEEZZNS1_14partition_implILS5_9ELb0ES3_jPlS8_PNS0_10empty_typeENS0_5tupleIJS8_S9_EEENSB_IJS8_SA_EEENS0_18inequality_wrapperIZN2at6native12_GLOBAL__N_124unique_dim_cuda_templateIaEESt5tupleIJNSF_6TensorESK_SK_EERKSK_lbbbEUlllE0_EEPmJS9_EEE10hipError_tPvRmT3_T4_T5_T6_T7_T9_mT8_P12ihipStream_tbDpT10_ENKUlT_T0_E_clISt17integral_constantIbLb1EES19_IbLb0EEEEDaS15_S16_EUlS15_E_NS1_11comp_targetILNS1_3genE8ELNS1_11target_archE1030ELNS1_3gpuE2ELNS1_3repE0EEENS1_30default_config_static_selectorELNS0_4arch9wavefront6targetE1EEEvT1_
		.amdhsa_group_segment_fixed_size 0
		.amdhsa_private_segment_fixed_size 0
		.amdhsa_kernarg_size 120
		.amdhsa_user_sgpr_count 2
		.amdhsa_user_sgpr_dispatch_ptr 0
		.amdhsa_user_sgpr_queue_ptr 0
		.amdhsa_user_sgpr_kernarg_segment_ptr 1
		.amdhsa_user_sgpr_dispatch_id 0
		.amdhsa_user_sgpr_kernarg_preload_length 0
		.amdhsa_user_sgpr_kernarg_preload_offset 0
		.amdhsa_user_sgpr_private_segment_size 0
		.amdhsa_uses_dynamic_stack 0
		.amdhsa_enable_private_segment 0
		.amdhsa_system_sgpr_workgroup_id_x 1
		.amdhsa_system_sgpr_workgroup_id_y 0
		.amdhsa_system_sgpr_workgroup_id_z 0
		.amdhsa_system_sgpr_workgroup_info 0
		.amdhsa_system_vgpr_workitem_id 0
		.amdhsa_next_free_vgpr 1
		.amdhsa_next_free_sgpr 0
		.amdhsa_accum_offset 4
		.amdhsa_reserve_vcc 0
		.amdhsa_float_round_mode_32 0
		.amdhsa_float_round_mode_16_64 0
		.amdhsa_float_denorm_mode_32 3
		.amdhsa_float_denorm_mode_16_64 3
		.amdhsa_dx10_clamp 1
		.amdhsa_ieee_mode 1
		.amdhsa_fp16_overflow 0
		.amdhsa_tg_split 0
		.amdhsa_exception_fp_ieee_invalid_op 0
		.amdhsa_exception_fp_denorm_src 0
		.amdhsa_exception_fp_ieee_div_zero 0
		.amdhsa_exception_fp_ieee_overflow 0
		.amdhsa_exception_fp_ieee_underflow 0
		.amdhsa_exception_fp_ieee_inexact 0
		.amdhsa_exception_int_div_zero 0
	.end_amdhsa_kernel
	.section	.text._ZN7rocprim17ROCPRIM_400000_NS6detail17trampoline_kernelINS0_14default_configENS1_25partition_config_selectorILNS1_17partition_subalgoE9EllbEEZZNS1_14partition_implILS5_9ELb0ES3_jPlS8_PNS0_10empty_typeENS0_5tupleIJS8_S9_EEENSB_IJS8_SA_EEENS0_18inequality_wrapperIZN2at6native12_GLOBAL__N_124unique_dim_cuda_templateIaEESt5tupleIJNSF_6TensorESK_SK_EERKSK_lbbbEUlllE0_EEPmJS9_EEE10hipError_tPvRmT3_T4_T5_T6_T7_T9_mT8_P12ihipStream_tbDpT10_ENKUlT_T0_E_clISt17integral_constantIbLb1EES19_IbLb0EEEEDaS15_S16_EUlS15_E_NS1_11comp_targetILNS1_3genE8ELNS1_11target_archE1030ELNS1_3gpuE2ELNS1_3repE0EEENS1_30default_config_static_selectorELNS0_4arch9wavefront6targetE1EEEvT1_,"axG",@progbits,_ZN7rocprim17ROCPRIM_400000_NS6detail17trampoline_kernelINS0_14default_configENS1_25partition_config_selectorILNS1_17partition_subalgoE9EllbEEZZNS1_14partition_implILS5_9ELb0ES3_jPlS8_PNS0_10empty_typeENS0_5tupleIJS8_S9_EEENSB_IJS8_SA_EEENS0_18inequality_wrapperIZN2at6native12_GLOBAL__N_124unique_dim_cuda_templateIaEESt5tupleIJNSF_6TensorESK_SK_EERKSK_lbbbEUlllE0_EEPmJS9_EEE10hipError_tPvRmT3_T4_T5_T6_T7_T9_mT8_P12ihipStream_tbDpT10_ENKUlT_T0_E_clISt17integral_constantIbLb1EES19_IbLb0EEEEDaS15_S16_EUlS15_E_NS1_11comp_targetILNS1_3genE8ELNS1_11target_archE1030ELNS1_3gpuE2ELNS1_3repE0EEENS1_30default_config_static_selectorELNS0_4arch9wavefront6targetE1EEEvT1_,comdat
.Lfunc_end374:
	.size	_ZN7rocprim17ROCPRIM_400000_NS6detail17trampoline_kernelINS0_14default_configENS1_25partition_config_selectorILNS1_17partition_subalgoE9EllbEEZZNS1_14partition_implILS5_9ELb0ES3_jPlS8_PNS0_10empty_typeENS0_5tupleIJS8_S9_EEENSB_IJS8_SA_EEENS0_18inequality_wrapperIZN2at6native12_GLOBAL__N_124unique_dim_cuda_templateIaEESt5tupleIJNSF_6TensorESK_SK_EERKSK_lbbbEUlllE0_EEPmJS9_EEE10hipError_tPvRmT3_T4_T5_T6_T7_T9_mT8_P12ihipStream_tbDpT10_ENKUlT_T0_E_clISt17integral_constantIbLb1EES19_IbLb0EEEEDaS15_S16_EUlS15_E_NS1_11comp_targetILNS1_3genE8ELNS1_11target_archE1030ELNS1_3gpuE2ELNS1_3repE0EEENS1_30default_config_static_selectorELNS0_4arch9wavefront6targetE1EEEvT1_, .Lfunc_end374-_ZN7rocprim17ROCPRIM_400000_NS6detail17trampoline_kernelINS0_14default_configENS1_25partition_config_selectorILNS1_17partition_subalgoE9EllbEEZZNS1_14partition_implILS5_9ELb0ES3_jPlS8_PNS0_10empty_typeENS0_5tupleIJS8_S9_EEENSB_IJS8_SA_EEENS0_18inequality_wrapperIZN2at6native12_GLOBAL__N_124unique_dim_cuda_templateIaEESt5tupleIJNSF_6TensorESK_SK_EERKSK_lbbbEUlllE0_EEPmJS9_EEE10hipError_tPvRmT3_T4_T5_T6_T7_T9_mT8_P12ihipStream_tbDpT10_ENKUlT_T0_E_clISt17integral_constantIbLb1EES19_IbLb0EEEEDaS15_S16_EUlS15_E_NS1_11comp_targetILNS1_3genE8ELNS1_11target_archE1030ELNS1_3gpuE2ELNS1_3repE0EEENS1_30default_config_static_selectorELNS0_4arch9wavefront6targetE1EEEvT1_
                                        ; -- End function
	.set _ZN7rocprim17ROCPRIM_400000_NS6detail17trampoline_kernelINS0_14default_configENS1_25partition_config_selectorILNS1_17partition_subalgoE9EllbEEZZNS1_14partition_implILS5_9ELb0ES3_jPlS8_PNS0_10empty_typeENS0_5tupleIJS8_S9_EEENSB_IJS8_SA_EEENS0_18inequality_wrapperIZN2at6native12_GLOBAL__N_124unique_dim_cuda_templateIaEESt5tupleIJNSF_6TensorESK_SK_EERKSK_lbbbEUlllE0_EEPmJS9_EEE10hipError_tPvRmT3_T4_T5_T6_T7_T9_mT8_P12ihipStream_tbDpT10_ENKUlT_T0_E_clISt17integral_constantIbLb1EES19_IbLb0EEEEDaS15_S16_EUlS15_E_NS1_11comp_targetILNS1_3genE8ELNS1_11target_archE1030ELNS1_3gpuE2ELNS1_3repE0EEENS1_30default_config_static_selectorELNS0_4arch9wavefront6targetE1EEEvT1_.num_vgpr, 0
	.set _ZN7rocprim17ROCPRIM_400000_NS6detail17trampoline_kernelINS0_14default_configENS1_25partition_config_selectorILNS1_17partition_subalgoE9EllbEEZZNS1_14partition_implILS5_9ELb0ES3_jPlS8_PNS0_10empty_typeENS0_5tupleIJS8_S9_EEENSB_IJS8_SA_EEENS0_18inequality_wrapperIZN2at6native12_GLOBAL__N_124unique_dim_cuda_templateIaEESt5tupleIJNSF_6TensorESK_SK_EERKSK_lbbbEUlllE0_EEPmJS9_EEE10hipError_tPvRmT3_T4_T5_T6_T7_T9_mT8_P12ihipStream_tbDpT10_ENKUlT_T0_E_clISt17integral_constantIbLb1EES19_IbLb0EEEEDaS15_S16_EUlS15_E_NS1_11comp_targetILNS1_3genE8ELNS1_11target_archE1030ELNS1_3gpuE2ELNS1_3repE0EEENS1_30default_config_static_selectorELNS0_4arch9wavefront6targetE1EEEvT1_.num_agpr, 0
	.set _ZN7rocprim17ROCPRIM_400000_NS6detail17trampoline_kernelINS0_14default_configENS1_25partition_config_selectorILNS1_17partition_subalgoE9EllbEEZZNS1_14partition_implILS5_9ELb0ES3_jPlS8_PNS0_10empty_typeENS0_5tupleIJS8_S9_EEENSB_IJS8_SA_EEENS0_18inequality_wrapperIZN2at6native12_GLOBAL__N_124unique_dim_cuda_templateIaEESt5tupleIJNSF_6TensorESK_SK_EERKSK_lbbbEUlllE0_EEPmJS9_EEE10hipError_tPvRmT3_T4_T5_T6_T7_T9_mT8_P12ihipStream_tbDpT10_ENKUlT_T0_E_clISt17integral_constantIbLb1EES19_IbLb0EEEEDaS15_S16_EUlS15_E_NS1_11comp_targetILNS1_3genE8ELNS1_11target_archE1030ELNS1_3gpuE2ELNS1_3repE0EEENS1_30default_config_static_selectorELNS0_4arch9wavefront6targetE1EEEvT1_.numbered_sgpr, 0
	.set _ZN7rocprim17ROCPRIM_400000_NS6detail17trampoline_kernelINS0_14default_configENS1_25partition_config_selectorILNS1_17partition_subalgoE9EllbEEZZNS1_14partition_implILS5_9ELb0ES3_jPlS8_PNS0_10empty_typeENS0_5tupleIJS8_S9_EEENSB_IJS8_SA_EEENS0_18inequality_wrapperIZN2at6native12_GLOBAL__N_124unique_dim_cuda_templateIaEESt5tupleIJNSF_6TensorESK_SK_EERKSK_lbbbEUlllE0_EEPmJS9_EEE10hipError_tPvRmT3_T4_T5_T6_T7_T9_mT8_P12ihipStream_tbDpT10_ENKUlT_T0_E_clISt17integral_constantIbLb1EES19_IbLb0EEEEDaS15_S16_EUlS15_E_NS1_11comp_targetILNS1_3genE8ELNS1_11target_archE1030ELNS1_3gpuE2ELNS1_3repE0EEENS1_30default_config_static_selectorELNS0_4arch9wavefront6targetE1EEEvT1_.num_named_barrier, 0
	.set _ZN7rocprim17ROCPRIM_400000_NS6detail17trampoline_kernelINS0_14default_configENS1_25partition_config_selectorILNS1_17partition_subalgoE9EllbEEZZNS1_14partition_implILS5_9ELb0ES3_jPlS8_PNS0_10empty_typeENS0_5tupleIJS8_S9_EEENSB_IJS8_SA_EEENS0_18inequality_wrapperIZN2at6native12_GLOBAL__N_124unique_dim_cuda_templateIaEESt5tupleIJNSF_6TensorESK_SK_EERKSK_lbbbEUlllE0_EEPmJS9_EEE10hipError_tPvRmT3_T4_T5_T6_T7_T9_mT8_P12ihipStream_tbDpT10_ENKUlT_T0_E_clISt17integral_constantIbLb1EES19_IbLb0EEEEDaS15_S16_EUlS15_E_NS1_11comp_targetILNS1_3genE8ELNS1_11target_archE1030ELNS1_3gpuE2ELNS1_3repE0EEENS1_30default_config_static_selectorELNS0_4arch9wavefront6targetE1EEEvT1_.private_seg_size, 0
	.set _ZN7rocprim17ROCPRIM_400000_NS6detail17trampoline_kernelINS0_14default_configENS1_25partition_config_selectorILNS1_17partition_subalgoE9EllbEEZZNS1_14partition_implILS5_9ELb0ES3_jPlS8_PNS0_10empty_typeENS0_5tupleIJS8_S9_EEENSB_IJS8_SA_EEENS0_18inequality_wrapperIZN2at6native12_GLOBAL__N_124unique_dim_cuda_templateIaEESt5tupleIJNSF_6TensorESK_SK_EERKSK_lbbbEUlllE0_EEPmJS9_EEE10hipError_tPvRmT3_T4_T5_T6_T7_T9_mT8_P12ihipStream_tbDpT10_ENKUlT_T0_E_clISt17integral_constantIbLb1EES19_IbLb0EEEEDaS15_S16_EUlS15_E_NS1_11comp_targetILNS1_3genE8ELNS1_11target_archE1030ELNS1_3gpuE2ELNS1_3repE0EEENS1_30default_config_static_selectorELNS0_4arch9wavefront6targetE1EEEvT1_.uses_vcc, 0
	.set _ZN7rocprim17ROCPRIM_400000_NS6detail17trampoline_kernelINS0_14default_configENS1_25partition_config_selectorILNS1_17partition_subalgoE9EllbEEZZNS1_14partition_implILS5_9ELb0ES3_jPlS8_PNS0_10empty_typeENS0_5tupleIJS8_S9_EEENSB_IJS8_SA_EEENS0_18inequality_wrapperIZN2at6native12_GLOBAL__N_124unique_dim_cuda_templateIaEESt5tupleIJNSF_6TensorESK_SK_EERKSK_lbbbEUlllE0_EEPmJS9_EEE10hipError_tPvRmT3_T4_T5_T6_T7_T9_mT8_P12ihipStream_tbDpT10_ENKUlT_T0_E_clISt17integral_constantIbLb1EES19_IbLb0EEEEDaS15_S16_EUlS15_E_NS1_11comp_targetILNS1_3genE8ELNS1_11target_archE1030ELNS1_3gpuE2ELNS1_3repE0EEENS1_30default_config_static_selectorELNS0_4arch9wavefront6targetE1EEEvT1_.uses_flat_scratch, 0
	.set _ZN7rocprim17ROCPRIM_400000_NS6detail17trampoline_kernelINS0_14default_configENS1_25partition_config_selectorILNS1_17partition_subalgoE9EllbEEZZNS1_14partition_implILS5_9ELb0ES3_jPlS8_PNS0_10empty_typeENS0_5tupleIJS8_S9_EEENSB_IJS8_SA_EEENS0_18inequality_wrapperIZN2at6native12_GLOBAL__N_124unique_dim_cuda_templateIaEESt5tupleIJNSF_6TensorESK_SK_EERKSK_lbbbEUlllE0_EEPmJS9_EEE10hipError_tPvRmT3_T4_T5_T6_T7_T9_mT8_P12ihipStream_tbDpT10_ENKUlT_T0_E_clISt17integral_constantIbLb1EES19_IbLb0EEEEDaS15_S16_EUlS15_E_NS1_11comp_targetILNS1_3genE8ELNS1_11target_archE1030ELNS1_3gpuE2ELNS1_3repE0EEENS1_30default_config_static_selectorELNS0_4arch9wavefront6targetE1EEEvT1_.has_dyn_sized_stack, 0
	.set _ZN7rocprim17ROCPRIM_400000_NS6detail17trampoline_kernelINS0_14default_configENS1_25partition_config_selectorILNS1_17partition_subalgoE9EllbEEZZNS1_14partition_implILS5_9ELb0ES3_jPlS8_PNS0_10empty_typeENS0_5tupleIJS8_S9_EEENSB_IJS8_SA_EEENS0_18inequality_wrapperIZN2at6native12_GLOBAL__N_124unique_dim_cuda_templateIaEESt5tupleIJNSF_6TensorESK_SK_EERKSK_lbbbEUlllE0_EEPmJS9_EEE10hipError_tPvRmT3_T4_T5_T6_T7_T9_mT8_P12ihipStream_tbDpT10_ENKUlT_T0_E_clISt17integral_constantIbLb1EES19_IbLb0EEEEDaS15_S16_EUlS15_E_NS1_11comp_targetILNS1_3genE8ELNS1_11target_archE1030ELNS1_3gpuE2ELNS1_3repE0EEENS1_30default_config_static_selectorELNS0_4arch9wavefront6targetE1EEEvT1_.has_recursion, 0
	.set _ZN7rocprim17ROCPRIM_400000_NS6detail17trampoline_kernelINS0_14default_configENS1_25partition_config_selectorILNS1_17partition_subalgoE9EllbEEZZNS1_14partition_implILS5_9ELb0ES3_jPlS8_PNS0_10empty_typeENS0_5tupleIJS8_S9_EEENSB_IJS8_SA_EEENS0_18inequality_wrapperIZN2at6native12_GLOBAL__N_124unique_dim_cuda_templateIaEESt5tupleIJNSF_6TensorESK_SK_EERKSK_lbbbEUlllE0_EEPmJS9_EEE10hipError_tPvRmT3_T4_T5_T6_T7_T9_mT8_P12ihipStream_tbDpT10_ENKUlT_T0_E_clISt17integral_constantIbLb1EES19_IbLb0EEEEDaS15_S16_EUlS15_E_NS1_11comp_targetILNS1_3genE8ELNS1_11target_archE1030ELNS1_3gpuE2ELNS1_3repE0EEENS1_30default_config_static_selectorELNS0_4arch9wavefront6targetE1EEEvT1_.has_indirect_call, 0
	.section	.AMDGPU.csdata,"",@progbits
; Kernel info:
; codeLenInByte = 0
; TotalNumSgprs: 6
; NumVgprs: 0
; NumAgprs: 0
; TotalNumVgprs: 0
; ScratchSize: 0
; MemoryBound: 0
; FloatMode: 240
; IeeeMode: 1
; LDSByteSize: 0 bytes/workgroup (compile time only)
; SGPRBlocks: 0
; VGPRBlocks: 0
; NumSGPRsForWavesPerEU: 6
; NumVGPRsForWavesPerEU: 1
; AccumOffset: 4
; Occupancy: 8
; WaveLimiterHint : 0
; COMPUTE_PGM_RSRC2:SCRATCH_EN: 0
; COMPUTE_PGM_RSRC2:USER_SGPR: 2
; COMPUTE_PGM_RSRC2:TRAP_HANDLER: 0
; COMPUTE_PGM_RSRC2:TGID_X_EN: 1
; COMPUTE_PGM_RSRC2:TGID_Y_EN: 0
; COMPUTE_PGM_RSRC2:TGID_Z_EN: 0
; COMPUTE_PGM_RSRC2:TIDIG_COMP_CNT: 0
; COMPUTE_PGM_RSRC3_GFX90A:ACCUM_OFFSET: 0
; COMPUTE_PGM_RSRC3_GFX90A:TG_SPLIT: 0
	.section	.text._ZN7rocprim17ROCPRIM_400000_NS6detail17trampoline_kernelINS0_14default_configENS1_25partition_config_selectorILNS1_17partition_subalgoE9EllbEEZZNS1_14partition_implILS5_9ELb0ES3_jPlS8_PNS0_10empty_typeENS0_5tupleIJS8_S9_EEENSB_IJS8_SA_EEENS0_18inequality_wrapperIZN2at6native12_GLOBAL__N_124unique_dim_cuda_templateIaEESt5tupleIJNSF_6TensorESK_SK_EERKSK_lbbbEUlllE0_EEPmJS9_EEE10hipError_tPvRmT3_T4_T5_T6_T7_T9_mT8_P12ihipStream_tbDpT10_ENKUlT_T0_E_clISt17integral_constantIbLb0EES19_IbLb1EEEEDaS15_S16_EUlS15_E_NS1_11comp_targetILNS1_3genE0ELNS1_11target_archE4294967295ELNS1_3gpuE0ELNS1_3repE0EEENS1_30default_config_static_selectorELNS0_4arch9wavefront6targetE1EEEvT1_,"axG",@progbits,_ZN7rocprim17ROCPRIM_400000_NS6detail17trampoline_kernelINS0_14default_configENS1_25partition_config_selectorILNS1_17partition_subalgoE9EllbEEZZNS1_14partition_implILS5_9ELb0ES3_jPlS8_PNS0_10empty_typeENS0_5tupleIJS8_S9_EEENSB_IJS8_SA_EEENS0_18inequality_wrapperIZN2at6native12_GLOBAL__N_124unique_dim_cuda_templateIaEESt5tupleIJNSF_6TensorESK_SK_EERKSK_lbbbEUlllE0_EEPmJS9_EEE10hipError_tPvRmT3_T4_T5_T6_T7_T9_mT8_P12ihipStream_tbDpT10_ENKUlT_T0_E_clISt17integral_constantIbLb0EES19_IbLb1EEEEDaS15_S16_EUlS15_E_NS1_11comp_targetILNS1_3genE0ELNS1_11target_archE4294967295ELNS1_3gpuE0ELNS1_3repE0EEENS1_30default_config_static_selectorELNS0_4arch9wavefront6targetE1EEEvT1_,comdat
	.globl	_ZN7rocprim17ROCPRIM_400000_NS6detail17trampoline_kernelINS0_14default_configENS1_25partition_config_selectorILNS1_17partition_subalgoE9EllbEEZZNS1_14partition_implILS5_9ELb0ES3_jPlS8_PNS0_10empty_typeENS0_5tupleIJS8_S9_EEENSB_IJS8_SA_EEENS0_18inequality_wrapperIZN2at6native12_GLOBAL__N_124unique_dim_cuda_templateIaEESt5tupleIJNSF_6TensorESK_SK_EERKSK_lbbbEUlllE0_EEPmJS9_EEE10hipError_tPvRmT3_T4_T5_T6_T7_T9_mT8_P12ihipStream_tbDpT10_ENKUlT_T0_E_clISt17integral_constantIbLb0EES19_IbLb1EEEEDaS15_S16_EUlS15_E_NS1_11comp_targetILNS1_3genE0ELNS1_11target_archE4294967295ELNS1_3gpuE0ELNS1_3repE0EEENS1_30default_config_static_selectorELNS0_4arch9wavefront6targetE1EEEvT1_ ; -- Begin function _ZN7rocprim17ROCPRIM_400000_NS6detail17trampoline_kernelINS0_14default_configENS1_25partition_config_selectorILNS1_17partition_subalgoE9EllbEEZZNS1_14partition_implILS5_9ELb0ES3_jPlS8_PNS0_10empty_typeENS0_5tupleIJS8_S9_EEENSB_IJS8_SA_EEENS0_18inequality_wrapperIZN2at6native12_GLOBAL__N_124unique_dim_cuda_templateIaEESt5tupleIJNSF_6TensorESK_SK_EERKSK_lbbbEUlllE0_EEPmJS9_EEE10hipError_tPvRmT3_T4_T5_T6_T7_T9_mT8_P12ihipStream_tbDpT10_ENKUlT_T0_E_clISt17integral_constantIbLb0EES19_IbLb1EEEEDaS15_S16_EUlS15_E_NS1_11comp_targetILNS1_3genE0ELNS1_11target_archE4294967295ELNS1_3gpuE0ELNS1_3repE0EEENS1_30default_config_static_selectorELNS0_4arch9wavefront6targetE1EEEvT1_
	.p2align	8
	.type	_ZN7rocprim17ROCPRIM_400000_NS6detail17trampoline_kernelINS0_14default_configENS1_25partition_config_selectorILNS1_17partition_subalgoE9EllbEEZZNS1_14partition_implILS5_9ELb0ES3_jPlS8_PNS0_10empty_typeENS0_5tupleIJS8_S9_EEENSB_IJS8_SA_EEENS0_18inequality_wrapperIZN2at6native12_GLOBAL__N_124unique_dim_cuda_templateIaEESt5tupleIJNSF_6TensorESK_SK_EERKSK_lbbbEUlllE0_EEPmJS9_EEE10hipError_tPvRmT3_T4_T5_T6_T7_T9_mT8_P12ihipStream_tbDpT10_ENKUlT_T0_E_clISt17integral_constantIbLb0EES19_IbLb1EEEEDaS15_S16_EUlS15_E_NS1_11comp_targetILNS1_3genE0ELNS1_11target_archE4294967295ELNS1_3gpuE0ELNS1_3repE0EEENS1_30default_config_static_selectorELNS0_4arch9wavefront6targetE1EEEvT1_,@function
_ZN7rocprim17ROCPRIM_400000_NS6detail17trampoline_kernelINS0_14default_configENS1_25partition_config_selectorILNS1_17partition_subalgoE9EllbEEZZNS1_14partition_implILS5_9ELb0ES3_jPlS8_PNS0_10empty_typeENS0_5tupleIJS8_S9_EEENSB_IJS8_SA_EEENS0_18inequality_wrapperIZN2at6native12_GLOBAL__N_124unique_dim_cuda_templateIaEESt5tupleIJNSF_6TensorESK_SK_EERKSK_lbbbEUlllE0_EEPmJS9_EEE10hipError_tPvRmT3_T4_T5_T6_T7_T9_mT8_P12ihipStream_tbDpT10_ENKUlT_T0_E_clISt17integral_constantIbLb0EES19_IbLb1EEEEDaS15_S16_EUlS15_E_NS1_11comp_targetILNS1_3genE0ELNS1_11target_archE4294967295ELNS1_3gpuE0ELNS1_3repE0EEENS1_30default_config_static_selectorELNS0_4arch9wavefront6targetE1EEEvT1_: ; @_ZN7rocprim17ROCPRIM_400000_NS6detail17trampoline_kernelINS0_14default_configENS1_25partition_config_selectorILNS1_17partition_subalgoE9EllbEEZZNS1_14partition_implILS5_9ELb0ES3_jPlS8_PNS0_10empty_typeENS0_5tupleIJS8_S9_EEENSB_IJS8_SA_EEENS0_18inequality_wrapperIZN2at6native12_GLOBAL__N_124unique_dim_cuda_templateIaEESt5tupleIJNSF_6TensorESK_SK_EERKSK_lbbbEUlllE0_EEPmJS9_EEE10hipError_tPvRmT3_T4_T5_T6_T7_T9_mT8_P12ihipStream_tbDpT10_ENKUlT_T0_E_clISt17integral_constantIbLb0EES19_IbLb1EEEEDaS15_S16_EUlS15_E_NS1_11comp_targetILNS1_3genE0ELNS1_11target_archE4294967295ELNS1_3gpuE0ELNS1_3repE0EEENS1_30default_config_static_selectorELNS0_4arch9wavefront6targetE1EEEvT1_
; %bb.0:
	s_load_dwordx4 s[4:7], s[0:1], 0x8
	s_load_dwordx2 s[10:11], s[0:1], 0x18
	s_load_dwordx8 s[20:27], s[0:1], 0x40
	s_load_dwordx4 s[36:39], s[0:1], 0x60
	v_cmp_ne_u32_e64 s[2:3], 0, v0
	v_cmp_eq_u32_e64 s[18:19], 0, v0
	s_and_saveexec_b64 s[8:9], s[18:19]
	s_cbranch_execz .LBB375_4
; %bb.1:
	s_mov_b64 s[14:15], exec
	v_mbcnt_lo_u32_b32 v1, s14, 0
	v_mbcnt_hi_u32_b32 v1, s15, v1
	v_cmp_eq_u32_e32 vcc, 0, v1
                                        ; implicit-def: $vgpr2
	s_and_saveexec_b64 s[12:13], vcc
	s_cbranch_execz .LBB375_3
; %bb.2:
	s_load_dwordx2 s[16:17], s[0:1], 0x78
	s_bcnt1_i32_b64 s14, s[14:15]
	v_mov_b32_e32 v2, 0
	v_mov_b32_e32 v3, s14
	s_waitcnt lgkmcnt(0)
	global_atomic_add v2, v2, v3, s[16:17] sc0
.LBB375_3:
	s_or_b64 exec, exec, s[12:13]
	s_waitcnt vmcnt(0)
	v_readfirstlane_b32 s12, v2
	v_mov_b32_e32 v2, 0
	s_nop 0
	v_add_u32_e32 v1, s12, v1
	ds_write_b32 v2, v1
.LBB375_4:
	s_or_b64 exec, exec, s[8:9]
	v_mov_b32_e32 v3, 0
	s_load_dwordx4 s[28:31], s[0:1], 0x28
	s_load_dword s8, s[0:1], 0x70
	s_waitcnt lgkmcnt(0)
	s_barrier
	ds_read_b32 v1, v3
	s_waitcnt lgkmcnt(0)
	s_barrier
	global_load_dwordx2 v[4:5], v3, s[22:23]
	s_lshl_b64 s[12:13], s[6:7], 3
	s_mul_i32 s14, s8, 0x280
	s_add_u32 s16, s4, s12
	s_addc_u32 s17, s5, s13
	s_add_i32 s4, s14, s6
	s_sub_i32 s48, s24, s4
	s_add_i32 s15, s8, -1
	s_addk_i32 s48, 0x280
	s_add_u32 s4, s6, s14
	v_readfirstlane_b32 s33, v1
	s_addc_u32 s5, s7, 0
	v_mov_b64_e32 v[6:7], s[4:5]
	s_cmp_eq_u32 s33, s15
	s_mov_b32 s9, 0
	s_mul_i32 s8, s33, 0x280
	v_cmp_le_u64_e32 vcc, s[24:25], v[6:7]
	s_cselect_b64 s[24:25], -1, 0
	s_lshl_b64 s[14:15], s[8:9], 3
	s_and_b64 s[8:9], vcc, s[24:25]
	s_xor_b64 s[34:35], s[8:9], -1
	s_add_u32 s4, s16, s14
	s_mov_b64 s[0:1], -1
	v_lshlrev_b32_e32 v32, 3, v0
	s_addc_u32 s5, s17, s15
	s_and_b64 vcc, exec, s[34:35]
	s_waitcnt vmcnt(0)
	v_readfirstlane_b32 s22, v4
	v_readfirstlane_b32 s23, v5
	s_cbranch_vccz .LBB375_6
; %bb.5:
	v_lshlrev_b32_e32 v2, 3, v0
	v_lshl_add_u64 v[4:5], s[4:5], 0, v[2:3]
	v_add_co_u32_e32 v4, vcc, 0x1000, v4
	global_load_dwordx2 v[6:7], v2, s[4:5] offset:3072
	s_nop 0
	v_addc_co_u32_e32 v5, vcc, 0, v5, vcc
	global_load_dwordx2 v[8:9], v2, s[4:5]
	global_load_dwordx2 v[10:11], v2, s[4:5] offset:1024
	global_load_dwordx2 v[12:13], v2, s[4:5] offset:2048
	global_load_dwordx2 v[14:15], v[4:5], off
	s_mov_b64 s[0:1], 0
	s_waitcnt vmcnt(2)
	ds_write2st64_b64 v2, v[8:9], v[10:11] offset1:2
	s_waitcnt vmcnt(1)
	ds_write2st64_b64 v2, v[12:13], v[6:7] offset0:4 offset1:6
	s_waitcnt vmcnt(0)
	ds_write_b64 v2, v[14:15] offset:4096
	s_waitcnt lgkmcnt(0)
	s_barrier
.LBB375_6:
	s_andn2_b64 vcc, exec, s[0:1]
	v_cmp_gt_u32_e64 s[0:1], s48, v0
	s_cbranch_vccnz .LBB375_18
; %bb.7:
	v_mov_b32_e32 v2, 0
	v_mov_b32_e32 v3, v2
	;; [unrolled: 1-line block ×10, first 2 shown]
	s_and_saveexec_b64 s[16:17], s[0:1]
	s_cbranch_execz .LBB375_9
; %bb.8:
	v_lshlrev_b32_e32 v1, 3, v0
	global_load_dwordx2 v[4:5], v1, s[4:5]
	v_mov_b32_e32 v6, v2
	v_mov_b32_e32 v7, v2
	;; [unrolled: 1-line block ×8, first 2 shown]
	s_waitcnt vmcnt(0)
	v_mov_b64_e32 v[2:3], v[4:5]
	v_mov_b64_e32 v[4:5], v[6:7]
	;; [unrolled: 1-line block ×8, first 2 shown]
.LBB375_9:
	s_or_b64 exec, exec, s[16:17]
	v_or_b32_e32 v1, 0x80, v0
	v_cmp_gt_u32_e32 vcc, s48, v1
	s_and_saveexec_b64 s[0:1], vcc
	s_cbranch_execz .LBB375_11
; %bb.10:
	v_lshlrev_b32_e32 v1, 3, v0
	global_load_dwordx2 v[4:5], v1, s[4:5] offset:1024
.LBB375_11:
	s_or_b64 exec, exec, s[0:1]
	v_or_b32_e32 v1, 0x100, v0
	v_cmp_gt_u32_e32 vcc, s48, v1
	s_and_saveexec_b64 s[0:1], vcc
	s_cbranch_execz .LBB375_13
; %bb.12:
	v_lshlrev_b32_e32 v1, 3, v0
	global_load_dwordx2 v[6:7], v1, s[4:5] offset:2048
.LBB375_13:
	;; [unrolled: 9-line block ×3, first 2 shown]
	s_or_b64 exec, exec, s[0:1]
	v_or_b32_e32 v1, 0x200, v0
	v_cmp_gt_u32_e32 vcc, s48, v1
	s_and_saveexec_b64 s[0:1], vcc
	s_cbranch_execz .LBB375_17
; %bb.16:
	v_lshlrev_b32_e32 v1, 3, v1
	global_load_dwordx2 v[10:11], v1, s[4:5]
.LBB375_17:
	s_or_b64 exec, exec, s[0:1]
	v_lshlrev_b32_e32 v1, 3, v0
	s_waitcnt vmcnt(0)
	ds_write2st64_b64 v1, v[2:3], v[4:5] offset1:2
	ds_write2st64_b64 v1, v[6:7], v[8:9] offset0:4 offset1:6
	ds_write_b64 v1, v[10:11] offset:4096
	s_waitcnt lgkmcnt(0)
	s_barrier
.LBB375_18:
	v_mul_u32_u24_e32 v1, 5, v0
	v_lshlrev_b32_e32 v22, 3, v1
	ds_read2_b64 v[6:9], v22 offset1:1
	ds_read2_b64 v[2:5], v22 offset0:2 offset1:3
	ds_read_b64 v[12:13], v22 offset:32
	s_add_u32 s0, s10, s12
	s_addc_u32 s1, s11, s13
	s_add_u32 s0, s0, s14
	s_addc_u32 s1, s1, s15
	s_mov_b64 s[10:11], -1
	s_and_b64 vcc, exec, s[34:35]
	s_waitcnt lgkmcnt(0)
	s_barrier
	s_cbranch_vccz .LBB375_20
; %bb.19:
	v_lshlrev_b32_e32 v10, 3, v0
	v_mov_b32_e32 v11, 0
	v_lshl_add_u64 v[14:15], s[0:1], 0, v[10:11]
	v_add_co_u32_e32 v14, vcc, 0x1000, v14
	global_load_dwordx2 v[16:17], v10, s[0:1] offset:3072
	s_nop 0
	v_addc_co_u32_e32 v15, vcc, 0, v15, vcc
	global_load_dwordx2 v[18:19], v10, s[0:1]
	global_load_dwordx2 v[20:21], v10, s[0:1] offset:1024
	global_load_dwordx2 v[24:25], v10, s[0:1] offset:2048
	global_load_dwordx2 v[26:27], v[14:15], off
	s_mov_b64 s[10:11], 0
	s_waitcnt vmcnt(2)
	ds_write2st64_b64 v10, v[18:19], v[20:21] offset1:2
	s_waitcnt vmcnt(1)
	ds_write2st64_b64 v10, v[24:25], v[16:17] offset0:4 offset1:6
	s_waitcnt vmcnt(0)
	ds_write_b64 v10, v[26:27] offset:4096
	s_waitcnt lgkmcnt(0)
	s_barrier
.LBB375_20:
	s_andn2_b64 vcc, exec, s[10:11]
	s_cbranch_vccnz .LBB375_32
; %bb.21:
	v_cmp_gt_u32_e32 vcc, s48, v0
                                        ; implicit-def: $vgpr10_vgpr11
	s_and_saveexec_b64 s[10:11], vcc
	s_cbranch_execz .LBB375_23
; %bb.22:
	v_lshlrev_b32_e32 v10, 3, v0
	global_load_dwordx2 v[10:11], v10, s[0:1]
.LBB375_23:
	s_or_b64 exec, exec, s[10:11]
	v_or_b32_e32 v14, 0x80, v0
	v_cmp_gt_u32_e32 vcc, s48, v14
                                        ; implicit-def: $vgpr14_vgpr15
	s_and_saveexec_b64 s[10:11], vcc
	s_cbranch_execz .LBB375_25
; %bb.24:
	v_lshlrev_b32_e32 v14, 3, v0
	global_load_dwordx2 v[14:15], v14, s[0:1] offset:1024
.LBB375_25:
	s_or_b64 exec, exec, s[10:11]
	v_or_b32_e32 v16, 0x100, v0
	v_cmp_gt_u32_e32 vcc, s48, v16
                                        ; implicit-def: $vgpr16_vgpr17
	s_and_saveexec_b64 s[10:11], vcc
	s_cbranch_execz .LBB375_27
; %bb.26:
	v_lshlrev_b32_e32 v16, 3, v0
	global_load_dwordx2 v[16:17], v16, s[0:1] offset:2048
.LBB375_27:
	s_or_b64 exec, exec, s[10:11]
	v_or_b32_e32 v18, 0x180, v0
	v_cmp_gt_u32_e32 vcc, s48, v18
                                        ; implicit-def: $vgpr18_vgpr19
	s_and_saveexec_b64 s[10:11], vcc
	s_cbranch_execz .LBB375_29
; %bb.28:
	v_lshlrev_b32_e32 v18, 3, v0
	global_load_dwordx2 v[18:19], v18, s[0:1] offset:3072
.LBB375_29:
	s_or_b64 exec, exec, s[10:11]
	v_or_b32_e32 v20, 0x200, v0
	v_cmp_gt_u32_e32 vcc, s48, v20
                                        ; implicit-def: $vgpr24_vgpr25
	s_and_saveexec_b64 s[10:11], vcc
	s_cbranch_execz .LBB375_31
; %bb.30:
	v_lshlrev_b32_e32 v20, 3, v20
	global_load_dwordx2 v[24:25], v20, s[0:1]
.LBB375_31:
	s_or_b64 exec, exec, s[10:11]
	v_lshlrev_b32_e32 v20, 5, v0
	v_sub_u32_e32 v20, v22, v20
	s_waitcnt vmcnt(0)
	ds_write2st64_b64 v20, v[10:11], v[14:15] offset1:2
	ds_write2st64_b64 v20, v[16:17], v[18:19] offset0:4 offset1:6
	ds_write_b64 v20, v[24:25] offset:4096
	s_waitcnt lgkmcnt(0)
	s_barrier
.LBB375_32:
	ds_read_b64 v[10:11], v22 offset:32
	ds_read2_b64 v[52:55], v22 offset0:2 offset1:3
	ds_read2_b64 v[56:59], v22 offset1:1
	s_cmp_lg_u32 s33, 0
	s_cselect_b64 s[16:17], -1, 0
	s_cmp_lg_u64 s[6:7], 0
	s_cselect_b64 s[0:1], -1, 0
	s_or_b64 s[0:1], s[0:1], s[16:17]
	s_mov_b64 s[10:11], 0
	s_and_b64 vcc, exec, s[0:1]
	v_cmp_gt_i64_e64 s[6:7], s[26:27], 0
	s_waitcnt lgkmcnt(0)
	s_barrier
	s_cbranch_vccz .LBB375_51
; %bb.33:
	v_mov_b32_e32 v16, 0
	global_load_dwordx2 v[14:15], v16, s[4:5] offset:-8
	v_cndmask_b32_e64 v17, 0, 1, s[6:7]
	v_lshlrev_b32_e32 v23, 3, v0
	s_mov_b64 s[0:1], 0
	s_and_b64 vcc, exec, s[34:35]
	v_cmp_ne_u32_e64 s[4:5], 1, v17
	ds_write_b64 v23, v[12:13]
	s_cbranch_vccz .LBB375_53
; %bb.34:
	s_and_b64 vcc, exec, s[4:5]
	v_mov_b32_e32 v33, 0
	s_cbranch_vccnz .LBB375_44
; %bb.35:
	v_mov_b64_e32 v[18:19], s[36:37]
	v_mad_u64_u32 v[16:17], s[0:1], v4, s26, v[18:19]
	v_mul_lo_u32 v20, v4, s27
	v_mul_lo_u32 v21, v5, s26
	s_add_u32 s10, s26, -1
	v_add3_u32 v17, v21, v17, v20
	v_mad_u64_u32 v[18:19], s[0:1], v12, s26, v[18:19]
	v_mul_lo_u32 v20, v12, s27
	v_mul_lo_u32 v21, v13, s26
	s_addc_u32 s11, s27, -1
	v_add3_u32 v19, v21, v19, v20
	s_mov_b64 s[12:13], 0
	s_mov_b64 s[14:15], s[10:11]
	v_mov_b64_e32 v[20:21], v[16:17]
                                        ; implicit-def: $sgpr6_sgpr7
.LBB375_36:                             ; =>This Inner Loop Header: Depth=1
	global_load_ubyte v24, v[20:21], off
	global_load_ubyte v25, v[18:19], off
	s_add_u32 s0, s14, -1
	s_addc_u32 s1, s15, -1
	s_cmp_eq_u64 s[14:15], 0
	s_mov_b64 s[14:15], s[0:1]
	s_cselect_b64 s[40:41], -1, 0
	v_lshl_add_u64 v[20:21], v[20:21], 0, 1
	v_lshl_add_u64 v[18:19], v[18:19], 0, 1
	s_waitcnt vmcnt(0)
	v_cmp_ne_u16_e64 s[0:1], v24, v25
	s_or_b64 s[0:1], s[0:1], s[40:41]
	s_and_b64 s[0:1], exec, s[0:1]
	v_cmp_eq_u16_e32 vcc, v24, v25
	s_or_b64 s[12:13], s[0:1], s[12:13]
	s_andn2_b64 s[0:1], s[6:7], exec
	s_and_b64 s[6:7], vcc, exec
	s_or_b64 s[6:7], s[0:1], s[6:7]
	s_andn2_b64 exec, exec, s[12:13]
	s_cbranch_execnz .LBB375_36
; %bb.37:
	s_or_b64 exec, exec, s[12:13]
	v_mov_b64_e32 v[18:19], s[36:37]
	v_mad_u64_u32 v[18:19], s[0:1], v2, s26, v[18:19]
	v_mul_lo_u32 v20, v2, s27
	v_mul_lo_u32 v21, v3, s26
	v_add3_u32 v19, v21, v19, v20
	s_mov_b64 s[14:15], 0
	s_mov_b64 s[40:41], s[10:11]
	v_mov_b64_e32 v[20:21], v[18:19]
                                        ; implicit-def: $sgpr12_sgpr13
.LBB375_38:                             ; =>This Inner Loop Header: Depth=1
	global_load_ubyte v24, v[20:21], off
	global_load_ubyte v25, v[16:17], off
	s_add_u32 s0, s40, -1
	s_addc_u32 s1, s41, -1
	s_cmp_eq_u64 s[40:41], 0
	s_mov_b64 s[40:41], s[0:1]
	s_cselect_b64 s[42:43], -1, 0
	v_lshl_add_u64 v[20:21], v[20:21], 0, 1
	v_lshl_add_u64 v[16:17], v[16:17], 0, 1
	s_waitcnt vmcnt(0)
	v_cmp_ne_u16_e64 s[0:1], v24, v25
	s_or_b64 s[0:1], s[0:1], s[42:43]
	s_and_b64 s[0:1], exec, s[0:1]
	v_cmp_eq_u16_e32 vcc, v24, v25
	s_or_b64 s[14:15], s[0:1], s[14:15]
	s_andn2_b64 s[0:1], s[12:13], exec
	s_and_b64 s[12:13], vcc, exec
	s_or_b64 s[12:13], s[0:1], s[12:13]
	s_andn2_b64 exec, exec, s[14:15]
	s_cbranch_execnz .LBB375_38
; %bb.39:
	s_or_b64 exec, exec, s[14:15]
	v_mov_b64_e32 v[16:17], s[36:37]
	v_mad_u64_u32 v[16:17], s[0:1], v8, s26, v[16:17]
	v_mul_lo_u32 v20, v8, s27
	v_mul_lo_u32 v21, v9, s26
	v_add3_u32 v17, v21, v17, v20
	s_mov_b64 s[40:41], 0
	s_mov_b64 s[42:43], s[10:11]
	v_mov_b64_e32 v[20:21], v[16:17]
                                        ; implicit-def: $sgpr14_sgpr15
.LBB375_40:                             ; =>This Inner Loop Header: Depth=1
	global_load_ubyte v24, v[20:21], off
	global_load_ubyte v25, v[18:19], off
	s_add_u32 s0, s42, -1
	s_addc_u32 s1, s43, -1
	s_cmp_eq_u64 s[42:43], 0
	s_mov_b64 s[42:43], s[0:1]
	s_cselect_b64 s[44:45], -1, 0
	v_lshl_add_u64 v[20:21], v[20:21], 0, 1
	v_lshl_add_u64 v[18:19], v[18:19], 0, 1
	s_waitcnt vmcnt(0)
	v_cmp_ne_u16_e64 s[0:1], v24, v25
	s_or_b64 s[0:1], s[0:1], s[44:45]
	s_and_b64 s[0:1], exec, s[0:1]
	v_cmp_eq_u16_e32 vcc, v24, v25
	s_or_b64 s[40:41], s[0:1], s[40:41]
	s_andn2_b64 s[0:1], s[14:15], exec
	s_and_b64 s[14:15], vcc, exec
	s_or_b64 s[14:15], s[0:1], s[14:15]
	s_andn2_b64 exec, exec, s[40:41]
	s_cbranch_execnz .LBB375_40
; %bb.41:
	s_or_b64 exec, exec, s[40:41]
	v_mov_b64_e32 v[18:19], s[36:37]
	v_mad_u64_u32 v[18:19], s[0:1], v6, s26, v[18:19]
	v_mul_lo_u32 v20, v6, s27
	v_mul_lo_u32 v21, v7, s26
	v_add3_u32 v19, v21, v19, v20
	s_mov_b64 s[42:43], 0
                                        ; implicit-def: $sgpr40_sgpr41
.LBB375_42:                             ; =>This Inner Loop Header: Depth=1
	global_load_ubyte v20, v[18:19], off
	global_load_ubyte v21, v[16:17], off
	s_add_u32 s0, s10, -1
	s_addc_u32 s1, s11, -1
	s_cmp_eq_u64 s[10:11], 0
	s_mov_b64 s[10:11], s[0:1]
	s_cselect_b64 s[44:45], -1, 0
	v_lshl_add_u64 v[18:19], v[18:19], 0, 1
	v_lshl_add_u64 v[16:17], v[16:17], 0, 1
	s_waitcnt vmcnt(0)
	v_cmp_ne_u16_e64 s[0:1], v20, v21
	s_or_b64 s[0:1], s[0:1], s[44:45]
	s_and_b64 s[0:1], exec, s[0:1]
	v_cmp_eq_u16_e32 vcc, v20, v21
	s_or_b64 s[42:43], s[0:1], s[42:43]
	s_andn2_b64 s[0:1], s[40:41], exec
	s_and_b64 s[40:41], vcc, exec
	s_or_b64 s[40:41], s[0:1], s[40:41]
	s_andn2_b64 exec, exec, s[42:43]
	s_cbranch_execnz .LBB375_42
; %bb.43:
	s_or_b64 exec, exec, s[42:43]
	s_xor_b64 s[0:1], s[6:7], -1
	v_cndmask_b32_e64 v33, 0, 1, s[0:1]
	s_xor_b64 s[0:1], s[12:13], -1
	v_cndmask_b32_e64 v16, 0, 1, s[0:1]
	v_lshlrev_b16_e32 v16, 8, v16
	v_mov_b32_e32 v17, 8
	s_xor_b64 s[6:7], s[14:15], -1
	v_lshrrev_b32_sdwa v16, v17, v16 dst_sel:BYTE_1 dst_unused:UNUSED_PAD src0_sel:DWORD src1_sel:DWORD
	v_cndmask_b32_e64 v17, 0, 1, s[6:7]
	s_xor_b64 s[0:1], s[40:41], -1
	v_or_b32_sdwa v16, v17, v16 dst_sel:WORD_1 dst_unused:UNUSED_PAD src0_sel:DWORD src1_sel:DWORD
.LBB375_44:
	s_waitcnt vmcnt(0)
	v_mov_b64_e32 v[18:19], v[14:15]
	s_waitcnt lgkmcnt(0)
	s_barrier
	s_and_saveexec_b64 s[6:7], s[2:3]
; %bb.45:
	v_add_u32_e32 v17, -8, v23
	ds_read_b64 v[18:19], v17
; %bb.46:
	s_or_b64 exec, exec, s[6:7]
	v_cndmask_b32_e64 v17, 0, 1, s[0:1]
	v_lshrrev_b32_e32 v20, 16, v16
	s_mov_b32 s0, 0xc0c0304
	v_perm_b32 v20, v20, v16, s0
	v_lshlrev_b16_e32 v17, 8, v17
	s_movk_i32 s0, 0xff
	v_bitop3_b16 v16, v16, v17, s0 bitop3:0xec
	v_and_b32_e32 v21, 0xffff, v16
	s_mov_b64 s[6:7], 0
	s_and_b64 vcc, exec, s[4:5]
	s_mov_b64 s[0:1], 0
	s_cbranch_vccnz .LBB375_50
; %bb.47:
	v_mov_b64_e32 v[24:25], s[36:37]
	s_waitcnt lgkmcnt(0)
	v_mad_u64_u32 v[16:17], s[0:1], v18, s26, v[24:25]
	v_mul_lo_u32 v18, v18, s27
	v_mul_lo_u32 v19, v19, s26
	v_add3_u32 v17, v19, v17, v18
	v_mad_u64_u32 v[18:19], s[0:1], v6, s26, v[24:25]
	v_mul_lo_u32 v24, v6, s27
	v_mul_lo_u32 v25, v7, s26
	s_add_u32 s14, s26, -1
	v_add3_u32 v19, v25, v19, v24
	s_addc_u32 s15, s27, -1
	s_mov_b64 s[10:11], 0
                                        ; implicit-def: $sgpr12_sgpr13
.LBB375_48:                             ; =>This Inner Loop Header: Depth=1
	global_load_ubyte v24, v[16:17], off
	global_load_ubyte v25, v[18:19], off
	s_add_u32 s0, s14, -1
	s_addc_u32 s1, s15, -1
	s_cmp_eq_u64 s[14:15], 0
	s_mov_b64 s[14:15], s[0:1]
	s_cselect_b64 s[40:41], -1, 0
	v_lshl_add_u64 v[16:17], v[16:17], 0, 1
	v_lshl_add_u64 v[18:19], v[18:19], 0, 1
	s_waitcnt vmcnt(0)
	v_cmp_ne_u16_e64 s[0:1], v24, v25
	s_or_b64 s[0:1], s[0:1], s[40:41]
	s_and_b64 s[0:1], exec, s[0:1]
	v_cmp_eq_u16_e32 vcc, v24, v25
	s_or_b64 s[10:11], s[0:1], s[10:11]
	s_andn2_b64 s[0:1], s[12:13], exec
	s_and_b64 s[12:13], vcc, exec
	s_or_b64 s[12:13], s[0:1], s[12:13]
	s_andn2_b64 exec, exec, s[10:11]
	s_cbranch_execnz .LBB375_48
; %bb.49:
	s_or_b64 exec, exec, s[10:11]
	s_xor_b64 s[0:1], s[12:13], -1
.LBB375_50:
	v_lshl_or_b32 v17, v20, 16, v21
	s_and_b64 vcc, exec, s[6:7]
	s_cbranch_vccnz .LBB375_54
	s_branch .LBB375_87
.LBB375_51:
                                        ; implicit-def: $sgpr0_sgpr1
                                        ; implicit-def: $vgpr33
                                        ; implicit-def: $vgpr17
	s_branch .LBB375_88
.LBB375_52:
                                        ; implicit-def: $vgpr16
                                        ; implicit-def: $vgpr35
                                        ; implicit-def: $vgpr34
                                        ; implicit-def: $vgpr14
	s_branch .LBB375_141
.LBB375_53:
                                        ; implicit-def: $sgpr0_sgpr1
                                        ; implicit-def: $vgpr33
                                        ; implicit-def: $vgpr17
	s_cbranch_execz .LBB375_87
.LBB375_54:
	v_add_u32_e32 v16, 4, v1
	v_cmp_gt_u32_e32 vcc, s48, v16
	s_mov_b64 s[10:11], 0
	s_mov_b64 s[6:7], 0
	s_and_saveexec_b64 s[12:13], vcc
	s_cbranch_execz .LBB375_60
; %bb.55:
	s_and_b64 vcc, exec, s[4:5]
	s_mov_b64 s[0:1], 0
	s_cbranch_vccnz .LBB375_59
; %bb.56:
	s_waitcnt lgkmcnt(0)
	v_mov_b64_e32 v[18:19], s[36:37]
	v_mad_u64_u32 v[16:17], s[0:1], v4, s26, v[18:19]
	v_mul_lo_u32 v20, v4, s27
	v_mul_lo_u32 v21, v5, s26
	v_add3_u32 v17, v21, v17, v20
	v_mad_u64_u32 v[18:19], s[0:1], v12, s26, v[18:19]
	v_mul_lo_u32 v20, v12, s27
	v_mul_lo_u32 v21, v13, s26
	s_add_u32 s40, s26, -1
	v_add3_u32 v19, v21, v19, v20
	s_addc_u32 s41, s27, -1
                                        ; implicit-def: $sgpr14_sgpr15
.LBB375_57:                             ; =>This Inner Loop Header: Depth=1
	global_load_ubyte v20, v[16:17], off
	global_load_ubyte v21, v[18:19], off
	s_add_u32 s0, s40, -1
	s_addc_u32 s1, s41, -1
	s_cmp_eq_u64 s[40:41], 0
	s_mov_b64 s[40:41], s[0:1]
	s_cselect_b64 s[42:43], -1, 0
	v_lshl_add_u64 v[16:17], v[16:17], 0, 1
	v_lshl_add_u64 v[18:19], v[18:19], 0, 1
	s_waitcnt vmcnt(0)
	v_cmp_ne_u16_e64 s[0:1], v20, v21
	s_or_b64 s[0:1], s[0:1], s[42:43]
	s_and_b64 s[0:1], exec, s[0:1]
	v_cmp_eq_u16_e32 vcc, v20, v21
	s_or_b64 s[6:7], s[0:1], s[6:7]
	s_andn2_b64 s[0:1], s[14:15], exec
	s_and_b64 s[14:15], vcc, exec
	s_or_b64 s[14:15], s[0:1], s[14:15]
	s_andn2_b64 exec, exec, s[6:7]
	s_cbranch_execnz .LBB375_57
; %bb.58:
	s_or_b64 exec, exec, s[6:7]
	s_xor_b64 s[0:1], s[14:15], -1
.LBB375_59:
	s_and_b64 s[6:7], s[0:1], exec
.LBB375_60:
	s_or_b64 exec, exec, s[12:13]
	v_add_u32_e32 v16, 3, v1
	v_cmp_gt_u32_e32 vcc, s48, v16
	s_and_saveexec_b64 s[12:13], vcc
	s_cbranch_execz .LBB375_66
; %bb.61:
	s_and_b64 vcc, exec, s[4:5]
	s_mov_b64 s[0:1], 0
	s_cbranch_vccnz .LBB375_65
; %bb.62:
	s_waitcnt lgkmcnt(0)
	v_mov_b64_e32 v[18:19], s[36:37]
	v_mad_u64_u32 v[16:17], s[0:1], v2, s26, v[18:19]
	v_mul_lo_u32 v20, v2, s27
	v_mul_lo_u32 v21, v3, s26
	v_add3_u32 v17, v21, v17, v20
	v_mad_u64_u32 v[18:19], s[0:1], v4, s26, v[18:19]
	v_mul_lo_u32 v20, v4, s27
	v_mul_lo_u32 v21, v5, s26
	s_add_u32 s40, s26, -1
	v_add3_u32 v19, v21, v19, v20
	s_addc_u32 s41, s27, -1
	s_mov_b64 s[10:11], 0
                                        ; implicit-def: $sgpr14_sgpr15
.LBB375_63:                             ; =>This Inner Loop Header: Depth=1
	global_load_ubyte v20, v[16:17], off
	global_load_ubyte v21, v[18:19], off
	s_add_u32 s0, s40, -1
	s_addc_u32 s1, s41, -1
	s_cmp_eq_u64 s[40:41], 0
	s_mov_b64 s[40:41], s[0:1]
	s_cselect_b64 s[42:43], -1, 0
	v_lshl_add_u64 v[16:17], v[16:17], 0, 1
	v_lshl_add_u64 v[18:19], v[18:19], 0, 1
	s_waitcnt vmcnt(0)
	v_cmp_ne_u16_e64 s[0:1], v20, v21
	s_or_b64 s[0:1], s[0:1], s[42:43]
	s_and_b64 s[0:1], exec, s[0:1]
	v_cmp_eq_u16_e32 vcc, v20, v21
	s_or_b64 s[10:11], s[0:1], s[10:11]
	s_andn2_b64 s[0:1], s[14:15], exec
	s_and_b64 s[14:15], vcc, exec
	s_or_b64 s[14:15], s[0:1], s[14:15]
	s_andn2_b64 exec, exec, s[10:11]
	s_cbranch_execnz .LBB375_63
; %bb.64:
	s_or_b64 exec, exec, s[10:11]
	s_xor_b64 s[0:1], s[14:15], -1
.LBB375_65:
	s_and_b64 s[10:11], s[0:1], exec
.LBB375_66:
	s_or_b64 exec, exec, s[12:13]
	v_add_u32_e32 v16, 2, v1
	v_cmp_gt_u32_e32 vcc, s48, v16
	s_mov_b64 s[12:13], 0
	s_mov_b64 s[14:15], 0
	s_and_saveexec_b64 s[40:41], vcc
	s_cbranch_execz .LBB375_72
; %bb.67:
	s_and_b64 vcc, exec, s[4:5]
	s_mov_b64 s[0:1], 0
	s_cbranch_vccnz .LBB375_71
; %bb.68:
	s_waitcnt lgkmcnt(0)
	v_mov_b64_e32 v[18:19], s[36:37]
	v_mad_u64_u32 v[16:17], s[0:1], v8, s26, v[18:19]
	v_mul_lo_u32 v20, v8, s27
	v_mul_lo_u32 v21, v9, s26
	v_add3_u32 v17, v21, v17, v20
	v_mad_u64_u32 v[18:19], s[0:1], v2, s26, v[18:19]
	v_mul_lo_u32 v20, v2, s27
	v_mul_lo_u32 v21, v3, s26
	s_add_u32 s44, s26, -1
	v_add3_u32 v19, v21, v19, v20
	s_addc_u32 s45, s27, -1
                                        ; implicit-def: $sgpr42_sgpr43
.LBB375_69:                             ; =>This Inner Loop Header: Depth=1
	global_load_ubyte v20, v[16:17], off
	global_load_ubyte v21, v[18:19], off
	s_add_u32 s0, s44, -1
	s_addc_u32 s1, s45, -1
	s_cmp_eq_u64 s[44:45], 0
	s_mov_b64 s[44:45], s[0:1]
	s_cselect_b64 s[46:47], -1, 0
	v_lshl_add_u64 v[16:17], v[16:17], 0, 1
	v_lshl_add_u64 v[18:19], v[18:19], 0, 1
	s_waitcnt vmcnt(0)
	v_cmp_ne_u16_e64 s[0:1], v20, v21
	s_or_b64 s[0:1], s[0:1], s[46:47]
	s_and_b64 s[0:1], exec, s[0:1]
	v_cmp_eq_u16_e32 vcc, v20, v21
	s_or_b64 s[14:15], s[0:1], s[14:15]
	s_andn2_b64 s[0:1], s[42:43], exec
	s_and_b64 s[42:43], vcc, exec
	s_or_b64 s[42:43], s[0:1], s[42:43]
	s_andn2_b64 exec, exec, s[14:15]
	s_cbranch_execnz .LBB375_69
; %bb.70:
	s_or_b64 exec, exec, s[14:15]
	s_xor_b64 s[0:1], s[42:43], -1
.LBB375_71:
	s_and_b64 s[14:15], s[0:1], exec
.LBB375_72:
	s_or_b64 exec, exec, s[40:41]
	v_add_u32_e32 v16, 1, v1
	v_cmp_gt_u32_e32 vcc, s48, v16
	s_and_saveexec_b64 s[40:41], vcc
	s_cbranch_execz .LBB375_78
; %bb.73:
	s_and_b64 vcc, exec, s[4:5]
	s_mov_b64 s[0:1], 0
	s_cbranch_vccnz .LBB375_77
; %bb.74:
	s_waitcnt lgkmcnt(0)
	v_mov_b64_e32 v[18:19], s[36:37]
	v_mad_u64_u32 v[16:17], s[0:1], v6, s26, v[18:19]
	v_mul_lo_u32 v20, v6, s27
	v_mul_lo_u32 v21, v7, s26
	v_add3_u32 v17, v21, v17, v20
	v_mad_u64_u32 v[18:19], s[0:1], v8, s26, v[18:19]
	v_mul_lo_u32 v20, v8, s27
	v_mul_lo_u32 v21, v9, s26
	s_add_u32 s44, s26, -1
	v_add3_u32 v19, v21, v19, v20
	s_addc_u32 s45, s27, -1
	s_mov_b64 s[12:13], 0
                                        ; implicit-def: $sgpr42_sgpr43
.LBB375_75:                             ; =>This Inner Loop Header: Depth=1
	global_load_ubyte v20, v[16:17], off
	global_load_ubyte v21, v[18:19], off
	s_add_u32 s0, s44, -1
	s_addc_u32 s1, s45, -1
	s_cmp_eq_u64 s[44:45], 0
	s_mov_b64 s[44:45], s[0:1]
	s_cselect_b64 s[46:47], -1, 0
	v_lshl_add_u64 v[16:17], v[16:17], 0, 1
	v_lshl_add_u64 v[18:19], v[18:19], 0, 1
	s_waitcnt vmcnt(0)
	v_cmp_ne_u16_e64 s[0:1], v20, v21
	s_or_b64 s[0:1], s[0:1], s[46:47]
	s_and_b64 s[0:1], exec, s[0:1]
	v_cmp_eq_u16_e32 vcc, v20, v21
	s_or_b64 s[12:13], s[0:1], s[12:13]
	s_andn2_b64 s[0:1], s[42:43], exec
	s_and_b64 s[42:43], vcc, exec
	s_or_b64 s[42:43], s[0:1], s[42:43]
	s_andn2_b64 exec, exec, s[12:13]
	s_cbranch_execnz .LBB375_75
; %bb.76:
	s_or_b64 exec, exec, s[12:13]
	s_xor_b64 s[0:1], s[42:43], -1
.LBB375_77:
	s_and_b64 s[12:13], s[0:1], exec
.LBB375_78:
	s_or_b64 exec, exec, s[40:41]
	s_waitcnt lgkmcnt(0)
	s_barrier
	s_and_saveexec_b64 s[0:1], s[2:3]
	s_cbranch_execz .LBB375_80
; %bb.79:
	s_waitcnt vmcnt(0)
	v_add_u32_e32 v14, -8, v23
	ds_read_b64 v[14:15], v14
.LBB375_80:
	s_or_b64 exec, exec, s[0:1]
	v_cndmask_b32_e64 v17, 0, 1, s[10:11]
	v_cndmask_b32_e64 v16, 0, 1, s[14:15]
	;; [unrolled: 1-line block ×3, first 2 shown]
	v_lshlrev_b16_e32 v17, 8, v17
	v_cmp_gt_u32_e32 vcc, s48, v1
	v_lshlrev_b16_e32 v18, 8, v18
	v_or_b32_sdwa v19, v16, v17 dst_sel:WORD_1 dst_unused:UNUSED_PAD src0_sel:DWORD src1_sel:DWORD
	s_mov_b64 s[0:1], 0
	s_and_saveexec_b64 s[10:11], vcc
	s_cbranch_execz .LBB375_86
; %bb.81:
	s_and_b64 vcc, exec, s[4:5]
	s_cbranch_vccnz .LBB375_85
; %bb.82:
	v_mov_b64_e32 v[20:21], s[36:37]
	s_waitcnt vmcnt(0) lgkmcnt(0)
	v_mad_u64_u32 v[16:17], s[0:1], v14, s26, v[20:21]
	v_mul_lo_u32 v14, v14, s27
	v_mul_lo_u32 v15, v15, s26
	v_add3_u32 v17, v15, v17, v14
	v_mad_u64_u32 v[14:15], s[0:1], v6, s26, v[20:21]
	v_mul_lo_u32 v20, v6, s27
	v_mul_lo_u32 v21, v7, s26
	s_add_u32 s14, s26, -1
	v_add3_u32 v15, v21, v15, v20
	s_addc_u32 s15, s27, -1
	s_mov_b64 s[4:5], 0
                                        ; implicit-def: $sgpr12_sgpr13
.LBB375_83:                             ; =>This Inner Loop Header: Depth=1
	global_load_ubyte v20, v[16:17], off
	global_load_ubyte v21, v[14:15], off
	s_add_u32 s0, s14, -1
	s_addc_u32 s1, s15, -1
	s_cmp_eq_u64 s[14:15], 0
	s_mov_b64 s[14:15], s[0:1]
	s_cselect_b64 s[40:41], -1, 0
	v_lshl_add_u64 v[16:17], v[16:17], 0, 1
	v_lshl_add_u64 v[14:15], v[14:15], 0, 1
	s_waitcnt vmcnt(0)
	v_cmp_ne_u16_e64 s[0:1], v20, v21
	s_or_b64 s[0:1], s[0:1], s[40:41]
	s_and_b64 s[0:1], exec, s[0:1]
	v_cmp_eq_u16_e32 vcc, v20, v21
	s_or_b64 s[4:5], s[0:1], s[4:5]
	s_andn2_b64 s[0:1], s[12:13], exec
	s_and_b64 s[12:13], vcc, exec
	s_or_b64 s[12:13], s[0:1], s[12:13]
	s_andn2_b64 exec, exec, s[4:5]
	s_cbranch_execnz .LBB375_83
; %bb.84:
	s_or_b64 exec, exec, s[4:5]
	s_xor_b64 s[0:1], s[12:13], -1
.LBB375_85:
	s_and_b64 s[0:1], s[0:1], exec
.LBB375_86:
	s_or_b64 exec, exec, s[10:11]
	v_cndmask_b32_e64 v33, 0, 1, s[6:7]
	v_or_b32_e32 v17, v18, v19
.LBB375_87:
	s_mov_b64 s[10:11], -1
	s_cbranch_execnz .LBB375_52
.LBB375_88:
	s_waitcnt vmcnt(0) lgkmcnt(0)
	v_lshlrev_b32_e32 v14, 5, v0
	v_sub_u32_e32 v22, v22, v14
	s_mov_b64 s[0:1], 0
	v_cmp_gt_i64_e64 s[6:7], s[26:27], 0
	s_and_b64 vcc, exec, s[34:35]
	ds_write_b64 v22, v[12:13]
	s_cbranch_vccz .LBB375_99
; %bb.89:
	v_cndmask_b32_e64 v14, 0, 1, s[6:7]
	v_cmp_ne_u32_e64 s[4:5], 1, v14
	s_andn2_b64 vcc, exec, s[6:7]
	s_cbranch_vccnz .LBB375_100
; %bb.90:
	v_mov_b64_e32 v[16:17], s[36:37]
	v_mad_u64_u32 v[14:15], s[0:1], v4, s26, v[16:17]
	v_mul_lo_u32 v18, v4, s27
	v_mul_lo_u32 v19, v5, s26
	s_add_u32 s14, s26, -1
	v_add3_u32 v15, v19, v15, v18
	v_mad_u64_u32 v[16:17], s[0:1], v12, s26, v[16:17]
	v_mul_lo_u32 v18, v12, s27
	v_mul_lo_u32 v19, v13, s26
	s_addc_u32 s15, s27, -1
	v_add3_u32 v17, v19, v17, v18
	s_mov_b64 s[40:41], 0
	s_mov_b64 s[42:43], s[14:15]
	v_mov_b64_e32 v[18:19], v[14:15]
                                        ; implicit-def: $sgpr12_sgpr13
.LBB375_91:                             ; =>This Inner Loop Header: Depth=1
	global_load_ubyte v20, v[18:19], off
	global_load_ubyte v21, v[16:17], off
	s_add_u32 s0, s42, -1
	s_addc_u32 s1, s43, -1
	s_cmp_eq_u64 s[42:43], 0
	s_mov_b64 s[42:43], s[0:1]
	s_cselect_b64 s[44:45], -1, 0
	v_lshl_add_u64 v[18:19], v[18:19], 0, 1
	v_lshl_add_u64 v[16:17], v[16:17], 0, 1
	s_waitcnt vmcnt(0)
	v_cmp_ne_u16_e64 s[0:1], v20, v21
	s_or_b64 s[0:1], s[0:1], s[44:45]
	s_and_b64 s[0:1], exec, s[0:1]
	v_cmp_eq_u16_e32 vcc, v20, v21
	s_or_b64 s[40:41], s[0:1], s[40:41]
	s_andn2_b64 s[0:1], s[12:13], exec
	s_and_b64 s[12:13], vcc, exec
	s_or_b64 s[12:13], s[0:1], s[12:13]
	s_andn2_b64 exec, exec, s[40:41]
	s_cbranch_execnz .LBB375_91
; %bb.92:
	s_or_b64 exec, exec, s[40:41]
	v_mov_b64_e32 v[16:17], s[36:37]
	v_mad_u64_u32 v[16:17], s[0:1], v2, s26, v[16:17]
	v_mul_lo_u32 v18, v2, s27
	v_mul_lo_u32 v19, v3, s26
	v_add3_u32 v17, v19, v17, v18
	s_mov_b64 s[42:43], 0
	s_mov_b64 s[44:45], s[14:15]
	v_mov_b64_e32 v[18:19], v[16:17]
                                        ; implicit-def: $sgpr40_sgpr41
.LBB375_93:                             ; =>This Inner Loop Header: Depth=1
	global_load_ubyte v20, v[18:19], off
	global_load_ubyte v21, v[14:15], off
	s_add_u32 s0, s44, -1
	s_addc_u32 s1, s45, -1
	s_cmp_eq_u64 s[44:45], 0
	s_mov_b64 s[44:45], s[0:1]
	s_cselect_b64 s[46:47], -1, 0
	v_lshl_add_u64 v[18:19], v[18:19], 0, 1
	v_lshl_add_u64 v[14:15], v[14:15], 0, 1
	s_waitcnt vmcnt(0)
	v_cmp_ne_u16_e64 s[0:1], v20, v21
	s_or_b64 s[0:1], s[0:1], s[46:47]
	s_and_b64 s[0:1], exec, s[0:1]
	v_cmp_eq_u16_e32 vcc, v20, v21
	s_or_b64 s[42:43], s[0:1], s[42:43]
	s_andn2_b64 s[0:1], s[40:41], exec
	s_and_b64 s[40:41], vcc, exec
	s_or_b64 s[40:41], s[0:1], s[40:41]
	s_andn2_b64 exec, exec, s[42:43]
	s_cbranch_execnz .LBB375_93
; %bb.94:
	s_or_b64 exec, exec, s[42:43]
	v_mov_b64_e32 v[14:15], s[36:37]
	v_mad_u64_u32 v[14:15], s[0:1], v8, s26, v[14:15]
	v_mul_lo_u32 v18, v8, s27
	v_mul_lo_u32 v19, v9, s26
	v_add3_u32 v15, v19, v15, v18
	s_mov_b64 s[44:45], 0
	s_mov_b64 s[46:47], s[14:15]
	v_mov_b64_e32 v[18:19], v[14:15]
                                        ; implicit-def: $sgpr42_sgpr43
.LBB375_95:                             ; =>This Inner Loop Header: Depth=1
	global_load_ubyte v20, v[18:19], off
	global_load_ubyte v21, v[16:17], off
	s_add_u32 s0, s46, -1
	s_addc_u32 s1, s47, -1
	s_cmp_eq_u64 s[46:47], 0
	s_mov_b64 s[46:47], s[0:1]
	s_cselect_b64 s[50:51], -1, 0
	v_lshl_add_u64 v[18:19], v[18:19], 0, 1
	v_lshl_add_u64 v[16:17], v[16:17], 0, 1
	s_waitcnt vmcnt(0)
	v_cmp_ne_u16_e64 s[0:1], v20, v21
	s_or_b64 s[0:1], s[0:1], s[50:51]
	s_and_b64 s[0:1], exec, s[0:1]
	v_cmp_eq_u16_e32 vcc, v20, v21
	s_or_b64 s[44:45], s[0:1], s[44:45]
	s_andn2_b64 s[0:1], s[42:43], exec
	s_and_b64 s[42:43], vcc, exec
	s_or_b64 s[42:43], s[0:1], s[42:43]
	s_andn2_b64 exec, exec, s[44:45]
	s_cbranch_execnz .LBB375_95
; %bb.96:
	s_or_b64 exec, exec, s[44:45]
	v_mov_b64_e32 v[16:17], s[36:37]
	v_mad_u64_u32 v[16:17], s[0:1], v6, s26, v[16:17]
	v_mul_lo_u32 v18, v6, s27
	v_mul_lo_u32 v19, v7, s26
	v_add3_u32 v17, v19, v17, v18
	s_mov_b64 s[46:47], 0
                                        ; implicit-def: $sgpr44_sgpr45
.LBB375_97:                             ; =>This Inner Loop Header: Depth=1
	global_load_ubyte v18, v[16:17], off
	global_load_ubyte v19, v[14:15], off
	s_add_u32 s0, s14, -1
	s_addc_u32 s1, s15, -1
	s_cmp_eq_u64 s[14:15], 0
	s_mov_b64 s[14:15], s[0:1]
	s_cselect_b64 s[50:51], -1, 0
	v_lshl_add_u64 v[16:17], v[16:17], 0, 1
	v_lshl_add_u64 v[14:15], v[14:15], 0, 1
	s_waitcnt vmcnt(0)
	v_cmp_ne_u16_e64 s[0:1], v18, v19
	s_or_b64 s[0:1], s[0:1], s[50:51]
	s_and_b64 s[0:1], exec, s[0:1]
	v_cmp_eq_u16_e32 vcc, v18, v19
	s_or_b64 s[46:47], s[0:1], s[46:47]
	s_andn2_b64 s[0:1], s[44:45], exec
	s_and_b64 s[44:45], vcc, exec
	s_or_b64 s[44:45], s[0:1], s[44:45]
	s_andn2_b64 exec, exec, s[46:47]
	s_cbranch_execnz .LBB375_97
; %bb.98:
	s_or_b64 exec, exec, s[46:47]
	s_xor_b64 s[0:1], s[12:13], -1
	v_cndmask_b32_e64 v33, 0, 1, s[0:1]
	s_xor_b64 s[0:1], s[40:41], -1
	v_cndmask_b32_e64 v14, 0, 1, s[0:1]
	v_lshlrev_b16_e32 v14, 8, v14
	v_mov_b32_e32 v15, 8
	s_xor_b64 s[12:13], s[42:43], -1
	v_lshrrev_b32_sdwa v14, v15, v14 dst_sel:BYTE_1 dst_unused:UNUSED_PAD src0_sel:DWORD src1_sel:DWORD
	v_cndmask_b32_e64 v15, 0, 1, s[12:13]
	s_xor_b64 s[0:1], s[44:45], -1
	v_or_b32_sdwa v14, v15, v14 dst_sel:WORD_1 dst_unused:UNUSED_PAD src0_sel:DWORD src1_sel:DWORD
	s_branch .LBB375_101
.LBB375_99:
                                        ; implicit-def: $sgpr0_sgpr1
                                        ; implicit-def: $vgpr33
                                        ; implicit-def: $vgpr17
                                        ; implicit-def: $vgpr16
                                        ; implicit-def: $vgpr35
                                        ; implicit-def: $vgpr34
                                        ; implicit-def: $vgpr14
	s_cbranch_execnz .LBB375_108
	s_branch .LBB375_141
.LBB375_100:
	v_mov_b32_e32 v14, 0
	v_mov_b32_e32 v33, 0
.LBB375_101:
	v_lshrrev_b32_e32 v34, 16, v14
	v_lshrrev_b32_e32 v14, 24, v14
	v_cndmask_b32_e64 v35, 0, 1, s[0:1]
	v_mov_b32_e32 v16, 1
	s_waitcnt lgkmcnt(0)
	s_barrier
                                        ; implicit-def: $sgpr0_sgpr1
                                        ; implicit-def: $vgpr17
	s_and_saveexec_b64 s[12:13], s[2:3]
	s_xor_b64 s[12:13], exec, s[12:13]
	s_cbranch_execz .LBB375_107
; %bb.102:
	v_lshlrev_b16_e32 v15, 8, v14
	s_movk_i32 s0, 0xff
	v_bitop3_b16 v15, v34, v15, s0 bitop3:0xec
	v_lshlrev_b16_e32 v17, 8, v35
	v_lshlrev_b32_e32 v15, 16, v15
	v_or_b32_e32 v17, 1, v17
	v_or_b32_sdwa v15, v17, v15 dst_sel:DWORD dst_unused:UNUSED_PAD src0_sel:WORD_0 src1_sel:DWORD
	s_mov_b32 s42, 0x3020104
	s_and_b64 vcc, exec, s[4:5]
	s_mov_b64 s[0:1], 0
	s_cbranch_vccnz .LBB375_106
; %bb.103:
	v_add_u32_e32 v17, -8, v22
	ds_read_b64 v[18:19], v17
	v_mov_b64_e32 v[20:21], s[36:37]
	s_add_u32 s40, s26, -1
	s_addc_u32 s41, s27, -1
	s_mov_b64 s[4:5], 0
	s_waitcnt lgkmcnt(0)
	v_mul_lo_u32 v17, v18, s27
	v_mul_lo_u32 v23, v19, s26
	v_mad_u64_u32 v[18:19], s[0:1], v18, s26, v[20:21]
	v_add3_u32 v19, v23, v19, v17
	v_mad_u64_u32 v[20:21], s[0:1], v6, s26, v[20:21]
	v_mul_lo_u32 v17, v6, s27
	v_mul_lo_u32 v23, v7, s26
	v_add3_u32 v21, v23, v21, v17
                                        ; implicit-def: $sgpr14_sgpr15
.LBB375_104:                            ; =>This Inner Loop Header: Depth=1
	global_load_ubyte v17, v[18:19], off
	global_load_ubyte v23, v[20:21], off
	s_add_u32 s0, s40, -1
	s_addc_u32 s1, s41, -1
	s_cmp_eq_u64 s[40:41], 0
	s_mov_b64 s[40:41], s[0:1]
	s_cselect_b64 s[44:45], -1, 0
	v_lshl_add_u64 v[18:19], v[18:19], 0, 1
	v_lshl_add_u64 v[20:21], v[20:21], 0, 1
	s_waitcnt vmcnt(0)
	v_cmp_ne_u16_e64 s[0:1], v17, v23
	s_or_b64 s[0:1], s[0:1], s[44:45]
	s_and_b64 s[0:1], exec, s[0:1]
	v_cmp_eq_u16_e32 vcc, v17, v23
	s_or_b64 s[4:5], s[0:1], s[4:5]
	s_andn2_b64 s[0:1], s[14:15], exec
	s_and_b64 s[14:15], vcc, exec
	s_or_b64 s[14:15], s[0:1], s[14:15]
	s_andn2_b64 exec, exec, s[4:5]
	s_cbranch_execnz .LBB375_104
; %bb.105:
	s_or_b64 exec, exec, s[4:5]
	s_xor_b64 s[0:1], s[14:15], -1
.LBB375_106:
	v_perm_b32 v17, v15, v15, s42
	s_or_b64 s[10:11], s[10:11], exec
.LBB375_107:
	s_or_b64 exec, exec, s[12:13]
	s_branch .LBB375_141
.LBB375_108:
	v_add_u32_e32 v14, 4, v1
	v_cmp_gt_u32_e32 vcc, s48, v14
	s_mov_b64 s[4:5], 0
	s_mov_b64 s[12:13], 0
	s_and_saveexec_b64 s[14:15], vcc
	s_cbranch_execz .LBB375_114
; %bb.109:
	s_andn2_b64 vcc, exec, s[6:7]
	s_mov_b64 s[0:1], 0
	s_cbranch_vccnz .LBB375_113
; %bb.110:
	v_mov_b64_e32 v[16:17], s[36:37]
	v_mad_u64_u32 v[14:15], s[0:1], v4, s26, v[16:17]
	v_mul_lo_u32 v18, v4, s27
	v_mul_lo_u32 v19, v5, s26
	v_add3_u32 v15, v19, v15, v18
	v_mad_u64_u32 v[16:17], s[0:1], v12, s26, v[16:17]
	v_mul_lo_u32 v18, v12, s27
	v_mul_lo_u32 v19, v13, s26
	s_add_u32 s42, s26, -1
	v_add3_u32 v17, v19, v17, v18
	s_addc_u32 s43, s27, -1
                                        ; implicit-def: $sgpr40_sgpr41
.LBB375_111:                            ; =>This Inner Loop Header: Depth=1
	global_load_ubyte v18, v[14:15], off
	global_load_ubyte v19, v[16:17], off
	s_add_u32 s0, s42, -1
	s_addc_u32 s1, s43, -1
	s_cmp_eq_u64 s[42:43], 0
	s_mov_b64 s[42:43], s[0:1]
	s_cselect_b64 s[44:45], -1, 0
	v_lshl_add_u64 v[14:15], v[14:15], 0, 1
	v_lshl_add_u64 v[16:17], v[16:17], 0, 1
	s_waitcnt vmcnt(0)
	v_cmp_ne_u16_e64 s[0:1], v18, v19
	s_or_b64 s[0:1], s[0:1], s[44:45]
	s_and_b64 s[0:1], exec, s[0:1]
	v_cmp_eq_u16_e32 vcc, v18, v19
	s_or_b64 s[12:13], s[0:1], s[12:13]
	s_andn2_b64 s[0:1], s[40:41], exec
	s_and_b64 s[40:41], vcc, exec
	s_or_b64 s[40:41], s[0:1], s[40:41]
	s_andn2_b64 exec, exec, s[12:13]
	s_cbranch_execnz .LBB375_111
; %bb.112:
	s_or_b64 exec, exec, s[12:13]
	s_xor_b64 s[0:1], s[40:41], -1
.LBB375_113:
	s_and_b64 s[12:13], s[0:1], exec
.LBB375_114:
	s_or_b64 exec, exec, s[14:15]
	v_add_u32_e32 v14, 3, v1
	v_cmp_gt_u32_e32 vcc, s48, v14
	s_and_saveexec_b64 s[14:15], vcc
	s_cbranch_execz .LBB375_120
; %bb.115:
	s_andn2_b64 vcc, exec, s[6:7]
	s_mov_b64 s[0:1], 0
	s_cbranch_vccnz .LBB375_119
; %bb.116:
	v_mov_b64_e32 v[16:17], s[36:37]
	v_mad_u64_u32 v[14:15], s[0:1], v2, s26, v[16:17]
	v_mul_lo_u32 v18, v2, s27
	v_mul_lo_u32 v19, v3, s26
	v_add3_u32 v15, v19, v15, v18
	v_mad_u64_u32 v[16:17], s[0:1], v4, s26, v[16:17]
	v_mul_lo_u32 v18, v4, s27
	v_mul_lo_u32 v19, v5, s26
	s_add_u32 s42, s26, -1
	v_add3_u32 v17, v19, v17, v18
	s_addc_u32 s43, s27, -1
	s_mov_b64 s[4:5], 0
                                        ; implicit-def: $sgpr40_sgpr41
.LBB375_117:                            ; =>This Inner Loop Header: Depth=1
	global_load_ubyte v18, v[14:15], off
	global_load_ubyte v19, v[16:17], off
	s_add_u32 s0, s42, -1
	s_addc_u32 s1, s43, -1
	s_cmp_eq_u64 s[42:43], 0
	s_mov_b64 s[42:43], s[0:1]
	s_cselect_b64 s[44:45], -1, 0
	v_lshl_add_u64 v[14:15], v[14:15], 0, 1
	v_lshl_add_u64 v[16:17], v[16:17], 0, 1
	s_waitcnt vmcnt(0)
	v_cmp_ne_u16_e64 s[0:1], v18, v19
	s_or_b64 s[0:1], s[0:1], s[44:45]
	s_and_b64 s[0:1], exec, s[0:1]
	v_cmp_eq_u16_e32 vcc, v18, v19
	s_or_b64 s[4:5], s[0:1], s[4:5]
	s_andn2_b64 s[0:1], s[40:41], exec
	s_and_b64 s[40:41], vcc, exec
	s_or_b64 s[40:41], s[0:1], s[40:41]
	s_andn2_b64 exec, exec, s[4:5]
	s_cbranch_execnz .LBB375_117
; %bb.118:
	s_or_b64 exec, exec, s[4:5]
	s_xor_b64 s[0:1], s[40:41], -1
.LBB375_119:
	s_and_b64 s[4:5], s[0:1], exec
.LBB375_120:
	s_or_b64 exec, exec, s[14:15]
	v_add_u32_e32 v14, 2, v1
	v_cmp_gt_u32_e32 vcc, s48, v14
	s_mov_b64 s[14:15], 0
	s_mov_b64 s[40:41], 0
	s_and_saveexec_b64 s[42:43], vcc
	s_cbranch_execz .LBB375_126
; %bb.121:
	s_andn2_b64 vcc, exec, s[6:7]
	s_mov_b64 s[0:1], 0
	s_cbranch_vccnz .LBB375_125
; %bb.122:
	v_mov_b64_e32 v[16:17], s[36:37]
	v_mad_u64_u32 v[14:15], s[0:1], v8, s26, v[16:17]
	v_mul_lo_u32 v18, v8, s27
	v_mul_lo_u32 v19, v9, s26
	v_add3_u32 v15, v19, v15, v18
	v_mad_u64_u32 v[16:17], s[0:1], v2, s26, v[16:17]
	v_mul_lo_u32 v18, v2, s27
	v_mul_lo_u32 v19, v3, s26
	s_add_u32 s46, s26, -1
	v_add3_u32 v17, v19, v17, v18
	s_addc_u32 s47, s27, -1
                                        ; implicit-def: $sgpr44_sgpr45
.LBB375_123:                            ; =>This Inner Loop Header: Depth=1
	global_load_ubyte v18, v[14:15], off
	global_load_ubyte v19, v[16:17], off
	s_add_u32 s0, s46, -1
	s_addc_u32 s1, s47, -1
	s_cmp_eq_u64 s[46:47], 0
	s_mov_b64 s[46:47], s[0:1]
	s_cselect_b64 s[50:51], -1, 0
	v_lshl_add_u64 v[14:15], v[14:15], 0, 1
	v_lshl_add_u64 v[16:17], v[16:17], 0, 1
	s_waitcnt vmcnt(0)
	v_cmp_ne_u16_e64 s[0:1], v18, v19
	s_or_b64 s[0:1], s[0:1], s[50:51]
	s_and_b64 s[0:1], exec, s[0:1]
	v_cmp_eq_u16_e32 vcc, v18, v19
	s_or_b64 s[40:41], s[0:1], s[40:41]
	s_andn2_b64 s[0:1], s[44:45], exec
	s_and_b64 s[44:45], vcc, exec
	s_or_b64 s[44:45], s[0:1], s[44:45]
	s_andn2_b64 exec, exec, s[40:41]
	s_cbranch_execnz .LBB375_123
; %bb.124:
	s_or_b64 exec, exec, s[40:41]
	s_xor_b64 s[0:1], s[44:45], -1
.LBB375_125:
	s_and_b64 s[40:41], s[0:1], exec
.LBB375_126:
	s_or_b64 exec, exec, s[42:43]
	v_add_u32_e32 v14, 1, v1
	v_cmp_gt_u32_e32 vcc, s48, v14
	s_and_saveexec_b64 s[42:43], vcc
	s_cbranch_execz .LBB375_132
; %bb.127:
	s_andn2_b64 vcc, exec, s[6:7]
	s_mov_b64 s[0:1], 0
	s_cbranch_vccnz .LBB375_131
; %bb.128:
	v_mov_b64_e32 v[16:17], s[36:37]
	v_mad_u64_u32 v[14:15], s[0:1], v6, s26, v[16:17]
	v_mul_lo_u32 v18, v6, s27
	v_mul_lo_u32 v19, v7, s26
	v_add3_u32 v15, v19, v15, v18
	v_mad_u64_u32 v[16:17], s[0:1], v8, s26, v[16:17]
	v_mul_lo_u32 v18, v8, s27
	v_mul_lo_u32 v19, v9, s26
	s_add_u32 s46, s26, -1
	v_add3_u32 v17, v19, v17, v18
	s_addc_u32 s47, s27, -1
	s_mov_b64 s[14:15], 0
                                        ; implicit-def: $sgpr44_sgpr45
.LBB375_129:                            ; =>This Inner Loop Header: Depth=1
	global_load_ubyte v18, v[14:15], off
	global_load_ubyte v19, v[16:17], off
	s_add_u32 s0, s46, -1
	s_addc_u32 s1, s47, -1
	s_cmp_eq_u64 s[46:47], 0
	s_mov_b64 s[46:47], s[0:1]
	s_cselect_b64 s[50:51], -1, 0
	v_lshl_add_u64 v[14:15], v[14:15], 0, 1
	v_lshl_add_u64 v[16:17], v[16:17], 0, 1
	s_waitcnt vmcnt(0)
	v_cmp_ne_u16_e64 s[0:1], v18, v19
	s_or_b64 s[0:1], s[0:1], s[50:51]
	s_and_b64 s[0:1], exec, s[0:1]
	v_cmp_eq_u16_e32 vcc, v18, v19
	s_or_b64 s[14:15], s[0:1], s[14:15]
	s_andn2_b64 s[0:1], s[44:45], exec
	s_and_b64 s[44:45], vcc, exec
	s_or_b64 s[44:45], s[0:1], s[44:45]
	s_andn2_b64 exec, exec, s[14:15]
	s_cbranch_execnz .LBB375_129
; %bb.130:
	s_or_b64 exec, exec, s[14:15]
	s_xor_b64 s[0:1], s[44:45], -1
.LBB375_131:
	s_and_b64 s[14:15], s[0:1], exec
.LBB375_132:
	s_or_b64 exec, exec, s[42:43]
	v_cndmask_b32_e64 v33, 0, 1, s[12:13]
	v_cndmask_b32_e64 v34, 0, 1, s[40:41]
	;; [unrolled: 1-line block ×4, first 2 shown]
	v_mov_b32_e32 v16, 1
	s_waitcnt lgkmcnt(0)
	s_barrier
                                        ; implicit-def: $sgpr0_sgpr1
                                        ; implicit-def: $vgpr17
	s_and_saveexec_b64 s[4:5], s[2:3]
	s_cbranch_execz .LBB375_140
; %bb.133:
	v_lshlrev_b16_e32 v15, 8, v35
	v_lshlrev_b16_e32 v17, 8, v14
	v_or_b32_e32 v15, 1, v15
	v_or_b32_sdwa v17, v34, v17 dst_sel:WORD_1 dst_unused:UNUSED_PAD src0_sel:DWORD src1_sel:DWORD
	v_cmp_gt_u32_e32 vcc, s48, v1
	v_or_b32_sdwa v15, v15, v17 dst_sel:DWORD dst_unused:UNUSED_PAD src0_sel:WORD_0 src1_sel:DWORD
	s_mov_b32 s40, 0x3020104
	s_mov_b64 s[0:1], 0
	s_and_saveexec_b64 s[2:3], vcc
	s_cbranch_execz .LBB375_139
; %bb.134:
	s_andn2_b64 vcc, exec, s[6:7]
	s_cbranch_vccnz .LBB375_138
; %bb.135:
	v_add_u32_e32 v17, -8, v22
	ds_read_b64 v[18:19], v17
	v_mov_b64_e32 v[20:21], s[36:37]
	s_add_u32 s14, s26, -1
	s_addc_u32 s15, s27, -1
	s_mov_b64 s[6:7], 0
	s_waitcnt lgkmcnt(0)
	v_mul_lo_u32 v17, v18, s27
	v_mul_lo_u32 v22, v19, s26
	v_mad_u64_u32 v[18:19], s[0:1], v18, s26, v[20:21]
	v_add3_u32 v19, v22, v19, v17
	v_mad_u64_u32 v[20:21], s[0:1], v6, s26, v[20:21]
	v_mul_lo_u32 v17, v6, s27
	v_mul_lo_u32 v22, v7, s26
	v_add3_u32 v21, v22, v21, v17
                                        ; implicit-def: $sgpr12_sgpr13
.LBB375_136:                            ; =>This Inner Loop Header: Depth=1
	global_load_ubyte v17, v[18:19], off
	global_load_ubyte v22, v[20:21], off
	s_add_u32 s0, s14, -1
	s_addc_u32 s1, s15, -1
	s_cmp_eq_u64 s[14:15], 0
	s_mov_b64 s[14:15], s[0:1]
	s_cselect_b64 s[26:27], -1, 0
	v_lshl_add_u64 v[18:19], v[18:19], 0, 1
	v_lshl_add_u64 v[20:21], v[20:21], 0, 1
	s_waitcnt vmcnt(0)
	v_cmp_ne_u16_e64 s[0:1], v17, v22
	s_or_b64 s[0:1], s[0:1], s[26:27]
	s_and_b64 s[0:1], exec, s[0:1]
	v_cmp_eq_u16_e32 vcc, v17, v22
	s_or_b64 s[6:7], s[0:1], s[6:7]
	s_andn2_b64 s[0:1], s[12:13], exec
	s_and_b64 s[12:13], vcc, exec
	s_or_b64 s[12:13], s[0:1], s[12:13]
	s_andn2_b64 exec, exec, s[6:7]
	s_cbranch_execnz .LBB375_136
; %bb.137:
	s_or_b64 exec, exec, s[6:7]
	s_xor_b64 s[0:1], s[12:13], -1
.LBB375_138:
	s_and_b64 s[0:1], s[0:1], exec
.LBB375_139:
	s_or_b64 exec, exec, s[2:3]
	v_perm_b32 v17, v15, v15, s40
	s_or_b64 s[10:11], s[10:11], exec
.LBB375_140:
	s_or_b64 exec, exec, s[4:5]
.LBB375_141:
	s_and_saveexec_b64 s[2:3], s[10:11]
	s_cbranch_execz .LBB375_143
; %bb.142:
	s_waitcnt vmcnt(0) lgkmcnt(0)
	v_lshrrev_b32_e32 v14, 24, v17
	v_lshrrev_b32_e32 v34, 16, v17
	;; [unrolled: 1-line block ×3, first 2 shown]
	v_cndmask_b32_e64 v16, 0, 1, s[0:1]
.LBB375_143:
	s_or_b64 exec, exec, s[2:3]
	s_andn2_b64 vcc, exec, s[8:9]
	s_cbranch_vccnz .LBB375_147
; %bb.144:
	s_mov_b32 s0, 0xc0c0004
	s_waitcnt vmcnt(0) lgkmcnt(0)
	v_perm_b32 v14, v34, v14, s0
	v_perm_b32 v15, v16, v35, s0
	v_lshlrev_b32_e32 v14, 16, v14
	v_or_b32_e32 v15, v15, v14
	v_cmp_gt_u32_e32 vcc, s48, v1
	v_add_u32_e32 v16, 1, v1
	s_mov_b32 s0, 0x40c0100
	v_cndmask_b32_e32 v14, v14, v15, vcc
	v_and_b32_e32 v14, 0xffff00ff, v14
	v_cmp_gt_u32_e32 vcc, s48, v16
	v_add_u32_e32 v16, 2, v1
	v_and_b32_e32 v33, 0xff, v33
	v_cndmask_b32_e32 v14, v14, v15, vcc
	v_lshrrev_b32_e32 v18, 24, v14
	v_perm_b32 v14, v18, v14, s0
	v_cmp_gt_u32_e32 vcc, s48, v16
	v_add_u32_e32 v16, 3, v1
	v_and_b32_e32 v17, 0xffff, v33
	v_cndmask_b32_e32 v14, v14, v15, vcc
	v_and_b32_e32 v14, 0xffffff, v14
	v_cmp_gt_u32_e32 vcc, s48, v16
	v_add_u32_e32 v1, 4, v1
	s_nop 0
	v_cndmask_b32_e32 v16, v14, v15, vcc
	v_lshrrev_b32_e32 v34, 16, v16
	v_lshrrev_b32_e32 v35, 8, v16
	v_lshrrev_b64 v[14:15], 24, v[16:17]
	v_cmp_le_u32_e32 vcc, s48, v1
	s_and_saveexec_b64 s[0:1], vcc
; %bb.145:
	v_mov_b32_e32 v33, 0
; %bb.146:
	s_or_b64 exec, exec, s[0:1]
.LBB375_147:
	v_and_b32_e32 v1, 0xff, v16
	s_waitcnt vmcnt(0) lgkmcnt(0)
	v_and_b32_e32 v15, 0xff, v35
	v_and_b32_e32 v17, 0xff, v34
	;; [unrolled: 1-line block ×4, first 2 shown]
	v_add3_u32 v19, v15, v1, v17
	v_add3_u32 v37, v19, v29, v18
	v_mbcnt_lo_u32_b32 v18, -1, 0
	v_mbcnt_hi_u32_b32 v31, -1, v18
	v_and_b32_e32 v18, 15, v31
	v_cmp_eq_u32_e64 s[14:15], 0, v18
	v_cmp_lt_u32_e64 s[12:13], 1, v18
	v_cmp_lt_u32_e64 s[10:11], 3, v18
	;; [unrolled: 1-line block ×3, first 2 shown]
	v_and_b32_e32 v18, 16, v31
	v_cmp_eq_u32_e64 s[6:7], 0, v18
	v_or_b32_e32 v18, 63, v0
	v_cmp_lt_u32_e64 s[2:3], 31, v31
	v_lshrrev_b32_e32 v36, 6, v0
	v_cmp_eq_u32_e64 s[4:5], v0, v18
	s_and_b64 vcc, exec, s[16:17]
	s_barrier
	s_cbranch_vccz .LBB375_169
; %bb.148:
	v_mov_b32_dpp v18, v37 row_shr:1 row_mask:0xf bank_mask:0xf
	v_cndmask_b32_e64 v18, v18, 0, s[14:15]
	v_add_u32_e32 v18, v18, v37
	s_nop 1
	v_mov_b32_dpp v19, v18 row_shr:2 row_mask:0xf bank_mask:0xf
	v_cndmask_b32_e64 v19, 0, v19, s[12:13]
	v_add_u32_e32 v18, v18, v19
	s_nop 1
	;; [unrolled: 4-line block ×4, first 2 shown]
	v_mov_b32_dpp v19, v18 row_bcast:15 row_mask:0xf bank_mask:0xf
	v_cndmask_b32_e64 v19, v19, 0, s[6:7]
	v_add_u32_e32 v18, v18, v19
	s_nop 1
	v_mov_b32_dpp v19, v18 row_bcast:31 row_mask:0xf bank_mask:0xf
	v_cndmask_b32_e64 v19, 0, v19, s[2:3]
	v_add_u32_e32 v18, v18, v19
	s_and_saveexec_b64 s[0:1], s[4:5]
; %bb.149:
	v_lshlrev_b32_e32 v19, 2, v36
	ds_write_b32 v19, v18
; %bb.150:
	s_or_b64 exec, exec, s[0:1]
	v_cmp_gt_u32_e32 vcc, 2, v0
	s_waitcnt lgkmcnt(0)
	s_barrier
	s_and_saveexec_b64 s[0:1], vcc
	s_cbranch_execz .LBB375_152
; %bb.151:
	v_lshlrev_b32_e32 v19, 2, v0
	ds_read_b32 v20, v19
	v_bfe_i32 v21, v31, 0, 1
	s_waitcnt lgkmcnt(0)
	v_mov_b32_dpp v22, v20 row_shr:1 row_mask:0xf bank_mask:0xf
	v_and_b32_e32 v21, v21, v22
	v_add_u32_e32 v20, v21, v20
	ds_write_b32 v19, v20
.LBB375_152:
	s_or_b64 exec, exec, s[0:1]
	v_cmp_gt_u32_e32 vcc, 64, v0
	v_cmp_lt_u32_e64 s[0:1], 63, v0
	s_waitcnt lgkmcnt(0)
	s_barrier
                                        ; implicit-def: $vgpr28
	s_and_saveexec_b64 s[16:17], s[0:1]
	s_cbranch_execz .LBB375_154
; %bb.153:
	v_lshl_add_u32 v19, v36, 2, -4
	ds_read_b32 v28, v19
	s_waitcnt lgkmcnt(0)
	v_add_u32_e32 v18, v28, v18
.LBB375_154:
	s_or_b64 exec, exec, s[16:17]
	v_subrev_co_u32_e64 v19, s[16:17], 1, v31
	v_and_b32_e32 v20, 64, v31
	v_cmp_lt_i32_e64 s[0:1], v19, v20
	s_nop 1
	v_cndmask_b32_e64 v19, v19, v31, s[0:1]
	v_lshlrev_b32_e32 v19, 2, v19
	ds_bpermute_b32 v30, v19, v18
	s_and_saveexec_b64 s[0:1], vcc
	s_cbranch_execz .LBB375_174
; %bb.155:
	v_mov_b32_e32 v25, 0
	ds_read_b32 v18, v25 offset:4
	s_and_saveexec_b64 s[26:27], s[16:17]
	s_cbranch_execz .LBB375_157
; %bb.156:
	s_add_i32 s36, s33, 64
	s_mov_b32 s37, 0
	s_lshl_b64 s[36:37], s[36:37], 3
	s_add_u32 s36, s38, s36
	v_mov_b32_e32 v19, 1
	s_addc_u32 s37, s39, s37
	s_waitcnt lgkmcnt(0)
	global_store_dwordx2 v25, v[18:19], s[36:37] sc1
.LBB375_157:
	s_or_b64 exec, exec, s[26:27]
	v_xad_u32 v20, v31, -1, s33
	v_add_u32_e32 v24, 64, v20
	v_lshl_add_u64 v[26:27], v[24:25], 3, s[38:39]
	global_load_dwordx2 v[22:23], v[26:27], off sc1
	s_waitcnt vmcnt(0)
	v_cmp_eq_u16_sdwa s[36:37], v23, v25 src0_sel:BYTE_0 src1_sel:DWORD
	s_and_saveexec_b64 s[26:27], s[36:37]
	s_cbranch_execz .LBB375_161
; %bb.158:
	s_mov_b64 s[36:37], 0
	v_mov_b32_e32 v19, 0
.LBB375_159:                            ; =>This Inner Loop Header: Depth=1
	global_load_dwordx2 v[22:23], v[26:27], off sc1
	s_waitcnt vmcnt(0)
	v_cmp_ne_u16_sdwa s[40:41], v23, v19 src0_sel:BYTE_0 src1_sel:DWORD
	s_or_b64 s[36:37], s[40:41], s[36:37]
	s_andn2_b64 exec, exec, s[36:37]
	s_cbranch_execnz .LBB375_159
; %bb.160:
	s_or_b64 exec, exec, s[36:37]
.LBB375_161:
	s_or_b64 exec, exec, s[26:27]
	v_and_b32_e32 v39, 63, v31
	v_mov_b32_e32 v38, 2
	v_cmp_ne_u32_e32 vcc, 63, v39
	v_cmp_eq_u16_sdwa s[26:27], v23, v38 src0_sel:BYTE_0 src1_sel:DWORD
	v_lshlrev_b64 v[24:25], v31, -1
	v_addc_co_u32_e32 v26, vcc, 0, v31, vcc
	v_and_b32_e32 v19, s27, v25
	v_lshlrev_b32_e32 v40, 2, v26
	v_or_b32_e32 v19, 0x80000000, v19
	ds_bpermute_b32 v26, v40, v22
	v_and_b32_e32 v21, s26, v24
	v_ffbl_b32_e32 v19, v19
	v_add_u32_e32 v19, 32, v19
	v_ffbl_b32_e32 v21, v21
	v_min_u32_e32 v19, v21, v19
	v_cmp_lt_u32_e32 vcc, v39, v19
	v_add_u32_e32 v42, 2, v39
	v_add_u32_e32 v44, 4, v39
	s_waitcnt lgkmcnt(0)
	v_cndmask_b32_e32 v21, 0, v26, vcc
	v_cmp_gt_u32_e32 vcc, 62, v39
	v_add_u32_e32 v21, v21, v22
	v_add_u32_e32 v46, 8, v39
	v_cndmask_b32_e64 v22, 0, 2, vcc
	v_add_lshl_u32 v41, v22, v31, 2
	ds_bpermute_b32 v22, v41, v21
	v_cmp_le_u32_e32 vcc, v42, v19
	v_add_u32_e32 v48, 16, v39
	v_add_u32_e32 v50, 32, v39
	s_waitcnt lgkmcnt(0)
	v_cndmask_b32_e32 v22, 0, v22, vcc
	v_cmp_gt_u32_e32 vcc, 60, v39
	v_add_u32_e32 v21, v21, v22
	s_nop 0
	v_cndmask_b32_e64 v22, 0, 4, vcc
	v_add_lshl_u32 v43, v22, v31, 2
	ds_bpermute_b32 v22, v43, v21
	v_cmp_le_u32_e32 vcc, v44, v19
	s_waitcnt lgkmcnt(0)
	s_nop 0
	v_cndmask_b32_e32 v22, 0, v22, vcc
	v_cmp_gt_u32_e32 vcc, 56, v39
	v_add_u32_e32 v21, v21, v22
	s_nop 0
	v_cndmask_b32_e64 v22, 0, 8, vcc
	v_add_lshl_u32 v45, v22, v31, 2
	ds_bpermute_b32 v22, v45, v21
	v_cmp_le_u32_e32 vcc, v46, v19
	s_waitcnt lgkmcnt(0)
	s_nop 0
	;; [unrolled: 10-line block ×3, first 2 shown]
	v_cndmask_b32_e32 v22, 0, v22, vcc
	v_add_u32_e32 v21, v21, v22
	v_mov_b32_e32 v22, 0x80
	v_lshl_or_b32 v49, v31, 2, v22
	ds_bpermute_b32 v22, v49, v21
	v_cmp_le_u32_e32 vcc, v50, v19
	s_waitcnt lgkmcnt(0)
	s_nop 0
	v_cndmask_b32_e32 v19, 0, v22, vcc
	v_add_u32_e32 v22, v21, v19
	v_mov_b32_e32 v21, 0
	s_branch .LBB375_164
.LBB375_162:                            ;   in Loop: Header=BB375_164 Depth=1
	s_or_b64 exec, exec, s[26:27]
	v_cmp_eq_u16_sdwa s[26:27], v23, v38 src0_sel:BYTE_0 src1_sel:DWORD
	ds_bpermute_b32 v51, v40, v22
	v_subrev_u32_e32 v20, 64, v20
	v_and_b32_e32 v26, s27, v25
	v_or_b32_e32 v26, 0x80000000, v26
	v_and_b32_e32 v27, s26, v24
	v_ffbl_b32_e32 v26, v26
	v_add_u32_e32 v26, 32, v26
	v_ffbl_b32_e32 v27, v27
	v_min_u32_e32 v26, v27, v26
	v_cmp_lt_u32_e32 vcc, v39, v26
	s_mov_b64 s[26:27], 0
	s_waitcnt lgkmcnt(0)
	v_cndmask_b32_e32 v27, 0, v51, vcc
	v_add_u32_e32 v22, v27, v22
	ds_bpermute_b32 v27, v41, v22
	v_cmp_le_u32_e32 vcc, v42, v26
	s_waitcnt lgkmcnt(0)
	s_nop 0
	v_cndmask_b32_e32 v27, 0, v27, vcc
	v_add_u32_e32 v22, v22, v27
	ds_bpermute_b32 v27, v43, v22
	v_cmp_le_u32_e32 vcc, v44, v26
	s_waitcnt lgkmcnt(0)
	s_nop 0
	;; [unrolled: 6-line block ×5, first 2 shown]
	v_cndmask_b32_e32 v26, 0, v27, vcc
	v_add3_u32 v22, v26, v19, v22
.LBB375_163:                            ;   in Loop: Header=BB375_164 Depth=1
	s_and_b64 vcc, exec, s[26:27]
	s_cbranch_vccnz .LBB375_170
.LBB375_164:                            ; =>This Loop Header: Depth=1
                                        ;     Child Loop BB375_167 Depth 2
	v_cmp_ne_u16_sdwa s[26:27], v23, v38 src0_sel:BYTE_0 src1_sel:DWORD
	v_mov_b32_e32 v19, v22
	s_cmp_lg_u64 s[26:27], exec
	s_mov_b64 s[26:27], -1
                                        ; implicit-def: $vgpr22
                                        ; implicit-def: $vgpr23
	s_cbranch_scc1 .LBB375_163
; %bb.165:                              ;   in Loop: Header=BB375_164 Depth=1
	v_lshl_add_u64 v[26:27], v[20:21], 3, s[38:39]
	global_load_dwordx2 v[22:23], v[26:27], off sc1
	s_waitcnt vmcnt(0)
	v_cmp_eq_u16_sdwa s[36:37], v23, v21 src0_sel:BYTE_0 src1_sel:DWORD
	s_and_saveexec_b64 s[26:27], s[36:37]
	s_cbranch_execz .LBB375_162
; %bb.166:                              ;   in Loop: Header=BB375_164 Depth=1
	s_mov_b64 s[36:37], 0
.LBB375_167:                            ;   Parent Loop BB375_164 Depth=1
                                        ; =>  This Inner Loop Header: Depth=2
	global_load_dwordx2 v[22:23], v[26:27], off sc1
	s_waitcnt vmcnt(0)
	v_cmp_ne_u16_sdwa s[40:41], v23, v21 src0_sel:BYTE_0 src1_sel:DWORD
	s_or_b64 s[36:37], s[40:41], s[36:37]
	s_andn2_b64 exec, exec, s[36:37]
	s_cbranch_execnz .LBB375_167
; %bb.168:                              ;   in Loop: Header=BB375_164 Depth=1
	s_or_b64 exec, exec, s[36:37]
	s_branch .LBB375_162
.LBB375_169:
                                        ; implicit-def: $vgpr22
                                        ; implicit-def: $vgpr24
                                        ; implicit-def: $vgpr26
                                        ; implicit-def: $vgpr28
                                        ; implicit-def: $vgpr30
                                        ; implicit-def: $vgpr20
                                        ; implicit-def: $vgpr18
	s_cbranch_execnz .LBB375_175
	s_branch .LBB375_184
.LBB375_170:
	s_and_saveexec_b64 s[26:27], s[16:17]
	s_cbranch_execz .LBB375_172
; %bb.171:
	s_add_i32 s36, s33, 64
	s_mov_b32 s37, 0
	s_lshl_b64 s[36:37], s[36:37], 3
	s_add_u32 s36, s38, s36
	v_add_u32_e32 v20, v19, v18
	v_mov_b32_e32 v21, 2
	s_addc_u32 s37, s39, s37
	v_mov_b32_e32 v22, 0
	global_store_dwordx2 v22, v[20:21], s[36:37] sc1
	ds_write_b64 v22, v[18:19] offset:5120
.LBB375_172:
	s_or_b64 exec, exec, s[26:27]
	s_and_b64 exec, exec, s[18:19]
; %bb.173:
	v_mov_b32_e32 v18, 0
	ds_write_b32 v18, v19 offset:4
.LBB375_174:
	s_or_b64 exec, exec, s[0:1]
	v_mov_b32_e32 v18, 0
	s_waitcnt lgkmcnt(0)
	s_barrier
	ds_read_b32 v19, v18 offset:4
	v_cndmask_b32_e64 v20, v30, v28, s[16:17]
	v_cndmask_b32_e64 v20, v20, 0, s[18:19]
	s_waitcnt lgkmcnt(0)
	s_barrier
	v_add_u32_e32 v30, v19, v20
	ds_read_b64 v[18:19], v18 offset:5120
	v_add_u32_e32 v28, v30, v1
	v_add_u32_e32 v26, v28, v15
	;; [unrolled: 1-line block ×4, first 2 shown]
	s_waitcnt lgkmcnt(0)
	v_mov_b32_e32 v20, v19
	s_branch .LBB375_184
.LBB375_175:
	v_mov_b32_dpp v18, v37 row_shr:1 row_mask:0xf bank_mask:0xf
	v_cndmask_b32_e64 v18, v18, 0, s[14:15]
	v_add_u32_e32 v18, v18, v37
	s_nop 1
	v_mov_b32_dpp v19, v18 row_shr:2 row_mask:0xf bank_mask:0xf
	v_cndmask_b32_e64 v19, 0, v19, s[12:13]
	v_add_u32_e32 v18, v18, v19
	s_nop 1
	;; [unrolled: 4-line block ×4, first 2 shown]
	v_mov_b32_dpp v19, v18 row_bcast:15 row_mask:0xf bank_mask:0xf
	v_cndmask_b32_e64 v19, v19, 0, s[6:7]
	v_add_u32_e32 v18, v18, v19
	s_nop 1
	v_mov_b32_dpp v19, v18 row_bcast:31 row_mask:0xf bank_mask:0xf
	v_cndmask_b32_e64 v19, 0, v19, s[2:3]
	v_add_u32_e32 v18, v18, v19
	s_and_saveexec_b64 s[0:1], s[4:5]
; %bb.176:
	v_lshlrev_b32_e32 v19, 2, v36
	ds_write_b32 v19, v18
; %bb.177:
	s_or_b64 exec, exec, s[0:1]
	v_cmp_gt_u32_e32 vcc, 2, v0
	s_waitcnt lgkmcnt(0)
	s_barrier
	s_and_saveexec_b64 s[0:1], vcc
	s_cbranch_execz .LBB375_179
; %bb.178:
	v_lshlrev_b32_e32 v19, 2, v0
	ds_read_b32 v20, v19
	v_bfe_i32 v21, v31, 0, 1
	s_waitcnt lgkmcnt(0)
	v_mov_b32_dpp v22, v20 row_shr:1 row_mask:0xf bank_mask:0xf
	v_and_b32_e32 v21, v21, v22
	v_add_u32_e32 v20, v21, v20
	ds_write_b32 v19, v20
.LBB375_179:
	s_or_b64 exec, exec, s[0:1]
	v_cmp_lt_u32_e32 vcc, 63, v0
	v_mov_b32_e32 v19, 0
	v_mov_b32_e32 v20, 0
	s_waitcnt lgkmcnt(0)
	s_barrier
	s_and_saveexec_b64 s[0:1], vcc
; %bb.180:
	v_lshl_add_u32 v20, v36, 2, -4
	ds_read_b32 v20, v20
; %bb.181:
	s_or_b64 exec, exec, s[0:1]
	v_subrev_co_u32_e32 v21, vcc, 1, v31
	v_and_b32_e32 v22, 64, v31
	v_cmp_lt_i32_e64 s[0:1], v21, v22
	s_waitcnt lgkmcnt(0)
	v_add_u32_e32 v18, v20, v18
	v_cndmask_b32_e64 v21, v21, v31, s[0:1]
	v_lshlrev_b32_e32 v21, 2, v21
	ds_bpermute_b32 v21, v21, v18
	ds_read_b32 v18, v19 offset:4
	s_and_saveexec_b64 s[0:1], s[18:19]
	s_cbranch_execz .LBB375_183
; %bb.182:
	v_mov_b32_e32 v22, 0
	v_mov_b32_e32 v19, 2
	s_waitcnt lgkmcnt(0)
	global_store_dwordx2 v22, v[18:19], s[38:39] offset:512 sc1
.LBB375_183:
	s_or_b64 exec, exec, s[0:1]
	s_waitcnt lgkmcnt(1)
	v_cndmask_b32_e32 v19, v21, v20, vcc
	v_cndmask_b32_e64 v30, v19, 0, s[18:19]
	v_add_u32_e32 v28, v30, v1
	v_add_u32_e32 v26, v28, v15
	v_add_u32_e32 v24, v26, v17
	v_add_u32_e32 v22, v24, v29
	s_waitcnt lgkmcnt(0)
	s_barrier
	v_mov_b32_e32 v20, 0
.LBB375_184:
	s_movk_i32 s0, 0x81
	v_cmp_gt_u32_e64 s[2:3], s0, v18
	v_add_u32_e32 v15, v20, v18
	v_and_b32_e32 v1, 1, v16
	s_mov_b64 s[6:7], -1
	s_and_b64 vcc, exec, s[2:3]
	v_cmp_lt_u32_e64 s[0:1], v30, v15
	v_cmp_eq_u32_e64 s[4:5], 1, v1
	s_cbranch_vccz .LBB375_196
; %bb.185:
	s_or_b64 s[0:1], s[34:35], s[0:1]
	s_and_b64 s[4:5], s[0:1], s[4:5]
	s_and_saveexec_b64 s[0:1], s[4:5]
	s_cbranch_execz .LBB375_187
; %bb.186:
	s_lshl_b64 s[4:5], s[22:23], 3
	s_add_u32 s4, s28, s4
	s_addc_u32 s5, s29, s5
	v_mov_b32_e32 v31, 0
	v_lshl_add_u64 v[16:17], v[30:31], 3, s[4:5]
	global_store_dwordx2 v[16:17], v[6:7], off
.LBB375_187:
	s_or_b64 exec, exec, s[0:1]
	v_cmp_lt_u32_e32 vcc, v28, v15
	v_and_b32_e32 v16, 1, v35
	s_or_b64 s[0:1], s[34:35], vcc
	v_cmp_eq_u32_e32 vcc, 1, v16
	s_and_b64 s[4:5], s[0:1], vcc
	s_and_saveexec_b64 s[0:1], s[4:5]
	s_cbranch_execz .LBB375_189
; %bb.188:
	s_lshl_b64 s[4:5], s[22:23], 3
	s_add_u32 s4, s28, s4
	s_addc_u32 s5, s29, s5
	v_mov_b32_e32 v29, 0
	v_lshl_add_u64 v[16:17], v[28:29], 3, s[4:5]
	global_store_dwordx2 v[16:17], v[8:9], off
.LBB375_189:
	s_or_b64 exec, exec, s[0:1]
	v_cmp_lt_u32_e32 vcc, v26, v15
	v_and_b32_e32 v16, 1, v34
	s_or_b64 s[0:1], s[34:35], vcc
	v_cmp_eq_u32_e32 vcc, 1, v16
	s_and_b64 s[4:5], s[0:1], vcc
	;; [unrolled: 16-line block ×4, first 2 shown]
	s_and_saveexec_b64 s[0:1], s[4:5]
	s_cbranch_execz .LBB375_195
; %bb.194:
	s_lshl_b64 s[4:5], s[22:23], 3
	s_add_u32 s4, s28, s4
	s_addc_u32 s5, s29, s5
	v_mov_b32_e32 v23, 0
	v_lshl_add_u64 v[16:17], v[22:23], 3, s[4:5]
	global_store_dwordx2 v[16:17], v[12:13], off
.LBB375_195:
	s_or_b64 exec, exec, s[0:1]
	s_mov_b64 s[6:7], 0
.LBB375_196:
	s_and_b64 vcc, exec, s[6:7]
	s_cbranch_vccz .LBB375_210
; %bb.197:
	v_cmp_eq_u32_e32 vcc, 1, v1
	s_and_saveexec_b64 s[0:1], vcc
; %bb.198:
	v_sub_u32_e32 v16, v30, v20
	v_lshlrev_b32_e32 v16, 3, v16
	ds_write_b64 v16, v[6:7]
; %bb.199:
	s_or_b64 exec, exec, s[0:1]
	v_and_b32_e32 v6, 1, v35
	v_cmp_eq_u32_e32 vcc, 1, v6
	s_and_saveexec_b64 s[0:1], vcc
; %bb.200:
	v_sub_u32_e32 v6, v28, v20
	v_lshlrev_b32_e32 v6, 3, v6
	ds_write_b64 v6, v[8:9]
; %bb.201:
	s_or_b64 exec, exec, s[0:1]
	v_and_b32_e32 v6, 1, v34
	;; [unrolled: 9-line block ×4, first 2 shown]
	v_cmp_eq_u32_e32 vcc, 1, v2
	s_and_saveexec_b64 s[0:1], vcc
; %bb.206:
	v_sub_u32_e32 v2, v22, v20
	v_lshlrev_b32_e32 v2, 3, v2
	ds_write_b64 v2, v[12:13]
; %bb.207:
	s_or_b64 exec, exec, s[0:1]
	v_mov_b32_e32 v3, 0
	v_mov_b32_e32 v21, v3
	v_lshlrev_b64 v[4:5], 3, v[20:21]
	v_lshl_add_u64 v[4:5], s[28:29], 0, v[4:5]
	s_lshl_b64 s[0:1], s[22:23], 3
	v_lshl_add_u64 v[4:5], v[4:5], 0, s[0:1]
	v_lshlrev_b32_e32 v6, 3, v0
	s_mov_b64 s[0:1], 0
	v_mov_b32_e32 v2, v0
	s_waitcnt lgkmcnt(0)
	s_barrier
.LBB375_208:                            ; =>This Inner Loop Header: Depth=1
	ds_read_b64 v[8:9], v6
	v_lshl_add_u64 v[12:13], v[2:3], 3, v[4:5]
	v_add_u32_e32 v2, 0x80, v2
	v_cmp_ge_u32_e32 vcc, v2, v18
	v_add_u32_e32 v6, 0x400, v6
	s_or_b64 s[0:1], vcc, s[0:1]
	s_waitcnt lgkmcnt(0)
	global_store_dwordx2 v[12:13], v[8:9], off
	s_andn2_b64 exec, exec, s[0:1]
	s_cbranch_execnz .LBB375_208
; %bb.209:
	s_or_b64 exec, exec, s[0:1]
.LBB375_210:
	s_mov_b64 s[0:1], -1
	s_and_b64 vcc, exec, s[2:3]
	s_barrier
	s_cbranch_vccnz .LBB375_214
; %bb.211:
	s_and_b64 vcc, exec, s[0:1]
	s_cbranch_vccnz .LBB375_225
.LBB375_212:
	s_and_b64 s[0:1], s[18:19], s[24:25]
	s_and_saveexec_b64 s[2:3], s[0:1]
	s_cbranch_execnz .LBB375_238
.LBB375_213:
	s_endpgm
.LBB375_214:
	v_cmp_lt_u32_e32 vcc, v30, v15
	s_or_b64 s[0:1], s[34:35], vcc
	v_cmp_eq_u32_e32 vcc, 1, v1
	s_and_b64 s[2:3], s[0:1], vcc
	s_and_saveexec_b64 s[0:1], s[2:3]
	s_cbranch_execz .LBB375_216
; %bb.215:
	s_lshl_b64 s[2:3], s[22:23], 3
	s_add_u32 s2, s30, s2
	s_addc_u32 s3, s31, s3
	v_mov_b32_e32 v31, 0
	v_lshl_add_u64 v[2:3], v[30:31], 3, s[2:3]
	global_store_dwordx2 v[2:3], v[56:57], off
.LBB375_216:
	s_or_b64 exec, exec, s[0:1]
	v_cmp_lt_u32_e32 vcc, v28, v15
	v_and_b32_e32 v2, 1, v35
	s_or_b64 s[0:1], s[34:35], vcc
	v_cmp_eq_u32_e32 vcc, 1, v2
	s_and_b64 s[2:3], s[0:1], vcc
	s_and_saveexec_b64 s[0:1], s[2:3]
	s_cbranch_execz .LBB375_218
; %bb.217:
	s_lshl_b64 s[2:3], s[22:23], 3
	s_add_u32 s2, s30, s2
	s_addc_u32 s3, s31, s3
	v_mov_b32_e32 v29, 0
	v_lshl_add_u64 v[2:3], v[28:29], 3, s[2:3]
	global_store_dwordx2 v[2:3], v[58:59], off
.LBB375_218:
	s_or_b64 exec, exec, s[0:1]
	v_cmp_lt_u32_e32 vcc, v26, v15
	v_and_b32_e32 v2, 1, v34
	;; [unrolled: 16-line block ×4, first 2 shown]
	s_or_b64 s[0:1], s[34:35], vcc
	v_cmp_eq_u32_e32 vcc, 1, v2
	s_and_b64 s[2:3], s[0:1], vcc
	s_and_saveexec_b64 s[0:1], s[2:3]
	s_cbranch_execz .LBB375_224
; %bb.223:
	s_lshl_b64 s[2:3], s[22:23], 3
	s_add_u32 s2, s30, s2
	s_addc_u32 s3, s31, s3
	v_mov_b32_e32 v23, 0
	v_lshl_add_u64 v[2:3], v[22:23], 3, s[2:3]
	global_store_dwordx2 v[2:3], v[10:11], off
.LBB375_224:
	s_or_b64 exec, exec, s[0:1]
	s_branch .LBB375_212
.LBB375_225:
	v_cmp_eq_u32_e32 vcc, 1, v1
	s_and_saveexec_b64 s[0:1], vcc
; %bb.226:
	v_sub_u32_e32 v1, v30, v20
	v_lshlrev_b32_e32 v1, 3, v1
	ds_write_b64 v1, v[56:57]
; %bb.227:
	s_or_b64 exec, exec, s[0:1]
	v_and_b32_e32 v1, 1, v35
	v_cmp_eq_u32_e32 vcc, 1, v1
	s_and_saveexec_b64 s[0:1], vcc
; %bb.228:
	v_sub_u32_e32 v1, v28, v20
	v_lshlrev_b32_e32 v1, 3, v1
	ds_write_b64 v1, v[58:59]
; %bb.229:
	s_or_b64 exec, exec, s[0:1]
	v_and_b32_e32 v1, 1, v34
	;; [unrolled: 9-line block ×4, first 2 shown]
	v_cmp_eq_u32_e32 vcc, 1, v1
	s_and_saveexec_b64 s[0:1], vcc
; %bb.234:
	v_sub_u32_e32 v1, v22, v20
	v_lshlrev_b32_e32 v1, 3, v1
	ds_write_b64 v1, v[10:11]
; %bb.235:
	s_or_b64 exec, exec, s[0:1]
	v_mov_b32_e32 v1, 0
	v_mov_b32_e32 v21, v1
	v_lshlrev_b64 v[2:3], 3, v[20:21]
	v_lshl_add_u64 v[2:3], s[30:31], 0, v[2:3]
	s_lshl_b64 s[0:1], s[22:23], 3
	v_lshl_add_u64 v[2:3], v[2:3], 0, s[0:1]
	s_mov_b64 s[0:1], 0
	s_waitcnt lgkmcnt(0)
	s_barrier
.LBB375_236:                            ; =>This Inner Loop Header: Depth=1
	ds_read_b64 v[4:5], v32
	v_lshl_add_u64 v[6:7], v[0:1], 3, v[2:3]
	v_add_u32_e32 v0, 0x80, v0
	v_cmp_ge_u32_e32 vcc, v0, v18
	v_add_u32_e32 v32, 0x400, v32
	s_or_b64 s[0:1], vcc, s[0:1]
	s_waitcnt lgkmcnt(0)
	global_store_dwordx2 v[6:7], v[4:5], off
	s_andn2_b64 exec, exec, s[0:1]
	s_cbranch_execnz .LBB375_236
; %bb.237:
	s_or_b64 exec, exec, s[0:1]
	s_and_b64 s[0:1], s[18:19], s[24:25]
	s_and_saveexec_b64 s[2:3], s[0:1]
	s_cbranch_execz .LBB375_213
.LBB375_238:
	v_mov_b32_e32 v19, 0
	v_lshl_add_u64 v[0:1], s[22:23], 0, v[18:19]
	v_mov_b32_e32 v21, v19
	v_lshl_add_u64 v[0:1], v[0:1], 0, v[20:21]
	global_store_dwordx2 v19, v[0:1], s[20:21]
	s_endpgm
	.section	.rodata,"a",@progbits
	.p2align	6, 0x0
	.amdhsa_kernel _ZN7rocprim17ROCPRIM_400000_NS6detail17trampoline_kernelINS0_14default_configENS1_25partition_config_selectorILNS1_17partition_subalgoE9EllbEEZZNS1_14partition_implILS5_9ELb0ES3_jPlS8_PNS0_10empty_typeENS0_5tupleIJS8_S9_EEENSB_IJS8_SA_EEENS0_18inequality_wrapperIZN2at6native12_GLOBAL__N_124unique_dim_cuda_templateIaEESt5tupleIJNSF_6TensorESK_SK_EERKSK_lbbbEUlllE0_EEPmJS9_EEE10hipError_tPvRmT3_T4_T5_T6_T7_T9_mT8_P12ihipStream_tbDpT10_ENKUlT_T0_E_clISt17integral_constantIbLb0EES19_IbLb1EEEEDaS15_S16_EUlS15_E_NS1_11comp_targetILNS1_3genE0ELNS1_11target_archE4294967295ELNS1_3gpuE0ELNS1_3repE0EEENS1_30default_config_static_selectorELNS0_4arch9wavefront6targetE1EEEvT1_
		.amdhsa_group_segment_fixed_size 5128
		.amdhsa_private_segment_fixed_size 0
		.amdhsa_kernarg_size 136
		.amdhsa_user_sgpr_count 2
		.amdhsa_user_sgpr_dispatch_ptr 0
		.amdhsa_user_sgpr_queue_ptr 0
		.amdhsa_user_sgpr_kernarg_segment_ptr 1
		.amdhsa_user_sgpr_dispatch_id 0
		.amdhsa_user_sgpr_kernarg_preload_length 0
		.amdhsa_user_sgpr_kernarg_preload_offset 0
		.amdhsa_user_sgpr_private_segment_size 0
		.amdhsa_uses_dynamic_stack 0
		.amdhsa_enable_private_segment 0
		.amdhsa_system_sgpr_workgroup_id_x 1
		.amdhsa_system_sgpr_workgroup_id_y 0
		.amdhsa_system_sgpr_workgroup_id_z 0
		.amdhsa_system_sgpr_workgroup_info 0
		.amdhsa_system_vgpr_workitem_id 0
		.amdhsa_next_free_vgpr 60
		.amdhsa_next_free_sgpr 52
		.amdhsa_accum_offset 60
		.amdhsa_reserve_vcc 1
		.amdhsa_float_round_mode_32 0
		.amdhsa_float_round_mode_16_64 0
		.amdhsa_float_denorm_mode_32 3
		.amdhsa_float_denorm_mode_16_64 3
		.amdhsa_dx10_clamp 1
		.amdhsa_ieee_mode 1
		.amdhsa_fp16_overflow 0
		.amdhsa_tg_split 0
		.amdhsa_exception_fp_ieee_invalid_op 0
		.amdhsa_exception_fp_denorm_src 0
		.amdhsa_exception_fp_ieee_div_zero 0
		.amdhsa_exception_fp_ieee_overflow 0
		.amdhsa_exception_fp_ieee_underflow 0
		.amdhsa_exception_fp_ieee_inexact 0
		.amdhsa_exception_int_div_zero 0
	.end_amdhsa_kernel
	.section	.text._ZN7rocprim17ROCPRIM_400000_NS6detail17trampoline_kernelINS0_14default_configENS1_25partition_config_selectorILNS1_17partition_subalgoE9EllbEEZZNS1_14partition_implILS5_9ELb0ES3_jPlS8_PNS0_10empty_typeENS0_5tupleIJS8_S9_EEENSB_IJS8_SA_EEENS0_18inequality_wrapperIZN2at6native12_GLOBAL__N_124unique_dim_cuda_templateIaEESt5tupleIJNSF_6TensorESK_SK_EERKSK_lbbbEUlllE0_EEPmJS9_EEE10hipError_tPvRmT3_T4_T5_T6_T7_T9_mT8_P12ihipStream_tbDpT10_ENKUlT_T0_E_clISt17integral_constantIbLb0EES19_IbLb1EEEEDaS15_S16_EUlS15_E_NS1_11comp_targetILNS1_3genE0ELNS1_11target_archE4294967295ELNS1_3gpuE0ELNS1_3repE0EEENS1_30default_config_static_selectorELNS0_4arch9wavefront6targetE1EEEvT1_,"axG",@progbits,_ZN7rocprim17ROCPRIM_400000_NS6detail17trampoline_kernelINS0_14default_configENS1_25partition_config_selectorILNS1_17partition_subalgoE9EllbEEZZNS1_14partition_implILS5_9ELb0ES3_jPlS8_PNS0_10empty_typeENS0_5tupleIJS8_S9_EEENSB_IJS8_SA_EEENS0_18inequality_wrapperIZN2at6native12_GLOBAL__N_124unique_dim_cuda_templateIaEESt5tupleIJNSF_6TensorESK_SK_EERKSK_lbbbEUlllE0_EEPmJS9_EEE10hipError_tPvRmT3_T4_T5_T6_T7_T9_mT8_P12ihipStream_tbDpT10_ENKUlT_T0_E_clISt17integral_constantIbLb0EES19_IbLb1EEEEDaS15_S16_EUlS15_E_NS1_11comp_targetILNS1_3genE0ELNS1_11target_archE4294967295ELNS1_3gpuE0ELNS1_3repE0EEENS1_30default_config_static_selectorELNS0_4arch9wavefront6targetE1EEEvT1_,comdat
.Lfunc_end375:
	.size	_ZN7rocprim17ROCPRIM_400000_NS6detail17trampoline_kernelINS0_14default_configENS1_25partition_config_selectorILNS1_17partition_subalgoE9EllbEEZZNS1_14partition_implILS5_9ELb0ES3_jPlS8_PNS0_10empty_typeENS0_5tupleIJS8_S9_EEENSB_IJS8_SA_EEENS0_18inequality_wrapperIZN2at6native12_GLOBAL__N_124unique_dim_cuda_templateIaEESt5tupleIJNSF_6TensorESK_SK_EERKSK_lbbbEUlllE0_EEPmJS9_EEE10hipError_tPvRmT3_T4_T5_T6_T7_T9_mT8_P12ihipStream_tbDpT10_ENKUlT_T0_E_clISt17integral_constantIbLb0EES19_IbLb1EEEEDaS15_S16_EUlS15_E_NS1_11comp_targetILNS1_3genE0ELNS1_11target_archE4294967295ELNS1_3gpuE0ELNS1_3repE0EEENS1_30default_config_static_selectorELNS0_4arch9wavefront6targetE1EEEvT1_, .Lfunc_end375-_ZN7rocprim17ROCPRIM_400000_NS6detail17trampoline_kernelINS0_14default_configENS1_25partition_config_selectorILNS1_17partition_subalgoE9EllbEEZZNS1_14partition_implILS5_9ELb0ES3_jPlS8_PNS0_10empty_typeENS0_5tupleIJS8_S9_EEENSB_IJS8_SA_EEENS0_18inequality_wrapperIZN2at6native12_GLOBAL__N_124unique_dim_cuda_templateIaEESt5tupleIJNSF_6TensorESK_SK_EERKSK_lbbbEUlllE0_EEPmJS9_EEE10hipError_tPvRmT3_T4_T5_T6_T7_T9_mT8_P12ihipStream_tbDpT10_ENKUlT_T0_E_clISt17integral_constantIbLb0EES19_IbLb1EEEEDaS15_S16_EUlS15_E_NS1_11comp_targetILNS1_3genE0ELNS1_11target_archE4294967295ELNS1_3gpuE0ELNS1_3repE0EEENS1_30default_config_static_selectorELNS0_4arch9wavefront6targetE1EEEvT1_
                                        ; -- End function
	.set _ZN7rocprim17ROCPRIM_400000_NS6detail17trampoline_kernelINS0_14default_configENS1_25partition_config_selectorILNS1_17partition_subalgoE9EllbEEZZNS1_14partition_implILS5_9ELb0ES3_jPlS8_PNS0_10empty_typeENS0_5tupleIJS8_S9_EEENSB_IJS8_SA_EEENS0_18inequality_wrapperIZN2at6native12_GLOBAL__N_124unique_dim_cuda_templateIaEESt5tupleIJNSF_6TensorESK_SK_EERKSK_lbbbEUlllE0_EEPmJS9_EEE10hipError_tPvRmT3_T4_T5_T6_T7_T9_mT8_P12ihipStream_tbDpT10_ENKUlT_T0_E_clISt17integral_constantIbLb0EES19_IbLb1EEEEDaS15_S16_EUlS15_E_NS1_11comp_targetILNS1_3genE0ELNS1_11target_archE4294967295ELNS1_3gpuE0ELNS1_3repE0EEENS1_30default_config_static_selectorELNS0_4arch9wavefront6targetE1EEEvT1_.num_vgpr, 60
	.set _ZN7rocprim17ROCPRIM_400000_NS6detail17trampoline_kernelINS0_14default_configENS1_25partition_config_selectorILNS1_17partition_subalgoE9EllbEEZZNS1_14partition_implILS5_9ELb0ES3_jPlS8_PNS0_10empty_typeENS0_5tupleIJS8_S9_EEENSB_IJS8_SA_EEENS0_18inequality_wrapperIZN2at6native12_GLOBAL__N_124unique_dim_cuda_templateIaEESt5tupleIJNSF_6TensorESK_SK_EERKSK_lbbbEUlllE0_EEPmJS9_EEE10hipError_tPvRmT3_T4_T5_T6_T7_T9_mT8_P12ihipStream_tbDpT10_ENKUlT_T0_E_clISt17integral_constantIbLb0EES19_IbLb1EEEEDaS15_S16_EUlS15_E_NS1_11comp_targetILNS1_3genE0ELNS1_11target_archE4294967295ELNS1_3gpuE0ELNS1_3repE0EEENS1_30default_config_static_selectorELNS0_4arch9wavefront6targetE1EEEvT1_.num_agpr, 0
	.set _ZN7rocprim17ROCPRIM_400000_NS6detail17trampoline_kernelINS0_14default_configENS1_25partition_config_selectorILNS1_17partition_subalgoE9EllbEEZZNS1_14partition_implILS5_9ELb0ES3_jPlS8_PNS0_10empty_typeENS0_5tupleIJS8_S9_EEENSB_IJS8_SA_EEENS0_18inequality_wrapperIZN2at6native12_GLOBAL__N_124unique_dim_cuda_templateIaEESt5tupleIJNSF_6TensorESK_SK_EERKSK_lbbbEUlllE0_EEPmJS9_EEE10hipError_tPvRmT3_T4_T5_T6_T7_T9_mT8_P12ihipStream_tbDpT10_ENKUlT_T0_E_clISt17integral_constantIbLb0EES19_IbLb1EEEEDaS15_S16_EUlS15_E_NS1_11comp_targetILNS1_3genE0ELNS1_11target_archE4294967295ELNS1_3gpuE0ELNS1_3repE0EEENS1_30default_config_static_selectorELNS0_4arch9wavefront6targetE1EEEvT1_.numbered_sgpr, 52
	.set _ZN7rocprim17ROCPRIM_400000_NS6detail17trampoline_kernelINS0_14default_configENS1_25partition_config_selectorILNS1_17partition_subalgoE9EllbEEZZNS1_14partition_implILS5_9ELb0ES3_jPlS8_PNS0_10empty_typeENS0_5tupleIJS8_S9_EEENSB_IJS8_SA_EEENS0_18inequality_wrapperIZN2at6native12_GLOBAL__N_124unique_dim_cuda_templateIaEESt5tupleIJNSF_6TensorESK_SK_EERKSK_lbbbEUlllE0_EEPmJS9_EEE10hipError_tPvRmT3_T4_T5_T6_T7_T9_mT8_P12ihipStream_tbDpT10_ENKUlT_T0_E_clISt17integral_constantIbLb0EES19_IbLb1EEEEDaS15_S16_EUlS15_E_NS1_11comp_targetILNS1_3genE0ELNS1_11target_archE4294967295ELNS1_3gpuE0ELNS1_3repE0EEENS1_30default_config_static_selectorELNS0_4arch9wavefront6targetE1EEEvT1_.num_named_barrier, 0
	.set _ZN7rocprim17ROCPRIM_400000_NS6detail17trampoline_kernelINS0_14default_configENS1_25partition_config_selectorILNS1_17partition_subalgoE9EllbEEZZNS1_14partition_implILS5_9ELb0ES3_jPlS8_PNS0_10empty_typeENS0_5tupleIJS8_S9_EEENSB_IJS8_SA_EEENS0_18inequality_wrapperIZN2at6native12_GLOBAL__N_124unique_dim_cuda_templateIaEESt5tupleIJNSF_6TensorESK_SK_EERKSK_lbbbEUlllE0_EEPmJS9_EEE10hipError_tPvRmT3_T4_T5_T6_T7_T9_mT8_P12ihipStream_tbDpT10_ENKUlT_T0_E_clISt17integral_constantIbLb0EES19_IbLb1EEEEDaS15_S16_EUlS15_E_NS1_11comp_targetILNS1_3genE0ELNS1_11target_archE4294967295ELNS1_3gpuE0ELNS1_3repE0EEENS1_30default_config_static_selectorELNS0_4arch9wavefront6targetE1EEEvT1_.private_seg_size, 0
	.set _ZN7rocprim17ROCPRIM_400000_NS6detail17trampoline_kernelINS0_14default_configENS1_25partition_config_selectorILNS1_17partition_subalgoE9EllbEEZZNS1_14partition_implILS5_9ELb0ES3_jPlS8_PNS0_10empty_typeENS0_5tupleIJS8_S9_EEENSB_IJS8_SA_EEENS0_18inequality_wrapperIZN2at6native12_GLOBAL__N_124unique_dim_cuda_templateIaEESt5tupleIJNSF_6TensorESK_SK_EERKSK_lbbbEUlllE0_EEPmJS9_EEE10hipError_tPvRmT3_T4_T5_T6_T7_T9_mT8_P12ihipStream_tbDpT10_ENKUlT_T0_E_clISt17integral_constantIbLb0EES19_IbLb1EEEEDaS15_S16_EUlS15_E_NS1_11comp_targetILNS1_3genE0ELNS1_11target_archE4294967295ELNS1_3gpuE0ELNS1_3repE0EEENS1_30default_config_static_selectorELNS0_4arch9wavefront6targetE1EEEvT1_.uses_vcc, 1
	.set _ZN7rocprim17ROCPRIM_400000_NS6detail17trampoline_kernelINS0_14default_configENS1_25partition_config_selectorILNS1_17partition_subalgoE9EllbEEZZNS1_14partition_implILS5_9ELb0ES3_jPlS8_PNS0_10empty_typeENS0_5tupleIJS8_S9_EEENSB_IJS8_SA_EEENS0_18inequality_wrapperIZN2at6native12_GLOBAL__N_124unique_dim_cuda_templateIaEESt5tupleIJNSF_6TensorESK_SK_EERKSK_lbbbEUlllE0_EEPmJS9_EEE10hipError_tPvRmT3_T4_T5_T6_T7_T9_mT8_P12ihipStream_tbDpT10_ENKUlT_T0_E_clISt17integral_constantIbLb0EES19_IbLb1EEEEDaS15_S16_EUlS15_E_NS1_11comp_targetILNS1_3genE0ELNS1_11target_archE4294967295ELNS1_3gpuE0ELNS1_3repE0EEENS1_30default_config_static_selectorELNS0_4arch9wavefront6targetE1EEEvT1_.uses_flat_scratch, 0
	.set _ZN7rocprim17ROCPRIM_400000_NS6detail17trampoline_kernelINS0_14default_configENS1_25partition_config_selectorILNS1_17partition_subalgoE9EllbEEZZNS1_14partition_implILS5_9ELb0ES3_jPlS8_PNS0_10empty_typeENS0_5tupleIJS8_S9_EEENSB_IJS8_SA_EEENS0_18inequality_wrapperIZN2at6native12_GLOBAL__N_124unique_dim_cuda_templateIaEESt5tupleIJNSF_6TensorESK_SK_EERKSK_lbbbEUlllE0_EEPmJS9_EEE10hipError_tPvRmT3_T4_T5_T6_T7_T9_mT8_P12ihipStream_tbDpT10_ENKUlT_T0_E_clISt17integral_constantIbLb0EES19_IbLb1EEEEDaS15_S16_EUlS15_E_NS1_11comp_targetILNS1_3genE0ELNS1_11target_archE4294967295ELNS1_3gpuE0ELNS1_3repE0EEENS1_30default_config_static_selectorELNS0_4arch9wavefront6targetE1EEEvT1_.has_dyn_sized_stack, 0
	.set _ZN7rocprim17ROCPRIM_400000_NS6detail17trampoline_kernelINS0_14default_configENS1_25partition_config_selectorILNS1_17partition_subalgoE9EllbEEZZNS1_14partition_implILS5_9ELb0ES3_jPlS8_PNS0_10empty_typeENS0_5tupleIJS8_S9_EEENSB_IJS8_SA_EEENS0_18inequality_wrapperIZN2at6native12_GLOBAL__N_124unique_dim_cuda_templateIaEESt5tupleIJNSF_6TensorESK_SK_EERKSK_lbbbEUlllE0_EEPmJS9_EEE10hipError_tPvRmT3_T4_T5_T6_T7_T9_mT8_P12ihipStream_tbDpT10_ENKUlT_T0_E_clISt17integral_constantIbLb0EES19_IbLb1EEEEDaS15_S16_EUlS15_E_NS1_11comp_targetILNS1_3genE0ELNS1_11target_archE4294967295ELNS1_3gpuE0ELNS1_3repE0EEENS1_30default_config_static_selectorELNS0_4arch9wavefront6targetE1EEEvT1_.has_recursion, 0
	.set _ZN7rocprim17ROCPRIM_400000_NS6detail17trampoline_kernelINS0_14default_configENS1_25partition_config_selectorILNS1_17partition_subalgoE9EllbEEZZNS1_14partition_implILS5_9ELb0ES3_jPlS8_PNS0_10empty_typeENS0_5tupleIJS8_S9_EEENSB_IJS8_SA_EEENS0_18inequality_wrapperIZN2at6native12_GLOBAL__N_124unique_dim_cuda_templateIaEESt5tupleIJNSF_6TensorESK_SK_EERKSK_lbbbEUlllE0_EEPmJS9_EEE10hipError_tPvRmT3_T4_T5_T6_T7_T9_mT8_P12ihipStream_tbDpT10_ENKUlT_T0_E_clISt17integral_constantIbLb0EES19_IbLb1EEEEDaS15_S16_EUlS15_E_NS1_11comp_targetILNS1_3genE0ELNS1_11target_archE4294967295ELNS1_3gpuE0ELNS1_3repE0EEENS1_30default_config_static_selectorELNS0_4arch9wavefront6targetE1EEEvT1_.has_indirect_call, 0
	.section	.AMDGPU.csdata,"",@progbits
; Kernel info:
; codeLenInByte = 9416
; TotalNumSgprs: 58
; NumVgprs: 60
; NumAgprs: 0
; TotalNumVgprs: 60
; ScratchSize: 0
; MemoryBound: 0
; FloatMode: 240
; IeeeMode: 1
; LDSByteSize: 5128 bytes/workgroup (compile time only)
; SGPRBlocks: 7
; VGPRBlocks: 7
; NumSGPRsForWavesPerEU: 58
; NumVGPRsForWavesPerEU: 60
; AccumOffset: 60
; Occupancy: 8
; WaveLimiterHint : 1
; COMPUTE_PGM_RSRC2:SCRATCH_EN: 0
; COMPUTE_PGM_RSRC2:USER_SGPR: 2
; COMPUTE_PGM_RSRC2:TRAP_HANDLER: 0
; COMPUTE_PGM_RSRC2:TGID_X_EN: 1
; COMPUTE_PGM_RSRC2:TGID_Y_EN: 0
; COMPUTE_PGM_RSRC2:TGID_Z_EN: 0
; COMPUTE_PGM_RSRC2:TIDIG_COMP_CNT: 0
; COMPUTE_PGM_RSRC3_GFX90A:ACCUM_OFFSET: 14
; COMPUTE_PGM_RSRC3_GFX90A:TG_SPLIT: 0
	.section	.text._ZN7rocprim17ROCPRIM_400000_NS6detail17trampoline_kernelINS0_14default_configENS1_25partition_config_selectorILNS1_17partition_subalgoE9EllbEEZZNS1_14partition_implILS5_9ELb0ES3_jPlS8_PNS0_10empty_typeENS0_5tupleIJS8_S9_EEENSB_IJS8_SA_EEENS0_18inequality_wrapperIZN2at6native12_GLOBAL__N_124unique_dim_cuda_templateIaEESt5tupleIJNSF_6TensorESK_SK_EERKSK_lbbbEUlllE0_EEPmJS9_EEE10hipError_tPvRmT3_T4_T5_T6_T7_T9_mT8_P12ihipStream_tbDpT10_ENKUlT_T0_E_clISt17integral_constantIbLb0EES19_IbLb1EEEEDaS15_S16_EUlS15_E_NS1_11comp_targetILNS1_3genE5ELNS1_11target_archE942ELNS1_3gpuE9ELNS1_3repE0EEENS1_30default_config_static_selectorELNS0_4arch9wavefront6targetE1EEEvT1_,"axG",@progbits,_ZN7rocprim17ROCPRIM_400000_NS6detail17trampoline_kernelINS0_14default_configENS1_25partition_config_selectorILNS1_17partition_subalgoE9EllbEEZZNS1_14partition_implILS5_9ELb0ES3_jPlS8_PNS0_10empty_typeENS0_5tupleIJS8_S9_EEENSB_IJS8_SA_EEENS0_18inequality_wrapperIZN2at6native12_GLOBAL__N_124unique_dim_cuda_templateIaEESt5tupleIJNSF_6TensorESK_SK_EERKSK_lbbbEUlllE0_EEPmJS9_EEE10hipError_tPvRmT3_T4_T5_T6_T7_T9_mT8_P12ihipStream_tbDpT10_ENKUlT_T0_E_clISt17integral_constantIbLb0EES19_IbLb1EEEEDaS15_S16_EUlS15_E_NS1_11comp_targetILNS1_3genE5ELNS1_11target_archE942ELNS1_3gpuE9ELNS1_3repE0EEENS1_30default_config_static_selectorELNS0_4arch9wavefront6targetE1EEEvT1_,comdat
	.globl	_ZN7rocprim17ROCPRIM_400000_NS6detail17trampoline_kernelINS0_14default_configENS1_25partition_config_selectorILNS1_17partition_subalgoE9EllbEEZZNS1_14partition_implILS5_9ELb0ES3_jPlS8_PNS0_10empty_typeENS0_5tupleIJS8_S9_EEENSB_IJS8_SA_EEENS0_18inequality_wrapperIZN2at6native12_GLOBAL__N_124unique_dim_cuda_templateIaEESt5tupleIJNSF_6TensorESK_SK_EERKSK_lbbbEUlllE0_EEPmJS9_EEE10hipError_tPvRmT3_T4_T5_T6_T7_T9_mT8_P12ihipStream_tbDpT10_ENKUlT_T0_E_clISt17integral_constantIbLb0EES19_IbLb1EEEEDaS15_S16_EUlS15_E_NS1_11comp_targetILNS1_3genE5ELNS1_11target_archE942ELNS1_3gpuE9ELNS1_3repE0EEENS1_30default_config_static_selectorELNS0_4arch9wavefront6targetE1EEEvT1_ ; -- Begin function _ZN7rocprim17ROCPRIM_400000_NS6detail17trampoline_kernelINS0_14default_configENS1_25partition_config_selectorILNS1_17partition_subalgoE9EllbEEZZNS1_14partition_implILS5_9ELb0ES3_jPlS8_PNS0_10empty_typeENS0_5tupleIJS8_S9_EEENSB_IJS8_SA_EEENS0_18inequality_wrapperIZN2at6native12_GLOBAL__N_124unique_dim_cuda_templateIaEESt5tupleIJNSF_6TensorESK_SK_EERKSK_lbbbEUlllE0_EEPmJS9_EEE10hipError_tPvRmT3_T4_T5_T6_T7_T9_mT8_P12ihipStream_tbDpT10_ENKUlT_T0_E_clISt17integral_constantIbLb0EES19_IbLb1EEEEDaS15_S16_EUlS15_E_NS1_11comp_targetILNS1_3genE5ELNS1_11target_archE942ELNS1_3gpuE9ELNS1_3repE0EEENS1_30default_config_static_selectorELNS0_4arch9wavefront6targetE1EEEvT1_
	.p2align	8
	.type	_ZN7rocprim17ROCPRIM_400000_NS6detail17trampoline_kernelINS0_14default_configENS1_25partition_config_selectorILNS1_17partition_subalgoE9EllbEEZZNS1_14partition_implILS5_9ELb0ES3_jPlS8_PNS0_10empty_typeENS0_5tupleIJS8_S9_EEENSB_IJS8_SA_EEENS0_18inequality_wrapperIZN2at6native12_GLOBAL__N_124unique_dim_cuda_templateIaEESt5tupleIJNSF_6TensorESK_SK_EERKSK_lbbbEUlllE0_EEPmJS9_EEE10hipError_tPvRmT3_T4_T5_T6_T7_T9_mT8_P12ihipStream_tbDpT10_ENKUlT_T0_E_clISt17integral_constantIbLb0EES19_IbLb1EEEEDaS15_S16_EUlS15_E_NS1_11comp_targetILNS1_3genE5ELNS1_11target_archE942ELNS1_3gpuE9ELNS1_3repE0EEENS1_30default_config_static_selectorELNS0_4arch9wavefront6targetE1EEEvT1_,@function
_ZN7rocprim17ROCPRIM_400000_NS6detail17trampoline_kernelINS0_14default_configENS1_25partition_config_selectorILNS1_17partition_subalgoE9EllbEEZZNS1_14partition_implILS5_9ELb0ES3_jPlS8_PNS0_10empty_typeENS0_5tupleIJS8_S9_EEENSB_IJS8_SA_EEENS0_18inequality_wrapperIZN2at6native12_GLOBAL__N_124unique_dim_cuda_templateIaEESt5tupleIJNSF_6TensorESK_SK_EERKSK_lbbbEUlllE0_EEPmJS9_EEE10hipError_tPvRmT3_T4_T5_T6_T7_T9_mT8_P12ihipStream_tbDpT10_ENKUlT_T0_E_clISt17integral_constantIbLb0EES19_IbLb1EEEEDaS15_S16_EUlS15_E_NS1_11comp_targetILNS1_3genE5ELNS1_11target_archE942ELNS1_3gpuE9ELNS1_3repE0EEENS1_30default_config_static_selectorELNS0_4arch9wavefront6targetE1EEEvT1_: ; @_ZN7rocprim17ROCPRIM_400000_NS6detail17trampoline_kernelINS0_14default_configENS1_25partition_config_selectorILNS1_17partition_subalgoE9EllbEEZZNS1_14partition_implILS5_9ELb0ES3_jPlS8_PNS0_10empty_typeENS0_5tupleIJS8_S9_EEENSB_IJS8_SA_EEENS0_18inequality_wrapperIZN2at6native12_GLOBAL__N_124unique_dim_cuda_templateIaEESt5tupleIJNSF_6TensorESK_SK_EERKSK_lbbbEUlllE0_EEPmJS9_EEE10hipError_tPvRmT3_T4_T5_T6_T7_T9_mT8_P12ihipStream_tbDpT10_ENKUlT_T0_E_clISt17integral_constantIbLb0EES19_IbLb1EEEEDaS15_S16_EUlS15_E_NS1_11comp_targetILNS1_3genE5ELNS1_11target_archE942ELNS1_3gpuE9ELNS1_3repE0EEENS1_30default_config_static_selectorELNS0_4arch9wavefront6targetE1EEEvT1_
; %bb.0:
	.section	.rodata,"a",@progbits
	.p2align	6, 0x0
	.amdhsa_kernel _ZN7rocprim17ROCPRIM_400000_NS6detail17trampoline_kernelINS0_14default_configENS1_25partition_config_selectorILNS1_17partition_subalgoE9EllbEEZZNS1_14partition_implILS5_9ELb0ES3_jPlS8_PNS0_10empty_typeENS0_5tupleIJS8_S9_EEENSB_IJS8_SA_EEENS0_18inequality_wrapperIZN2at6native12_GLOBAL__N_124unique_dim_cuda_templateIaEESt5tupleIJNSF_6TensorESK_SK_EERKSK_lbbbEUlllE0_EEPmJS9_EEE10hipError_tPvRmT3_T4_T5_T6_T7_T9_mT8_P12ihipStream_tbDpT10_ENKUlT_T0_E_clISt17integral_constantIbLb0EES19_IbLb1EEEEDaS15_S16_EUlS15_E_NS1_11comp_targetILNS1_3genE5ELNS1_11target_archE942ELNS1_3gpuE9ELNS1_3repE0EEENS1_30default_config_static_selectorELNS0_4arch9wavefront6targetE1EEEvT1_
		.amdhsa_group_segment_fixed_size 0
		.amdhsa_private_segment_fixed_size 0
		.amdhsa_kernarg_size 136
		.amdhsa_user_sgpr_count 2
		.amdhsa_user_sgpr_dispatch_ptr 0
		.amdhsa_user_sgpr_queue_ptr 0
		.amdhsa_user_sgpr_kernarg_segment_ptr 1
		.amdhsa_user_sgpr_dispatch_id 0
		.amdhsa_user_sgpr_kernarg_preload_length 0
		.amdhsa_user_sgpr_kernarg_preload_offset 0
		.amdhsa_user_sgpr_private_segment_size 0
		.amdhsa_uses_dynamic_stack 0
		.amdhsa_enable_private_segment 0
		.amdhsa_system_sgpr_workgroup_id_x 1
		.amdhsa_system_sgpr_workgroup_id_y 0
		.amdhsa_system_sgpr_workgroup_id_z 0
		.amdhsa_system_sgpr_workgroup_info 0
		.amdhsa_system_vgpr_workitem_id 0
		.amdhsa_next_free_vgpr 1
		.amdhsa_next_free_sgpr 0
		.amdhsa_accum_offset 4
		.amdhsa_reserve_vcc 0
		.amdhsa_float_round_mode_32 0
		.amdhsa_float_round_mode_16_64 0
		.amdhsa_float_denorm_mode_32 3
		.amdhsa_float_denorm_mode_16_64 3
		.amdhsa_dx10_clamp 1
		.amdhsa_ieee_mode 1
		.amdhsa_fp16_overflow 0
		.amdhsa_tg_split 0
		.amdhsa_exception_fp_ieee_invalid_op 0
		.amdhsa_exception_fp_denorm_src 0
		.amdhsa_exception_fp_ieee_div_zero 0
		.amdhsa_exception_fp_ieee_overflow 0
		.amdhsa_exception_fp_ieee_underflow 0
		.amdhsa_exception_fp_ieee_inexact 0
		.amdhsa_exception_int_div_zero 0
	.end_amdhsa_kernel
	.section	.text._ZN7rocprim17ROCPRIM_400000_NS6detail17trampoline_kernelINS0_14default_configENS1_25partition_config_selectorILNS1_17partition_subalgoE9EllbEEZZNS1_14partition_implILS5_9ELb0ES3_jPlS8_PNS0_10empty_typeENS0_5tupleIJS8_S9_EEENSB_IJS8_SA_EEENS0_18inequality_wrapperIZN2at6native12_GLOBAL__N_124unique_dim_cuda_templateIaEESt5tupleIJNSF_6TensorESK_SK_EERKSK_lbbbEUlllE0_EEPmJS9_EEE10hipError_tPvRmT3_T4_T5_T6_T7_T9_mT8_P12ihipStream_tbDpT10_ENKUlT_T0_E_clISt17integral_constantIbLb0EES19_IbLb1EEEEDaS15_S16_EUlS15_E_NS1_11comp_targetILNS1_3genE5ELNS1_11target_archE942ELNS1_3gpuE9ELNS1_3repE0EEENS1_30default_config_static_selectorELNS0_4arch9wavefront6targetE1EEEvT1_,"axG",@progbits,_ZN7rocprim17ROCPRIM_400000_NS6detail17trampoline_kernelINS0_14default_configENS1_25partition_config_selectorILNS1_17partition_subalgoE9EllbEEZZNS1_14partition_implILS5_9ELb0ES3_jPlS8_PNS0_10empty_typeENS0_5tupleIJS8_S9_EEENSB_IJS8_SA_EEENS0_18inequality_wrapperIZN2at6native12_GLOBAL__N_124unique_dim_cuda_templateIaEESt5tupleIJNSF_6TensorESK_SK_EERKSK_lbbbEUlllE0_EEPmJS9_EEE10hipError_tPvRmT3_T4_T5_T6_T7_T9_mT8_P12ihipStream_tbDpT10_ENKUlT_T0_E_clISt17integral_constantIbLb0EES19_IbLb1EEEEDaS15_S16_EUlS15_E_NS1_11comp_targetILNS1_3genE5ELNS1_11target_archE942ELNS1_3gpuE9ELNS1_3repE0EEENS1_30default_config_static_selectorELNS0_4arch9wavefront6targetE1EEEvT1_,comdat
.Lfunc_end376:
	.size	_ZN7rocprim17ROCPRIM_400000_NS6detail17trampoline_kernelINS0_14default_configENS1_25partition_config_selectorILNS1_17partition_subalgoE9EllbEEZZNS1_14partition_implILS5_9ELb0ES3_jPlS8_PNS0_10empty_typeENS0_5tupleIJS8_S9_EEENSB_IJS8_SA_EEENS0_18inequality_wrapperIZN2at6native12_GLOBAL__N_124unique_dim_cuda_templateIaEESt5tupleIJNSF_6TensorESK_SK_EERKSK_lbbbEUlllE0_EEPmJS9_EEE10hipError_tPvRmT3_T4_T5_T6_T7_T9_mT8_P12ihipStream_tbDpT10_ENKUlT_T0_E_clISt17integral_constantIbLb0EES19_IbLb1EEEEDaS15_S16_EUlS15_E_NS1_11comp_targetILNS1_3genE5ELNS1_11target_archE942ELNS1_3gpuE9ELNS1_3repE0EEENS1_30default_config_static_selectorELNS0_4arch9wavefront6targetE1EEEvT1_, .Lfunc_end376-_ZN7rocprim17ROCPRIM_400000_NS6detail17trampoline_kernelINS0_14default_configENS1_25partition_config_selectorILNS1_17partition_subalgoE9EllbEEZZNS1_14partition_implILS5_9ELb0ES3_jPlS8_PNS0_10empty_typeENS0_5tupleIJS8_S9_EEENSB_IJS8_SA_EEENS0_18inequality_wrapperIZN2at6native12_GLOBAL__N_124unique_dim_cuda_templateIaEESt5tupleIJNSF_6TensorESK_SK_EERKSK_lbbbEUlllE0_EEPmJS9_EEE10hipError_tPvRmT3_T4_T5_T6_T7_T9_mT8_P12ihipStream_tbDpT10_ENKUlT_T0_E_clISt17integral_constantIbLb0EES19_IbLb1EEEEDaS15_S16_EUlS15_E_NS1_11comp_targetILNS1_3genE5ELNS1_11target_archE942ELNS1_3gpuE9ELNS1_3repE0EEENS1_30default_config_static_selectorELNS0_4arch9wavefront6targetE1EEEvT1_
                                        ; -- End function
	.set _ZN7rocprim17ROCPRIM_400000_NS6detail17trampoline_kernelINS0_14default_configENS1_25partition_config_selectorILNS1_17partition_subalgoE9EllbEEZZNS1_14partition_implILS5_9ELb0ES3_jPlS8_PNS0_10empty_typeENS0_5tupleIJS8_S9_EEENSB_IJS8_SA_EEENS0_18inequality_wrapperIZN2at6native12_GLOBAL__N_124unique_dim_cuda_templateIaEESt5tupleIJNSF_6TensorESK_SK_EERKSK_lbbbEUlllE0_EEPmJS9_EEE10hipError_tPvRmT3_T4_T5_T6_T7_T9_mT8_P12ihipStream_tbDpT10_ENKUlT_T0_E_clISt17integral_constantIbLb0EES19_IbLb1EEEEDaS15_S16_EUlS15_E_NS1_11comp_targetILNS1_3genE5ELNS1_11target_archE942ELNS1_3gpuE9ELNS1_3repE0EEENS1_30default_config_static_selectorELNS0_4arch9wavefront6targetE1EEEvT1_.num_vgpr, 0
	.set _ZN7rocprim17ROCPRIM_400000_NS6detail17trampoline_kernelINS0_14default_configENS1_25partition_config_selectorILNS1_17partition_subalgoE9EllbEEZZNS1_14partition_implILS5_9ELb0ES3_jPlS8_PNS0_10empty_typeENS0_5tupleIJS8_S9_EEENSB_IJS8_SA_EEENS0_18inequality_wrapperIZN2at6native12_GLOBAL__N_124unique_dim_cuda_templateIaEESt5tupleIJNSF_6TensorESK_SK_EERKSK_lbbbEUlllE0_EEPmJS9_EEE10hipError_tPvRmT3_T4_T5_T6_T7_T9_mT8_P12ihipStream_tbDpT10_ENKUlT_T0_E_clISt17integral_constantIbLb0EES19_IbLb1EEEEDaS15_S16_EUlS15_E_NS1_11comp_targetILNS1_3genE5ELNS1_11target_archE942ELNS1_3gpuE9ELNS1_3repE0EEENS1_30default_config_static_selectorELNS0_4arch9wavefront6targetE1EEEvT1_.num_agpr, 0
	.set _ZN7rocprim17ROCPRIM_400000_NS6detail17trampoline_kernelINS0_14default_configENS1_25partition_config_selectorILNS1_17partition_subalgoE9EllbEEZZNS1_14partition_implILS5_9ELb0ES3_jPlS8_PNS0_10empty_typeENS0_5tupleIJS8_S9_EEENSB_IJS8_SA_EEENS0_18inequality_wrapperIZN2at6native12_GLOBAL__N_124unique_dim_cuda_templateIaEESt5tupleIJNSF_6TensorESK_SK_EERKSK_lbbbEUlllE0_EEPmJS9_EEE10hipError_tPvRmT3_T4_T5_T6_T7_T9_mT8_P12ihipStream_tbDpT10_ENKUlT_T0_E_clISt17integral_constantIbLb0EES19_IbLb1EEEEDaS15_S16_EUlS15_E_NS1_11comp_targetILNS1_3genE5ELNS1_11target_archE942ELNS1_3gpuE9ELNS1_3repE0EEENS1_30default_config_static_selectorELNS0_4arch9wavefront6targetE1EEEvT1_.numbered_sgpr, 0
	.set _ZN7rocprim17ROCPRIM_400000_NS6detail17trampoline_kernelINS0_14default_configENS1_25partition_config_selectorILNS1_17partition_subalgoE9EllbEEZZNS1_14partition_implILS5_9ELb0ES3_jPlS8_PNS0_10empty_typeENS0_5tupleIJS8_S9_EEENSB_IJS8_SA_EEENS0_18inequality_wrapperIZN2at6native12_GLOBAL__N_124unique_dim_cuda_templateIaEESt5tupleIJNSF_6TensorESK_SK_EERKSK_lbbbEUlllE0_EEPmJS9_EEE10hipError_tPvRmT3_T4_T5_T6_T7_T9_mT8_P12ihipStream_tbDpT10_ENKUlT_T0_E_clISt17integral_constantIbLb0EES19_IbLb1EEEEDaS15_S16_EUlS15_E_NS1_11comp_targetILNS1_3genE5ELNS1_11target_archE942ELNS1_3gpuE9ELNS1_3repE0EEENS1_30default_config_static_selectorELNS0_4arch9wavefront6targetE1EEEvT1_.num_named_barrier, 0
	.set _ZN7rocprim17ROCPRIM_400000_NS6detail17trampoline_kernelINS0_14default_configENS1_25partition_config_selectorILNS1_17partition_subalgoE9EllbEEZZNS1_14partition_implILS5_9ELb0ES3_jPlS8_PNS0_10empty_typeENS0_5tupleIJS8_S9_EEENSB_IJS8_SA_EEENS0_18inequality_wrapperIZN2at6native12_GLOBAL__N_124unique_dim_cuda_templateIaEESt5tupleIJNSF_6TensorESK_SK_EERKSK_lbbbEUlllE0_EEPmJS9_EEE10hipError_tPvRmT3_T4_T5_T6_T7_T9_mT8_P12ihipStream_tbDpT10_ENKUlT_T0_E_clISt17integral_constantIbLb0EES19_IbLb1EEEEDaS15_S16_EUlS15_E_NS1_11comp_targetILNS1_3genE5ELNS1_11target_archE942ELNS1_3gpuE9ELNS1_3repE0EEENS1_30default_config_static_selectorELNS0_4arch9wavefront6targetE1EEEvT1_.private_seg_size, 0
	.set _ZN7rocprim17ROCPRIM_400000_NS6detail17trampoline_kernelINS0_14default_configENS1_25partition_config_selectorILNS1_17partition_subalgoE9EllbEEZZNS1_14partition_implILS5_9ELb0ES3_jPlS8_PNS0_10empty_typeENS0_5tupleIJS8_S9_EEENSB_IJS8_SA_EEENS0_18inequality_wrapperIZN2at6native12_GLOBAL__N_124unique_dim_cuda_templateIaEESt5tupleIJNSF_6TensorESK_SK_EERKSK_lbbbEUlllE0_EEPmJS9_EEE10hipError_tPvRmT3_T4_T5_T6_T7_T9_mT8_P12ihipStream_tbDpT10_ENKUlT_T0_E_clISt17integral_constantIbLb0EES19_IbLb1EEEEDaS15_S16_EUlS15_E_NS1_11comp_targetILNS1_3genE5ELNS1_11target_archE942ELNS1_3gpuE9ELNS1_3repE0EEENS1_30default_config_static_selectorELNS0_4arch9wavefront6targetE1EEEvT1_.uses_vcc, 0
	.set _ZN7rocprim17ROCPRIM_400000_NS6detail17trampoline_kernelINS0_14default_configENS1_25partition_config_selectorILNS1_17partition_subalgoE9EllbEEZZNS1_14partition_implILS5_9ELb0ES3_jPlS8_PNS0_10empty_typeENS0_5tupleIJS8_S9_EEENSB_IJS8_SA_EEENS0_18inequality_wrapperIZN2at6native12_GLOBAL__N_124unique_dim_cuda_templateIaEESt5tupleIJNSF_6TensorESK_SK_EERKSK_lbbbEUlllE0_EEPmJS9_EEE10hipError_tPvRmT3_T4_T5_T6_T7_T9_mT8_P12ihipStream_tbDpT10_ENKUlT_T0_E_clISt17integral_constantIbLb0EES19_IbLb1EEEEDaS15_S16_EUlS15_E_NS1_11comp_targetILNS1_3genE5ELNS1_11target_archE942ELNS1_3gpuE9ELNS1_3repE0EEENS1_30default_config_static_selectorELNS0_4arch9wavefront6targetE1EEEvT1_.uses_flat_scratch, 0
	.set _ZN7rocprim17ROCPRIM_400000_NS6detail17trampoline_kernelINS0_14default_configENS1_25partition_config_selectorILNS1_17partition_subalgoE9EllbEEZZNS1_14partition_implILS5_9ELb0ES3_jPlS8_PNS0_10empty_typeENS0_5tupleIJS8_S9_EEENSB_IJS8_SA_EEENS0_18inequality_wrapperIZN2at6native12_GLOBAL__N_124unique_dim_cuda_templateIaEESt5tupleIJNSF_6TensorESK_SK_EERKSK_lbbbEUlllE0_EEPmJS9_EEE10hipError_tPvRmT3_T4_T5_T6_T7_T9_mT8_P12ihipStream_tbDpT10_ENKUlT_T0_E_clISt17integral_constantIbLb0EES19_IbLb1EEEEDaS15_S16_EUlS15_E_NS1_11comp_targetILNS1_3genE5ELNS1_11target_archE942ELNS1_3gpuE9ELNS1_3repE0EEENS1_30default_config_static_selectorELNS0_4arch9wavefront6targetE1EEEvT1_.has_dyn_sized_stack, 0
	.set _ZN7rocprim17ROCPRIM_400000_NS6detail17trampoline_kernelINS0_14default_configENS1_25partition_config_selectorILNS1_17partition_subalgoE9EllbEEZZNS1_14partition_implILS5_9ELb0ES3_jPlS8_PNS0_10empty_typeENS0_5tupleIJS8_S9_EEENSB_IJS8_SA_EEENS0_18inequality_wrapperIZN2at6native12_GLOBAL__N_124unique_dim_cuda_templateIaEESt5tupleIJNSF_6TensorESK_SK_EERKSK_lbbbEUlllE0_EEPmJS9_EEE10hipError_tPvRmT3_T4_T5_T6_T7_T9_mT8_P12ihipStream_tbDpT10_ENKUlT_T0_E_clISt17integral_constantIbLb0EES19_IbLb1EEEEDaS15_S16_EUlS15_E_NS1_11comp_targetILNS1_3genE5ELNS1_11target_archE942ELNS1_3gpuE9ELNS1_3repE0EEENS1_30default_config_static_selectorELNS0_4arch9wavefront6targetE1EEEvT1_.has_recursion, 0
	.set _ZN7rocprim17ROCPRIM_400000_NS6detail17trampoline_kernelINS0_14default_configENS1_25partition_config_selectorILNS1_17partition_subalgoE9EllbEEZZNS1_14partition_implILS5_9ELb0ES3_jPlS8_PNS0_10empty_typeENS0_5tupleIJS8_S9_EEENSB_IJS8_SA_EEENS0_18inequality_wrapperIZN2at6native12_GLOBAL__N_124unique_dim_cuda_templateIaEESt5tupleIJNSF_6TensorESK_SK_EERKSK_lbbbEUlllE0_EEPmJS9_EEE10hipError_tPvRmT3_T4_T5_T6_T7_T9_mT8_P12ihipStream_tbDpT10_ENKUlT_T0_E_clISt17integral_constantIbLb0EES19_IbLb1EEEEDaS15_S16_EUlS15_E_NS1_11comp_targetILNS1_3genE5ELNS1_11target_archE942ELNS1_3gpuE9ELNS1_3repE0EEENS1_30default_config_static_selectorELNS0_4arch9wavefront6targetE1EEEvT1_.has_indirect_call, 0
	.section	.AMDGPU.csdata,"",@progbits
; Kernel info:
; codeLenInByte = 0
; TotalNumSgprs: 6
; NumVgprs: 0
; NumAgprs: 0
; TotalNumVgprs: 0
; ScratchSize: 0
; MemoryBound: 0
; FloatMode: 240
; IeeeMode: 1
; LDSByteSize: 0 bytes/workgroup (compile time only)
; SGPRBlocks: 0
; VGPRBlocks: 0
; NumSGPRsForWavesPerEU: 6
; NumVGPRsForWavesPerEU: 1
; AccumOffset: 4
; Occupancy: 8
; WaveLimiterHint : 0
; COMPUTE_PGM_RSRC2:SCRATCH_EN: 0
; COMPUTE_PGM_RSRC2:USER_SGPR: 2
; COMPUTE_PGM_RSRC2:TRAP_HANDLER: 0
; COMPUTE_PGM_RSRC2:TGID_X_EN: 1
; COMPUTE_PGM_RSRC2:TGID_Y_EN: 0
; COMPUTE_PGM_RSRC2:TGID_Z_EN: 0
; COMPUTE_PGM_RSRC2:TIDIG_COMP_CNT: 0
; COMPUTE_PGM_RSRC3_GFX90A:ACCUM_OFFSET: 0
; COMPUTE_PGM_RSRC3_GFX90A:TG_SPLIT: 0
	.section	.text._ZN7rocprim17ROCPRIM_400000_NS6detail17trampoline_kernelINS0_14default_configENS1_25partition_config_selectorILNS1_17partition_subalgoE9EllbEEZZNS1_14partition_implILS5_9ELb0ES3_jPlS8_PNS0_10empty_typeENS0_5tupleIJS8_S9_EEENSB_IJS8_SA_EEENS0_18inequality_wrapperIZN2at6native12_GLOBAL__N_124unique_dim_cuda_templateIaEESt5tupleIJNSF_6TensorESK_SK_EERKSK_lbbbEUlllE0_EEPmJS9_EEE10hipError_tPvRmT3_T4_T5_T6_T7_T9_mT8_P12ihipStream_tbDpT10_ENKUlT_T0_E_clISt17integral_constantIbLb0EES19_IbLb1EEEEDaS15_S16_EUlS15_E_NS1_11comp_targetILNS1_3genE4ELNS1_11target_archE910ELNS1_3gpuE8ELNS1_3repE0EEENS1_30default_config_static_selectorELNS0_4arch9wavefront6targetE1EEEvT1_,"axG",@progbits,_ZN7rocprim17ROCPRIM_400000_NS6detail17trampoline_kernelINS0_14default_configENS1_25partition_config_selectorILNS1_17partition_subalgoE9EllbEEZZNS1_14partition_implILS5_9ELb0ES3_jPlS8_PNS0_10empty_typeENS0_5tupleIJS8_S9_EEENSB_IJS8_SA_EEENS0_18inequality_wrapperIZN2at6native12_GLOBAL__N_124unique_dim_cuda_templateIaEESt5tupleIJNSF_6TensorESK_SK_EERKSK_lbbbEUlllE0_EEPmJS9_EEE10hipError_tPvRmT3_T4_T5_T6_T7_T9_mT8_P12ihipStream_tbDpT10_ENKUlT_T0_E_clISt17integral_constantIbLb0EES19_IbLb1EEEEDaS15_S16_EUlS15_E_NS1_11comp_targetILNS1_3genE4ELNS1_11target_archE910ELNS1_3gpuE8ELNS1_3repE0EEENS1_30default_config_static_selectorELNS0_4arch9wavefront6targetE1EEEvT1_,comdat
	.globl	_ZN7rocprim17ROCPRIM_400000_NS6detail17trampoline_kernelINS0_14default_configENS1_25partition_config_selectorILNS1_17partition_subalgoE9EllbEEZZNS1_14partition_implILS5_9ELb0ES3_jPlS8_PNS0_10empty_typeENS0_5tupleIJS8_S9_EEENSB_IJS8_SA_EEENS0_18inequality_wrapperIZN2at6native12_GLOBAL__N_124unique_dim_cuda_templateIaEESt5tupleIJNSF_6TensorESK_SK_EERKSK_lbbbEUlllE0_EEPmJS9_EEE10hipError_tPvRmT3_T4_T5_T6_T7_T9_mT8_P12ihipStream_tbDpT10_ENKUlT_T0_E_clISt17integral_constantIbLb0EES19_IbLb1EEEEDaS15_S16_EUlS15_E_NS1_11comp_targetILNS1_3genE4ELNS1_11target_archE910ELNS1_3gpuE8ELNS1_3repE0EEENS1_30default_config_static_selectorELNS0_4arch9wavefront6targetE1EEEvT1_ ; -- Begin function _ZN7rocprim17ROCPRIM_400000_NS6detail17trampoline_kernelINS0_14default_configENS1_25partition_config_selectorILNS1_17partition_subalgoE9EllbEEZZNS1_14partition_implILS5_9ELb0ES3_jPlS8_PNS0_10empty_typeENS0_5tupleIJS8_S9_EEENSB_IJS8_SA_EEENS0_18inequality_wrapperIZN2at6native12_GLOBAL__N_124unique_dim_cuda_templateIaEESt5tupleIJNSF_6TensorESK_SK_EERKSK_lbbbEUlllE0_EEPmJS9_EEE10hipError_tPvRmT3_T4_T5_T6_T7_T9_mT8_P12ihipStream_tbDpT10_ENKUlT_T0_E_clISt17integral_constantIbLb0EES19_IbLb1EEEEDaS15_S16_EUlS15_E_NS1_11comp_targetILNS1_3genE4ELNS1_11target_archE910ELNS1_3gpuE8ELNS1_3repE0EEENS1_30default_config_static_selectorELNS0_4arch9wavefront6targetE1EEEvT1_
	.p2align	8
	.type	_ZN7rocprim17ROCPRIM_400000_NS6detail17trampoline_kernelINS0_14default_configENS1_25partition_config_selectorILNS1_17partition_subalgoE9EllbEEZZNS1_14partition_implILS5_9ELb0ES3_jPlS8_PNS0_10empty_typeENS0_5tupleIJS8_S9_EEENSB_IJS8_SA_EEENS0_18inequality_wrapperIZN2at6native12_GLOBAL__N_124unique_dim_cuda_templateIaEESt5tupleIJNSF_6TensorESK_SK_EERKSK_lbbbEUlllE0_EEPmJS9_EEE10hipError_tPvRmT3_T4_T5_T6_T7_T9_mT8_P12ihipStream_tbDpT10_ENKUlT_T0_E_clISt17integral_constantIbLb0EES19_IbLb1EEEEDaS15_S16_EUlS15_E_NS1_11comp_targetILNS1_3genE4ELNS1_11target_archE910ELNS1_3gpuE8ELNS1_3repE0EEENS1_30default_config_static_selectorELNS0_4arch9wavefront6targetE1EEEvT1_,@function
_ZN7rocprim17ROCPRIM_400000_NS6detail17trampoline_kernelINS0_14default_configENS1_25partition_config_selectorILNS1_17partition_subalgoE9EllbEEZZNS1_14partition_implILS5_9ELb0ES3_jPlS8_PNS0_10empty_typeENS0_5tupleIJS8_S9_EEENSB_IJS8_SA_EEENS0_18inequality_wrapperIZN2at6native12_GLOBAL__N_124unique_dim_cuda_templateIaEESt5tupleIJNSF_6TensorESK_SK_EERKSK_lbbbEUlllE0_EEPmJS9_EEE10hipError_tPvRmT3_T4_T5_T6_T7_T9_mT8_P12ihipStream_tbDpT10_ENKUlT_T0_E_clISt17integral_constantIbLb0EES19_IbLb1EEEEDaS15_S16_EUlS15_E_NS1_11comp_targetILNS1_3genE4ELNS1_11target_archE910ELNS1_3gpuE8ELNS1_3repE0EEENS1_30default_config_static_selectorELNS0_4arch9wavefront6targetE1EEEvT1_: ; @_ZN7rocprim17ROCPRIM_400000_NS6detail17trampoline_kernelINS0_14default_configENS1_25partition_config_selectorILNS1_17partition_subalgoE9EllbEEZZNS1_14partition_implILS5_9ELb0ES3_jPlS8_PNS0_10empty_typeENS0_5tupleIJS8_S9_EEENSB_IJS8_SA_EEENS0_18inequality_wrapperIZN2at6native12_GLOBAL__N_124unique_dim_cuda_templateIaEESt5tupleIJNSF_6TensorESK_SK_EERKSK_lbbbEUlllE0_EEPmJS9_EEE10hipError_tPvRmT3_T4_T5_T6_T7_T9_mT8_P12ihipStream_tbDpT10_ENKUlT_T0_E_clISt17integral_constantIbLb0EES19_IbLb1EEEEDaS15_S16_EUlS15_E_NS1_11comp_targetILNS1_3genE4ELNS1_11target_archE910ELNS1_3gpuE8ELNS1_3repE0EEENS1_30default_config_static_selectorELNS0_4arch9wavefront6targetE1EEEvT1_
; %bb.0:
	.section	.rodata,"a",@progbits
	.p2align	6, 0x0
	.amdhsa_kernel _ZN7rocprim17ROCPRIM_400000_NS6detail17trampoline_kernelINS0_14default_configENS1_25partition_config_selectorILNS1_17partition_subalgoE9EllbEEZZNS1_14partition_implILS5_9ELb0ES3_jPlS8_PNS0_10empty_typeENS0_5tupleIJS8_S9_EEENSB_IJS8_SA_EEENS0_18inequality_wrapperIZN2at6native12_GLOBAL__N_124unique_dim_cuda_templateIaEESt5tupleIJNSF_6TensorESK_SK_EERKSK_lbbbEUlllE0_EEPmJS9_EEE10hipError_tPvRmT3_T4_T5_T6_T7_T9_mT8_P12ihipStream_tbDpT10_ENKUlT_T0_E_clISt17integral_constantIbLb0EES19_IbLb1EEEEDaS15_S16_EUlS15_E_NS1_11comp_targetILNS1_3genE4ELNS1_11target_archE910ELNS1_3gpuE8ELNS1_3repE0EEENS1_30default_config_static_selectorELNS0_4arch9wavefront6targetE1EEEvT1_
		.amdhsa_group_segment_fixed_size 0
		.amdhsa_private_segment_fixed_size 0
		.amdhsa_kernarg_size 136
		.amdhsa_user_sgpr_count 2
		.amdhsa_user_sgpr_dispatch_ptr 0
		.amdhsa_user_sgpr_queue_ptr 0
		.amdhsa_user_sgpr_kernarg_segment_ptr 1
		.amdhsa_user_sgpr_dispatch_id 0
		.amdhsa_user_sgpr_kernarg_preload_length 0
		.amdhsa_user_sgpr_kernarg_preload_offset 0
		.amdhsa_user_sgpr_private_segment_size 0
		.amdhsa_uses_dynamic_stack 0
		.amdhsa_enable_private_segment 0
		.amdhsa_system_sgpr_workgroup_id_x 1
		.amdhsa_system_sgpr_workgroup_id_y 0
		.amdhsa_system_sgpr_workgroup_id_z 0
		.amdhsa_system_sgpr_workgroup_info 0
		.amdhsa_system_vgpr_workitem_id 0
		.amdhsa_next_free_vgpr 1
		.amdhsa_next_free_sgpr 0
		.amdhsa_accum_offset 4
		.amdhsa_reserve_vcc 0
		.amdhsa_float_round_mode_32 0
		.amdhsa_float_round_mode_16_64 0
		.amdhsa_float_denorm_mode_32 3
		.amdhsa_float_denorm_mode_16_64 3
		.amdhsa_dx10_clamp 1
		.amdhsa_ieee_mode 1
		.amdhsa_fp16_overflow 0
		.amdhsa_tg_split 0
		.amdhsa_exception_fp_ieee_invalid_op 0
		.amdhsa_exception_fp_denorm_src 0
		.amdhsa_exception_fp_ieee_div_zero 0
		.amdhsa_exception_fp_ieee_overflow 0
		.amdhsa_exception_fp_ieee_underflow 0
		.amdhsa_exception_fp_ieee_inexact 0
		.amdhsa_exception_int_div_zero 0
	.end_amdhsa_kernel
	.section	.text._ZN7rocprim17ROCPRIM_400000_NS6detail17trampoline_kernelINS0_14default_configENS1_25partition_config_selectorILNS1_17partition_subalgoE9EllbEEZZNS1_14partition_implILS5_9ELb0ES3_jPlS8_PNS0_10empty_typeENS0_5tupleIJS8_S9_EEENSB_IJS8_SA_EEENS0_18inequality_wrapperIZN2at6native12_GLOBAL__N_124unique_dim_cuda_templateIaEESt5tupleIJNSF_6TensorESK_SK_EERKSK_lbbbEUlllE0_EEPmJS9_EEE10hipError_tPvRmT3_T4_T5_T6_T7_T9_mT8_P12ihipStream_tbDpT10_ENKUlT_T0_E_clISt17integral_constantIbLb0EES19_IbLb1EEEEDaS15_S16_EUlS15_E_NS1_11comp_targetILNS1_3genE4ELNS1_11target_archE910ELNS1_3gpuE8ELNS1_3repE0EEENS1_30default_config_static_selectorELNS0_4arch9wavefront6targetE1EEEvT1_,"axG",@progbits,_ZN7rocprim17ROCPRIM_400000_NS6detail17trampoline_kernelINS0_14default_configENS1_25partition_config_selectorILNS1_17partition_subalgoE9EllbEEZZNS1_14partition_implILS5_9ELb0ES3_jPlS8_PNS0_10empty_typeENS0_5tupleIJS8_S9_EEENSB_IJS8_SA_EEENS0_18inequality_wrapperIZN2at6native12_GLOBAL__N_124unique_dim_cuda_templateIaEESt5tupleIJNSF_6TensorESK_SK_EERKSK_lbbbEUlllE0_EEPmJS9_EEE10hipError_tPvRmT3_T4_T5_T6_T7_T9_mT8_P12ihipStream_tbDpT10_ENKUlT_T0_E_clISt17integral_constantIbLb0EES19_IbLb1EEEEDaS15_S16_EUlS15_E_NS1_11comp_targetILNS1_3genE4ELNS1_11target_archE910ELNS1_3gpuE8ELNS1_3repE0EEENS1_30default_config_static_selectorELNS0_4arch9wavefront6targetE1EEEvT1_,comdat
.Lfunc_end377:
	.size	_ZN7rocprim17ROCPRIM_400000_NS6detail17trampoline_kernelINS0_14default_configENS1_25partition_config_selectorILNS1_17partition_subalgoE9EllbEEZZNS1_14partition_implILS5_9ELb0ES3_jPlS8_PNS0_10empty_typeENS0_5tupleIJS8_S9_EEENSB_IJS8_SA_EEENS0_18inequality_wrapperIZN2at6native12_GLOBAL__N_124unique_dim_cuda_templateIaEESt5tupleIJNSF_6TensorESK_SK_EERKSK_lbbbEUlllE0_EEPmJS9_EEE10hipError_tPvRmT3_T4_T5_T6_T7_T9_mT8_P12ihipStream_tbDpT10_ENKUlT_T0_E_clISt17integral_constantIbLb0EES19_IbLb1EEEEDaS15_S16_EUlS15_E_NS1_11comp_targetILNS1_3genE4ELNS1_11target_archE910ELNS1_3gpuE8ELNS1_3repE0EEENS1_30default_config_static_selectorELNS0_4arch9wavefront6targetE1EEEvT1_, .Lfunc_end377-_ZN7rocprim17ROCPRIM_400000_NS6detail17trampoline_kernelINS0_14default_configENS1_25partition_config_selectorILNS1_17partition_subalgoE9EllbEEZZNS1_14partition_implILS5_9ELb0ES3_jPlS8_PNS0_10empty_typeENS0_5tupleIJS8_S9_EEENSB_IJS8_SA_EEENS0_18inequality_wrapperIZN2at6native12_GLOBAL__N_124unique_dim_cuda_templateIaEESt5tupleIJNSF_6TensorESK_SK_EERKSK_lbbbEUlllE0_EEPmJS9_EEE10hipError_tPvRmT3_T4_T5_T6_T7_T9_mT8_P12ihipStream_tbDpT10_ENKUlT_T0_E_clISt17integral_constantIbLb0EES19_IbLb1EEEEDaS15_S16_EUlS15_E_NS1_11comp_targetILNS1_3genE4ELNS1_11target_archE910ELNS1_3gpuE8ELNS1_3repE0EEENS1_30default_config_static_selectorELNS0_4arch9wavefront6targetE1EEEvT1_
                                        ; -- End function
	.set _ZN7rocprim17ROCPRIM_400000_NS6detail17trampoline_kernelINS0_14default_configENS1_25partition_config_selectorILNS1_17partition_subalgoE9EllbEEZZNS1_14partition_implILS5_9ELb0ES3_jPlS8_PNS0_10empty_typeENS0_5tupleIJS8_S9_EEENSB_IJS8_SA_EEENS0_18inequality_wrapperIZN2at6native12_GLOBAL__N_124unique_dim_cuda_templateIaEESt5tupleIJNSF_6TensorESK_SK_EERKSK_lbbbEUlllE0_EEPmJS9_EEE10hipError_tPvRmT3_T4_T5_T6_T7_T9_mT8_P12ihipStream_tbDpT10_ENKUlT_T0_E_clISt17integral_constantIbLb0EES19_IbLb1EEEEDaS15_S16_EUlS15_E_NS1_11comp_targetILNS1_3genE4ELNS1_11target_archE910ELNS1_3gpuE8ELNS1_3repE0EEENS1_30default_config_static_selectorELNS0_4arch9wavefront6targetE1EEEvT1_.num_vgpr, 0
	.set _ZN7rocprim17ROCPRIM_400000_NS6detail17trampoline_kernelINS0_14default_configENS1_25partition_config_selectorILNS1_17partition_subalgoE9EllbEEZZNS1_14partition_implILS5_9ELb0ES3_jPlS8_PNS0_10empty_typeENS0_5tupleIJS8_S9_EEENSB_IJS8_SA_EEENS0_18inequality_wrapperIZN2at6native12_GLOBAL__N_124unique_dim_cuda_templateIaEESt5tupleIJNSF_6TensorESK_SK_EERKSK_lbbbEUlllE0_EEPmJS9_EEE10hipError_tPvRmT3_T4_T5_T6_T7_T9_mT8_P12ihipStream_tbDpT10_ENKUlT_T0_E_clISt17integral_constantIbLb0EES19_IbLb1EEEEDaS15_S16_EUlS15_E_NS1_11comp_targetILNS1_3genE4ELNS1_11target_archE910ELNS1_3gpuE8ELNS1_3repE0EEENS1_30default_config_static_selectorELNS0_4arch9wavefront6targetE1EEEvT1_.num_agpr, 0
	.set _ZN7rocprim17ROCPRIM_400000_NS6detail17trampoline_kernelINS0_14default_configENS1_25partition_config_selectorILNS1_17partition_subalgoE9EllbEEZZNS1_14partition_implILS5_9ELb0ES3_jPlS8_PNS0_10empty_typeENS0_5tupleIJS8_S9_EEENSB_IJS8_SA_EEENS0_18inequality_wrapperIZN2at6native12_GLOBAL__N_124unique_dim_cuda_templateIaEESt5tupleIJNSF_6TensorESK_SK_EERKSK_lbbbEUlllE0_EEPmJS9_EEE10hipError_tPvRmT3_T4_T5_T6_T7_T9_mT8_P12ihipStream_tbDpT10_ENKUlT_T0_E_clISt17integral_constantIbLb0EES19_IbLb1EEEEDaS15_S16_EUlS15_E_NS1_11comp_targetILNS1_3genE4ELNS1_11target_archE910ELNS1_3gpuE8ELNS1_3repE0EEENS1_30default_config_static_selectorELNS0_4arch9wavefront6targetE1EEEvT1_.numbered_sgpr, 0
	.set _ZN7rocprim17ROCPRIM_400000_NS6detail17trampoline_kernelINS0_14default_configENS1_25partition_config_selectorILNS1_17partition_subalgoE9EllbEEZZNS1_14partition_implILS5_9ELb0ES3_jPlS8_PNS0_10empty_typeENS0_5tupleIJS8_S9_EEENSB_IJS8_SA_EEENS0_18inequality_wrapperIZN2at6native12_GLOBAL__N_124unique_dim_cuda_templateIaEESt5tupleIJNSF_6TensorESK_SK_EERKSK_lbbbEUlllE0_EEPmJS9_EEE10hipError_tPvRmT3_T4_T5_T6_T7_T9_mT8_P12ihipStream_tbDpT10_ENKUlT_T0_E_clISt17integral_constantIbLb0EES19_IbLb1EEEEDaS15_S16_EUlS15_E_NS1_11comp_targetILNS1_3genE4ELNS1_11target_archE910ELNS1_3gpuE8ELNS1_3repE0EEENS1_30default_config_static_selectorELNS0_4arch9wavefront6targetE1EEEvT1_.num_named_barrier, 0
	.set _ZN7rocprim17ROCPRIM_400000_NS6detail17trampoline_kernelINS0_14default_configENS1_25partition_config_selectorILNS1_17partition_subalgoE9EllbEEZZNS1_14partition_implILS5_9ELb0ES3_jPlS8_PNS0_10empty_typeENS0_5tupleIJS8_S9_EEENSB_IJS8_SA_EEENS0_18inequality_wrapperIZN2at6native12_GLOBAL__N_124unique_dim_cuda_templateIaEESt5tupleIJNSF_6TensorESK_SK_EERKSK_lbbbEUlllE0_EEPmJS9_EEE10hipError_tPvRmT3_T4_T5_T6_T7_T9_mT8_P12ihipStream_tbDpT10_ENKUlT_T0_E_clISt17integral_constantIbLb0EES19_IbLb1EEEEDaS15_S16_EUlS15_E_NS1_11comp_targetILNS1_3genE4ELNS1_11target_archE910ELNS1_3gpuE8ELNS1_3repE0EEENS1_30default_config_static_selectorELNS0_4arch9wavefront6targetE1EEEvT1_.private_seg_size, 0
	.set _ZN7rocprim17ROCPRIM_400000_NS6detail17trampoline_kernelINS0_14default_configENS1_25partition_config_selectorILNS1_17partition_subalgoE9EllbEEZZNS1_14partition_implILS5_9ELb0ES3_jPlS8_PNS0_10empty_typeENS0_5tupleIJS8_S9_EEENSB_IJS8_SA_EEENS0_18inequality_wrapperIZN2at6native12_GLOBAL__N_124unique_dim_cuda_templateIaEESt5tupleIJNSF_6TensorESK_SK_EERKSK_lbbbEUlllE0_EEPmJS9_EEE10hipError_tPvRmT3_T4_T5_T6_T7_T9_mT8_P12ihipStream_tbDpT10_ENKUlT_T0_E_clISt17integral_constantIbLb0EES19_IbLb1EEEEDaS15_S16_EUlS15_E_NS1_11comp_targetILNS1_3genE4ELNS1_11target_archE910ELNS1_3gpuE8ELNS1_3repE0EEENS1_30default_config_static_selectorELNS0_4arch9wavefront6targetE1EEEvT1_.uses_vcc, 0
	.set _ZN7rocprim17ROCPRIM_400000_NS6detail17trampoline_kernelINS0_14default_configENS1_25partition_config_selectorILNS1_17partition_subalgoE9EllbEEZZNS1_14partition_implILS5_9ELb0ES3_jPlS8_PNS0_10empty_typeENS0_5tupleIJS8_S9_EEENSB_IJS8_SA_EEENS0_18inequality_wrapperIZN2at6native12_GLOBAL__N_124unique_dim_cuda_templateIaEESt5tupleIJNSF_6TensorESK_SK_EERKSK_lbbbEUlllE0_EEPmJS9_EEE10hipError_tPvRmT3_T4_T5_T6_T7_T9_mT8_P12ihipStream_tbDpT10_ENKUlT_T0_E_clISt17integral_constantIbLb0EES19_IbLb1EEEEDaS15_S16_EUlS15_E_NS1_11comp_targetILNS1_3genE4ELNS1_11target_archE910ELNS1_3gpuE8ELNS1_3repE0EEENS1_30default_config_static_selectorELNS0_4arch9wavefront6targetE1EEEvT1_.uses_flat_scratch, 0
	.set _ZN7rocprim17ROCPRIM_400000_NS6detail17trampoline_kernelINS0_14default_configENS1_25partition_config_selectorILNS1_17partition_subalgoE9EllbEEZZNS1_14partition_implILS5_9ELb0ES3_jPlS8_PNS0_10empty_typeENS0_5tupleIJS8_S9_EEENSB_IJS8_SA_EEENS0_18inequality_wrapperIZN2at6native12_GLOBAL__N_124unique_dim_cuda_templateIaEESt5tupleIJNSF_6TensorESK_SK_EERKSK_lbbbEUlllE0_EEPmJS9_EEE10hipError_tPvRmT3_T4_T5_T6_T7_T9_mT8_P12ihipStream_tbDpT10_ENKUlT_T0_E_clISt17integral_constantIbLb0EES19_IbLb1EEEEDaS15_S16_EUlS15_E_NS1_11comp_targetILNS1_3genE4ELNS1_11target_archE910ELNS1_3gpuE8ELNS1_3repE0EEENS1_30default_config_static_selectorELNS0_4arch9wavefront6targetE1EEEvT1_.has_dyn_sized_stack, 0
	.set _ZN7rocprim17ROCPRIM_400000_NS6detail17trampoline_kernelINS0_14default_configENS1_25partition_config_selectorILNS1_17partition_subalgoE9EllbEEZZNS1_14partition_implILS5_9ELb0ES3_jPlS8_PNS0_10empty_typeENS0_5tupleIJS8_S9_EEENSB_IJS8_SA_EEENS0_18inequality_wrapperIZN2at6native12_GLOBAL__N_124unique_dim_cuda_templateIaEESt5tupleIJNSF_6TensorESK_SK_EERKSK_lbbbEUlllE0_EEPmJS9_EEE10hipError_tPvRmT3_T4_T5_T6_T7_T9_mT8_P12ihipStream_tbDpT10_ENKUlT_T0_E_clISt17integral_constantIbLb0EES19_IbLb1EEEEDaS15_S16_EUlS15_E_NS1_11comp_targetILNS1_3genE4ELNS1_11target_archE910ELNS1_3gpuE8ELNS1_3repE0EEENS1_30default_config_static_selectorELNS0_4arch9wavefront6targetE1EEEvT1_.has_recursion, 0
	.set _ZN7rocprim17ROCPRIM_400000_NS6detail17trampoline_kernelINS0_14default_configENS1_25partition_config_selectorILNS1_17partition_subalgoE9EllbEEZZNS1_14partition_implILS5_9ELb0ES3_jPlS8_PNS0_10empty_typeENS0_5tupleIJS8_S9_EEENSB_IJS8_SA_EEENS0_18inequality_wrapperIZN2at6native12_GLOBAL__N_124unique_dim_cuda_templateIaEESt5tupleIJNSF_6TensorESK_SK_EERKSK_lbbbEUlllE0_EEPmJS9_EEE10hipError_tPvRmT3_T4_T5_T6_T7_T9_mT8_P12ihipStream_tbDpT10_ENKUlT_T0_E_clISt17integral_constantIbLb0EES19_IbLb1EEEEDaS15_S16_EUlS15_E_NS1_11comp_targetILNS1_3genE4ELNS1_11target_archE910ELNS1_3gpuE8ELNS1_3repE0EEENS1_30default_config_static_selectorELNS0_4arch9wavefront6targetE1EEEvT1_.has_indirect_call, 0
	.section	.AMDGPU.csdata,"",@progbits
; Kernel info:
; codeLenInByte = 0
; TotalNumSgprs: 6
; NumVgprs: 0
; NumAgprs: 0
; TotalNumVgprs: 0
; ScratchSize: 0
; MemoryBound: 0
; FloatMode: 240
; IeeeMode: 1
; LDSByteSize: 0 bytes/workgroup (compile time only)
; SGPRBlocks: 0
; VGPRBlocks: 0
; NumSGPRsForWavesPerEU: 6
; NumVGPRsForWavesPerEU: 1
; AccumOffset: 4
; Occupancy: 8
; WaveLimiterHint : 0
; COMPUTE_PGM_RSRC2:SCRATCH_EN: 0
; COMPUTE_PGM_RSRC2:USER_SGPR: 2
; COMPUTE_PGM_RSRC2:TRAP_HANDLER: 0
; COMPUTE_PGM_RSRC2:TGID_X_EN: 1
; COMPUTE_PGM_RSRC2:TGID_Y_EN: 0
; COMPUTE_PGM_RSRC2:TGID_Z_EN: 0
; COMPUTE_PGM_RSRC2:TIDIG_COMP_CNT: 0
; COMPUTE_PGM_RSRC3_GFX90A:ACCUM_OFFSET: 0
; COMPUTE_PGM_RSRC3_GFX90A:TG_SPLIT: 0
	.section	.text._ZN7rocprim17ROCPRIM_400000_NS6detail17trampoline_kernelINS0_14default_configENS1_25partition_config_selectorILNS1_17partition_subalgoE9EllbEEZZNS1_14partition_implILS5_9ELb0ES3_jPlS8_PNS0_10empty_typeENS0_5tupleIJS8_S9_EEENSB_IJS8_SA_EEENS0_18inequality_wrapperIZN2at6native12_GLOBAL__N_124unique_dim_cuda_templateIaEESt5tupleIJNSF_6TensorESK_SK_EERKSK_lbbbEUlllE0_EEPmJS9_EEE10hipError_tPvRmT3_T4_T5_T6_T7_T9_mT8_P12ihipStream_tbDpT10_ENKUlT_T0_E_clISt17integral_constantIbLb0EES19_IbLb1EEEEDaS15_S16_EUlS15_E_NS1_11comp_targetILNS1_3genE3ELNS1_11target_archE908ELNS1_3gpuE7ELNS1_3repE0EEENS1_30default_config_static_selectorELNS0_4arch9wavefront6targetE1EEEvT1_,"axG",@progbits,_ZN7rocprim17ROCPRIM_400000_NS6detail17trampoline_kernelINS0_14default_configENS1_25partition_config_selectorILNS1_17partition_subalgoE9EllbEEZZNS1_14partition_implILS5_9ELb0ES3_jPlS8_PNS0_10empty_typeENS0_5tupleIJS8_S9_EEENSB_IJS8_SA_EEENS0_18inequality_wrapperIZN2at6native12_GLOBAL__N_124unique_dim_cuda_templateIaEESt5tupleIJNSF_6TensorESK_SK_EERKSK_lbbbEUlllE0_EEPmJS9_EEE10hipError_tPvRmT3_T4_T5_T6_T7_T9_mT8_P12ihipStream_tbDpT10_ENKUlT_T0_E_clISt17integral_constantIbLb0EES19_IbLb1EEEEDaS15_S16_EUlS15_E_NS1_11comp_targetILNS1_3genE3ELNS1_11target_archE908ELNS1_3gpuE7ELNS1_3repE0EEENS1_30default_config_static_selectorELNS0_4arch9wavefront6targetE1EEEvT1_,comdat
	.globl	_ZN7rocprim17ROCPRIM_400000_NS6detail17trampoline_kernelINS0_14default_configENS1_25partition_config_selectorILNS1_17partition_subalgoE9EllbEEZZNS1_14partition_implILS5_9ELb0ES3_jPlS8_PNS0_10empty_typeENS0_5tupleIJS8_S9_EEENSB_IJS8_SA_EEENS0_18inequality_wrapperIZN2at6native12_GLOBAL__N_124unique_dim_cuda_templateIaEESt5tupleIJNSF_6TensorESK_SK_EERKSK_lbbbEUlllE0_EEPmJS9_EEE10hipError_tPvRmT3_T4_T5_T6_T7_T9_mT8_P12ihipStream_tbDpT10_ENKUlT_T0_E_clISt17integral_constantIbLb0EES19_IbLb1EEEEDaS15_S16_EUlS15_E_NS1_11comp_targetILNS1_3genE3ELNS1_11target_archE908ELNS1_3gpuE7ELNS1_3repE0EEENS1_30default_config_static_selectorELNS0_4arch9wavefront6targetE1EEEvT1_ ; -- Begin function _ZN7rocprim17ROCPRIM_400000_NS6detail17trampoline_kernelINS0_14default_configENS1_25partition_config_selectorILNS1_17partition_subalgoE9EllbEEZZNS1_14partition_implILS5_9ELb0ES3_jPlS8_PNS0_10empty_typeENS0_5tupleIJS8_S9_EEENSB_IJS8_SA_EEENS0_18inequality_wrapperIZN2at6native12_GLOBAL__N_124unique_dim_cuda_templateIaEESt5tupleIJNSF_6TensorESK_SK_EERKSK_lbbbEUlllE0_EEPmJS9_EEE10hipError_tPvRmT3_T4_T5_T6_T7_T9_mT8_P12ihipStream_tbDpT10_ENKUlT_T0_E_clISt17integral_constantIbLb0EES19_IbLb1EEEEDaS15_S16_EUlS15_E_NS1_11comp_targetILNS1_3genE3ELNS1_11target_archE908ELNS1_3gpuE7ELNS1_3repE0EEENS1_30default_config_static_selectorELNS0_4arch9wavefront6targetE1EEEvT1_
	.p2align	8
	.type	_ZN7rocprim17ROCPRIM_400000_NS6detail17trampoline_kernelINS0_14default_configENS1_25partition_config_selectorILNS1_17partition_subalgoE9EllbEEZZNS1_14partition_implILS5_9ELb0ES3_jPlS8_PNS0_10empty_typeENS0_5tupleIJS8_S9_EEENSB_IJS8_SA_EEENS0_18inequality_wrapperIZN2at6native12_GLOBAL__N_124unique_dim_cuda_templateIaEESt5tupleIJNSF_6TensorESK_SK_EERKSK_lbbbEUlllE0_EEPmJS9_EEE10hipError_tPvRmT3_T4_T5_T6_T7_T9_mT8_P12ihipStream_tbDpT10_ENKUlT_T0_E_clISt17integral_constantIbLb0EES19_IbLb1EEEEDaS15_S16_EUlS15_E_NS1_11comp_targetILNS1_3genE3ELNS1_11target_archE908ELNS1_3gpuE7ELNS1_3repE0EEENS1_30default_config_static_selectorELNS0_4arch9wavefront6targetE1EEEvT1_,@function
_ZN7rocprim17ROCPRIM_400000_NS6detail17trampoline_kernelINS0_14default_configENS1_25partition_config_selectorILNS1_17partition_subalgoE9EllbEEZZNS1_14partition_implILS5_9ELb0ES3_jPlS8_PNS0_10empty_typeENS0_5tupleIJS8_S9_EEENSB_IJS8_SA_EEENS0_18inequality_wrapperIZN2at6native12_GLOBAL__N_124unique_dim_cuda_templateIaEESt5tupleIJNSF_6TensorESK_SK_EERKSK_lbbbEUlllE0_EEPmJS9_EEE10hipError_tPvRmT3_T4_T5_T6_T7_T9_mT8_P12ihipStream_tbDpT10_ENKUlT_T0_E_clISt17integral_constantIbLb0EES19_IbLb1EEEEDaS15_S16_EUlS15_E_NS1_11comp_targetILNS1_3genE3ELNS1_11target_archE908ELNS1_3gpuE7ELNS1_3repE0EEENS1_30default_config_static_selectorELNS0_4arch9wavefront6targetE1EEEvT1_: ; @_ZN7rocprim17ROCPRIM_400000_NS6detail17trampoline_kernelINS0_14default_configENS1_25partition_config_selectorILNS1_17partition_subalgoE9EllbEEZZNS1_14partition_implILS5_9ELb0ES3_jPlS8_PNS0_10empty_typeENS0_5tupleIJS8_S9_EEENSB_IJS8_SA_EEENS0_18inequality_wrapperIZN2at6native12_GLOBAL__N_124unique_dim_cuda_templateIaEESt5tupleIJNSF_6TensorESK_SK_EERKSK_lbbbEUlllE0_EEPmJS9_EEE10hipError_tPvRmT3_T4_T5_T6_T7_T9_mT8_P12ihipStream_tbDpT10_ENKUlT_T0_E_clISt17integral_constantIbLb0EES19_IbLb1EEEEDaS15_S16_EUlS15_E_NS1_11comp_targetILNS1_3genE3ELNS1_11target_archE908ELNS1_3gpuE7ELNS1_3repE0EEENS1_30default_config_static_selectorELNS0_4arch9wavefront6targetE1EEEvT1_
; %bb.0:
	.section	.rodata,"a",@progbits
	.p2align	6, 0x0
	.amdhsa_kernel _ZN7rocprim17ROCPRIM_400000_NS6detail17trampoline_kernelINS0_14default_configENS1_25partition_config_selectorILNS1_17partition_subalgoE9EllbEEZZNS1_14partition_implILS5_9ELb0ES3_jPlS8_PNS0_10empty_typeENS0_5tupleIJS8_S9_EEENSB_IJS8_SA_EEENS0_18inequality_wrapperIZN2at6native12_GLOBAL__N_124unique_dim_cuda_templateIaEESt5tupleIJNSF_6TensorESK_SK_EERKSK_lbbbEUlllE0_EEPmJS9_EEE10hipError_tPvRmT3_T4_T5_T6_T7_T9_mT8_P12ihipStream_tbDpT10_ENKUlT_T0_E_clISt17integral_constantIbLb0EES19_IbLb1EEEEDaS15_S16_EUlS15_E_NS1_11comp_targetILNS1_3genE3ELNS1_11target_archE908ELNS1_3gpuE7ELNS1_3repE0EEENS1_30default_config_static_selectorELNS0_4arch9wavefront6targetE1EEEvT1_
		.amdhsa_group_segment_fixed_size 0
		.amdhsa_private_segment_fixed_size 0
		.amdhsa_kernarg_size 136
		.amdhsa_user_sgpr_count 2
		.amdhsa_user_sgpr_dispatch_ptr 0
		.amdhsa_user_sgpr_queue_ptr 0
		.amdhsa_user_sgpr_kernarg_segment_ptr 1
		.amdhsa_user_sgpr_dispatch_id 0
		.amdhsa_user_sgpr_kernarg_preload_length 0
		.amdhsa_user_sgpr_kernarg_preload_offset 0
		.amdhsa_user_sgpr_private_segment_size 0
		.amdhsa_uses_dynamic_stack 0
		.amdhsa_enable_private_segment 0
		.amdhsa_system_sgpr_workgroup_id_x 1
		.amdhsa_system_sgpr_workgroup_id_y 0
		.amdhsa_system_sgpr_workgroup_id_z 0
		.amdhsa_system_sgpr_workgroup_info 0
		.amdhsa_system_vgpr_workitem_id 0
		.amdhsa_next_free_vgpr 1
		.amdhsa_next_free_sgpr 0
		.amdhsa_accum_offset 4
		.amdhsa_reserve_vcc 0
		.amdhsa_float_round_mode_32 0
		.amdhsa_float_round_mode_16_64 0
		.amdhsa_float_denorm_mode_32 3
		.amdhsa_float_denorm_mode_16_64 3
		.amdhsa_dx10_clamp 1
		.amdhsa_ieee_mode 1
		.amdhsa_fp16_overflow 0
		.amdhsa_tg_split 0
		.amdhsa_exception_fp_ieee_invalid_op 0
		.amdhsa_exception_fp_denorm_src 0
		.amdhsa_exception_fp_ieee_div_zero 0
		.amdhsa_exception_fp_ieee_overflow 0
		.amdhsa_exception_fp_ieee_underflow 0
		.amdhsa_exception_fp_ieee_inexact 0
		.amdhsa_exception_int_div_zero 0
	.end_amdhsa_kernel
	.section	.text._ZN7rocprim17ROCPRIM_400000_NS6detail17trampoline_kernelINS0_14default_configENS1_25partition_config_selectorILNS1_17partition_subalgoE9EllbEEZZNS1_14partition_implILS5_9ELb0ES3_jPlS8_PNS0_10empty_typeENS0_5tupleIJS8_S9_EEENSB_IJS8_SA_EEENS0_18inequality_wrapperIZN2at6native12_GLOBAL__N_124unique_dim_cuda_templateIaEESt5tupleIJNSF_6TensorESK_SK_EERKSK_lbbbEUlllE0_EEPmJS9_EEE10hipError_tPvRmT3_T4_T5_T6_T7_T9_mT8_P12ihipStream_tbDpT10_ENKUlT_T0_E_clISt17integral_constantIbLb0EES19_IbLb1EEEEDaS15_S16_EUlS15_E_NS1_11comp_targetILNS1_3genE3ELNS1_11target_archE908ELNS1_3gpuE7ELNS1_3repE0EEENS1_30default_config_static_selectorELNS0_4arch9wavefront6targetE1EEEvT1_,"axG",@progbits,_ZN7rocprim17ROCPRIM_400000_NS6detail17trampoline_kernelINS0_14default_configENS1_25partition_config_selectorILNS1_17partition_subalgoE9EllbEEZZNS1_14partition_implILS5_9ELb0ES3_jPlS8_PNS0_10empty_typeENS0_5tupleIJS8_S9_EEENSB_IJS8_SA_EEENS0_18inequality_wrapperIZN2at6native12_GLOBAL__N_124unique_dim_cuda_templateIaEESt5tupleIJNSF_6TensorESK_SK_EERKSK_lbbbEUlllE0_EEPmJS9_EEE10hipError_tPvRmT3_T4_T5_T6_T7_T9_mT8_P12ihipStream_tbDpT10_ENKUlT_T0_E_clISt17integral_constantIbLb0EES19_IbLb1EEEEDaS15_S16_EUlS15_E_NS1_11comp_targetILNS1_3genE3ELNS1_11target_archE908ELNS1_3gpuE7ELNS1_3repE0EEENS1_30default_config_static_selectorELNS0_4arch9wavefront6targetE1EEEvT1_,comdat
.Lfunc_end378:
	.size	_ZN7rocprim17ROCPRIM_400000_NS6detail17trampoline_kernelINS0_14default_configENS1_25partition_config_selectorILNS1_17partition_subalgoE9EllbEEZZNS1_14partition_implILS5_9ELb0ES3_jPlS8_PNS0_10empty_typeENS0_5tupleIJS8_S9_EEENSB_IJS8_SA_EEENS0_18inequality_wrapperIZN2at6native12_GLOBAL__N_124unique_dim_cuda_templateIaEESt5tupleIJNSF_6TensorESK_SK_EERKSK_lbbbEUlllE0_EEPmJS9_EEE10hipError_tPvRmT3_T4_T5_T6_T7_T9_mT8_P12ihipStream_tbDpT10_ENKUlT_T0_E_clISt17integral_constantIbLb0EES19_IbLb1EEEEDaS15_S16_EUlS15_E_NS1_11comp_targetILNS1_3genE3ELNS1_11target_archE908ELNS1_3gpuE7ELNS1_3repE0EEENS1_30default_config_static_selectorELNS0_4arch9wavefront6targetE1EEEvT1_, .Lfunc_end378-_ZN7rocprim17ROCPRIM_400000_NS6detail17trampoline_kernelINS0_14default_configENS1_25partition_config_selectorILNS1_17partition_subalgoE9EllbEEZZNS1_14partition_implILS5_9ELb0ES3_jPlS8_PNS0_10empty_typeENS0_5tupleIJS8_S9_EEENSB_IJS8_SA_EEENS0_18inequality_wrapperIZN2at6native12_GLOBAL__N_124unique_dim_cuda_templateIaEESt5tupleIJNSF_6TensorESK_SK_EERKSK_lbbbEUlllE0_EEPmJS9_EEE10hipError_tPvRmT3_T4_T5_T6_T7_T9_mT8_P12ihipStream_tbDpT10_ENKUlT_T0_E_clISt17integral_constantIbLb0EES19_IbLb1EEEEDaS15_S16_EUlS15_E_NS1_11comp_targetILNS1_3genE3ELNS1_11target_archE908ELNS1_3gpuE7ELNS1_3repE0EEENS1_30default_config_static_selectorELNS0_4arch9wavefront6targetE1EEEvT1_
                                        ; -- End function
	.set _ZN7rocprim17ROCPRIM_400000_NS6detail17trampoline_kernelINS0_14default_configENS1_25partition_config_selectorILNS1_17partition_subalgoE9EllbEEZZNS1_14partition_implILS5_9ELb0ES3_jPlS8_PNS0_10empty_typeENS0_5tupleIJS8_S9_EEENSB_IJS8_SA_EEENS0_18inequality_wrapperIZN2at6native12_GLOBAL__N_124unique_dim_cuda_templateIaEESt5tupleIJNSF_6TensorESK_SK_EERKSK_lbbbEUlllE0_EEPmJS9_EEE10hipError_tPvRmT3_T4_T5_T6_T7_T9_mT8_P12ihipStream_tbDpT10_ENKUlT_T0_E_clISt17integral_constantIbLb0EES19_IbLb1EEEEDaS15_S16_EUlS15_E_NS1_11comp_targetILNS1_3genE3ELNS1_11target_archE908ELNS1_3gpuE7ELNS1_3repE0EEENS1_30default_config_static_selectorELNS0_4arch9wavefront6targetE1EEEvT1_.num_vgpr, 0
	.set _ZN7rocprim17ROCPRIM_400000_NS6detail17trampoline_kernelINS0_14default_configENS1_25partition_config_selectorILNS1_17partition_subalgoE9EllbEEZZNS1_14partition_implILS5_9ELb0ES3_jPlS8_PNS0_10empty_typeENS0_5tupleIJS8_S9_EEENSB_IJS8_SA_EEENS0_18inequality_wrapperIZN2at6native12_GLOBAL__N_124unique_dim_cuda_templateIaEESt5tupleIJNSF_6TensorESK_SK_EERKSK_lbbbEUlllE0_EEPmJS9_EEE10hipError_tPvRmT3_T4_T5_T6_T7_T9_mT8_P12ihipStream_tbDpT10_ENKUlT_T0_E_clISt17integral_constantIbLb0EES19_IbLb1EEEEDaS15_S16_EUlS15_E_NS1_11comp_targetILNS1_3genE3ELNS1_11target_archE908ELNS1_3gpuE7ELNS1_3repE0EEENS1_30default_config_static_selectorELNS0_4arch9wavefront6targetE1EEEvT1_.num_agpr, 0
	.set _ZN7rocprim17ROCPRIM_400000_NS6detail17trampoline_kernelINS0_14default_configENS1_25partition_config_selectorILNS1_17partition_subalgoE9EllbEEZZNS1_14partition_implILS5_9ELb0ES3_jPlS8_PNS0_10empty_typeENS0_5tupleIJS8_S9_EEENSB_IJS8_SA_EEENS0_18inequality_wrapperIZN2at6native12_GLOBAL__N_124unique_dim_cuda_templateIaEESt5tupleIJNSF_6TensorESK_SK_EERKSK_lbbbEUlllE0_EEPmJS9_EEE10hipError_tPvRmT3_T4_T5_T6_T7_T9_mT8_P12ihipStream_tbDpT10_ENKUlT_T0_E_clISt17integral_constantIbLb0EES19_IbLb1EEEEDaS15_S16_EUlS15_E_NS1_11comp_targetILNS1_3genE3ELNS1_11target_archE908ELNS1_3gpuE7ELNS1_3repE0EEENS1_30default_config_static_selectorELNS0_4arch9wavefront6targetE1EEEvT1_.numbered_sgpr, 0
	.set _ZN7rocprim17ROCPRIM_400000_NS6detail17trampoline_kernelINS0_14default_configENS1_25partition_config_selectorILNS1_17partition_subalgoE9EllbEEZZNS1_14partition_implILS5_9ELb0ES3_jPlS8_PNS0_10empty_typeENS0_5tupleIJS8_S9_EEENSB_IJS8_SA_EEENS0_18inequality_wrapperIZN2at6native12_GLOBAL__N_124unique_dim_cuda_templateIaEESt5tupleIJNSF_6TensorESK_SK_EERKSK_lbbbEUlllE0_EEPmJS9_EEE10hipError_tPvRmT3_T4_T5_T6_T7_T9_mT8_P12ihipStream_tbDpT10_ENKUlT_T0_E_clISt17integral_constantIbLb0EES19_IbLb1EEEEDaS15_S16_EUlS15_E_NS1_11comp_targetILNS1_3genE3ELNS1_11target_archE908ELNS1_3gpuE7ELNS1_3repE0EEENS1_30default_config_static_selectorELNS0_4arch9wavefront6targetE1EEEvT1_.num_named_barrier, 0
	.set _ZN7rocprim17ROCPRIM_400000_NS6detail17trampoline_kernelINS0_14default_configENS1_25partition_config_selectorILNS1_17partition_subalgoE9EllbEEZZNS1_14partition_implILS5_9ELb0ES3_jPlS8_PNS0_10empty_typeENS0_5tupleIJS8_S9_EEENSB_IJS8_SA_EEENS0_18inequality_wrapperIZN2at6native12_GLOBAL__N_124unique_dim_cuda_templateIaEESt5tupleIJNSF_6TensorESK_SK_EERKSK_lbbbEUlllE0_EEPmJS9_EEE10hipError_tPvRmT3_T4_T5_T6_T7_T9_mT8_P12ihipStream_tbDpT10_ENKUlT_T0_E_clISt17integral_constantIbLb0EES19_IbLb1EEEEDaS15_S16_EUlS15_E_NS1_11comp_targetILNS1_3genE3ELNS1_11target_archE908ELNS1_3gpuE7ELNS1_3repE0EEENS1_30default_config_static_selectorELNS0_4arch9wavefront6targetE1EEEvT1_.private_seg_size, 0
	.set _ZN7rocprim17ROCPRIM_400000_NS6detail17trampoline_kernelINS0_14default_configENS1_25partition_config_selectorILNS1_17partition_subalgoE9EllbEEZZNS1_14partition_implILS5_9ELb0ES3_jPlS8_PNS0_10empty_typeENS0_5tupleIJS8_S9_EEENSB_IJS8_SA_EEENS0_18inequality_wrapperIZN2at6native12_GLOBAL__N_124unique_dim_cuda_templateIaEESt5tupleIJNSF_6TensorESK_SK_EERKSK_lbbbEUlllE0_EEPmJS9_EEE10hipError_tPvRmT3_T4_T5_T6_T7_T9_mT8_P12ihipStream_tbDpT10_ENKUlT_T0_E_clISt17integral_constantIbLb0EES19_IbLb1EEEEDaS15_S16_EUlS15_E_NS1_11comp_targetILNS1_3genE3ELNS1_11target_archE908ELNS1_3gpuE7ELNS1_3repE0EEENS1_30default_config_static_selectorELNS0_4arch9wavefront6targetE1EEEvT1_.uses_vcc, 0
	.set _ZN7rocprim17ROCPRIM_400000_NS6detail17trampoline_kernelINS0_14default_configENS1_25partition_config_selectorILNS1_17partition_subalgoE9EllbEEZZNS1_14partition_implILS5_9ELb0ES3_jPlS8_PNS0_10empty_typeENS0_5tupleIJS8_S9_EEENSB_IJS8_SA_EEENS0_18inequality_wrapperIZN2at6native12_GLOBAL__N_124unique_dim_cuda_templateIaEESt5tupleIJNSF_6TensorESK_SK_EERKSK_lbbbEUlllE0_EEPmJS9_EEE10hipError_tPvRmT3_T4_T5_T6_T7_T9_mT8_P12ihipStream_tbDpT10_ENKUlT_T0_E_clISt17integral_constantIbLb0EES19_IbLb1EEEEDaS15_S16_EUlS15_E_NS1_11comp_targetILNS1_3genE3ELNS1_11target_archE908ELNS1_3gpuE7ELNS1_3repE0EEENS1_30default_config_static_selectorELNS0_4arch9wavefront6targetE1EEEvT1_.uses_flat_scratch, 0
	.set _ZN7rocprim17ROCPRIM_400000_NS6detail17trampoline_kernelINS0_14default_configENS1_25partition_config_selectorILNS1_17partition_subalgoE9EllbEEZZNS1_14partition_implILS5_9ELb0ES3_jPlS8_PNS0_10empty_typeENS0_5tupleIJS8_S9_EEENSB_IJS8_SA_EEENS0_18inequality_wrapperIZN2at6native12_GLOBAL__N_124unique_dim_cuda_templateIaEESt5tupleIJNSF_6TensorESK_SK_EERKSK_lbbbEUlllE0_EEPmJS9_EEE10hipError_tPvRmT3_T4_T5_T6_T7_T9_mT8_P12ihipStream_tbDpT10_ENKUlT_T0_E_clISt17integral_constantIbLb0EES19_IbLb1EEEEDaS15_S16_EUlS15_E_NS1_11comp_targetILNS1_3genE3ELNS1_11target_archE908ELNS1_3gpuE7ELNS1_3repE0EEENS1_30default_config_static_selectorELNS0_4arch9wavefront6targetE1EEEvT1_.has_dyn_sized_stack, 0
	.set _ZN7rocprim17ROCPRIM_400000_NS6detail17trampoline_kernelINS0_14default_configENS1_25partition_config_selectorILNS1_17partition_subalgoE9EllbEEZZNS1_14partition_implILS5_9ELb0ES3_jPlS8_PNS0_10empty_typeENS0_5tupleIJS8_S9_EEENSB_IJS8_SA_EEENS0_18inequality_wrapperIZN2at6native12_GLOBAL__N_124unique_dim_cuda_templateIaEESt5tupleIJNSF_6TensorESK_SK_EERKSK_lbbbEUlllE0_EEPmJS9_EEE10hipError_tPvRmT3_T4_T5_T6_T7_T9_mT8_P12ihipStream_tbDpT10_ENKUlT_T0_E_clISt17integral_constantIbLb0EES19_IbLb1EEEEDaS15_S16_EUlS15_E_NS1_11comp_targetILNS1_3genE3ELNS1_11target_archE908ELNS1_3gpuE7ELNS1_3repE0EEENS1_30default_config_static_selectorELNS0_4arch9wavefront6targetE1EEEvT1_.has_recursion, 0
	.set _ZN7rocprim17ROCPRIM_400000_NS6detail17trampoline_kernelINS0_14default_configENS1_25partition_config_selectorILNS1_17partition_subalgoE9EllbEEZZNS1_14partition_implILS5_9ELb0ES3_jPlS8_PNS0_10empty_typeENS0_5tupleIJS8_S9_EEENSB_IJS8_SA_EEENS0_18inequality_wrapperIZN2at6native12_GLOBAL__N_124unique_dim_cuda_templateIaEESt5tupleIJNSF_6TensorESK_SK_EERKSK_lbbbEUlllE0_EEPmJS9_EEE10hipError_tPvRmT3_T4_T5_T6_T7_T9_mT8_P12ihipStream_tbDpT10_ENKUlT_T0_E_clISt17integral_constantIbLb0EES19_IbLb1EEEEDaS15_S16_EUlS15_E_NS1_11comp_targetILNS1_3genE3ELNS1_11target_archE908ELNS1_3gpuE7ELNS1_3repE0EEENS1_30default_config_static_selectorELNS0_4arch9wavefront6targetE1EEEvT1_.has_indirect_call, 0
	.section	.AMDGPU.csdata,"",@progbits
; Kernel info:
; codeLenInByte = 0
; TotalNumSgprs: 6
; NumVgprs: 0
; NumAgprs: 0
; TotalNumVgprs: 0
; ScratchSize: 0
; MemoryBound: 0
; FloatMode: 240
; IeeeMode: 1
; LDSByteSize: 0 bytes/workgroup (compile time only)
; SGPRBlocks: 0
; VGPRBlocks: 0
; NumSGPRsForWavesPerEU: 6
; NumVGPRsForWavesPerEU: 1
; AccumOffset: 4
; Occupancy: 8
; WaveLimiterHint : 0
; COMPUTE_PGM_RSRC2:SCRATCH_EN: 0
; COMPUTE_PGM_RSRC2:USER_SGPR: 2
; COMPUTE_PGM_RSRC2:TRAP_HANDLER: 0
; COMPUTE_PGM_RSRC2:TGID_X_EN: 1
; COMPUTE_PGM_RSRC2:TGID_Y_EN: 0
; COMPUTE_PGM_RSRC2:TGID_Z_EN: 0
; COMPUTE_PGM_RSRC2:TIDIG_COMP_CNT: 0
; COMPUTE_PGM_RSRC3_GFX90A:ACCUM_OFFSET: 0
; COMPUTE_PGM_RSRC3_GFX90A:TG_SPLIT: 0
	.section	.text._ZN7rocprim17ROCPRIM_400000_NS6detail17trampoline_kernelINS0_14default_configENS1_25partition_config_selectorILNS1_17partition_subalgoE9EllbEEZZNS1_14partition_implILS5_9ELb0ES3_jPlS8_PNS0_10empty_typeENS0_5tupleIJS8_S9_EEENSB_IJS8_SA_EEENS0_18inequality_wrapperIZN2at6native12_GLOBAL__N_124unique_dim_cuda_templateIaEESt5tupleIJNSF_6TensorESK_SK_EERKSK_lbbbEUlllE0_EEPmJS9_EEE10hipError_tPvRmT3_T4_T5_T6_T7_T9_mT8_P12ihipStream_tbDpT10_ENKUlT_T0_E_clISt17integral_constantIbLb0EES19_IbLb1EEEEDaS15_S16_EUlS15_E_NS1_11comp_targetILNS1_3genE2ELNS1_11target_archE906ELNS1_3gpuE6ELNS1_3repE0EEENS1_30default_config_static_selectorELNS0_4arch9wavefront6targetE1EEEvT1_,"axG",@progbits,_ZN7rocprim17ROCPRIM_400000_NS6detail17trampoline_kernelINS0_14default_configENS1_25partition_config_selectorILNS1_17partition_subalgoE9EllbEEZZNS1_14partition_implILS5_9ELb0ES3_jPlS8_PNS0_10empty_typeENS0_5tupleIJS8_S9_EEENSB_IJS8_SA_EEENS0_18inequality_wrapperIZN2at6native12_GLOBAL__N_124unique_dim_cuda_templateIaEESt5tupleIJNSF_6TensorESK_SK_EERKSK_lbbbEUlllE0_EEPmJS9_EEE10hipError_tPvRmT3_T4_T5_T6_T7_T9_mT8_P12ihipStream_tbDpT10_ENKUlT_T0_E_clISt17integral_constantIbLb0EES19_IbLb1EEEEDaS15_S16_EUlS15_E_NS1_11comp_targetILNS1_3genE2ELNS1_11target_archE906ELNS1_3gpuE6ELNS1_3repE0EEENS1_30default_config_static_selectorELNS0_4arch9wavefront6targetE1EEEvT1_,comdat
	.globl	_ZN7rocprim17ROCPRIM_400000_NS6detail17trampoline_kernelINS0_14default_configENS1_25partition_config_selectorILNS1_17partition_subalgoE9EllbEEZZNS1_14partition_implILS5_9ELb0ES3_jPlS8_PNS0_10empty_typeENS0_5tupleIJS8_S9_EEENSB_IJS8_SA_EEENS0_18inequality_wrapperIZN2at6native12_GLOBAL__N_124unique_dim_cuda_templateIaEESt5tupleIJNSF_6TensorESK_SK_EERKSK_lbbbEUlllE0_EEPmJS9_EEE10hipError_tPvRmT3_T4_T5_T6_T7_T9_mT8_P12ihipStream_tbDpT10_ENKUlT_T0_E_clISt17integral_constantIbLb0EES19_IbLb1EEEEDaS15_S16_EUlS15_E_NS1_11comp_targetILNS1_3genE2ELNS1_11target_archE906ELNS1_3gpuE6ELNS1_3repE0EEENS1_30default_config_static_selectorELNS0_4arch9wavefront6targetE1EEEvT1_ ; -- Begin function _ZN7rocprim17ROCPRIM_400000_NS6detail17trampoline_kernelINS0_14default_configENS1_25partition_config_selectorILNS1_17partition_subalgoE9EllbEEZZNS1_14partition_implILS5_9ELb0ES3_jPlS8_PNS0_10empty_typeENS0_5tupleIJS8_S9_EEENSB_IJS8_SA_EEENS0_18inequality_wrapperIZN2at6native12_GLOBAL__N_124unique_dim_cuda_templateIaEESt5tupleIJNSF_6TensorESK_SK_EERKSK_lbbbEUlllE0_EEPmJS9_EEE10hipError_tPvRmT3_T4_T5_T6_T7_T9_mT8_P12ihipStream_tbDpT10_ENKUlT_T0_E_clISt17integral_constantIbLb0EES19_IbLb1EEEEDaS15_S16_EUlS15_E_NS1_11comp_targetILNS1_3genE2ELNS1_11target_archE906ELNS1_3gpuE6ELNS1_3repE0EEENS1_30default_config_static_selectorELNS0_4arch9wavefront6targetE1EEEvT1_
	.p2align	8
	.type	_ZN7rocprim17ROCPRIM_400000_NS6detail17trampoline_kernelINS0_14default_configENS1_25partition_config_selectorILNS1_17partition_subalgoE9EllbEEZZNS1_14partition_implILS5_9ELb0ES3_jPlS8_PNS0_10empty_typeENS0_5tupleIJS8_S9_EEENSB_IJS8_SA_EEENS0_18inequality_wrapperIZN2at6native12_GLOBAL__N_124unique_dim_cuda_templateIaEESt5tupleIJNSF_6TensorESK_SK_EERKSK_lbbbEUlllE0_EEPmJS9_EEE10hipError_tPvRmT3_T4_T5_T6_T7_T9_mT8_P12ihipStream_tbDpT10_ENKUlT_T0_E_clISt17integral_constantIbLb0EES19_IbLb1EEEEDaS15_S16_EUlS15_E_NS1_11comp_targetILNS1_3genE2ELNS1_11target_archE906ELNS1_3gpuE6ELNS1_3repE0EEENS1_30default_config_static_selectorELNS0_4arch9wavefront6targetE1EEEvT1_,@function
_ZN7rocprim17ROCPRIM_400000_NS6detail17trampoline_kernelINS0_14default_configENS1_25partition_config_selectorILNS1_17partition_subalgoE9EllbEEZZNS1_14partition_implILS5_9ELb0ES3_jPlS8_PNS0_10empty_typeENS0_5tupleIJS8_S9_EEENSB_IJS8_SA_EEENS0_18inequality_wrapperIZN2at6native12_GLOBAL__N_124unique_dim_cuda_templateIaEESt5tupleIJNSF_6TensorESK_SK_EERKSK_lbbbEUlllE0_EEPmJS9_EEE10hipError_tPvRmT3_T4_T5_T6_T7_T9_mT8_P12ihipStream_tbDpT10_ENKUlT_T0_E_clISt17integral_constantIbLb0EES19_IbLb1EEEEDaS15_S16_EUlS15_E_NS1_11comp_targetILNS1_3genE2ELNS1_11target_archE906ELNS1_3gpuE6ELNS1_3repE0EEENS1_30default_config_static_selectorELNS0_4arch9wavefront6targetE1EEEvT1_: ; @_ZN7rocprim17ROCPRIM_400000_NS6detail17trampoline_kernelINS0_14default_configENS1_25partition_config_selectorILNS1_17partition_subalgoE9EllbEEZZNS1_14partition_implILS5_9ELb0ES3_jPlS8_PNS0_10empty_typeENS0_5tupleIJS8_S9_EEENSB_IJS8_SA_EEENS0_18inequality_wrapperIZN2at6native12_GLOBAL__N_124unique_dim_cuda_templateIaEESt5tupleIJNSF_6TensorESK_SK_EERKSK_lbbbEUlllE0_EEPmJS9_EEE10hipError_tPvRmT3_T4_T5_T6_T7_T9_mT8_P12ihipStream_tbDpT10_ENKUlT_T0_E_clISt17integral_constantIbLb0EES19_IbLb1EEEEDaS15_S16_EUlS15_E_NS1_11comp_targetILNS1_3genE2ELNS1_11target_archE906ELNS1_3gpuE6ELNS1_3repE0EEENS1_30default_config_static_selectorELNS0_4arch9wavefront6targetE1EEEvT1_
; %bb.0:
	.section	.rodata,"a",@progbits
	.p2align	6, 0x0
	.amdhsa_kernel _ZN7rocprim17ROCPRIM_400000_NS6detail17trampoline_kernelINS0_14default_configENS1_25partition_config_selectorILNS1_17partition_subalgoE9EllbEEZZNS1_14partition_implILS5_9ELb0ES3_jPlS8_PNS0_10empty_typeENS0_5tupleIJS8_S9_EEENSB_IJS8_SA_EEENS0_18inequality_wrapperIZN2at6native12_GLOBAL__N_124unique_dim_cuda_templateIaEESt5tupleIJNSF_6TensorESK_SK_EERKSK_lbbbEUlllE0_EEPmJS9_EEE10hipError_tPvRmT3_T4_T5_T6_T7_T9_mT8_P12ihipStream_tbDpT10_ENKUlT_T0_E_clISt17integral_constantIbLb0EES19_IbLb1EEEEDaS15_S16_EUlS15_E_NS1_11comp_targetILNS1_3genE2ELNS1_11target_archE906ELNS1_3gpuE6ELNS1_3repE0EEENS1_30default_config_static_selectorELNS0_4arch9wavefront6targetE1EEEvT1_
		.amdhsa_group_segment_fixed_size 0
		.amdhsa_private_segment_fixed_size 0
		.amdhsa_kernarg_size 136
		.amdhsa_user_sgpr_count 2
		.amdhsa_user_sgpr_dispatch_ptr 0
		.amdhsa_user_sgpr_queue_ptr 0
		.amdhsa_user_sgpr_kernarg_segment_ptr 1
		.amdhsa_user_sgpr_dispatch_id 0
		.amdhsa_user_sgpr_kernarg_preload_length 0
		.amdhsa_user_sgpr_kernarg_preload_offset 0
		.amdhsa_user_sgpr_private_segment_size 0
		.amdhsa_uses_dynamic_stack 0
		.amdhsa_enable_private_segment 0
		.amdhsa_system_sgpr_workgroup_id_x 1
		.amdhsa_system_sgpr_workgroup_id_y 0
		.amdhsa_system_sgpr_workgroup_id_z 0
		.amdhsa_system_sgpr_workgroup_info 0
		.amdhsa_system_vgpr_workitem_id 0
		.amdhsa_next_free_vgpr 1
		.amdhsa_next_free_sgpr 0
		.amdhsa_accum_offset 4
		.amdhsa_reserve_vcc 0
		.amdhsa_float_round_mode_32 0
		.amdhsa_float_round_mode_16_64 0
		.amdhsa_float_denorm_mode_32 3
		.amdhsa_float_denorm_mode_16_64 3
		.amdhsa_dx10_clamp 1
		.amdhsa_ieee_mode 1
		.amdhsa_fp16_overflow 0
		.amdhsa_tg_split 0
		.amdhsa_exception_fp_ieee_invalid_op 0
		.amdhsa_exception_fp_denorm_src 0
		.amdhsa_exception_fp_ieee_div_zero 0
		.amdhsa_exception_fp_ieee_overflow 0
		.amdhsa_exception_fp_ieee_underflow 0
		.amdhsa_exception_fp_ieee_inexact 0
		.amdhsa_exception_int_div_zero 0
	.end_amdhsa_kernel
	.section	.text._ZN7rocprim17ROCPRIM_400000_NS6detail17trampoline_kernelINS0_14default_configENS1_25partition_config_selectorILNS1_17partition_subalgoE9EllbEEZZNS1_14partition_implILS5_9ELb0ES3_jPlS8_PNS0_10empty_typeENS0_5tupleIJS8_S9_EEENSB_IJS8_SA_EEENS0_18inequality_wrapperIZN2at6native12_GLOBAL__N_124unique_dim_cuda_templateIaEESt5tupleIJNSF_6TensorESK_SK_EERKSK_lbbbEUlllE0_EEPmJS9_EEE10hipError_tPvRmT3_T4_T5_T6_T7_T9_mT8_P12ihipStream_tbDpT10_ENKUlT_T0_E_clISt17integral_constantIbLb0EES19_IbLb1EEEEDaS15_S16_EUlS15_E_NS1_11comp_targetILNS1_3genE2ELNS1_11target_archE906ELNS1_3gpuE6ELNS1_3repE0EEENS1_30default_config_static_selectorELNS0_4arch9wavefront6targetE1EEEvT1_,"axG",@progbits,_ZN7rocprim17ROCPRIM_400000_NS6detail17trampoline_kernelINS0_14default_configENS1_25partition_config_selectorILNS1_17partition_subalgoE9EllbEEZZNS1_14partition_implILS5_9ELb0ES3_jPlS8_PNS0_10empty_typeENS0_5tupleIJS8_S9_EEENSB_IJS8_SA_EEENS0_18inequality_wrapperIZN2at6native12_GLOBAL__N_124unique_dim_cuda_templateIaEESt5tupleIJNSF_6TensorESK_SK_EERKSK_lbbbEUlllE0_EEPmJS9_EEE10hipError_tPvRmT3_T4_T5_T6_T7_T9_mT8_P12ihipStream_tbDpT10_ENKUlT_T0_E_clISt17integral_constantIbLb0EES19_IbLb1EEEEDaS15_S16_EUlS15_E_NS1_11comp_targetILNS1_3genE2ELNS1_11target_archE906ELNS1_3gpuE6ELNS1_3repE0EEENS1_30default_config_static_selectorELNS0_4arch9wavefront6targetE1EEEvT1_,comdat
.Lfunc_end379:
	.size	_ZN7rocprim17ROCPRIM_400000_NS6detail17trampoline_kernelINS0_14default_configENS1_25partition_config_selectorILNS1_17partition_subalgoE9EllbEEZZNS1_14partition_implILS5_9ELb0ES3_jPlS8_PNS0_10empty_typeENS0_5tupleIJS8_S9_EEENSB_IJS8_SA_EEENS0_18inequality_wrapperIZN2at6native12_GLOBAL__N_124unique_dim_cuda_templateIaEESt5tupleIJNSF_6TensorESK_SK_EERKSK_lbbbEUlllE0_EEPmJS9_EEE10hipError_tPvRmT3_T4_T5_T6_T7_T9_mT8_P12ihipStream_tbDpT10_ENKUlT_T0_E_clISt17integral_constantIbLb0EES19_IbLb1EEEEDaS15_S16_EUlS15_E_NS1_11comp_targetILNS1_3genE2ELNS1_11target_archE906ELNS1_3gpuE6ELNS1_3repE0EEENS1_30default_config_static_selectorELNS0_4arch9wavefront6targetE1EEEvT1_, .Lfunc_end379-_ZN7rocprim17ROCPRIM_400000_NS6detail17trampoline_kernelINS0_14default_configENS1_25partition_config_selectorILNS1_17partition_subalgoE9EllbEEZZNS1_14partition_implILS5_9ELb0ES3_jPlS8_PNS0_10empty_typeENS0_5tupleIJS8_S9_EEENSB_IJS8_SA_EEENS0_18inequality_wrapperIZN2at6native12_GLOBAL__N_124unique_dim_cuda_templateIaEESt5tupleIJNSF_6TensorESK_SK_EERKSK_lbbbEUlllE0_EEPmJS9_EEE10hipError_tPvRmT3_T4_T5_T6_T7_T9_mT8_P12ihipStream_tbDpT10_ENKUlT_T0_E_clISt17integral_constantIbLb0EES19_IbLb1EEEEDaS15_S16_EUlS15_E_NS1_11comp_targetILNS1_3genE2ELNS1_11target_archE906ELNS1_3gpuE6ELNS1_3repE0EEENS1_30default_config_static_selectorELNS0_4arch9wavefront6targetE1EEEvT1_
                                        ; -- End function
	.set _ZN7rocprim17ROCPRIM_400000_NS6detail17trampoline_kernelINS0_14default_configENS1_25partition_config_selectorILNS1_17partition_subalgoE9EllbEEZZNS1_14partition_implILS5_9ELb0ES3_jPlS8_PNS0_10empty_typeENS0_5tupleIJS8_S9_EEENSB_IJS8_SA_EEENS0_18inequality_wrapperIZN2at6native12_GLOBAL__N_124unique_dim_cuda_templateIaEESt5tupleIJNSF_6TensorESK_SK_EERKSK_lbbbEUlllE0_EEPmJS9_EEE10hipError_tPvRmT3_T4_T5_T6_T7_T9_mT8_P12ihipStream_tbDpT10_ENKUlT_T0_E_clISt17integral_constantIbLb0EES19_IbLb1EEEEDaS15_S16_EUlS15_E_NS1_11comp_targetILNS1_3genE2ELNS1_11target_archE906ELNS1_3gpuE6ELNS1_3repE0EEENS1_30default_config_static_selectorELNS0_4arch9wavefront6targetE1EEEvT1_.num_vgpr, 0
	.set _ZN7rocprim17ROCPRIM_400000_NS6detail17trampoline_kernelINS0_14default_configENS1_25partition_config_selectorILNS1_17partition_subalgoE9EllbEEZZNS1_14partition_implILS5_9ELb0ES3_jPlS8_PNS0_10empty_typeENS0_5tupleIJS8_S9_EEENSB_IJS8_SA_EEENS0_18inequality_wrapperIZN2at6native12_GLOBAL__N_124unique_dim_cuda_templateIaEESt5tupleIJNSF_6TensorESK_SK_EERKSK_lbbbEUlllE0_EEPmJS9_EEE10hipError_tPvRmT3_T4_T5_T6_T7_T9_mT8_P12ihipStream_tbDpT10_ENKUlT_T0_E_clISt17integral_constantIbLb0EES19_IbLb1EEEEDaS15_S16_EUlS15_E_NS1_11comp_targetILNS1_3genE2ELNS1_11target_archE906ELNS1_3gpuE6ELNS1_3repE0EEENS1_30default_config_static_selectorELNS0_4arch9wavefront6targetE1EEEvT1_.num_agpr, 0
	.set _ZN7rocprim17ROCPRIM_400000_NS6detail17trampoline_kernelINS0_14default_configENS1_25partition_config_selectorILNS1_17partition_subalgoE9EllbEEZZNS1_14partition_implILS5_9ELb0ES3_jPlS8_PNS0_10empty_typeENS0_5tupleIJS8_S9_EEENSB_IJS8_SA_EEENS0_18inequality_wrapperIZN2at6native12_GLOBAL__N_124unique_dim_cuda_templateIaEESt5tupleIJNSF_6TensorESK_SK_EERKSK_lbbbEUlllE0_EEPmJS9_EEE10hipError_tPvRmT3_T4_T5_T6_T7_T9_mT8_P12ihipStream_tbDpT10_ENKUlT_T0_E_clISt17integral_constantIbLb0EES19_IbLb1EEEEDaS15_S16_EUlS15_E_NS1_11comp_targetILNS1_3genE2ELNS1_11target_archE906ELNS1_3gpuE6ELNS1_3repE0EEENS1_30default_config_static_selectorELNS0_4arch9wavefront6targetE1EEEvT1_.numbered_sgpr, 0
	.set _ZN7rocprim17ROCPRIM_400000_NS6detail17trampoline_kernelINS0_14default_configENS1_25partition_config_selectorILNS1_17partition_subalgoE9EllbEEZZNS1_14partition_implILS5_9ELb0ES3_jPlS8_PNS0_10empty_typeENS0_5tupleIJS8_S9_EEENSB_IJS8_SA_EEENS0_18inequality_wrapperIZN2at6native12_GLOBAL__N_124unique_dim_cuda_templateIaEESt5tupleIJNSF_6TensorESK_SK_EERKSK_lbbbEUlllE0_EEPmJS9_EEE10hipError_tPvRmT3_T4_T5_T6_T7_T9_mT8_P12ihipStream_tbDpT10_ENKUlT_T0_E_clISt17integral_constantIbLb0EES19_IbLb1EEEEDaS15_S16_EUlS15_E_NS1_11comp_targetILNS1_3genE2ELNS1_11target_archE906ELNS1_3gpuE6ELNS1_3repE0EEENS1_30default_config_static_selectorELNS0_4arch9wavefront6targetE1EEEvT1_.num_named_barrier, 0
	.set _ZN7rocprim17ROCPRIM_400000_NS6detail17trampoline_kernelINS0_14default_configENS1_25partition_config_selectorILNS1_17partition_subalgoE9EllbEEZZNS1_14partition_implILS5_9ELb0ES3_jPlS8_PNS0_10empty_typeENS0_5tupleIJS8_S9_EEENSB_IJS8_SA_EEENS0_18inequality_wrapperIZN2at6native12_GLOBAL__N_124unique_dim_cuda_templateIaEESt5tupleIJNSF_6TensorESK_SK_EERKSK_lbbbEUlllE0_EEPmJS9_EEE10hipError_tPvRmT3_T4_T5_T6_T7_T9_mT8_P12ihipStream_tbDpT10_ENKUlT_T0_E_clISt17integral_constantIbLb0EES19_IbLb1EEEEDaS15_S16_EUlS15_E_NS1_11comp_targetILNS1_3genE2ELNS1_11target_archE906ELNS1_3gpuE6ELNS1_3repE0EEENS1_30default_config_static_selectorELNS0_4arch9wavefront6targetE1EEEvT1_.private_seg_size, 0
	.set _ZN7rocprim17ROCPRIM_400000_NS6detail17trampoline_kernelINS0_14default_configENS1_25partition_config_selectorILNS1_17partition_subalgoE9EllbEEZZNS1_14partition_implILS5_9ELb0ES3_jPlS8_PNS0_10empty_typeENS0_5tupleIJS8_S9_EEENSB_IJS8_SA_EEENS0_18inequality_wrapperIZN2at6native12_GLOBAL__N_124unique_dim_cuda_templateIaEESt5tupleIJNSF_6TensorESK_SK_EERKSK_lbbbEUlllE0_EEPmJS9_EEE10hipError_tPvRmT3_T4_T5_T6_T7_T9_mT8_P12ihipStream_tbDpT10_ENKUlT_T0_E_clISt17integral_constantIbLb0EES19_IbLb1EEEEDaS15_S16_EUlS15_E_NS1_11comp_targetILNS1_3genE2ELNS1_11target_archE906ELNS1_3gpuE6ELNS1_3repE0EEENS1_30default_config_static_selectorELNS0_4arch9wavefront6targetE1EEEvT1_.uses_vcc, 0
	.set _ZN7rocprim17ROCPRIM_400000_NS6detail17trampoline_kernelINS0_14default_configENS1_25partition_config_selectorILNS1_17partition_subalgoE9EllbEEZZNS1_14partition_implILS5_9ELb0ES3_jPlS8_PNS0_10empty_typeENS0_5tupleIJS8_S9_EEENSB_IJS8_SA_EEENS0_18inequality_wrapperIZN2at6native12_GLOBAL__N_124unique_dim_cuda_templateIaEESt5tupleIJNSF_6TensorESK_SK_EERKSK_lbbbEUlllE0_EEPmJS9_EEE10hipError_tPvRmT3_T4_T5_T6_T7_T9_mT8_P12ihipStream_tbDpT10_ENKUlT_T0_E_clISt17integral_constantIbLb0EES19_IbLb1EEEEDaS15_S16_EUlS15_E_NS1_11comp_targetILNS1_3genE2ELNS1_11target_archE906ELNS1_3gpuE6ELNS1_3repE0EEENS1_30default_config_static_selectorELNS0_4arch9wavefront6targetE1EEEvT1_.uses_flat_scratch, 0
	.set _ZN7rocprim17ROCPRIM_400000_NS6detail17trampoline_kernelINS0_14default_configENS1_25partition_config_selectorILNS1_17partition_subalgoE9EllbEEZZNS1_14partition_implILS5_9ELb0ES3_jPlS8_PNS0_10empty_typeENS0_5tupleIJS8_S9_EEENSB_IJS8_SA_EEENS0_18inequality_wrapperIZN2at6native12_GLOBAL__N_124unique_dim_cuda_templateIaEESt5tupleIJNSF_6TensorESK_SK_EERKSK_lbbbEUlllE0_EEPmJS9_EEE10hipError_tPvRmT3_T4_T5_T6_T7_T9_mT8_P12ihipStream_tbDpT10_ENKUlT_T0_E_clISt17integral_constantIbLb0EES19_IbLb1EEEEDaS15_S16_EUlS15_E_NS1_11comp_targetILNS1_3genE2ELNS1_11target_archE906ELNS1_3gpuE6ELNS1_3repE0EEENS1_30default_config_static_selectorELNS0_4arch9wavefront6targetE1EEEvT1_.has_dyn_sized_stack, 0
	.set _ZN7rocprim17ROCPRIM_400000_NS6detail17trampoline_kernelINS0_14default_configENS1_25partition_config_selectorILNS1_17partition_subalgoE9EllbEEZZNS1_14partition_implILS5_9ELb0ES3_jPlS8_PNS0_10empty_typeENS0_5tupleIJS8_S9_EEENSB_IJS8_SA_EEENS0_18inequality_wrapperIZN2at6native12_GLOBAL__N_124unique_dim_cuda_templateIaEESt5tupleIJNSF_6TensorESK_SK_EERKSK_lbbbEUlllE0_EEPmJS9_EEE10hipError_tPvRmT3_T4_T5_T6_T7_T9_mT8_P12ihipStream_tbDpT10_ENKUlT_T0_E_clISt17integral_constantIbLb0EES19_IbLb1EEEEDaS15_S16_EUlS15_E_NS1_11comp_targetILNS1_3genE2ELNS1_11target_archE906ELNS1_3gpuE6ELNS1_3repE0EEENS1_30default_config_static_selectorELNS0_4arch9wavefront6targetE1EEEvT1_.has_recursion, 0
	.set _ZN7rocprim17ROCPRIM_400000_NS6detail17trampoline_kernelINS0_14default_configENS1_25partition_config_selectorILNS1_17partition_subalgoE9EllbEEZZNS1_14partition_implILS5_9ELb0ES3_jPlS8_PNS0_10empty_typeENS0_5tupleIJS8_S9_EEENSB_IJS8_SA_EEENS0_18inequality_wrapperIZN2at6native12_GLOBAL__N_124unique_dim_cuda_templateIaEESt5tupleIJNSF_6TensorESK_SK_EERKSK_lbbbEUlllE0_EEPmJS9_EEE10hipError_tPvRmT3_T4_T5_T6_T7_T9_mT8_P12ihipStream_tbDpT10_ENKUlT_T0_E_clISt17integral_constantIbLb0EES19_IbLb1EEEEDaS15_S16_EUlS15_E_NS1_11comp_targetILNS1_3genE2ELNS1_11target_archE906ELNS1_3gpuE6ELNS1_3repE0EEENS1_30default_config_static_selectorELNS0_4arch9wavefront6targetE1EEEvT1_.has_indirect_call, 0
	.section	.AMDGPU.csdata,"",@progbits
; Kernel info:
; codeLenInByte = 0
; TotalNumSgprs: 6
; NumVgprs: 0
; NumAgprs: 0
; TotalNumVgprs: 0
; ScratchSize: 0
; MemoryBound: 0
; FloatMode: 240
; IeeeMode: 1
; LDSByteSize: 0 bytes/workgroup (compile time only)
; SGPRBlocks: 0
; VGPRBlocks: 0
; NumSGPRsForWavesPerEU: 6
; NumVGPRsForWavesPerEU: 1
; AccumOffset: 4
; Occupancy: 8
; WaveLimiterHint : 0
; COMPUTE_PGM_RSRC2:SCRATCH_EN: 0
; COMPUTE_PGM_RSRC2:USER_SGPR: 2
; COMPUTE_PGM_RSRC2:TRAP_HANDLER: 0
; COMPUTE_PGM_RSRC2:TGID_X_EN: 1
; COMPUTE_PGM_RSRC2:TGID_Y_EN: 0
; COMPUTE_PGM_RSRC2:TGID_Z_EN: 0
; COMPUTE_PGM_RSRC2:TIDIG_COMP_CNT: 0
; COMPUTE_PGM_RSRC3_GFX90A:ACCUM_OFFSET: 0
; COMPUTE_PGM_RSRC3_GFX90A:TG_SPLIT: 0
	.section	.text._ZN7rocprim17ROCPRIM_400000_NS6detail17trampoline_kernelINS0_14default_configENS1_25partition_config_selectorILNS1_17partition_subalgoE9EllbEEZZNS1_14partition_implILS5_9ELb0ES3_jPlS8_PNS0_10empty_typeENS0_5tupleIJS8_S9_EEENSB_IJS8_SA_EEENS0_18inequality_wrapperIZN2at6native12_GLOBAL__N_124unique_dim_cuda_templateIaEESt5tupleIJNSF_6TensorESK_SK_EERKSK_lbbbEUlllE0_EEPmJS9_EEE10hipError_tPvRmT3_T4_T5_T6_T7_T9_mT8_P12ihipStream_tbDpT10_ENKUlT_T0_E_clISt17integral_constantIbLb0EES19_IbLb1EEEEDaS15_S16_EUlS15_E_NS1_11comp_targetILNS1_3genE10ELNS1_11target_archE1200ELNS1_3gpuE4ELNS1_3repE0EEENS1_30default_config_static_selectorELNS0_4arch9wavefront6targetE1EEEvT1_,"axG",@progbits,_ZN7rocprim17ROCPRIM_400000_NS6detail17trampoline_kernelINS0_14default_configENS1_25partition_config_selectorILNS1_17partition_subalgoE9EllbEEZZNS1_14partition_implILS5_9ELb0ES3_jPlS8_PNS0_10empty_typeENS0_5tupleIJS8_S9_EEENSB_IJS8_SA_EEENS0_18inequality_wrapperIZN2at6native12_GLOBAL__N_124unique_dim_cuda_templateIaEESt5tupleIJNSF_6TensorESK_SK_EERKSK_lbbbEUlllE0_EEPmJS9_EEE10hipError_tPvRmT3_T4_T5_T6_T7_T9_mT8_P12ihipStream_tbDpT10_ENKUlT_T0_E_clISt17integral_constantIbLb0EES19_IbLb1EEEEDaS15_S16_EUlS15_E_NS1_11comp_targetILNS1_3genE10ELNS1_11target_archE1200ELNS1_3gpuE4ELNS1_3repE0EEENS1_30default_config_static_selectorELNS0_4arch9wavefront6targetE1EEEvT1_,comdat
	.globl	_ZN7rocprim17ROCPRIM_400000_NS6detail17trampoline_kernelINS0_14default_configENS1_25partition_config_selectorILNS1_17partition_subalgoE9EllbEEZZNS1_14partition_implILS5_9ELb0ES3_jPlS8_PNS0_10empty_typeENS0_5tupleIJS8_S9_EEENSB_IJS8_SA_EEENS0_18inequality_wrapperIZN2at6native12_GLOBAL__N_124unique_dim_cuda_templateIaEESt5tupleIJNSF_6TensorESK_SK_EERKSK_lbbbEUlllE0_EEPmJS9_EEE10hipError_tPvRmT3_T4_T5_T6_T7_T9_mT8_P12ihipStream_tbDpT10_ENKUlT_T0_E_clISt17integral_constantIbLb0EES19_IbLb1EEEEDaS15_S16_EUlS15_E_NS1_11comp_targetILNS1_3genE10ELNS1_11target_archE1200ELNS1_3gpuE4ELNS1_3repE0EEENS1_30default_config_static_selectorELNS0_4arch9wavefront6targetE1EEEvT1_ ; -- Begin function _ZN7rocprim17ROCPRIM_400000_NS6detail17trampoline_kernelINS0_14default_configENS1_25partition_config_selectorILNS1_17partition_subalgoE9EllbEEZZNS1_14partition_implILS5_9ELb0ES3_jPlS8_PNS0_10empty_typeENS0_5tupleIJS8_S9_EEENSB_IJS8_SA_EEENS0_18inequality_wrapperIZN2at6native12_GLOBAL__N_124unique_dim_cuda_templateIaEESt5tupleIJNSF_6TensorESK_SK_EERKSK_lbbbEUlllE0_EEPmJS9_EEE10hipError_tPvRmT3_T4_T5_T6_T7_T9_mT8_P12ihipStream_tbDpT10_ENKUlT_T0_E_clISt17integral_constantIbLb0EES19_IbLb1EEEEDaS15_S16_EUlS15_E_NS1_11comp_targetILNS1_3genE10ELNS1_11target_archE1200ELNS1_3gpuE4ELNS1_3repE0EEENS1_30default_config_static_selectorELNS0_4arch9wavefront6targetE1EEEvT1_
	.p2align	8
	.type	_ZN7rocprim17ROCPRIM_400000_NS6detail17trampoline_kernelINS0_14default_configENS1_25partition_config_selectorILNS1_17partition_subalgoE9EllbEEZZNS1_14partition_implILS5_9ELb0ES3_jPlS8_PNS0_10empty_typeENS0_5tupleIJS8_S9_EEENSB_IJS8_SA_EEENS0_18inequality_wrapperIZN2at6native12_GLOBAL__N_124unique_dim_cuda_templateIaEESt5tupleIJNSF_6TensorESK_SK_EERKSK_lbbbEUlllE0_EEPmJS9_EEE10hipError_tPvRmT3_T4_T5_T6_T7_T9_mT8_P12ihipStream_tbDpT10_ENKUlT_T0_E_clISt17integral_constantIbLb0EES19_IbLb1EEEEDaS15_S16_EUlS15_E_NS1_11comp_targetILNS1_3genE10ELNS1_11target_archE1200ELNS1_3gpuE4ELNS1_3repE0EEENS1_30default_config_static_selectorELNS0_4arch9wavefront6targetE1EEEvT1_,@function
_ZN7rocprim17ROCPRIM_400000_NS6detail17trampoline_kernelINS0_14default_configENS1_25partition_config_selectorILNS1_17partition_subalgoE9EllbEEZZNS1_14partition_implILS5_9ELb0ES3_jPlS8_PNS0_10empty_typeENS0_5tupleIJS8_S9_EEENSB_IJS8_SA_EEENS0_18inequality_wrapperIZN2at6native12_GLOBAL__N_124unique_dim_cuda_templateIaEESt5tupleIJNSF_6TensorESK_SK_EERKSK_lbbbEUlllE0_EEPmJS9_EEE10hipError_tPvRmT3_T4_T5_T6_T7_T9_mT8_P12ihipStream_tbDpT10_ENKUlT_T0_E_clISt17integral_constantIbLb0EES19_IbLb1EEEEDaS15_S16_EUlS15_E_NS1_11comp_targetILNS1_3genE10ELNS1_11target_archE1200ELNS1_3gpuE4ELNS1_3repE0EEENS1_30default_config_static_selectorELNS0_4arch9wavefront6targetE1EEEvT1_: ; @_ZN7rocprim17ROCPRIM_400000_NS6detail17trampoline_kernelINS0_14default_configENS1_25partition_config_selectorILNS1_17partition_subalgoE9EllbEEZZNS1_14partition_implILS5_9ELb0ES3_jPlS8_PNS0_10empty_typeENS0_5tupleIJS8_S9_EEENSB_IJS8_SA_EEENS0_18inequality_wrapperIZN2at6native12_GLOBAL__N_124unique_dim_cuda_templateIaEESt5tupleIJNSF_6TensorESK_SK_EERKSK_lbbbEUlllE0_EEPmJS9_EEE10hipError_tPvRmT3_T4_T5_T6_T7_T9_mT8_P12ihipStream_tbDpT10_ENKUlT_T0_E_clISt17integral_constantIbLb0EES19_IbLb1EEEEDaS15_S16_EUlS15_E_NS1_11comp_targetILNS1_3genE10ELNS1_11target_archE1200ELNS1_3gpuE4ELNS1_3repE0EEENS1_30default_config_static_selectorELNS0_4arch9wavefront6targetE1EEEvT1_
; %bb.0:
	.section	.rodata,"a",@progbits
	.p2align	6, 0x0
	.amdhsa_kernel _ZN7rocprim17ROCPRIM_400000_NS6detail17trampoline_kernelINS0_14default_configENS1_25partition_config_selectorILNS1_17partition_subalgoE9EllbEEZZNS1_14partition_implILS5_9ELb0ES3_jPlS8_PNS0_10empty_typeENS0_5tupleIJS8_S9_EEENSB_IJS8_SA_EEENS0_18inequality_wrapperIZN2at6native12_GLOBAL__N_124unique_dim_cuda_templateIaEESt5tupleIJNSF_6TensorESK_SK_EERKSK_lbbbEUlllE0_EEPmJS9_EEE10hipError_tPvRmT3_T4_T5_T6_T7_T9_mT8_P12ihipStream_tbDpT10_ENKUlT_T0_E_clISt17integral_constantIbLb0EES19_IbLb1EEEEDaS15_S16_EUlS15_E_NS1_11comp_targetILNS1_3genE10ELNS1_11target_archE1200ELNS1_3gpuE4ELNS1_3repE0EEENS1_30default_config_static_selectorELNS0_4arch9wavefront6targetE1EEEvT1_
		.amdhsa_group_segment_fixed_size 0
		.amdhsa_private_segment_fixed_size 0
		.amdhsa_kernarg_size 136
		.amdhsa_user_sgpr_count 2
		.amdhsa_user_sgpr_dispatch_ptr 0
		.amdhsa_user_sgpr_queue_ptr 0
		.amdhsa_user_sgpr_kernarg_segment_ptr 1
		.amdhsa_user_sgpr_dispatch_id 0
		.amdhsa_user_sgpr_kernarg_preload_length 0
		.amdhsa_user_sgpr_kernarg_preload_offset 0
		.amdhsa_user_sgpr_private_segment_size 0
		.amdhsa_uses_dynamic_stack 0
		.amdhsa_enable_private_segment 0
		.amdhsa_system_sgpr_workgroup_id_x 1
		.amdhsa_system_sgpr_workgroup_id_y 0
		.amdhsa_system_sgpr_workgroup_id_z 0
		.amdhsa_system_sgpr_workgroup_info 0
		.amdhsa_system_vgpr_workitem_id 0
		.amdhsa_next_free_vgpr 1
		.amdhsa_next_free_sgpr 0
		.amdhsa_accum_offset 4
		.amdhsa_reserve_vcc 0
		.amdhsa_float_round_mode_32 0
		.amdhsa_float_round_mode_16_64 0
		.amdhsa_float_denorm_mode_32 3
		.amdhsa_float_denorm_mode_16_64 3
		.amdhsa_dx10_clamp 1
		.amdhsa_ieee_mode 1
		.amdhsa_fp16_overflow 0
		.amdhsa_tg_split 0
		.amdhsa_exception_fp_ieee_invalid_op 0
		.amdhsa_exception_fp_denorm_src 0
		.amdhsa_exception_fp_ieee_div_zero 0
		.amdhsa_exception_fp_ieee_overflow 0
		.amdhsa_exception_fp_ieee_underflow 0
		.amdhsa_exception_fp_ieee_inexact 0
		.amdhsa_exception_int_div_zero 0
	.end_amdhsa_kernel
	.section	.text._ZN7rocprim17ROCPRIM_400000_NS6detail17trampoline_kernelINS0_14default_configENS1_25partition_config_selectorILNS1_17partition_subalgoE9EllbEEZZNS1_14partition_implILS5_9ELb0ES3_jPlS8_PNS0_10empty_typeENS0_5tupleIJS8_S9_EEENSB_IJS8_SA_EEENS0_18inequality_wrapperIZN2at6native12_GLOBAL__N_124unique_dim_cuda_templateIaEESt5tupleIJNSF_6TensorESK_SK_EERKSK_lbbbEUlllE0_EEPmJS9_EEE10hipError_tPvRmT3_T4_T5_T6_T7_T9_mT8_P12ihipStream_tbDpT10_ENKUlT_T0_E_clISt17integral_constantIbLb0EES19_IbLb1EEEEDaS15_S16_EUlS15_E_NS1_11comp_targetILNS1_3genE10ELNS1_11target_archE1200ELNS1_3gpuE4ELNS1_3repE0EEENS1_30default_config_static_selectorELNS0_4arch9wavefront6targetE1EEEvT1_,"axG",@progbits,_ZN7rocprim17ROCPRIM_400000_NS6detail17trampoline_kernelINS0_14default_configENS1_25partition_config_selectorILNS1_17partition_subalgoE9EllbEEZZNS1_14partition_implILS5_9ELb0ES3_jPlS8_PNS0_10empty_typeENS0_5tupleIJS8_S9_EEENSB_IJS8_SA_EEENS0_18inequality_wrapperIZN2at6native12_GLOBAL__N_124unique_dim_cuda_templateIaEESt5tupleIJNSF_6TensorESK_SK_EERKSK_lbbbEUlllE0_EEPmJS9_EEE10hipError_tPvRmT3_T4_T5_T6_T7_T9_mT8_P12ihipStream_tbDpT10_ENKUlT_T0_E_clISt17integral_constantIbLb0EES19_IbLb1EEEEDaS15_S16_EUlS15_E_NS1_11comp_targetILNS1_3genE10ELNS1_11target_archE1200ELNS1_3gpuE4ELNS1_3repE0EEENS1_30default_config_static_selectorELNS0_4arch9wavefront6targetE1EEEvT1_,comdat
.Lfunc_end380:
	.size	_ZN7rocprim17ROCPRIM_400000_NS6detail17trampoline_kernelINS0_14default_configENS1_25partition_config_selectorILNS1_17partition_subalgoE9EllbEEZZNS1_14partition_implILS5_9ELb0ES3_jPlS8_PNS0_10empty_typeENS0_5tupleIJS8_S9_EEENSB_IJS8_SA_EEENS0_18inequality_wrapperIZN2at6native12_GLOBAL__N_124unique_dim_cuda_templateIaEESt5tupleIJNSF_6TensorESK_SK_EERKSK_lbbbEUlllE0_EEPmJS9_EEE10hipError_tPvRmT3_T4_T5_T6_T7_T9_mT8_P12ihipStream_tbDpT10_ENKUlT_T0_E_clISt17integral_constantIbLb0EES19_IbLb1EEEEDaS15_S16_EUlS15_E_NS1_11comp_targetILNS1_3genE10ELNS1_11target_archE1200ELNS1_3gpuE4ELNS1_3repE0EEENS1_30default_config_static_selectorELNS0_4arch9wavefront6targetE1EEEvT1_, .Lfunc_end380-_ZN7rocprim17ROCPRIM_400000_NS6detail17trampoline_kernelINS0_14default_configENS1_25partition_config_selectorILNS1_17partition_subalgoE9EllbEEZZNS1_14partition_implILS5_9ELb0ES3_jPlS8_PNS0_10empty_typeENS0_5tupleIJS8_S9_EEENSB_IJS8_SA_EEENS0_18inequality_wrapperIZN2at6native12_GLOBAL__N_124unique_dim_cuda_templateIaEESt5tupleIJNSF_6TensorESK_SK_EERKSK_lbbbEUlllE0_EEPmJS9_EEE10hipError_tPvRmT3_T4_T5_T6_T7_T9_mT8_P12ihipStream_tbDpT10_ENKUlT_T0_E_clISt17integral_constantIbLb0EES19_IbLb1EEEEDaS15_S16_EUlS15_E_NS1_11comp_targetILNS1_3genE10ELNS1_11target_archE1200ELNS1_3gpuE4ELNS1_3repE0EEENS1_30default_config_static_selectorELNS0_4arch9wavefront6targetE1EEEvT1_
                                        ; -- End function
	.set _ZN7rocprim17ROCPRIM_400000_NS6detail17trampoline_kernelINS0_14default_configENS1_25partition_config_selectorILNS1_17partition_subalgoE9EllbEEZZNS1_14partition_implILS5_9ELb0ES3_jPlS8_PNS0_10empty_typeENS0_5tupleIJS8_S9_EEENSB_IJS8_SA_EEENS0_18inequality_wrapperIZN2at6native12_GLOBAL__N_124unique_dim_cuda_templateIaEESt5tupleIJNSF_6TensorESK_SK_EERKSK_lbbbEUlllE0_EEPmJS9_EEE10hipError_tPvRmT3_T4_T5_T6_T7_T9_mT8_P12ihipStream_tbDpT10_ENKUlT_T0_E_clISt17integral_constantIbLb0EES19_IbLb1EEEEDaS15_S16_EUlS15_E_NS1_11comp_targetILNS1_3genE10ELNS1_11target_archE1200ELNS1_3gpuE4ELNS1_3repE0EEENS1_30default_config_static_selectorELNS0_4arch9wavefront6targetE1EEEvT1_.num_vgpr, 0
	.set _ZN7rocprim17ROCPRIM_400000_NS6detail17trampoline_kernelINS0_14default_configENS1_25partition_config_selectorILNS1_17partition_subalgoE9EllbEEZZNS1_14partition_implILS5_9ELb0ES3_jPlS8_PNS0_10empty_typeENS0_5tupleIJS8_S9_EEENSB_IJS8_SA_EEENS0_18inequality_wrapperIZN2at6native12_GLOBAL__N_124unique_dim_cuda_templateIaEESt5tupleIJNSF_6TensorESK_SK_EERKSK_lbbbEUlllE0_EEPmJS9_EEE10hipError_tPvRmT3_T4_T5_T6_T7_T9_mT8_P12ihipStream_tbDpT10_ENKUlT_T0_E_clISt17integral_constantIbLb0EES19_IbLb1EEEEDaS15_S16_EUlS15_E_NS1_11comp_targetILNS1_3genE10ELNS1_11target_archE1200ELNS1_3gpuE4ELNS1_3repE0EEENS1_30default_config_static_selectorELNS0_4arch9wavefront6targetE1EEEvT1_.num_agpr, 0
	.set _ZN7rocprim17ROCPRIM_400000_NS6detail17trampoline_kernelINS0_14default_configENS1_25partition_config_selectorILNS1_17partition_subalgoE9EllbEEZZNS1_14partition_implILS5_9ELb0ES3_jPlS8_PNS0_10empty_typeENS0_5tupleIJS8_S9_EEENSB_IJS8_SA_EEENS0_18inequality_wrapperIZN2at6native12_GLOBAL__N_124unique_dim_cuda_templateIaEESt5tupleIJNSF_6TensorESK_SK_EERKSK_lbbbEUlllE0_EEPmJS9_EEE10hipError_tPvRmT3_T4_T5_T6_T7_T9_mT8_P12ihipStream_tbDpT10_ENKUlT_T0_E_clISt17integral_constantIbLb0EES19_IbLb1EEEEDaS15_S16_EUlS15_E_NS1_11comp_targetILNS1_3genE10ELNS1_11target_archE1200ELNS1_3gpuE4ELNS1_3repE0EEENS1_30default_config_static_selectorELNS0_4arch9wavefront6targetE1EEEvT1_.numbered_sgpr, 0
	.set _ZN7rocprim17ROCPRIM_400000_NS6detail17trampoline_kernelINS0_14default_configENS1_25partition_config_selectorILNS1_17partition_subalgoE9EllbEEZZNS1_14partition_implILS5_9ELb0ES3_jPlS8_PNS0_10empty_typeENS0_5tupleIJS8_S9_EEENSB_IJS8_SA_EEENS0_18inequality_wrapperIZN2at6native12_GLOBAL__N_124unique_dim_cuda_templateIaEESt5tupleIJNSF_6TensorESK_SK_EERKSK_lbbbEUlllE0_EEPmJS9_EEE10hipError_tPvRmT3_T4_T5_T6_T7_T9_mT8_P12ihipStream_tbDpT10_ENKUlT_T0_E_clISt17integral_constantIbLb0EES19_IbLb1EEEEDaS15_S16_EUlS15_E_NS1_11comp_targetILNS1_3genE10ELNS1_11target_archE1200ELNS1_3gpuE4ELNS1_3repE0EEENS1_30default_config_static_selectorELNS0_4arch9wavefront6targetE1EEEvT1_.num_named_barrier, 0
	.set _ZN7rocprim17ROCPRIM_400000_NS6detail17trampoline_kernelINS0_14default_configENS1_25partition_config_selectorILNS1_17partition_subalgoE9EllbEEZZNS1_14partition_implILS5_9ELb0ES3_jPlS8_PNS0_10empty_typeENS0_5tupleIJS8_S9_EEENSB_IJS8_SA_EEENS0_18inequality_wrapperIZN2at6native12_GLOBAL__N_124unique_dim_cuda_templateIaEESt5tupleIJNSF_6TensorESK_SK_EERKSK_lbbbEUlllE0_EEPmJS9_EEE10hipError_tPvRmT3_T4_T5_T6_T7_T9_mT8_P12ihipStream_tbDpT10_ENKUlT_T0_E_clISt17integral_constantIbLb0EES19_IbLb1EEEEDaS15_S16_EUlS15_E_NS1_11comp_targetILNS1_3genE10ELNS1_11target_archE1200ELNS1_3gpuE4ELNS1_3repE0EEENS1_30default_config_static_selectorELNS0_4arch9wavefront6targetE1EEEvT1_.private_seg_size, 0
	.set _ZN7rocprim17ROCPRIM_400000_NS6detail17trampoline_kernelINS0_14default_configENS1_25partition_config_selectorILNS1_17partition_subalgoE9EllbEEZZNS1_14partition_implILS5_9ELb0ES3_jPlS8_PNS0_10empty_typeENS0_5tupleIJS8_S9_EEENSB_IJS8_SA_EEENS0_18inequality_wrapperIZN2at6native12_GLOBAL__N_124unique_dim_cuda_templateIaEESt5tupleIJNSF_6TensorESK_SK_EERKSK_lbbbEUlllE0_EEPmJS9_EEE10hipError_tPvRmT3_T4_T5_T6_T7_T9_mT8_P12ihipStream_tbDpT10_ENKUlT_T0_E_clISt17integral_constantIbLb0EES19_IbLb1EEEEDaS15_S16_EUlS15_E_NS1_11comp_targetILNS1_3genE10ELNS1_11target_archE1200ELNS1_3gpuE4ELNS1_3repE0EEENS1_30default_config_static_selectorELNS0_4arch9wavefront6targetE1EEEvT1_.uses_vcc, 0
	.set _ZN7rocprim17ROCPRIM_400000_NS6detail17trampoline_kernelINS0_14default_configENS1_25partition_config_selectorILNS1_17partition_subalgoE9EllbEEZZNS1_14partition_implILS5_9ELb0ES3_jPlS8_PNS0_10empty_typeENS0_5tupleIJS8_S9_EEENSB_IJS8_SA_EEENS0_18inequality_wrapperIZN2at6native12_GLOBAL__N_124unique_dim_cuda_templateIaEESt5tupleIJNSF_6TensorESK_SK_EERKSK_lbbbEUlllE0_EEPmJS9_EEE10hipError_tPvRmT3_T4_T5_T6_T7_T9_mT8_P12ihipStream_tbDpT10_ENKUlT_T0_E_clISt17integral_constantIbLb0EES19_IbLb1EEEEDaS15_S16_EUlS15_E_NS1_11comp_targetILNS1_3genE10ELNS1_11target_archE1200ELNS1_3gpuE4ELNS1_3repE0EEENS1_30default_config_static_selectorELNS0_4arch9wavefront6targetE1EEEvT1_.uses_flat_scratch, 0
	.set _ZN7rocprim17ROCPRIM_400000_NS6detail17trampoline_kernelINS0_14default_configENS1_25partition_config_selectorILNS1_17partition_subalgoE9EllbEEZZNS1_14partition_implILS5_9ELb0ES3_jPlS8_PNS0_10empty_typeENS0_5tupleIJS8_S9_EEENSB_IJS8_SA_EEENS0_18inequality_wrapperIZN2at6native12_GLOBAL__N_124unique_dim_cuda_templateIaEESt5tupleIJNSF_6TensorESK_SK_EERKSK_lbbbEUlllE0_EEPmJS9_EEE10hipError_tPvRmT3_T4_T5_T6_T7_T9_mT8_P12ihipStream_tbDpT10_ENKUlT_T0_E_clISt17integral_constantIbLb0EES19_IbLb1EEEEDaS15_S16_EUlS15_E_NS1_11comp_targetILNS1_3genE10ELNS1_11target_archE1200ELNS1_3gpuE4ELNS1_3repE0EEENS1_30default_config_static_selectorELNS0_4arch9wavefront6targetE1EEEvT1_.has_dyn_sized_stack, 0
	.set _ZN7rocprim17ROCPRIM_400000_NS6detail17trampoline_kernelINS0_14default_configENS1_25partition_config_selectorILNS1_17partition_subalgoE9EllbEEZZNS1_14partition_implILS5_9ELb0ES3_jPlS8_PNS0_10empty_typeENS0_5tupleIJS8_S9_EEENSB_IJS8_SA_EEENS0_18inequality_wrapperIZN2at6native12_GLOBAL__N_124unique_dim_cuda_templateIaEESt5tupleIJNSF_6TensorESK_SK_EERKSK_lbbbEUlllE0_EEPmJS9_EEE10hipError_tPvRmT3_T4_T5_T6_T7_T9_mT8_P12ihipStream_tbDpT10_ENKUlT_T0_E_clISt17integral_constantIbLb0EES19_IbLb1EEEEDaS15_S16_EUlS15_E_NS1_11comp_targetILNS1_3genE10ELNS1_11target_archE1200ELNS1_3gpuE4ELNS1_3repE0EEENS1_30default_config_static_selectorELNS0_4arch9wavefront6targetE1EEEvT1_.has_recursion, 0
	.set _ZN7rocprim17ROCPRIM_400000_NS6detail17trampoline_kernelINS0_14default_configENS1_25partition_config_selectorILNS1_17partition_subalgoE9EllbEEZZNS1_14partition_implILS5_9ELb0ES3_jPlS8_PNS0_10empty_typeENS0_5tupleIJS8_S9_EEENSB_IJS8_SA_EEENS0_18inequality_wrapperIZN2at6native12_GLOBAL__N_124unique_dim_cuda_templateIaEESt5tupleIJNSF_6TensorESK_SK_EERKSK_lbbbEUlllE0_EEPmJS9_EEE10hipError_tPvRmT3_T4_T5_T6_T7_T9_mT8_P12ihipStream_tbDpT10_ENKUlT_T0_E_clISt17integral_constantIbLb0EES19_IbLb1EEEEDaS15_S16_EUlS15_E_NS1_11comp_targetILNS1_3genE10ELNS1_11target_archE1200ELNS1_3gpuE4ELNS1_3repE0EEENS1_30default_config_static_selectorELNS0_4arch9wavefront6targetE1EEEvT1_.has_indirect_call, 0
	.section	.AMDGPU.csdata,"",@progbits
; Kernel info:
; codeLenInByte = 0
; TotalNumSgprs: 6
; NumVgprs: 0
; NumAgprs: 0
; TotalNumVgprs: 0
; ScratchSize: 0
; MemoryBound: 0
; FloatMode: 240
; IeeeMode: 1
; LDSByteSize: 0 bytes/workgroup (compile time only)
; SGPRBlocks: 0
; VGPRBlocks: 0
; NumSGPRsForWavesPerEU: 6
; NumVGPRsForWavesPerEU: 1
; AccumOffset: 4
; Occupancy: 8
; WaveLimiterHint : 0
; COMPUTE_PGM_RSRC2:SCRATCH_EN: 0
; COMPUTE_PGM_RSRC2:USER_SGPR: 2
; COMPUTE_PGM_RSRC2:TRAP_HANDLER: 0
; COMPUTE_PGM_RSRC2:TGID_X_EN: 1
; COMPUTE_PGM_RSRC2:TGID_Y_EN: 0
; COMPUTE_PGM_RSRC2:TGID_Z_EN: 0
; COMPUTE_PGM_RSRC2:TIDIG_COMP_CNT: 0
; COMPUTE_PGM_RSRC3_GFX90A:ACCUM_OFFSET: 0
; COMPUTE_PGM_RSRC3_GFX90A:TG_SPLIT: 0
	.section	.text._ZN7rocprim17ROCPRIM_400000_NS6detail17trampoline_kernelINS0_14default_configENS1_25partition_config_selectorILNS1_17partition_subalgoE9EllbEEZZNS1_14partition_implILS5_9ELb0ES3_jPlS8_PNS0_10empty_typeENS0_5tupleIJS8_S9_EEENSB_IJS8_SA_EEENS0_18inequality_wrapperIZN2at6native12_GLOBAL__N_124unique_dim_cuda_templateIaEESt5tupleIJNSF_6TensorESK_SK_EERKSK_lbbbEUlllE0_EEPmJS9_EEE10hipError_tPvRmT3_T4_T5_T6_T7_T9_mT8_P12ihipStream_tbDpT10_ENKUlT_T0_E_clISt17integral_constantIbLb0EES19_IbLb1EEEEDaS15_S16_EUlS15_E_NS1_11comp_targetILNS1_3genE9ELNS1_11target_archE1100ELNS1_3gpuE3ELNS1_3repE0EEENS1_30default_config_static_selectorELNS0_4arch9wavefront6targetE1EEEvT1_,"axG",@progbits,_ZN7rocprim17ROCPRIM_400000_NS6detail17trampoline_kernelINS0_14default_configENS1_25partition_config_selectorILNS1_17partition_subalgoE9EllbEEZZNS1_14partition_implILS5_9ELb0ES3_jPlS8_PNS0_10empty_typeENS0_5tupleIJS8_S9_EEENSB_IJS8_SA_EEENS0_18inequality_wrapperIZN2at6native12_GLOBAL__N_124unique_dim_cuda_templateIaEESt5tupleIJNSF_6TensorESK_SK_EERKSK_lbbbEUlllE0_EEPmJS9_EEE10hipError_tPvRmT3_T4_T5_T6_T7_T9_mT8_P12ihipStream_tbDpT10_ENKUlT_T0_E_clISt17integral_constantIbLb0EES19_IbLb1EEEEDaS15_S16_EUlS15_E_NS1_11comp_targetILNS1_3genE9ELNS1_11target_archE1100ELNS1_3gpuE3ELNS1_3repE0EEENS1_30default_config_static_selectorELNS0_4arch9wavefront6targetE1EEEvT1_,comdat
	.globl	_ZN7rocprim17ROCPRIM_400000_NS6detail17trampoline_kernelINS0_14default_configENS1_25partition_config_selectorILNS1_17partition_subalgoE9EllbEEZZNS1_14partition_implILS5_9ELb0ES3_jPlS8_PNS0_10empty_typeENS0_5tupleIJS8_S9_EEENSB_IJS8_SA_EEENS0_18inequality_wrapperIZN2at6native12_GLOBAL__N_124unique_dim_cuda_templateIaEESt5tupleIJNSF_6TensorESK_SK_EERKSK_lbbbEUlllE0_EEPmJS9_EEE10hipError_tPvRmT3_T4_T5_T6_T7_T9_mT8_P12ihipStream_tbDpT10_ENKUlT_T0_E_clISt17integral_constantIbLb0EES19_IbLb1EEEEDaS15_S16_EUlS15_E_NS1_11comp_targetILNS1_3genE9ELNS1_11target_archE1100ELNS1_3gpuE3ELNS1_3repE0EEENS1_30default_config_static_selectorELNS0_4arch9wavefront6targetE1EEEvT1_ ; -- Begin function _ZN7rocprim17ROCPRIM_400000_NS6detail17trampoline_kernelINS0_14default_configENS1_25partition_config_selectorILNS1_17partition_subalgoE9EllbEEZZNS1_14partition_implILS5_9ELb0ES3_jPlS8_PNS0_10empty_typeENS0_5tupleIJS8_S9_EEENSB_IJS8_SA_EEENS0_18inequality_wrapperIZN2at6native12_GLOBAL__N_124unique_dim_cuda_templateIaEESt5tupleIJNSF_6TensorESK_SK_EERKSK_lbbbEUlllE0_EEPmJS9_EEE10hipError_tPvRmT3_T4_T5_T6_T7_T9_mT8_P12ihipStream_tbDpT10_ENKUlT_T0_E_clISt17integral_constantIbLb0EES19_IbLb1EEEEDaS15_S16_EUlS15_E_NS1_11comp_targetILNS1_3genE9ELNS1_11target_archE1100ELNS1_3gpuE3ELNS1_3repE0EEENS1_30default_config_static_selectorELNS0_4arch9wavefront6targetE1EEEvT1_
	.p2align	8
	.type	_ZN7rocprim17ROCPRIM_400000_NS6detail17trampoline_kernelINS0_14default_configENS1_25partition_config_selectorILNS1_17partition_subalgoE9EllbEEZZNS1_14partition_implILS5_9ELb0ES3_jPlS8_PNS0_10empty_typeENS0_5tupleIJS8_S9_EEENSB_IJS8_SA_EEENS0_18inequality_wrapperIZN2at6native12_GLOBAL__N_124unique_dim_cuda_templateIaEESt5tupleIJNSF_6TensorESK_SK_EERKSK_lbbbEUlllE0_EEPmJS9_EEE10hipError_tPvRmT3_T4_T5_T6_T7_T9_mT8_P12ihipStream_tbDpT10_ENKUlT_T0_E_clISt17integral_constantIbLb0EES19_IbLb1EEEEDaS15_S16_EUlS15_E_NS1_11comp_targetILNS1_3genE9ELNS1_11target_archE1100ELNS1_3gpuE3ELNS1_3repE0EEENS1_30default_config_static_selectorELNS0_4arch9wavefront6targetE1EEEvT1_,@function
_ZN7rocprim17ROCPRIM_400000_NS6detail17trampoline_kernelINS0_14default_configENS1_25partition_config_selectorILNS1_17partition_subalgoE9EllbEEZZNS1_14partition_implILS5_9ELb0ES3_jPlS8_PNS0_10empty_typeENS0_5tupleIJS8_S9_EEENSB_IJS8_SA_EEENS0_18inequality_wrapperIZN2at6native12_GLOBAL__N_124unique_dim_cuda_templateIaEESt5tupleIJNSF_6TensorESK_SK_EERKSK_lbbbEUlllE0_EEPmJS9_EEE10hipError_tPvRmT3_T4_T5_T6_T7_T9_mT8_P12ihipStream_tbDpT10_ENKUlT_T0_E_clISt17integral_constantIbLb0EES19_IbLb1EEEEDaS15_S16_EUlS15_E_NS1_11comp_targetILNS1_3genE9ELNS1_11target_archE1100ELNS1_3gpuE3ELNS1_3repE0EEENS1_30default_config_static_selectorELNS0_4arch9wavefront6targetE1EEEvT1_: ; @_ZN7rocprim17ROCPRIM_400000_NS6detail17trampoline_kernelINS0_14default_configENS1_25partition_config_selectorILNS1_17partition_subalgoE9EllbEEZZNS1_14partition_implILS5_9ELb0ES3_jPlS8_PNS0_10empty_typeENS0_5tupleIJS8_S9_EEENSB_IJS8_SA_EEENS0_18inequality_wrapperIZN2at6native12_GLOBAL__N_124unique_dim_cuda_templateIaEESt5tupleIJNSF_6TensorESK_SK_EERKSK_lbbbEUlllE0_EEPmJS9_EEE10hipError_tPvRmT3_T4_T5_T6_T7_T9_mT8_P12ihipStream_tbDpT10_ENKUlT_T0_E_clISt17integral_constantIbLb0EES19_IbLb1EEEEDaS15_S16_EUlS15_E_NS1_11comp_targetILNS1_3genE9ELNS1_11target_archE1100ELNS1_3gpuE3ELNS1_3repE0EEENS1_30default_config_static_selectorELNS0_4arch9wavefront6targetE1EEEvT1_
; %bb.0:
	.section	.rodata,"a",@progbits
	.p2align	6, 0x0
	.amdhsa_kernel _ZN7rocprim17ROCPRIM_400000_NS6detail17trampoline_kernelINS0_14default_configENS1_25partition_config_selectorILNS1_17partition_subalgoE9EllbEEZZNS1_14partition_implILS5_9ELb0ES3_jPlS8_PNS0_10empty_typeENS0_5tupleIJS8_S9_EEENSB_IJS8_SA_EEENS0_18inequality_wrapperIZN2at6native12_GLOBAL__N_124unique_dim_cuda_templateIaEESt5tupleIJNSF_6TensorESK_SK_EERKSK_lbbbEUlllE0_EEPmJS9_EEE10hipError_tPvRmT3_T4_T5_T6_T7_T9_mT8_P12ihipStream_tbDpT10_ENKUlT_T0_E_clISt17integral_constantIbLb0EES19_IbLb1EEEEDaS15_S16_EUlS15_E_NS1_11comp_targetILNS1_3genE9ELNS1_11target_archE1100ELNS1_3gpuE3ELNS1_3repE0EEENS1_30default_config_static_selectorELNS0_4arch9wavefront6targetE1EEEvT1_
		.amdhsa_group_segment_fixed_size 0
		.amdhsa_private_segment_fixed_size 0
		.amdhsa_kernarg_size 136
		.amdhsa_user_sgpr_count 2
		.amdhsa_user_sgpr_dispatch_ptr 0
		.amdhsa_user_sgpr_queue_ptr 0
		.amdhsa_user_sgpr_kernarg_segment_ptr 1
		.amdhsa_user_sgpr_dispatch_id 0
		.amdhsa_user_sgpr_kernarg_preload_length 0
		.amdhsa_user_sgpr_kernarg_preload_offset 0
		.amdhsa_user_sgpr_private_segment_size 0
		.amdhsa_uses_dynamic_stack 0
		.amdhsa_enable_private_segment 0
		.amdhsa_system_sgpr_workgroup_id_x 1
		.amdhsa_system_sgpr_workgroup_id_y 0
		.amdhsa_system_sgpr_workgroup_id_z 0
		.amdhsa_system_sgpr_workgroup_info 0
		.amdhsa_system_vgpr_workitem_id 0
		.amdhsa_next_free_vgpr 1
		.amdhsa_next_free_sgpr 0
		.amdhsa_accum_offset 4
		.amdhsa_reserve_vcc 0
		.amdhsa_float_round_mode_32 0
		.amdhsa_float_round_mode_16_64 0
		.amdhsa_float_denorm_mode_32 3
		.amdhsa_float_denorm_mode_16_64 3
		.amdhsa_dx10_clamp 1
		.amdhsa_ieee_mode 1
		.amdhsa_fp16_overflow 0
		.amdhsa_tg_split 0
		.amdhsa_exception_fp_ieee_invalid_op 0
		.amdhsa_exception_fp_denorm_src 0
		.amdhsa_exception_fp_ieee_div_zero 0
		.amdhsa_exception_fp_ieee_overflow 0
		.amdhsa_exception_fp_ieee_underflow 0
		.amdhsa_exception_fp_ieee_inexact 0
		.amdhsa_exception_int_div_zero 0
	.end_amdhsa_kernel
	.section	.text._ZN7rocprim17ROCPRIM_400000_NS6detail17trampoline_kernelINS0_14default_configENS1_25partition_config_selectorILNS1_17partition_subalgoE9EllbEEZZNS1_14partition_implILS5_9ELb0ES3_jPlS8_PNS0_10empty_typeENS0_5tupleIJS8_S9_EEENSB_IJS8_SA_EEENS0_18inequality_wrapperIZN2at6native12_GLOBAL__N_124unique_dim_cuda_templateIaEESt5tupleIJNSF_6TensorESK_SK_EERKSK_lbbbEUlllE0_EEPmJS9_EEE10hipError_tPvRmT3_T4_T5_T6_T7_T9_mT8_P12ihipStream_tbDpT10_ENKUlT_T0_E_clISt17integral_constantIbLb0EES19_IbLb1EEEEDaS15_S16_EUlS15_E_NS1_11comp_targetILNS1_3genE9ELNS1_11target_archE1100ELNS1_3gpuE3ELNS1_3repE0EEENS1_30default_config_static_selectorELNS0_4arch9wavefront6targetE1EEEvT1_,"axG",@progbits,_ZN7rocprim17ROCPRIM_400000_NS6detail17trampoline_kernelINS0_14default_configENS1_25partition_config_selectorILNS1_17partition_subalgoE9EllbEEZZNS1_14partition_implILS5_9ELb0ES3_jPlS8_PNS0_10empty_typeENS0_5tupleIJS8_S9_EEENSB_IJS8_SA_EEENS0_18inequality_wrapperIZN2at6native12_GLOBAL__N_124unique_dim_cuda_templateIaEESt5tupleIJNSF_6TensorESK_SK_EERKSK_lbbbEUlllE0_EEPmJS9_EEE10hipError_tPvRmT3_T4_T5_T6_T7_T9_mT8_P12ihipStream_tbDpT10_ENKUlT_T0_E_clISt17integral_constantIbLb0EES19_IbLb1EEEEDaS15_S16_EUlS15_E_NS1_11comp_targetILNS1_3genE9ELNS1_11target_archE1100ELNS1_3gpuE3ELNS1_3repE0EEENS1_30default_config_static_selectorELNS0_4arch9wavefront6targetE1EEEvT1_,comdat
.Lfunc_end381:
	.size	_ZN7rocprim17ROCPRIM_400000_NS6detail17trampoline_kernelINS0_14default_configENS1_25partition_config_selectorILNS1_17partition_subalgoE9EllbEEZZNS1_14partition_implILS5_9ELb0ES3_jPlS8_PNS0_10empty_typeENS0_5tupleIJS8_S9_EEENSB_IJS8_SA_EEENS0_18inequality_wrapperIZN2at6native12_GLOBAL__N_124unique_dim_cuda_templateIaEESt5tupleIJNSF_6TensorESK_SK_EERKSK_lbbbEUlllE0_EEPmJS9_EEE10hipError_tPvRmT3_T4_T5_T6_T7_T9_mT8_P12ihipStream_tbDpT10_ENKUlT_T0_E_clISt17integral_constantIbLb0EES19_IbLb1EEEEDaS15_S16_EUlS15_E_NS1_11comp_targetILNS1_3genE9ELNS1_11target_archE1100ELNS1_3gpuE3ELNS1_3repE0EEENS1_30default_config_static_selectorELNS0_4arch9wavefront6targetE1EEEvT1_, .Lfunc_end381-_ZN7rocprim17ROCPRIM_400000_NS6detail17trampoline_kernelINS0_14default_configENS1_25partition_config_selectorILNS1_17partition_subalgoE9EllbEEZZNS1_14partition_implILS5_9ELb0ES3_jPlS8_PNS0_10empty_typeENS0_5tupleIJS8_S9_EEENSB_IJS8_SA_EEENS0_18inequality_wrapperIZN2at6native12_GLOBAL__N_124unique_dim_cuda_templateIaEESt5tupleIJNSF_6TensorESK_SK_EERKSK_lbbbEUlllE0_EEPmJS9_EEE10hipError_tPvRmT3_T4_T5_T6_T7_T9_mT8_P12ihipStream_tbDpT10_ENKUlT_T0_E_clISt17integral_constantIbLb0EES19_IbLb1EEEEDaS15_S16_EUlS15_E_NS1_11comp_targetILNS1_3genE9ELNS1_11target_archE1100ELNS1_3gpuE3ELNS1_3repE0EEENS1_30default_config_static_selectorELNS0_4arch9wavefront6targetE1EEEvT1_
                                        ; -- End function
	.set _ZN7rocprim17ROCPRIM_400000_NS6detail17trampoline_kernelINS0_14default_configENS1_25partition_config_selectorILNS1_17partition_subalgoE9EllbEEZZNS1_14partition_implILS5_9ELb0ES3_jPlS8_PNS0_10empty_typeENS0_5tupleIJS8_S9_EEENSB_IJS8_SA_EEENS0_18inequality_wrapperIZN2at6native12_GLOBAL__N_124unique_dim_cuda_templateIaEESt5tupleIJNSF_6TensorESK_SK_EERKSK_lbbbEUlllE0_EEPmJS9_EEE10hipError_tPvRmT3_T4_T5_T6_T7_T9_mT8_P12ihipStream_tbDpT10_ENKUlT_T0_E_clISt17integral_constantIbLb0EES19_IbLb1EEEEDaS15_S16_EUlS15_E_NS1_11comp_targetILNS1_3genE9ELNS1_11target_archE1100ELNS1_3gpuE3ELNS1_3repE0EEENS1_30default_config_static_selectorELNS0_4arch9wavefront6targetE1EEEvT1_.num_vgpr, 0
	.set _ZN7rocprim17ROCPRIM_400000_NS6detail17trampoline_kernelINS0_14default_configENS1_25partition_config_selectorILNS1_17partition_subalgoE9EllbEEZZNS1_14partition_implILS5_9ELb0ES3_jPlS8_PNS0_10empty_typeENS0_5tupleIJS8_S9_EEENSB_IJS8_SA_EEENS0_18inequality_wrapperIZN2at6native12_GLOBAL__N_124unique_dim_cuda_templateIaEESt5tupleIJNSF_6TensorESK_SK_EERKSK_lbbbEUlllE0_EEPmJS9_EEE10hipError_tPvRmT3_T4_T5_T6_T7_T9_mT8_P12ihipStream_tbDpT10_ENKUlT_T0_E_clISt17integral_constantIbLb0EES19_IbLb1EEEEDaS15_S16_EUlS15_E_NS1_11comp_targetILNS1_3genE9ELNS1_11target_archE1100ELNS1_3gpuE3ELNS1_3repE0EEENS1_30default_config_static_selectorELNS0_4arch9wavefront6targetE1EEEvT1_.num_agpr, 0
	.set _ZN7rocprim17ROCPRIM_400000_NS6detail17trampoline_kernelINS0_14default_configENS1_25partition_config_selectorILNS1_17partition_subalgoE9EllbEEZZNS1_14partition_implILS5_9ELb0ES3_jPlS8_PNS0_10empty_typeENS0_5tupleIJS8_S9_EEENSB_IJS8_SA_EEENS0_18inequality_wrapperIZN2at6native12_GLOBAL__N_124unique_dim_cuda_templateIaEESt5tupleIJNSF_6TensorESK_SK_EERKSK_lbbbEUlllE0_EEPmJS9_EEE10hipError_tPvRmT3_T4_T5_T6_T7_T9_mT8_P12ihipStream_tbDpT10_ENKUlT_T0_E_clISt17integral_constantIbLb0EES19_IbLb1EEEEDaS15_S16_EUlS15_E_NS1_11comp_targetILNS1_3genE9ELNS1_11target_archE1100ELNS1_3gpuE3ELNS1_3repE0EEENS1_30default_config_static_selectorELNS0_4arch9wavefront6targetE1EEEvT1_.numbered_sgpr, 0
	.set _ZN7rocprim17ROCPRIM_400000_NS6detail17trampoline_kernelINS0_14default_configENS1_25partition_config_selectorILNS1_17partition_subalgoE9EllbEEZZNS1_14partition_implILS5_9ELb0ES3_jPlS8_PNS0_10empty_typeENS0_5tupleIJS8_S9_EEENSB_IJS8_SA_EEENS0_18inequality_wrapperIZN2at6native12_GLOBAL__N_124unique_dim_cuda_templateIaEESt5tupleIJNSF_6TensorESK_SK_EERKSK_lbbbEUlllE0_EEPmJS9_EEE10hipError_tPvRmT3_T4_T5_T6_T7_T9_mT8_P12ihipStream_tbDpT10_ENKUlT_T0_E_clISt17integral_constantIbLb0EES19_IbLb1EEEEDaS15_S16_EUlS15_E_NS1_11comp_targetILNS1_3genE9ELNS1_11target_archE1100ELNS1_3gpuE3ELNS1_3repE0EEENS1_30default_config_static_selectorELNS0_4arch9wavefront6targetE1EEEvT1_.num_named_barrier, 0
	.set _ZN7rocprim17ROCPRIM_400000_NS6detail17trampoline_kernelINS0_14default_configENS1_25partition_config_selectorILNS1_17partition_subalgoE9EllbEEZZNS1_14partition_implILS5_9ELb0ES3_jPlS8_PNS0_10empty_typeENS0_5tupleIJS8_S9_EEENSB_IJS8_SA_EEENS0_18inequality_wrapperIZN2at6native12_GLOBAL__N_124unique_dim_cuda_templateIaEESt5tupleIJNSF_6TensorESK_SK_EERKSK_lbbbEUlllE0_EEPmJS9_EEE10hipError_tPvRmT3_T4_T5_T6_T7_T9_mT8_P12ihipStream_tbDpT10_ENKUlT_T0_E_clISt17integral_constantIbLb0EES19_IbLb1EEEEDaS15_S16_EUlS15_E_NS1_11comp_targetILNS1_3genE9ELNS1_11target_archE1100ELNS1_3gpuE3ELNS1_3repE0EEENS1_30default_config_static_selectorELNS0_4arch9wavefront6targetE1EEEvT1_.private_seg_size, 0
	.set _ZN7rocprim17ROCPRIM_400000_NS6detail17trampoline_kernelINS0_14default_configENS1_25partition_config_selectorILNS1_17partition_subalgoE9EllbEEZZNS1_14partition_implILS5_9ELb0ES3_jPlS8_PNS0_10empty_typeENS0_5tupleIJS8_S9_EEENSB_IJS8_SA_EEENS0_18inequality_wrapperIZN2at6native12_GLOBAL__N_124unique_dim_cuda_templateIaEESt5tupleIJNSF_6TensorESK_SK_EERKSK_lbbbEUlllE0_EEPmJS9_EEE10hipError_tPvRmT3_T4_T5_T6_T7_T9_mT8_P12ihipStream_tbDpT10_ENKUlT_T0_E_clISt17integral_constantIbLb0EES19_IbLb1EEEEDaS15_S16_EUlS15_E_NS1_11comp_targetILNS1_3genE9ELNS1_11target_archE1100ELNS1_3gpuE3ELNS1_3repE0EEENS1_30default_config_static_selectorELNS0_4arch9wavefront6targetE1EEEvT1_.uses_vcc, 0
	.set _ZN7rocprim17ROCPRIM_400000_NS6detail17trampoline_kernelINS0_14default_configENS1_25partition_config_selectorILNS1_17partition_subalgoE9EllbEEZZNS1_14partition_implILS5_9ELb0ES3_jPlS8_PNS0_10empty_typeENS0_5tupleIJS8_S9_EEENSB_IJS8_SA_EEENS0_18inequality_wrapperIZN2at6native12_GLOBAL__N_124unique_dim_cuda_templateIaEESt5tupleIJNSF_6TensorESK_SK_EERKSK_lbbbEUlllE0_EEPmJS9_EEE10hipError_tPvRmT3_T4_T5_T6_T7_T9_mT8_P12ihipStream_tbDpT10_ENKUlT_T0_E_clISt17integral_constantIbLb0EES19_IbLb1EEEEDaS15_S16_EUlS15_E_NS1_11comp_targetILNS1_3genE9ELNS1_11target_archE1100ELNS1_3gpuE3ELNS1_3repE0EEENS1_30default_config_static_selectorELNS0_4arch9wavefront6targetE1EEEvT1_.uses_flat_scratch, 0
	.set _ZN7rocprim17ROCPRIM_400000_NS6detail17trampoline_kernelINS0_14default_configENS1_25partition_config_selectorILNS1_17partition_subalgoE9EllbEEZZNS1_14partition_implILS5_9ELb0ES3_jPlS8_PNS0_10empty_typeENS0_5tupleIJS8_S9_EEENSB_IJS8_SA_EEENS0_18inequality_wrapperIZN2at6native12_GLOBAL__N_124unique_dim_cuda_templateIaEESt5tupleIJNSF_6TensorESK_SK_EERKSK_lbbbEUlllE0_EEPmJS9_EEE10hipError_tPvRmT3_T4_T5_T6_T7_T9_mT8_P12ihipStream_tbDpT10_ENKUlT_T0_E_clISt17integral_constantIbLb0EES19_IbLb1EEEEDaS15_S16_EUlS15_E_NS1_11comp_targetILNS1_3genE9ELNS1_11target_archE1100ELNS1_3gpuE3ELNS1_3repE0EEENS1_30default_config_static_selectorELNS0_4arch9wavefront6targetE1EEEvT1_.has_dyn_sized_stack, 0
	.set _ZN7rocprim17ROCPRIM_400000_NS6detail17trampoline_kernelINS0_14default_configENS1_25partition_config_selectorILNS1_17partition_subalgoE9EllbEEZZNS1_14partition_implILS5_9ELb0ES3_jPlS8_PNS0_10empty_typeENS0_5tupleIJS8_S9_EEENSB_IJS8_SA_EEENS0_18inequality_wrapperIZN2at6native12_GLOBAL__N_124unique_dim_cuda_templateIaEESt5tupleIJNSF_6TensorESK_SK_EERKSK_lbbbEUlllE0_EEPmJS9_EEE10hipError_tPvRmT3_T4_T5_T6_T7_T9_mT8_P12ihipStream_tbDpT10_ENKUlT_T0_E_clISt17integral_constantIbLb0EES19_IbLb1EEEEDaS15_S16_EUlS15_E_NS1_11comp_targetILNS1_3genE9ELNS1_11target_archE1100ELNS1_3gpuE3ELNS1_3repE0EEENS1_30default_config_static_selectorELNS0_4arch9wavefront6targetE1EEEvT1_.has_recursion, 0
	.set _ZN7rocprim17ROCPRIM_400000_NS6detail17trampoline_kernelINS0_14default_configENS1_25partition_config_selectorILNS1_17partition_subalgoE9EllbEEZZNS1_14partition_implILS5_9ELb0ES3_jPlS8_PNS0_10empty_typeENS0_5tupleIJS8_S9_EEENSB_IJS8_SA_EEENS0_18inequality_wrapperIZN2at6native12_GLOBAL__N_124unique_dim_cuda_templateIaEESt5tupleIJNSF_6TensorESK_SK_EERKSK_lbbbEUlllE0_EEPmJS9_EEE10hipError_tPvRmT3_T4_T5_T6_T7_T9_mT8_P12ihipStream_tbDpT10_ENKUlT_T0_E_clISt17integral_constantIbLb0EES19_IbLb1EEEEDaS15_S16_EUlS15_E_NS1_11comp_targetILNS1_3genE9ELNS1_11target_archE1100ELNS1_3gpuE3ELNS1_3repE0EEENS1_30default_config_static_selectorELNS0_4arch9wavefront6targetE1EEEvT1_.has_indirect_call, 0
	.section	.AMDGPU.csdata,"",@progbits
; Kernel info:
; codeLenInByte = 0
; TotalNumSgprs: 6
; NumVgprs: 0
; NumAgprs: 0
; TotalNumVgprs: 0
; ScratchSize: 0
; MemoryBound: 0
; FloatMode: 240
; IeeeMode: 1
; LDSByteSize: 0 bytes/workgroup (compile time only)
; SGPRBlocks: 0
; VGPRBlocks: 0
; NumSGPRsForWavesPerEU: 6
; NumVGPRsForWavesPerEU: 1
; AccumOffset: 4
; Occupancy: 8
; WaveLimiterHint : 0
; COMPUTE_PGM_RSRC2:SCRATCH_EN: 0
; COMPUTE_PGM_RSRC2:USER_SGPR: 2
; COMPUTE_PGM_RSRC2:TRAP_HANDLER: 0
; COMPUTE_PGM_RSRC2:TGID_X_EN: 1
; COMPUTE_PGM_RSRC2:TGID_Y_EN: 0
; COMPUTE_PGM_RSRC2:TGID_Z_EN: 0
; COMPUTE_PGM_RSRC2:TIDIG_COMP_CNT: 0
; COMPUTE_PGM_RSRC3_GFX90A:ACCUM_OFFSET: 0
; COMPUTE_PGM_RSRC3_GFX90A:TG_SPLIT: 0
	.section	.text._ZN7rocprim17ROCPRIM_400000_NS6detail17trampoline_kernelINS0_14default_configENS1_25partition_config_selectorILNS1_17partition_subalgoE9EllbEEZZNS1_14partition_implILS5_9ELb0ES3_jPlS8_PNS0_10empty_typeENS0_5tupleIJS8_S9_EEENSB_IJS8_SA_EEENS0_18inequality_wrapperIZN2at6native12_GLOBAL__N_124unique_dim_cuda_templateIaEESt5tupleIJNSF_6TensorESK_SK_EERKSK_lbbbEUlllE0_EEPmJS9_EEE10hipError_tPvRmT3_T4_T5_T6_T7_T9_mT8_P12ihipStream_tbDpT10_ENKUlT_T0_E_clISt17integral_constantIbLb0EES19_IbLb1EEEEDaS15_S16_EUlS15_E_NS1_11comp_targetILNS1_3genE8ELNS1_11target_archE1030ELNS1_3gpuE2ELNS1_3repE0EEENS1_30default_config_static_selectorELNS0_4arch9wavefront6targetE1EEEvT1_,"axG",@progbits,_ZN7rocprim17ROCPRIM_400000_NS6detail17trampoline_kernelINS0_14default_configENS1_25partition_config_selectorILNS1_17partition_subalgoE9EllbEEZZNS1_14partition_implILS5_9ELb0ES3_jPlS8_PNS0_10empty_typeENS0_5tupleIJS8_S9_EEENSB_IJS8_SA_EEENS0_18inequality_wrapperIZN2at6native12_GLOBAL__N_124unique_dim_cuda_templateIaEESt5tupleIJNSF_6TensorESK_SK_EERKSK_lbbbEUlllE0_EEPmJS9_EEE10hipError_tPvRmT3_T4_T5_T6_T7_T9_mT8_P12ihipStream_tbDpT10_ENKUlT_T0_E_clISt17integral_constantIbLb0EES19_IbLb1EEEEDaS15_S16_EUlS15_E_NS1_11comp_targetILNS1_3genE8ELNS1_11target_archE1030ELNS1_3gpuE2ELNS1_3repE0EEENS1_30default_config_static_selectorELNS0_4arch9wavefront6targetE1EEEvT1_,comdat
	.globl	_ZN7rocprim17ROCPRIM_400000_NS6detail17trampoline_kernelINS0_14default_configENS1_25partition_config_selectorILNS1_17partition_subalgoE9EllbEEZZNS1_14partition_implILS5_9ELb0ES3_jPlS8_PNS0_10empty_typeENS0_5tupleIJS8_S9_EEENSB_IJS8_SA_EEENS0_18inequality_wrapperIZN2at6native12_GLOBAL__N_124unique_dim_cuda_templateIaEESt5tupleIJNSF_6TensorESK_SK_EERKSK_lbbbEUlllE0_EEPmJS9_EEE10hipError_tPvRmT3_T4_T5_T6_T7_T9_mT8_P12ihipStream_tbDpT10_ENKUlT_T0_E_clISt17integral_constantIbLb0EES19_IbLb1EEEEDaS15_S16_EUlS15_E_NS1_11comp_targetILNS1_3genE8ELNS1_11target_archE1030ELNS1_3gpuE2ELNS1_3repE0EEENS1_30default_config_static_selectorELNS0_4arch9wavefront6targetE1EEEvT1_ ; -- Begin function _ZN7rocprim17ROCPRIM_400000_NS6detail17trampoline_kernelINS0_14default_configENS1_25partition_config_selectorILNS1_17partition_subalgoE9EllbEEZZNS1_14partition_implILS5_9ELb0ES3_jPlS8_PNS0_10empty_typeENS0_5tupleIJS8_S9_EEENSB_IJS8_SA_EEENS0_18inequality_wrapperIZN2at6native12_GLOBAL__N_124unique_dim_cuda_templateIaEESt5tupleIJNSF_6TensorESK_SK_EERKSK_lbbbEUlllE0_EEPmJS9_EEE10hipError_tPvRmT3_T4_T5_T6_T7_T9_mT8_P12ihipStream_tbDpT10_ENKUlT_T0_E_clISt17integral_constantIbLb0EES19_IbLb1EEEEDaS15_S16_EUlS15_E_NS1_11comp_targetILNS1_3genE8ELNS1_11target_archE1030ELNS1_3gpuE2ELNS1_3repE0EEENS1_30default_config_static_selectorELNS0_4arch9wavefront6targetE1EEEvT1_
	.p2align	8
	.type	_ZN7rocprim17ROCPRIM_400000_NS6detail17trampoline_kernelINS0_14default_configENS1_25partition_config_selectorILNS1_17partition_subalgoE9EllbEEZZNS1_14partition_implILS5_9ELb0ES3_jPlS8_PNS0_10empty_typeENS0_5tupleIJS8_S9_EEENSB_IJS8_SA_EEENS0_18inequality_wrapperIZN2at6native12_GLOBAL__N_124unique_dim_cuda_templateIaEESt5tupleIJNSF_6TensorESK_SK_EERKSK_lbbbEUlllE0_EEPmJS9_EEE10hipError_tPvRmT3_T4_T5_T6_T7_T9_mT8_P12ihipStream_tbDpT10_ENKUlT_T0_E_clISt17integral_constantIbLb0EES19_IbLb1EEEEDaS15_S16_EUlS15_E_NS1_11comp_targetILNS1_3genE8ELNS1_11target_archE1030ELNS1_3gpuE2ELNS1_3repE0EEENS1_30default_config_static_selectorELNS0_4arch9wavefront6targetE1EEEvT1_,@function
_ZN7rocprim17ROCPRIM_400000_NS6detail17trampoline_kernelINS0_14default_configENS1_25partition_config_selectorILNS1_17partition_subalgoE9EllbEEZZNS1_14partition_implILS5_9ELb0ES3_jPlS8_PNS0_10empty_typeENS0_5tupleIJS8_S9_EEENSB_IJS8_SA_EEENS0_18inequality_wrapperIZN2at6native12_GLOBAL__N_124unique_dim_cuda_templateIaEESt5tupleIJNSF_6TensorESK_SK_EERKSK_lbbbEUlllE0_EEPmJS9_EEE10hipError_tPvRmT3_T4_T5_T6_T7_T9_mT8_P12ihipStream_tbDpT10_ENKUlT_T0_E_clISt17integral_constantIbLb0EES19_IbLb1EEEEDaS15_S16_EUlS15_E_NS1_11comp_targetILNS1_3genE8ELNS1_11target_archE1030ELNS1_3gpuE2ELNS1_3repE0EEENS1_30default_config_static_selectorELNS0_4arch9wavefront6targetE1EEEvT1_: ; @_ZN7rocprim17ROCPRIM_400000_NS6detail17trampoline_kernelINS0_14default_configENS1_25partition_config_selectorILNS1_17partition_subalgoE9EllbEEZZNS1_14partition_implILS5_9ELb0ES3_jPlS8_PNS0_10empty_typeENS0_5tupleIJS8_S9_EEENSB_IJS8_SA_EEENS0_18inequality_wrapperIZN2at6native12_GLOBAL__N_124unique_dim_cuda_templateIaEESt5tupleIJNSF_6TensorESK_SK_EERKSK_lbbbEUlllE0_EEPmJS9_EEE10hipError_tPvRmT3_T4_T5_T6_T7_T9_mT8_P12ihipStream_tbDpT10_ENKUlT_T0_E_clISt17integral_constantIbLb0EES19_IbLb1EEEEDaS15_S16_EUlS15_E_NS1_11comp_targetILNS1_3genE8ELNS1_11target_archE1030ELNS1_3gpuE2ELNS1_3repE0EEENS1_30default_config_static_selectorELNS0_4arch9wavefront6targetE1EEEvT1_
; %bb.0:
	.section	.rodata,"a",@progbits
	.p2align	6, 0x0
	.amdhsa_kernel _ZN7rocprim17ROCPRIM_400000_NS6detail17trampoline_kernelINS0_14default_configENS1_25partition_config_selectorILNS1_17partition_subalgoE9EllbEEZZNS1_14partition_implILS5_9ELb0ES3_jPlS8_PNS0_10empty_typeENS0_5tupleIJS8_S9_EEENSB_IJS8_SA_EEENS0_18inequality_wrapperIZN2at6native12_GLOBAL__N_124unique_dim_cuda_templateIaEESt5tupleIJNSF_6TensorESK_SK_EERKSK_lbbbEUlllE0_EEPmJS9_EEE10hipError_tPvRmT3_T4_T5_T6_T7_T9_mT8_P12ihipStream_tbDpT10_ENKUlT_T0_E_clISt17integral_constantIbLb0EES19_IbLb1EEEEDaS15_S16_EUlS15_E_NS1_11comp_targetILNS1_3genE8ELNS1_11target_archE1030ELNS1_3gpuE2ELNS1_3repE0EEENS1_30default_config_static_selectorELNS0_4arch9wavefront6targetE1EEEvT1_
		.amdhsa_group_segment_fixed_size 0
		.amdhsa_private_segment_fixed_size 0
		.amdhsa_kernarg_size 136
		.amdhsa_user_sgpr_count 2
		.amdhsa_user_sgpr_dispatch_ptr 0
		.amdhsa_user_sgpr_queue_ptr 0
		.amdhsa_user_sgpr_kernarg_segment_ptr 1
		.amdhsa_user_sgpr_dispatch_id 0
		.amdhsa_user_sgpr_kernarg_preload_length 0
		.amdhsa_user_sgpr_kernarg_preload_offset 0
		.amdhsa_user_sgpr_private_segment_size 0
		.amdhsa_uses_dynamic_stack 0
		.amdhsa_enable_private_segment 0
		.amdhsa_system_sgpr_workgroup_id_x 1
		.amdhsa_system_sgpr_workgroup_id_y 0
		.amdhsa_system_sgpr_workgroup_id_z 0
		.amdhsa_system_sgpr_workgroup_info 0
		.amdhsa_system_vgpr_workitem_id 0
		.amdhsa_next_free_vgpr 1
		.amdhsa_next_free_sgpr 0
		.amdhsa_accum_offset 4
		.amdhsa_reserve_vcc 0
		.amdhsa_float_round_mode_32 0
		.amdhsa_float_round_mode_16_64 0
		.amdhsa_float_denorm_mode_32 3
		.amdhsa_float_denorm_mode_16_64 3
		.amdhsa_dx10_clamp 1
		.amdhsa_ieee_mode 1
		.amdhsa_fp16_overflow 0
		.amdhsa_tg_split 0
		.amdhsa_exception_fp_ieee_invalid_op 0
		.amdhsa_exception_fp_denorm_src 0
		.amdhsa_exception_fp_ieee_div_zero 0
		.amdhsa_exception_fp_ieee_overflow 0
		.amdhsa_exception_fp_ieee_underflow 0
		.amdhsa_exception_fp_ieee_inexact 0
		.amdhsa_exception_int_div_zero 0
	.end_amdhsa_kernel
	.section	.text._ZN7rocprim17ROCPRIM_400000_NS6detail17trampoline_kernelINS0_14default_configENS1_25partition_config_selectorILNS1_17partition_subalgoE9EllbEEZZNS1_14partition_implILS5_9ELb0ES3_jPlS8_PNS0_10empty_typeENS0_5tupleIJS8_S9_EEENSB_IJS8_SA_EEENS0_18inequality_wrapperIZN2at6native12_GLOBAL__N_124unique_dim_cuda_templateIaEESt5tupleIJNSF_6TensorESK_SK_EERKSK_lbbbEUlllE0_EEPmJS9_EEE10hipError_tPvRmT3_T4_T5_T6_T7_T9_mT8_P12ihipStream_tbDpT10_ENKUlT_T0_E_clISt17integral_constantIbLb0EES19_IbLb1EEEEDaS15_S16_EUlS15_E_NS1_11comp_targetILNS1_3genE8ELNS1_11target_archE1030ELNS1_3gpuE2ELNS1_3repE0EEENS1_30default_config_static_selectorELNS0_4arch9wavefront6targetE1EEEvT1_,"axG",@progbits,_ZN7rocprim17ROCPRIM_400000_NS6detail17trampoline_kernelINS0_14default_configENS1_25partition_config_selectorILNS1_17partition_subalgoE9EllbEEZZNS1_14partition_implILS5_9ELb0ES3_jPlS8_PNS0_10empty_typeENS0_5tupleIJS8_S9_EEENSB_IJS8_SA_EEENS0_18inequality_wrapperIZN2at6native12_GLOBAL__N_124unique_dim_cuda_templateIaEESt5tupleIJNSF_6TensorESK_SK_EERKSK_lbbbEUlllE0_EEPmJS9_EEE10hipError_tPvRmT3_T4_T5_T6_T7_T9_mT8_P12ihipStream_tbDpT10_ENKUlT_T0_E_clISt17integral_constantIbLb0EES19_IbLb1EEEEDaS15_S16_EUlS15_E_NS1_11comp_targetILNS1_3genE8ELNS1_11target_archE1030ELNS1_3gpuE2ELNS1_3repE0EEENS1_30default_config_static_selectorELNS0_4arch9wavefront6targetE1EEEvT1_,comdat
.Lfunc_end382:
	.size	_ZN7rocprim17ROCPRIM_400000_NS6detail17trampoline_kernelINS0_14default_configENS1_25partition_config_selectorILNS1_17partition_subalgoE9EllbEEZZNS1_14partition_implILS5_9ELb0ES3_jPlS8_PNS0_10empty_typeENS0_5tupleIJS8_S9_EEENSB_IJS8_SA_EEENS0_18inequality_wrapperIZN2at6native12_GLOBAL__N_124unique_dim_cuda_templateIaEESt5tupleIJNSF_6TensorESK_SK_EERKSK_lbbbEUlllE0_EEPmJS9_EEE10hipError_tPvRmT3_T4_T5_T6_T7_T9_mT8_P12ihipStream_tbDpT10_ENKUlT_T0_E_clISt17integral_constantIbLb0EES19_IbLb1EEEEDaS15_S16_EUlS15_E_NS1_11comp_targetILNS1_3genE8ELNS1_11target_archE1030ELNS1_3gpuE2ELNS1_3repE0EEENS1_30default_config_static_selectorELNS0_4arch9wavefront6targetE1EEEvT1_, .Lfunc_end382-_ZN7rocprim17ROCPRIM_400000_NS6detail17trampoline_kernelINS0_14default_configENS1_25partition_config_selectorILNS1_17partition_subalgoE9EllbEEZZNS1_14partition_implILS5_9ELb0ES3_jPlS8_PNS0_10empty_typeENS0_5tupleIJS8_S9_EEENSB_IJS8_SA_EEENS0_18inequality_wrapperIZN2at6native12_GLOBAL__N_124unique_dim_cuda_templateIaEESt5tupleIJNSF_6TensorESK_SK_EERKSK_lbbbEUlllE0_EEPmJS9_EEE10hipError_tPvRmT3_T4_T5_T6_T7_T9_mT8_P12ihipStream_tbDpT10_ENKUlT_T0_E_clISt17integral_constantIbLb0EES19_IbLb1EEEEDaS15_S16_EUlS15_E_NS1_11comp_targetILNS1_3genE8ELNS1_11target_archE1030ELNS1_3gpuE2ELNS1_3repE0EEENS1_30default_config_static_selectorELNS0_4arch9wavefront6targetE1EEEvT1_
                                        ; -- End function
	.set _ZN7rocprim17ROCPRIM_400000_NS6detail17trampoline_kernelINS0_14default_configENS1_25partition_config_selectorILNS1_17partition_subalgoE9EllbEEZZNS1_14partition_implILS5_9ELb0ES3_jPlS8_PNS0_10empty_typeENS0_5tupleIJS8_S9_EEENSB_IJS8_SA_EEENS0_18inequality_wrapperIZN2at6native12_GLOBAL__N_124unique_dim_cuda_templateIaEESt5tupleIJNSF_6TensorESK_SK_EERKSK_lbbbEUlllE0_EEPmJS9_EEE10hipError_tPvRmT3_T4_T5_T6_T7_T9_mT8_P12ihipStream_tbDpT10_ENKUlT_T0_E_clISt17integral_constantIbLb0EES19_IbLb1EEEEDaS15_S16_EUlS15_E_NS1_11comp_targetILNS1_3genE8ELNS1_11target_archE1030ELNS1_3gpuE2ELNS1_3repE0EEENS1_30default_config_static_selectorELNS0_4arch9wavefront6targetE1EEEvT1_.num_vgpr, 0
	.set _ZN7rocprim17ROCPRIM_400000_NS6detail17trampoline_kernelINS0_14default_configENS1_25partition_config_selectorILNS1_17partition_subalgoE9EllbEEZZNS1_14partition_implILS5_9ELb0ES3_jPlS8_PNS0_10empty_typeENS0_5tupleIJS8_S9_EEENSB_IJS8_SA_EEENS0_18inequality_wrapperIZN2at6native12_GLOBAL__N_124unique_dim_cuda_templateIaEESt5tupleIJNSF_6TensorESK_SK_EERKSK_lbbbEUlllE0_EEPmJS9_EEE10hipError_tPvRmT3_T4_T5_T6_T7_T9_mT8_P12ihipStream_tbDpT10_ENKUlT_T0_E_clISt17integral_constantIbLb0EES19_IbLb1EEEEDaS15_S16_EUlS15_E_NS1_11comp_targetILNS1_3genE8ELNS1_11target_archE1030ELNS1_3gpuE2ELNS1_3repE0EEENS1_30default_config_static_selectorELNS0_4arch9wavefront6targetE1EEEvT1_.num_agpr, 0
	.set _ZN7rocprim17ROCPRIM_400000_NS6detail17trampoline_kernelINS0_14default_configENS1_25partition_config_selectorILNS1_17partition_subalgoE9EllbEEZZNS1_14partition_implILS5_9ELb0ES3_jPlS8_PNS0_10empty_typeENS0_5tupleIJS8_S9_EEENSB_IJS8_SA_EEENS0_18inequality_wrapperIZN2at6native12_GLOBAL__N_124unique_dim_cuda_templateIaEESt5tupleIJNSF_6TensorESK_SK_EERKSK_lbbbEUlllE0_EEPmJS9_EEE10hipError_tPvRmT3_T4_T5_T6_T7_T9_mT8_P12ihipStream_tbDpT10_ENKUlT_T0_E_clISt17integral_constantIbLb0EES19_IbLb1EEEEDaS15_S16_EUlS15_E_NS1_11comp_targetILNS1_3genE8ELNS1_11target_archE1030ELNS1_3gpuE2ELNS1_3repE0EEENS1_30default_config_static_selectorELNS0_4arch9wavefront6targetE1EEEvT1_.numbered_sgpr, 0
	.set _ZN7rocprim17ROCPRIM_400000_NS6detail17trampoline_kernelINS0_14default_configENS1_25partition_config_selectorILNS1_17partition_subalgoE9EllbEEZZNS1_14partition_implILS5_9ELb0ES3_jPlS8_PNS0_10empty_typeENS0_5tupleIJS8_S9_EEENSB_IJS8_SA_EEENS0_18inequality_wrapperIZN2at6native12_GLOBAL__N_124unique_dim_cuda_templateIaEESt5tupleIJNSF_6TensorESK_SK_EERKSK_lbbbEUlllE0_EEPmJS9_EEE10hipError_tPvRmT3_T4_T5_T6_T7_T9_mT8_P12ihipStream_tbDpT10_ENKUlT_T0_E_clISt17integral_constantIbLb0EES19_IbLb1EEEEDaS15_S16_EUlS15_E_NS1_11comp_targetILNS1_3genE8ELNS1_11target_archE1030ELNS1_3gpuE2ELNS1_3repE0EEENS1_30default_config_static_selectorELNS0_4arch9wavefront6targetE1EEEvT1_.num_named_barrier, 0
	.set _ZN7rocprim17ROCPRIM_400000_NS6detail17trampoline_kernelINS0_14default_configENS1_25partition_config_selectorILNS1_17partition_subalgoE9EllbEEZZNS1_14partition_implILS5_9ELb0ES3_jPlS8_PNS0_10empty_typeENS0_5tupleIJS8_S9_EEENSB_IJS8_SA_EEENS0_18inequality_wrapperIZN2at6native12_GLOBAL__N_124unique_dim_cuda_templateIaEESt5tupleIJNSF_6TensorESK_SK_EERKSK_lbbbEUlllE0_EEPmJS9_EEE10hipError_tPvRmT3_T4_T5_T6_T7_T9_mT8_P12ihipStream_tbDpT10_ENKUlT_T0_E_clISt17integral_constantIbLb0EES19_IbLb1EEEEDaS15_S16_EUlS15_E_NS1_11comp_targetILNS1_3genE8ELNS1_11target_archE1030ELNS1_3gpuE2ELNS1_3repE0EEENS1_30default_config_static_selectorELNS0_4arch9wavefront6targetE1EEEvT1_.private_seg_size, 0
	.set _ZN7rocprim17ROCPRIM_400000_NS6detail17trampoline_kernelINS0_14default_configENS1_25partition_config_selectorILNS1_17partition_subalgoE9EllbEEZZNS1_14partition_implILS5_9ELb0ES3_jPlS8_PNS0_10empty_typeENS0_5tupleIJS8_S9_EEENSB_IJS8_SA_EEENS0_18inequality_wrapperIZN2at6native12_GLOBAL__N_124unique_dim_cuda_templateIaEESt5tupleIJNSF_6TensorESK_SK_EERKSK_lbbbEUlllE0_EEPmJS9_EEE10hipError_tPvRmT3_T4_T5_T6_T7_T9_mT8_P12ihipStream_tbDpT10_ENKUlT_T0_E_clISt17integral_constantIbLb0EES19_IbLb1EEEEDaS15_S16_EUlS15_E_NS1_11comp_targetILNS1_3genE8ELNS1_11target_archE1030ELNS1_3gpuE2ELNS1_3repE0EEENS1_30default_config_static_selectorELNS0_4arch9wavefront6targetE1EEEvT1_.uses_vcc, 0
	.set _ZN7rocprim17ROCPRIM_400000_NS6detail17trampoline_kernelINS0_14default_configENS1_25partition_config_selectorILNS1_17partition_subalgoE9EllbEEZZNS1_14partition_implILS5_9ELb0ES3_jPlS8_PNS0_10empty_typeENS0_5tupleIJS8_S9_EEENSB_IJS8_SA_EEENS0_18inequality_wrapperIZN2at6native12_GLOBAL__N_124unique_dim_cuda_templateIaEESt5tupleIJNSF_6TensorESK_SK_EERKSK_lbbbEUlllE0_EEPmJS9_EEE10hipError_tPvRmT3_T4_T5_T6_T7_T9_mT8_P12ihipStream_tbDpT10_ENKUlT_T0_E_clISt17integral_constantIbLb0EES19_IbLb1EEEEDaS15_S16_EUlS15_E_NS1_11comp_targetILNS1_3genE8ELNS1_11target_archE1030ELNS1_3gpuE2ELNS1_3repE0EEENS1_30default_config_static_selectorELNS0_4arch9wavefront6targetE1EEEvT1_.uses_flat_scratch, 0
	.set _ZN7rocprim17ROCPRIM_400000_NS6detail17trampoline_kernelINS0_14default_configENS1_25partition_config_selectorILNS1_17partition_subalgoE9EllbEEZZNS1_14partition_implILS5_9ELb0ES3_jPlS8_PNS0_10empty_typeENS0_5tupleIJS8_S9_EEENSB_IJS8_SA_EEENS0_18inequality_wrapperIZN2at6native12_GLOBAL__N_124unique_dim_cuda_templateIaEESt5tupleIJNSF_6TensorESK_SK_EERKSK_lbbbEUlllE0_EEPmJS9_EEE10hipError_tPvRmT3_T4_T5_T6_T7_T9_mT8_P12ihipStream_tbDpT10_ENKUlT_T0_E_clISt17integral_constantIbLb0EES19_IbLb1EEEEDaS15_S16_EUlS15_E_NS1_11comp_targetILNS1_3genE8ELNS1_11target_archE1030ELNS1_3gpuE2ELNS1_3repE0EEENS1_30default_config_static_selectorELNS0_4arch9wavefront6targetE1EEEvT1_.has_dyn_sized_stack, 0
	.set _ZN7rocprim17ROCPRIM_400000_NS6detail17trampoline_kernelINS0_14default_configENS1_25partition_config_selectorILNS1_17partition_subalgoE9EllbEEZZNS1_14partition_implILS5_9ELb0ES3_jPlS8_PNS0_10empty_typeENS0_5tupleIJS8_S9_EEENSB_IJS8_SA_EEENS0_18inequality_wrapperIZN2at6native12_GLOBAL__N_124unique_dim_cuda_templateIaEESt5tupleIJNSF_6TensorESK_SK_EERKSK_lbbbEUlllE0_EEPmJS9_EEE10hipError_tPvRmT3_T4_T5_T6_T7_T9_mT8_P12ihipStream_tbDpT10_ENKUlT_T0_E_clISt17integral_constantIbLb0EES19_IbLb1EEEEDaS15_S16_EUlS15_E_NS1_11comp_targetILNS1_3genE8ELNS1_11target_archE1030ELNS1_3gpuE2ELNS1_3repE0EEENS1_30default_config_static_selectorELNS0_4arch9wavefront6targetE1EEEvT1_.has_recursion, 0
	.set _ZN7rocprim17ROCPRIM_400000_NS6detail17trampoline_kernelINS0_14default_configENS1_25partition_config_selectorILNS1_17partition_subalgoE9EllbEEZZNS1_14partition_implILS5_9ELb0ES3_jPlS8_PNS0_10empty_typeENS0_5tupleIJS8_S9_EEENSB_IJS8_SA_EEENS0_18inequality_wrapperIZN2at6native12_GLOBAL__N_124unique_dim_cuda_templateIaEESt5tupleIJNSF_6TensorESK_SK_EERKSK_lbbbEUlllE0_EEPmJS9_EEE10hipError_tPvRmT3_T4_T5_T6_T7_T9_mT8_P12ihipStream_tbDpT10_ENKUlT_T0_E_clISt17integral_constantIbLb0EES19_IbLb1EEEEDaS15_S16_EUlS15_E_NS1_11comp_targetILNS1_3genE8ELNS1_11target_archE1030ELNS1_3gpuE2ELNS1_3repE0EEENS1_30default_config_static_selectorELNS0_4arch9wavefront6targetE1EEEvT1_.has_indirect_call, 0
	.section	.AMDGPU.csdata,"",@progbits
; Kernel info:
; codeLenInByte = 0
; TotalNumSgprs: 6
; NumVgprs: 0
; NumAgprs: 0
; TotalNumVgprs: 0
; ScratchSize: 0
; MemoryBound: 0
; FloatMode: 240
; IeeeMode: 1
; LDSByteSize: 0 bytes/workgroup (compile time only)
; SGPRBlocks: 0
; VGPRBlocks: 0
; NumSGPRsForWavesPerEU: 6
; NumVGPRsForWavesPerEU: 1
; AccumOffset: 4
; Occupancy: 8
; WaveLimiterHint : 0
; COMPUTE_PGM_RSRC2:SCRATCH_EN: 0
; COMPUTE_PGM_RSRC2:USER_SGPR: 2
; COMPUTE_PGM_RSRC2:TRAP_HANDLER: 0
; COMPUTE_PGM_RSRC2:TGID_X_EN: 1
; COMPUTE_PGM_RSRC2:TGID_Y_EN: 0
; COMPUTE_PGM_RSRC2:TGID_Z_EN: 0
; COMPUTE_PGM_RSRC2:TIDIG_COMP_CNT: 0
; COMPUTE_PGM_RSRC3_GFX90A:ACCUM_OFFSET: 0
; COMPUTE_PGM_RSRC3_GFX90A:TG_SPLIT: 0
	.section	.text._ZN7rocprim17ROCPRIM_400000_NS6detail17trampoline_kernelINS0_14default_configENS1_37merge_sort_block_sort_config_selectorIlNS0_10empty_typeEEEZNS1_21merge_sort_block_sortIS3_PlS8_PS5_S9_ZN2at6native12_GLOBAL__N_124unique_dim_cuda_templateIiEESt5tupleIJNSA_6TensorESF_SF_EERKSF_lbbbEUlllE_EE10hipError_tT0_T1_T2_T3_mRjT4_P12ihipStream_tbNS1_7vsmem_tEEUlT_E_NS1_11comp_targetILNS1_3genE0ELNS1_11target_archE4294967295ELNS1_3gpuE0ELNS1_3repE0EEENS1_30default_config_static_selectorELNS0_4arch9wavefront6targetE1EEEvSM_,"axG",@progbits,_ZN7rocprim17ROCPRIM_400000_NS6detail17trampoline_kernelINS0_14default_configENS1_37merge_sort_block_sort_config_selectorIlNS0_10empty_typeEEEZNS1_21merge_sort_block_sortIS3_PlS8_PS5_S9_ZN2at6native12_GLOBAL__N_124unique_dim_cuda_templateIiEESt5tupleIJNSA_6TensorESF_SF_EERKSF_lbbbEUlllE_EE10hipError_tT0_T1_T2_T3_mRjT4_P12ihipStream_tbNS1_7vsmem_tEEUlT_E_NS1_11comp_targetILNS1_3genE0ELNS1_11target_archE4294967295ELNS1_3gpuE0ELNS1_3repE0EEENS1_30default_config_static_selectorELNS0_4arch9wavefront6targetE1EEEvSM_,comdat
	.globl	_ZN7rocprim17ROCPRIM_400000_NS6detail17trampoline_kernelINS0_14default_configENS1_37merge_sort_block_sort_config_selectorIlNS0_10empty_typeEEEZNS1_21merge_sort_block_sortIS3_PlS8_PS5_S9_ZN2at6native12_GLOBAL__N_124unique_dim_cuda_templateIiEESt5tupleIJNSA_6TensorESF_SF_EERKSF_lbbbEUlllE_EE10hipError_tT0_T1_T2_T3_mRjT4_P12ihipStream_tbNS1_7vsmem_tEEUlT_E_NS1_11comp_targetILNS1_3genE0ELNS1_11target_archE4294967295ELNS1_3gpuE0ELNS1_3repE0EEENS1_30default_config_static_selectorELNS0_4arch9wavefront6targetE1EEEvSM_ ; -- Begin function _ZN7rocprim17ROCPRIM_400000_NS6detail17trampoline_kernelINS0_14default_configENS1_37merge_sort_block_sort_config_selectorIlNS0_10empty_typeEEEZNS1_21merge_sort_block_sortIS3_PlS8_PS5_S9_ZN2at6native12_GLOBAL__N_124unique_dim_cuda_templateIiEESt5tupleIJNSA_6TensorESF_SF_EERKSF_lbbbEUlllE_EE10hipError_tT0_T1_T2_T3_mRjT4_P12ihipStream_tbNS1_7vsmem_tEEUlT_E_NS1_11comp_targetILNS1_3genE0ELNS1_11target_archE4294967295ELNS1_3gpuE0ELNS1_3repE0EEENS1_30default_config_static_selectorELNS0_4arch9wavefront6targetE1EEEvSM_
	.p2align	8
	.type	_ZN7rocprim17ROCPRIM_400000_NS6detail17trampoline_kernelINS0_14default_configENS1_37merge_sort_block_sort_config_selectorIlNS0_10empty_typeEEEZNS1_21merge_sort_block_sortIS3_PlS8_PS5_S9_ZN2at6native12_GLOBAL__N_124unique_dim_cuda_templateIiEESt5tupleIJNSA_6TensorESF_SF_EERKSF_lbbbEUlllE_EE10hipError_tT0_T1_T2_T3_mRjT4_P12ihipStream_tbNS1_7vsmem_tEEUlT_E_NS1_11comp_targetILNS1_3genE0ELNS1_11target_archE4294967295ELNS1_3gpuE0ELNS1_3repE0EEENS1_30default_config_static_selectorELNS0_4arch9wavefront6targetE1EEEvSM_,@function
_ZN7rocprim17ROCPRIM_400000_NS6detail17trampoline_kernelINS0_14default_configENS1_37merge_sort_block_sort_config_selectorIlNS0_10empty_typeEEEZNS1_21merge_sort_block_sortIS3_PlS8_PS5_S9_ZN2at6native12_GLOBAL__N_124unique_dim_cuda_templateIiEESt5tupleIJNSA_6TensorESF_SF_EERKSF_lbbbEUlllE_EE10hipError_tT0_T1_T2_T3_mRjT4_P12ihipStream_tbNS1_7vsmem_tEEUlT_E_NS1_11comp_targetILNS1_3genE0ELNS1_11target_archE4294967295ELNS1_3gpuE0ELNS1_3repE0EEENS1_30default_config_static_selectorELNS0_4arch9wavefront6targetE1EEEvSM_: ; @_ZN7rocprim17ROCPRIM_400000_NS6detail17trampoline_kernelINS0_14default_configENS1_37merge_sort_block_sort_config_selectorIlNS0_10empty_typeEEEZNS1_21merge_sort_block_sortIS3_PlS8_PS5_S9_ZN2at6native12_GLOBAL__N_124unique_dim_cuda_templateIiEESt5tupleIJNSA_6TensorESF_SF_EERKSF_lbbbEUlllE_EE10hipError_tT0_T1_T2_T3_mRjT4_P12ihipStream_tbNS1_7vsmem_tEEUlT_E_NS1_11comp_targetILNS1_3genE0ELNS1_11target_archE4294967295ELNS1_3gpuE0ELNS1_3repE0EEENS1_30default_config_static_selectorELNS0_4arch9wavefront6targetE1EEEvSM_
; %bb.0:
	s_mov_b32 s14, s2
	s_load_dwordx2 s[18:19], s[0:1], 0x48
	s_load_dword s2, s[0:1], 0x0
	s_add_u32 s16, s0, 0x48
	s_addc_u32 s17, s1, 0
	s_waitcnt lgkmcnt(0)
	s_mul_i32 s4, s19, s4
	s_add_i32 s3, s4, s3
	s_mul_i32 s3, s3, s18
	s_add_i32 s6, s3, s14
	s_cmp_ge_u32 s6, s2
	s_cbranch_scc1 .LBB383_1484
; %bb.1:
	s_load_dwordx2 s[8:9], s[0:1], 0x8
	s_load_dwordx4 s[20:23], s[0:1], 0x18
	s_load_dwordx4 s[36:39], s[0:1], 0x38
	s_mov_b32 s7, 0
	s_lshl_b64 s[2:3], s[6:7], 14
	s_waitcnt lgkmcnt(0)
	s_lshr_b64 s[0:1], s[8:9], 11
	s_add_u32 s20, s20, s2
	s_addc_u32 s21, s21, s3
	s_add_u32 s34, s22, s2
	s_addc_u32 s35, s23, s3
	s_cmp_lg_u64 s[0:1], s[6:7]
	v_and_b32_e32 v18, 0x3ff, v0
	s_cbranch_scc0 .LBB383_8
; %bb.2:
	v_mov_b32_e32 v19, 0
	v_lshlrev_b32_e32 v20, 3, v18
	v_mov_b32_e32 v21, v19
	v_lshl_add_u64 v[2:3], s[20:21], 0, v[20:21]
	v_add_co_u32_e32 v8, vcc, 0x1000, v2
	global_load_dwordx2 v[4:5], v20, s[20:21]
	global_load_dwordx2 v[6:7], v20, s[20:21] offset:2048
	v_addc_co_u32_e32 v9, vcc, 0, v3, vcc
	v_add_co_u32_e32 v10, vcc, 0x2000, v2
	v_lshrrev_b32_e32 v1, 2, v18
	s_nop 0
	v_addc_co_u32_e32 v11, vcc, 0, v3, vcc
	v_add_co_u32_e32 v2, vcc, 0x3000, v2
	global_load_dwordx2 v[12:13], v[8:9], off
	global_load_dwordx2 v[14:15], v[8:9], off offset:2048
	global_load_dwordx2 v[16:17], v[10:11], off
	global_load_dwordx2 v[22:23], v[10:11], off offset:2048
	v_addc_co_u32_e32 v3, vcc, 0, v3, vcc
	global_load_dwordx2 v[8:9], v[2:3], off
	global_load_dwordx2 v[10:11], v[2:3], off offset:2048
	v_add_u32_e32 v2, 0x100, v18
	v_add_u32_e32 v3, 0x200, v18
	;; [unrolled: 1-line block ×3, first 2 shown]
	v_or_b32_e32 v24, 0x400, v18
	v_add_u32_e32 v25, 0x500, v18
	v_add_u32_e32 v26, 0x600, v18
	;; [unrolled: 1-line block ×3, first 2 shown]
	v_lshlrev_b32_e32 v28, 1, v18
	v_and_b32_e32 v1, 0xf8, v1
	v_lshrrev_b32_e32 v2, 2, v2
	v_lshrrev_b32_e32 v3, 2, v3
	v_lshrrev_b32_e32 v21, 2, v21
	v_lshrrev_b32_e32 v24, 2, v24
	v_lshrrev_b32_e32 v25, 2, v25
	v_lshrrev_b32_e32 v26, 2, v26
	v_lshrrev_b32_e32 v27, 2, v27
	v_and_b32_e32 v28, 0x7f8, v28
	v_add_u32_e32 v1, v1, v20
	v_and_b32_e32 v2, 0x1f8, v2
	v_and_b32_e32 v3, 0x1f8, v3
	;; [unrolled: 1-line block ×7, first 2 shown]
	v_lshl_add_u32 v34, v18, 6, v28
	v_add_u32_e32 v21, v2, v20
	v_add_u32_e32 v28, v3, v20
	;; [unrolled: 1-line block ×7, first 2 shown]
	v_bfe_u32 v24, v0, 20, 10
	v_cmp_gt_i64_e64 s[12:13], s[36:37], 0
	s_waitcnt vmcnt(7)
	ds_write_b64 v1, v[4:5]
	s_waitcnt vmcnt(6)
	ds_write_b64 v21, v[6:7] offset:2048
	s_waitcnt vmcnt(5)
	ds_write_b64 v28, v[12:13] offset:4096
	;; [unrolled: 2-line block ×7, first 2 shown]
	s_waitcnt lgkmcnt(0)
	s_barrier
	ds_read2_b64 v[14:17], v34 offset1:1
	ds_read2_b64 v[10:13], v34 offset0:2 offset1:3
	ds_read2_b64 v[6:9], v34 offset0:4 offset1:5
	;; [unrolled: 1-line block ×3, first 2 shown]
	s_waitcnt lgkmcnt(0)
	s_barrier
	s_load_dword s0, s[16:17], 0xc
	v_bfe_u32 v23, v0, 10, 10
	v_cndmask_b32_e64 v25, 0, 1, s[12:13]
	s_waitcnt lgkmcnt(0)
	s_lshr_b32 s2, s0, 16
	s_cmp_lt_u32 s14, s18
	s_cselect_b32 s0, 12, 18
	s_add_u32 s0, s16, s0
	s_addc_u32 s1, s17, 0
	global_load_ushort v22, v19, s[0:1]
	v_mad_u32_u24 v23, v24, s2, v23
	s_movk_i32 s0, 0x800
	s_waitcnt vmcnt(0)
	v_mul_lo_u32 v22, v23, v22
	v_add_lshl_u32 v26, v22, v18, 3
	v_cmp_gt_u32_e32 vcc, s0, v26
	v_cmp_ne_u32_e64 s[0:1], 1, v25
	s_and_saveexec_b64 s[10:11], vcc
	s_cbranch_execz .LBB383_188
; %bb.3:
	s_and_b64 vcc, exec, s[0:1]
	s_cbranch_vccnz .LBB383_18
; %bb.4:
	v_mul_lo_u32 v24, v17, s36
	v_mul_lo_u32 v25, v16, s37
	v_mad_u64_u32 v[22:23], s[2:3], v16, s36, 0
	v_add3_u32 v23, v23, v25, v24
	v_mul_lo_u32 v27, v15, s36
	v_mul_lo_u32 v35, v14, s37
	v_mad_u64_u32 v[24:25], s[2:3], v14, s36, 0
	v_add3_u32 v25, v25, v35, v27
	v_lshl_add_u64 v[22:23], v[22:23], 2, s[38:39]
	v_lshl_add_u64 v[24:25], v[24:25], 2, s[38:39]
	s_mov_b64 s[24:25], 0
	s_mov_b64 s[42:43], s[36:37]
                                        ; implicit-def: $sgpr22_sgpr23
                                        ; implicit-def: $sgpr26_sgpr27
                                        ; implicit-def: $sgpr30_sgpr31
                                        ; implicit-def: $sgpr28_sgpr29
                                        ; implicit-def: $sgpr40_sgpr41
	s_branch .LBB383_6
.LBB383_5:                              ;   in Loop: Header=BB383_6 Depth=1
	s_or_b64 exec, exec, s[44:45]
	s_and_b64 s[2:3], s[2:3], s[40:41]
	s_or_b64 s[2:3], vcc, s[2:3]
	s_and_b64 s[4:5], exec, s[30:31]
	s_or_b64 s[24:25], s[4:5], s[24:25]
	s_andn2_b64 s[4:5], s[40:41], exec
	s_and_b64 s[2:3], s[2:3], exec
	s_or_b64 s[40:41], s[4:5], s[2:3]
	s_andn2_b64 s[4:5], s[26:27], exec
	s_and_b64 s[26:27], s[28:29], exec
	s_or_b64 s[26:27], s[4:5], s[26:27]
	s_andn2_b64 s[4:5], s[22:23], exec
	s_or_b64 s[22:23], s[4:5], s[2:3]
	s_andn2_b64 exec, exec, s[24:25]
	s_cbranch_execz .LBB383_9
.LBB383_6:                              ; =>This Inner Loop Header: Depth=1
	global_load_dword v27, v[22:23], off
	global_load_dword v35, v[24:25], off
	s_or_b64 s[28:29], s[28:29], exec
	s_or_b64 s[30:31], s[30:31], exec
	s_waitcnt vmcnt(0)
	v_cmp_lt_i32_e32 vcc, v27, v35
	v_cmp_le_i32_e64 s[2:3], v27, v35
	v_cmp_eq_u32_e64 s[4:5], v27, v35
	s_and_saveexec_b64 s[44:45], s[4:5]
	s_cbranch_execz .LBB383_5
; %bb.7:                                ;   in Loop: Header=BB383_6 Depth=1
	s_add_u32 s42, s42, -1
	s_addc_u32 s43, s43, -1
	s_cmp_eq_u64 s[42:43], 0
	s_cselect_b64 s[4:5], -1, 0
	s_andn2_b64 s[30:31], s[30:31], exec
	s_and_b64 s[4:5], s[4:5], exec
	v_lshl_add_u64 v[22:23], v[22:23], 0, 4
	v_lshl_add_u64 v[24:25], v[24:25], 0, 4
	s_andn2_b64 s[28:29], s[28:29], exec
	s_or_b64 s[30:31], s[30:31], s[4:5]
	s_branch .LBB383_5
.LBB383_8:
	s_mov_b64 s[40:41], 0
                                        ; implicit-def: $vgpr14_vgpr15
	s_cbranch_execnz .LBB383_697
	s_branch .LBB383_1482
.LBB383_9:
	s_or_b64 exec, exec, s[24:25]
	s_and_saveexec_b64 s[2:3], s[26:27]
	s_xor_b64 s[2:3], exec, s[2:3]
; %bb.10:
	v_cndmask_b32_e64 v23, v17, v15, s[22:23]
	v_cndmask_b32_e64 v22, v16, v14, s[22:23]
	;; [unrolled: 1-line block ×4, first 2 shown]
	v_mov_b64_e32 v[16:17], v[22:23]
; %bb.11:
	s_or_b64 exec, exec, s[2:3]
	v_mul_lo_u32 v24, v13, s36
	v_mul_lo_u32 v25, v12, s37
	v_mad_u64_u32 v[22:23], s[2:3], v12, s36, 0
	v_add3_u32 v23, v23, v25, v24
	v_mul_lo_u32 v27, v11, s36
	v_mul_lo_u32 v35, v10, s37
	v_mad_u64_u32 v[24:25], s[2:3], v10, s36, 0
	v_add3_u32 v25, v25, v35, v27
	v_lshl_add_u64 v[22:23], v[22:23], 2, s[38:39]
	v_lshl_add_u64 v[24:25], v[24:25], 2, s[38:39]
	s_mov_b64 s[26:27], 0
	s_mov_b64 s[42:43], s[36:37]
                                        ; implicit-def: $sgpr22_sgpr23
                                        ; implicit-def: $sgpr24_sgpr25
                                        ; implicit-def: $sgpr30_sgpr31
                                        ; implicit-def: $sgpr28_sgpr29
                                        ; implicit-def: $sgpr40_sgpr41
	s_branch .LBB383_13
.LBB383_12:                             ;   in Loop: Header=BB383_13 Depth=1
	s_or_b64 exec, exec, s[44:45]
	s_and_b64 s[2:3], s[2:3], s[40:41]
	s_or_b64 s[2:3], vcc, s[2:3]
	s_and_b64 s[4:5], exec, s[30:31]
	s_or_b64 s[26:27], s[4:5], s[26:27]
	s_andn2_b64 s[4:5], s[40:41], exec
	s_and_b64 s[2:3], s[2:3], exec
	s_or_b64 s[40:41], s[4:5], s[2:3]
	s_andn2_b64 s[4:5], s[24:25], exec
	s_and_b64 s[24:25], s[28:29], exec
	s_or_b64 s[24:25], s[4:5], s[24:25]
	s_andn2_b64 s[4:5], s[22:23], exec
	s_or_b64 s[22:23], s[4:5], s[2:3]
	s_andn2_b64 exec, exec, s[26:27]
	s_cbranch_execz .LBB383_15
.LBB383_13:                             ; =>This Inner Loop Header: Depth=1
	global_load_dword v27, v[22:23], off
	global_load_dword v35, v[24:25], off
	s_or_b64 s[28:29], s[28:29], exec
	s_or_b64 s[30:31], s[30:31], exec
	s_waitcnt vmcnt(0)
	v_cmp_lt_i32_e32 vcc, v27, v35
	v_cmp_le_i32_e64 s[2:3], v27, v35
	v_cmp_eq_u32_e64 s[4:5], v27, v35
	s_and_saveexec_b64 s[44:45], s[4:5]
	s_cbranch_execz .LBB383_12
; %bb.14:                               ;   in Loop: Header=BB383_13 Depth=1
	s_add_u32 s42, s42, -1
	s_addc_u32 s43, s43, -1
	s_cmp_eq_u64 s[42:43], 0
	s_cselect_b64 s[4:5], -1, 0
	s_andn2_b64 s[30:31], s[30:31], exec
	s_and_b64 s[4:5], s[4:5], exec
	v_lshl_add_u64 v[22:23], v[22:23], 0, 4
	v_lshl_add_u64 v[24:25], v[24:25], 0, 4
	s_andn2_b64 s[28:29], s[28:29], exec
	s_or_b64 s[30:31], s[30:31], s[4:5]
	s_branch .LBB383_12
.LBB383_15:
	s_or_b64 exec, exec, s[26:27]
	s_and_saveexec_b64 s[2:3], s[24:25]
	s_xor_b64 s[2:3], exec, s[2:3]
; %bb.16:
	v_cndmask_b32_e64 v23, v11, v13, s[22:23]
	v_cndmask_b32_e64 v22, v10, v12, s[22:23]
	;; [unrolled: 1-line block ×4, first 2 shown]
	v_mov_b64_e32 v[10:11], v[22:23]
; %bb.17:
	s_or_b64 exec, exec, s[2:3]
.LBB383_18:
	s_and_b64 vcc, exec, s[0:1]
	s_cbranch_vccnz .LBB383_32
; %bb.19:
	v_mul_lo_u32 v24, v9, s36
	v_mul_lo_u32 v25, v8, s37
	v_mad_u64_u32 v[22:23], s[2:3], v8, s36, 0
	v_add3_u32 v23, v23, v25, v24
	v_mul_lo_u32 v27, v7, s36
	v_mul_lo_u32 v35, v6, s37
	v_mad_u64_u32 v[24:25], s[2:3], v6, s36, 0
	v_add3_u32 v25, v25, v35, v27
	v_lshl_add_u64 v[22:23], v[22:23], 2, s[38:39]
	v_lshl_add_u64 v[24:25], v[24:25], 2, s[38:39]
	s_mov_b64 s[24:25], 0
	s_mov_b64 s[42:43], s[36:37]
                                        ; implicit-def: $sgpr22_sgpr23
                                        ; implicit-def: $sgpr26_sgpr27
                                        ; implicit-def: $sgpr30_sgpr31
                                        ; implicit-def: $sgpr28_sgpr29
                                        ; implicit-def: $sgpr40_sgpr41
	s_branch .LBB383_21
.LBB383_20:                             ;   in Loop: Header=BB383_21 Depth=1
	s_or_b64 exec, exec, s[44:45]
	s_and_b64 s[2:3], s[2:3], s[40:41]
	s_or_b64 s[2:3], vcc, s[2:3]
	s_and_b64 s[4:5], exec, s[30:31]
	s_or_b64 s[24:25], s[4:5], s[24:25]
	s_andn2_b64 s[4:5], s[40:41], exec
	s_and_b64 s[2:3], s[2:3], exec
	s_or_b64 s[40:41], s[4:5], s[2:3]
	s_andn2_b64 s[4:5], s[26:27], exec
	s_and_b64 s[26:27], s[28:29], exec
	s_or_b64 s[26:27], s[4:5], s[26:27]
	s_andn2_b64 s[4:5], s[22:23], exec
	s_or_b64 s[22:23], s[4:5], s[2:3]
	s_andn2_b64 exec, exec, s[24:25]
	s_cbranch_execz .LBB383_23
.LBB383_21:                             ; =>This Inner Loop Header: Depth=1
	global_load_dword v27, v[22:23], off
	global_load_dword v35, v[24:25], off
	s_or_b64 s[28:29], s[28:29], exec
	s_or_b64 s[30:31], s[30:31], exec
	s_waitcnt vmcnt(0)
	v_cmp_lt_i32_e32 vcc, v27, v35
	v_cmp_le_i32_e64 s[2:3], v27, v35
	v_cmp_eq_u32_e64 s[4:5], v27, v35
	s_and_saveexec_b64 s[44:45], s[4:5]
	s_cbranch_execz .LBB383_20
; %bb.22:                               ;   in Loop: Header=BB383_21 Depth=1
	s_add_u32 s42, s42, -1
	s_addc_u32 s43, s43, -1
	s_cmp_eq_u64 s[42:43], 0
	s_cselect_b64 s[4:5], -1, 0
	s_andn2_b64 s[30:31], s[30:31], exec
	s_and_b64 s[4:5], s[4:5], exec
	v_lshl_add_u64 v[22:23], v[22:23], 0, 4
	v_lshl_add_u64 v[24:25], v[24:25], 0, 4
	s_andn2_b64 s[28:29], s[28:29], exec
	s_or_b64 s[30:31], s[30:31], s[4:5]
	s_branch .LBB383_20
.LBB383_23:
	s_or_b64 exec, exec, s[24:25]
	s_and_saveexec_b64 s[2:3], s[26:27]
	s_xor_b64 s[2:3], exec, s[2:3]
; %bb.24:
	v_cndmask_b32_e64 v23, v7, v9, s[22:23]
	v_cndmask_b32_e64 v22, v6, v8, s[22:23]
	v_cndmask_b32_e64 v9, v9, v7, s[22:23]
	v_cndmask_b32_e64 v8, v8, v6, s[22:23]
	v_mov_b64_e32 v[6:7], v[22:23]
; %bb.25:
	s_or_b64 exec, exec, s[2:3]
	v_mul_lo_u32 v24, v5, s36
	v_mul_lo_u32 v25, v4, s37
	v_mad_u64_u32 v[22:23], s[2:3], v4, s36, 0
	v_add3_u32 v23, v23, v25, v24
	v_mul_lo_u32 v27, v3, s36
	v_mul_lo_u32 v35, v2, s37
	v_mad_u64_u32 v[24:25], s[2:3], v2, s36, 0
	v_add3_u32 v25, v25, v35, v27
	v_lshl_add_u64 v[22:23], v[22:23], 2, s[38:39]
	v_lshl_add_u64 v[24:25], v[24:25], 2, s[38:39]
	s_mov_b64 s[26:27], 0
	s_mov_b64 s[42:43], s[36:37]
                                        ; implicit-def: $sgpr22_sgpr23
                                        ; implicit-def: $sgpr24_sgpr25
                                        ; implicit-def: $sgpr30_sgpr31
                                        ; implicit-def: $sgpr28_sgpr29
                                        ; implicit-def: $sgpr40_sgpr41
	s_branch .LBB383_27
.LBB383_26:                             ;   in Loop: Header=BB383_27 Depth=1
	s_or_b64 exec, exec, s[44:45]
	s_and_b64 s[2:3], s[2:3], s[40:41]
	s_or_b64 s[2:3], vcc, s[2:3]
	s_and_b64 s[4:5], exec, s[30:31]
	s_or_b64 s[26:27], s[4:5], s[26:27]
	s_andn2_b64 s[4:5], s[40:41], exec
	s_and_b64 s[2:3], s[2:3], exec
	s_or_b64 s[40:41], s[4:5], s[2:3]
	s_andn2_b64 s[4:5], s[24:25], exec
	s_and_b64 s[24:25], s[28:29], exec
	s_or_b64 s[24:25], s[4:5], s[24:25]
	s_andn2_b64 s[4:5], s[22:23], exec
	s_or_b64 s[22:23], s[4:5], s[2:3]
	s_andn2_b64 exec, exec, s[26:27]
	s_cbranch_execz .LBB383_29
.LBB383_27:                             ; =>This Inner Loop Header: Depth=1
	global_load_dword v27, v[22:23], off
	global_load_dword v35, v[24:25], off
	s_or_b64 s[28:29], s[28:29], exec
	s_or_b64 s[30:31], s[30:31], exec
	s_waitcnt vmcnt(0)
	v_cmp_lt_i32_e32 vcc, v27, v35
	v_cmp_le_i32_e64 s[2:3], v27, v35
	v_cmp_eq_u32_e64 s[4:5], v27, v35
	s_and_saveexec_b64 s[44:45], s[4:5]
	s_cbranch_execz .LBB383_26
; %bb.28:                               ;   in Loop: Header=BB383_27 Depth=1
	s_add_u32 s42, s42, -1
	s_addc_u32 s43, s43, -1
	s_cmp_eq_u64 s[42:43], 0
	s_cselect_b64 s[4:5], -1, 0
	s_andn2_b64 s[30:31], s[30:31], exec
	s_and_b64 s[4:5], s[4:5], exec
	v_lshl_add_u64 v[22:23], v[22:23], 0, 4
	v_lshl_add_u64 v[24:25], v[24:25], 0, 4
	s_andn2_b64 s[28:29], s[28:29], exec
	s_or_b64 s[30:31], s[30:31], s[4:5]
	s_branch .LBB383_26
.LBB383_29:
	s_or_b64 exec, exec, s[26:27]
	s_and_saveexec_b64 s[2:3], s[24:25]
	s_xor_b64 s[2:3], exec, s[2:3]
; %bb.30:
	v_cndmask_b32_e64 v23, v3, v5, s[22:23]
	v_cndmask_b32_e64 v22, v2, v4, s[22:23]
	;; [unrolled: 1-line block ×4, first 2 shown]
	v_mov_b64_e32 v[2:3], v[22:23]
; %bb.31:
	s_or_b64 exec, exec, s[2:3]
.LBB383_32:
	s_and_b64 vcc, exec, s[12:13]
	s_cbranch_vccz .LBB383_46
; %bb.33:
	v_mul_lo_u32 v24, v11, s36
	v_mul_lo_u32 v25, v10, s37
	v_mad_u64_u32 v[22:23], s[2:3], v10, s36, 0
	v_add3_u32 v23, v23, v25, v24
	v_mul_lo_u32 v27, v17, s36
	v_mul_lo_u32 v35, v16, s37
	v_mad_u64_u32 v[24:25], s[2:3], v16, s36, 0
	v_add3_u32 v25, v25, v35, v27
	v_lshl_add_u64 v[22:23], v[22:23], 2, s[38:39]
	v_lshl_add_u64 v[24:25], v[24:25], 2, s[38:39]
	s_mov_b64 s[22:23], 0
	s_mov_b64 s[40:41], s[36:37]
                                        ; implicit-def: $sgpr12_sgpr13
                                        ; implicit-def: $sgpr24_sgpr25
                                        ; implicit-def: $sgpr28_sgpr29
                                        ; implicit-def: $sgpr26_sgpr27
                                        ; implicit-def: $sgpr30_sgpr31
	s_branch .LBB383_35
.LBB383_34:                             ;   in Loop: Header=BB383_35 Depth=1
	s_or_b64 exec, exec, s[42:43]
	s_and_b64 s[2:3], s[2:3], s[30:31]
	s_or_b64 s[2:3], vcc, s[2:3]
	s_and_b64 s[4:5], exec, s[28:29]
	s_or_b64 s[22:23], s[4:5], s[22:23]
	s_andn2_b64 s[4:5], s[30:31], exec
	s_and_b64 s[2:3], s[2:3], exec
	s_or_b64 s[30:31], s[4:5], s[2:3]
	s_andn2_b64 s[4:5], s[24:25], exec
	s_and_b64 s[24:25], s[26:27], exec
	s_or_b64 s[24:25], s[4:5], s[24:25]
	s_andn2_b64 s[4:5], s[12:13], exec
	s_or_b64 s[12:13], s[4:5], s[2:3]
	s_andn2_b64 exec, exec, s[22:23]
	s_cbranch_execz .LBB383_37
.LBB383_35:                             ; =>This Inner Loop Header: Depth=1
	global_load_dword v27, v[22:23], off
	global_load_dword v35, v[24:25], off
	s_or_b64 s[26:27], s[26:27], exec
	s_or_b64 s[28:29], s[28:29], exec
	s_waitcnt vmcnt(0)
	v_cmp_lt_i32_e32 vcc, v27, v35
	v_cmp_le_i32_e64 s[2:3], v27, v35
	v_cmp_eq_u32_e64 s[4:5], v27, v35
	s_and_saveexec_b64 s[42:43], s[4:5]
	s_cbranch_execz .LBB383_34
; %bb.36:                               ;   in Loop: Header=BB383_35 Depth=1
	s_add_u32 s40, s40, -1
	s_addc_u32 s41, s41, -1
	s_cmp_eq_u64 s[40:41], 0
	s_cselect_b64 s[4:5], -1, 0
	s_andn2_b64 s[28:29], s[28:29], exec
	s_and_b64 s[4:5], s[4:5], exec
	v_lshl_add_u64 v[22:23], v[22:23], 0, 4
	v_lshl_add_u64 v[24:25], v[24:25], 0, 4
	s_andn2_b64 s[26:27], s[26:27], exec
	s_or_b64 s[28:29], s[28:29], s[4:5]
	s_branch .LBB383_34
.LBB383_37:
	s_or_b64 exec, exec, s[22:23]
	s_and_saveexec_b64 s[2:3], s[24:25]
	s_xor_b64 s[2:3], exec, s[2:3]
; %bb.38:
	v_cndmask_b32_e64 v23, v17, v11, s[12:13]
	v_cndmask_b32_e64 v22, v16, v10, s[12:13]
	;; [unrolled: 1-line block ×4, first 2 shown]
	v_mov_b64_e32 v[16:17], v[22:23]
; %bb.39:
	s_or_b64 exec, exec, s[2:3]
	v_mul_lo_u32 v24, v7, s36
	v_mul_lo_u32 v25, v6, s37
	v_mad_u64_u32 v[22:23], s[2:3], v6, s36, 0
	v_add3_u32 v23, v23, v25, v24
	v_mul_lo_u32 v27, v13, s36
	v_mul_lo_u32 v35, v12, s37
	v_mad_u64_u32 v[24:25], s[2:3], v12, s36, 0
	v_add3_u32 v25, v25, v35, v27
	v_lshl_add_u64 v[22:23], v[22:23], 2, s[38:39]
	v_lshl_add_u64 v[24:25], v[24:25], 2, s[38:39]
	s_mov_b64 s[24:25], 0
	s_mov_b64 s[40:41], s[36:37]
                                        ; implicit-def: $sgpr12_sgpr13
                                        ; implicit-def: $sgpr22_sgpr23
                                        ; implicit-def: $sgpr28_sgpr29
                                        ; implicit-def: $sgpr26_sgpr27
                                        ; implicit-def: $sgpr30_sgpr31
	s_branch .LBB383_41
.LBB383_40:                             ;   in Loop: Header=BB383_41 Depth=1
	s_or_b64 exec, exec, s[42:43]
	s_and_b64 s[2:3], s[2:3], s[30:31]
	s_or_b64 s[2:3], vcc, s[2:3]
	s_and_b64 s[4:5], exec, s[28:29]
	s_or_b64 s[24:25], s[4:5], s[24:25]
	s_andn2_b64 s[4:5], s[30:31], exec
	s_and_b64 s[2:3], s[2:3], exec
	s_or_b64 s[30:31], s[4:5], s[2:3]
	s_andn2_b64 s[4:5], s[22:23], exec
	s_and_b64 s[22:23], s[26:27], exec
	s_or_b64 s[22:23], s[4:5], s[22:23]
	s_andn2_b64 s[4:5], s[12:13], exec
	s_or_b64 s[12:13], s[4:5], s[2:3]
	s_andn2_b64 exec, exec, s[24:25]
	s_cbranch_execz .LBB383_43
.LBB383_41:                             ; =>This Inner Loop Header: Depth=1
	global_load_dword v27, v[22:23], off
	global_load_dword v35, v[24:25], off
	s_or_b64 s[26:27], s[26:27], exec
	s_or_b64 s[28:29], s[28:29], exec
	s_waitcnt vmcnt(0)
	v_cmp_lt_i32_e32 vcc, v27, v35
	v_cmp_le_i32_e64 s[2:3], v27, v35
	v_cmp_eq_u32_e64 s[4:5], v27, v35
	s_and_saveexec_b64 s[42:43], s[4:5]
	s_cbranch_execz .LBB383_40
; %bb.42:                               ;   in Loop: Header=BB383_41 Depth=1
	s_add_u32 s40, s40, -1
	s_addc_u32 s41, s41, -1
	s_cmp_eq_u64 s[40:41], 0
	s_cselect_b64 s[4:5], -1, 0
	s_andn2_b64 s[28:29], s[28:29], exec
	s_and_b64 s[4:5], s[4:5], exec
	v_lshl_add_u64 v[22:23], v[22:23], 0, 4
	v_lshl_add_u64 v[24:25], v[24:25], 0, 4
	s_andn2_b64 s[26:27], s[26:27], exec
	s_or_b64 s[28:29], s[28:29], s[4:5]
	s_branch .LBB383_40
.LBB383_43:
	s_or_b64 exec, exec, s[24:25]
	s_and_saveexec_b64 s[2:3], s[22:23]
	s_xor_b64 s[2:3], exec, s[2:3]
; %bb.44:
	v_cndmask_b32_e64 v23, v13, v7, s[12:13]
	v_cndmask_b32_e64 v22, v12, v6, s[12:13]
	;; [unrolled: 1-line block ×4, first 2 shown]
	v_mov_b64_e32 v[12:13], v[22:23]
; %bb.45:
	s_or_b64 exec, exec, s[2:3]
.LBB383_46:
	s_and_b64 vcc, exec, s[0:1]
	s_cbranch_vccnz .LBB383_72
; %bb.47:
	v_mul_lo_u32 v24, v3, s36
	v_mul_lo_u32 v25, v2, s37
	v_mad_u64_u32 v[22:23], s[2:3], v2, s36, 0
	v_add3_u32 v23, v23, v25, v24
	v_mul_lo_u32 v27, v9, s36
	v_mul_lo_u32 v35, v8, s37
	v_mad_u64_u32 v[24:25], s[2:3], v8, s36, 0
	v_add3_u32 v25, v25, v35, v27
	v_lshl_add_u64 v[22:23], v[22:23], 2, s[38:39]
	v_lshl_add_u64 v[24:25], v[24:25], 2, s[38:39]
	s_mov_b64 s[22:23], 0
	s_mov_b64 s[40:41], s[36:37]
                                        ; implicit-def: $sgpr12_sgpr13
                                        ; implicit-def: $sgpr24_sgpr25
                                        ; implicit-def: $sgpr28_sgpr29
                                        ; implicit-def: $sgpr26_sgpr27
                                        ; implicit-def: $sgpr30_sgpr31
	s_branch .LBB383_49
.LBB383_48:                             ;   in Loop: Header=BB383_49 Depth=1
	s_or_b64 exec, exec, s[42:43]
	s_and_b64 s[2:3], s[2:3], s[30:31]
	s_or_b64 s[2:3], vcc, s[2:3]
	s_and_b64 s[4:5], exec, s[28:29]
	s_or_b64 s[22:23], s[4:5], s[22:23]
	s_andn2_b64 s[4:5], s[30:31], exec
	s_and_b64 s[2:3], s[2:3], exec
	s_or_b64 s[30:31], s[4:5], s[2:3]
	s_andn2_b64 s[4:5], s[24:25], exec
	s_and_b64 s[24:25], s[26:27], exec
	s_or_b64 s[24:25], s[4:5], s[24:25]
	s_andn2_b64 s[4:5], s[12:13], exec
	s_or_b64 s[12:13], s[4:5], s[2:3]
	s_andn2_b64 exec, exec, s[22:23]
	s_cbranch_execz .LBB383_51
.LBB383_49:                             ; =>This Inner Loop Header: Depth=1
	global_load_dword v27, v[22:23], off
	global_load_dword v35, v[24:25], off
	s_or_b64 s[26:27], s[26:27], exec
	s_or_b64 s[28:29], s[28:29], exec
	s_waitcnt vmcnt(0)
	v_cmp_lt_i32_e32 vcc, v27, v35
	v_cmp_le_i32_e64 s[2:3], v27, v35
	v_cmp_eq_u32_e64 s[4:5], v27, v35
	s_and_saveexec_b64 s[42:43], s[4:5]
	s_cbranch_execz .LBB383_48
; %bb.50:                               ;   in Loop: Header=BB383_49 Depth=1
	s_add_u32 s40, s40, -1
	s_addc_u32 s41, s41, -1
	s_cmp_eq_u64 s[40:41], 0
	s_cselect_b64 s[4:5], -1, 0
	s_andn2_b64 s[28:29], s[28:29], exec
	s_and_b64 s[4:5], s[4:5], exec
	v_lshl_add_u64 v[22:23], v[22:23], 0, 4
	v_lshl_add_u64 v[24:25], v[24:25], 0, 4
	s_andn2_b64 s[26:27], s[26:27], exec
	s_or_b64 s[28:29], s[28:29], s[4:5]
	s_branch .LBB383_48
.LBB383_51:
	s_or_b64 exec, exec, s[22:23]
	s_and_saveexec_b64 s[2:3], s[24:25]
	s_xor_b64 s[2:3], exec, s[2:3]
; %bb.52:
	v_cndmask_b32_e64 v23, v9, v3, s[12:13]
	v_cndmask_b32_e64 v22, v8, v2, s[12:13]
	;; [unrolled: 1-line block ×4, first 2 shown]
	v_mov_b64_e32 v[8:9], v[22:23]
; %bb.53:
	s_or_b64 exec, exec, s[2:3]
	v_mul_lo_u32 v24, v17, s36
	v_mul_lo_u32 v25, v16, s37
	v_mad_u64_u32 v[22:23], s[2:3], v16, s36, 0
	v_add3_u32 v23, v23, v25, v24
	v_mul_lo_u32 v27, v15, s36
	v_mul_lo_u32 v35, v14, s37
	v_mad_u64_u32 v[24:25], s[2:3], v14, s36, 0
	v_add3_u32 v25, v25, v35, v27
	v_lshl_add_u64 v[22:23], v[22:23], 2, s[38:39]
	v_lshl_add_u64 v[24:25], v[24:25], 2, s[38:39]
	s_mov_b64 s[22:23], 0
	s_mov_b64 s[40:41], s[36:37]
                                        ; implicit-def: $sgpr12_sgpr13
                                        ; implicit-def: $sgpr24_sgpr25
                                        ; implicit-def: $sgpr28_sgpr29
                                        ; implicit-def: $sgpr26_sgpr27
                                        ; implicit-def: $sgpr30_sgpr31
	s_branch .LBB383_55
.LBB383_54:                             ;   in Loop: Header=BB383_55 Depth=1
	s_or_b64 exec, exec, s[42:43]
	s_and_b64 s[2:3], s[2:3], s[30:31]
	s_or_b64 s[2:3], vcc, s[2:3]
	s_and_b64 s[4:5], exec, s[28:29]
	s_or_b64 s[22:23], s[4:5], s[22:23]
	s_andn2_b64 s[4:5], s[30:31], exec
	s_and_b64 s[2:3], s[2:3], exec
	s_or_b64 s[30:31], s[4:5], s[2:3]
	s_andn2_b64 s[4:5], s[24:25], exec
	s_and_b64 s[24:25], s[26:27], exec
	s_or_b64 s[24:25], s[4:5], s[24:25]
	s_andn2_b64 s[4:5], s[12:13], exec
	s_or_b64 s[12:13], s[4:5], s[2:3]
	s_andn2_b64 exec, exec, s[22:23]
	s_cbranch_execz .LBB383_57
.LBB383_55:                             ; =>This Inner Loop Header: Depth=1
	global_load_dword v27, v[22:23], off
	global_load_dword v35, v[24:25], off
	s_or_b64 s[26:27], s[26:27], exec
	s_or_b64 s[28:29], s[28:29], exec
	s_waitcnt vmcnt(0)
	v_cmp_lt_i32_e32 vcc, v27, v35
	v_cmp_le_i32_e64 s[2:3], v27, v35
	v_cmp_eq_u32_e64 s[4:5], v27, v35
	s_and_saveexec_b64 s[42:43], s[4:5]
	s_cbranch_execz .LBB383_54
; %bb.56:                               ;   in Loop: Header=BB383_55 Depth=1
	s_add_u32 s40, s40, -1
	s_addc_u32 s41, s41, -1
	s_cmp_eq_u64 s[40:41], 0
	s_cselect_b64 s[4:5], -1, 0
	s_andn2_b64 s[28:29], s[28:29], exec
	s_and_b64 s[4:5], s[4:5], exec
	v_lshl_add_u64 v[22:23], v[22:23], 0, 4
	v_lshl_add_u64 v[24:25], v[24:25], 0, 4
	s_andn2_b64 s[26:27], s[26:27], exec
	s_or_b64 s[28:29], s[28:29], s[4:5]
	s_branch .LBB383_54
.LBB383_57:
	s_or_b64 exec, exec, s[22:23]
	s_and_saveexec_b64 s[2:3], s[24:25]
	s_xor_b64 s[2:3], exec, s[2:3]
; %bb.58:
	v_cndmask_b32_e64 v23, v17, v15, s[12:13]
	v_cndmask_b32_e64 v22, v16, v14, s[12:13]
	;; [unrolled: 1-line block ×4, first 2 shown]
	v_mov_b64_e32 v[16:17], v[22:23]
; %bb.59:
	s_or_b64 exec, exec, s[2:3]
	v_mul_lo_u32 v24, v13, s36
	v_mul_lo_u32 v25, v12, s37
	v_mad_u64_u32 v[22:23], s[2:3], v12, s36, 0
	v_add3_u32 v23, v23, v25, v24
	v_mul_lo_u32 v27, v11, s36
	v_mul_lo_u32 v35, v10, s37
	v_mad_u64_u32 v[24:25], s[2:3], v10, s36, 0
	v_add3_u32 v25, v25, v35, v27
	v_lshl_add_u64 v[22:23], v[22:23], 2, s[38:39]
	v_lshl_add_u64 v[24:25], v[24:25], 2, s[38:39]
	s_mov_b64 s[22:23], 0
	s_mov_b64 s[40:41], s[36:37]
                                        ; implicit-def: $sgpr12_sgpr13
                                        ; implicit-def: $sgpr24_sgpr25
                                        ; implicit-def: $sgpr28_sgpr29
                                        ; implicit-def: $sgpr26_sgpr27
                                        ; implicit-def: $sgpr30_sgpr31
	s_branch .LBB383_61
.LBB383_60:                             ;   in Loop: Header=BB383_61 Depth=1
	s_or_b64 exec, exec, s[42:43]
	s_and_b64 s[2:3], s[2:3], s[30:31]
	s_or_b64 s[2:3], vcc, s[2:3]
	s_and_b64 s[4:5], exec, s[28:29]
	s_or_b64 s[22:23], s[4:5], s[22:23]
	s_andn2_b64 s[4:5], s[30:31], exec
	s_and_b64 s[2:3], s[2:3], exec
	s_or_b64 s[30:31], s[4:5], s[2:3]
	s_andn2_b64 s[4:5], s[24:25], exec
	s_and_b64 s[24:25], s[26:27], exec
	s_or_b64 s[24:25], s[4:5], s[24:25]
	s_andn2_b64 s[4:5], s[12:13], exec
	s_or_b64 s[12:13], s[4:5], s[2:3]
	s_andn2_b64 exec, exec, s[22:23]
	s_cbranch_execz .LBB383_63
.LBB383_61:                             ; =>This Inner Loop Header: Depth=1
	global_load_dword v27, v[22:23], off
	global_load_dword v35, v[24:25], off
	s_or_b64 s[26:27], s[26:27], exec
	s_or_b64 s[28:29], s[28:29], exec
	s_waitcnt vmcnt(0)
	v_cmp_lt_i32_e32 vcc, v27, v35
	v_cmp_le_i32_e64 s[2:3], v27, v35
	v_cmp_eq_u32_e64 s[4:5], v27, v35
	s_and_saveexec_b64 s[42:43], s[4:5]
	s_cbranch_execz .LBB383_60
; %bb.62:                               ;   in Loop: Header=BB383_61 Depth=1
	s_add_u32 s40, s40, -1
	s_addc_u32 s41, s41, -1
	s_cmp_eq_u64 s[40:41], 0
	s_cselect_b64 s[4:5], -1, 0
	s_andn2_b64 s[28:29], s[28:29], exec
	s_and_b64 s[4:5], s[4:5], exec
	v_lshl_add_u64 v[22:23], v[22:23], 0, 4
	v_lshl_add_u64 v[24:25], v[24:25], 0, 4
	s_andn2_b64 s[26:27], s[26:27], exec
	s_or_b64 s[28:29], s[28:29], s[4:5]
	s_branch .LBB383_60
.LBB383_63:
	s_or_b64 exec, exec, s[22:23]
	s_and_saveexec_b64 s[2:3], s[24:25]
	s_xor_b64 s[2:3], exec, s[2:3]
; %bb.64:
	v_cndmask_b32_e64 v23, v11, v13, s[12:13]
	v_cndmask_b32_e64 v22, v10, v12, s[12:13]
	;; [unrolled: 1-line block ×4, first 2 shown]
	v_mov_b64_e32 v[10:11], v[22:23]
; %bb.65:
	s_or_b64 exec, exec, s[2:3]
	v_mul_lo_u32 v24, v9, s36
	v_mul_lo_u32 v25, v8, s37
	v_mad_u64_u32 v[22:23], s[2:3], v8, s36, 0
	v_add3_u32 v23, v23, v25, v24
	v_mul_lo_u32 v27, v7, s36
	v_mul_lo_u32 v35, v6, s37
	v_mad_u64_u32 v[24:25], s[2:3], v6, s36, 0
	v_add3_u32 v25, v25, v35, v27
	v_lshl_add_u64 v[22:23], v[22:23], 2, s[38:39]
	v_lshl_add_u64 v[24:25], v[24:25], 2, s[38:39]
	s_mov_b64 s[24:25], 0
	s_mov_b64 s[40:41], s[36:37]
                                        ; implicit-def: $sgpr12_sgpr13
                                        ; implicit-def: $sgpr22_sgpr23
                                        ; implicit-def: $sgpr28_sgpr29
                                        ; implicit-def: $sgpr26_sgpr27
                                        ; implicit-def: $sgpr30_sgpr31
	s_branch .LBB383_67
.LBB383_66:                             ;   in Loop: Header=BB383_67 Depth=1
	s_or_b64 exec, exec, s[42:43]
	s_and_b64 s[2:3], s[2:3], s[30:31]
	s_or_b64 s[2:3], vcc, s[2:3]
	s_and_b64 s[4:5], exec, s[28:29]
	s_or_b64 s[24:25], s[4:5], s[24:25]
	s_andn2_b64 s[4:5], s[30:31], exec
	s_and_b64 s[2:3], s[2:3], exec
	s_or_b64 s[30:31], s[4:5], s[2:3]
	s_andn2_b64 s[4:5], s[22:23], exec
	s_and_b64 s[22:23], s[26:27], exec
	s_or_b64 s[22:23], s[4:5], s[22:23]
	s_andn2_b64 s[4:5], s[12:13], exec
	s_or_b64 s[12:13], s[4:5], s[2:3]
	s_andn2_b64 exec, exec, s[24:25]
	s_cbranch_execz .LBB383_69
.LBB383_67:                             ; =>This Inner Loop Header: Depth=1
	global_load_dword v27, v[22:23], off
	global_load_dword v35, v[24:25], off
	s_or_b64 s[26:27], s[26:27], exec
	s_or_b64 s[28:29], s[28:29], exec
	s_waitcnt vmcnt(0)
	v_cmp_lt_i32_e32 vcc, v27, v35
	v_cmp_le_i32_e64 s[2:3], v27, v35
	v_cmp_eq_u32_e64 s[4:5], v27, v35
	s_and_saveexec_b64 s[42:43], s[4:5]
	s_cbranch_execz .LBB383_66
; %bb.68:                               ;   in Loop: Header=BB383_67 Depth=1
	s_add_u32 s40, s40, -1
	s_addc_u32 s41, s41, -1
	s_cmp_eq_u64 s[40:41], 0
	s_cselect_b64 s[4:5], -1, 0
	s_andn2_b64 s[28:29], s[28:29], exec
	s_and_b64 s[4:5], s[4:5], exec
	v_lshl_add_u64 v[22:23], v[22:23], 0, 4
	v_lshl_add_u64 v[24:25], v[24:25], 0, 4
	s_andn2_b64 s[26:27], s[26:27], exec
	s_or_b64 s[28:29], s[28:29], s[4:5]
	s_branch .LBB383_66
.LBB383_69:
	s_or_b64 exec, exec, s[24:25]
	s_and_saveexec_b64 s[2:3], s[22:23]
	s_xor_b64 s[2:3], exec, s[2:3]
; %bb.70:
	v_cndmask_b32_e64 v23, v7, v9, s[12:13]
	v_cndmask_b32_e64 v22, v6, v8, s[12:13]
	v_cndmask_b32_e64 v9, v9, v7, s[12:13]
	v_cndmask_b32_e64 v8, v8, v6, s[12:13]
	v_mov_b64_e32 v[6:7], v[22:23]
; %bb.71:
	s_or_b64 exec, exec, s[2:3]
.LBB383_72:
	s_and_b64 vcc, exec, s[0:1]
	s_cbranch_vccnz .LBB383_86
; %bb.73:
	v_mul_lo_u32 v24, v5, s36
	v_mul_lo_u32 v25, v4, s37
	v_mad_u64_u32 v[22:23], s[2:3], v4, s36, 0
	v_add3_u32 v23, v23, v25, v24
	v_mul_lo_u32 v27, v3, s36
	v_mul_lo_u32 v35, v2, s37
	v_mad_u64_u32 v[24:25], s[2:3], v2, s36, 0
	v_add3_u32 v25, v25, v35, v27
	v_lshl_add_u64 v[22:23], v[22:23], 2, s[38:39]
	v_lshl_add_u64 v[24:25], v[24:25], 2, s[38:39]
	s_mov_b64 s[22:23], 0
	s_mov_b64 s[40:41], s[36:37]
                                        ; implicit-def: $sgpr12_sgpr13
                                        ; implicit-def: $sgpr24_sgpr25
                                        ; implicit-def: $sgpr28_sgpr29
                                        ; implicit-def: $sgpr26_sgpr27
                                        ; implicit-def: $sgpr30_sgpr31
	s_branch .LBB383_75
.LBB383_74:                             ;   in Loop: Header=BB383_75 Depth=1
	s_or_b64 exec, exec, s[42:43]
	s_and_b64 s[2:3], s[2:3], s[30:31]
	s_or_b64 s[2:3], vcc, s[2:3]
	s_and_b64 s[4:5], exec, s[28:29]
	s_or_b64 s[22:23], s[4:5], s[22:23]
	s_andn2_b64 s[4:5], s[30:31], exec
	s_and_b64 s[2:3], s[2:3], exec
	s_or_b64 s[30:31], s[4:5], s[2:3]
	s_andn2_b64 s[4:5], s[24:25], exec
	s_and_b64 s[24:25], s[26:27], exec
	s_or_b64 s[24:25], s[4:5], s[24:25]
	s_andn2_b64 s[4:5], s[12:13], exec
	s_or_b64 s[12:13], s[4:5], s[2:3]
	s_andn2_b64 exec, exec, s[22:23]
	s_cbranch_execz .LBB383_77
.LBB383_75:                             ; =>This Inner Loop Header: Depth=1
	global_load_dword v27, v[22:23], off
	global_load_dword v35, v[24:25], off
	s_or_b64 s[26:27], s[26:27], exec
	s_or_b64 s[28:29], s[28:29], exec
	s_waitcnt vmcnt(0)
	v_cmp_lt_i32_e32 vcc, v27, v35
	v_cmp_le_i32_e64 s[2:3], v27, v35
	v_cmp_eq_u32_e64 s[4:5], v27, v35
	s_and_saveexec_b64 s[42:43], s[4:5]
	s_cbranch_execz .LBB383_74
; %bb.76:                               ;   in Loop: Header=BB383_75 Depth=1
	s_add_u32 s40, s40, -1
	s_addc_u32 s41, s41, -1
	s_cmp_eq_u64 s[40:41], 0
	s_cselect_b64 s[4:5], -1, 0
	s_andn2_b64 s[28:29], s[28:29], exec
	s_and_b64 s[4:5], s[4:5], exec
	v_lshl_add_u64 v[22:23], v[22:23], 0, 4
	v_lshl_add_u64 v[24:25], v[24:25], 0, 4
	s_andn2_b64 s[26:27], s[26:27], exec
	s_or_b64 s[28:29], s[28:29], s[4:5]
	s_branch .LBB383_74
.LBB383_77:
	s_or_b64 exec, exec, s[22:23]
	s_and_saveexec_b64 s[2:3], s[24:25]
	s_xor_b64 s[2:3], exec, s[2:3]
; %bb.78:
	v_cndmask_b32_e64 v23, v3, v5, s[12:13]
	v_cndmask_b32_e64 v22, v2, v4, s[12:13]
	;; [unrolled: 1-line block ×4, first 2 shown]
	v_mov_b64_e32 v[2:3], v[22:23]
; %bb.79:
	s_or_b64 exec, exec, s[2:3]
	v_mul_lo_u32 v24, v11, s36
	v_mul_lo_u32 v25, v10, s37
	v_mad_u64_u32 v[22:23], s[2:3], v10, s36, 0
	v_add3_u32 v23, v23, v25, v24
	v_mul_lo_u32 v27, v17, s36
	v_mul_lo_u32 v35, v16, s37
	v_mad_u64_u32 v[24:25], s[2:3], v16, s36, 0
	v_add3_u32 v25, v25, v35, v27
	v_lshl_add_u64 v[22:23], v[22:23], 2, s[38:39]
	v_lshl_add_u64 v[24:25], v[24:25], 2, s[38:39]
	s_mov_b64 s[24:25], 0
	s_mov_b64 s[40:41], s[36:37]
                                        ; implicit-def: $sgpr12_sgpr13
                                        ; implicit-def: $sgpr22_sgpr23
                                        ; implicit-def: $sgpr28_sgpr29
                                        ; implicit-def: $sgpr26_sgpr27
                                        ; implicit-def: $sgpr30_sgpr31
	s_branch .LBB383_81
.LBB383_80:                             ;   in Loop: Header=BB383_81 Depth=1
	s_or_b64 exec, exec, s[42:43]
	s_and_b64 s[2:3], s[2:3], s[30:31]
	s_or_b64 s[2:3], vcc, s[2:3]
	s_and_b64 s[4:5], exec, s[28:29]
	s_or_b64 s[24:25], s[4:5], s[24:25]
	s_andn2_b64 s[4:5], s[30:31], exec
	s_and_b64 s[2:3], s[2:3], exec
	s_or_b64 s[30:31], s[4:5], s[2:3]
	s_andn2_b64 s[4:5], s[22:23], exec
	s_and_b64 s[22:23], s[26:27], exec
	s_or_b64 s[22:23], s[4:5], s[22:23]
	s_andn2_b64 s[4:5], s[12:13], exec
	s_or_b64 s[12:13], s[4:5], s[2:3]
	s_andn2_b64 exec, exec, s[24:25]
	s_cbranch_execz .LBB383_83
.LBB383_81:                             ; =>This Inner Loop Header: Depth=1
	global_load_dword v27, v[22:23], off
	global_load_dword v35, v[24:25], off
	s_or_b64 s[26:27], s[26:27], exec
	s_or_b64 s[28:29], s[28:29], exec
	s_waitcnt vmcnt(0)
	v_cmp_lt_i32_e32 vcc, v27, v35
	v_cmp_le_i32_e64 s[2:3], v27, v35
	v_cmp_eq_u32_e64 s[4:5], v27, v35
	s_and_saveexec_b64 s[42:43], s[4:5]
	s_cbranch_execz .LBB383_80
; %bb.82:                               ;   in Loop: Header=BB383_81 Depth=1
	s_add_u32 s40, s40, -1
	s_addc_u32 s41, s41, -1
	s_cmp_eq_u64 s[40:41], 0
	s_cselect_b64 s[4:5], -1, 0
	s_andn2_b64 s[28:29], s[28:29], exec
	s_and_b64 s[4:5], s[4:5], exec
	v_lshl_add_u64 v[22:23], v[22:23], 0, 4
	v_lshl_add_u64 v[24:25], v[24:25], 0, 4
	s_andn2_b64 s[26:27], s[26:27], exec
	s_or_b64 s[28:29], s[28:29], s[4:5]
	s_branch .LBB383_80
.LBB383_83:
	s_or_b64 exec, exec, s[24:25]
	s_and_saveexec_b64 s[2:3], s[22:23]
	s_xor_b64 s[2:3], exec, s[2:3]
; %bb.84:
	v_cndmask_b32_e64 v23, v17, v11, s[12:13]
	v_cndmask_b32_e64 v22, v16, v10, s[12:13]
	;; [unrolled: 1-line block ×4, first 2 shown]
	v_mov_b64_e32 v[16:17], v[22:23]
; %bb.85:
	s_or_b64 exec, exec, s[2:3]
.LBB383_86:
	s_and_b64 vcc, exec, s[0:1]
	s_cbranch_vccnz .LBB383_100
; %bb.87:
	v_mul_lo_u32 v24, v7, s36
	v_mul_lo_u32 v25, v6, s37
	v_mad_u64_u32 v[22:23], s[2:3], v6, s36, 0
	v_add3_u32 v23, v23, v25, v24
	v_mul_lo_u32 v27, v13, s36
	v_mul_lo_u32 v35, v12, s37
	v_mad_u64_u32 v[24:25], s[2:3], v12, s36, 0
	v_add3_u32 v25, v25, v35, v27
	v_lshl_add_u64 v[22:23], v[22:23], 2, s[38:39]
	v_lshl_add_u64 v[24:25], v[24:25], 2, s[38:39]
	s_mov_b64 s[22:23], 0
	s_mov_b64 s[40:41], s[36:37]
                                        ; implicit-def: $sgpr12_sgpr13
                                        ; implicit-def: $sgpr24_sgpr25
                                        ; implicit-def: $sgpr28_sgpr29
                                        ; implicit-def: $sgpr26_sgpr27
                                        ; implicit-def: $sgpr30_sgpr31
	s_branch .LBB383_89
.LBB383_88:                             ;   in Loop: Header=BB383_89 Depth=1
	s_or_b64 exec, exec, s[42:43]
	s_and_b64 s[2:3], s[2:3], s[30:31]
	s_or_b64 s[2:3], vcc, s[2:3]
	s_and_b64 s[4:5], exec, s[28:29]
	s_or_b64 s[22:23], s[4:5], s[22:23]
	s_andn2_b64 s[4:5], s[30:31], exec
	s_and_b64 s[2:3], s[2:3], exec
	s_or_b64 s[30:31], s[4:5], s[2:3]
	s_andn2_b64 s[4:5], s[24:25], exec
	s_and_b64 s[24:25], s[26:27], exec
	s_or_b64 s[24:25], s[4:5], s[24:25]
	s_andn2_b64 s[4:5], s[12:13], exec
	s_or_b64 s[12:13], s[4:5], s[2:3]
	s_andn2_b64 exec, exec, s[22:23]
	s_cbranch_execz .LBB383_91
.LBB383_89:                             ; =>This Inner Loop Header: Depth=1
	global_load_dword v27, v[22:23], off
	global_load_dword v35, v[24:25], off
	s_or_b64 s[26:27], s[26:27], exec
	s_or_b64 s[28:29], s[28:29], exec
	s_waitcnt vmcnt(0)
	v_cmp_lt_i32_e32 vcc, v27, v35
	v_cmp_le_i32_e64 s[2:3], v27, v35
	v_cmp_eq_u32_e64 s[4:5], v27, v35
	s_and_saveexec_b64 s[42:43], s[4:5]
	s_cbranch_execz .LBB383_88
; %bb.90:                               ;   in Loop: Header=BB383_89 Depth=1
	s_add_u32 s40, s40, -1
	s_addc_u32 s41, s41, -1
	s_cmp_eq_u64 s[40:41], 0
	s_cselect_b64 s[4:5], -1, 0
	s_andn2_b64 s[28:29], s[28:29], exec
	s_and_b64 s[4:5], s[4:5], exec
	v_lshl_add_u64 v[22:23], v[22:23], 0, 4
	v_lshl_add_u64 v[24:25], v[24:25], 0, 4
	s_andn2_b64 s[26:27], s[26:27], exec
	s_or_b64 s[28:29], s[28:29], s[4:5]
	s_branch .LBB383_88
.LBB383_91:
	s_or_b64 exec, exec, s[22:23]
	s_and_saveexec_b64 s[2:3], s[24:25]
	s_xor_b64 s[2:3], exec, s[2:3]
; %bb.92:
	v_cndmask_b32_e64 v23, v13, v7, s[12:13]
	v_cndmask_b32_e64 v22, v12, v6, s[12:13]
	;; [unrolled: 1-line block ×4, first 2 shown]
	v_mov_b64_e32 v[12:13], v[22:23]
; %bb.93:
	s_or_b64 exec, exec, s[2:3]
	v_mul_lo_u32 v24, v3, s36
	v_mul_lo_u32 v25, v2, s37
	v_mad_u64_u32 v[22:23], s[2:3], v2, s36, 0
	v_add3_u32 v23, v23, v25, v24
	v_mul_lo_u32 v27, v9, s36
	v_mul_lo_u32 v35, v8, s37
	v_mad_u64_u32 v[24:25], s[2:3], v8, s36, 0
	v_add3_u32 v25, v25, v35, v27
	v_lshl_add_u64 v[22:23], v[22:23], 2, s[38:39]
	v_lshl_add_u64 v[24:25], v[24:25], 2, s[38:39]
	s_mov_b64 s[24:25], 0
	s_mov_b64 s[40:41], s[36:37]
                                        ; implicit-def: $sgpr12_sgpr13
                                        ; implicit-def: $sgpr22_sgpr23
                                        ; implicit-def: $sgpr28_sgpr29
                                        ; implicit-def: $sgpr26_sgpr27
                                        ; implicit-def: $sgpr30_sgpr31
	s_branch .LBB383_95
.LBB383_94:                             ;   in Loop: Header=BB383_95 Depth=1
	s_or_b64 exec, exec, s[42:43]
	s_and_b64 s[2:3], s[2:3], s[30:31]
	s_or_b64 s[2:3], vcc, s[2:3]
	s_and_b64 s[4:5], exec, s[28:29]
	s_or_b64 s[24:25], s[4:5], s[24:25]
	s_andn2_b64 s[4:5], s[30:31], exec
	s_and_b64 s[2:3], s[2:3], exec
	s_or_b64 s[30:31], s[4:5], s[2:3]
	s_andn2_b64 s[4:5], s[22:23], exec
	s_and_b64 s[22:23], s[26:27], exec
	s_or_b64 s[22:23], s[4:5], s[22:23]
	s_andn2_b64 s[4:5], s[12:13], exec
	s_or_b64 s[12:13], s[4:5], s[2:3]
	s_andn2_b64 exec, exec, s[24:25]
	s_cbranch_execz .LBB383_97
.LBB383_95:                             ; =>This Inner Loop Header: Depth=1
	global_load_dword v27, v[22:23], off
	global_load_dword v35, v[24:25], off
	s_or_b64 s[26:27], s[26:27], exec
	s_or_b64 s[28:29], s[28:29], exec
	s_waitcnt vmcnt(0)
	v_cmp_lt_i32_e32 vcc, v27, v35
	v_cmp_le_i32_e64 s[2:3], v27, v35
	v_cmp_eq_u32_e64 s[4:5], v27, v35
	s_and_saveexec_b64 s[42:43], s[4:5]
	s_cbranch_execz .LBB383_94
; %bb.96:                               ;   in Loop: Header=BB383_95 Depth=1
	s_add_u32 s40, s40, -1
	s_addc_u32 s41, s41, -1
	s_cmp_eq_u64 s[40:41], 0
	s_cselect_b64 s[4:5], -1, 0
	s_andn2_b64 s[28:29], s[28:29], exec
	s_and_b64 s[4:5], s[4:5], exec
	v_lshl_add_u64 v[22:23], v[22:23], 0, 4
	v_lshl_add_u64 v[24:25], v[24:25], 0, 4
	s_andn2_b64 s[26:27], s[26:27], exec
	s_or_b64 s[28:29], s[28:29], s[4:5]
	s_branch .LBB383_94
.LBB383_97:
	s_or_b64 exec, exec, s[24:25]
	s_and_saveexec_b64 s[2:3], s[22:23]
	s_xor_b64 s[2:3], exec, s[2:3]
; %bb.98:
	v_cndmask_b32_e64 v23, v9, v3, s[12:13]
	v_cndmask_b32_e64 v22, v8, v2, s[12:13]
	;; [unrolled: 1-line block ×4, first 2 shown]
	v_mov_b64_e32 v[8:9], v[22:23]
; %bb.99:
	s_or_b64 exec, exec, s[2:3]
.LBB383_100:
	s_and_b64 vcc, exec, s[0:1]
	s_cbranch_vccnz .LBB383_114
; %bb.101:
	v_mul_lo_u32 v24, v17, s36
	v_mul_lo_u32 v25, v16, s37
	v_mad_u64_u32 v[22:23], s[2:3], v16, s36, 0
	v_add3_u32 v23, v23, v25, v24
	v_mul_lo_u32 v27, v15, s36
	v_mul_lo_u32 v35, v14, s37
	v_mad_u64_u32 v[24:25], s[2:3], v14, s36, 0
	v_add3_u32 v25, v25, v35, v27
	v_lshl_add_u64 v[22:23], v[22:23], 2, s[38:39]
	v_lshl_add_u64 v[24:25], v[24:25], 2, s[38:39]
	s_mov_b64 s[22:23], 0
	s_mov_b64 s[40:41], s[36:37]
                                        ; implicit-def: $sgpr12_sgpr13
                                        ; implicit-def: $sgpr24_sgpr25
                                        ; implicit-def: $sgpr28_sgpr29
                                        ; implicit-def: $sgpr26_sgpr27
                                        ; implicit-def: $sgpr30_sgpr31
	s_branch .LBB383_103
.LBB383_102:                            ;   in Loop: Header=BB383_103 Depth=1
	s_or_b64 exec, exec, s[42:43]
	s_and_b64 s[2:3], s[2:3], s[30:31]
	s_or_b64 s[2:3], vcc, s[2:3]
	s_and_b64 s[4:5], exec, s[28:29]
	s_or_b64 s[22:23], s[4:5], s[22:23]
	s_andn2_b64 s[4:5], s[30:31], exec
	s_and_b64 s[2:3], s[2:3], exec
	s_or_b64 s[30:31], s[4:5], s[2:3]
	s_andn2_b64 s[4:5], s[24:25], exec
	s_and_b64 s[24:25], s[26:27], exec
	s_or_b64 s[24:25], s[4:5], s[24:25]
	s_andn2_b64 s[4:5], s[12:13], exec
	s_or_b64 s[12:13], s[4:5], s[2:3]
	s_andn2_b64 exec, exec, s[22:23]
	s_cbranch_execz .LBB383_105
.LBB383_103:                            ; =>This Inner Loop Header: Depth=1
	global_load_dword v27, v[22:23], off
	global_load_dword v35, v[24:25], off
	s_or_b64 s[26:27], s[26:27], exec
	s_or_b64 s[28:29], s[28:29], exec
	s_waitcnt vmcnt(0)
	v_cmp_lt_i32_e32 vcc, v27, v35
	v_cmp_le_i32_e64 s[2:3], v27, v35
	v_cmp_eq_u32_e64 s[4:5], v27, v35
	s_and_saveexec_b64 s[42:43], s[4:5]
	s_cbranch_execz .LBB383_102
; %bb.104:                              ;   in Loop: Header=BB383_103 Depth=1
	s_add_u32 s40, s40, -1
	s_addc_u32 s41, s41, -1
	s_cmp_eq_u64 s[40:41], 0
	s_cselect_b64 s[4:5], -1, 0
	s_andn2_b64 s[28:29], s[28:29], exec
	s_and_b64 s[4:5], s[4:5], exec
	v_lshl_add_u64 v[22:23], v[22:23], 0, 4
	v_lshl_add_u64 v[24:25], v[24:25], 0, 4
	s_andn2_b64 s[26:27], s[26:27], exec
	s_or_b64 s[28:29], s[28:29], s[4:5]
	s_branch .LBB383_102
.LBB383_105:
	s_or_b64 exec, exec, s[22:23]
	s_and_saveexec_b64 s[2:3], s[24:25]
	s_xor_b64 s[2:3], exec, s[2:3]
; %bb.106:
	v_cndmask_b32_e64 v23, v17, v15, s[12:13]
	v_cndmask_b32_e64 v22, v16, v14, s[12:13]
	;; [unrolled: 1-line block ×4, first 2 shown]
	v_mov_b64_e32 v[16:17], v[22:23]
; %bb.107:
	s_or_b64 exec, exec, s[2:3]
	v_mul_lo_u32 v24, v13, s36
	v_mul_lo_u32 v25, v12, s37
	v_mad_u64_u32 v[22:23], s[2:3], v12, s36, 0
	v_add3_u32 v23, v23, v25, v24
	v_mul_lo_u32 v27, v11, s36
	v_mul_lo_u32 v35, v10, s37
	v_mad_u64_u32 v[24:25], s[2:3], v10, s36, 0
	v_add3_u32 v25, v25, v35, v27
	v_lshl_add_u64 v[22:23], v[22:23], 2, s[38:39]
	v_lshl_add_u64 v[24:25], v[24:25], 2, s[38:39]
	s_mov_b64 s[24:25], 0
	s_mov_b64 s[40:41], s[36:37]
                                        ; implicit-def: $sgpr12_sgpr13
                                        ; implicit-def: $sgpr22_sgpr23
                                        ; implicit-def: $sgpr28_sgpr29
                                        ; implicit-def: $sgpr26_sgpr27
                                        ; implicit-def: $sgpr30_sgpr31
	s_branch .LBB383_109
.LBB383_108:                            ;   in Loop: Header=BB383_109 Depth=1
	s_or_b64 exec, exec, s[42:43]
	s_and_b64 s[2:3], s[2:3], s[30:31]
	s_or_b64 s[2:3], vcc, s[2:3]
	s_and_b64 s[4:5], exec, s[28:29]
	s_or_b64 s[24:25], s[4:5], s[24:25]
	s_andn2_b64 s[4:5], s[30:31], exec
	s_and_b64 s[2:3], s[2:3], exec
	s_or_b64 s[30:31], s[4:5], s[2:3]
	s_andn2_b64 s[4:5], s[22:23], exec
	s_and_b64 s[22:23], s[26:27], exec
	s_or_b64 s[22:23], s[4:5], s[22:23]
	s_andn2_b64 s[4:5], s[12:13], exec
	s_or_b64 s[12:13], s[4:5], s[2:3]
	s_andn2_b64 exec, exec, s[24:25]
	s_cbranch_execz .LBB383_111
.LBB383_109:                            ; =>This Inner Loop Header: Depth=1
	global_load_dword v27, v[22:23], off
	global_load_dword v35, v[24:25], off
	s_or_b64 s[26:27], s[26:27], exec
	s_or_b64 s[28:29], s[28:29], exec
	s_waitcnt vmcnt(0)
	v_cmp_lt_i32_e32 vcc, v27, v35
	v_cmp_le_i32_e64 s[2:3], v27, v35
	v_cmp_eq_u32_e64 s[4:5], v27, v35
	s_and_saveexec_b64 s[42:43], s[4:5]
	s_cbranch_execz .LBB383_108
; %bb.110:                              ;   in Loop: Header=BB383_109 Depth=1
	s_add_u32 s40, s40, -1
	s_addc_u32 s41, s41, -1
	s_cmp_eq_u64 s[40:41], 0
	s_cselect_b64 s[4:5], -1, 0
	s_andn2_b64 s[28:29], s[28:29], exec
	s_and_b64 s[4:5], s[4:5], exec
	v_lshl_add_u64 v[22:23], v[22:23], 0, 4
	v_lshl_add_u64 v[24:25], v[24:25], 0, 4
	s_andn2_b64 s[26:27], s[26:27], exec
	s_or_b64 s[28:29], s[28:29], s[4:5]
	s_branch .LBB383_108
.LBB383_111:
	s_or_b64 exec, exec, s[24:25]
	s_and_saveexec_b64 s[2:3], s[22:23]
	s_xor_b64 s[2:3], exec, s[2:3]
; %bb.112:
	v_cndmask_b32_e64 v23, v11, v13, s[12:13]
	v_cndmask_b32_e64 v22, v10, v12, s[12:13]
	v_cndmask_b32_e64 v13, v13, v11, s[12:13]
	v_cndmask_b32_e64 v12, v12, v10, s[12:13]
	v_mov_b64_e32 v[10:11], v[22:23]
; %bb.113:
	s_or_b64 exec, exec, s[2:3]
.LBB383_114:
	s_and_b64 vcc, exec, s[0:1]
	s_cbranch_vccnz .LBB383_188
; %bb.115:
	v_mul_lo_u32 v24, v9, s36
	v_mul_lo_u32 v25, v8, s37
	v_mad_u64_u32 v[22:23], s[2:3], v8, s36, 0
	v_add3_u32 v23, v23, v25, v24
	v_mul_lo_u32 v27, v7, s36
	v_mul_lo_u32 v35, v6, s37
	v_mad_u64_u32 v[24:25], s[2:3], v6, s36, 0
	v_add3_u32 v25, v25, v35, v27
	v_lshl_add_u64 v[22:23], v[22:23], 2, s[38:39]
	v_lshl_add_u64 v[24:25], v[24:25], 2, s[38:39]
	s_mov_b64 s[22:23], 0
	s_mov_b64 s[40:41], s[36:37]
                                        ; implicit-def: $sgpr12_sgpr13
                                        ; implicit-def: $sgpr24_sgpr25
                                        ; implicit-def: $sgpr28_sgpr29
                                        ; implicit-def: $sgpr26_sgpr27
                                        ; implicit-def: $sgpr30_sgpr31
	s_branch .LBB383_117
.LBB383_116:                            ;   in Loop: Header=BB383_117 Depth=1
	s_or_b64 exec, exec, s[42:43]
	s_and_b64 s[2:3], s[2:3], s[30:31]
	s_or_b64 s[2:3], vcc, s[2:3]
	s_and_b64 s[4:5], exec, s[28:29]
	s_or_b64 s[22:23], s[4:5], s[22:23]
	s_andn2_b64 s[4:5], s[30:31], exec
	s_and_b64 s[2:3], s[2:3], exec
	s_or_b64 s[30:31], s[4:5], s[2:3]
	s_andn2_b64 s[4:5], s[24:25], exec
	s_and_b64 s[24:25], s[26:27], exec
	s_or_b64 s[24:25], s[4:5], s[24:25]
	s_andn2_b64 s[4:5], s[12:13], exec
	s_or_b64 s[12:13], s[4:5], s[2:3]
	s_andn2_b64 exec, exec, s[22:23]
	s_cbranch_execz .LBB383_119
.LBB383_117:                            ; =>This Inner Loop Header: Depth=1
	global_load_dword v27, v[22:23], off
	global_load_dword v35, v[24:25], off
	s_or_b64 s[26:27], s[26:27], exec
	s_or_b64 s[28:29], s[28:29], exec
	s_waitcnt vmcnt(0)
	v_cmp_lt_i32_e32 vcc, v27, v35
	v_cmp_le_i32_e64 s[2:3], v27, v35
	v_cmp_eq_u32_e64 s[4:5], v27, v35
	s_and_saveexec_b64 s[42:43], s[4:5]
	s_cbranch_execz .LBB383_116
; %bb.118:                              ;   in Loop: Header=BB383_117 Depth=1
	s_add_u32 s40, s40, -1
	s_addc_u32 s41, s41, -1
	s_cmp_eq_u64 s[40:41], 0
	s_cselect_b64 s[4:5], -1, 0
	s_andn2_b64 s[28:29], s[28:29], exec
	s_and_b64 s[4:5], s[4:5], exec
	v_lshl_add_u64 v[22:23], v[22:23], 0, 4
	v_lshl_add_u64 v[24:25], v[24:25], 0, 4
	s_andn2_b64 s[26:27], s[26:27], exec
	s_or_b64 s[28:29], s[28:29], s[4:5]
	s_branch .LBB383_116
.LBB383_119:
	s_or_b64 exec, exec, s[22:23]
	s_and_saveexec_b64 s[2:3], s[24:25]
	s_xor_b64 s[2:3], exec, s[2:3]
; %bb.120:
	v_cndmask_b32_e64 v23, v7, v9, s[12:13]
	v_cndmask_b32_e64 v22, v6, v8, s[12:13]
	;; [unrolled: 1-line block ×4, first 2 shown]
	v_mov_b64_e32 v[6:7], v[22:23]
; %bb.121:
	s_or_b64 exec, exec, s[2:3]
	v_mul_lo_u32 v24, v5, s36
	v_mul_lo_u32 v25, v4, s37
	v_mad_u64_u32 v[22:23], s[2:3], v4, s36, 0
	v_add3_u32 v23, v23, v25, v24
	v_mul_lo_u32 v27, v3, s36
	v_mul_lo_u32 v35, v2, s37
	v_mad_u64_u32 v[24:25], s[2:3], v2, s36, 0
	v_add3_u32 v25, v25, v35, v27
	v_lshl_add_u64 v[22:23], v[22:23], 2, s[38:39]
	v_lshl_add_u64 v[24:25], v[24:25], 2, s[38:39]
	s_mov_b64 s[22:23], 0
	s_mov_b64 s[40:41], s[36:37]
                                        ; implicit-def: $sgpr12_sgpr13
                                        ; implicit-def: $sgpr24_sgpr25
                                        ; implicit-def: $sgpr28_sgpr29
                                        ; implicit-def: $sgpr26_sgpr27
                                        ; implicit-def: $sgpr30_sgpr31
	s_branch .LBB383_123
.LBB383_122:                            ;   in Loop: Header=BB383_123 Depth=1
	s_or_b64 exec, exec, s[42:43]
	s_and_b64 s[2:3], s[2:3], s[30:31]
	s_or_b64 s[2:3], vcc, s[2:3]
	s_and_b64 s[4:5], exec, s[28:29]
	s_or_b64 s[22:23], s[4:5], s[22:23]
	s_andn2_b64 s[4:5], s[30:31], exec
	s_and_b64 s[2:3], s[2:3], exec
	s_or_b64 s[30:31], s[4:5], s[2:3]
	s_andn2_b64 s[4:5], s[24:25], exec
	s_and_b64 s[24:25], s[26:27], exec
	s_or_b64 s[24:25], s[4:5], s[24:25]
	s_andn2_b64 s[4:5], s[12:13], exec
	s_or_b64 s[12:13], s[4:5], s[2:3]
	s_andn2_b64 exec, exec, s[22:23]
	s_cbranch_execz .LBB383_125
.LBB383_123:                            ; =>This Inner Loop Header: Depth=1
	global_load_dword v27, v[22:23], off
	global_load_dword v35, v[24:25], off
	s_or_b64 s[26:27], s[26:27], exec
	s_or_b64 s[28:29], s[28:29], exec
	s_waitcnt vmcnt(0)
	v_cmp_lt_i32_e32 vcc, v27, v35
	v_cmp_le_i32_e64 s[2:3], v27, v35
	v_cmp_eq_u32_e64 s[4:5], v27, v35
	s_and_saveexec_b64 s[42:43], s[4:5]
	s_cbranch_execz .LBB383_122
; %bb.124:                              ;   in Loop: Header=BB383_123 Depth=1
	s_add_u32 s40, s40, -1
	s_addc_u32 s41, s41, -1
	s_cmp_eq_u64 s[40:41], 0
	s_cselect_b64 s[4:5], -1, 0
	s_andn2_b64 s[28:29], s[28:29], exec
	s_and_b64 s[4:5], s[4:5], exec
	v_lshl_add_u64 v[22:23], v[22:23], 0, 4
	v_lshl_add_u64 v[24:25], v[24:25], 0, 4
	s_andn2_b64 s[26:27], s[26:27], exec
	s_or_b64 s[28:29], s[28:29], s[4:5]
	s_branch .LBB383_122
.LBB383_125:
	s_or_b64 exec, exec, s[22:23]
	s_and_saveexec_b64 s[2:3], s[24:25]
	s_xor_b64 s[2:3], exec, s[2:3]
; %bb.126:
	v_cndmask_b32_e64 v23, v3, v5, s[12:13]
	v_cndmask_b32_e64 v22, v2, v4, s[12:13]
	;; [unrolled: 1-line block ×4, first 2 shown]
	v_mov_b64_e32 v[2:3], v[22:23]
; %bb.127:
	s_or_b64 exec, exec, s[2:3]
	v_mul_lo_u32 v24, v11, s36
	v_mul_lo_u32 v25, v10, s37
	v_mad_u64_u32 v[22:23], s[2:3], v10, s36, 0
	v_add3_u32 v23, v23, v25, v24
	v_mul_lo_u32 v27, v17, s36
	v_mul_lo_u32 v35, v16, s37
	v_mad_u64_u32 v[24:25], s[2:3], v16, s36, 0
	v_add3_u32 v25, v25, v35, v27
	v_lshl_add_u64 v[22:23], v[22:23], 2, s[38:39]
	v_lshl_add_u64 v[24:25], v[24:25], 2, s[38:39]
	s_mov_b64 s[22:23], 0
	s_mov_b64 s[40:41], s[36:37]
                                        ; implicit-def: $sgpr12_sgpr13
                                        ; implicit-def: $sgpr24_sgpr25
                                        ; implicit-def: $sgpr28_sgpr29
                                        ; implicit-def: $sgpr26_sgpr27
                                        ; implicit-def: $sgpr30_sgpr31
	s_branch .LBB383_129
.LBB383_128:                            ;   in Loop: Header=BB383_129 Depth=1
	s_or_b64 exec, exec, s[42:43]
	s_and_b64 s[2:3], s[2:3], s[30:31]
	s_or_b64 s[2:3], vcc, s[2:3]
	s_and_b64 s[4:5], exec, s[28:29]
	s_or_b64 s[22:23], s[4:5], s[22:23]
	s_andn2_b64 s[4:5], s[30:31], exec
	s_and_b64 s[2:3], s[2:3], exec
	s_or_b64 s[30:31], s[4:5], s[2:3]
	s_andn2_b64 s[4:5], s[24:25], exec
	s_and_b64 s[24:25], s[26:27], exec
	s_or_b64 s[24:25], s[4:5], s[24:25]
	s_andn2_b64 s[4:5], s[12:13], exec
	s_or_b64 s[12:13], s[4:5], s[2:3]
	s_andn2_b64 exec, exec, s[22:23]
	s_cbranch_execz .LBB383_131
.LBB383_129:                            ; =>This Inner Loop Header: Depth=1
	global_load_dword v27, v[22:23], off
	global_load_dword v35, v[24:25], off
	s_or_b64 s[26:27], s[26:27], exec
	s_or_b64 s[28:29], s[28:29], exec
	s_waitcnt vmcnt(0)
	v_cmp_lt_i32_e32 vcc, v27, v35
	v_cmp_le_i32_e64 s[2:3], v27, v35
	v_cmp_eq_u32_e64 s[4:5], v27, v35
	s_and_saveexec_b64 s[42:43], s[4:5]
	s_cbranch_execz .LBB383_128
; %bb.130:                              ;   in Loop: Header=BB383_129 Depth=1
	s_add_u32 s40, s40, -1
	s_addc_u32 s41, s41, -1
	s_cmp_eq_u64 s[40:41], 0
	s_cselect_b64 s[4:5], -1, 0
	s_andn2_b64 s[28:29], s[28:29], exec
	s_and_b64 s[4:5], s[4:5], exec
	v_lshl_add_u64 v[22:23], v[22:23], 0, 4
	v_lshl_add_u64 v[24:25], v[24:25], 0, 4
	s_andn2_b64 s[26:27], s[26:27], exec
	s_or_b64 s[28:29], s[28:29], s[4:5]
	s_branch .LBB383_128
.LBB383_131:
	s_or_b64 exec, exec, s[22:23]
	s_and_saveexec_b64 s[2:3], s[24:25]
	s_xor_b64 s[2:3], exec, s[2:3]
; %bb.132:
	v_cndmask_b32_e64 v23, v17, v11, s[12:13]
	v_cndmask_b32_e64 v22, v16, v10, s[12:13]
	;; [unrolled: 1-line block ×4, first 2 shown]
	v_mov_b64_e32 v[16:17], v[22:23]
; %bb.133:
	s_or_b64 exec, exec, s[2:3]
	v_mul_lo_u32 v24, v7, s36
	v_mul_lo_u32 v25, v6, s37
	v_mad_u64_u32 v[22:23], s[2:3], v6, s36, 0
	v_add3_u32 v23, v23, v25, v24
	v_mul_lo_u32 v27, v13, s36
	v_mul_lo_u32 v35, v12, s37
	v_mad_u64_u32 v[24:25], s[2:3], v12, s36, 0
	v_add3_u32 v25, v25, v35, v27
	v_lshl_add_u64 v[22:23], v[22:23], 2, s[38:39]
	v_lshl_add_u64 v[24:25], v[24:25], 2, s[38:39]
	s_mov_b64 s[22:23], 0
	s_mov_b64 s[40:41], s[36:37]
                                        ; implicit-def: $sgpr12_sgpr13
                                        ; implicit-def: $sgpr24_sgpr25
                                        ; implicit-def: $sgpr28_sgpr29
                                        ; implicit-def: $sgpr26_sgpr27
                                        ; implicit-def: $sgpr30_sgpr31
	s_branch .LBB383_135
.LBB383_134:                            ;   in Loop: Header=BB383_135 Depth=1
	s_or_b64 exec, exec, s[42:43]
	s_and_b64 s[2:3], s[2:3], s[30:31]
	s_or_b64 s[2:3], vcc, s[2:3]
	s_and_b64 s[4:5], exec, s[28:29]
	s_or_b64 s[22:23], s[4:5], s[22:23]
	s_andn2_b64 s[4:5], s[30:31], exec
	s_and_b64 s[2:3], s[2:3], exec
	s_or_b64 s[30:31], s[4:5], s[2:3]
	s_andn2_b64 s[4:5], s[24:25], exec
	s_and_b64 s[24:25], s[26:27], exec
	s_or_b64 s[24:25], s[4:5], s[24:25]
	s_andn2_b64 s[4:5], s[12:13], exec
	s_or_b64 s[12:13], s[4:5], s[2:3]
	s_andn2_b64 exec, exec, s[22:23]
	s_cbranch_execz .LBB383_137
.LBB383_135:                            ; =>This Inner Loop Header: Depth=1
	global_load_dword v27, v[22:23], off
	global_load_dword v35, v[24:25], off
	s_or_b64 s[26:27], s[26:27], exec
	s_or_b64 s[28:29], s[28:29], exec
	s_waitcnt vmcnt(0)
	v_cmp_lt_i32_e32 vcc, v27, v35
	v_cmp_le_i32_e64 s[2:3], v27, v35
	v_cmp_eq_u32_e64 s[4:5], v27, v35
	s_and_saveexec_b64 s[42:43], s[4:5]
	s_cbranch_execz .LBB383_134
; %bb.136:                              ;   in Loop: Header=BB383_135 Depth=1
	s_add_u32 s40, s40, -1
	s_addc_u32 s41, s41, -1
	s_cmp_eq_u64 s[40:41], 0
	s_cselect_b64 s[4:5], -1, 0
	s_andn2_b64 s[28:29], s[28:29], exec
	s_and_b64 s[4:5], s[4:5], exec
	v_lshl_add_u64 v[22:23], v[22:23], 0, 4
	v_lshl_add_u64 v[24:25], v[24:25], 0, 4
	s_andn2_b64 s[26:27], s[26:27], exec
	s_or_b64 s[28:29], s[28:29], s[4:5]
	s_branch .LBB383_134
.LBB383_137:
	s_or_b64 exec, exec, s[22:23]
	s_and_saveexec_b64 s[2:3], s[24:25]
	s_xor_b64 s[2:3], exec, s[2:3]
; %bb.138:
	v_cndmask_b32_e64 v23, v13, v7, s[12:13]
	v_cndmask_b32_e64 v22, v12, v6, s[12:13]
	;; [unrolled: 1-line block ×4, first 2 shown]
	v_mov_b64_e32 v[12:13], v[22:23]
; %bb.139:
	s_or_b64 exec, exec, s[2:3]
	v_mul_lo_u32 v24, v3, s36
	v_mul_lo_u32 v25, v2, s37
	v_mad_u64_u32 v[22:23], s[2:3], v2, s36, 0
	v_add3_u32 v23, v23, v25, v24
	v_mul_lo_u32 v27, v9, s36
	v_mul_lo_u32 v35, v8, s37
	v_mad_u64_u32 v[24:25], s[2:3], v8, s36, 0
	v_add3_u32 v25, v25, v35, v27
	v_lshl_add_u64 v[22:23], v[22:23], 2, s[38:39]
	v_lshl_add_u64 v[24:25], v[24:25], 2, s[38:39]
	s_mov_b64 s[22:23], 0
	s_mov_b64 s[40:41], s[36:37]
                                        ; implicit-def: $sgpr12_sgpr13
                                        ; implicit-def: $sgpr24_sgpr25
                                        ; implicit-def: $sgpr28_sgpr29
                                        ; implicit-def: $sgpr26_sgpr27
                                        ; implicit-def: $sgpr30_sgpr31
	s_branch .LBB383_141
.LBB383_140:                            ;   in Loop: Header=BB383_141 Depth=1
	s_or_b64 exec, exec, s[42:43]
	s_and_b64 s[2:3], s[2:3], s[30:31]
	s_or_b64 s[2:3], vcc, s[2:3]
	s_and_b64 s[4:5], exec, s[28:29]
	s_or_b64 s[22:23], s[4:5], s[22:23]
	s_andn2_b64 s[4:5], s[30:31], exec
	s_and_b64 s[2:3], s[2:3], exec
	s_or_b64 s[30:31], s[4:5], s[2:3]
	s_andn2_b64 s[4:5], s[24:25], exec
	s_and_b64 s[24:25], s[26:27], exec
	s_or_b64 s[24:25], s[4:5], s[24:25]
	s_andn2_b64 s[4:5], s[12:13], exec
	s_or_b64 s[12:13], s[4:5], s[2:3]
	s_andn2_b64 exec, exec, s[22:23]
	s_cbranch_execz .LBB383_143
.LBB383_141:                            ; =>This Inner Loop Header: Depth=1
	global_load_dword v27, v[22:23], off
	global_load_dword v35, v[24:25], off
	s_or_b64 s[26:27], s[26:27], exec
	s_or_b64 s[28:29], s[28:29], exec
	s_waitcnt vmcnt(0)
	v_cmp_lt_i32_e32 vcc, v27, v35
	v_cmp_le_i32_e64 s[2:3], v27, v35
	v_cmp_eq_u32_e64 s[4:5], v27, v35
	s_and_saveexec_b64 s[42:43], s[4:5]
	s_cbranch_execz .LBB383_140
; %bb.142:                              ;   in Loop: Header=BB383_141 Depth=1
	s_add_u32 s40, s40, -1
	s_addc_u32 s41, s41, -1
	s_cmp_eq_u64 s[40:41], 0
	s_cselect_b64 s[4:5], -1, 0
	s_andn2_b64 s[28:29], s[28:29], exec
	s_and_b64 s[4:5], s[4:5], exec
	v_lshl_add_u64 v[22:23], v[22:23], 0, 4
	v_lshl_add_u64 v[24:25], v[24:25], 0, 4
	s_andn2_b64 s[26:27], s[26:27], exec
	s_or_b64 s[28:29], s[28:29], s[4:5]
	s_branch .LBB383_140
.LBB383_143:
	s_or_b64 exec, exec, s[22:23]
	s_and_saveexec_b64 s[2:3], s[24:25]
	s_xor_b64 s[2:3], exec, s[2:3]
; %bb.144:
	v_cndmask_b32_e64 v23, v9, v3, s[12:13]
	v_cndmask_b32_e64 v22, v8, v2, s[12:13]
	;; [unrolled: 1-line block ×4, first 2 shown]
	v_mov_b64_e32 v[8:9], v[22:23]
; %bb.145:
	s_or_b64 exec, exec, s[2:3]
	v_mul_lo_u32 v24, v17, s36
	v_mul_lo_u32 v25, v16, s37
	v_mad_u64_u32 v[22:23], s[2:3], v16, s36, 0
	v_add3_u32 v23, v23, v25, v24
	v_mul_lo_u32 v27, v15, s36
	v_mul_lo_u32 v35, v14, s37
	v_mad_u64_u32 v[24:25], s[2:3], v14, s36, 0
	v_add3_u32 v25, v25, v35, v27
	v_lshl_add_u64 v[22:23], v[22:23], 2, s[38:39]
	v_lshl_add_u64 v[24:25], v[24:25], 2, s[38:39]
	s_mov_b64 s[22:23], 0
	s_mov_b64 s[40:41], s[36:37]
                                        ; implicit-def: $sgpr12_sgpr13
                                        ; implicit-def: $sgpr24_sgpr25
                                        ; implicit-def: $sgpr28_sgpr29
                                        ; implicit-def: $sgpr26_sgpr27
                                        ; implicit-def: $sgpr30_sgpr31
	s_branch .LBB383_147
.LBB383_146:                            ;   in Loop: Header=BB383_147 Depth=1
	s_or_b64 exec, exec, s[42:43]
	s_and_b64 s[2:3], s[2:3], s[30:31]
	s_or_b64 s[2:3], vcc, s[2:3]
	s_and_b64 s[4:5], exec, s[28:29]
	s_or_b64 s[22:23], s[4:5], s[22:23]
	s_andn2_b64 s[4:5], s[30:31], exec
	s_and_b64 s[2:3], s[2:3], exec
	s_or_b64 s[30:31], s[4:5], s[2:3]
	s_andn2_b64 s[4:5], s[24:25], exec
	s_and_b64 s[24:25], s[26:27], exec
	s_or_b64 s[24:25], s[4:5], s[24:25]
	s_andn2_b64 s[4:5], s[12:13], exec
	s_or_b64 s[12:13], s[4:5], s[2:3]
	s_andn2_b64 exec, exec, s[22:23]
	s_cbranch_execz .LBB383_149
.LBB383_147:                            ; =>This Inner Loop Header: Depth=1
	global_load_dword v27, v[22:23], off
	global_load_dword v35, v[24:25], off
	s_or_b64 s[26:27], s[26:27], exec
	s_or_b64 s[28:29], s[28:29], exec
	s_waitcnt vmcnt(0)
	v_cmp_lt_i32_e32 vcc, v27, v35
	v_cmp_le_i32_e64 s[2:3], v27, v35
	v_cmp_eq_u32_e64 s[4:5], v27, v35
	s_and_saveexec_b64 s[42:43], s[4:5]
	s_cbranch_execz .LBB383_146
; %bb.148:                              ;   in Loop: Header=BB383_147 Depth=1
	s_add_u32 s40, s40, -1
	s_addc_u32 s41, s41, -1
	s_cmp_eq_u64 s[40:41], 0
	s_cselect_b64 s[4:5], -1, 0
	s_andn2_b64 s[28:29], s[28:29], exec
	s_and_b64 s[4:5], s[4:5], exec
	v_lshl_add_u64 v[22:23], v[22:23], 0, 4
	v_lshl_add_u64 v[24:25], v[24:25], 0, 4
	s_andn2_b64 s[26:27], s[26:27], exec
	s_or_b64 s[28:29], s[28:29], s[4:5]
	s_branch .LBB383_146
.LBB383_149:
	s_or_b64 exec, exec, s[22:23]
	s_and_saveexec_b64 s[2:3], s[24:25]
	s_xor_b64 s[2:3], exec, s[2:3]
; %bb.150:
	v_cndmask_b32_e64 v23, v17, v15, s[12:13]
	v_cndmask_b32_e64 v22, v16, v14, s[12:13]
	v_cndmask_b32_e64 v15, v15, v17, s[12:13]
	v_cndmask_b32_e64 v14, v14, v16, s[12:13]
	v_mov_b64_e32 v[16:17], v[22:23]
; %bb.151:
	s_or_b64 exec, exec, s[2:3]
	v_mul_lo_u32 v24, v13, s36
	v_mul_lo_u32 v25, v12, s37
	v_mad_u64_u32 v[22:23], s[2:3], v12, s36, 0
	v_add3_u32 v23, v23, v25, v24
	v_mul_lo_u32 v27, v11, s36
	v_mul_lo_u32 v35, v10, s37
	v_mad_u64_u32 v[24:25], s[2:3], v10, s36, 0
	v_add3_u32 v25, v25, v35, v27
	v_lshl_add_u64 v[22:23], v[22:23], 2, s[38:39]
	v_lshl_add_u64 v[24:25], v[24:25], 2, s[38:39]
	s_mov_b64 s[22:23], 0
	s_mov_b64 s[40:41], s[36:37]
                                        ; implicit-def: $sgpr12_sgpr13
                                        ; implicit-def: $sgpr24_sgpr25
                                        ; implicit-def: $sgpr28_sgpr29
                                        ; implicit-def: $sgpr26_sgpr27
                                        ; implicit-def: $sgpr30_sgpr31
	s_branch .LBB383_153
.LBB383_152:                            ;   in Loop: Header=BB383_153 Depth=1
	s_or_b64 exec, exec, s[42:43]
	s_and_b64 s[2:3], s[2:3], s[30:31]
	s_or_b64 s[2:3], vcc, s[2:3]
	s_and_b64 s[4:5], exec, s[28:29]
	s_or_b64 s[22:23], s[4:5], s[22:23]
	s_andn2_b64 s[4:5], s[30:31], exec
	s_and_b64 s[2:3], s[2:3], exec
	s_or_b64 s[30:31], s[4:5], s[2:3]
	s_andn2_b64 s[4:5], s[24:25], exec
	s_and_b64 s[24:25], s[26:27], exec
	s_or_b64 s[24:25], s[4:5], s[24:25]
	s_andn2_b64 s[4:5], s[12:13], exec
	s_or_b64 s[12:13], s[4:5], s[2:3]
	s_andn2_b64 exec, exec, s[22:23]
	s_cbranch_execz .LBB383_155
.LBB383_153:                            ; =>This Inner Loop Header: Depth=1
	global_load_dword v27, v[22:23], off
	global_load_dword v35, v[24:25], off
	s_or_b64 s[26:27], s[26:27], exec
	s_or_b64 s[28:29], s[28:29], exec
	s_waitcnt vmcnt(0)
	v_cmp_lt_i32_e32 vcc, v27, v35
	v_cmp_le_i32_e64 s[2:3], v27, v35
	v_cmp_eq_u32_e64 s[4:5], v27, v35
	s_and_saveexec_b64 s[42:43], s[4:5]
	s_cbranch_execz .LBB383_152
; %bb.154:                              ;   in Loop: Header=BB383_153 Depth=1
	s_add_u32 s40, s40, -1
	s_addc_u32 s41, s41, -1
	s_cmp_eq_u64 s[40:41], 0
	s_cselect_b64 s[4:5], -1, 0
	s_andn2_b64 s[28:29], s[28:29], exec
	s_and_b64 s[4:5], s[4:5], exec
	v_lshl_add_u64 v[22:23], v[22:23], 0, 4
	v_lshl_add_u64 v[24:25], v[24:25], 0, 4
	s_andn2_b64 s[26:27], s[26:27], exec
	s_or_b64 s[28:29], s[28:29], s[4:5]
	s_branch .LBB383_152
.LBB383_155:
	s_or_b64 exec, exec, s[22:23]
	s_and_saveexec_b64 s[2:3], s[24:25]
	s_xor_b64 s[2:3], exec, s[2:3]
; %bb.156:
	v_cndmask_b32_e64 v23, v11, v13, s[12:13]
	v_cndmask_b32_e64 v22, v10, v12, s[12:13]
	;; [unrolled: 1-line block ×4, first 2 shown]
	v_mov_b64_e32 v[10:11], v[22:23]
; %bb.157:
	s_or_b64 exec, exec, s[2:3]
	v_mul_lo_u32 v24, v9, s36
	v_mul_lo_u32 v25, v8, s37
	v_mad_u64_u32 v[22:23], s[2:3], v8, s36, 0
	v_add3_u32 v23, v23, v25, v24
	v_mul_lo_u32 v27, v7, s36
	v_mul_lo_u32 v35, v6, s37
	v_mad_u64_u32 v[24:25], s[2:3], v6, s36, 0
	v_add3_u32 v25, v25, v35, v27
	v_lshl_add_u64 v[22:23], v[22:23], 2, s[38:39]
	v_lshl_add_u64 v[24:25], v[24:25], 2, s[38:39]
	s_mov_b64 s[22:23], 0
	s_mov_b64 s[40:41], s[36:37]
                                        ; implicit-def: $sgpr12_sgpr13
                                        ; implicit-def: $sgpr24_sgpr25
                                        ; implicit-def: $sgpr28_sgpr29
                                        ; implicit-def: $sgpr26_sgpr27
                                        ; implicit-def: $sgpr30_sgpr31
	s_branch .LBB383_159
.LBB383_158:                            ;   in Loop: Header=BB383_159 Depth=1
	s_or_b64 exec, exec, s[42:43]
	s_and_b64 s[2:3], s[2:3], s[30:31]
	s_or_b64 s[2:3], vcc, s[2:3]
	s_and_b64 s[4:5], exec, s[28:29]
	s_or_b64 s[22:23], s[4:5], s[22:23]
	s_andn2_b64 s[4:5], s[30:31], exec
	s_and_b64 s[2:3], s[2:3], exec
	s_or_b64 s[30:31], s[4:5], s[2:3]
	s_andn2_b64 s[4:5], s[24:25], exec
	s_and_b64 s[24:25], s[26:27], exec
	s_or_b64 s[24:25], s[4:5], s[24:25]
	s_andn2_b64 s[4:5], s[12:13], exec
	s_or_b64 s[12:13], s[4:5], s[2:3]
	s_andn2_b64 exec, exec, s[22:23]
	s_cbranch_execz .LBB383_161
.LBB383_159:                            ; =>This Inner Loop Header: Depth=1
	global_load_dword v27, v[22:23], off
	global_load_dword v35, v[24:25], off
	s_or_b64 s[26:27], s[26:27], exec
	s_or_b64 s[28:29], s[28:29], exec
	s_waitcnt vmcnt(0)
	v_cmp_lt_i32_e32 vcc, v27, v35
	v_cmp_le_i32_e64 s[2:3], v27, v35
	v_cmp_eq_u32_e64 s[4:5], v27, v35
	s_and_saveexec_b64 s[42:43], s[4:5]
	s_cbranch_execz .LBB383_158
; %bb.160:                              ;   in Loop: Header=BB383_159 Depth=1
	s_add_u32 s40, s40, -1
	s_addc_u32 s41, s41, -1
	s_cmp_eq_u64 s[40:41], 0
	s_cselect_b64 s[4:5], -1, 0
	s_andn2_b64 s[28:29], s[28:29], exec
	s_and_b64 s[4:5], s[4:5], exec
	v_lshl_add_u64 v[22:23], v[22:23], 0, 4
	v_lshl_add_u64 v[24:25], v[24:25], 0, 4
	s_andn2_b64 s[26:27], s[26:27], exec
	s_or_b64 s[28:29], s[28:29], s[4:5]
	s_branch .LBB383_158
.LBB383_161:
	s_or_b64 exec, exec, s[22:23]
	s_and_saveexec_b64 s[2:3], s[24:25]
	s_xor_b64 s[2:3], exec, s[2:3]
; %bb.162:
	v_cndmask_b32_e64 v23, v7, v9, s[12:13]
	v_cndmask_b32_e64 v22, v6, v8, s[12:13]
	;; [unrolled: 1-line block ×4, first 2 shown]
	v_mov_b64_e32 v[6:7], v[22:23]
; %bb.163:
	s_or_b64 exec, exec, s[2:3]
	v_mul_lo_u32 v24, v5, s36
	v_mul_lo_u32 v25, v4, s37
	v_mad_u64_u32 v[22:23], s[2:3], v4, s36, 0
	v_add3_u32 v23, v23, v25, v24
	v_mul_lo_u32 v27, v3, s36
	v_mul_lo_u32 v35, v2, s37
	v_mad_u64_u32 v[24:25], s[2:3], v2, s36, 0
	v_add3_u32 v25, v25, v35, v27
	v_lshl_add_u64 v[22:23], v[22:23], 2, s[38:39]
	v_lshl_add_u64 v[24:25], v[24:25], 2, s[38:39]
	s_mov_b64 s[22:23], 0
	s_mov_b64 s[40:41], s[36:37]
                                        ; implicit-def: $sgpr12_sgpr13
                                        ; implicit-def: $sgpr24_sgpr25
                                        ; implicit-def: $sgpr28_sgpr29
                                        ; implicit-def: $sgpr26_sgpr27
                                        ; implicit-def: $sgpr30_sgpr31
	s_branch .LBB383_165
.LBB383_164:                            ;   in Loop: Header=BB383_165 Depth=1
	s_or_b64 exec, exec, s[42:43]
	s_and_b64 s[2:3], s[2:3], s[30:31]
	s_or_b64 s[2:3], vcc, s[2:3]
	s_and_b64 s[4:5], exec, s[28:29]
	s_or_b64 s[22:23], s[4:5], s[22:23]
	s_andn2_b64 s[4:5], s[30:31], exec
	s_and_b64 s[2:3], s[2:3], exec
	s_or_b64 s[30:31], s[4:5], s[2:3]
	s_andn2_b64 s[4:5], s[24:25], exec
	s_and_b64 s[24:25], s[26:27], exec
	s_or_b64 s[24:25], s[4:5], s[24:25]
	s_andn2_b64 s[4:5], s[12:13], exec
	s_or_b64 s[12:13], s[4:5], s[2:3]
	s_andn2_b64 exec, exec, s[22:23]
	s_cbranch_execz .LBB383_167
.LBB383_165:                            ; =>This Inner Loop Header: Depth=1
	global_load_dword v27, v[22:23], off
	global_load_dword v35, v[24:25], off
	s_or_b64 s[26:27], s[26:27], exec
	s_or_b64 s[28:29], s[28:29], exec
	s_waitcnt vmcnt(0)
	v_cmp_lt_i32_e32 vcc, v27, v35
	v_cmp_le_i32_e64 s[2:3], v27, v35
	v_cmp_eq_u32_e64 s[4:5], v27, v35
	s_and_saveexec_b64 s[42:43], s[4:5]
	s_cbranch_execz .LBB383_164
; %bb.166:                              ;   in Loop: Header=BB383_165 Depth=1
	s_add_u32 s40, s40, -1
	s_addc_u32 s41, s41, -1
	s_cmp_eq_u64 s[40:41], 0
	s_cselect_b64 s[4:5], -1, 0
	s_andn2_b64 s[28:29], s[28:29], exec
	s_and_b64 s[4:5], s[4:5], exec
	v_lshl_add_u64 v[22:23], v[22:23], 0, 4
	v_lshl_add_u64 v[24:25], v[24:25], 0, 4
	s_andn2_b64 s[26:27], s[26:27], exec
	s_or_b64 s[28:29], s[28:29], s[4:5]
	s_branch .LBB383_164
.LBB383_167:
	s_or_b64 exec, exec, s[22:23]
	s_and_saveexec_b64 s[2:3], s[24:25]
	s_xor_b64 s[2:3], exec, s[2:3]
; %bb.168:
	v_cndmask_b32_e64 v23, v3, v5, s[12:13]
	v_cndmask_b32_e64 v22, v2, v4, s[12:13]
	;; [unrolled: 1-line block ×4, first 2 shown]
	v_mov_b64_e32 v[2:3], v[22:23]
; %bb.169:
	s_or_b64 exec, exec, s[2:3]
	v_mul_lo_u32 v24, v11, s36
	v_mul_lo_u32 v25, v10, s37
	v_mad_u64_u32 v[22:23], s[2:3], v10, s36, 0
	v_add3_u32 v23, v23, v25, v24
	v_mul_lo_u32 v27, v17, s36
	v_mul_lo_u32 v35, v16, s37
	v_mad_u64_u32 v[24:25], s[2:3], v16, s36, 0
	v_add3_u32 v25, v25, v35, v27
	v_lshl_add_u64 v[22:23], v[22:23], 2, s[38:39]
	v_lshl_add_u64 v[24:25], v[24:25], 2, s[38:39]
	s_mov_b64 s[22:23], 0
	s_mov_b64 s[40:41], s[36:37]
                                        ; implicit-def: $sgpr12_sgpr13
                                        ; implicit-def: $sgpr24_sgpr25
                                        ; implicit-def: $sgpr28_sgpr29
                                        ; implicit-def: $sgpr26_sgpr27
                                        ; implicit-def: $sgpr30_sgpr31
	s_branch .LBB383_171
.LBB383_170:                            ;   in Loop: Header=BB383_171 Depth=1
	s_or_b64 exec, exec, s[42:43]
	s_and_b64 s[2:3], s[2:3], s[30:31]
	s_or_b64 s[2:3], vcc, s[2:3]
	s_and_b64 s[4:5], exec, s[28:29]
	s_or_b64 s[22:23], s[4:5], s[22:23]
	s_andn2_b64 s[4:5], s[30:31], exec
	s_and_b64 s[2:3], s[2:3], exec
	s_or_b64 s[30:31], s[4:5], s[2:3]
	s_andn2_b64 s[4:5], s[24:25], exec
	s_and_b64 s[24:25], s[26:27], exec
	s_or_b64 s[24:25], s[4:5], s[24:25]
	s_andn2_b64 s[4:5], s[12:13], exec
	s_or_b64 s[12:13], s[4:5], s[2:3]
	s_andn2_b64 exec, exec, s[22:23]
	s_cbranch_execz .LBB383_173
.LBB383_171:                            ; =>This Inner Loop Header: Depth=1
	global_load_dword v27, v[22:23], off
	global_load_dword v35, v[24:25], off
	s_or_b64 s[26:27], s[26:27], exec
	s_or_b64 s[28:29], s[28:29], exec
	s_waitcnt vmcnt(0)
	v_cmp_lt_i32_e32 vcc, v27, v35
	v_cmp_le_i32_e64 s[2:3], v27, v35
	v_cmp_eq_u32_e64 s[4:5], v27, v35
	s_and_saveexec_b64 s[42:43], s[4:5]
	s_cbranch_execz .LBB383_170
; %bb.172:                              ;   in Loop: Header=BB383_171 Depth=1
	s_add_u32 s40, s40, -1
	s_addc_u32 s41, s41, -1
	s_cmp_eq_u64 s[40:41], 0
	s_cselect_b64 s[4:5], -1, 0
	s_andn2_b64 s[28:29], s[28:29], exec
	s_and_b64 s[4:5], s[4:5], exec
	v_lshl_add_u64 v[22:23], v[22:23], 0, 4
	v_lshl_add_u64 v[24:25], v[24:25], 0, 4
	s_andn2_b64 s[26:27], s[26:27], exec
	s_or_b64 s[28:29], s[28:29], s[4:5]
	s_branch .LBB383_170
.LBB383_173:
	s_or_b64 exec, exec, s[22:23]
	s_and_saveexec_b64 s[2:3], s[24:25]
	s_xor_b64 s[2:3], exec, s[2:3]
; %bb.174:
	v_cndmask_b32_e64 v23, v17, v11, s[12:13]
	v_cndmask_b32_e64 v22, v16, v10, s[12:13]
	;; [unrolled: 1-line block ×4, first 2 shown]
	v_mov_b64_e32 v[16:17], v[22:23]
; %bb.175:
	s_or_b64 exec, exec, s[2:3]
	v_mul_lo_u32 v24, v7, s36
	v_mul_lo_u32 v25, v6, s37
	v_mad_u64_u32 v[22:23], s[2:3], v6, s36, 0
	v_add3_u32 v23, v23, v25, v24
	v_mul_lo_u32 v27, v13, s36
	v_mul_lo_u32 v35, v12, s37
	v_mad_u64_u32 v[24:25], s[2:3], v12, s36, 0
	v_add3_u32 v25, v25, v35, v27
	v_lshl_add_u64 v[22:23], v[22:23], 2, s[38:39]
	v_lshl_add_u64 v[24:25], v[24:25], 2, s[38:39]
	s_mov_b64 s[22:23], 0
	s_mov_b64 s[40:41], s[36:37]
                                        ; implicit-def: $sgpr12_sgpr13
                                        ; implicit-def: $sgpr24_sgpr25
                                        ; implicit-def: $sgpr28_sgpr29
                                        ; implicit-def: $sgpr26_sgpr27
                                        ; implicit-def: $sgpr30_sgpr31
	s_branch .LBB383_177
.LBB383_176:                            ;   in Loop: Header=BB383_177 Depth=1
	s_or_b64 exec, exec, s[42:43]
	s_and_b64 s[2:3], s[2:3], s[30:31]
	s_or_b64 s[2:3], vcc, s[2:3]
	s_and_b64 s[4:5], exec, s[28:29]
	s_or_b64 s[22:23], s[4:5], s[22:23]
	s_andn2_b64 s[4:5], s[30:31], exec
	s_and_b64 s[2:3], s[2:3], exec
	s_or_b64 s[30:31], s[4:5], s[2:3]
	s_andn2_b64 s[4:5], s[24:25], exec
	s_and_b64 s[24:25], s[26:27], exec
	s_or_b64 s[24:25], s[4:5], s[24:25]
	s_andn2_b64 s[4:5], s[12:13], exec
	s_or_b64 s[12:13], s[4:5], s[2:3]
	s_andn2_b64 exec, exec, s[22:23]
	s_cbranch_execz .LBB383_179
.LBB383_177:                            ; =>This Inner Loop Header: Depth=1
	global_load_dword v27, v[22:23], off
	global_load_dword v35, v[24:25], off
	s_or_b64 s[26:27], s[26:27], exec
	s_or_b64 s[28:29], s[28:29], exec
	s_waitcnt vmcnt(0)
	v_cmp_lt_i32_e32 vcc, v27, v35
	v_cmp_le_i32_e64 s[2:3], v27, v35
	v_cmp_eq_u32_e64 s[4:5], v27, v35
	s_and_saveexec_b64 s[42:43], s[4:5]
	s_cbranch_execz .LBB383_176
; %bb.178:                              ;   in Loop: Header=BB383_177 Depth=1
	s_add_u32 s40, s40, -1
	s_addc_u32 s41, s41, -1
	s_cmp_eq_u64 s[40:41], 0
	s_cselect_b64 s[4:5], -1, 0
	s_andn2_b64 s[28:29], s[28:29], exec
	s_and_b64 s[4:5], s[4:5], exec
	v_lshl_add_u64 v[22:23], v[22:23], 0, 4
	v_lshl_add_u64 v[24:25], v[24:25], 0, 4
	s_andn2_b64 s[26:27], s[26:27], exec
	s_or_b64 s[28:29], s[28:29], s[4:5]
	s_branch .LBB383_176
.LBB383_179:
	s_or_b64 exec, exec, s[22:23]
	s_and_saveexec_b64 s[2:3], s[24:25]
	s_xor_b64 s[2:3], exec, s[2:3]
; %bb.180:
	v_cndmask_b32_e64 v23, v13, v7, s[12:13]
	v_cndmask_b32_e64 v22, v12, v6, s[12:13]
	;; [unrolled: 1-line block ×4, first 2 shown]
	v_mov_b64_e32 v[12:13], v[22:23]
; %bb.181:
	s_or_b64 exec, exec, s[2:3]
	v_mul_lo_u32 v24, v3, s36
	v_mul_lo_u32 v25, v2, s37
	v_mad_u64_u32 v[22:23], s[2:3], v2, s36, 0
	v_add3_u32 v23, v23, v25, v24
	v_mul_lo_u32 v27, v9, s36
	v_mul_lo_u32 v35, v8, s37
	v_mad_u64_u32 v[24:25], s[2:3], v8, s36, 0
	v_add3_u32 v25, v25, v35, v27
	v_lshl_add_u64 v[22:23], v[22:23], 2, s[38:39]
	v_lshl_add_u64 v[24:25], v[24:25], 2, s[38:39]
	s_mov_b64 s[24:25], 0
	s_mov_b64 s[40:41], s[36:37]
                                        ; implicit-def: $sgpr12_sgpr13
                                        ; implicit-def: $sgpr22_sgpr23
                                        ; implicit-def: $sgpr28_sgpr29
                                        ; implicit-def: $sgpr26_sgpr27
                                        ; implicit-def: $sgpr30_sgpr31
	s_branch .LBB383_183
.LBB383_182:                            ;   in Loop: Header=BB383_183 Depth=1
	s_or_b64 exec, exec, s[42:43]
	s_and_b64 s[2:3], s[2:3], s[30:31]
	s_or_b64 s[2:3], vcc, s[2:3]
	s_and_b64 s[4:5], exec, s[28:29]
	s_or_b64 s[24:25], s[4:5], s[24:25]
	s_andn2_b64 s[4:5], s[30:31], exec
	s_and_b64 s[2:3], s[2:3], exec
	s_or_b64 s[30:31], s[4:5], s[2:3]
	s_andn2_b64 s[4:5], s[22:23], exec
	s_and_b64 s[22:23], s[26:27], exec
	s_or_b64 s[22:23], s[4:5], s[22:23]
	s_andn2_b64 s[4:5], s[12:13], exec
	s_or_b64 s[12:13], s[4:5], s[2:3]
	s_andn2_b64 exec, exec, s[24:25]
	s_cbranch_execz .LBB383_185
.LBB383_183:                            ; =>This Inner Loop Header: Depth=1
	global_load_dword v27, v[22:23], off
	global_load_dword v35, v[24:25], off
	s_or_b64 s[26:27], s[26:27], exec
	s_or_b64 s[28:29], s[28:29], exec
	s_waitcnt vmcnt(0)
	v_cmp_lt_i32_e32 vcc, v27, v35
	v_cmp_le_i32_e64 s[2:3], v27, v35
	v_cmp_eq_u32_e64 s[4:5], v27, v35
	s_and_saveexec_b64 s[42:43], s[4:5]
	s_cbranch_execz .LBB383_182
; %bb.184:                              ;   in Loop: Header=BB383_183 Depth=1
	s_add_u32 s40, s40, -1
	s_addc_u32 s41, s41, -1
	s_cmp_eq_u64 s[40:41], 0
	s_cselect_b64 s[4:5], -1, 0
	s_andn2_b64 s[28:29], s[28:29], exec
	s_and_b64 s[4:5], s[4:5], exec
	v_lshl_add_u64 v[22:23], v[22:23], 0, 4
	v_lshl_add_u64 v[24:25], v[24:25], 0, 4
	s_andn2_b64 s[26:27], s[26:27], exec
	s_or_b64 s[28:29], s[28:29], s[4:5]
	s_branch .LBB383_182
.LBB383_185:
	s_or_b64 exec, exec, s[24:25]
	s_and_saveexec_b64 s[2:3], s[22:23]
	s_xor_b64 s[2:3], exec, s[2:3]
; %bb.186:
	v_cndmask_b32_e64 v23, v9, v3, s[12:13]
	v_cndmask_b32_e64 v22, v8, v2, s[12:13]
	v_cndmask_b32_e64 v3, v3, v9, s[12:13]
	v_cndmask_b32_e64 v2, v2, v8, s[12:13]
	v_mov_b64_e32 v[8:9], v[22:23]
; %bb.187:
	s_or_b64 exec, exec, s[2:3]
.LBB383_188:
	s_or_b64 exec, exec, s[10:11]
	v_mbcnt_lo_u32_b32 v22, -1, 0
	v_mbcnt_hi_u32_b32 v22, -1, v22
	v_and_b32_e32 v23, 0xfffffe00, v26
	s_movk_i32 s2, 0x800
	v_lshlrev_b32_e32 v35, 3, v23
	v_lshlrev_b32_e32 v37, 3, v22
	v_sub_u32_e64 v36, s2, v23 clamp
	v_lshl_add_u32 v38, v22, 6, v35
	v_or_b32_e32 v22, 8, v37
	v_min_u32_e32 v26, v36, v22
	v_add_u32_e32 v22, 8, v26
	v_and_b32_e32 v41, 0x3f0, v37
	v_min_u32_e32 v27, v36, v22
	v_and_b32_e32 v22, 8, v37
	v_min_u32_e32 v42, v36, v22
	v_sub_u32_e32 v22, v26, v41
	v_sub_u32_e32 v23, v27, v26
	v_sub_u32_e64 v40, v42, v23 clamp
	v_min_u32_e32 v43, v42, v22
	v_lshl_add_u32 v39, v41, 3, v35
	v_cmp_lt_u32_e32 vcc, v40, v43
	ds_write_b128 v38, v[14:17]
	ds_write_b128 v38, v[10:13] offset:16
	ds_write_b128 v38, v[6:9] offset:32
	;; [unrolled: 1-line block ×3, first 2 shown]
	; wave barrier
	s_and_saveexec_b64 s[10:11], vcc
	s_cbranch_execz .LBB383_198
; %bb.189:
	v_lshlrev_b32_e32 v22, 3, v26
	v_lshlrev_b32_e32 v23, 3, v42
	v_add3_u32 v44, v35, v22, v23
	s_lshl_b64 s[22:23], s[36:37], 2
	s_mov_b64 s[12:13], 0
	s_branch .LBB383_192
.LBB383_190:                            ;   in Loop: Header=BB383_192 Depth=1
	s_or_b64 exec, exec, s[26:27]
.LBB383_191:                            ;   in Loop: Header=BB383_192 Depth=1
	v_add_u32_e32 v22, 1, v45
	v_cndmask_b32_e64 v43, v43, v45, s[24:25]
	v_cndmask_b32_e64 v40, v22, v40, s[24:25]
	v_cmp_ge_u32_e32 vcc, v40, v43
	s_or_b64 s[12:13], vcc, s[12:13]
	s_andn2_b64 exec, exec, s[12:13]
	s_cbranch_execz .LBB383_197
.LBB383_192:                            ; =>This Loop Header: Depth=1
                                        ;     Child Loop BB383_195 Depth 2
	v_add_u32_e32 v22, v43, v40
	v_lshrrev_b32_e32 v45, 1, v22
	s_and_b64 vcc, exec, s[0:1]
	s_mov_b64 s[24:25], 0
	s_cbranch_vccnz .LBB383_191
; %bb.193:                              ;   in Loop: Header=BB383_192 Depth=1
	v_not_b32_e32 v22, v45
	v_lshl_add_u32 v22, v22, 3, v44
	ds_read_b64 v[22:23], v22
	v_lshl_add_u32 v46, v45, 3, v39
	ds_read_b64 v[46:47], v46
	v_mov_b64_e32 v[24:25], s[38:39]
	s_mov_b64 s[26:27], 0
	s_waitcnt lgkmcnt(1)
	v_mul_lo_u32 v48, s22, v23
	v_mul_lo_u32 v49, s23, v22
	v_mad_u64_u32 v[22:23], s[2:3], s22, v22, v[24:25]
	v_add3_u32 v23, v49, v23, v48
	s_waitcnt lgkmcnt(0)
	v_mul_lo_u32 v47, s22, v47
	v_mul_lo_u32 v48, s23, v46
	v_mad_u64_u32 v[24:25], s[2:3], s22, v46, v[24:25]
	v_add3_u32 v25, v48, v25, v47
	s_mov_b64 s[30:31], s[36:37]
                                        ; implicit-def: $sgpr24_sgpr25
                                        ; implicit-def: $sgpr28_sgpr29
                                        ; implicit-def: $sgpr2_sgpr3
                                        ; implicit-def: $sgpr40_sgpr41
	s_branch .LBB383_195
.LBB383_194:                            ;   in Loop: Header=BB383_195 Depth=2
	s_or_b64 exec, exec, s[44:45]
	s_and_b64 s[4:5], exec, s[28:29]
	s_or_b64 s[26:27], s[4:5], s[26:27]
	s_andn2_b64 s[4:5], s[40:41], exec
	s_and_b64 s[40:41], s[42:43], exec
	s_or_b64 s[40:41], s[4:5], s[40:41]
	s_andn2_b64 s[4:5], s[24:25], exec
	s_and_b64 s[24:25], s[2:3], exec
	s_or_b64 s[24:25], s[4:5], s[24:25]
	s_andn2_b64 exec, exec, s[26:27]
	s_cbranch_execz .LBB383_190
.LBB383_195:                            ;   Parent Loop BB383_192 Depth=1
                                        ; =>  This Inner Loop Header: Depth=2
	global_load_dword v46, v[22:23], off
	global_load_dword v47, v[24:25], off
	s_andn2_b64 s[44:45], s[2:3], exec
	s_or_b64 s[28:29], s[28:29], exec
	s_waitcnt vmcnt(0)
	v_cmp_le_i32_e64 s[2:3], v46, v47
	v_cmp_lt_i32_e32 vcc, v46, v47
	s_and_b64 s[2:3], s[2:3], s[40:41]
	s_or_b64 s[42:43], vcc, s[2:3]
	s_and_b64 s[2:3], s[42:43], exec
	v_cmp_eq_u32_e64 s[4:5], v46, v47
	s_or_b64 s[2:3], s[44:45], s[2:3]
	s_and_saveexec_b64 s[44:45], s[4:5]
	s_cbranch_execz .LBB383_194
; %bb.196:                              ;   in Loop: Header=BB383_195 Depth=2
	s_add_u32 s30, s30, -1
	s_addc_u32 s31, s31, -1
	s_cmp_eq_u64 s[30:31], 0
	s_cselect_b64 s[4:5], -1, 0
	s_andn2_b64 s[28:29], s[28:29], exec
	s_and_b64 s[4:5], s[4:5], exec
	v_lshl_add_u64 v[22:23], v[22:23], 0, 4
	v_lshl_add_u64 v[24:25], v[24:25], 0, 4
	s_andn2_b64 s[2:3], s[2:3], exec
	s_or_b64 s[28:29], s[28:29], s[4:5]
                                        ; implicit-def: $sgpr40_sgpr41
	s_branch .LBB383_194
.LBB383_197:
	s_or_b64 exec, exec, s[12:13]
.LBB383_198:
	s_or_b64 exec, exec, s[10:11]
	v_add_u32_e32 v22, v26, v42
	v_add_u32_e32 v23, v40, v41
	v_sub_u32_e32 v24, v22, v40
	v_cmp_le_u32_e32 vcc, v23, v26
	v_cmp_le_u32_e64 s[2:3], v24, v27
	s_or_b64 s[2:3], vcc, s[2:3]
	s_and_saveexec_b64 s[10:11], s[2:3]
	s_cbranch_execz .LBB383_289
; %bb.199:
	v_cmp_ge_u32_e32 vcc, v23, v26
	v_cmp_lt_u32_e64 s[2:3], v23, v26
                                        ; implicit-def: $vgpr2_vgpr3
	s_and_saveexec_b64 s[4:5], s[2:3]
; %bb.200:
	v_lshl_add_u32 v2, v40, 3, v39
	ds_read_b64 v[2:3], v2
; %bb.201:
	s_or_b64 exec, exec, s[4:5]
	v_cmp_ge_u32_e64 s[12:13], v24, v27
	v_cmp_lt_u32_e64 s[2:3], v24, v27
                                        ; implicit-def: $vgpr4_vgpr5
	s_and_saveexec_b64 s[4:5], s[2:3]
; %bb.202:
	v_lshl_add_u32 v4, v24, 3, v35
	ds_read_b64 v[4:5], v4
; %bb.203:
	s_or_b64 exec, exec, s[4:5]
	s_nor_b64 s[2:3], vcc, s[12:13]
	s_and_saveexec_b64 s[22:23], s[2:3]
	s_cbranch_execz .LBB383_212
; %bb.204:
	s_and_b64 vcc, exec, s[0:1]
	s_cbranch_vccnz .LBB383_210
; %bb.205:
	s_waitcnt lgkmcnt(0)
	v_mul_lo_u32 v8, v5, s36
	v_mul_lo_u32 v9, v4, s37
	v_mad_u64_u32 v[6:7], s[2:3], v4, s36, 0
	v_add3_u32 v7, v7, v9, v8
	v_mul_lo_u32 v10, v3, s36
	v_mul_lo_u32 v11, v2, s37
	v_mad_u64_u32 v[8:9], s[2:3], v2, s36, 0
	v_add3_u32 v9, v9, v11, v10
	v_lshl_add_u64 v[6:7], v[6:7], 2, s[38:39]
	v_lshl_add_u64 v[8:9], v[8:9], 2, s[38:39]
	s_mov_b64 s[24:25], 0
	s_mov_b64 s[30:31], s[36:37]
                                        ; implicit-def: $sgpr26_sgpr27
                                        ; implicit-def: $sgpr28_sgpr29
                                        ; implicit-def: $sgpr2_sgpr3
                                        ; implicit-def: $sgpr40_sgpr41
	s_branch .LBB383_207
.LBB383_206:                            ;   in Loop: Header=BB383_207 Depth=1
	s_or_b64 exec, exec, s[44:45]
	s_and_b64 s[4:5], exec, s[28:29]
	s_or_b64 s[24:25], s[4:5], s[24:25]
	s_andn2_b64 s[4:5], s[40:41], exec
	s_and_b64 s[40:41], s[42:43], exec
	s_or_b64 s[40:41], s[4:5], s[40:41]
	s_andn2_b64 s[4:5], s[26:27], exec
	s_and_b64 s[26:27], s[2:3], exec
	s_or_b64 s[26:27], s[4:5], s[26:27]
	s_andn2_b64 exec, exec, s[24:25]
	s_cbranch_execz .LBB383_209
.LBB383_207:                            ; =>This Inner Loop Header: Depth=1
	global_load_dword v10, v[6:7], off
	global_load_dword v11, v[8:9], off
	s_andn2_b64 s[44:45], s[2:3], exec
	s_or_b64 s[28:29], s[28:29], exec
	s_waitcnt vmcnt(0)
	v_cmp_le_i32_e64 s[2:3], v10, v11
	v_cmp_lt_i32_e32 vcc, v10, v11
	s_and_b64 s[2:3], s[2:3], s[40:41]
	s_or_b64 s[42:43], vcc, s[2:3]
	s_and_b64 s[2:3], s[42:43], exec
	v_cmp_eq_u32_e64 s[4:5], v10, v11
	s_or_b64 s[2:3], s[44:45], s[2:3]
	s_and_saveexec_b64 s[44:45], s[4:5]
	s_cbranch_execz .LBB383_206
; %bb.208:                              ;   in Loop: Header=BB383_207 Depth=1
	s_add_u32 s30, s30, -1
	s_addc_u32 s31, s31, -1
	s_cmp_eq_u64 s[30:31], 0
	s_cselect_b64 s[4:5], -1, 0
	s_andn2_b64 s[28:29], s[28:29], exec
	s_and_b64 s[4:5], s[4:5], exec
	v_lshl_add_u64 v[6:7], v[6:7], 0, 4
	v_lshl_add_u64 v[8:9], v[8:9], 0, 4
	s_andn2_b64 s[2:3], s[2:3], exec
	s_or_b64 s[28:29], s[28:29], s[4:5]
                                        ; implicit-def: $sgpr40_sgpr41
	s_branch .LBB383_206
.LBB383_209:
	s_or_b64 exec, exec, s[24:25]
	s_xor_b64 s[2:3], s[26:27], -1
	s_branch .LBB383_211
.LBB383_210:
	s_mov_b64 s[2:3], -1
.LBB383_211:
	s_andn2_b64 s[4:5], s[12:13], exec
	s_and_b64 s[2:3], s[2:3], exec
	s_or_b64 s[12:13], s[4:5], s[2:3]
.LBB383_212:
	s_or_b64 exec, exec, s[22:23]
	v_cndmask_b32_e64 v6, v24, v23, s[12:13]
	v_cndmask_b32_e64 v7, v27, v26, s[12:13]
	v_add_u32_e32 v8, 1, v6
	v_add_u32_e32 v6, -1, v7
	v_min_u32_e32 v6, v8, v6
	v_lshl_add_u32 v6, v6, 3, v35
	ds_read_b64 v[6:7], v6
	v_cndmask_b32_e64 v12, v8, v24, s[12:13]
	v_cndmask_b32_e64 v13, v23, v8, s[12:13]
	v_cmp_lt_u32_e32 vcc, v12, v27
	s_mov_b64 s[24:25], -1
	s_waitcnt lgkmcnt(0)
	v_cndmask_b32_e64 v14, v7, v5, s[12:13]
	v_cndmask_b32_e64 v15, v6, v4, s[12:13]
	;; [unrolled: 1-line block ×4, first 2 shown]
	s_mov_b64 s[22:23], -1
	s_and_saveexec_b64 s[26:27], vcc
	s_cbranch_execz .LBB383_223
; %bb.213:
	v_cmp_lt_u32_e32 vcc, v13, v26
	s_mov_b64 s[2:3], 0
	s_and_saveexec_b64 s[22:23], vcc
	s_cbranch_execz .LBB383_222
; %bb.214:
	s_and_b64 vcc, exec, s[0:1]
	s_cbranch_vccnz .LBB383_220
; %bb.215:
	v_mul_lo_u32 v8, v14, s36
	v_mul_lo_u32 v9, v15, s37
	v_mad_u64_u32 v[6:7], s[2:3], v15, s36, 0
	v_add3_u32 v7, v7, v9, v8
	v_mul_lo_u32 v10, v16, s36
	v_mul_lo_u32 v11, v22, s37
	v_mad_u64_u32 v[8:9], s[2:3], v22, s36, 0
	v_add3_u32 v9, v9, v11, v10
	v_lshl_add_u64 v[6:7], v[6:7], 2, s[38:39]
	v_lshl_add_u64 v[8:9], v[8:9], 2, s[38:39]
	s_mov_b64 s[28:29], 0
	s_mov_b64 s[42:43], s[36:37]
                                        ; implicit-def: $sgpr30_sgpr31
                                        ; implicit-def: $sgpr40_sgpr41
                                        ; implicit-def: $sgpr2_sgpr3
                                        ; implicit-def: $sgpr44_sgpr45
	s_branch .LBB383_217
.LBB383_216:                            ;   in Loop: Header=BB383_217 Depth=1
	s_or_b64 exec, exec, s[48:49]
	s_and_b64 s[4:5], exec, s[40:41]
	s_or_b64 s[28:29], s[4:5], s[28:29]
	s_andn2_b64 s[4:5], s[44:45], exec
	s_and_b64 s[44:45], s[46:47], exec
	s_or_b64 s[44:45], s[4:5], s[44:45]
	s_andn2_b64 s[4:5], s[30:31], exec
	s_and_b64 s[30:31], s[2:3], exec
	s_or_b64 s[30:31], s[4:5], s[30:31]
	s_andn2_b64 exec, exec, s[28:29]
	s_cbranch_execz .LBB383_219
.LBB383_217:                            ; =>This Inner Loop Header: Depth=1
	global_load_dword v10, v[6:7], off
	global_load_dword v11, v[8:9], off
	s_andn2_b64 s[48:49], s[2:3], exec
	s_or_b64 s[40:41], s[40:41], exec
	s_waitcnt vmcnt(0)
	v_cmp_le_i32_e64 s[2:3], v10, v11
	v_cmp_lt_i32_e32 vcc, v10, v11
	s_and_b64 s[2:3], s[2:3], s[44:45]
	s_or_b64 s[46:47], vcc, s[2:3]
	s_and_b64 s[2:3], s[46:47], exec
	v_cmp_eq_u32_e64 s[4:5], v10, v11
	s_or_b64 s[2:3], s[48:49], s[2:3]
	s_and_saveexec_b64 s[48:49], s[4:5]
	s_cbranch_execz .LBB383_216
; %bb.218:                              ;   in Loop: Header=BB383_217 Depth=1
	s_add_u32 s42, s42, -1
	s_addc_u32 s43, s43, -1
	s_cmp_eq_u64 s[42:43], 0
	s_cselect_b64 s[4:5], -1, 0
	s_andn2_b64 s[40:41], s[40:41], exec
	s_and_b64 s[4:5], s[4:5], exec
	v_lshl_add_u64 v[6:7], v[6:7], 0, 4
	v_lshl_add_u64 v[8:9], v[8:9], 0, 4
	s_andn2_b64 s[2:3], s[2:3], exec
	s_or_b64 s[40:41], s[40:41], s[4:5]
                                        ; implicit-def: $sgpr44_sgpr45
	s_branch .LBB383_216
.LBB383_219:
	s_or_b64 exec, exec, s[28:29]
	s_xor_b64 s[2:3], s[30:31], -1
	s_branch .LBB383_221
.LBB383_220:
	s_mov_b64 s[2:3], -1
.LBB383_221:
	s_and_b64 s[2:3], s[2:3], exec
.LBB383_222:
	s_or_b64 exec, exec, s[22:23]
	s_orn2_b64 s[22:23], s[2:3], exec
.LBB383_223:
	s_or_b64 exec, exec, s[26:27]
	v_cndmask_b32_e64 v6, v12, v13, s[22:23]
	v_cndmask_b32_e64 v7, v27, v26, s[22:23]
	v_add_u32_e32 v8, 1, v6
	v_add_u32_e32 v6, -1, v7
	v_min_u32_e32 v6, v8, v6
	v_lshl_add_u32 v6, v6, 3, v35
	ds_read_b64 v[6:7], v6
	v_cndmask_b32_e64 v39, v8, v12, s[22:23]
	v_cndmask_b32_e64 v40, v13, v8, s[22:23]
	v_cmp_lt_u32_e32 vcc, v39, v27
	s_waitcnt lgkmcnt(0)
	v_cndmask_b32_e64 v10, v7, v14, s[22:23]
	v_cndmask_b32_e64 v17, v6, v15, s[22:23]
	;; [unrolled: 1-line block ×4, first 2 shown]
	s_and_saveexec_b64 s[26:27], vcc
	s_cbranch_execz .LBB383_234
; %bb.224:
	v_cmp_lt_u32_e32 vcc, v40, v26
	s_mov_b64 s[2:3], 0
	s_and_saveexec_b64 s[24:25], vcc
	s_cbranch_execz .LBB383_233
; %bb.225:
	s_and_b64 vcc, exec, s[0:1]
	s_cbranch_vccnz .LBB383_231
; %bb.226:
	v_mul_lo_u32 v8, v10, s36
	v_mul_lo_u32 v9, v17, s37
	v_mad_u64_u32 v[6:7], s[2:3], v17, s36, 0
	v_add3_u32 v7, v7, v9, v8
	v_mul_lo_u32 v12, v11, s36
	v_mul_lo_u32 v13, v23, s37
	v_mad_u64_u32 v[8:9], s[2:3], v23, s36, 0
	v_add3_u32 v9, v9, v13, v12
	v_lshl_add_u64 v[6:7], v[6:7], 2, s[38:39]
	v_lshl_add_u64 v[8:9], v[8:9], 2, s[38:39]
	s_mov_b64 s[28:29], 0
	s_mov_b64 s[42:43], s[36:37]
                                        ; implicit-def: $sgpr30_sgpr31
                                        ; implicit-def: $sgpr40_sgpr41
                                        ; implicit-def: $sgpr2_sgpr3
                                        ; implicit-def: $sgpr44_sgpr45
	s_branch .LBB383_228
.LBB383_227:                            ;   in Loop: Header=BB383_228 Depth=1
	s_or_b64 exec, exec, s[48:49]
	s_and_b64 s[4:5], exec, s[40:41]
	s_or_b64 s[28:29], s[4:5], s[28:29]
	s_andn2_b64 s[4:5], s[44:45], exec
	s_and_b64 s[44:45], s[46:47], exec
	s_or_b64 s[44:45], s[4:5], s[44:45]
	s_andn2_b64 s[4:5], s[30:31], exec
	s_and_b64 s[30:31], s[2:3], exec
	s_or_b64 s[30:31], s[4:5], s[30:31]
	s_andn2_b64 exec, exec, s[28:29]
	s_cbranch_execz .LBB383_230
.LBB383_228:                            ; =>This Inner Loop Header: Depth=1
	global_load_dword v12, v[6:7], off
	global_load_dword v13, v[8:9], off
	s_andn2_b64 s[48:49], s[2:3], exec
	s_or_b64 s[40:41], s[40:41], exec
	s_waitcnt vmcnt(0)
	v_cmp_le_i32_e64 s[2:3], v12, v13
	v_cmp_lt_i32_e32 vcc, v12, v13
	s_and_b64 s[2:3], s[2:3], s[44:45]
	s_or_b64 s[46:47], vcc, s[2:3]
	s_and_b64 s[2:3], s[46:47], exec
	v_cmp_eq_u32_e64 s[4:5], v12, v13
	s_or_b64 s[2:3], s[48:49], s[2:3]
	s_and_saveexec_b64 s[48:49], s[4:5]
	s_cbranch_execz .LBB383_227
; %bb.229:                              ;   in Loop: Header=BB383_228 Depth=1
	s_add_u32 s42, s42, -1
	s_addc_u32 s43, s43, -1
	s_cmp_eq_u64 s[42:43], 0
	s_cselect_b64 s[4:5], -1, 0
	s_andn2_b64 s[40:41], s[40:41], exec
	s_and_b64 s[4:5], s[4:5], exec
	v_lshl_add_u64 v[6:7], v[6:7], 0, 4
	v_lshl_add_u64 v[8:9], v[8:9], 0, 4
	s_andn2_b64 s[2:3], s[2:3], exec
	s_or_b64 s[40:41], s[40:41], s[4:5]
                                        ; implicit-def: $sgpr44_sgpr45
	s_branch .LBB383_227
.LBB383_230:
	s_or_b64 exec, exec, s[28:29]
	s_xor_b64 s[2:3], s[30:31], -1
	s_branch .LBB383_232
.LBB383_231:
	s_mov_b64 s[2:3], -1
.LBB383_232:
	s_and_b64 s[2:3], s[2:3], exec
.LBB383_233:
	s_or_b64 exec, exec, s[24:25]
	s_orn2_b64 s[24:25], s[2:3], exec
.LBB383_234:
	s_or_b64 exec, exec, s[26:27]
	v_cndmask_b32_e64 v6, v39, v40, s[24:25]
	v_cndmask_b32_e64 v7, v27, v26, s[24:25]
	v_add_u32_e32 v8, 1, v6
	v_add_u32_e32 v6, -1, v7
	v_min_u32_e32 v6, v8, v6
	v_lshl_add_u32 v6, v6, 3, v35
	ds_read_b64 v[6:7], v6
	v_cndmask_b32_e64 v43, v8, v39, s[24:25]
	v_cndmask_b32_e64 v44, v40, v8, s[24:25]
	v_cmp_lt_u32_e32 vcc, v43, v27
	s_mov_b64 s[28:29], -1
	s_waitcnt lgkmcnt(0)
	v_cndmask_b32_e64 v12, v7, v10, s[24:25]
	v_cndmask_b32_e64 v24, v6, v17, s[24:25]
	;; [unrolled: 1-line block ×4, first 2 shown]
	s_mov_b64 s[26:27], -1
	s_and_saveexec_b64 s[30:31], vcc
	s_cbranch_execz .LBB383_245
; %bb.235:
	v_cmp_lt_u32_e32 vcc, v44, v26
	s_mov_b64 s[2:3], 0
	s_and_saveexec_b64 s[26:27], vcc
	s_cbranch_execz .LBB383_244
; %bb.236:
	s_and_b64 vcc, exec, s[0:1]
	s_cbranch_vccnz .LBB383_242
; %bb.237:
	v_mul_lo_u32 v8, v12, s36
	v_mul_lo_u32 v9, v24, s37
	v_mad_u64_u32 v[6:7], s[2:3], v24, s36, 0
	v_add3_u32 v7, v7, v9, v8
	v_mul_lo_u32 v39, v13, s36
	v_mul_lo_u32 v40, v25, s37
	v_mad_u64_u32 v[8:9], s[2:3], v25, s36, 0
	v_add3_u32 v9, v9, v40, v39
	v_lshl_add_u64 v[6:7], v[6:7], 2, s[38:39]
	v_lshl_add_u64 v[8:9], v[8:9], 2, s[38:39]
	s_mov_b64 s[40:41], 0
	s_mov_b64 s[46:47], s[36:37]
                                        ; implicit-def: $sgpr42_sgpr43
                                        ; implicit-def: $sgpr44_sgpr45
                                        ; implicit-def: $sgpr2_sgpr3
                                        ; implicit-def: $sgpr48_sgpr49
	s_branch .LBB383_239
.LBB383_238:                            ;   in Loop: Header=BB383_239 Depth=1
	s_or_b64 exec, exec, s[52:53]
	s_and_b64 s[4:5], exec, s[44:45]
	s_or_b64 s[40:41], s[4:5], s[40:41]
	s_andn2_b64 s[4:5], s[48:49], exec
	s_and_b64 s[48:49], s[50:51], exec
	s_or_b64 s[48:49], s[4:5], s[48:49]
	s_andn2_b64 s[4:5], s[42:43], exec
	s_and_b64 s[42:43], s[2:3], exec
	s_or_b64 s[42:43], s[4:5], s[42:43]
	s_andn2_b64 exec, exec, s[40:41]
	s_cbranch_execz .LBB383_241
.LBB383_239:                            ; =>This Inner Loop Header: Depth=1
	global_load_dword v39, v[6:7], off
	global_load_dword v40, v[8:9], off
	s_andn2_b64 s[52:53], s[2:3], exec
	s_or_b64 s[44:45], s[44:45], exec
	s_waitcnt vmcnt(0)
	v_cmp_le_i32_e64 s[2:3], v39, v40
	v_cmp_lt_i32_e32 vcc, v39, v40
	s_and_b64 s[2:3], s[2:3], s[48:49]
	s_or_b64 s[50:51], vcc, s[2:3]
	s_and_b64 s[2:3], s[50:51], exec
	v_cmp_eq_u32_e64 s[4:5], v39, v40
	s_or_b64 s[2:3], s[52:53], s[2:3]
	s_and_saveexec_b64 s[52:53], s[4:5]
	s_cbranch_execz .LBB383_238
; %bb.240:                              ;   in Loop: Header=BB383_239 Depth=1
	s_add_u32 s46, s46, -1
	s_addc_u32 s47, s47, -1
	s_cmp_eq_u64 s[46:47], 0
	s_cselect_b64 s[4:5], -1, 0
	s_andn2_b64 s[44:45], s[44:45], exec
	s_and_b64 s[4:5], s[4:5], exec
	v_lshl_add_u64 v[6:7], v[6:7], 0, 4
	v_lshl_add_u64 v[8:9], v[8:9], 0, 4
	s_andn2_b64 s[2:3], s[2:3], exec
	s_or_b64 s[44:45], s[44:45], s[4:5]
                                        ; implicit-def: $sgpr48_sgpr49
	s_branch .LBB383_238
.LBB383_241:
	s_or_b64 exec, exec, s[40:41]
	s_xor_b64 s[2:3], s[42:43], -1
	s_branch .LBB383_243
.LBB383_242:
	s_mov_b64 s[2:3], -1
.LBB383_243:
	s_and_b64 s[2:3], s[2:3], exec
.LBB383_244:
	s_or_b64 exec, exec, s[26:27]
	s_orn2_b64 s[26:27], s[2:3], exec
.LBB383_245:
	s_or_b64 exec, exec, s[30:31]
	v_cndmask_b32_e64 v6, v43, v44, s[26:27]
	v_cndmask_b32_e64 v7, v27, v26, s[26:27]
	v_add_u32_e32 v8, 1, v6
	v_add_u32_e32 v6, -1, v7
	v_min_u32_e32 v6, v8, v6
	v_lshl_add_u32 v6, v6, 3, v35
	ds_read_b64 v[6:7], v6
	v_cndmask_b32_e64 v47, v8, v43, s[26:27]
	v_cndmask_b32_e64 v48, v44, v8, s[26:27]
	v_cmp_lt_u32_e32 vcc, v47, v27
	s_waitcnt lgkmcnt(0)
	v_cndmask_b32_e64 v39, v7, v12, s[26:27]
	v_cndmask_b32_e64 v40, v6, v24, s[26:27]
	v_cndmask_b32_e64 v41, v13, v7, s[26:27]
	v_cndmask_b32_e64 v42, v25, v6, s[26:27]
	s_and_saveexec_b64 s[30:31], vcc
	s_cbranch_execz .LBB383_256
; %bb.246:
	v_cmp_lt_u32_e32 vcc, v48, v26
	s_mov_b64 s[2:3], 0
	s_and_saveexec_b64 s[28:29], vcc
	s_cbranch_execz .LBB383_255
; %bb.247:
	s_and_b64 vcc, exec, s[0:1]
	s_cbranch_vccnz .LBB383_253
; %bb.248:
	v_mul_lo_u32 v8, v39, s36
	v_mul_lo_u32 v9, v40, s37
	v_mad_u64_u32 v[6:7], s[2:3], v40, s36, 0
	v_add3_u32 v7, v7, v9, v8
	v_mul_lo_u32 v43, v41, s36
	v_mul_lo_u32 v44, v42, s37
	v_mad_u64_u32 v[8:9], s[2:3], v42, s36, 0
	v_add3_u32 v9, v9, v44, v43
	v_lshl_add_u64 v[6:7], v[6:7], 2, s[38:39]
	v_lshl_add_u64 v[8:9], v[8:9], 2, s[38:39]
	s_mov_b64 s[40:41], 0
	s_mov_b64 s[46:47], s[36:37]
                                        ; implicit-def: $sgpr42_sgpr43
                                        ; implicit-def: $sgpr44_sgpr45
                                        ; implicit-def: $sgpr2_sgpr3
                                        ; implicit-def: $sgpr48_sgpr49
	s_branch .LBB383_250
.LBB383_249:                            ;   in Loop: Header=BB383_250 Depth=1
	s_or_b64 exec, exec, s[52:53]
	s_and_b64 s[4:5], exec, s[44:45]
	s_or_b64 s[40:41], s[4:5], s[40:41]
	s_andn2_b64 s[4:5], s[48:49], exec
	s_and_b64 s[48:49], s[50:51], exec
	s_or_b64 s[48:49], s[4:5], s[48:49]
	s_andn2_b64 s[4:5], s[42:43], exec
	s_and_b64 s[42:43], s[2:3], exec
	s_or_b64 s[42:43], s[4:5], s[42:43]
	s_andn2_b64 exec, exec, s[40:41]
	s_cbranch_execz .LBB383_252
.LBB383_250:                            ; =>This Inner Loop Header: Depth=1
	global_load_dword v43, v[6:7], off
	global_load_dword v44, v[8:9], off
	s_andn2_b64 s[52:53], s[2:3], exec
	s_or_b64 s[44:45], s[44:45], exec
	s_waitcnt vmcnt(0)
	v_cmp_le_i32_e64 s[2:3], v43, v44
	v_cmp_lt_i32_e32 vcc, v43, v44
	s_and_b64 s[2:3], s[2:3], s[48:49]
	s_or_b64 s[50:51], vcc, s[2:3]
	s_and_b64 s[2:3], s[50:51], exec
	v_cmp_eq_u32_e64 s[4:5], v43, v44
	s_or_b64 s[2:3], s[52:53], s[2:3]
	s_and_saveexec_b64 s[52:53], s[4:5]
	s_cbranch_execz .LBB383_249
; %bb.251:                              ;   in Loop: Header=BB383_250 Depth=1
	s_add_u32 s46, s46, -1
	s_addc_u32 s47, s47, -1
	s_cmp_eq_u64 s[46:47], 0
	s_cselect_b64 s[4:5], -1, 0
	s_andn2_b64 s[44:45], s[44:45], exec
	s_and_b64 s[4:5], s[4:5], exec
	v_lshl_add_u64 v[6:7], v[6:7], 0, 4
	v_lshl_add_u64 v[8:9], v[8:9], 0, 4
	s_andn2_b64 s[2:3], s[2:3], exec
	s_or_b64 s[44:45], s[44:45], s[4:5]
                                        ; implicit-def: $sgpr48_sgpr49
	s_branch .LBB383_249
.LBB383_252:
	s_or_b64 exec, exec, s[40:41]
	s_xor_b64 s[2:3], s[42:43], -1
	s_branch .LBB383_254
.LBB383_253:
	s_mov_b64 s[2:3], -1
.LBB383_254:
	s_and_b64 s[2:3], s[2:3], exec
.LBB383_255:
	s_or_b64 exec, exec, s[28:29]
	s_orn2_b64 s[28:29], s[2:3], exec
.LBB383_256:
	s_or_b64 exec, exec, s[30:31]
	v_cndmask_b32_e64 v6, v47, v48, s[28:29]
	v_cndmask_b32_e64 v7, v27, v26, s[28:29]
	v_add_u32_e32 v8, 1, v6
	v_add_u32_e32 v6, -1, v7
	v_min_u32_e32 v6, v8, v6
	v_lshl_add_u32 v6, v6, 3, v35
	ds_read_b64 v[6:7], v6
	v_cndmask_b32_e64 v49, v8, v47, s[28:29]
	v_cndmask_b32_e64 v53, v48, v8, s[28:29]
	v_cmp_lt_u32_e32 vcc, v49, v27
	s_mov_b64 s[30:31], -1
	s_waitcnt lgkmcnt(0)
	v_cndmask_b32_e64 v43, v7, v39, s[28:29]
	v_cndmask_b32_e64 v44, v6, v40, s[28:29]
	;; [unrolled: 1-line block ×4, first 2 shown]
	s_mov_b64 s[40:41], -1
	s_and_saveexec_b64 s[42:43], vcc
	s_cbranch_execz .LBB383_267
; %bb.257:
	v_cmp_lt_u32_e32 vcc, v53, v26
	s_mov_b64 s[2:3], 0
	s_and_saveexec_b64 s[40:41], vcc
	s_cbranch_execz .LBB383_266
; %bb.258:
	s_and_b64 vcc, exec, s[0:1]
	s_cbranch_vccnz .LBB383_264
; %bb.259:
	v_mul_lo_u32 v8, v43, s36
	v_mul_lo_u32 v9, v44, s37
	v_mad_u64_u32 v[6:7], s[2:3], v44, s36, 0
	v_add3_u32 v7, v7, v9, v8
	v_mul_lo_u32 v47, v45, s36
	v_mul_lo_u32 v48, v46, s37
	v_mad_u64_u32 v[8:9], s[2:3], v46, s36, 0
	v_add3_u32 v9, v9, v48, v47
	v_lshl_add_u64 v[6:7], v[6:7], 2, s[38:39]
	v_lshl_add_u64 v[8:9], v[8:9], 2, s[38:39]
	s_mov_b64 s[44:45], 0
	s_mov_b64 s[50:51], s[36:37]
                                        ; implicit-def: $sgpr46_sgpr47
                                        ; implicit-def: $sgpr48_sgpr49
                                        ; implicit-def: $sgpr2_sgpr3
                                        ; implicit-def: $sgpr52_sgpr53
	s_branch .LBB383_261
.LBB383_260:                            ;   in Loop: Header=BB383_261 Depth=1
	s_or_b64 exec, exec, s[56:57]
	s_and_b64 s[4:5], exec, s[48:49]
	s_or_b64 s[44:45], s[4:5], s[44:45]
	s_andn2_b64 s[4:5], s[52:53], exec
	s_and_b64 s[52:53], s[54:55], exec
	s_or_b64 s[52:53], s[4:5], s[52:53]
	s_andn2_b64 s[4:5], s[46:47], exec
	s_and_b64 s[46:47], s[2:3], exec
	s_or_b64 s[46:47], s[4:5], s[46:47]
	s_andn2_b64 exec, exec, s[44:45]
	s_cbranch_execz .LBB383_263
.LBB383_261:                            ; =>This Inner Loop Header: Depth=1
	global_load_dword v47, v[6:7], off
	global_load_dword v48, v[8:9], off
	s_andn2_b64 s[56:57], s[2:3], exec
	s_or_b64 s[48:49], s[48:49], exec
	s_waitcnt vmcnt(0)
	v_cmp_le_i32_e64 s[2:3], v47, v48
	v_cmp_lt_i32_e32 vcc, v47, v48
	s_and_b64 s[2:3], s[2:3], s[52:53]
	s_or_b64 s[54:55], vcc, s[2:3]
	s_and_b64 s[2:3], s[54:55], exec
	v_cmp_eq_u32_e64 s[4:5], v47, v48
	s_or_b64 s[2:3], s[56:57], s[2:3]
	s_and_saveexec_b64 s[56:57], s[4:5]
	s_cbranch_execz .LBB383_260
; %bb.262:                              ;   in Loop: Header=BB383_261 Depth=1
	s_add_u32 s50, s50, -1
	s_addc_u32 s51, s51, -1
	s_cmp_eq_u64 s[50:51], 0
	s_cselect_b64 s[4:5], -1, 0
	s_andn2_b64 s[48:49], s[48:49], exec
	s_and_b64 s[4:5], s[4:5], exec
	v_lshl_add_u64 v[6:7], v[6:7], 0, 4
	v_lshl_add_u64 v[8:9], v[8:9], 0, 4
	s_andn2_b64 s[2:3], s[2:3], exec
	s_or_b64 s[48:49], s[48:49], s[4:5]
                                        ; implicit-def: $sgpr52_sgpr53
	s_branch .LBB383_260
.LBB383_263:
	s_or_b64 exec, exec, s[44:45]
	s_xor_b64 s[2:3], s[46:47], -1
	s_branch .LBB383_265
.LBB383_264:
	s_mov_b64 s[2:3], -1
.LBB383_265:
	s_and_b64 s[2:3], s[2:3], exec
.LBB383_266:
	s_or_b64 exec, exec, s[40:41]
	s_orn2_b64 s[40:41], s[2:3], exec
.LBB383_267:
	s_or_b64 exec, exec, s[42:43]
	v_cndmask_b32_e64 v6, v49, v53, s[40:41]
	v_cndmask_b32_e64 v7, v27, v26, s[40:41]
	v_add_u32_e32 v8, 1, v6
	v_add_u32_e32 v6, -1, v7
	v_min_u32_e32 v6, v8, v6
	v_lshl_add_u32 v6, v6, 3, v35
	ds_read_b64 v[6:7], v6
	v_cndmask_b32_e64 v50, v8, v49, s[40:41]
	v_cndmask_b32_e64 v49, v53, v8, s[40:41]
	v_cmp_lt_u32_e32 vcc, v50, v27
	s_waitcnt lgkmcnt(0)
	v_cndmask_b32_e64 v47, v7, v43, s[40:41]
	v_cndmask_b32_e64 v48, v6, v44, s[40:41]
	;; [unrolled: 1-line block ×4, first 2 shown]
	s_and_saveexec_b64 s[42:43], vcc
	s_cbranch_execz .LBB383_278
; %bb.268:
	v_cmp_lt_u32_e32 vcc, v49, v26
	s_mov_b64 s[2:3], 0
	s_and_saveexec_b64 s[30:31], vcc
	s_cbranch_execz .LBB383_277
; %bb.269:
	s_and_b64 vcc, exec, s[0:1]
	s_cbranch_vccnz .LBB383_275
; %bb.270:
	v_mul_lo_u32 v8, v47, s36
	v_mul_lo_u32 v9, v48, s37
	v_mad_u64_u32 v[6:7], s[2:3], v48, s36, 0
	v_add3_u32 v7, v7, v9, v8
	v_mul_lo_u32 v53, v51, s36
	v_mul_lo_u32 v54, v52, s37
	v_mad_u64_u32 v[8:9], s[2:3], v52, s36, 0
	v_add3_u32 v9, v9, v54, v53
	v_lshl_add_u64 v[6:7], v[6:7], 2, s[38:39]
	v_lshl_add_u64 v[8:9], v[8:9], 2, s[38:39]
	s_mov_b64 s[44:45], 0
	s_mov_b64 s[50:51], s[36:37]
                                        ; implicit-def: $sgpr46_sgpr47
                                        ; implicit-def: $sgpr48_sgpr49
                                        ; implicit-def: $sgpr2_sgpr3
                                        ; implicit-def: $sgpr52_sgpr53
	s_branch .LBB383_272
.LBB383_271:                            ;   in Loop: Header=BB383_272 Depth=1
	s_or_b64 exec, exec, s[56:57]
	s_and_b64 s[4:5], exec, s[48:49]
	s_or_b64 s[44:45], s[4:5], s[44:45]
	s_andn2_b64 s[4:5], s[52:53], exec
	s_and_b64 s[52:53], s[54:55], exec
	s_or_b64 s[52:53], s[4:5], s[52:53]
	s_andn2_b64 s[4:5], s[46:47], exec
	s_and_b64 s[46:47], s[2:3], exec
	s_or_b64 s[46:47], s[4:5], s[46:47]
	s_andn2_b64 exec, exec, s[44:45]
	s_cbranch_execz .LBB383_274
.LBB383_272:                            ; =>This Inner Loop Header: Depth=1
	global_load_dword v53, v[6:7], off
	global_load_dword v54, v[8:9], off
	s_andn2_b64 s[56:57], s[2:3], exec
	s_or_b64 s[48:49], s[48:49], exec
	s_waitcnt vmcnt(0)
	v_cmp_le_i32_e64 s[2:3], v53, v54
	v_cmp_lt_i32_e32 vcc, v53, v54
	s_and_b64 s[2:3], s[2:3], s[52:53]
	s_or_b64 s[54:55], vcc, s[2:3]
	s_and_b64 s[2:3], s[54:55], exec
	v_cmp_eq_u32_e64 s[4:5], v53, v54
	s_or_b64 s[2:3], s[56:57], s[2:3]
	s_and_saveexec_b64 s[56:57], s[4:5]
	s_cbranch_execz .LBB383_271
; %bb.273:                              ;   in Loop: Header=BB383_272 Depth=1
	s_add_u32 s50, s50, -1
	s_addc_u32 s51, s51, -1
	s_cmp_eq_u64 s[50:51], 0
	s_cselect_b64 s[4:5], -1, 0
	s_andn2_b64 s[48:49], s[48:49], exec
	s_and_b64 s[4:5], s[4:5], exec
	v_lshl_add_u64 v[6:7], v[6:7], 0, 4
	v_lshl_add_u64 v[8:9], v[8:9], 0, 4
	s_andn2_b64 s[2:3], s[2:3], exec
	s_or_b64 s[48:49], s[48:49], s[4:5]
                                        ; implicit-def: $sgpr52_sgpr53
	s_branch .LBB383_271
.LBB383_274:
	s_or_b64 exec, exec, s[44:45]
	s_xor_b64 s[2:3], s[46:47], -1
	s_branch .LBB383_276
.LBB383_275:
	s_mov_b64 s[2:3], -1
.LBB383_276:
	s_and_b64 s[2:3], s[2:3], exec
.LBB383_277:
	s_or_b64 exec, exec, s[30:31]
	s_orn2_b64 s[30:31], s[2:3], exec
.LBB383_278:
	s_or_b64 exec, exec, s[42:43]
	v_cndmask_b32_e64 v11, v10, v11, s[24:25]
	v_cndmask_b32_e64 v10, v17, v23, s[24:25]
	;; [unrolled: 1-line block ×8, first 2 shown]
	v_add_u32_e32 v24, 1, v14
	v_add_u32_e32 v14, -1, v15
	v_min_u32_e32 v14, v24, v14
	v_lshl_add_u32 v14, v14, 3, v35
	ds_read_b64 v[22:23], v14
	v_cndmask_b32_e64 v25, v24, v50, s[30:31]
	v_cndmask_b32_e64 v9, v43, v45, s[40:41]
	;; [unrolled: 1-line block ×9, first 2 shown]
	s_waitcnt lgkmcnt(0)
	v_cndmask_b32_e64 v5, v51, v23, s[30:31]
	v_cndmask_b32_e64 v4, v52, v22, s[30:31]
	v_cmp_lt_u32_e32 vcc, v25, v27
	s_and_saveexec_b64 s[12:13], vcc
	s_cbranch_execz .LBB383_288
; %bb.279:
	v_cndmask_b32_e64 v24, v49, v24, s[30:31]
	v_cndmask_b32_e64 v23, v23, v47, s[30:31]
	;; [unrolled: 1-line block ×3, first 2 shown]
	v_cmp_lt_u32_e32 vcc, v24, v26
	s_and_saveexec_b64 s[22:23], vcc
	s_cbranch_execz .LBB383_287
; %bb.280:
	s_and_b64 vcc, exec, s[0:1]
	s_cbranch_vccnz .LBB383_286
; %bb.281:
	v_mul_lo_u32 v26, v23, s36
	v_mul_lo_u32 v27, v22, s37
	v_mad_u64_u32 v[24:25], s[2:3], v22, s36, 0
	v_add3_u32 v25, v25, v27, v26
	v_mul_lo_u32 v39, v5, s36
	v_mul_lo_u32 v40, v4, s37
	v_mad_u64_u32 v[26:27], s[2:3], v4, s36, 0
	v_add3_u32 v27, v27, v40, v39
	v_lshl_add_u64 v[24:25], v[24:25], 2, s[38:39]
	v_lshl_add_u64 v[26:27], v[26:27], 2, s[38:39]
	s_mov_b64 s[24:25], 0
	s_mov_b64 s[30:31], s[36:37]
                                        ; implicit-def: $sgpr26_sgpr27
                                        ; implicit-def: $sgpr28_sgpr29
                                        ; implicit-def: $sgpr2_sgpr3
                                        ; implicit-def: $sgpr40_sgpr41
	s_branch .LBB383_283
.LBB383_282:                            ;   in Loop: Header=BB383_283 Depth=1
	s_or_b64 exec, exec, s[44:45]
	s_and_b64 s[4:5], exec, s[28:29]
	s_or_b64 s[24:25], s[4:5], s[24:25]
	s_andn2_b64 s[4:5], s[40:41], exec
	s_and_b64 s[40:41], s[42:43], exec
	s_or_b64 s[40:41], s[4:5], s[40:41]
	s_andn2_b64 s[4:5], s[26:27], exec
	s_and_b64 s[26:27], s[2:3], exec
	s_or_b64 s[26:27], s[4:5], s[26:27]
	s_andn2_b64 exec, exec, s[24:25]
	s_cbranch_execz .LBB383_285
.LBB383_283:                            ; =>This Inner Loop Header: Depth=1
	global_load_dword v39, v[24:25], off
	global_load_dword v40, v[26:27], off
	s_andn2_b64 s[44:45], s[2:3], exec
	s_or_b64 s[28:29], s[28:29], exec
	s_waitcnt vmcnt(0)
	v_cmp_le_i32_e64 s[2:3], v39, v40
	v_cmp_lt_i32_e32 vcc, v39, v40
	s_and_b64 s[2:3], s[2:3], s[40:41]
	s_or_b64 s[42:43], vcc, s[2:3]
	s_and_b64 s[2:3], s[42:43], exec
	v_cmp_eq_u32_e64 s[4:5], v39, v40
	s_or_b64 s[2:3], s[44:45], s[2:3]
	s_and_saveexec_b64 s[44:45], s[4:5]
	s_cbranch_execz .LBB383_282
; %bb.284:                              ;   in Loop: Header=BB383_283 Depth=1
	s_add_u32 s30, s30, -1
	s_addc_u32 s31, s31, -1
	s_cmp_eq_u64 s[30:31], 0
	s_cselect_b64 s[4:5], -1, 0
	s_andn2_b64 s[28:29], s[28:29], exec
	s_and_b64 s[4:5], s[4:5], exec
	v_lshl_add_u64 v[24:25], v[24:25], 0, 4
	v_lshl_add_u64 v[26:27], v[26:27], 0, 4
	s_andn2_b64 s[2:3], s[2:3], exec
	s_or_b64 s[28:29], s[28:29], s[4:5]
                                        ; implicit-def: $sgpr40_sgpr41
	s_branch .LBB383_282
.LBB383_285:
	s_or_b64 exec, exec, s[24:25]
	v_cndmask_b32_e64 v5, v5, v23, s[26:27]
	v_cndmask_b32_e64 v4, v4, v22, s[26:27]
.LBB383_286:
	v_mov_b64_e32 v[22:23], v[4:5]
.LBB383_287:
	s_or_b64 exec, exec, s[22:23]
	v_mov_b64_e32 v[4:5], v[22:23]
.LBB383_288:
	s_or_b64 exec, exec, s[12:13]
.LBB383_289:
	s_or_b64 exec, exec, s[10:11]
	v_and_b32_e32 v41, 0x3e0, v37
	v_or_b32_e32 v22, 16, v41
	v_min_u32_e32 v26, v36, v22
	v_add_u32_e32 v22, 16, v26
	v_min_u32_e32 v27, v36, v22
	v_and_b32_e32 v22, 24, v37
	v_min_u32_e32 v42, v36, v22
	v_sub_u32_e32 v22, v26, v41
	v_sub_u32_e32 v23, v27, v26
	v_sub_u32_e64 v40, v42, v23 clamp
	v_min_u32_e32 v43, v42, v22
	v_lshl_add_u32 v39, v41, 3, v35
	v_cmp_lt_u32_e32 vcc, v40, v43
	; wave barrier
	ds_write_b128 v38, v[14:17]
	ds_write_b128 v38, v[10:13] offset:16
	ds_write_b128 v38, v[6:9] offset:32
	;; [unrolled: 1-line block ×3, first 2 shown]
	; wave barrier
	s_and_saveexec_b64 s[10:11], vcc
	s_cbranch_execz .LBB383_299
; %bb.290:
	v_lshlrev_b32_e32 v22, 3, v26
	v_lshlrev_b32_e32 v23, 3, v42
	v_add3_u32 v44, v35, v22, v23
	s_lshl_b64 s[22:23], s[36:37], 2
	s_mov_b64 s[12:13], 0
	s_branch .LBB383_293
.LBB383_291:                            ;   in Loop: Header=BB383_293 Depth=1
	s_or_b64 exec, exec, s[26:27]
.LBB383_292:                            ;   in Loop: Header=BB383_293 Depth=1
	v_add_u32_e32 v22, 1, v45
	v_cndmask_b32_e64 v43, v43, v45, s[24:25]
	v_cndmask_b32_e64 v40, v22, v40, s[24:25]
	v_cmp_ge_u32_e32 vcc, v40, v43
	s_or_b64 s[12:13], vcc, s[12:13]
	s_andn2_b64 exec, exec, s[12:13]
	s_cbranch_execz .LBB383_298
.LBB383_293:                            ; =>This Loop Header: Depth=1
                                        ;     Child Loop BB383_296 Depth 2
	v_add_u32_e32 v22, v43, v40
	v_lshrrev_b32_e32 v45, 1, v22
	s_and_b64 vcc, exec, s[0:1]
	s_mov_b64 s[24:25], 0
	s_cbranch_vccnz .LBB383_292
; %bb.294:                              ;   in Loop: Header=BB383_293 Depth=1
	v_not_b32_e32 v22, v45
	v_lshl_add_u32 v22, v22, 3, v44
	ds_read_b64 v[22:23], v22
	v_lshl_add_u32 v46, v45, 3, v39
	ds_read_b64 v[46:47], v46
	v_mov_b64_e32 v[24:25], s[38:39]
	s_mov_b64 s[26:27], 0
	s_waitcnt lgkmcnt(1)
	v_mul_lo_u32 v48, s22, v23
	v_mul_lo_u32 v49, s23, v22
	v_mad_u64_u32 v[22:23], s[2:3], s22, v22, v[24:25]
	v_add3_u32 v23, v49, v23, v48
	s_waitcnt lgkmcnt(0)
	v_mul_lo_u32 v47, s22, v47
	v_mul_lo_u32 v48, s23, v46
	v_mad_u64_u32 v[24:25], s[2:3], s22, v46, v[24:25]
	v_add3_u32 v25, v48, v25, v47
	s_mov_b64 s[30:31], s[36:37]
                                        ; implicit-def: $sgpr24_sgpr25
                                        ; implicit-def: $sgpr28_sgpr29
                                        ; implicit-def: $sgpr2_sgpr3
                                        ; implicit-def: $sgpr40_sgpr41
	s_branch .LBB383_296
.LBB383_295:                            ;   in Loop: Header=BB383_296 Depth=2
	s_or_b64 exec, exec, s[44:45]
	s_and_b64 s[4:5], exec, s[28:29]
	s_or_b64 s[26:27], s[4:5], s[26:27]
	s_andn2_b64 s[4:5], s[40:41], exec
	s_and_b64 s[40:41], s[42:43], exec
	s_or_b64 s[40:41], s[4:5], s[40:41]
	s_andn2_b64 s[4:5], s[24:25], exec
	s_and_b64 s[24:25], s[2:3], exec
	s_or_b64 s[24:25], s[4:5], s[24:25]
	s_andn2_b64 exec, exec, s[26:27]
	s_cbranch_execz .LBB383_291
.LBB383_296:                            ;   Parent Loop BB383_293 Depth=1
                                        ; =>  This Inner Loop Header: Depth=2
	global_load_dword v46, v[22:23], off
	global_load_dword v47, v[24:25], off
	s_andn2_b64 s[44:45], s[2:3], exec
	s_or_b64 s[28:29], s[28:29], exec
	s_waitcnt vmcnt(0)
	v_cmp_le_i32_e64 s[2:3], v46, v47
	v_cmp_lt_i32_e32 vcc, v46, v47
	s_and_b64 s[2:3], s[2:3], s[40:41]
	s_or_b64 s[42:43], vcc, s[2:3]
	s_and_b64 s[2:3], s[42:43], exec
	v_cmp_eq_u32_e64 s[4:5], v46, v47
	s_or_b64 s[2:3], s[44:45], s[2:3]
	s_and_saveexec_b64 s[44:45], s[4:5]
	s_cbranch_execz .LBB383_295
; %bb.297:                              ;   in Loop: Header=BB383_296 Depth=2
	s_add_u32 s30, s30, -1
	s_addc_u32 s31, s31, -1
	s_cmp_eq_u64 s[30:31], 0
	s_cselect_b64 s[4:5], -1, 0
	s_andn2_b64 s[28:29], s[28:29], exec
	s_and_b64 s[4:5], s[4:5], exec
	v_lshl_add_u64 v[22:23], v[22:23], 0, 4
	v_lshl_add_u64 v[24:25], v[24:25], 0, 4
	s_andn2_b64 s[2:3], s[2:3], exec
	s_or_b64 s[28:29], s[28:29], s[4:5]
                                        ; implicit-def: $sgpr40_sgpr41
	s_branch .LBB383_295
.LBB383_298:
	s_or_b64 exec, exec, s[12:13]
.LBB383_299:
	s_or_b64 exec, exec, s[10:11]
	v_add_u32_e32 v22, v26, v42
	v_add_u32_e32 v23, v40, v41
	v_sub_u32_e32 v24, v22, v40
	v_cmp_le_u32_e32 vcc, v23, v26
	v_cmp_le_u32_e64 s[2:3], v24, v27
	s_or_b64 s[2:3], vcc, s[2:3]
	s_and_saveexec_b64 s[10:11], s[2:3]
	s_cbranch_execz .LBB383_390
; %bb.300:
	v_cmp_ge_u32_e32 vcc, v23, v26
	v_cmp_lt_u32_e64 s[2:3], v23, v26
                                        ; implicit-def: $vgpr2_vgpr3
	s_and_saveexec_b64 s[4:5], s[2:3]
; %bb.301:
	v_lshl_add_u32 v2, v40, 3, v39
	ds_read_b64 v[2:3], v2
; %bb.302:
	s_or_b64 exec, exec, s[4:5]
	v_cmp_ge_u32_e64 s[12:13], v24, v27
	v_cmp_lt_u32_e64 s[2:3], v24, v27
                                        ; implicit-def: $vgpr4_vgpr5
	s_and_saveexec_b64 s[4:5], s[2:3]
; %bb.303:
	v_lshl_add_u32 v4, v24, 3, v35
	ds_read_b64 v[4:5], v4
; %bb.304:
	s_or_b64 exec, exec, s[4:5]
	s_nor_b64 s[2:3], vcc, s[12:13]
	s_and_saveexec_b64 s[22:23], s[2:3]
	s_cbranch_execz .LBB383_313
; %bb.305:
	s_and_b64 vcc, exec, s[0:1]
	s_cbranch_vccnz .LBB383_311
; %bb.306:
	s_waitcnt lgkmcnt(0)
	v_mul_lo_u32 v8, v5, s36
	v_mul_lo_u32 v9, v4, s37
	v_mad_u64_u32 v[6:7], s[2:3], v4, s36, 0
	v_add3_u32 v7, v7, v9, v8
	v_mul_lo_u32 v10, v3, s36
	v_mul_lo_u32 v11, v2, s37
	v_mad_u64_u32 v[8:9], s[2:3], v2, s36, 0
	v_add3_u32 v9, v9, v11, v10
	v_lshl_add_u64 v[6:7], v[6:7], 2, s[38:39]
	v_lshl_add_u64 v[8:9], v[8:9], 2, s[38:39]
	s_mov_b64 s[24:25], 0
	s_mov_b64 s[30:31], s[36:37]
                                        ; implicit-def: $sgpr26_sgpr27
                                        ; implicit-def: $sgpr28_sgpr29
                                        ; implicit-def: $sgpr2_sgpr3
                                        ; implicit-def: $sgpr40_sgpr41
	s_branch .LBB383_308
.LBB383_307:                            ;   in Loop: Header=BB383_308 Depth=1
	s_or_b64 exec, exec, s[44:45]
	s_and_b64 s[4:5], exec, s[28:29]
	s_or_b64 s[24:25], s[4:5], s[24:25]
	s_andn2_b64 s[4:5], s[40:41], exec
	s_and_b64 s[40:41], s[42:43], exec
	s_or_b64 s[40:41], s[4:5], s[40:41]
	s_andn2_b64 s[4:5], s[26:27], exec
	s_and_b64 s[26:27], s[2:3], exec
	s_or_b64 s[26:27], s[4:5], s[26:27]
	s_andn2_b64 exec, exec, s[24:25]
	s_cbranch_execz .LBB383_310
.LBB383_308:                            ; =>This Inner Loop Header: Depth=1
	global_load_dword v10, v[6:7], off
	global_load_dword v11, v[8:9], off
	s_andn2_b64 s[44:45], s[2:3], exec
	s_or_b64 s[28:29], s[28:29], exec
	s_waitcnt vmcnt(0)
	v_cmp_le_i32_e64 s[2:3], v10, v11
	v_cmp_lt_i32_e32 vcc, v10, v11
	s_and_b64 s[2:3], s[2:3], s[40:41]
	s_or_b64 s[42:43], vcc, s[2:3]
	s_and_b64 s[2:3], s[42:43], exec
	v_cmp_eq_u32_e64 s[4:5], v10, v11
	s_or_b64 s[2:3], s[44:45], s[2:3]
	s_and_saveexec_b64 s[44:45], s[4:5]
	s_cbranch_execz .LBB383_307
; %bb.309:                              ;   in Loop: Header=BB383_308 Depth=1
	s_add_u32 s30, s30, -1
	s_addc_u32 s31, s31, -1
	s_cmp_eq_u64 s[30:31], 0
	s_cselect_b64 s[4:5], -1, 0
	s_andn2_b64 s[28:29], s[28:29], exec
	s_and_b64 s[4:5], s[4:5], exec
	v_lshl_add_u64 v[6:7], v[6:7], 0, 4
	v_lshl_add_u64 v[8:9], v[8:9], 0, 4
	s_andn2_b64 s[2:3], s[2:3], exec
	s_or_b64 s[28:29], s[28:29], s[4:5]
                                        ; implicit-def: $sgpr40_sgpr41
	s_branch .LBB383_307
.LBB383_310:
	s_or_b64 exec, exec, s[24:25]
	s_xor_b64 s[2:3], s[26:27], -1
	s_branch .LBB383_312
.LBB383_311:
	s_mov_b64 s[2:3], -1
.LBB383_312:
	s_andn2_b64 s[4:5], s[12:13], exec
	s_and_b64 s[2:3], s[2:3], exec
	s_or_b64 s[12:13], s[4:5], s[2:3]
.LBB383_313:
	s_or_b64 exec, exec, s[22:23]
	v_cndmask_b32_e64 v6, v24, v23, s[12:13]
	v_cndmask_b32_e64 v7, v27, v26, s[12:13]
	v_add_u32_e32 v8, 1, v6
	v_add_u32_e32 v6, -1, v7
	v_min_u32_e32 v6, v8, v6
	v_lshl_add_u32 v6, v6, 3, v35
	ds_read_b64 v[6:7], v6
	v_cndmask_b32_e64 v12, v8, v24, s[12:13]
	v_cndmask_b32_e64 v13, v23, v8, s[12:13]
	v_cmp_lt_u32_e32 vcc, v12, v27
	s_mov_b64 s[24:25], -1
	s_waitcnt lgkmcnt(0)
	v_cndmask_b32_e64 v14, v7, v5, s[12:13]
	v_cndmask_b32_e64 v15, v6, v4, s[12:13]
	;; [unrolled: 1-line block ×4, first 2 shown]
	s_mov_b64 s[22:23], -1
	s_and_saveexec_b64 s[26:27], vcc
	s_cbranch_execz .LBB383_324
; %bb.314:
	v_cmp_lt_u32_e32 vcc, v13, v26
	s_mov_b64 s[2:3], 0
	s_and_saveexec_b64 s[22:23], vcc
	s_cbranch_execz .LBB383_323
; %bb.315:
	s_and_b64 vcc, exec, s[0:1]
	s_cbranch_vccnz .LBB383_321
; %bb.316:
	v_mul_lo_u32 v8, v14, s36
	v_mul_lo_u32 v9, v15, s37
	v_mad_u64_u32 v[6:7], s[2:3], v15, s36, 0
	v_add3_u32 v7, v7, v9, v8
	v_mul_lo_u32 v10, v16, s36
	v_mul_lo_u32 v11, v22, s37
	v_mad_u64_u32 v[8:9], s[2:3], v22, s36, 0
	v_add3_u32 v9, v9, v11, v10
	v_lshl_add_u64 v[6:7], v[6:7], 2, s[38:39]
	v_lshl_add_u64 v[8:9], v[8:9], 2, s[38:39]
	s_mov_b64 s[28:29], 0
	s_mov_b64 s[42:43], s[36:37]
                                        ; implicit-def: $sgpr30_sgpr31
                                        ; implicit-def: $sgpr40_sgpr41
                                        ; implicit-def: $sgpr2_sgpr3
                                        ; implicit-def: $sgpr44_sgpr45
	s_branch .LBB383_318
.LBB383_317:                            ;   in Loop: Header=BB383_318 Depth=1
	s_or_b64 exec, exec, s[48:49]
	s_and_b64 s[4:5], exec, s[40:41]
	s_or_b64 s[28:29], s[4:5], s[28:29]
	s_andn2_b64 s[4:5], s[44:45], exec
	s_and_b64 s[44:45], s[46:47], exec
	s_or_b64 s[44:45], s[4:5], s[44:45]
	s_andn2_b64 s[4:5], s[30:31], exec
	s_and_b64 s[30:31], s[2:3], exec
	s_or_b64 s[30:31], s[4:5], s[30:31]
	s_andn2_b64 exec, exec, s[28:29]
	s_cbranch_execz .LBB383_320
.LBB383_318:                            ; =>This Inner Loop Header: Depth=1
	global_load_dword v10, v[6:7], off
	global_load_dword v11, v[8:9], off
	s_andn2_b64 s[48:49], s[2:3], exec
	s_or_b64 s[40:41], s[40:41], exec
	s_waitcnt vmcnt(0)
	v_cmp_le_i32_e64 s[2:3], v10, v11
	v_cmp_lt_i32_e32 vcc, v10, v11
	s_and_b64 s[2:3], s[2:3], s[44:45]
	s_or_b64 s[46:47], vcc, s[2:3]
	s_and_b64 s[2:3], s[46:47], exec
	v_cmp_eq_u32_e64 s[4:5], v10, v11
	s_or_b64 s[2:3], s[48:49], s[2:3]
	s_and_saveexec_b64 s[48:49], s[4:5]
	s_cbranch_execz .LBB383_317
; %bb.319:                              ;   in Loop: Header=BB383_318 Depth=1
	s_add_u32 s42, s42, -1
	s_addc_u32 s43, s43, -1
	s_cmp_eq_u64 s[42:43], 0
	s_cselect_b64 s[4:5], -1, 0
	s_andn2_b64 s[40:41], s[40:41], exec
	s_and_b64 s[4:5], s[4:5], exec
	v_lshl_add_u64 v[6:7], v[6:7], 0, 4
	v_lshl_add_u64 v[8:9], v[8:9], 0, 4
	s_andn2_b64 s[2:3], s[2:3], exec
	s_or_b64 s[40:41], s[40:41], s[4:5]
                                        ; implicit-def: $sgpr44_sgpr45
	s_branch .LBB383_317
.LBB383_320:
	s_or_b64 exec, exec, s[28:29]
	s_xor_b64 s[2:3], s[30:31], -1
	s_branch .LBB383_322
.LBB383_321:
	s_mov_b64 s[2:3], -1
.LBB383_322:
	s_and_b64 s[2:3], s[2:3], exec
.LBB383_323:
	s_or_b64 exec, exec, s[22:23]
	s_orn2_b64 s[22:23], s[2:3], exec
.LBB383_324:
	s_or_b64 exec, exec, s[26:27]
	v_cndmask_b32_e64 v6, v12, v13, s[22:23]
	v_cndmask_b32_e64 v7, v27, v26, s[22:23]
	v_add_u32_e32 v8, 1, v6
	v_add_u32_e32 v6, -1, v7
	v_min_u32_e32 v6, v8, v6
	v_lshl_add_u32 v6, v6, 3, v35
	ds_read_b64 v[6:7], v6
	v_cndmask_b32_e64 v39, v8, v12, s[22:23]
	v_cndmask_b32_e64 v40, v13, v8, s[22:23]
	v_cmp_lt_u32_e32 vcc, v39, v27
	s_waitcnt lgkmcnt(0)
	v_cndmask_b32_e64 v10, v7, v14, s[22:23]
	v_cndmask_b32_e64 v17, v6, v15, s[22:23]
	;; [unrolled: 1-line block ×4, first 2 shown]
	s_and_saveexec_b64 s[26:27], vcc
	s_cbranch_execz .LBB383_335
; %bb.325:
	v_cmp_lt_u32_e32 vcc, v40, v26
	s_mov_b64 s[2:3], 0
	s_and_saveexec_b64 s[24:25], vcc
	s_cbranch_execz .LBB383_334
; %bb.326:
	s_and_b64 vcc, exec, s[0:1]
	s_cbranch_vccnz .LBB383_332
; %bb.327:
	v_mul_lo_u32 v8, v10, s36
	v_mul_lo_u32 v9, v17, s37
	v_mad_u64_u32 v[6:7], s[2:3], v17, s36, 0
	v_add3_u32 v7, v7, v9, v8
	v_mul_lo_u32 v12, v11, s36
	v_mul_lo_u32 v13, v23, s37
	v_mad_u64_u32 v[8:9], s[2:3], v23, s36, 0
	v_add3_u32 v9, v9, v13, v12
	v_lshl_add_u64 v[6:7], v[6:7], 2, s[38:39]
	v_lshl_add_u64 v[8:9], v[8:9], 2, s[38:39]
	s_mov_b64 s[28:29], 0
	s_mov_b64 s[42:43], s[36:37]
                                        ; implicit-def: $sgpr30_sgpr31
                                        ; implicit-def: $sgpr40_sgpr41
                                        ; implicit-def: $sgpr2_sgpr3
                                        ; implicit-def: $sgpr44_sgpr45
	s_branch .LBB383_329
.LBB383_328:                            ;   in Loop: Header=BB383_329 Depth=1
	s_or_b64 exec, exec, s[48:49]
	s_and_b64 s[4:5], exec, s[40:41]
	s_or_b64 s[28:29], s[4:5], s[28:29]
	s_andn2_b64 s[4:5], s[44:45], exec
	s_and_b64 s[44:45], s[46:47], exec
	s_or_b64 s[44:45], s[4:5], s[44:45]
	s_andn2_b64 s[4:5], s[30:31], exec
	s_and_b64 s[30:31], s[2:3], exec
	s_or_b64 s[30:31], s[4:5], s[30:31]
	s_andn2_b64 exec, exec, s[28:29]
	s_cbranch_execz .LBB383_331
.LBB383_329:                            ; =>This Inner Loop Header: Depth=1
	global_load_dword v12, v[6:7], off
	global_load_dword v13, v[8:9], off
	s_andn2_b64 s[48:49], s[2:3], exec
	s_or_b64 s[40:41], s[40:41], exec
	s_waitcnt vmcnt(0)
	v_cmp_le_i32_e64 s[2:3], v12, v13
	v_cmp_lt_i32_e32 vcc, v12, v13
	s_and_b64 s[2:3], s[2:3], s[44:45]
	s_or_b64 s[46:47], vcc, s[2:3]
	s_and_b64 s[2:3], s[46:47], exec
	v_cmp_eq_u32_e64 s[4:5], v12, v13
	s_or_b64 s[2:3], s[48:49], s[2:3]
	s_and_saveexec_b64 s[48:49], s[4:5]
	s_cbranch_execz .LBB383_328
; %bb.330:                              ;   in Loop: Header=BB383_329 Depth=1
	s_add_u32 s42, s42, -1
	s_addc_u32 s43, s43, -1
	s_cmp_eq_u64 s[42:43], 0
	s_cselect_b64 s[4:5], -1, 0
	s_andn2_b64 s[40:41], s[40:41], exec
	s_and_b64 s[4:5], s[4:5], exec
	v_lshl_add_u64 v[6:7], v[6:7], 0, 4
	v_lshl_add_u64 v[8:9], v[8:9], 0, 4
	s_andn2_b64 s[2:3], s[2:3], exec
	s_or_b64 s[40:41], s[40:41], s[4:5]
                                        ; implicit-def: $sgpr44_sgpr45
	s_branch .LBB383_328
.LBB383_331:
	s_or_b64 exec, exec, s[28:29]
	s_xor_b64 s[2:3], s[30:31], -1
	s_branch .LBB383_333
.LBB383_332:
	s_mov_b64 s[2:3], -1
.LBB383_333:
	s_and_b64 s[2:3], s[2:3], exec
.LBB383_334:
	s_or_b64 exec, exec, s[24:25]
	s_orn2_b64 s[24:25], s[2:3], exec
.LBB383_335:
	s_or_b64 exec, exec, s[26:27]
	v_cndmask_b32_e64 v6, v39, v40, s[24:25]
	v_cndmask_b32_e64 v7, v27, v26, s[24:25]
	v_add_u32_e32 v8, 1, v6
	v_add_u32_e32 v6, -1, v7
	v_min_u32_e32 v6, v8, v6
	v_lshl_add_u32 v6, v6, 3, v35
	ds_read_b64 v[6:7], v6
	v_cndmask_b32_e64 v43, v8, v39, s[24:25]
	v_cndmask_b32_e64 v44, v40, v8, s[24:25]
	v_cmp_lt_u32_e32 vcc, v43, v27
	s_mov_b64 s[28:29], -1
	s_waitcnt lgkmcnt(0)
	v_cndmask_b32_e64 v12, v7, v10, s[24:25]
	v_cndmask_b32_e64 v24, v6, v17, s[24:25]
	;; [unrolled: 1-line block ×4, first 2 shown]
	s_mov_b64 s[26:27], -1
	s_and_saveexec_b64 s[30:31], vcc
	s_cbranch_execz .LBB383_346
; %bb.336:
	v_cmp_lt_u32_e32 vcc, v44, v26
	s_mov_b64 s[2:3], 0
	s_and_saveexec_b64 s[26:27], vcc
	s_cbranch_execz .LBB383_345
; %bb.337:
	s_and_b64 vcc, exec, s[0:1]
	s_cbranch_vccnz .LBB383_343
; %bb.338:
	v_mul_lo_u32 v8, v12, s36
	v_mul_lo_u32 v9, v24, s37
	v_mad_u64_u32 v[6:7], s[2:3], v24, s36, 0
	v_add3_u32 v7, v7, v9, v8
	v_mul_lo_u32 v39, v13, s36
	v_mul_lo_u32 v40, v25, s37
	v_mad_u64_u32 v[8:9], s[2:3], v25, s36, 0
	v_add3_u32 v9, v9, v40, v39
	v_lshl_add_u64 v[6:7], v[6:7], 2, s[38:39]
	v_lshl_add_u64 v[8:9], v[8:9], 2, s[38:39]
	s_mov_b64 s[40:41], 0
	s_mov_b64 s[46:47], s[36:37]
                                        ; implicit-def: $sgpr42_sgpr43
                                        ; implicit-def: $sgpr44_sgpr45
                                        ; implicit-def: $sgpr2_sgpr3
                                        ; implicit-def: $sgpr48_sgpr49
	s_branch .LBB383_340
.LBB383_339:                            ;   in Loop: Header=BB383_340 Depth=1
	s_or_b64 exec, exec, s[52:53]
	s_and_b64 s[4:5], exec, s[44:45]
	s_or_b64 s[40:41], s[4:5], s[40:41]
	s_andn2_b64 s[4:5], s[48:49], exec
	s_and_b64 s[48:49], s[50:51], exec
	s_or_b64 s[48:49], s[4:5], s[48:49]
	s_andn2_b64 s[4:5], s[42:43], exec
	s_and_b64 s[42:43], s[2:3], exec
	s_or_b64 s[42:43], s[4:5], s[42:43]
	s_andn2_b64 exec, exec, s[40:41]
	s_cbranch_execz .LBB383_342
.LBB383_340:                            ; =>This Inner Loop Header: Depth=1
	global_load_dword v39, v[6:7], off
	global_load_dword v40, v[8:9], off
	s_andn2_b64 s[52:53], s[2:3], exec
	s_or_b64 s[44:45], s[44:45], exec
	s_waitcnt vmcnt(0)
	v_cmp_le_i32_e64 s[2:3], v39, v40
	v_cmp_lt_i32_e32 vcc, v39, v40
	s_and_b64 s[2:3], s[2:3], s[48:49]
	s_or_b64 s[50:51], vcc, s[2:3]
	s_and_b64 s[2:3], s[50:51], exec
	v_cmp_eq_u32_e64 s[4:5], v39, v40
	s_or_b64 s[2:3], s[52:53], s[2:3]
	s_and_saveexec_b64 s[52:53], s[4:5]
	s_cbranch_execz .LBB383_339
; %bb.341:                              ;   in Loop: Header=BB383_340 Depth=1
	s_add_u32 s46, s46, -1
	s_addc_u32 s47, s47, -1
	s_cmp_eq_u64 s[46:47], 0
	s_cselect_b64 s[4:5], -1, 0
	s_andn2_b64 s[44:45], s[44:45], exec
	s_and_b64 s[4:5], s[4:5], exec
	v_lshl_add_u64 v[6:7], v[6:7], 0, 4
	v_lshl_add_u64 v[8:9], v[8:9], 0, 4
	s_andn2_b64 s[2:3], s[2:3], exec
	s_or_b64 s[44:45], s[44:45], s[4:5]
                                        ; implicit-def: $sgpr48_sgpr49
	s_branch .LBB383_339
.LBB383_342:
	s_or_b64 exec, exec, s[40:41]
	s_xor_b64 s[2:3], s[42:43], -1
	s_branch .LBB383_344
.LBB383_343:
	s_mov_b64 s[2:3], -1
.LBB383_344:
	s_and_b64 s[2:3], s[2:3], exec
.LBB383_345:
	s_or_b64 exec, exec, s[26:27]
	s_orn2_b64 s[26:27], s[2:3], exec
.LBB383_346:
	s_or_b64 exec, exec, s[30:31]
	v_cndmask_b32_e64 v6, v43, v44, s[26:27]
	v_cndmask_b32_e64 v7, v27, v26, s[26:27]
	v_add_u32_e32 v8, 1, v6
	v_add_u32_e32 v6, -1, v7
	v_min_u32_e32 v6, v8, v6
	v_lshl_add_u32 v6, v6, 3, v35
	ds_read_b64 v[6:7], v6
	v_cndmask_b32_e64 v47, v8, v43, s[26:27]
	v_cndmask_b32_e64 v48, v44, v8, s[26:27]
	v_cmp_lt_u32_e32 vcc, v47, v27
	s_waitcnt lgkmcnt(0)
	v_cndmask_b32_e64 v39, v7, v12, s[26:27]
	v_cndmask_b32_e64 v40, v6, v24, s[26:27]
	;; [unrolled: 1-line block ×4, first 2 shown]
	s_and_saveexec_b64 s[30:31], vcc
	s_cbranch_execz .LBB383_357
; %bb.347:
	v_cmp_lt_u32_e32 vcc, v48, v26
	s_mov_b64 s[2:3], 0
	s_and_saveexec_b64 s[28:29], vcc
	s_cbranch_execz .LBB383_356
; %bb.348:
	s_and_b64 vcc, exec, s[0:1]
	s_cbranch_vccnz .LBB383_354
; %bb.349:
	v_mul_lo_u32 v8, v39, s36
	v_mul_lo_u32 v9, v40, s37
	v_mad_u64_u32 v[6:7], s[2:3], v40, s36, 0
	v_add3_u32 v7, v7, v9, v8
	v_mul_lo_u32 v43, v41, s36
	v_mul_lo_u32 v44, v42, s37
	v_mad_u64_u32 v[8:9], s[2:3], v42, s36, 0
	v_add3_u32 v9, v9, v44, v43
	v_lshl_add_u64 v[6:7], v[6:7], 2, s[38:39]
	v_lshl_add_u64 v[8:9], v[8:9], 2, s[38:39]
	s_mov_b64 s[40:41], 0
	s_mov_b64 s[46:47], s[36:37]
                                        ; implicit-def: $sgpr42_sgpr43
                                        ; implicit-def: $sgpr44_sgpr45
                                        ; implicit-def: $sgpr2_sgpr3
                                        ; implicit-def: $sgpr48_sgpr49
	s_branch .LBB383_351
.LBB383_350:                            ;   in Loop: Header=BB383_351 Depth=1
	s_or_b64 exec, exec, s[52:53]
	s_and_b64 s[4:5], exec, s[44:45]
	s_or_b64 s[40:41], s[4:5], s[40:41]
	s_andn2_b64 s[4:5], s[48:49], exec
	s_and_b64 s[48:49], s[50:51], exec
	s_or_b64 s[48:49], s[4:5], s[48:49]
	s_andn2_b64 s[4:5], s[42:43], exec
	s_and_b64 s[42:43], s[2:3], exec
	s_or_b64 s[42:43], s[4:5], s[42:43]
	s_andn2_b64 exec, exec, s[40:41]
	s_cbranch_execz .LBB383_353
.LBB383_351:                            ; =>This Inner Loop Header: Depth=1
	global_load_dword v43, v[6:7], off
	global_load_dword v44, v[8:9], off
	s_andn2_b64 s[52:53], s[2:3], exec
	s_or_b64 s[44:45], s[44:45], exec
	s_waitcnt vmcnt(0)
	v_cmp_le_i32_e64 s[2:3], v43, v44
	v_cmp_lt_i32_e32 vcc, v43, v44
	s_and_b64 s[2:3], s[2:3], s[48:49]
	s_or_b64 s[50:51], vcc, s[2:3]
	s_and_b64 s[2:3], s[50:51], exec
	v_cmp_eq_u32_e64 s[4:5], v43, v44
	s_or_b64 s[2:3], s[52:53], s[2:3]
	s_and_saveexec_b64 s[52:53], s[4:5]
	s_cbranch_execz .LBB383_350
; %bb.352:                              ;   in Loop: Header=BB383_351 Depth=1
	s_add_u32 s46, s46, -1
	s_addc_u32 s47, s47, -1
	s_cmp_eq_u64 s[46:47], 0
	s_cselect_b64 s[4:5], -1, 0
	s_andn2_b64 s[44:45], s[44:45], exec
	s_and_b64 s[4:5], s[4:5], exec
	v_lshl_add_u64 v[6:7], v[6:7], 0, 4
	v_lshl_add_u64 v[8:9], v[8:9], 0, 4
	s_andn2_b64 s[2:3], s[2:3], exec
	s_or_b64 s[44:45], s[44:45], s[4:5]
                                        ; implicit-def: $sgpr48_sgpr49
	s_branch .LBB383_350
.LBB383_353:
	s_or_b64 exec, exec, s[40:41]
	s_xor_b64 s[2:3], s[42:43], -1
	s_branch .LBB383_355
.LBB383_354:
	s_mov_b64 s[2:3], -1
.LBB383_355:
	s_and_b64 s[2:3], s[2:3], exec
.LBB383_356:
	s_or_b64 exec, exec, s[28:29]
	s_orn2_b64 s[28:29], s[2:3], exec
.LBB383_357:
	s_or_b64 exec, exec, s[30:31]
	v_cndmask_b32_e64 v6, v47, v48, s[28:29]
	v_cndmask_b32_e64 v7, v27, v26, s[28:29]
	v_add_u32_e32 v8, 1, v6
	v_add_u32_e32 v6, -1, v7
	v_min_u32_e32 v6, v8, v6
	v_lshl_add_u32 v6, v6, 3, v35
	ds_read_b64 v[6:7], v6
	v_cndmask_b32_e64 v49, v8, v47, s[28:29]
	v_cndmask_b32_e64 v53, v48, v8, s[28:29]
	v_cmp_lt_u32_e32 vcc, v49, v27
	s_mov_b64 s[30:31], -1
	s_waitcnt lgkmcnt(0)
	v_cndmask_b32_e64 v43, v7, v39, s[28:29]
	v_cndmask_b32_e64 v44, v6, v40, s[28:29]
	;; [unrolled: 1-line block ×4, first 2 shown]
	s_mov_b64 s[40:41], -1
	s_and_saveexec_b64 s[42:43], vcc
	s_cbranch_execz .LBB383_368
; %bb.358:
	v_cmp_lt_u32_e32 vcc, v53, v26
	s_mov_b64 s[2:3], 0
	s_and_saveexec_b64 s[40:41], vcc
	s_cbranch_execz .LBB383_367
; %bb.359:
	s_and_b64 vcc, exec, s[0:1]
	s_cbranch_vccnz .LBB383_365
; %bb.360:
	v_mul_lo_u32 v8, v43, s36
	v_mul_lo_u32 v9, v44, s37
	v_mad_u64_u32 v[6:7], s[2:3], v44, s36, 0
	v_add3_u32 v7, v7, v9, v8
	v_mul_lo_u32 v47, v45, s36
	v_mul_lo_u32 v48, v46, s37
	v_mad_u64_u32 v[8:9], s[2:3], v46, s36, 0
	v_add3_u32 v9, v9, v48, v47
	v_lshl_add_u64 v[6:7], v[6:7], 2, s[38:39]
	v_lshl_add_u64 v[8:9], v[8:9], 2, s[38:39]
	s_mov_b64 s[44:45], 0
	s_mov_b64 s[50:51], s[36:37]
                                        ; implicit-def: $sgpr46_sgpr47
                                        ; implicit-def: $sgpr48_sgpr49
                                        ; implicit-def: $sgpr2_sgpr3
                                        ; implicit-def: $sgpr52_sgpr53
	s_branch .LBB383_362
.LBB383_361:                            ;   in Loop: Header=BB383_362 Depth=1
	s_or_b64 exec, exec, s[56:57]
	s_and_b64 s[4:5], exec, s[48:49]
	s_or_b64 s[44:45], s[4:5], s[44:45]
	s_andn2_b64 s[4:5], s[52:53], exec
	s_and_b64 s[52:53], s[54:55], exec
	s_or_b64 s[52:53], s[4:5], s[52:53]
	s_andn2_b64 s[4:5], s[46:47], exec
	s_and_b64 s[46:47], s[2:3], exec
	s_or_b64 s[46:47], s[4:5], s[46:47]
	s_andn2_b64 exec, exec, s[44:45]
	s_cbranch_execz .LBB383_364
.LBB383_362:                            ; =>This Inner Loop Header: Depth=1
	global_load_dword v47, v[6:7], off
	global_load_dword v48, v[8:9], off
	s_andn2_b64 s[56:57], s[2:3], exec
	s_or_b64 s[48:49], s[48:49], exec
	s_waitcnt vmcnt(0)
	v_cmp_le_i32_e64 s[2:3], v47, v48
	v_cmp_lt_i32_e32 vcc, v47, v48
	s_and_b64 s[2:3], s[2:3], s[52:53]
	s_or_b64 s[54:55], vcc, s[2:3]
	s_and_b64 s[2:3], s[54:55], exec
	v_cmp_eq_u32_e64 s[4:5], v47, v48
	s_or_b64 s[2:3], s[56:57], s[2:3]
	s_and_saveexec_b64 s[56:57], s[4:5]
	s_cbranch_execz .LBB383_361
; %bb.363:                              ;   in Loop: Header=BB383_362 Depth=1
	s_add_u32 s50, s50, -1
	s_addc_u32 s51, s51, -1
	s_cmp_eq_u64 s[50:51], 0
	s_cselect_b64 s[4:5], -1, 0
	s_andn2_b64 s[48:49], s[48:49], exec
	s_and_b64 s[4:5], s[4:5], exec
	v_lshl_add_u64 v[6:7], v[6:7], 0, 4
	v_lshl_add_u64 v[8:9], v[8:9], 0, 4
	s_andn2_b64 s[2:3], s[2:3], exec
	s_or_b64 s[48:49], s[48:49], s[4:5]
                                        ; implicit-def: $sgpr52_sgpr53
	s_branch .LBB383_361
.LBB383_364:
	s_or_b64 exec, exec, s[44:45]
	s_xor_b64 s[2:3], s[46:47], -1
	s_branch .LBB383_366
.LBB383_365:
	s_mov_b64 s[2:3], -1
.LBB383_366:
	s_and_b64 s[2:3], s[2:3], exec
.LBB383_367:
	s_or_b64 exec, exec, s[40:41]
	s_orn2_b64 s[40:41], s[2:3], exec
.LBB383_368:
	s_or_b64 exec, exec, s[42:43]
	v_cndmask_b32_e64 v6, v49, v53, s[40:41]
	v_cndmask_b32_e64 v7, v27, v26, s[40:41]
	v_add_u32_e32 v8, 1, v6
	v_add_u32_e32 v6, -1, v7
	v_min_u32_e32 v6, v8, v6
	v_lshl_add_u32 v6, v6, 3, v35
	ds_read_b64 v[6:7], v6
	v_cndmask_b32_e64 v50, v8, v49, s[40:41]
	v_cndmask_b32_e64 v49, v53, v8, s[40:41]
	v_cmp_lt_u32_e32 vcc, v50, v27
	s_waitcnt lgkmcnt(0)
	v_cndmask_b32_e64 v47, v7, v43, s[40:41]
	v_cndmask_b32_e64 v48, v6, v44, s[40:41]
	;; [unrolled: 1-line block ×4, first 2 shown]
	s_and_saveexec_b64 s[42:43], vcc
	s_cbranch_execz .LBB383_379
; %bb.369:
	v_cmp_lt_u32_e32 vcc, v49, v26
	s_mov_b64 s[2:3], 0
	s_and_saveexec_b64 s[30:31], vcc
	s_cbranch_execz .LBB383_378
; %bb.370:
	s_and_b64 vcc, exec, s[0:1]
	s_cbranch_vccnz .LBB383_376
; %bb.371:
	v_mul_lo_u32 v8, v47, s36
	v_mul_lo_u32 v9, v48, s37
	v_mad_u64_u32 v[6:7], s[2:3], v48, s36, 0
	v_add3_u32 v7, v7, v9, v8
	v_mul_lo_u32 v53, v51, s36
	v_mul_lo_u32 v54, v52, s37
	v_mad_u64_u32 v[8:9], s[2:3], v52, s36, 0
	v_add3_u32 v9, v9, v54, v53
	v_lshl_add_u64 v[6:7], v[6:7], 2, s[38:39]
	v_lshl_add_u64 v[8:9], v[8:9], 2, s[38:39]
	s_mov_b64 s[44:45], 0
	s_mov_b64 s[50:51], s[36:37]
                                        ; implicit-def: $sgpr46_sgpr47
                                        ; implicit-def: $sgpr48_sgpr49
                                        ; implicit-def: $sgpr2_sgpr3
                                        ; implicit-def: $sgpr52_sgpr53
	s_branch .LBB383_373
.LBB383_372:                            ;   in Loop: Header=BB383_373 Depth=1
	s_or_b64 exec, exec, s[56:57]
	s_and_b64 s[4:5], exec, s[48:49]
	s_or_b64 s[44:45], s[4:5], s[44:45]
	s_andn2_b64 s[4:5], s[52:53], exec
	s_and_b64 s[52:53], s[54:55], exec
	s_or_b64 s[52:53], s[4:5], s[52:53]
	s_andn2_b64 s[4:5], s[46:47], exec
	s_and_b64 s[46:47], s[2:3], exec
	s_or_b64 s[46:47], s[4:5], s[46:47]
	s_andn2_b64 exec, exec, s[44:45]
	s_cbranch_execz .LBB383_375
.LBB383_373:                            ; =>This Inner Loop Header: Depth=1
	global_load_dword v53, v[6:7], off
	global_load_dword v54, v[8:9], off
	s_andn2_b64 s[56:57], s[2:3], exec
	s_or_b64 s[48:49], s[48:49], exec
	s_waitcnt vmcnt(0)
	v_cmp_le_i32_e64 s[2:3], v53, v54
	v_cmp_lt_i32_e32 vcc, v53, v54
	s_and_b64 s[2:3], s[2:3], s[52:53]
	s_or_b64 s[54:55], vcc, s[2:3]
	s_and_b64 s[2:3], s[54:55], exec
	v_cmp_eq_u32_e64 s[4:5], v53, v54
	s_or_b64 s[2:3], s[56:57], s[2:3]
	s_and_saveexec_b64 s[56:57], s[4:5]
	s_cbranch_execz .LBB383_372
; %bb.374:                              ;   in Loop: Header=BB383_373 Depth=1
	s_add_u32 s50, s50, -1
	s_addc_u32 s51, s51, -1
	s_cmp_eq_u64 s[50:51], 0
	s_cselect_b64 s[4:5], -1, 0
	s_andn2_b64 s[48:49], s[48:49], exec
	s_and_b64 s[4:5], s[4:5], exec
	v_lshl_add_u64 v[6:7], v[6:7], 0, 4
	v_lshl_add_u64 v[8:9], v[8:9], 0, 4
	s_andn2_b64 s[2:3], s[2:3], exec
	s_or_b64 s[48:49], s[48:49], s[4:5]
                                        ; implicit-def: $sgpr52_sgpr53
	s_branch .LBB383_372
.LBB383_375:
	s_or_b64 exec, exec, s[44:45]
	s_xor_b64 s[2:3], s[46:47], -1
	s_branch .LBB383_377
.LBB383_376:
	s_mov_b64 s[2:3], -1
.LBB383_377:
	s_and_b64 s[2:3], s[2:3], exec
.LBB383_378:
	s_or_b64 exec, exec, s[30:31]
	s_orn2_b64 s[30:31], s[2:3], exec
.LBB383_379:
	s_or_b64 exec, exec, s[42:43]
	v_cndmask_b32_e64 v11, v10, v11, s[24:25]
	v_cndmask_b32_e64 v10, v17, v23, s[24:25]
	;; [unrolled: 1-line block ×8, first 2 shown]
	v_add_u32_e32 v24, 1, v14
	v_add_u32_e32 v14, -1, v15
	v_min_u32_e32 v14, v24, v14
	v_lshl_add_u32 v14, v14, 3, v35
	ds_read_b64 v[22:23], v14
	v_cndmask_b32_e64 v25, v24, v50, s[30:31]
	v_cndmask_b32_e64 v9, v43, v45, s[40:41]
	v_cndmask_b32_e64 v8, v44, v46, s[40:41]
	v_cndmask_b32_e64 v7, v39, v41, s[28:29]
	v_cndmask_b32_e64 v6, v40, v42, s[28:29]
	v_cndmask_b32_e64 v15, v5, v3, s[12:13]
	v_cndmask_b32_e64 v14, v4, v2, s[12:13]
	v_cndmask_b32_e64 v3, v47, v51, s[30:31]
	v_cndmask_b32_e64 v2, v48, v52, s[30:31]
	s_waitcnt lgkmcnt(0)
	v_cndmask_b32_e64 v5, v51, v23, s[30:31]
	v_cndmask_b32_e64 v4, v52, v22, s[30:31]
	v_cmp_lt_u32_e32 vcc, v25, v27
	s_and_saveexec_b64 s[12:13], vcc
	s_cbranch_execz .LBB383_389
; %bb.380:
	v_cndmask_b32_e64 v24, v49, v24, s[30:31]
	v_cndmask_b32_e64 v23, v23, v47, s[30:31]
	;; [unrolled: 1-line block ×3, first 2 shown]
	v_cmp_lt_u32_e32 vcc, v24, v26
	s_and_saveexec_b64 s[22:23], vcc
	s_cbranch_execz .LBB383_388
; %bb.381:
	s_and_b64 vcc, exec, s[0:1]
	s_cbranch_vccnz .LBB383_387
; %bb.382:
	v_mul_lo_u32 v26, v23, s36
	v_mul_lo_u32 v27, v22, s37
	v_mad_u64_u32 v[24:25], s[2:3], v22, s36, 0
	v_add3_u32 v25, v25, v27, v26
	v_mul_lo_u32 v39, v5, s36
	v_mul_lo_u32 v40, v4, s37
	v_mad_u64_u32 v[26:27], s[2:3], v4, s36, 0
	v_add3_u32 v27, v27, v40, v39
	v_lshl_add_u64 v[24:25], v[24:25], 2, s[38:39]
	v_lshl_add_u64 v[26:27], v[26:27], 2, s[38:39]
	s_mov_b64 s[24:25], 0
	s_mov_b64 s[30:31], s[36:37]
                                        ; implicit-def: $sgpr26_sgpr27
                                        ; implicit-def: $sgpr28_sgpr29
                                        ; implicit-def: $sgpr2_sgpr3
                                        ; implicit-def: $sgpr40_sgpr41
	s_branch .LBB383_384
.LBB383_383:                            ;   in Loop: Header=BB383_384 Depth=1
	s_or_b64 exec, exec, s[44:45]
	s_and_b64 s[4:5], exec, s[28:29]
	s_or_b64 s[24:25], s[4:5], s[24:25]
	s_andn2_b64 s[4:5], s[40:41], exec
	s_and_b64 s[40:41], s[42:43], exec
	s_or_b64 s[40:41], s[4:5], s[40:41]
	s_andn2_b64 s[4:5], s[26:27], exec
	s_and_b64 s[26:27], s[2:3], exec
	s_or_b64 s[26:27], s[4:5], s[26:27]
	s_andn2_b64 exec, exec, s[24:25]
	s_cbranch_execz .LBB383_386
.LBB383_384:                            ; =>This Inner Loop Header: Depth=1
	global_load_dword v39, v[24:25], off
	global_load_dword v40, v[26:27], off
	s_andn2_b64 s[44:45], s[2:3], exec
	s_or_b64 s[28:29], s[28:29], exec
	s_waitcnt vmcnt(0)
	v_cmp_le_i32_e64 s[2:3], v39, v40
	v_cmp_lt_i32_e32 vcc, v39, v40
	s_and_b64 s[2:3], s[2:3], s[40:41]
	s_or_b64 s[42:43], vcc, s[2:3]
	s_and_b64 s[2:3], s[42:43], exec
	v_cmp_eq_u32_e64 s[4:5], v39, v40
	s_or_b64 s[2:3], s[44:45], s[2:3]
	s_and_saveexec_b64 s[44:45], s[4:5]
	s_cbranch_execz .LBB383_383
; %bb.385:                              ;   in Loop: Header=BB383_384 Depth=1
	s_add_u32 s30, s30, -1
	s_addc_u32 s31, s31, -1
	s_cmp_eq_u64 s[30:31], 0
	s_cselect_b64 s[4:5], -1, 0
	s_andn2_b64 s[28:29], s[28:29], exec
	s_and_b64 s[4:5], s[4:5], exec
	v_lshl_add_u64 v[24:25], v[24:25], 0, 4
	v_lshl_add_u64 v[26:27], v[26:27], 0, 4
	s_andn2_b64 s[2:3], s[2:3], exec
	s_or_b64 s[28:29], s[28:29], s[4:5]
                                        ; implicit-def: $sgpr40_sgpr41
	s_branch .LBB383_383
.LBB383_386:
	s_or_b64 exec, exec, s[24:25]
	v_cndmask_b32_e64 v5, v5, v23, s[26:27]
	v_cndmask_b32_e64 v4, v4, v22, s[26:27]
.LBB383_387:
	v_mov_b64_e32 v[22:23], v[4:5]
.LBB383_388:
	s_or_b64 exec, exec, s[22:23]
	v_mov_b64_e32 v[4:5], v[22:23]
.LBB383_389:
	s_or_b64 exec, exec, s[12:13]
.LBB383_390:
	s_or_b64 exec, exec, s[10:11]
	v_and_b32_e32 v41, 0x3c0, v37
	v_or_b32_e32 v22, 32, v41
	v_min_u32_e32 v26, v36, v22
	v_add_u32_e32 v22, 32, v26
	v_min_u32_e32 v27, v36, v22
	v_and_b32_e32 v22, 56, v37
	v_min_u32_e32 v42, v36, v22
	v_sub_u32_e32 v22, v26, v41
	v_sub_u32_e32 v23, v27, v26
	v_sub_u32_e64 v40, v42, v23 clamp
	v_min_u32_e32 v43, v42, v22
	v_lshl_add_u32 v39, v41, 3, v35
	v_cmp_lt_u32_e32 vcc, v40, v43
	; wave barrier
	ds_write_b128 v38, v[14:17]
	ds_write_b128 v38, v[10:13] offset:16
	ds_write_b128 v38, v[6:9] offset:32
	;; [unrolled: 1-line block ×3, first 2 shown]
	; wave barrier
	s_and_saveexec_b64 s[10:11], vcc
	s_cbranch_execz .LBB383_400
; %bb.391:
	v_lshlrev_b32_e32 v22, 3, v26
	v_lshlrev_b32_e32 v23, 3, v42
	v_add3_u32 v44, v35, v22, v23
	s_lshl_b64 s[22:23], s[36:37], 2
	s_mov_b64 s[12:13], 0
	s_branch .LBB383_394
.LBB383_392:                            ;   in Loop: Header=BB383_394 Depth=1
	s_or_b64 exec, exec, s[26:27]
.LBB383_393:                            ;   in Loop: Header=BB383_394 Depth=1
	v_add_u32_e32 v22, 1, v45
	v_cndmask_b32_e64 v43, v43, v45, s[24:25]
	v_cndmask_b32_e64 v40, v22, v40, s[24:25]
	v_cmp_ge_u32_e32 vcc, v40, v43
	s_or_b64 s[12:13], vcc, s[12:13]
	s_andn2_b64 exec, exec, s[12:13]
	s_cbranch_execz .LBB383_399
.LBB383_394:                            ; =>This Loop Header: Depth=1
                                        ;     Child Loop BB383_397 Depth 2
	v_add_u32_e32 v22, v43, v40
	v_lshrrev_b32_e32 v45, 1, v22
	s_and_b64 vcc, exec, s[0:1]
	s_mov_b64 s[24:25], 0
	s_cbranch_vccnz .LBB383_393
; %bb.395:                              ;   in Loop: Header=BB383_394 Depth=1
	v_not_b32_e32 v22, v45
	v_lshl_add_u32 v22, v22, 3, v44
	ds_read_b64 v[22:23], v22
	v_lshl_add_u32 v46, v45, 3, v39
	ds_read_b64 v[46:47], v46
	v_mov_b64_e32 v[24:25], s[38:39]
	s_mov_b64 s[26:27], 0
	s_waitcnt lgkmcnt(1)
	v_mul_lo_u32 v48, s22, v23
	v_mul_lo_u32 v49, s23, v22
	v_mad_u64_u32 v[22:23], s[2:3], s22, v22, v[24:25]
	v_add3_u32 v23, v49, v23, v48
	s_waitcnt lgkmcnt(0)
	v_mul_lo_u32 v47, s22, v47
	v_mul_lo_u32 v48, s23, v46
	v_mad_u64_u32 v[24:25], s[2:3], s22, v46, v[24:25]
	v_add3_u32 v25, v48, v25, v47
	s_mov_b64 s[30:31], s[36:37]
                                        ; implicit-def: $sgpr24_sgpr25
                                        ; implicit-def: $sgpr28_sgpr29
                                        ; implicit-def: $sgpr2_sgpr3
                                        ; implicit-def: $sgpr40_sgpr41
	s_branch .LBB383_397
.LBB383_396:                            ;   in Loop: Header=BB383_397 Depth=2
	s_or_b64 exec, exec, s[44:45]
	s_and_b64 s[4:5], exec, s[28:29]
	s_or_b64 s[26:27], s[4:5], s[26:27]
	s_andn2_b64 s[4:5], s[40:41], exec
	s_and_b64 s[40:41], s[42:43], exec
	s_or_b64 s[40:41], s[4:5], s[40:41]
	s_andn2_b64 s[4:5], s[24:25], exec
	s_and_b64 s[24:25], s[2:3], exec
	s_or_b64 s[24:25], s[4:5], s[24:25]
	s_andn2_b64 exec, exec, s[26:27]
	s_cbranch_execz .LBB383_392
.LBB383_397:                            ;   Parent Loop BB383_394 Depth=1
                                        ; =>  This Inner Loop Header: Depth=2
	global_load_dword v46, v[22:23], off
	global_load_dword v47, v[24:25], off
	s_andn2_b64 s[44:45], s[2:3], exec
	s_or_b64 s[28:29], s[28:29], exec
	s_waitcnt vmcnt(0)
	v_cmp_le_i32_e64 s[2:3], v46, v47
	v_cmp_lt_i32_e32 vcc, v46, v47
	s_and_b64 s[2:3], s[2:3], s[40:41]
	s_or_b64 s[42:43], vcc, s[2:3]
	s_and_b64 s[2:3], s[42:43], exec
	v_cmp_eq_u32_e64 s[4:5], v46, v47
	s_or_b64 s[2:3], s[44:45], s[2:3]
	s_and_saveexec_b64 s[44:45], s[4:5]
	s_cbranch_execz .LBB383_396
; %bb.398:                              ;   in Loop: Header=BB383_397 Depth=2
	s_add_u32 s30, s30, -1
	s_addc_u32 s31, s31, -1
	s_cmp_eq_u64 s[30:31], 0
	s_cselect_b64 s[4:5], -1, 0
	s_andn2_b64 s[28:29], s[28:29], exec
	s_and_b64 s[4:5], s[4:5], exec
	v_lshl_add_u64 v[22:23], v[22:23], 0, 4
	v_lshl_add_u64 v[24:25], v[24:25], 0, 4
	s_andn2_b64 s[2:3], s[2:3], exec
	s_or_b64 s[28:29], s[28:29], s[4:5]
                                        ; implicit-def: $sgpr40_sgpr41
	s_branch .LBB383_396
.LBB383_399:
	s_or_b64 exec, exec, s[12:13]
.LBB383_400:
	s_or_b64 exec, exec, s[10:11]
	v_add_u32_e32 v22, v26, v42
	v_add_u32_e32 v23, v40, v41
	v_sub_u32_e32 v24, v22, v40
	v_cmp_le_u32_e32 vcc, v23, v26
	v_cmp_le_u32_e64 s[2:3], v24, v27
	s_or_b64 s[2:3], vcc, s[2:3]
	s_and_saveexec_b64 s[10:11], s[2:3]
	s_cbranch_execz .LBB383_491
; %bb.401:
	v_cmp_ge_u32_e32 vcc, v23, v26
	v_cmp_lt_u32_e64 s[2:3], v23, v26
                                        ; implicit-def: $vgpr2_vgpr3
	s_and_saveexec_b64 s[4:5], s[2:3]
; %bb.402:
	v_lshl_add_u32 v2, v40, 3, v39
	ds_read_b64 v[2:3], v2
; %bb.403:
	s_or_b64 exec, exec, s[4:5]
	v_cmp_ge_u32_e64 s[12:13], v24, v27
	v_cmp_lt_u32_e64 s[2:3], v24, v27
                                        ; implicit-def: $vgpr4_vgpr5
	s_and_saveexec_b64 s[4:5], s[2:3]
; %bb.404:
	v_lshl_add_u32 v4, v24, 3, v35
	ds_read_b64 v[4:5], v4
; %bb.405:
	s_or_b64 exec, exec, s[4:5]
	s_nor_b64 s[2:3], vcc, s[12:13]
	s_and_saveexec_b64 s[22:23], s[2:3]
	s_cbranch_execz .LBB383_414
; %bb.406:
	s_and_b64 vcc, exec, s[0:1]
	s_cbranch_vccnz .LBB383_412
; %bb.407:
	s_waitcnt lgkmcnt(0)
	v_mul_lo_u32 v8, v5, s36
	v_mul_lo_u32 v9, v4, s37
	v_mad_u64_u32 v[6:7], s[2:3], v4, s36, 0
	v_add3_u32 v7, v7, v9, v8
	v_mul_lo_u32 v10, v3, s36
	v_mul_lo_u32 v11, v2, s37
	v_mad_u64_u32 v[8:9], s[2:3], v2, s36, 0
	v_add3_u32 v9, v9, v11, v10
	v_lshl_add_u64 v[6:7], v[6:7], 2, s[38:39]
	v_lshl_add_u64 v[8:9], v[8:9], 2, s[38:39]
	s_mov_b64 s[24:25], 0
	s_mov_b64 s[30:31], s[36:37]
                                        ; implicit-def: $sgpr26_sgpr27
                                        ; implicit-def: $sgpr28_sgpr29
                                        ; implicit-def: $sgpr2_sgpr3
                                        ; implicit-def: $sgpr40_sgpr41
	s_branch .LBB383_409
.LBB383_408:                            ;   in Loop: Header=BB383_409 Depth=1
	s_or_b64 exec, exec, s[44:45]
	s_and_b64 s[4:5], exec, s[28:29]
	s_or_b64 s[24:25], s[4:5], s[24:25]
	s_andn2_b64 s[4:5], s[40:41], exec
	s_and_b64 s[40:41], s[42:43], exec
	s_or_b64 s[40:41], s[4:5], s[40:41]
	s_andn2_b64 s[4:5], s[26:27], exec
	s_and_b64 s[26:27], s[2:3], exec
	s_or_b64 s[26:27], s[4:5], s[26:27]
	s_andn2_b64 exec, exec, s[24:25]
	s_cbranch_execz .LBB383_411
.LBB383_409:                            ; =>This Inner Loop Header: Depth=1
	global_load_dword v10, v[6:7], off
	global_load_dword v11, v[8:9], off
	s_andn2_b64 s[44:45], s[2:3], exec
	s_or_b64 s[28:29], s[28:29], exec
	s_waitcnt vmcnt(0)
	v_cmp_le_i32_e64 s[2:3], v10, v11
	v_cmp_lt_i32_e32 vcc, v10, v11
	s_and_b64 s[2:3], s[2:3], s[40:41]
	s_or_b64 s[42:43], vcc, s[2:3]
	s_and_b64 s[2:3], s[42:43], exec
	v_cmp_eq_u32_e64 s[4:5], v10, v11
	s_or_b64 s[2:3], s[44:45], s[2:3]
	s_and_saveexec_b64 s[44:45], s[4:5]
	s_cbranch_execz .LBB383_408
; %bb.410:                              ;   in Loop: Header=BB383_409 Depth=1
	s_add_u32 s30, s30, -1
	s_addc_u32 s31, s31, -1
	s_cmp_eq_u64 s[30:31], 0
	s_cselect_b64 s[4:5], -1, 0
	s_andn2_b64 s[28:29], s[28:29], exec
	s_and_b64 s[4:5], s[4:5], exec
	v_lshl_add_u64 v[6:7], v[6:7], 0, 4
	v_lshl_add_u64 v[8:9], v[8:9], 0, 4
	s_andn2_b64 s[2:3], s[2:3], exec
	s_or_b64 s[28:29], s[28:29], s[4:5]
                                        ; implicit-def: $sgpr40_sgpr41
	s_branch .LBB383_408
.LBB383_411:
	s_or_b64 exec, exec, s[24:25]
	s_xor_b64 s[2:3], s[26:27], -1
	s_branch .LBB383_413
.LBB383_412:
	s_mov_b64 s[2:3], -1
.LBB383_413:
	s_andn2_b64 s[4:5], s[12:13], exec
	s_and_b64 s[2:3], s[2:3], exec
	s_or_b64 s[12:13], s[4:5], s[2:3]
.LBB383_414:
	s_or_b64 exec, exec, s[22:23]
	v_cndmask_b32_e64 v6, v24, v23, s[12:13]
	v_cndmask_b32_e64 v7, v27, v26, s[12:13]
	v_add_u32_e32 v8, 1, v6
	v_add_u32_e32 v6, -1, v7
	v_min_u32_e32 v6, v8, v6
	v_lshl_add_u32 v6, v6, 3, v35
	ds_read_b64 v[6:7], v6
	v_cndmask_b32_e64 v12, v8, v24, s[12:13]
	v_cndmask_b32_e64 v13, v23, v8, s[12:13]
	v_cmp_lt_u32_e32 vcc, v12, v27
	s_mov_b64 s[24:25], -1
	s_waitcnt lgkmcnt(0)
	v_cndmask_b32_e64 v14, v7, v5, s[12:13]
	v_cndmask_b32_e64 v15, v6, v4, s[12:13]
	v_cndmask_b32_e64 v16, v3, v7, s[12:13]
	v_cndmask_b32_e64 v22, v2, v6, s[12:13]
	s_mov_b64 s[22:23], -1
	s_and_saveexec_b64 s[26:27], vcc
	s_cbranch_execz .LBB383_425
; %bb.415:
	v_cmp_lt_u32_e32 vcc, v13, v26
	s_mov_b64 s[2:3], 0
	s_and_saveexec_b64 s[22:23], vcc
	s_cbranch_execz .LBB383_424
; %bb.416:
	s_and_b64 vcc, exec, s[0:1]
	s_cbranch_vccnz .LBB383_422
; %bb.417:
	v_mul_lo_u32 v8, v14, s36
	v_mul_lo_u32 v9, v15, s37
	v_mad_u64_u32 v[6:7], s[2:3], v15, s36, 0
	v_add3_u32 v7, v7, v9, v8
	v_mul_lo_u32 v10, v16, s36
	v_mul_lo_u32 v11, v22, s37
	v_mad_u64_u32 v[8:9], s[2:3], v22, s36, 0
	v_add3_u32 v9, v9, v11, v10
	v_lshl_add_u64 v[6:7], v[6:7], 2, s[38:39]
	v_lshl_add_u64 v[8:9], v[8:9], 2, s[38:39]
	s_mov_b64 s[28:29], 0
	s_mov_b64 s[42:43], s[36:37]
                                        ; implicit-def: $sgpr30_sgpr31
                                        ; implicit-def: $sgpr40_sgpr41
                                        ; implicit-def: $sgpr2_sgpr3
                                        ; implicit-def: $sgpr44_sgpr45
	s_branch .LBB383_419
.LBB383_418:                            ;   in Loop: Header=BB383_419 Depth=1
	s_or_b64 exec, exec, s[48:49]
	s_and_b64 s[4:5], exec, s[40:41]
	s_or_b64 s[28:29], s[4:5], s[28:29]
	s_andn2_b64 s[4:5], s[44:45], exec
	s_and_b64 s[44:45], s[46:47], exec
	s_or_b64 s[44:45], s[4:5], s[44:45]
	s_andn2_b64 s[4:5], s[30:31], exec
	s_and_b64 s[30:31], s[2:3], exec
	s_or_b64 s[30:31], s[4:5], s[30:31]
	s_andn2_b64 exec, exec, s[28:29]
	s_cbranch_execz .LBB383_421
.LBB383_419:                            ; =>This Inner Loop Header: Depth=1
	global_load_dword v10, v[6:7], off
	global_load_dword v11, v[8:9], off
	s_andn2_b64 s[48:49], s[2:3], exec
	s_or_b64 s[40:41], s[40:41], exec
	s_waitcnt vmcnt(0)
	v_cmp_le_i32_e64 s[2:3], v10, v11
	v_cmp_lt_i32_e32 vcc, v10, v11
	s_and_b64 s[2:3], s[2:3], s[44:45]
	s_or_b64 s[46:47], vcc, s[2:3]
	s_and_b64 s[2:3], s[46:47], exec
	v_cmp_eq_u32_e64 s[4:5], v10, v11
	s_or_b64 s[2:3], s[48:49], s[2:3]
	s_and_saveexec_b64 s[48:49], s[4:5]
	s_cbranch_execz .LBB383_418
; %bb.420:                              ;   in Loop: Header=BB383_419 Depth=1
	s_add_u32 s42, s42, -1
	s_addc_u32 s43, s43, -1
	s_cmp_eq_u64 s[42:43], 0
	s_cselect_b64 s[4:5], -1, 0
	s_andn2_b64 s[40:41], s[40:41], exec
	s_and_b64 s[4:5], s[4:5], exec
	v_lshl_add_u64 v[6:7], v[6:7], 0, 4
	v_lshl_add_u64 v[8:9], v[8:9], 0, 4
	s_andn2_b64 s[2:3], s[2:3], exec
	s_or_b64 s[40:41], s[40:41], s[4:5]
                                        ; implicit-def: $sgpr44_sgpr45
	s_branch .LBB383_418
.LBB383_421:
	s_or_b64 exec, exec, s[28:29]
	s_xor_b64 s[2:3], s[30:31], -1
	s_branch .LBB383_423
.LBB383_422:
	s_mov_b64 s[2:3], -1
.LBB383_423:
	s_and_b64 s[2:3], s[2:3], exec
.LBB383_424:
	s_or_b64 exec, exec, s[22:23]
	s_orn2_b64 s[22:23], s[2:3], exec
.LBB383_425:
	s_or_b64 exec, exec, s[26:27]
	v_cndmask_b32_e64 v6, v12, v13, s[22:23]
	v_cndmask_b32_e64 v7, v27, v26, s[22:23]
	v_add_u32_e32 v8, 1, v6
	v_add_u32_e32 v6, -1, v7
	v_min_u32_e32 v6, v8, v6
	v_lshl_add_u32 v6, v6, 3, v35
	ds_read_b64 v[6:7], v6
	v_cndmask_b32_e64 v39, v8, v12, s[22:23]
	v_cndmask_b32_e64 v40, v13, v8, s[22:23]
	v_cmp_lt_u32_e32 vcc, v39, v27
	s_waitcnt lgkmcnt(0)
	v_cndmask_b32_e64 v10, v7, v14, s[22:23]
	v_cndmask_b32_e64 v17, v6, v15, s[22:23]
	;; [unrolled: 1-line block ×4, first 2 shown]
	s_and_saveexec_b64 s[26:27], vcc
	s_cbranch_execz .LBB383_436
; %bb.426:
	v_cmp_lt_u32_e32 vcc, v40, v26
	s_mov_b64 s[2:3], 0
	s_and_saveexec_b64 s[24:25], vcc
	s_cbranch_execz .LBB383_435
; %bb.427:
	s_and_b64 vcc, exec, s[0:1]
	s_cbranch_vccnz .LBB383_433
; %bb.428:
	v_mul_lo_u32 v8, v10, s36
	v_mul_lo_u32 v9, v17, s37
	v_mad_u64_u32 v[6:7], s[2:3], v17, s36, 0
	v_add3_u32 v7, v7, v9, v8
	v_mul_lo_u32 v12, v11, s36
	v_mul_lo_u32 v13, v23, s37
	v_mad_u64_u32 v[8:9], s[2:3], v23, s36, 0
	v_add3_u32 v9, v9, v13, v12
	v_lshl_add_u64 v[6:7], v[6:7], 2, s[38:39]
	v_lshl_add_u64 v[8:9], v[8:9], 2, s[38:39]
	s_mov_b64 s[28:29], 0
	s_mov_b64 s[42:43], s[36:37]
                                        ; implicit-def: $sgpr30_sgpr31
                                        ; implicit-def: $sgpr40_sgpr41
                                        ; implicit-def: $sgpr2_sgpr3
                                        ; implicit-def: $sgpr44_sgpr45
	s_branch .LBB383_430
.LBB383_429:                            ;   in Loop: Header=BB383_430 Depth=1
	s_or_b64 exec, exec, s[48:49]
	s_and_b64 s[4:5], exec, s[40:41]
	s_or_b64 s[28:29], s[4:5], s[28:29]
	s_andn2_b64 s[4:5], s[44:45], exec
	s_and_b64 s[44:45], s[46:47], exec
	s_or_b64 s[44:45], s[4:5], s[44:45]
	s_andn2_b64 s[4:5], s[30:31], exec
	s_and_b64 s[30:31], s[2:3], exec
	s_or_b64 s[30:31], s[4:5], s[30:31]
	s_andn2_b64 exec, exec, s[28:29]
	s_cbranch_execz .LBB383_432
.LBB383_430:                            ; =>This Inner Loop Header: Depth=1
	global_load_dword v12, v[6:7], off
	global_load_dword v13, v[8:9], off
	s_andn2_b64 s[48:49], s[2:3], exec
	s_or_b64 s[40:41], s[40:41], exec
	s_waitcnt vmcnt(0)
	v_cmp_le_i32_e64 s[2:3], v12, v13
	v_cmp_lt_i32_e32 vcc, v12, v13
	s_and_b64 s[2:3], s[2:3], s[44:45]
	s_or_b64 s[46:47], vcc, s[2:3]
	s_and_b64 s[2:3], s[46:47], exec
	v_cmp_eq_u32_e64 s[4:5], v12, v13
	s_or_b64 s[2:3], s[48:49], s[2:3]
	s_and_saveexec_b64 s[48:49], s[4:5]
	s_cbranch_execz .LBB383_429
; %bb.431:                              ;   in Loop: Header=BB383_430 Depth=1
	s_add_u32 s42, s42, -1
	s_addc_u32 s43, s43, -1
	s_cmp_eq_u64 s[42:43], 0
	s_cselect_b64 s[4:5], -1, 0
	s_andn2_b64 s[40:41], s[40:41], exec
	s_and_b64 s[4:5], s[4:5], exec
	v_lshl_add_u64 v[6:7], v[6:7], 0, 4
	v_lshl_add_u64 v[8:9], v[8:9], 0, 4
	s_andn2_b64 s[2:3], s[2:3], exec
	s_or_b64 s[40:41], s[40:41], s[4:5]
                                        ; implicit-def: $sgpr44_sgpr45
	s_branch .LBB383_429
.LBB383_432:
	s_or_b64 exec, exec, s[28:29]
	s_xor_b64 s[2:3], s[30:31], -1
	s_branch .LBB383_434
.LBB383_433:
	s_mov_b64 s[2:3], -1
.LBB383_434:
	s_and_b64 s[2:3], s[2:3], exec
.LBB383_435:
	s_or_b64 exec, exec, s[24:25]
	s_orn2_b64 s[24:25], s[2:3], exec
.LBB383_436:
	s_or_b64 exec, exec, s[26:27]
	v_cndmask_b32_e64 v6, v39, v40, s[24:25]
	v_cndmask_b32_e64 v7, v27, v26, s[24:25]
	v_add_u32_e32 v8, 1, v6
	v_add_u32_e32 v6, -1, v7
	v_min_u32_e32 v6, v8, v6
	v_lshl_add_u32 v6, v6, 3, v35
	ds_read_b64 v[6:7], v6
	v_cndmask_b32_e64 v43, v8, v39, s[24:25]
	v_cndmask_b32_e64 v44, v40, v8, s[24:25]
	v_cmp_lt_u32_e32 vcc, v43, v27
	s_mov_b64 s[28:29], -1
	s_waitcnt lgkmcnt(0)
	v_cndmask_b32_e64 v12, v7, v10, s[24:25]
	v_cndmask_b32_e64 v24, v6, v17, s[24:25]
	;; [unrolled: 1-line block ×4, first 2 shown]
	s_mov_b64 s[26:27], -1
	s_and_saveexec_b64 s[30:31], vcc
	s_cbranch_execz .LBB383_447
; %bb.437:
	v_cmp_lt_u32_e32 vcc, v44, v26
	s_mov_b64 s[2:3], 0
	s_and_saveexec_b64 s[26:27], vcc
	s_cbranch_execz .LBB383_446
; %bb.438:
	s_and_b64 vcc, exec, s[0:1]
	s_cbranch_vccnz .LBB383_444
; %bb.439:
	v_mul_lo_u32 v8, v12, s36
	v_mul_lo_u32 v9, v24, s37
	v_mad_u64_u32 v[6:7], s[2:3], v24, s36, 0
	v_add3_u32 v7, v7, v9, v8
	v_mul_lo_u32 v39, v13, s36
	v_mul_lo_u32 v40, v25, s37
	v_mad_u64_u32 v[8:9], s[2:3], v25, s36, 0
	v_add3_u32 v9, v9, v40, v39
	v_lshl_add_u64 v[6:7], v[6:7], 2, s[38:39]
	v_lshl_add_u64 v[8:9], v[8:9], 2, s[38:39]
	s_mov_b64 s[40:41], 0
	s_mov_b64 s[46:47], s[36:37]
                                        ; implicit-def: $sgpr42_sgpr43
                                        ; implicit-def: $sgpr44_sgpr45
                                        ; implicit-def: $sgpr2_sgpr3
                                        ; implicit-def: $sgpr48_sgpr49
	s_branch .LBB383_441
.LBB383_440:                            ;   in Loop: Header=BB383_441 Depth=1
	s_or_b64 exec, exec, s[52:53]
	s_and_b64 s[4:5], exec, s[44:45]
	s_or_b64 s[40:41], s[4:5], s[40:41]
	s_andn2_b64 s[4:5], s[48:49], exec
	s_and_b64 s[48:49], s[50:51], exec
	s_or_b64 s[48:49], s[4:5], s[48:49]
	s_andn2_b64 s[4:5], s[42:43], exec
	s_and_b64 s[42:43], s[2:3], exec
	s_or_b64 s[42:43], s[4:5], s[42:43]
	s_andn2_b64 exec, exec, s[40:41]
	s_cbranch_execz .LBB383_443
.LBB383_441:                            ; =>This Inner Loop Header: Depth=1
	global_load_dword v39, v[6:7], off
	global_load_dword v40, v[8:9], off
	s_andn2_b64 s[52:53], s[2:3], exec
	s_or_b64 s[44:45], s[44:45], exec
	s_waitcnt vmcnt(0)
	v_cmp_le_i32_e64 s[2:3], v39, v40
	v_cmp_lt_i32_e32 vcc, v39, v40
	s_and_b64 s[2:3], s[2:3], s[48:49]
	s_or_b64 s[50:51], vcc, s[2:3]
	s_and_b64 s[2:3], s[50:51], exec
	v_cmp_eq_u32_e64 s[4:5], v39, v40
	s_or_b64 s[2:3], s[52:53], s[2:3]
	s_and_saveexec_b64 s[52:53], s[4:5]
	s_cbranch_execz .LBB383_440
; %bb.442:                              ;   in Loop: Header=BB383_441 Depth=1
	s_add_u32 s46, s46, -1
	s_addc_u32 s47, s47, -1
	s_cmp_eq_u64 s[46:47], 0
	s_cselect_b64 s[4:5], -1, 0
	s_andn2_b64 s[44:45], s[44:45], exec
	s_and_b64 s[4:5], s[4:5], exec
	v_lshl_add_u64 v[6:7], v[6:7], 0, 4
	v_lshl_add_u64 v[8:9], v[8:9], 0, 4
	s_andn2_b64 s[2:3], s[2:3], exec
	s_or_b64 s[44:45], s[44:45], s[4:5]
                                        ; implicit-def: $sgpr48_sgpr49
	s_branch .LBB383_440
.LBB383_443:
	s_or_b64 exec, exec, s[40:41]
	s_xor_b64 s[2:3], s[42:43], -1
	s_branch .LBB383_445
.LBB383_444:
	s_mov_b64 s[2:3], -1
.LBB383_445:
	s_and_b64 s[2:3], s[2:3], exec
.LBB383_446:
	s_or_b64 exec, exec, s[26:27]
	s_orn2_b64 s[26:27], s[2:3], exec
.LBB383_447:
	s_or_b64 exec, exec, s[30:31]
	v_cndmask_b32_e64 v6, v43, v44, s[26:27]
	v_cndmask_b32_e64 v7, v27, v26, s[26:27]
	v_add_u32_e32 v8, 1, v6
	v_add_u32_e32 v6, -1, v7
	v_min_u32_e32 v6, v8, v6
	v_lshl_add_u32 v6, v6, 3, v35
	ds_read_b64 v[6:7], v6
	v_cndmask_b32_e64 v47, v8, v43, s[26:27]
	v_cndmask_b32_e64 v48, v44, v8, s[26:27]
	v_cmp_lt_u32_e32 vcc, v47, v27
	s_waitcnt lgkmcnt(0)
	v_cndmask_b32_e64 v39, v7, v12, s[26:27]
	v_cndmask_b32_e64 v40, v6, v24, s[26:27]
	;; [unrolled: 1-line block ×4, first 2 shown]
	s_and_saveexec_b64 s[30:31], vcc
	s_cbranch_execz .LBB383_458
; %bb.448:
	v_cmp_lt_u32_e32 vcc, v48, v26
	s_mov_b64 s[2:3], 0
	s_and_saveexec_b64 s[28:29], vcc
	s_cbranch_execz .LBB383_457
; %bb.449:
	s_and_b64 vcc, exec, s[0:1]
	s_cbranch_vccnz .LBB383_455
; %bb.450:
	v_mul_lo_u32 v8, v39, s36
	v_mul_lo_u32 v9, v40, s37
	v_mad_u64_u32 v[6:7], s[2:3], v40, s36, 0
	v_add3_u32 v7, v7, v9, v8
	v_mul_lo_u32 v43, v41, s36
	v_mul_lo_u32 v44, v42, s37
	v_mad_u64_u32 v[8:9], s[2:3], v42, s36, 0
	v_add3_u32 v9, v9, v44, v43
	v_lshl_add_u64 v[6:7], v[6:7], 2, s[38:39]
	v_lshl_add_u64 v[8:9], v[8:9], 2, s[38:39]
	s_mov_b64 s[40:41], 0
	s_mov_b64 s[46:47], s[36:37]
                                        ; implicit-def: $sgpr42_sgpr43
                                        ; implicit-def: $sgpr44_sgpr45
                                        ; implicit-def: $sgpr2_sgpr3
                                        ; implicit-def: $sgpr48_sgpr49
	s_branch .LBB383_452
.LBB383_451:                            ;   in Loop: Header=BB383_452 Depth=1
	s_or_b64 exec, exec, s[52:53]
	s_and_b64 s[4:5], exec, s[44:45]
	s_or_b64 s[40:41], s[4:5], s[40:41]
	s_andn2_b64 s[4:5], s[48:49], exec
	s_and_b64 s[48:49], s[50:51], exec
	s_or_b64 s[48:49], s[4:5], s[48:49]
	s_andn2_b64 s[4:5], s[42:43], exec
	s_and_b64 s[42:43], s[2:3], exec
	s_or_b64 s[42:43], s[4:5], s[42:43]
	s_andn2_b64 exec, exec, s[40:41]
	s_cbranch_execz .LBB383_454
.LBB383_452:                            ; =>This Inner Loop Header: Depth=1
	global_load_dword v43, v[6:7], off
	global_load_dword v44, v[8:9], off
	s_andn2_b64 s[52:53], s[2:3], exec
	s_or_b64 s[44:45], s[44:45], exec
	s_waitcnt vmcnt(0)
	v_cmp_le_i32_e64 s[2:3], v43, v44
	v_cmp_lt_i32_e32 vcc, v43, v44
	s_and_b64 s[2:3], s[2:3], s[48:49]
	s_or_b64 s[50:51], vcc, s[2:3]
	s_and_b64 s[2:3], s[50:51], exec
	v_cmp_eq_u32_e64 s[4:5], v43, v44
	s_or_b64 s[2:3], s[52:53], s[2:3]
	s_and_saveexec_b64 s[52:53], s[4:5]
	s_cbranch_execz .LBB383_451
; %bb.453:                              ;   in Loop: Header=BB383_452 Depth=1
	s_add_u32 s46, s46, -1
	s_addc_u32 s47, s47, -1
	s_cmp_eq_u64 s[46:47], 0
	s_cselect_b64 s[4:5], -1, 0
	s_andn2_b64 s[44:45], s[44:45], exec
	s_and_b64 s[4:5], s[4:5], exec
	v_lshl_add_u64 v[6:7], v[6:7], 0, 4
	v_lshl_add_u64 v[8:9], v[8:9], 0, 4
	s_andn2_b64 s[2:3], s[2:3], exec
	s_or_b64 s[44:45], s[44:45], s[4:5]
                                        ; implicit-def: $sgpr48_sgpr49
	s_branch .LBB383_451
.LBB383_454:
	s_or_b64 exec, exec, s[40:41]
	s_xor_b64 s[2:3], s[42:43], -1
	s_branch .LBB383_456
.LBB383_455:
	s_mov_b64 s[2:3], -1
.LBB383_456:
	s_and_b64 s[2:3], s[2:3], exec
.LBB383_457:
	s_or_b64 exec, exec, s[28:29]
	s_orn2_b64 s[28:29], s[2:3], exec
.LBB383_458:
	s_or_b64 exec, exec, s[30:31]
	v_cndmask_b32_e64 v6, v47, v48, s[28:29]
	v_cndmask_b32_e64 v7, v27, v26, s[28:29]
	v_add_u32_e32 v8, 1, v6
	v_add_u32_e32 v6, -1, v7
	v_min_u32_e32 v6, v8, v6
	v_lshl_add_u32 v6, v6, 3, v35
	ds_read_b64 v[6:7], v6
	v_cndmask_b32_e64 v49, v8, v47, s[28:29]
	v_cndmask_b32_e64 v53, v48, v8, s[28:29]
	v_cmp_lt_u32_e32 vcc, v49, v27
	s_mov_b64 s[30:31], -1
	s_waitcnt lgkmcnt(0)
	v_cndmask_b32_e64 v43, v7, v39, s[28:29]
	v_cndmask_b32_e64 v44, v6, v40, s[28:29]
	;; [unrolled: 1-line block ×4, first 2 shown]
	s_mov_b64 s[40:41], -1
	s_and_saveexec_b64 s[42:43], vcc
	s_cbranch_execz .LBB383_469
; %bb.459:
	v_cmp_lt_u32_e32 vcc, v53, v26
	s_mov_b64 s[2:3], 0
	s_and_saveexec_b64 s[40:41], vcc
	s_cbranch_execz .LBB383_468
; %bb.460:
	s_and_b64 vcc, exec, s[0:1]
	s_cbranch_vccnz .LBB383_466
; %bb.461:
	v_mul_lo_u32 v8, v43, s36
	v_mul_lo_u32 v9, v44, s37
	v_mad_u64_u32 v[6:7], s[2:3], v44, s36, 0
	v_add3_u32 v7, v7, v9, v8
	v_mul_lo_u32 v47, v45, s36
	v_mul_lo_u32 v48, v46, s37
	v_mad_u64_u32 v[8:9], s[2:3], v46, s36, 0
	v_add3_u32 v9, v9, v48, v47
	v_lshl_add_u64 v[6:7], v[6:7], 2, s[38:39]
	v_lshl_add_u64 v[8:9], v[8:9], 2, s[38:39]
	s_mov_b64 s[44:45], 0
	s_mov_b64 s[50:51], s[36:37]
                                        ; implicit-def: $sgpr46_sgpr47
                                        ; implicit-def: $sgpr48_sgpr49
                                        ; implicit-def: $sgpr2_sgpr3
                                        ; implicit-def: $sgpr52_sgpr53
	s_branch .LBB383_463
.LBB383_462:                            ;   in Loop: Header=BB383_463 Depth=1
	s_or_b64 exec, exec, s[56:57]
	s_and_b64 s[4:5], exec, s[48:49]
	s_or_b64 s[44:45], s[4:5], s[44:45]
	s_andn2_b64 s[4:5], s[52:53], exec
	s_and_b64 s[52:53], s[54:55], exec
	s_or_b64 s[52:53], s[4:5], s[52:53]
	s_andn2_b64 s[4:5], s[46:47], exec
	s_and_b64 s[46:47], s[2:3], exec
	s_or_b64 s[46:47], s[4:5], s[46:47]
	s_andn2_b64 exec, exec, s[44:45]
	s_cbranch_execz .LBB383_465
.LBB383_463:                            ; =>This Inner Loop Header: Depth=1
	global_load_dword v47, v[6:7], off
	global_load_dword v48, v[8:9], off
	s_andn2_b64 s[56:57], s[2:3], exec
	s_or_b64 s[48:49], s[48:49], exec
	s_waitcnt vmcnt(0)
	v_cmp_le_i32_e64 s[2:3], v47, v48
	v_cmp_lt_i32_e32 vcc, v47, v48
	s_and_b64 s[2:3], s[2:3], s[52:53]
	s_or_b64 s[54:55], vcc, s[2:3]
	s_and_b64 s[2:3], s[54:55], exec
	v_cmp_eq_u32_e64 s[4:5], v47, v48
	s_or_b64 s[2:3], s[56:57], s[2:3]
	s_and_saveexec_b64 s[56:57], s[4:5]
	s_cbranch_execz .LBB383_462
; %bb.464:                              ;   in Loop: Header=BB383_463 Depth=1
	s_add_u32 s50, s50, -1
	s_addc_u32 s51, s51, -1
	s_cmp_eq_u64 s[50:51], 0
	s_cselect_b64 s[4:5], -1, 0
	s_andn2_b64 s[48:49], s[48:49], exec
	s_and_b64 s[4:5], s[4:5], exec
	v_lshl_add_u64 v[6:7], v[6:7], 0, 4
	v_lshl_add_u64 v[8:9], v[8:9], 0, 4
	s_andn2_b64 s[2:3], s[2:3], exec
	s_or_b64 s[48:49], s[48:49], s[4:5]
                                        ; implicit-def: $sgpr52_sgpr53
	s_branch .LBB383_462
.LBB383_465:
	s_or_b64 exec, exec, s[44:45]
	s_xor_b64 s[2:3], s[46:47], -1
	s_branch .LBB383_467
.LBB383_466:
	s_mov_b64 s[2:3], -1
.LBB383_467:
	s_and_b64 s[2:3], s[2:3], exec
.LBB383_468:
	s_or_b64 exec, exec, s[40:41]
	s_orn2_b64 s[40:41], s[2:3], exec
.LBB383_469:
	s_or_b64 exec, exec, s[42:43]
	v_cndmask_b32_e64 v6, v49, v53, s[40:41]
	v_cndmask_b32_e64 v7, v27, v26, s[40:41]
	v_add_u32_e32 v8, 1, v6
	v_add_u32_e32 v6, -1, v7
	v_min_u32_e32 v6, v8, v6
	v_lshl_add_u32 v6, v6, 3, v35
	ds_read_b64 v[6:7], v6
	v_cndmask_b32_e64 v50, v8, v49, s[40:41]
	v_cndmask_b32_e64 v49, v53, v8, s[40:41]
	v_cmp_lt_u32_e32 vcc, v50, v27
	s_waitcnt lgkmcnt(0)
	v_cndmask_b32_e64 v47, v7, v43, s[40:41]
	v_cndmask_b32_e64 v48, v6, v44, s[40:41]
	;; [unrolled: 1-line block ×4, first 2 shown]
	s_and_saveexec_b64 s[42:43], vcc
	s_cbranch_execz .LBB383_480
; %bb.470:
	v_cmp_lt_u32_e32 vcc, v49, v26
	s_mov_b64 s[2:3], 0
	s_and_saveexec_b64 s[30:31], vcc
	s_cbranch_execz .LBB383_479
; %bb.471:
	s_and_b64 vcc, exec, s[0:1]
	s_cbranch_vccnz .LBB383_477
; %bb.472:
	v_mul_lo_u32 v8, v47, s36
	v_mul_lo_u32 v9, v48, s37
	v_mad_u64_u32 v[6:7], s[2:3], v48, s36, 0
	v_add3_u32 v7, v7, v9, v8
	v_mul_lo_u32 v53, v51, s36
	v_mul_lo_u32 v54, v52, s37
	v_mad_u64_u32 v[8:9], s[2:3], v52, s36, 0
	v_add3_u32 v9, v9, v54, v53
	v_lshl_add_u64 v[6:7], v[6:7], 2, s[38:39]
	v_lshl_add_u64 v[8:9], v[8:9], 2, s[38:39]
	s_mov_b64 s[44:45], 0
	s_mov_b64 s[50:51], s[36:37]
                                        ; implicit-def: $sgpr46_sgpr47
                                        ; implicit-def: $sgpr48_sgpr49
                                        ; implicit-def: $sgpr2_sgpr3
                                        ; implicit-def: $sgpr52_sgpr53
	s_branch .LBB383_474
.LBB383_473:                            ;   in Loop: Header=BB383_474 Depth=1
	s_or_b64 exec, exec, s[56:57]
	s_and_b64 s[4:5], exec, s[48:49]
	s_or_b64 s[44:45], s[4:5], s[44:45]
	s_andn2_b64 s[4:5], s[52:53], exec
	s_and_b64 s[52:53], s[54:55], exec
	s_or_b64 s[52:53], s[4:5], s[52:53]
	s_andn2_b64 s[4:5], s[46:47], exec
	s_and_b64 s[46:47], s[2:3], exec
	s_or_b64 s[46:47], s[4:5], s[46:47]
	s_andn2_b64 exec, exec, s[44:45]
	s_cbranch_execz .LBB383_476
.LBB383_474:                            ; =>This Inner Loop Header: Depth=1
	global_load_dword v53, v[6:7], off
	global_load_dword v54, v[8:9], off
	s_andn2_b64 s[56:57], s[2:3], exec
	s_or_b64 s[48:49], s[48:49], exec
	s_waitcnt vmcnt(0)
	v_cmp_le_i32_e64 s[2:3], v53, v54
	v_cmp_lt_i32_e32 vcc, v53, v54
	s_and_b64 s[2:3], s[2:3], s[52:53]
	s_or_b64 s[54:55], vcc, s[2:3]
	s_and_b64 s[2:3], s[54:55], exec
	v_cmp_eq_u32_e64 s[4:5], v53, v54
	s_or_b64 s[2:3], s[56:57], s[2:3]
	s_and_saveexec_b64 s[56:57], s[4:5]
	s_cbranch_execz .LBB383_473
; %bb.475:                              ;   in Loop: Header=BB383_474 Depth=1
	s_add_u32 s50, s50, -1
	s_addc_u32 s51, s51, -1
	s_cmp_eq_u64 s[50:51], 0
	s_cselect_b64 s[4:5], -1, 0
	s_andn2_b64 s[48:49], s[48:49], exec
	s_and_b64 s[4:5], s[4:5], exec
	v_lshl_add_u64 v[6:7], v[6:7], 0, 4
	v_lshl_add_u64 v[8:9], v[8:9], 0, 4
	s_andn2_b64 s[2:3], s[2:3], exec
	s_or_b64 s[48:49], s[48:49], s[4:5]
                                        ; implicit-def: $sgpr52_sgpr53
	s_branch .LBB383_473
.LBB383_476:
	s_or_b64 exec, exec, s[44:45]
	s_xor_b64 s[2:3], s[46:47], -1
	s_branch .LBB383_478
.LBB383_477:
	s_mov_b64 s[2:3], -1
.LBB383_478:
	s_and_b64 s[2:3], s[2:3], exec
.LBB383_479:
	s_or_b64 exec, exec, s[30:31]
	s_orn2_b64 s[30:31], s[2:3], exec
.LBB383_480:
	s_or_b64 exec, exec, s[42:43]
	v_cndmask_b32_e64 v11, v10, v11, s[24:25]
	v_cndmask_b32_e64 v10, v17, v23, s[24:25]
	;; [unrolled: 1-line block ×8, first 2 shown]
	v_add_u32_e32 v24, 1, v14
	v_add_u32_e32 v14, -1, v15
	v_min_u32_e32 v14, v24, v14
	v_lshl_add_u32 v14, v14, 3, v35
	ds_read_b64 v[22:23], v14
	v_cndmask_b32_e64 v25, v24, v50, s[30:31]
	v_cndmask_b32_e64 v9, v43, v45, s[40:41]
	;; [unrolled: 1-line block ×9, first 2 shown]
	s_waitcnt lgkmcnt(0)
	v_cndmask_b32_e64 v5, v51, v23, s[30:31]
	v_cndmask_b32_e64 v4, v52, v22, s[30:31]
	v_cmp_lt_u32_e32 vcc, v25, v27
	s_and_saveexec_b64 s[12:13], vcc
	s_cbranch_execz .LBB383_490
; %bb.481:
	v_cndmask_b32_e64 v24, v49, v24, s[30:31]
	v_cndmask_b32_e64 v23, v23, v47, s[30:31]
	;; [unrolled: 1-line block ×3, first 2 shown]
	v_cmp_lt_u32_e32 vcc, v24, v26
	s_and_saveexec_b64 s[22:23], vcc
	s_cbranch_execz .LBB383_489
; %bb.482:
	s_and_b64 vcc, exec, s[0:1]
	s_cbranch_vccnz .LBB383_488
; %bb.483:
	v_mul_lo_u32 v26, v23, s36
	v_mul_lo_u32 v27, v22, s37
	v_mad_u64_u32 v[24:25], s[2:3], v22, s36, 0
	v_add3_u32 v25, v25, v27, v26
	v_mul_lo_u32 v39, v5, s36
	v_mul_lo_u32 v40, v4, s37
	v_mad_u64_u32 v[26:27], s[2:3], v4, s36, 0
	v_add3_u32 v27, v27, v40, v39
	v_lshl_add_u64 v[24:25], v[24:25], 2, s[38:39]
	v_lshl_add_u64 v[26:27], v[26:27], 2, s[38:39]
	s_mov_b64 s[24:25], 0
	s_mov_b64 s[30:31], s[36:37]
                                        ; implicit-def: $sgpr26_sgpr27
                                        ; implicit-def: $sgpr28_sgpr29
                                        ; implicit-def: $sgpr2_sgpr3
                                        ; implicit-def: $sgpr40_sgpr41
	s_branch .LBB383_485
.LBB383_484:                            ;   in Loop: Header=BB383_485 Depth=1
	s_or_b64 exec, exec, s[44:45]
	s_and_b64 s[4:5], exec, s[28:29]
	s_or_b64 s[24:25], s[4:5], s[24:25]
	s_andn2_b64 s[4:5], s[40:41], exec
	s_and_b64 s[40:41], s[42:43], exec
	s_or_b64 s[40:41], s[4:5], s[40:41]
	s_andn2_b64 s[4:5], s[26:27], exec
	s_and_b64 s[26:27], s[2:3], exec
	s_or_b64 s[26:27], s[4:5], s[26:27]
	s_andn2_b64 exec, exec, s[24:25]
	s_cbranch_execz .LBB383_487
.LBB383_485:                            ; =>This Inner Loop Header: Depth=1
	global_load_dword v39, v[24:25], off
	global_load_dword v40, v[26:27], off
	s_andn2_b64 s[44:45], s[2:3], exec
	s_or_b64 s[28:29], s[28:29], exec
	s_waitcnt vmcnt(0)
	v_cmp_le_i32_e64 s[2:3], v39, v40
	v_cmp_lt_i32_e32 vcc, v39, v40
	s_and_b64 s[2:3], s[2:3], s[40:41]
	s_or_b64 s[42:43], vcc, s[2:3]
	s_and_b64 s[2:3], s[42:43], exec
	v_cmp_eq_u32_e64 s[4:5], v39, v40
	s_or_b64 s[2:3], s[44:45], s[2:3]
	s_and_saveexec_b64 s[44:45], s[4:5]
	s_cbranch_execz .LBB383_484
; %bb.486:                              ;   in Loop: Header=BB383_485 Depth=1
	s_add_u32 s30, s30, -1
	s_addc_u32 s31, s31, -1
	s_cmp_eq_u64 s[30:31], 0
	s_cselect_b64 s[4:5], -1, 0
	s_andn2_b64 s[28:29], s[28:29], exec
	s_and_b64 s[4:5], s[4:5], exec
	v_lshl_add_u64 v[24:25], v[24:25], 0, 4
	v_lshl_add_u64 v[26:27], v[26:27], 0, 4
	s_andn2_b64 s[2:3], s[2:3], exec
	s_or_b64 s[28:29], s[28:29], s[4:5]
                                        ; implicit-def: $sgpr40_sgpr41
	s_branch .LBB383_484
.LBB383_487:
	s_or_b64 exec, exec, s[24:25]
	v_cndmask_b32_e64 v5, v5, v23, s[26:27]
	v_cndmask_b32_e64 v4, v4, v22, s[26:27]
.LBB383_488:
	v_mov_b64_e32 v[22:23], v[4:5]
.LBB383_489:
	s_or_b64 exec, exec, s[22:23]
	v_mov_b64_e32 v[4:5], v[22:23]
.LBB383_490:
	s_or_b64 exec, exec, s[12:13]
.LBB383_491:
	s_or_b64 exec, exec, s[10:11]
	; wave barrier
	ds_write_b128 v38, v[14:17]
	ds_write_b128 v38, v[10:13] offset:16
	ds_write_b128 v38, v[6:9] offset:32
	;; [unrolled: 1-line block ×3, first 2 shown]
	v_and_b32_e32 v38, 0x380, v37
	v_or_b32_e32 v22, 64, v38
	v_min_u32_e32 v26, v36, v22
	v_add_u32_e32 v22, 64, v26
	v_min_u32_e32 v27, v36, v22
	v_and_b32_e32 v22, 0x78, v37
	v_min_u32_e32 v39, v36, v22
	v_sub_u32_e32 v22, v26, v38
	v_sub_u32_e32 v23, v27, v26
	v_sub_u32_e64 v37, v39, v23 clamp
	v_min_u32_e32 v40, v39, v22
	v_lshl_add_u32 v36, v38, 3, v35
	v_cmp_lt_u32_e32 vcc, v37, v40
	; wave barrier
	s_and_saveexec_b64 s[10:11], vcc
	s_cbranch_execz .LBB383_501
; %bb.492:
	v_lshlrev_b32_e32 v22, 3, v26
	v_lshlrev_b32_e32 v23, 3, v39
	v_add3_u32 v41, v35, v22, v23
	s_lshl_b64 s[22:23], s[36:37], 2
	s_mov_b64 s[12:13], 0
	s_branch .LBB383_495
.LBB383_493:                            ;   in Loop: Header=BB383_495 Depth=1
	s_or_b64 exec, exec, s[26:27]
.LBB383_494:                            ;   in Loop: Header=BB383_495 Depth=1
	v_add_u32_e32 v22, 1, v42
	v_cndmask_b32_e64 v40, v40, v42, s[24:25]
	v_cndmask_b32_e64 v37, v22, v37, s[24:25]
	v_cmp_ge_u32_e32 vcc, v37, v40
	s_or_b64 s[12:13], vcc, s[12:13]
	s_andn2_b64 exec, exec, s[12:13]
	s_cbranch_execz .LBB383_500
.LBB383_495:                            ; =>This Loop Header: Depth=1
                                        ;     Child Loop BB383_498 Depth 2
	v_add_u32_e32 v22, v40, v37
	v_lshrrev_b32_e32 v42, 1, v22
	s_and_b64 vcc, exec, s[0:1]
	s_mov_b64 s[24:25], 0
	s_cbranch_vccnz .LBB383_494
; %bb.496:                              ;   in Loop: Header=BB383_495 Depth=1
	v_not_b32_e32 v22, v42
	v_lshl_add_u32 v22, v22, 3, v41
	ds_read_b64 v[22:23], v22
	v_lshl_add_u32 v43, v42, 3, v36
	ds_read_b64 v[44:45], v43
	v_mov_b64_e32 v[24:25], s[38:39]
	s_mov_b64 s[26:27], 0
	s_waitcnt lgkmcnt(1)
	v_mul_lo_u32 v43, s22, v23
	v_mul_lo_u32 v46, s23, v22
	v_mad_u64_u32 v[22:23], s[2:3], s22, v22, v[24:25]
	v_add3_u32 v23, v46, v23, v43
	s_waitcnt lgkmcnt(0)
	v_mul_lo_u32 v43, s22, v45
	v_mul_lo_u32 v45, s23, v44
	v_mad_u64_u32 v[24:25], s[2:3], s22, v44, v[24:25]
	v_add3_u32 v25, v45, v25, v43
	s_mov_b64 s[30:31], s[36:37]
                                        ; implicit-def: $sgpr24_sgpr25
                                        ; implicit-def: $sgpr28_sgpr29
                                        ; implicit-def: $sgpr2_sgpr3
                                        ; implicit-def: $sgpr40_sgpr41
	s_branch .LBB383_498
.LBB383_497:                            ;   in Loop: Header=BB383_498 Depth=2
	s_or_b64 exec, exec, s[44:45]
	s_and_b64 s[4:5], exec, s[28:29]
	s_or_b64 s[26:27], s[4:5], s[26:27]
	s_andn2_b64 s[4:5], s[40:41], exec
	s_and_b64 s[40:41], s[42:43], exec
	s_or_b64 s[40:41], s[4:5], s[40:41]
	s_andn2_b64 s[4:5], s[24:25], exec
	s_and_b64 s[24:25], s[2:3], exec
	s_or_b64 s[24:25], s[4:5], s[24:25]
	s_andn2_b64 exec, exec, s[26:27]
	s_cbranch_execz .LBB383_493
.LBB383_498:                            ;   Parent Loop BB383_495 Depth=1
                                        ; =>  This Inner Loop Header: Depth=2
	global_load_dword v43, v[22:23], off
	global_load_dword v44, v[24:25], off
	s_andn2_b64 s[44:45], s[2:3], exec
	s_or_b64 s[28:29], s[28:29], exec
	s_waitcnt vmcnt(0)
	v_cmp_le_i32_e64 s[2:3], v43, v44
	v_cmp_lt_i32_e32 vcc, v43, v44
	s_and_b64 s[2:3], s[2:3], s[40:41]
	s_or_b64 s[42:43], vcc, s[2:3]
	s_and_b64 s[2:3], s[42:43], exec
	v_cmp_eq_u32_e64 s[4:5], v43, v44
	s_or_b64 s[2:3], s[44:45], s[2:3]
	s_and_saveexec_b64 s[44:45], s[4:5]
	s_cbranch_execz .LBB383_497
; %bb.499:                              ;   in Loop: Header=BB383_498 Depth=2
	s_add_u32 s30, s30, -1
	s_addc_u32 s31, s31, -1
	s_cmp_eq_u64 s[30:31], 0
	s_cselect_b64 s[4:5], -1, 0
	s_andn2_b64 s[28:29], s[28:29], exec
	s_and_b64 s[4:5], s[4:5], exec
	v_lshl_add_u64 v[22:23], v[22:23], 0, 4
	v_lshl_add_u64 v[24:25], v[24:25], 0, 4
	s_andn2_b64 s[2:3], s[2:3], exec
	s_or_b64 s[28:29], s[28:29], s[4:5]
                                        ; implicit-def: $sgpr40_sgpr41
	s_branch .LBB383_497
.LBB383_500:
	s_or_b64 exec, exec, s[12:13]
.LBB383_501:
	s_or_b64 exec, exec, s[10:11]
	v_add_u32_e32 v22, v26, v39
	v_add_u32_e32 v23, v37, v38
	v_sub_u32_e32 v24, v22, v37
	v_cmp_le_u32_e32 vcc, v23, v26
	v_cmp_le_u32_e64 s[2:3], v24, v27
	s_or_b64 s[2:3], vcc, s[2:3]
	s_and_saveexec_b64 s[10:11], s[2:3]
	s_cbranch_execz .LBB383_592
; %bb.502:
	v_cmp_ge_u32_e32 vcc, v23, v26
	v_cmp_lt_u32_e64 s[2:3], v23, v26
                                        ; implicit-def: $vgpr2_vgpr3
	s_and_saveexec_b64 s[4:5], s[2:3]
; %bb.503:
	v_lshl_add_u32 v2, v37, 3, v36
	ds_read_b64 v[2:3], v2
; %bb.504:
	s_or_b64 exec, exec, s[4:5]
	v_cmp_ge_u32_e64 s[12:13], v24, v27
	v_cmp_lt_u32_e64 s[2:3], v24, v27
                                        ; implicit-def: $vgpr4_vgpr5
	s_and_saveexec_b64 s[4:5], s[2:3]
; %bb.505:
	v_lshl_add_u32 v4, v24, 3, v35
	ds_read_b64 v[4:5], v4
; %bb.506:
	s_or_b64 exec, exec, s[4:5]
	s_nor_b64 s[2:3], vcc, s[12:13]
	s_and_saveexec_b64 s[22:23], s[2:3]
	s_cbranch_execz .LBB383_515
; %bb.507:
	s_and_b64 vcc, exec, s[0:1]
	s_cbranch_vccnz .LBB383_513
; %bb.508:
	s_waitcnt lgkmcnt(0)
	v_mul_lo_u32 v8, v5, s36
	v_mul_lo_u32 v9, v4, s37
	v_mad_u64_u32 v[6:7], s[2:3], v4, s36, 0
	v_add3_u32 v7, v7, v9, v8
	v_mul_lo_u32 v10, v3, s36
	v_mul_lo_u32 v11, v2, s37
	v_mad_u64_u32 v[8:9], s[2:3], v2, s36, 0
	v_add3_u32 v9, v9, v11, v10
	v_lshl_add_u64 v[6:7], v[6:7], 2, s[38:39]
	v_lshl_add_u64 v[8:9], v[8:9], 2, s[38:39]
	s_mov_b64 s[24:25], 0
	s_mov_b64 s[30:31], s[36:37]
                                        ; implicit-def: $sgpr26_sgpr27
                                        ; implicit-def: $sgpr28_sgpr29
                                        ; implicit-def: $sgpr2_sgpr3
                                        ; implicit-def: $sgpr40_sgpr41
	s_branch .LBB383_510
.LBB383_509:                            ;   in Loop: Header=BB383_510 Depth=1
	s_or_b64 exec, exec, s[44:45]
	s_and_b64 s[4:5], exec, s[28:29]
	s_or_b64 s[24:25], s[4:5], s[24:25]
	s_andn2_b64 s[4:5], s[40:41], exec
	s_and_b64 s[40:41], s[42:43], exec
	s_or_b64 s[40:41], s[4:5], s[40:41]
	s_andn2_b64 s[4:5], s[26:27], exec
	s_and_b64 s[26:27], s[2:3], exec
	s_or_b64 s[26:27], s[4:5], s[26:27]
	s_andn2_b64 exec, exec, s[24:25]
	s_cbranch_execz .LBB383_512
.LBB383_510:                            ; =>This Inner Loop Header: Depth=1
	global_load_dword v10, v[6:7], off
	global_load_dword v11, v[8:9], off
	s_andn2_b64 s[44:45], s[2:3], exec
	s_or_b64 s[28:29], s[28:29], exec
	s_waitcnt vmcnt(0)
	v_cmp_le_i32_e64 s[2:3], v10, v11
	v_cmp_lt_i32_e32 vcc, v10, v11
	s_and_b64 s[2:3], s[2:3], s[40:41]
	s_or_b64 s[42:43], vcc, s[2:3]
	s_and_b64 s[2:3], s[42:43], exec
	v_cmp_eq_u32_e64 s[4:5], v10, v11
	s_or_b64 s[2:3], s[44:45], s[2:3]
	s_and_saveexec_b64 s[44:45], s[4:5]
	s_cbranch_execz .LBB383_509
; %bb.511:                              ;   in Loop: Header=BB383_510 Depth=1
	s_add_u32 s30, s30, -1
	s_addc_u32 s31, s31, -1
	s_cmp_eq_u64 s[30:31], 0
	s_cselect_b64 s[4:5], -1, 0
	s_andn2_b64 s[28:29], s[28:29], exec
	s_and_b64 s[4:5], s[4:5], exec
	v_lshl_add_u64 v[6:7], v[6:7], 0, 4
	v_lshl_add_u64 v[8:9], v[8:9], 0, 4
	s_andn2_b64 s[2:3], s[2:3], exec
	s_or_b64 s[28:29], s[28:29], s[4:5]
                                        ; implicit-def: $sgpr40_sgpr41
	s_branch .LBB383_509
.LBB383_512:
	s_or_b64 exec, exec, s[24:25]
	s_xor_b64 s[2:3], s[26:27], -1
	s_branch .LBB383_514
.LBB383_513:
	s_mov_b64 s[2:3], -1
.LBB383_514:
	s_andn2_b64 s[4:5], s[12:13], exec
	s_and_b64 s[2:3], s[2:3], exec
	s_or_b64 s[12:13], s[4:5], s[2:3]
.LBB383_515:
	s_or_b64 exec, exec, s[22:23]
	v_cndmask_b32_e64 v6, v24, v23, s[12:13]
	v_cndmask_b32_e64 v7, v27, v26, s[12:13]
	v_add_u32_e32 v8, 1, v6
	v_add_u32_e32 v6, -1, v7
	v_min_u32_e32 v6, v8, v6
	v_lshl_add_u32 v6, v6, 3, v35
	ds_read_b64 v[6:7], v6
	v_cndmask_b32_e64 v12, v8, v24, s[12:13]
	v_cndmask_b32_e64 v13, v23, v8, s[12:13]
	v_cmp_lt_u32_e32 vcc, v12, v27
	s_mov_b64 s[24:25], -1
	s_waitcnt lgkmcnt(0)
	v_cndmask_b32_e64 v14, v7, v5, s[12:13]
	v_cndmask_b32_e64 v15, v6, v4, s[12:13]
	;; [unrolled: 1-line block ×4, first 2 shown]
	s_mov_b64 s[22:23], -1
	s_and_saveexec_b64 s[26:27], vcc
	s_cbranch_execz .LBB383_526
; %bb.516:
	v_cmp_lt_u32_e32 vcc, v13, v26
	s_mov_b64 s[2:3], 0
	s_and_saveexec_b64 s[22:23], vcc
	s_cbranch_execz .LBB383_525
; %bb.517:
	s_and_b64 vcc, exec, s[0:1]
	s_cbranch_vccnz .LBB383_523
; %bb.518:
	v_mul_lo_u32 v8, v14, s36
	v_mul_lo_u32 v9, v15, s37
	v_mad_u64_u32 v[6:7], s[2:3], v15, s36, 0
	v_add3_u32 v7, v7, v9, v8
	v_mul_lo_u32 v10, v16, s36
	v_mul_lo_u32 v11, v22, s37
	v_mad_u64_u32 v[8:9], s[2:3], v22, s36, 0
	v_add3_u32 v9, v9, v11, v10
	v_lshl_add_u64 v[6:7], v[6:7], 2, s[38:39]
	v_lshl_add_u64 v[8:9], v[8:9], 2, s[38:39]
	s_mov_b64 s[28:29], 0
	s_mov_b64 s[42:43], s[36:37]
                                        ; implicit-def: $sgpr30_sgpr31
                                        ; implicit-def: $sgpr40_sgpr41
                                        ; implicit-def: $sgpr2_sgpr3
                                        ; implicit-def: $sgpr44_sgpr45
	s_branch .LBB383_520
.LBB383_519:                            ;   in Loop: Header=BB383_520 Depth=1
	s_or_b64 exec, exec, s[48:49]
	s_and_b64 s[4:5], exec, s[40:41]
	s_or_b64 s[28:29], s[4:5], s[28:29]
	s_andn2_b64 s[4:5], s[44:45], exec
	s_and_b64 s[44:45], s[46:47], exec
	s_or_b64 s[44:45], s[4:5], s[44:45]
	s_andn2_b64 s[4:5], s[30:31], exec
	s_and_b64 s[30:31], s[2:3], exec
	s_or_b64 s[30:31], s[4:5], s[30:31]
	s_andn2_b64 exec, exec, s[28:29]
	s_cbranch_execz .LBB383_522
.LBB383_520:                            ; =>This Inner Loop Header: Depth=1
	global_load_dword v10, v[6:7], off
	global_load_dword v11, v[8:9], off
	s_andn2_b64 s[48:49], s[2:3], exec
	s_or_b64 s[40:41], s[40:41], exec
	s_waitcnt vmcnt(0)
	v_cmp_le_i32_e64 s[2:3], v10, v11
	v_cmp_lt_i32_e32 vcc, v10, v11
	s_and_b64 s[2:3], s[2:3], s[44:45]
	s_or_b64 s[46:47], vcc, s[2:3]
	s_and_b64 s[2:3], s[46:47], exec
	v_cmp_eq_u32_e64 s[4:5], v10, v11
	s_or_b64 s[2:3], s[48:49], s[2:3]
	s_and_saveexec_b64 s[48:49], s[4:5]
	s_cbranch_execz .LBB383_519
; %bb.521:                              ;   in Loop: Header=BB383_520 Depth=1
	s_add_u32 s42, s42, -1
	s_addc_u32 s43, s43, -1
	s_cmp_eq_u64 s[42:43], 0
	s_cselect_b64 s[4:5], -1, 0
	s_andn2_b64 s[40:41], s[40:41], exec
	s_and_b64 s[4:5], s[4:5], exec
	v_lshl_add_u64 v[6:7], v[6:7], 0, 4
	v_lshl_add_u64 v[8:9], v[8:9], 0, 4
	s_andn2_b64 s[2:3], s[2:3], exec
	s_or_b64 s[40:41], s[40:41], s[4:5]
                                        ; implicit-def: $sgpr44_sgpr45
	s_branch .LBB383_519
.LBB383_522:
	s_or_b64 exec, exec, s[28:29]
	s_xor_b64 s[2:3], s[30:31], -1
	s_branch .LBB383_524
.LBB383_523:
	s_mov_b64 s[2:3], -1
.LBB383_524:
	s_and_b64 s[2:3], s[2:3], exec
.LBB383_525:
	s_or_b64 exec, exec, s[22:23]
	s_orn2_b64 s[22:23], s[2:3], exec
.LBB383_526:
	s_or_b64 exec, exec, s[26:27]
	v_cndmask_b32_e64 v6, v12, v13, s[22:23]
	v_cndmask_b32_e64 v7, v27, v26, s[22:23]
	v_add_u32_e32 v8, 1, v6
	v_add_u32_e32 v6, -1, v7
	v_min_u32_e32 v6, v8, v6
	v_lshl_add_u32 v6, v6, 3, v35
	ds_read_b64 v[6:7], v6
	v_cndmask_b32_e64 v36, v8, v12, s[22:23]
	v_cndmask_b32_e64 v37, v13, v8, s[22:23]
	v_cmp_lt_u32_e32 vcc, v36, v27
	s_waitcnt lgkmcnt(0)
	v_cndmask_b32_e64 v10, v7, v14, s[22:23]
	v_cndmask_b32_e64 v17, v6, v15, s[22:23]
	;; [unrolled: 1-line block ×4, first 2 shown]
	s_and_saveexec_b64 s[26:27], vcc
	s_cbranch_execz .LBB383_537
; %bb.527:
	v_cmp_lt_u32_e32 vcc, v37, v26
	s_mov_b64 s[2:3], 0
	s_and_saveexec_b64 s[24:25], vcc
	s_cbranch_execz .LBB383_536
; %bb.528:
	s_and_b64 vcc, exec, s[0:1]
	s_cbranch_vccnz .LBB383_534
; %bb.529:
	v_mul_lo_u32 v8, v10, s36
	v_mul_lo_u32 v9, v17, s37
	v_mad_u64_u32 v[6:7], s[2:3], v17, s36, 0
	v_add3_u32 v7, v7, v9, v8
	v_mul_lo_u32 v12, v11, s36
	v_mul_lo_u32 v13, v23, s37
	v_mad_u64_u32 v[8:9], s[2:3], v23, s36, 0
	v_add3_u32 v9, v9, v13, v12
	v_lshl_add_u64 v[6:7], v[6:7], 2, s[38:39]
	v_lshl_add_u64 v[8:9], v[8:9], 2, s[38:39]
	s_mov_b64 s[28:29], 0
	s_mov_b64 s[42:43], s[36:37]
                                        ; implicit-def: $sgpr30_sgpr31
                                        ; implicit-def: $sgpr40_sgpr41
                                        ; implicit-def: $sgpr2_sgpr3
                                        ; implicit-def: $sgpr44_sgpr45
	s_branch .LBB383_531
.LBB383_530:                            ;   in Loop: Header=BB383_531 Depth=1
	s_or_b64 exec, exec, s[48:49]
	s_and_b64 s[4:5], exec, s[40:41]
	s_or_b64 s[28:29], s[4:5], s[28:29]
	s_andn2_b64 s[4:5], s[44:45], exec
	s_and_b64 s[44:45], s[46:47], exec
	s_or_b64 s[44:45], s[4:5], s[44:45]
	s_andn2_b64 s[4:5], s[30:31], exec
	s_and_b64 s[30:31], s[2:3], exec
	s_or_b64 s[30:31], s[4:5], s[30:31]
	s_andn2_b64 exec, exec, s[28:29]
	s_cbranch_execz .LBB383_533
.LBB383_531:                            ; =>This Inner Loop Header: Depth=1
	global_load_dword v12, v[6:7], off
	global_load_dword v13, v[8:9], off
	s_andn2_b64 s[48:49], s[2:3], exec
	s_or_b64 s[40:41], s[40:41], exec
	s_waitcnt vmcnt(0)
	v_cmp_le_i32_e64 s[2:3], v12, v13
	v_cmp_lt_i32_e32 vcc, v12, v13
	s_and_b64 s[2:3], s[2:3], s[44:45]
	s_or_b64 s[46:47], vcc, s[2:3]
	s_and_b64 s[2:3], s[46:47], exec
	v_cmp_eq_u32_e64 s[4:5], v12, v13
	s_or_b64 s[2:3], s[48:49], s[2:3]
	s_and_saveexec_b64 s[48:49], s[4:5]
	s_cbranch_execz .LBB383_530
; %bb.532:                              ;   in Loop: Header=BB383_531 Depth=1
	s_add_u32 s42, s42, -1
	s_addc_u32 s43, s43, -1
	s_cmp_eq_u64 s[42:43], 0
	s_cselect_b64 s[4:5], -1, 0
	s_andn2_b64 s[40:41], s[40:41], exec
	s_and_b64 s[4:5], s[4:5], exec
	v_lshl_add_u64 v[6:7], v[6:7], 0, 4
	v_lshl_add_u64 v[8:9], v[8:9], 0, 4
	s_andn2_b64 s[2:3], s[2:3], exec
	s_or_b64 s[40:41], s[40:41], s[4:5]
                                        ; implicit-def: $sgpr44_sgpr45
	s_branch .LBB383_530
.LBB383_533:
	s_or_b64 exec, exec, s[28:29]
	s_xor_b64 s[2:3], s[30:31], -1
	s_branch .LBB383_535
.LBB383_534:
	s_mov_b64 s[2:3], -1
.LBB383_535:
	s_and_b64 s[2:3], s[2:3], exec
.LBB383_536:
	s_or_b64 exec, exec, s[24:25]
	s_orn2_b64 s[24:25], s[2:3], exec
.LBB383_537:
	s_or_b64 exec, exec, s[26:27]
	v_cndmask_b32_e64 v6, v36, v37, s[24:25]
	v_cndmask_b32_e64 v7, v27, v26, s[24:25]
	v_add_u32_e32 v8, 1, v6
	v_add_u32_e32 v6, -1, v7
	v_min_u32_e32 v6, v8, v6
	v_lshl_add_u32 v6, v6, 3, v35
	ds_read_b64 v[6:7], v6
	v_cndmask_b32_e64 v40, v8, v36, s[24:25]
	v_cndmask_b32_e64 v41, v37, v8, s[24:25]
	v_cmp_lt_u32_e32 vcc, v40, v27
	s_mov_b64 s[28:29], -1
	s_waitcnt lgkmcnt(0)
	v_cndmask_b32_e64 v12, v7, v10, s[24:25]
	v_cndmask_b32_e64 v24, v6, v17, s[24:25]
	;; [unrolled: 1-line block ×4, first 2 shown]
	s_mov_b64 s[26:27], -1
	s_and_saveexec_b64 s[30:31], vcc
	s_cbranch_execz .LBB383_548
; %bb.538:
	v_cmp_lt_u32_e32 vcc, v41, v26
	s_mov_b64 s[2:3], 0
	s_and_saveexec_b64 s[26:27], vcc
	s_cbranch_execz .LBB383_547
; %bb.539:
	s_and_b64 vcc, exec, s[0:1]
	s_cbranch_vccnz .LBB383_545
; %bb.540:
	v_mul_lo_u32 v8, v12, s36
	v_mul_lo_u32 v9, v24, s37
	v_mad_u64_u32 v[6:7], s[2:3], v24, s36, 0
	v_add3_u32 v7, v7, v9, v8
	v_mul_lo_u32 v36, v13, s36
	v_mul_lo_u32 v37, v25, s37
	v_mad_u64_u32 v[8:9], s[2:3], v25, s36, 0
	v_add3_u32 v9, v9, v37, v36
	v_lshl_add_u64 v[6:7], v[6:7], 2, s[38:39]
	v_lshl_add_u64 v[8:9], v[8:9], 2, s[38:39]
	s_mov_b64 s[40:41], 0
	s_mov_b64 s[46:47], s[36:37]
                                        ; implicit-def: $sgpr42_sgpr43
                                        ; implicit-def: $sgpr44_sgpr45
                                        ; implicit-def: $sgpr2_sgpr3
                                        ; implicit-def: $sgpr48_sgpr49
	s_branch .LBB383_542
.LBB383_541:                            ;   in Loop: Header=BB383_542 Depth=1
	s_or_b64 exec, exec, s[52:53]
	s_and_b64 s[4:5], exec, s[44:45]
	s_or_b64 s[40:41], s[4:5], s[40:41]
	s_andn2_b64 s[4:5], s[48:49], exec
	s_and_b64 s[48:49], s[50:51], exec
	s_or_b64 s[48:49], s[4:5], s[48:49]
	s_andn2_b64 s[4:5], s[42:43], exec
	s_and_b64 s[42:43], s[2:3], exec
	s_or_b64 s[42:43], s[4:5], s[42:43]
	s_andn2_b64 exec, exec, s[40:41]
	s_cbranch_execz .LBB383_544
.LBB383_542:                            ; =>This Inner Loop Header: Depth=1
	global_load_dword v36, v[6:7], off
	global_load_dword v37, v[8:9], off
	s_andn2_b64 s[52:53], s[2:3], exec
	s_or_b64 s[44:45], s[44:45], exec
	s_waitcnt vmcnt(0)
	v_cmp_le_i32_e64 s[2:3], v36, v37
	v_cmp_lt_i32_e32 vcc, v36, v37
	s_and_b64 s[2:3], s[2:3], s[48:49]
	s_or_b64 s[50:51], vcc, s[2:3]
	s_and_b64 s[2:3], s[50:51], exec
	v_cmp_eq_u32_e64 s[4:5], v36, v37
	s_or_b64 s[2:3], s[52:53], s[2:3]
	s_and_saveexec_b64 s[52:53], s[4:5]
	s_cbranch_execz .LBB383_541
; %bb.543:                              ;   in Loop: Header=BB383_542 Depth=1
	s_add_u32 s46, s46, -1
	s_addc_u32 s47, s47, -1
	s_cmp_eq_u64 s[46:47], 0
	s_cselect_b64 s[4:5], -1, 0
	s_andn2_b64 s[44:45], s[44:45], exec
	s_and_b64 s[4:5], s[4:5], exec
	v_lshl_add_u64 v[6:7], v[6:7], 0, 4
	v_lshl_add_u64 v[8:9], v[8:9], 0, 4
	s_andn2_b64 s[2:3], s[2:3], exec
	s_or_b64 s[44:45], s[44:45], s[4:5]
                                        ; implicit-def: $sgpr48_sgpr49
	s_branch .LBB383_541
.LBB383_544:
	s_or_b64 exec, exec, s[40:41]
	s_xor_b64 s[2:3], s[42:43], -1
	s_branch .LBB383_546
.LBB383_545:
	s_mov_b64 s[2:3], -1
.LBB383_546:
	s_and_b64 s[2:3], s[2:3], exec
.LBB383_547:
	s_or_b64 exec, exec, s[26:27]
	s_orn2_b64 s[26:27], s[2:3], exec
.LBB383_548:
	s_or_b64 exec, exec, s[30:31]
	v_cndmask_b32_e64 v6, v40, v41, s[26:27]
	v_cndmask_b32_e64 v7, v27, v26, s[26:27]
	v_add_u32_e32 v8, 1, v6
	v_add_u32_e32 v6, -1, v7
	v_min_u32_e32 v6, v8, v6
	v_lshl_add_u32 v6, v6, 3, v35
	ds_read_b64 v[6:7], v6
	v_cndmask_b32_e64 v44, v8, v40, s[26:27]
	v_cndmask_b32_e64 v45, v41, v8, s[26:27]
	v_cmp_lt_u32_e32 vcc, v44, v27
	s_waitcnt lgkmcnt(0)
	v_cndmask_b32_e64 v36, v7, v12, s[26:27]
	v_cndmask_b32_e64 v37, v6, v24, s[26:27]
	;; [unrolled: 1-line block ×4, first 2 shown]
	s_and_saveexec_b64 s[30:31], vcc
	s_cbranch_execz .LBB383_559
; %bb.549:
	v_cmp_lt_u32_e32 vcc, v45, v26
	s_mov_b64 s[2:3], 0
	s_and_saveexec_b64 s[28:29], vcc
	s_cbranch_execz .LBB383_558
; %bb.550:
	s_and_b64 vcc, exec, s[0:1]
	s_cbranch_vccnz .LBB383_556
; %bb.551:
	v_mul_lo_u32 v8, v36, s36
	v_mul_lo_u32 v9, v37, s37
	v_mad_u64_u32 v[6:7], s[2:3], v37, s36, 0
	v_add3_u32 v7, v7, v9, v8
	v_mul_lo_u32 v40, v38, s36
	v_mul_lo_u32 v41, v39, s37
	v_mad_u64_u32 v[8:9], s[2:3], v39, s36, 0
	v_add3_u32 v9, v9, v41, v40
	v_lshl_add_u64 v[6:7], v[6:7], 2, s[38:39]
	v_lshl_add_u64 v[8:9], v[8:9], 2, s[38:39]
	s_mov_b64 s[40:41], 0
	s_mov_b64 s[46:47], s[36:37]
                                        ; implicit-def: $sgpr42_sgpr43
                                        ; implicit-def: $sgpr44_sgpr45
                                        ; implicit-def: $sgpr2_sgpr3
                                        ; implicit-def: $sgpr48_sgpr49
	s_branch .LBB383_553
.LBB383_552:                            ;   in Loop: Header=BB383_553 Depth=1
	s_or_b64 exec, exec, s[52:53]
	s_and_b64 s[4:5], exec, s[44:45]
	s_or_b64 s[40:41], s[4:5], s[40:41]
	s_andn2_b64 s[4:5], s[48:49], exec
	s_and_b64 s[48:49], s[50:51], exec
	s_or_b64 s[48:49], s[4:5], s[48:49]
	s_andn2_b64 s[4:5], s[42:43], exec
	s_and_b64 s[42:43], s[2:3], exec
	s_or_b64 s[42:43], s[4:5], s[42:43]
	s_andn2_b64 exec, exec, s[40:41]
	s_cbranch_execz .LBB383_555
.LBB383_553:                            ; =>This Inner Loop Header: Depth=1
	global_load_dword v40, v[6:7], off
	global_load_dword v41, v[8:9], off
	s_andn2_b64 s[52:53], s[2:3], exec
	s_or_b64 s[44:45], s[44:45], exec
	s_waitcnt vmcnt(0)
	v_cmp_le_i32_e64 s[2:3], v40, v41
	v_cmp_lt_i32_e32 vcc, v40, v41
	s_and_b64 s[2:3], s[2:3], s[48:49]
	s_or_b64 s[50:51], vcc, s[2:3]
	s_and_b64 s[2:3], s[50:51], exec
	v_cmp_eq_u32_e64 s[4:5], v40, v41
	s_or_b64 s[2:3], s[52:53], s[2:3]
	s_and_saveexec_b64 s[52:53], s[4:5]
	s_cbranch_execz .LBB383_552
; %bb.554:                              ;   in Loop: Header=BB383_553 Depth=1
	s_add_u32 s46, s46, -1
	s_addc_u32 s47, s47, -1
	s_cmp_eq_u64 s[46:47], 0
	s_cselect_b64 s[4:5], -1, 0
	s_andn2_b64 s[44:45], s[44:45], exec
	s_and_b64 s[4:5], s[4:5], exec
	v_lshl_add_u64 v[6:7], v[6:7], 0, 4
	v_lshl_add_u64 v[8:9], v[8:9], 0, 4
	s_andn2_b64 s[2:3], s[2:3], exec
	s_or_b64 s[44:45], s[44:45], s[4:5]
                                        ; implicit-def: $sgpr48_sgpr49
	s_branch .LBB383_552
.LBB383_555:
	s_or_b64 exec, exec, s[40:41]
	s_xor_b64 s[2:3], s[42:43], -1
	s_branch .LBB383_557
.LBB383_556:
	s_mov_b64 s[2:3], -1
.LBB383_557:
	s_and_b64 s[2:3], s[2:3], exec
.LBB383_558:
	s_or_b64 exec, exec, s[28:29]
	s_orn2_b64 s[28:29], s[2:3], exec
.LBB383_559:
	s_or_b64 exec, exec, s[30:31]
	v_cndmask_b32_e64 v6, v44, v45, s[28:29]
	v_cndmask_b32_e64 v7, v27, v26, s[28:29]
	v_add_u32_e32 v8, 1, v6
	v_add_u32_e32 v6, -1, v7
	v_min_u32_e32 v6, v8, v6
	v_lshl_add_u32 v6, v6, 3, v35
	ds_read_b64 v[6:7], v6
	v_cndmask_b32_e64 v46, v8, v44, s[28:29]
	v_cndmask_b32_e64 v50, v45, v8, s[28:29]
	v_cmp_lt_u32_e32 vcc, v46, v27
	s_mov_b64 s[30:31], -1
	s_waitcnt lgkmcnt(0)
	v_cndmask_b32_e64 v40, v7, v36, s[28:29]
	v_cndmask_b32_e64 v41, v6, v37, s[28:29]
	;; [unrolled: 1-line block ×4, first 2 shown]
	s_mov_b64 s[40:41], -1
	s_and_saveexec_b64 s[42:43], vcc
	s_cbranch_execz .LBB383_570
; %bb.560:
	v_cmp_lt_u32_e32 vcc, v50, v26
	s_mov_b64 s[2:3], 0
	s_and_saveexec_b64 s[40:41], vcc
	s_cbranch_execz .LBB383_569
; %bb.561:
	s_and_b64 vcc, exec, s[0:1]
	s_cbranch_vccnz .LBB383_567
; %bb.562:
	v_mul_lo_u32 v8, v40, s36
	v_mul_lo_u32 v9, v41, s37
	v_mad_u64_u32 v[6:7], s[2:3], v41, s36, 0
	v_add3_u32 v7, v7, v9, v8
	v_mul_lo_u32 v44, v42, s36
	v_mul_lo_u32 v45, v43, s37
	v_mad_u64_u32 v[8:9], s[2:3], v43, s36, 0
	v_add3_u32 v9, v9, v45, v44
	v_lshl_add_u64 v[6:7], v[6:7], 2, s[38:39]
	v_lshl_add_u64 v[8:9], v[8:9], 2, s[38:39]
	s_mov_b64 s[44:45], 0
	s_mov_b64 s[50:51], s[36:37]
                                        ; implicit-def: $sgpr46_sgpr47
                                        ; implicit-def: $sgpr48_sgpr49
                                        ; implicit-def: $sgpr2_sgpr3
                                        ; implicit-def: $sgpr52_sgpr53
	s_branch .LBB383_564
.LBB383_563:                            ;   in Loop: Header=BB383_564 Depth=1
	s_or_b64 exec, exec, s[56:57]
	s_and_b64 s[4:5], exec, s[48:49]
	s_or_b64 s[44:45], s[4:5], s[44:45]
	s_andn2_b64 s[4:5], s[52:53], exec
	s_and_b64 s[52:53], s[54:55], exec
	s_or_b64 s[52:53], s[4:5], s[52:53]
	s_andn2_b64 s[4:5], s[46:47], exec
	s_and_b64 s[46:47], s[2:3], exec
	s_or_b64 s[46:47], s[4:5], s[46:47]
	s_andn2_b64 exec, exec, s[44:45]
	s_cbranch_execz .LBB383_566
.LBB383_564:                            ; =>This Inner Loop Header: Depth=1
	global_load_dword v44, v[6:7], off
	global_load_dword v45, v[8:9], off
	s_andn2_b64 s[56:57], s[2:3], exec
	s_or_b64 s[48:49], s[48:49], exec
	s_waitcnt vmcnt(0)
	v_cmp_le_i32_e64 s[2:3], v44, v45
	v_cmp_lt_i32_e32 vcc, v44, v45
	s_and_b64 s[2:3], s[2:3], s[52:53]
	s_or_b64 s[54:55], vcc, s[2:3]
	s_and_b64 s[2:3], s[54:55], exec
	v_cmp_eq_u32_e64 s[4:5], v44, v45
	s_or_b64 s[2:3], s[56:57], s[2:3]
	s_and_saveexec_b64 s[56:57], s[4:5]
	s_cbranch_execz .LBB383_563
; %bb.565:                              ;   in Loop: Header=BB383_564 Depth=1
	s_add_u32 s50, s50, -1
	s_addc_u32 s51, s51, -1
	s_cmp_eq_u64 s[50:51], 0
	s_cselect_b64 s[4:5], -1, 0
	s_andn2_b64 s[48:49], s[48:49], exec
	s_and_b64 s[4:5], s[4:5], exec
	v_lshl_add_u64 v[6:7], v[6:7], 0, 4
	v_lshl_add_u64 v[8:9], v[8:9], 0, 4
	s_andn2_b64 s[2:3], s[2:3], exec
	s_or_b64 s[48:49], s[48:49], s[4:5]
                                        ; implicit-def: $sgpr52_sgpr53
	s_branch .LBB383_563
.LBB383_566:
	s_or_b64 exec, exec, s[44:45]
	s_xor_b64 s[2:3], s[46:47], -1
	s_branch .LBB383_568
.LBB383_567:
	s_mov_b64 s[2:3], -1
.LBB383_568:
	s_and_b64 s[2:3], s[2:3], exec
.LBB383_569:
	s_or_b64 exec, exec, s[40:41]
	s_orn2_b64 s[40:41], s[2:3], exec
.LBB383_570:
	s_or_b64 exec, exec, s[42:43]
	v_cndmask_b32_e64 v6, v46, v50, s[40:41]
	v_cndmask_b32_e64 v7, v27, v26, s[40:41]
	v_add_u32_e32 v8, 1, v6
	v_add_u32_e32 v6, -1, v7
	v_min_u32_e32 v6, v8, v6
	v_lshl_add_u32 v6, v6, 3, v35
	ds_read_b64 v[6:7], v6
	v_cndmask_b32_e64 v47, v8, v46, s[40:41]
	v_cndmask_b32_e64 v46, v50, v8, s[40:41]
	v_cmp_lt_u32_e32 vcc, v47, v27
	s_waitcnt lgkmcnt(0)
	v_cndmask_b32_e64 v44, v7, v40, s[40:41]
	v_cndmask_b32_e64 v45, v6, v41, s[40:41]
	v_cndmask_b32_e64 v48, v42, v7, s[40:41]
	v_cndmask_b32_e64 v49, v43, v6, s[40:41]
	s_and_saveexec_b64 s[42:43], vcc
	s_cbranch_execz .LBB383_581
; %bb.571:
	v_cmp_lt_u32_e32 vcc, v46, v26
	s_mov_b64 s[2:3], 0
	s_and_saveexec_b64 s[30:31], vcc
	s_cbranch_execz .LBB383_580
; %bb.572:
	s_and_b64 vcc, exec, s[0:1]
	s_cbranch_vccnz .LBB383_578
; %bb.573:
	v_mul_lo_u32 v8, v44, s36
	v_mul_lo_u32 v9, v45, s37
	v_mad_u64_u32 v[6:7], s[2:3], v45, s36, 0
	v_add3_u32 v7, v7, v9, v8
	v_mul_lo_u32 v50, v48, s36
	v_mul_lo_u32 v51, v49, s37
	v_mad_u64_u32 v[8:9], s[2:3], v49, s36, 0
	v_add3_u32 v9, v9, v51, v50
	v_lshl_add_u64 v[6:7], v[6:7], 2, s[38:39]
	v_lshl_add_u64 v[8:9], v[8:9], 2, s[38:39]
	s_mov_b64 s[44:45], 0
	s_mov_b64 s[50:51], s[36:37]
                                        ; implicit-def: $sgpr46_sgpr47
                                        ; implicit-def: $sgpr48_sgpr49
                                        ; implicit-def: $sgpr2_sgpr3
                                        ; implicit-def: $sgpr52_sgpr53
	s_branch .LBB383_575
.LBB383_574:                            ;   in Loop: Header=BB383_575 Depth=1
	s_or_b64 exec, exec, s[56:57]
	s_and_b64 s[4:5], exec, s[48:49]
	s_or_b64 s[44:45], s[4:5], s[44:45]
	s_andn2_b64 s[4:5], s[52:53], exec
	s_and_b64 s[52:53], s[54:55], exec
	s_or_b64 s[52:53], s[4:5], s[52:53]
	s_andn2_b64 s[4:5], s[46:47], exec
	s_and_b64 s[46:47], s[2:3], exec
	s_or_b64 s[46:47], s[4:5], s[46:47]
	s_andn2_b64 exec, exec, s[44:45]
	s_cbranch_execz .LBB383_577
.LBB383_575:                            ; =>This Inner Loop Header: Depth=1
	global_load_dword v50, v[6:7], off
	global_load_dword v51, v[8:9], off
	s_andn2_b64 s[56:57], s[2:3], exec
	s_or_b64 s[48:49], s[48:49], exec
	s_waitcnt vmcnt(0)
	v_cmp_le_i32_e64 s[2:3], v50, v51
	v_cmp_lt_i32_e32 vcc, v50, v51
	s_and_b64 s[2:3], s[2:3], s[52:53]
	s_or_b64 s[54:55], vcc, s[2:3]
	s_and_b64 s[2:3], s[54:55], exec
	v_cmp_eq_u32_e64 s[4:5], v50, v51
	s_or_b64 s[2:3], s[56:57], s[2:3]
	s_and_saveexec_b64 s[56:57], s[4:5]
	s_cbranch_execz .LBB383_574
; %bb.576:                              ;   in Loop: Header=BB383_575 Depth=1
	s_add_u32 s50, s50, -1
	s_addc_u32 s51, s51, -1
	s_cmp_eq_u64 s[50:51], 0
	s_cselect_b64 s[4:5], -1, 0
	s_andn2_b64 s[48:49], s[48:49], exec
	s_and_b64 s[4:5], s[4:5], exec
	v_lshl_add_u64 v[6:7], v[6:7], 0, 4
	v_lshl_add_u64 v[8:9], v[8:9], 0, 4
	s_andn2_b64 s[2:3], s[2:3], exec
	s_or_b64 s[48:49], s[48:49], s[4:5]
                                        ; implicit-def: $sgpr52_sgpr53
	s_branch .LBB383_574
.LBB383_577:
	s_or_b64 exec, exec, s[44:45]
	s_xor_b64 s[2:3], s[46:47], -1
	s_branch .LBB383_579
.LBB383_578:
	s_mov_b64 s[2:3], -1
.LBB383_579:
	s_and_b64 s[2:3], s[2:3], exec
.LBB383_580:
	s_or_b64 exec, exec, s[30:31]
	s_orn2_b64 s[30:31], s[2:3], exec
.LBB383_581:
	s_or_b64 exec, exec, s[42:43]
	v_cndmask_b32_e64 v11, v10, v11, s[24:25]
	v_cndmask_b32_e64 v10, v17, v23, s[24:25]
	;; [unrolled: 1-line block ×8, first 2 shown]
	v_add_u32_e32 v24, 1, v14
	v_add_u32_e32 v14, -1, v15
	v_min_u32_e32 v14, v24, v14
	v_lshl_add_u32 v14, v14, 3, v35
	ds_read_b64 v[22:23], v14
	v_cndmask_b32_e64 v25, v24, v47, s[30:31]
	v_cndmask_b32_e64 v9, v40, v42, s[40:41]
	v_cndmask_b32_e64 v8, v41, v43, s[40:41]
	v_cndmask_b32_e64 v7, v36, v38, s[28:29]
	v_cndmask_b32_e64 v6, v37, v39, s[28:29]
	v_cndmask_b32_e64 v15, v5, v3, s[12:13]
	v_cndmask_b32_e64 v14, v4, v2, s[12:13]
	v_cndmask_b32_e64 v3, v44, v48, s[30:31]
	v_cndmask_b32_e64 v2, v45, v49, s[30:31]
	s_waitcnt lgkmcnt(0)
	v_cndmask_b32_e64 v5, v48, v23, s[30:31]
	v_cndmask_b32_e64 v4, v49, v22, s[30:31]
	v_cmp_lt_u32_e32 vcc, v25, v27
	s_and_saveexec_b64 s[12:13], vcc
	s_cbranch_execz .LBB383_591
; %bb.582:
	v_cndmask_b32_e64 v24, v46, v24, s[30:31]
	v_cndmask_b32_e64 v23, v23, v44, s[30:31]
	;; [unrolled: 1-line block ×3, first 2 shown]
	v_cmp_lt_u32_e32 vcc, v24, v26
	s_and_saveexec_b64 s[22:23], vcc
	s_cbranch_execz .LBB383_590
; %bb.583:
	s_and_b64 vcc, exec, s[0:1]
	s_cbranch_vccnz .LBB383_589
; %bb.584:
	v_mul_lo_u32 v26, v23, s36
	v_mul_lo_u32 v27, v22, s37
	v_mad_u64_u32 v[24:25], s[2:3], v22, s36, 0
	v_add3_u32 v25, v25, v27, v26
	v_mul_lo_u32 v35, v5, s36
	v_mul_lo_u32 v36, v4, s37
	v_mad_u64_u32 v[26:27], s[2:3], v4, s36, 0
	v_add3_u32 v27, v27, v36, v35
	v_lshl_add_u64 v[24:25], v[24:25], 2, s[38:39]
	v_lshl_add_u64 v[26:27], v[26:27], 2, s[38:39]
	s_mov_b64 s[24:25], 0
	s_mov_b64 s[30:31], s[36:37]
                                        ; implicit-def: $sgpr26_sgpr27
                                        ; implicit-def: $sgpr28_sgpr29
                                        ; implicit-def: $sgpr2_sgpr3
                                        ; implicit-def: $sgpr40_sgpr41
	s_branch .LBB383_586
.LBB383_585:                            ;   in Loop: Header=BB383_586 Depth=1
	s_or_b64 exec, exec, s[44:45]
	s_and_b64 s[4:5], exec, s[28:29]
	s_or_b64 s[24:25], s[4:5], s[24:25]
	s_andn2_b64 s[4:5], s[40:41], exec
	s_and_b64 s[40:41], s[42:43], exec
	s_or_b64 s[40:41], s[4:5], s[40:41]
	s_andn2_b64 s[4:5], s[26:27], exec
	s_and_b64 s[26:27], s[2:3], exec
	s_or_b64 s[26:27], s[4:5], s[26:27]
	s_andn2_b64 exec, exec, s[24:25]
	s_cbranch_execz .LBB383_588
.LBB383_586:                            ; =>This Inner Loop Header: Depth=1
	global_load_dword v35, v[24:25], off
	global_load_dword v36, v[26:27], off
	s_andn2_b64 s[44:45], s[2:3], exec
	s_or_b64 s[28:29], s[28:29], exec
	s_waitcnt vmcnt(0)
	v_cmp_le_i32_e64 s[2:3], v35, v36
	v_cmp_lt_i32_e32 vcc, v35, v36
	s_and_b64 s[2:3], s[2:3], s[40:41]
	s_or_b64 s[42:43], vcc, s[2:3]
	s_and_b64 s[2:3], s[42:43], exec
	v_cmp_eq_u32_e64 s[4:5], v35, v36
	s_or_b64 s[2:3], s[44:45], s[2:3]
	s_and_saveexec_b64 s[44:45], s[4:5]
	s_cbranch_execz .LBB383_585
; %bb.587:                              ;   in Loop: Header=BB383_586 Depth=1
	s_add_u32 s30, s30, -1
	s_addc_u32 s31, s31, -1
	s_cmp_eq_u64 s[30:31], 0
	s_cselect_b64 s[4:5], -1, 0
	s_andn2_b64 s[28:29], s[28:29], exec
	s_and_b64 s[4:5], s[4:5], exec
	v_lshl_add_u64 v[24:25], v[24:25], 0, 4
	v_lshl_add_u64 v[26:27], v[26:27], 0, 4
	s_andn2_b64 s[2:3], s[2:3], exec
	s_or_b64 s[28:29], s[28:29], s[4:5]
                                        ; implicit-def: $sgpr40_sgpr41
	s_branch .LBB383_585
.LBB383_588:
	s_or_b64 exec, exec, s[24:25]
	v_cndmask_b32_e64 v5, v5, v23, s[26:27]
	v_cndmask_b32_e64 v4, v4, v22, s[26:27]
.LBB383_589:
	v_mov_b64_e32 v[22:23], v[4:5]
.LBB383_590:
	s_or_b64 exec, exec, s[22:23]
	v_mov_b64_e32 v[4:5], v[22:23]
.LBB383_591:
	s_or_b64 exec, exec, s[12:13]
.LBB383_592:
	s_or_b64 exec, exec, s[10:11]
	v_lshlrev_b32_e32 v26, 3, v20
	s_lshl_b64 s[10:11], s[36:37], 2
	s_movk_i32 s9, 0x80
	; wave barrier
	s_waitcnt lgkmcnt(0)
	s_barrier
.LBB383_593:                            ; =>This Loop Header: Depth=1
                                        ;     Child Loop BB383_597 Depth 2
                                        ;       Child Loop BB383_600 Depth 3
                                        ;     Child Loop BB383_612 Depth 2
                                        ;     Child Loop BB383_622 Depth 2
	;; [unrolled: 1-line block ×8, first 2 shown]
	s_lshl_b32 s15, s9, 1
	s_sub_i32 s3, 0, s15
	v_and_b32_e32 v38, s3, v20
	v_add_u32_e32 v22, s9, v38
	v_min_u32_e32 v27, 0x800, v22
	s_add_i32 s2, s15, -1
	v_add_u32_e32 v22, s9, v27
	v_min_u32_e32 v35, 0x800, v22
	v_and_b32_e32 v22, s2, v20
	v_min_u32_e32 v39, 0x800, v22
	v_sub_u32_e32 v22, v27, v38
	v_sub_u32_e32 v23, v35, v27
	v_sub_u32_e64 v37, v39, v23 clamp
	v_min_u32_e32 v40, v39, v22
	v_lshlrev_b32_e32 v36, 3, v38
	v_cmp_lt_u32_e32 vcc, v37, v40
	ds_write_b128 v26, v[14:17]
	ds_write_b128 v26, v[10:13] offset:16
	ds_write_b128 v26, v[6:9] offset:32
	;; [unrolled: 1-line block ×3, first 2 shown]
	s_waitcnt lgkmcnt(0)
	s_barrier
	s_and_saveexec_b64 s[12:13], vcc
	s_cbranch_execz .LBB383_603
; %bb.594:                              ;   in Loop: Header=BB383_593 Depth=1
	v_lshlrev_b32_e32 v22, 3, v39
	v_lshl_add_u32 v41, v27, 3, v22
	s_mov_b64 s[22:23], 0
	s_branch .LBB383_597
.LBB383_595:                            ;   in Loop: Header=BB383_597 Depth=2
	s_or_b64 exec, exec, s[26:27]
.LBB383_596:                            ;   in Loop: Header=BB383_597 Depth=2
	v_add_u32_e32 v22, 1, v42
	v_cndmask_b32_e64 v40, v40, v42, s[24:25]
	v_cndmask_b32_e64 v37, v22, v37, s[24:25]
	v_cmp_ge_u32_e32 vcc, v37, v40
	s_or_b64 s[22:23], vcc, s[22:23]
	s_andn2_b64 exec, exec, s[22:23]
	s_cbranch_execz .LBB383_602
.LBB383_597:                            ;   Parent Loop BB383_593 Depth=1
                                        ; =>  This Loop Header: Depth=2
                                        ;       Child Loop BB383_600 Depth 3
	v_add_u32_e32 v22, v40, v37
	v_lshrrev_b32_e32 v42, 1, v22
	s_and_b64 vcc, exec, s[0:1]
	s_mov_b64 s[24:25], 0
	s_cbranch_vccnz .LBB383_596
; %bb.598:                              ;   in Loop: Header=BB383_597 Depth=2
	v_not_b32_e32 v22, v42
	v_lshl_add_u32 v22, v22, 3, v41
	ds_read_b64 v[22:23], v22
	v_lshl_add_u32 v43, v42, 3, v36
	ds_read_b64 v[44:45], v43
	v_mov_b64_e32 v[24:25], s[38:39]
	s_mov_b64 s[26:27], 0
	s_waitcnt lgkmcnt(1)
	v_mul_lo_u32 v43, s10, v23
	v_mul_lo_u32 v46, s11, v22
	v_mad_u64_u32 v[22:23], s[2:3], s10, v22, v[24:25]
	v_add3_u32 v23, v46, v23, v43
	s_waitcnt lgkmcnt(0)
	v_mul_lo_u32 v43, s10, v45
	v_mul_lo_u32 v45, s11, v44
	v_mad_u64_u32 v[24:25], s[2:3], s10, v44, v[24:25]
	v_add3_u32 v25, v45, v25, v43
	s_mov_b64 s[30:31], s[36:37]
                                        ; implicit-def: $sgpr24_sgpr25
                                        ; implicit-def: $sgpr28_sgpr29
                                        ; implicit-def: $sgpr2_sgpr3
                                        ; implicit-def: $sgpr40_sgpr41
	s_branch .LBB383_600
.LBB383_599:                            ;   in Loop: Header=BB383_600 Depth=3
	s_or_b64 exec, exec, s[44:45]
	s_and_b64 s[4:5], exec, s[28:29]
	s_or_b64 s[26:27], s[4:5], s[26:27]
	s_andn2_b64 s[4:5], s[40:41], exec
	s_and_b64 s[40:41], s[42:43], exec
	s_or_b64 s[40:41], s[4:5], s[40:41]
	s_andn2_b64 s[4:5], s[24:25], exec
	s_and_b64 s[24:25], s[2:3], exec
	s_or_b64 s[24:25], s[4:5], s[24:25]
	s_andn2_b64 exec, exec, s[26:27]
	s_cbranch_execz .LBB383_595
.LBB383_600:                            ;   Parent Loop BB383_593 Depth=1
                                        ;     Parent Loop BB383_597 Depth=2
                                        ; =>    This Inner Loop Header: Depth=3
	global_load_dword v43, v[22:23], off
	global_load_dword v44, v[24:25], off
	s_andn2_b64 s[44:45], s[2:3], exec
	s_or_b64 s[28:29], s[28:29], exec
	s_waitcnt vmcnt(0)
	v_cmp_le_i32_e64 s[2:3], v43, v44
	v_cmp_lt_i32_e32 vcc, v43, v44
	s_and_b64 s[2:3], s[2:3], s[40:41]
	s_or_b64 s[42:43], vcc, s[2:3]
	s_and_b64 s[2:3], s[42:43], exec
	v_cmp_eq_u32_e64 s[4:5], v43, v44
	s_or_b64 s[2:3], s[44:45], s[2:3]
	s_and_saveexec_b64 s[44:45], s[4:5]
	s_cbranch_execz .LBB383_599
; %bb.601:                              ;   in Loop: Header=BB383_600 Depth=3
	s_add_u32 s30, s30, -1
	s_addc_u32 s31, s31, -1
	s_cmp_eq_u64 s[30:31], 0
	s_cselect_b64 s[4:5], -1, 0
	s_andn2_b64 s[28:29], s[28:29], exec
	s_and_b64 s[4:5], s[4:5], exec
	v_lshl_add_u64 v[22:23], v[22:23], 0, 4
	v_lshl_add_u64 v[24:25], v[24:25], 0, 4
	s_andn2_b64 s[2:3], s[2:3], exec
	s_or_b64 s[28:29], s[28:29], s[4:5]
                                        ; implicit-def: $sgpr40_sgpr41
	s_branch .LBB383_599
.LBB383_602:                            ;   in Loop: Header=BB383_593 Depth=1
	s_or_b64 exec, exec, s[22:23]
.LBB383_603:                            ;   in Loop: Header=BB383_593 Depth=1
	s_or_b64 exec, exec, s[12:13]
	v_sub_u32_e32 v22, v39, v37
	v_add_u32_e32 v24, v37, v38
	v_add_u32_e32 v25, v22, v27
	v_cmp_le_u32_e32 vcc, v24, v27
	v_cmp_le_u32_e64 s[2:3], v25, v35
	s_or_b64 s[2:3], vcc, s[2:3]
	s_and_saveexec_b64 s[12:13], s[2:3]
	s_cbranch_execz .LBB383_694
; %bb.604:                              ;   in Loop: Header=BB383_593 Depth=1
	v_cmp_ge_u32_e32 vcc, v24, v27
	v_cmp_lt_u32_e64 s[2:3], v24, v27
                                        ; implicit-def: $vgpr2_vgpr3
	s_and_saveexec_b64 s[4:5], s[2:3]
; %bb.605:                              ;   in Loop: Header=BB383_593 Depth=1
	v_lshl_add_u32 v2, v37, 3, v36
	ds_read_b64 v[2:3], v2
; %bb.606:                              ;   in Loop: Header=BB383_593 Depth=1
	s_or_b64 exec, exec, s[4:5]
	v_cmp_ge_u32_e64 s[22:23], v25, v35
	v_cmp_lt_u32_e64 s[2:3], v25, v35
                                        ; implicit-def: $vgpr14_vgpr15
	s_and_saveexec_b64 s[4:5], s[2:3]
; %bb.607:                              ;   in Loop: Header=BB383_593 Depth=1
	v_lshlrev_b32_e32 v4, 3, v25
	ds_read_b64 v[14:15], v4
; %bb.608:                              ;   in Loop: Header=BB383_593 Depth=1
	s_or_b64 exec, exec, s[4:5]
	s_nor_b64 s[2:3], vcc, s[22:23]
	s_and_saveexec_b64 s[24:25], s[2:3]
	s_cbranch_execz .LBB383_617
; %bb.609:                              ;   in Loop: Header=BB383_593 Depth=1
	s_and_b64 vcc, exec, s[0:1]
	s_cbranch_vccnz .LBB383_615
; %bb.610:                              ;   in Loop: Header=BB383_593 Depth=1
	v_mov_b64_e32 v[6:7], s[38:39]
	s_waitcnt lgkmcnt(0)
	v_mad_u64_u32 v[4:5], s[2:3], s10, v14, v[6:7]
	v_mul_lo_u32 v8, s10, v15
	v_mul_lo_u32 v9, s11, v14
	v_add3_u32 v5, v9, v5, v8
	v_mad_u64_u32 v[6:7], s[2:3], s10, v2, v[6:7]
	v_mul_lo_u32 v8, s10, v3
	v_mul_lo_u32 v9, s11, v2
	v_add3_u32 v7, v9, v7, v8
	s_mov_b64 s[26:27], 0
	s_mov_b64 s[40:41], s[36:37]
                                        ; implicit-def: $sgpr28_sgpr29
                                        ; implicit-def: $sgpr30_sgpr31
                                        ; implicit-def: $sgpr2_sgpr3
                                        ; implicit-def: $sgpr42_sgpr43
	s_branch .LBB383_612
.LBB383_611:                            ;   in Loop: Header=BB383_612 Depth=2
	s_or_b64 exec, exec, s[46:47]
	s_and_b64 s[4:5], exec, s[30:31]
	s_or_b64 s[26:27], s[4:5], s[26:27]
	s_andn2_b64 s[4:5], s[42:43], exec
	s_and_b64 s[42:43], s[44:45], exec
	s_or_b64 s[42:43], s[4:5], s[42:43]
	s_andn2_b64 s[4:5], s[28:29], exec
	s_and_b64 s[28:29], s[2:3], exec
	s_or_b64 s[28:29], s[4:5], s[28:29]
	s_andn2_b64 exec, exec, s[26:27]
	s_cbranch_execz .LBB383_614
.LBB383_612:                            ;   Parent Loop BB383_593 Depth=1
                                        ; =>  This Inner Loop Header: Depth=2
	global_load_dword v8, v[4:5], off
	global_load_dword v9, v[6:7], off
	s_andn2_b64 s[46:47], s[2:3], exec
	s_or_b64 s[30:31], s[30:31], exec
	s_waitcnt vmcnt(0)
	v_cmp_le_i32_e64 s[2:3], v8, v9
	v_cmp_lt_i32_e32 vcc, v8, v9
	s_and_b64 s[2:3], s[2:3], s[42:43]
	s_or_b64 s[44:45], vcc, s[2:3]
	s_and_b64 s[2:3], s[44:45], exec
	v_cmp_eq_u32_e64 s[4:5], v8, v9
	s_or_b64 s[2:3], s[46:47], s[2:3]
	s_and_saveexec_b64 s[46:47], s[4:5]
	s_cbranch_execz .LBB383_611
; %bb.613:                              ;   in Loop: Header=BB383_612 Depth=2
	s_add_u32 s40, s40, -1
	s_addc_u32 s41, s41, -1
	s_cmp_eq_u64 s[40:41], 0
	s_cselect_b64 s[4:5], -1, 0
	s_andn2_b64 s[30:31], s[30:31], exec
	s_and_b64 s[4:5], s[4:5], exec
	v_lshl_add_u64 v[4:5], v[4:5], 0, 4
	v_lshl_add_u64 v[6:7], v[6:7], 0, 4
	s_andn2_b64 s[2:3], s[2:3], exec
	s_or_b64 s[30:31], s[30:31], s[4:5]
                                        ; implicit-def: $sgpr42_sgpr43
	s_branch .LBB383_611
.LBB383_614:                            ;   in Loop: Header=BB383_593 Depth=1
	s_or_b64 exec, exec, s[26:27]
	s_xor_b64 s[2:3], s[28:29], -1
	s_branch .LBB383_616
.LBB383_615:                            ;   in Loop: Header=BB383_593 Depth=1
	s_mov_b64 s[2:3], -1
.LBB383_616:                            ;   in Loop: Header=BB383_593 Depth=1
	s_andn2_b64 s[4:5], s[22:23], exec
	s_and_b64 s[2:3], s[2:3], exec
	s_or_b64 s[22:23], s[4:5], s[2:3]
.LBB383_617:                            ;   in Loop: Header=BB383_593 Depth=1
	s_or_b64 exec, exec, s[24:25]
	v_cndmask_b32_e64 v4, v25, v24, s[22:23]
	v_cndmask_b32_e64 v5, v35, v27, s[22:23]
	v_add_u32_e32 v6, 1, v4
	v_add_u32_e32 v4, -1, v5
	v_min_u32_e32 v4, v6, v4
	v_lshlrev_b32_e32 v4, 3, v4
	ds_read_b64 v[4:5], v4
	v_cndmask_b32_e64 v8, v6, v25, s[22:23]
	v_cndmask_b32_e64 v9, v24, v6, s[22:23]
	v_cmp_lt_u32_e32 vcc, v8, v35
	s_mov_b64 s[26:27], -1
	s_waitcnt lgkmcnt(0)
	v_cndmask_b32_e64 v16, v5, v15, s[22:23]
	v_cndmask_b32_e64 v22, v4, v14, s[22:23]
	;; [unrolled: 1-line block ×4, first 2 shown]
	s_mov_b64 s[24:25], -1
	s_and_saveexec_b64 s[28:29], vcc
	s_cbranch_execz .LBB383_628
; %bb.618:                              ;   in Loop: Header=BB383_593 Depth=1
	v_cmp_lt_u32_e32 vcc, v9, v27
	s_mov_b64 s[2:3], 0
	s_and_saveexec_b64 s[24:25], vcc
	s_cbranch_execz .LBB383_627
; %bb.619:                              ;   in Loop: Header=BB383_593 Depth=1
	s_and_b64 vcc, exec, s[0:1]
	s_cbranch_vccnz .LBB383_625
; %bb.620:                              ;   in Loop: Header=BB383_593 Depth=1
	v_mov_b64_e32 v[6:7], s[38:39]
	v_mad_u64_u32 v[4:5], s[2:3], s10, v22, v[6:7]
	v_mul_lo_u32 v10, s10, v16
	v_mul_lo_u32 v11, s11, v22
	v_add3_u32 v5, v11, v5, v10
	v_mad_u64_u32 v[6:7], s[2:3], s10, v23, v[6:7]
	v_mul_lo_u32 v10, s10, v17
	v_mul_lo_u32 v11, s11, v23
	v_add3_u32 v7, v11, v7, v10
	s_mov_b64 s[30:31], 0
	s_mov_b64 s[44:45], s[36:37]
                                        ; implicit-def: $sgpr40_sgpr41
                                        ; implicit-def: $sgpr42_sgpr43
                                        ; implicit-def: $sgpr2_sgpr3
                                        ; implicit-def: $sgpr46_sgpr47
	s_branch .LBB383_622
.LBB383_621:                            ;   in Loop: Header=BB383_622 Depth=2
	s_or_b64 exec, exec, s[50:51]
	s_and_b64 s[4:5], exec, s[42:43]
	s_or_b64 s[30:31], s[4:5], s[30:31]
	s_andn2_b64 s[4:5], s[46:47], exec
	s_and_b64 s[46:47], s[48:49], exec
	s_or_b64 s[46:47], s[4:5], s[46:47]
	s_andn2_b64 s[4:5], s[40:41], exec
	s_and_b64 s[40:41], s[2:3], exec
	s_or_b64 s[40:41], s[4:5], s[40:41]
	s_andn2_b64 exec, exec, s[30:31]
	s_cbranch_execz .LBB383_624
.LBB383_622:                            ;   Parent Loop BB383_593 Depth=1
                                        ; =>  This Inner Loop Header: Depth=2
	global_load_dword v10, v[4:5], off
	global_load_dword v11, v[6:7], off
	s_andn2_b64 s[50:51], s[2:3], exec
	s_or_b64 s[42:43], s[42:43], exec
	s_waitcnt vmcnt(0)
	v_cmp_le_i32_e64 s[2:3], v10, v11
	v_cmp_lt_i32_e32 vcc, v10, v11
	s_and_b64 s[2:3], s[2:3], s[46:47]
	s_or_b64 s[48:49], vcc, s[2:3]
	s_and_b64 s[2:3], s[48:49], exec
	v_cmp_eq_u32_e64 s[4:5], v10, v11
	s_or_b64 s[2:3], s[50:51], s[2:3]
	s_and_saveexec_b64 s[50:51], s[4:5]
	s_cbranch_execz .LBB383_621
; %bb.623:                              ;   in Loop: Header=BB383_622 Depth=2
	s_add_u32 s44, s44, -1
	s_addc_u32 s45, s45, -1
	s_cmp_eq_u64 s[44:45], 0
	s_cselect_b64 s[4:5], -1, 0
	s_andn2_b64 s[42:43], s[42:43], exec
	s_and_b64 s[4:5], s[4:5], exec
	v_lshl_add_u64 v[4:5], v[4:5], 0, 4
	v_lshl_add_u64 v[6:7], v[6:7], 0, 4
	s_andn2_b64 s[2:3], s[2:3], exec
	s_or_b64 s[42:43], s[42:43], s[4:5]
                                        ; implicit-def: $sgpr46_sgpr47
	s_branch .LBB383_621
.LBB383_624:                            ;   in Loop: Header=BB383_593 Depth=1
	s_or_b64 exec, exec, s[30:31]
	s_xor_b64 s[2:3], s[40:41], -1
	s_branch .LBB383_626
.LBB383_625:                            ;   in Loop: Header=BB383_593 Depth=1
	s_mov_b64 s[2:3], -1
.LBB383_626:                            ;   in Loop: Header=BB383_593 Depth=1
	s_and_b64 s[2:3], s[2:3], exec
.LBB383_627:                            ;   in Loop: Header=BB383_593 Depth=1
	s_or_b64 exec, exec, s[24:25]
	s_orn2_b64 s[24:25], s[2:3], exec
.LBB383_628:                            ;   in Loop: Header=BB383_593 Depth=1
	s_or_b64 exec, exec, s[28:29]
	v_cndmask_b32_e64 v4, v8, v9, s[24:25]
	v_cndmask_b32_e64 v5, v35, v27, s[24:25]
	v_add_u32_e32 v6, 1, v4
	v_add_u32_e32 v4, -1, v5
	v_min_u32_e32 v4, v6, v4
	v_lshlrev_b32_e32 v4, 3, v4
	ds_read_b64 v[4:5], v4
	v_cndmask_b32_e64 v8, v6, v8, s[24:25]
	v_cndmask_b32_e64 v9, v9, v6, s[24:25]
	v_cmp_lt_u32_e32 vcc, v8, v35
	s_waitcnt lgkmcnt(0)
	v_cndmask_b32_e64 v24, v5, v16, s[24:25]
	v_cndmask_b32_e64 v25, v4, v22, s[24:25]
	;; [unrolled: 1-line block ×4, first 2 shown]
	s_and_saveexec_b64 s[28:29], vcc
	s_cbranch_execz .LBB383_639
; %bb.629:                              ;   in Loop: Header=BB383_593 Depth=1
	v_cmp_lt_u32_e32 vcc, v9, v27
	s_mov_b64 s[2:3], 0
	s_and_saveexec_b64 s[26:27], vcc
	s_cbranch_execz .LBB383_638
; %bb.630:                              ;   in Loop: Header=BB383_593 Depth=1
	s_and_b64 vcc, exec, s[0:1]
	s_cbranch_vccnz .LBB383_636
; %bb.631:                              ;   in Loop: Header=BB383_593 Depth=1
	v_mov_b64_e32 v[6:7], s[38:39]
	v_mad_u64_u32 v[4:5], s[2:3], s10, v25, v[6:7]
	v_mul_lo_u32 v10, s10, v24
	v_mul_lo_u32 v11, s11, v25
	v_add3_u32 v5, v11, v5, v10
	v_mad_u64_u32 v[6:7], s[2:3], s10, v37, v[6:7]
	v_mul_lo_u32 v10, s10, v36
	v_mul_lo_u32 v11, s11, v37
	v_add3_u32 v7, v11, v7, v10
	s_mov_b64 s[30:31], 0
	s_mov_b64 s[44:45], s[36:37]
                                        ; implicit-def: $sgpr40_sgpr41
                                        ; implicit-def: $sgpr42_sgpr43
                                        ; implicit-def: $sgpr2_sgpr3
                                        ; implicit-def: $sgpr46_sgpr47
	s_branch .LBB383_633
.LBB383_632:                            ;   in Loop: Header=BB383_633 Depth=2
	s_or_b64 exec, exec, s[50:51]
	s_and_b64 s[4:5], exec, s[42:43]
	s_or_b64 s[30:31], s[4:5], s[30:31]
	s_andn2_b64 s[4:5], s[46:47], exec
	s_and_b64 s[46:47], s[48:49], exec
	s_or_b64 s[46:47], s[4:5], s[46:47]
	s_andn2_b64 s[4:5], s[40:41], exec
	s_and_b64 s[40:41], s[2:3], exec
	s_or_b64 s[40:41], s[4:5], s[40:41]
	s_andn2_b64 exec, exec, s[30:31]
	s_cbranch_execz .LBB383_635
.LBB383_633:                            ;   Parent Loop BB383_593 Depth=1
                                        ; =>  This Inner Loop Header: Depth=2
	global_load_dword v10, v[4:5], off
	global_load_dword v11, v[6:7], off
	s_andn2_b64 s[50:51], s[2:3], exec
	s_or_b64 s[42:43], s[42:43], exec
	s_waitcnt vmcnt(0)
	v_cmp_le_i32_e64 s[2:3], v10, v11
	v_cmp_lt_i32_e32 vcc, v10, v11
	s_and_b64 s[2:3], s[2:3], s[46:47]
	s_or_b64 s[48:49], vcc, s[2:3]
	s_and_b64 s[2:3], s[48:49], exec
	v_cmp_eq_u32_e64 s[4:5], v10, v11
	s_or_b64 s[2:3], s[50:51], s[2:3]
	s_and_saveexec_b64 s[50:51], s[4:5]
	s_cbranch_execz .LBB383_632
; %bb.634:                              ;   in Loop: Header=BB383_633 Depth=2
	s_add_u32 s44, s44, -1
	s_addc_u32 s45, s45, -1
	s_cmp_eq_u64 s[44:45], 0
	s_cselect_b64 s[4:5], -1, 0
	s_andn2_b64 s[42:43], s[42:43], exec
	s_and_b64 s[4:5], s[4:5], exec
	v_lshl_add_u64 v[4:5], v[4:5], 0, 4
	v_lshl_add_u64 v[6:7], v[6:7], 0, 4
	s_andn2_b64 s[2:3], s[2:3], exec
	s_or_b64 s[42:43], s[42:43], s[4:5]
                                        ; implicit-def: $sgpr46_sgpr47
	s_branch .LBB383_632
.LBB383_635:                            ;   in Loop: Header=BB383_593 Depth=1
	s_or_b64 exec, exec, s[30:31]
	s_xor_b64 s[2:3], s[40:41], -1
	s_branch .LBB383_637
.LBB383_636:                            ;   in Loop: Header=BB383_593 Depth=1
	s_mov_b64 s[2:3], -1
.LBB383_637:                            ;   in Loop: Header=BB383_593 Depth=1
	s_and_b64 s[2:3], s[2:3], exec
.LBB383_638:                            ;   in Loop: Header=BB383_593 Depth=1
	s_or_b64 exec, exec, s[26:27]
	s_orn2_b64 s[26:27], s[2:3], exec
.LBB383_639:                            ;   in Loop: Header=BB383_593 Depth=1
	s_or_b64 exec, exec, s[28:29]
	v_cndmask_b32_e64 v4, v8, v9, s[26:27]
	v_cndmask_b32_e64 v5, v35, v27, s[26:27]
	v_add_u32_e32 v6, 1, v4
	v_add_u32_e32 v4, -1, v5
	v_min_u32_e32 v4, v6, v4
	v_lshlrev_b32_e32 v4, 3, v4
	ds_read_b64 v[4:5], v4
	v_cndmask_b32_e64 v8, v6, v8, s[26:27]
	v_cndmask_b32_e64 v9, v9, v6, s[26:27]
	v_cmp_lt_u32_e32 vcc, v8, v35
	s_mov_b64 s[30:31], -1
	s_waitcnt lgkmcnt(0)
	v_cndmask_b32_e64 v12, v5, v24, s[26:27]
	v_cndmask_b32_e64 v38, v4, v25, s[26:27]
	;; [unrolled: 1-line block ×4, first 2 shown]
	s_mov_b64 s[28:29], -1
	s_and_saveexec_b64 s[40:41], vcc
	s_cbranch_execz .LBB383_650
; %bb.640:                              ;   in Loop: Header=BB383_593 Depth=1
	v_cmp_lt_u32_e32 vcc, v9, v27
	s_mov_b64 s[2:3], 0
	s_and_saveexec_b64 s[28:29], vcc
	s_cbranch_execz .LBB383_649
; %bb.641:                              ;   in Loop: Header=BB383_593 Depth=1
	s_and_b64 vcc, exec, s[0:1]
	s_cbranch_vccnz .LBB383_647
; %bb.642:                              ;   in Loop: Header=BB383_593 Depth=1
	v_mov_b64_e32 v[6:7], s[38:39]
	v_mad_u64_u32 v[4:5], s[2:3], s10, v38, v[6:7]
	v_mul_lo_u32 v10, s10, v12
	v_mul_lo_u32 v11, s11, v38
	v_add3_u32 v5, v11, v5, v10
	v_mad_u64_u32 v[6:7], s[2:3], s10, v39, v[6:7]
	v_mul_lo_u32 v10, s10, v13
	v_mul_lo_u32 v11, s11, v39
	v_add3_u32 v7, v11, v7, v10
	s_mov_b64 s[42:43], 0
	s_mov_b64 s[48:49], s[36:37]
                                        ; implicit-def: $sgpr44_sgpr45
                                        ; implicit-def: $sgpr46_sgpr47
                                        ; implicit-def: $sgpr2_sgpr3
                                        ; implicit-def: $sgpr50_sgpr51
	s_branch .LBB383_644
.LBB383_643:                            ;   in Loop: Header=BB383_644 Depth=2
	s_or_b64 exec, exec, s[54:55]
	s_and_b64 s[4:5], exec, s[46:47]
	s_or_b64 s[42:43], s[4:5], s[42:43]
	s_andn2_b64 s[4:5], s[50:51], exec
	s_and_b64 s[50:51], s[52:53], exec
	s_or_b64 s[50:51], s[4:5], s[50:51]
	s_andn2_b64 s[4:5], s[44:45], exec
	s_and_b64 s[44:45], s[2:3], exec
	s_or_b64 s[44:45], s[4:5], s[44:45]
	s_andn2_b64 exec, exec, s[42:43]
	s_cbranch_execz .LBB383_646
.LBB383_644:                            ;   Parent Loop BB383_593 Depth=1
                                        ; =>  This Inner Loop Header: Depth=2
	global_load_dword v10, v[4:5], off
	global_load_dword v11, v[6:7], off
	s_andn2_b64 s[54:55], s[2:3], exec
	s_or_b64 s[46:47], s[46:47], exec
	s_waitcnt vmcnt(0)
	v_cmp_le_i32_e64 s[2:3], v10, v11
	v_cmp_lt_i32_e32 vcc, v10, v11
	s_and_b64 s[2:3], s[2:3], s[50:51]
	s_or_b64 s[52:53], vcc, s[2:3]
	s_and_b64 s[2:3], s[52:53], exec
	v_cmp_eq_u32_e64 s[4:5], v10, v11
	s_or_b64 s[2:3], s[54:55], s[2:3]
	s_and_saveexec_b64 s[54:55], s[4:5]
	s_cbranch_execz .LBB383_643
; %bb.645:                              ;   in Loop: Header=BB383_644 Depth=2
	s_add_u32 s48, s48, -1
	s_addc_u32 s49, s49, -1
	s_cmp_eq_u64 s[48:49], 0
	s_cselect_b64 s[4:5], -1, 0
	s_andn2_b64 s[46:47], s[46:47], exec
	s_and_b64 s[4:5], s[4:5], exec
	v_lshl_add_u64 v[4:5], v[4:5], 0, 4
	v_lshl_add_u64 v[6:7], v[6:7], 0, 4
	s_andn2_b64 s[2:3], s[2:3], exec
	s_or_b64 s[46:47], s[46:47], s[4:5]
                                        ; implicit-def: $sgpr50_sgpr51
	s_branch .LBB383_643
.LBB383_646:                            ;   in Loop: Header=BB383_593 Depth=1
	s_or_b64 exec, exec, s[42:43]
	s_xor_b64 s[2:3], s[44:45], -1
	s_branch .LBB383_648
.LBB383_647:                            ;   in Loop: Header=BB383_593 Depth=1
	s_mov_b64 s[2:3], -1
.LBB383_648:                            ;   in Loop: Header=BB383_593 Depth=1
	s_and_b64 s[2:3], s[2:3], exec
.LBB383_649:                            ;   in Loop: Header=BB383_593 Depth=1
	s_or_b64 exec, exec, s[28:29]
	s_orn2_b64 s[28:29], s[2:3], exec
.LBB383_650:                            ;   in Loop: Header=BB383_593 Depth=1
	s_or_b64 exec, exec, s[40:41]
	v_cndmask_b32_e64 v4, v8, v9, s[28:29]
	v_cndmask_b32_e64 v5, v35, v27, s[28:29]
	v_add_u32_e32 v6, 1, v4
	v_add_u32_e32 v4, -1, v5
	v_min_u32_e32 v4, v6, v4
	v_lshlrev_b32_e32 v4, 3, v4
	ds_read_b64 v[4:5], v4
	v_cndmask_b32_e64 v8, v6, v8, s[28:29]
	v_cndmask_b32_e64 v9, v9, v6, s[28:29]
	v_cmp_lt_u32_e32 vcc, v8, v35
	s_waitcnt lgkmcnt(0)
	v_cndmask_b32_e64 v40, v5, v12, s[28:29]
	v_cndmask_b32_e64 v41, v4, v38, s[28:29]
	;; [unrolled: 1-line block ×4, first 2 shown]
	s_and_saveexec_b64 s[40:41], vcc
	s_cbranch_execz .LBB383_661
; %bb.651:                              ;   in Loop: Header=BB383_593 Depth=1
	v_cmp_lt_u32_e32 vcc, v9, v27
	s_mov_b64 s[2:3], 0
	s_and_saveexec_b64 s[30:31], vcc
	s_cbranch_execz .LBB383_660
; %bb.652:                              ;   in Loop: Header=BB383_593 Depth=1
	s_and_b64 vcc, exec, s[0:1]
	s_cbranch_vccnz .LBB383_658
; %bb.653:                              ;   in Loop: Header=BB383_593 Depth=1
	v_mov_b64_e32 v[6:7], s[38:39]
	v_mad_u64_u32 v[4:5], s[2:3], s10, v41, v[6:7]
	v_mul_lo_u32 v10, s10, v40
	v_mul_lo_u32 v11, s11, v41
	v_add3_u32 v5, v11, v5, v10
	v_mad_u64_u32 v[6:7], s[2:3], s10, v43, v[6:7]
	v_mul_lo_u32 v10, s10, v42
	v_mul_lo_u32 v11, s11, v43
	v_add3_u32 v7, v11, v7, v10
	s_mov_b64 s[42:43], 0
	s_mov_b64 s[48:49], s[36:37]
                                        ; implicit-def: $sgpr44_sgpr45
                                        ; implicit-def: $sgpr46_sgpr47
                                        ; implicit-def: $sgpr2_sgpr3
                                        ; implicit-def: $sgpr50_sgpr51
	s_branch .LBB383_655
.LBB383_654:                            ;   in Loop: Header=BB383_655 Depth=2
	s_or_b64 exec, exec, s[54:55]
	s_and_b64 s[4:5], exec, s[46:47]
	s_or_b64 s[42:43], s[4:5], s[42:43]
	s_andn2_b64 s[4:5], s[50:51], exec
	s_and_b64 s[50:51], s[52:53], exec
	s_or_b64 s[50:51], s[4:5], s[50:51]
	s_andn2_b64 s[4:5], s[44:45], exec
	s_and_b64 s[44:45], s[2:3], exec
	s_or_b64 s[44:45], s[4:5], s[44:45]
	s_andn2_b64 exec, exec, s[42:43]
	s_cbranch_execz .LBB383_657
.LBB383_655:                            ;   Parent Loop BB383_593 Depth=1
                                        ; =>  This Inner Loop Header: Depth=2
	global_load_dword v10, v[4:5], off
	global_load_dword v11, v[6:7], off
	s_andn2_b64 s[54:55], s[2:3], exec
	s_or_b64 s[46:47], s[46:47], exec
	s_waitcnt vmcnt(0)
	v_cmp_le_i32_e64 s[2:3], v10, v11
	v_cmp_lt_i32_e32 vcc, v10, v11
	s_and_b64 s[2:3], s[2:3], s[50:51]
	s_or_b64 s[52:53], vcc, s[2:3]
	s_and_b64 s[2:3], s[52:53], exec
	v_cmp_eq_u32_e64 s[4:5], v10, v11
	s_or_b64 s[2:3], s[54:55], s[2:3]
	s_and_saveexec_b64 s[54:55], s[4:5]
	s_cbranch_execz .LBB383_654
; %bb.656:                              ;   in Loop: Header=BB383_655 Depth=2
	s_add_u32 s48, s48, -1
	s_addc_u32 s49, s49, -1
	s_cmp_eq_u64 s[48:49], 0
	s_cselect_b64 s[4:5], -1, 0
	s_andn2_b64 s[46:47], s[46:47], exec
	s_and_b64 s[4:5], s[4:5], exec
	v_lshl_add_u64 v[4:5], v[4:5], 0, 4
	v_lshl_add_u64 v[6:7], v[6:7], 0, 4
	s_andn2_b64 s[2:3], s[2:3], exec
	s_or_b64 s[46:47], s[46:47], s[4:5]
                                        ; implicit-def: $sgpr50_sgpr51
	s_branch .LBB383_654
.LBB383_657:                            ;   in Loop: Header=BB383_593 Depth=1
	s_or_b64 exec, exec, s[42:43]
	s_xor_b64 s[2:3], s[44:45], -1
	s_branch .LBB383_659
.LBB383_658:                            ;   in Loop: Header=BB383_593 Depth=1
	s_mov_b64 s[2:3], -1
.LBB383_659:                            ;   in Loop: Header=BB383_593 Depth=1
	s_and_b64 s[2:3], s[2:3], exec
.LBB383_660:                            ;   in Loop: Header=BB383_593 Depth=1
	s_or_b64 exec, exec, s[30:31]
	s_orn2_b64 s[30:31], s[2:3], exec
.LBB383_661:                            ;   in Loop: Header=BB383_593 Depth=1
	s_or_b64 exec, exec, s[40:41]
	v_cndmask_b32_e64 v4, v8, v9, s[30:31]
	v_cndmask_b32_e64 v5, v35, v27, s[30:31]
	v_add_u32_e32 v6, 1, v4
	v_add_u32_e32 v4, -1, v5
	v_min_u32_e32 v4, v6, v4
	v_lshlrev_b32_e32 v4, 3, v4
	ds_read_b64 v[4:5], v4
	v_cndmask_b32_e64 v8, v6, v8, s[30:31]
	v_cndmask_b32_e64 v9, v9, v6, s[30:31]
	v_cmp_lt_u32_e32 vcc, v8, v35
	s_mov_b64 s[40:41], -1
	s_waitcnt lgkmcnt(0)
	v_cndmask_b32_e64 v44, v5, v40, s[30:31]
	v_cndmask_b32_e64 v45, v4, v41, s[30:31]
	v_cndmask_b32_e64 v46, v42, v5, s[30:31]
	v_cndmask_b32_e64 v47, v43, v4, s[30:31]
	s_mov_b64 s[42:43], -1
	s_and_saveexec_b64 s[44:45], vcc
	s_cbranch_execz .LBB383_672
; %bb.662:                              ;   in Loop: Header=BB383_593 Depth=1
	v_cmp_lt_u32_e32 vcc, v9, v27
	s_mov_b64 s[2:3], 0
	s_and_saveexec_b64 s[42:43], vcc
	s_cbranch_execz .LBB383_671
; %bb.663:                              ;   in Loop: Header=BB383_593 Depth=1
	s_and_b64 vcc, exec, s[0:1]
	s_cbranch_vccnz .LBB383_669
; %bb.664:                              ;   in Loop: Header=BB383_593 Depth=1
	v_mov_b64_e32 v[6:7], s[38:39]
	v_mad_u64_u32 v[4:5], s[2:3], s10, v45, v[6:7]
	v_mul_lo_u32 v10, s10, v44
	v_mul_lo_u32 v11, s11, v45
	v_add3_u32 v5, v11, v5, v10
	v_mad_u64_u32 v[6:7], s[2:3], s10, v47, v[6:7]
	v_mul_lo_u32 v10, s10, v46
	v_mul_lo_u32 v11, s11, v47
	v_add3_u32 v7, v11, v7, v10
	s_mov_b64 s[46:47], 0
	s_mov_b64 s[52:53], s[36:37]
                                        ; implicit-def: $sgpr48_sgpr49
                                        ; implicit-def: $sgpr50_sgpr51
                                        ; implicit-def: $sgpr2_sgpr3
                                        ; implicit-def: $sgpr54_sgpr55
	s_branch .LBB383_666
.LBB383_665:                            ;   in Loop: Header=BB383_666 Depth=2
	s_or_b64 exec, exec, s[58:59]
	s_and_b64 s[4:5], exec, s[50:51]
	s_or_b64 s[46:47], s[4:5], s[46:47]
	s_andn2_b64 s[4:5], s[54:55], exec
	s_and_b64 s[54:55], s[56:57], exec
	s_or_b64 s[54:55], s[4:5], s[54:55]
	s_andn2_b64 s[4:5], s[48:49], exec
	s_and_b64 s[48:49], s[2:3], exec
	s_or_b64 s[48:49], s[4:5], s[48:49]
	s_andn2_b64 exec, exec, s[46:47]
	s_cbranch_execz .LBB383_668
.LBB383_666:                            ;   Parent Loop BB383_593 Depth=1
                                        ; =>  This Inner Loop Header: Depth=2
	global_load_dword v10, v[4:5], off
	global_load_dword v11, v[6:7], off
	s_andn2_b64 s[58:59], s[2:3], exec
	s_or_b64 s[50:51], s[50:51], exec
	s_waitcnt vmcnt(0)
	v_cmp_le_i32_e64 s[2:3], v10, v11
	v_cmp_lt_i32_e32 vcc, v10, v11
	s_and_b64 s[2:3], s[2:3], s[54:55]
	s_or_b64 s[56:57], vcc, s[2:3]
	s_and_b64 s[2:3], s[56:57], exec
	v_cmp_eq_u32_e64 s[4:5], v10, v11
	s_or_b64 s[2:3], s[58:59], s[2:3]
	s_and_saveexec_b64 s[58:59], s[4:5]
	s_cbranch_execz .LBB383_665
; %bb.667:                              ;   in Loop: Header=BB383_666 Depth=2
	s_add_u32 s52, s52, -1
	s_addc_u32 s53, s53, -1
	s_cmp_eq_u64 s[52:53], 0
	s_cselect_b64 s[4:5], -1, 0
	s_andn2_b64 s[50:51], s[50:51], exec
	s_and_b64 s[4:5], s[4:5], exec
	v_lshl_add_u64 v[4:5], v[4:5], 0, 4
	v_lshl_add_u64 v[6:7], v[6:7], 0, 4
	s_andn2_b64 s[2:3], s[2:3], exec
	s_or_b64 s[50:51], s[50:51], s[4:5]
                                        ; implicit-def: $sgpr54_sgpr55
	s_branch .LBB383_665
.LBB383_668:                            ;   in Loop: Header=BB383_593 Depth=1
	s_or_b64 exec, exec, s[46:47]
	s_xor_b64 s[2:3], s[48:49], -1
	s_branch .LBB383_670
.LBB383_669:                            ;   in Loop: Header=BB383_593 Depth=1
	s_mov_b64 s[2:3], -1
.LBB383_670:                            ;   in Loop: Header=BB383_593 Depth=1
	s_and_b64 s[2:3], s[2:3], exec
.LBB383_671:                            ;   in Loop: Header=BB383_593 Depth=1
	s_or_b64 exec, exec, s[42:43]
	s_orn2_b64 s[42:43], s[2:3], exec
.LBB383_672:                            ;   in Loop: Header=BB383_593 Depth=1
	s_or_b64 exec, exec, s[44:45]
	v_cndmask_b32_e64 v4, v8, v9, s[42:43]
	v_cndmask_b32_e64 v5, v35, v27, s[42:43]
	v_add_u32_e32 v6, 1, v4
	v_add_u32_e32 v4, -1, v5
	v_min_u32_e32 v4, v6, v4
	v_lshlrev_b32_e32 v4, 3, v4
	ds_read_b64 v[4:5], v4
	v_cndmask_b32_e64 v10, v6, v8, s[42:43]
	v_cndmask_b32_e64 v8, v9, v6, s[42:43]
	v_cmp_lt_u32_e32 vcc, v10, v35
	s_waitcnt lgkmcnt(0)
	v_cndmask_b32_e64 v48, v5, v44, s[42:43]
	v_cndmask_b32_e64 v49, v4, v45, s[42:43]
	;; [unrolled: 1-line block ×4, first 2 shown]
	s_and_saveexec_b64 s[44:45], vcc
	s_cbranch_execz .LBB383_683
; %bb.673:                              ;   in Loop: Header=BB383_593 Depth=1
	v_cmp_lt_u32_e32 vcc, v8, v27
	s_mov_b64 s[2:3], 0
	s_and_saveexec_b64 s[40:41], vcc
	s_cbranch_execz .LBB383_682
; %bb.674:                              ;   in Loop: Header=BB383_593 Depth=1
	s_and_b64 vcc, exec, s[0:1]
	s_cbranch_vccnz .LBB383_680
; %bb.675:                              ;   in Loop: Header=BB383_593 Depth=1
	v_mov_b64_e32 v[6:7], s[38:39]
	v_mad_u64_u32 v[4:5], s[2:3], s10, v49, v[6:7]
	v_mul_lo_u32 v9, s10, v48
	v_mul_lo_u32 v11, s11, v49
	v_add3_u32 v5, v11, v5, v9
	v_mad_u64_u32 v[6:7], s[2:3], s10, v51, v[6:7]
	v_mul_lo_u32 v9, s10, v50
	v_mul_lo_u32 v11, s11, v51
	v_add3_u32 v7, v11, v7, v9
	s_mov_b64 s[46:47], 0
	s_mov_b64 s[52:53], s[36:37]
                                        ; implicit-def: $sgpr48_sgpr49
                                        ; implicit-def: $sgpr50_sgpr51
                                        ; implicit-def: $sgpr2_sgpr3
                                        ; implicit-def: $sgpr54_sgpr55
	s_branch .LBB383_677
.LBB383_676:                            ;   in Loop: Header=BB383_677 Depth=2
	s_or_b64 exec, exec, s[58:59]
	s_and_b64 s[4:5], exec, s[50:51]
	s_or_b64 s[46:47], s[4:5], s[46:47]
	s_andn2_b64 s[4:5], s[54:55], exec
	s_and_b64 s[54:55], s[56:57], exec
	s_or_b64 s[54:55], s[4:5], s[54:55]
	s_andn2_b64 s[4:5], s[48:49], exec
	s_and_b64 s[48:49], s[2:3], exec
	s_or_b64 s[48:49], s[4:5], s[48:49]
	s_andn2_b64 exec, exec, s[46:47]
	s_cbranch_execz .LBB383_679
.LBB383_677:                            ;   Parent Loop BB383_593 Depth=1
                                        ; =>  This Inner Loop Header: Depth=2
	global_load_dword v9, v[4:5], off
	global_load_dword v11, v[6:7], off
	s_andn2_b64 s[58:59], s[2:3], exec
	s_or_b64 s[50:51], s[50:51], exec
	s_waitcnt vmcnt(0)
	v_cmp_le_i32_e64 s[2:3], v9, v11
	v_cmp_lt_i32_e32 vcc, v9, v11
	s_and_b64 s[2:3], s[2:3], s[54:55]
	s_or_b64 s[56:57], vcc, s[2:3]
	s_and_b64 s[2:3], s[56:57], exec
	v_cmp_eq_u32_e64 s[4:5], v9, v11
	s_or_b64 s[2:3], s[58:59], s[2:3]
	s_and_saveexec_b64 s[58:59], s[4:5]
	s_cbranch_execz .LBB383_676
; %bb.678:                              ;   in Loop: Header=BB383_677 Depth=2
	s_add_u32 s52, s52, -1
	s_addc_u32 s53, s53, -1
	s_cmp_eq_u64 s[52:53], 0
	s_cselect_b64 s[4:5], -1, 0
	s_andn2_b64 s[50:51], s[50:51], exec
	s_and_b64 s[4:5], s[4:5], exec
	v_lshl_add_u64 v[4:5], v[4:5], 0, 4
	v_lshl_add_u64 v[6:7], v[6:7], 0, 4
	s_andn2_b64 s[2:3], s[2:3], exec
	s_or_b64 s[50:51], s[50:51], s[4:5]
                                        ; implicit-def: $sgpr54_sgpr55
	s_branch .LBB383_676
.LBB383_679:                            ;   in Loop: Header=BB383_593 Depth=1
	s_or_b64 exec, exec, s[46:47]
	s_xor_b64 s[2:3], s[48:49], -1
	s_branch .LBB383_681
.LBB383_680:                            ;   in Loop: Header=BB383_593 Depth=1
	s_mov_b64 s[2:3], -1
.LBB383_681:                            ;   in Loop: Header=BB383_593 Depth=1
	s_and_b64 s[2:3], s[2:3], exec
.LBB383_682:                            ;   in Loop: Header=BB383_593 Depth=1
	s_or_b64 exec, exec, s[40:41]
	s_orn2_b64 s[40:41], s[2:3], exec
.LBB383_683:                            ;   in Loop: Header=BB383_593 Depth=1
	s_or_b64 exec, exec, s[44:45]
	v_cndmask_b32_e64 v4, v10, v8, s[40:41]
	v_cndmask_b32_e64 v5, v35, v27, s[40:41]
	v_add_u32_e32 v9, 1, v4
	v_add_u32_e32 v4, -1, v5
	v_min_u32_e32 v4, v9, v4
	v_lshlrev_b32_e32 v4, 3, v4
	ds_read_b64 v[6:7], v4
	v_cndmask_b32_e64 v10, v9, v10, s[40:41]
	v_cmp_lt_u32_e32 vcc, v10, v35
	s_waitcnt lgkmcnt(0)
	v_cndmask_b32_e64 v5, v50, v7, s[40:41]
	v_cndmask_b32_e64 v4, v51, v6, s[40:41]
	s_and_saveexec_b64 s[44:45], vcc
	s_cbranch_execz .LBB383_693
; %bb.684:                              ;   in Loop: Header=BB383_593 Depth=1
	v_cndmask_b32_e64 v8, v8, v9, s[40:41]
	v_cndmask_b32_e64 v7, v7, v48, s[40:41]
	;; [unrolled: 1-line block ×3, first 2 shown]
	v_cmp_lt_u32_e32 vcc, v8, v27
	s_and_saveexec_b64 s[46:47], vcc
	s_cbranch_execz .LBB383_692
; %bb.685:                              ;   in Loop: Header=BB383_593 Depth=1
	s_and_b64 vcc, exec, s[0:1]
	s_cbranch_vccnz .LBB383_691
; %bb.686:                              ;   in Loop: Header=BB383_593 Depth=1
	v_mov_b64_e32 v[10:11], s[38:39]
	v_mad_u64_u32 v[8:9], s[2:3], s10, v6, v[10:11]
	v_mul_lo_u32 v27, s10, v7
	v_mul_lo_u32 v35, s11, v6
	v_add3_u32 v9, v35, v9, v27
	v_mad_u64_u32 v[10:11], s[2:3], s10, v4, v[10:11]
	v_mul_lo_u32 v27, s10, v5
	v_mul_lo_u32 v35, s11, v4
	v_add3_u32 v11, v35, v11, v27
	s_mov_b64 s[48:49], 0
	s_mov_b64 s[54:55], s[36:37]
                                        ; implicit-def: $sgpr50_sgpr51
                                        ; implicit-def: $sgpr52_sgpr53
                                        ; implicit-def: $sgpr2_sgpr3
                                        ; implicit-def: $sgpr56_sgpr57
	s_branch .LBB383_688
.LBB383_687:                            ;   in Loop: Header=BB383_688 Depth=2
	s_or_b64 exec, exec, s[60:61]
	s_and_b64 s[4:5], exec, s[52:53]
	s_or_b64 s[48:49], s[4:5], s[48:49]
	s_andn2_b64 s[4:5], s[56:57], exec
	s_and_b64 s[56:57], s[58:59], exec
	s_or_b64 s[56:57], s[4:5], s[56:57]
	s_andn2_b64 s[4:5], s[50:51], exec
	s_and_b64 s[50:51], s[2:3], exec
	s_or_b64 s[50:51], s[4:5], s[50:51]
	s_andn2_b64 exec, exec, s[48:49]
	s_cbranch_execz .LBB383_690
.LBB383_688:                            ;   Parent Loop BB383_593 Depth=1
                                        ; =>  This Inner Loop Header: Depth=2
	global_load_dword v27, v[8:9], off
	global_load_dword v35, v[10:11], off
	s_andn2_b64 s[60:61], s[2:3], exec
	s_or_b64 s[52:53], s[52:53], exec
	s_waitcnt vmcnt(0)
	v_cmp_le_i32_e64 s[2:3], v27, v35
	v_cmp_lt_i32_e32 vcc, v27, v35
	s_and_b64 s[2:3], s[2:3], s[56:57]
	s_or_b64 s[58:59], vcc, s[2:3]
	s_and_b64 s[2:3], s[58:59], exec
	v_cmp_eq_u32_e64 s[4:5], v27, v35
	s_or_b64 s[2:3], s[60:61], s[2:3]
	s_and_saveexec_b64 s[60:61], s[4:5]
	s_cbranch_execz .LBB383_687
; %bb.689:                              ;   in Loop: Header=BB383_688 Depth=2
	s_add_u32 s54, s54, -1
	s_addc_u32 s55, s55, -1
	s_cmp_eq_u64 s[54:55], 0
	s_cselect_b64 s[4:5], -1, 0
	s_andn2_b64 s[52:53], s[52:53], exec
	s_and_b64 s[4:5], s[4:5], exec
	v_lshl_add_u64 v[8:9], v[8:9], 0, 4
	v_lshl_add_u64 v[10:11], v[10:11], 0, 4
	s_andn2_b64 s[2:3], s[2:3], exec
	s_or_b64 s[52:53], s[52:53], s[4:5]
                                        ; implicit-def: $sgpr56_sgpr57
	s_branch .LBB383_687
.LBB383_690:                            ;   in Loop: Header=BB383_593 Depth=1
	s_or_b64 exec, exec, s[48:49]
	v_cndmask_b32_e64 v5, v5, v7, s[50:51]
	v_cndmask_b32_e64 v4, v4, v6, s[50:51]
.LBB383_691:                            ;   in Loop: Header=BB383_593 Depth=1
	v_mov_b64_e32 v[6:7], v[4:5]
.LBB383_692:                            ;   in Loop: Header=BB383_593 Depth=1
	s_or_b64 exec, exec, s[46:47]
	v_mov_b64_e32 v[4:5], v[6:7]
.LBB383_693:                            ;   in Loop: Header=BB383_593 Depth=1
	s_or_b64 exec, exec, s[44:45]
	v_cndmask_b32_e64 v9, v44, v46, s[42:43]
	v_cndmask_b32_e64 v8, v45, v47, s[42:43]
	;; [unrolled: 1-line block ×14, first 2 shown]
.LBB383_694:                            ;   in Loop: Header=BB383_593 Depth=1
	s_or_b64 exec, exec, s[12:13]
	s_cmpk_lt_u32 s9, 0x400
	s_barrier
	s_cbranch_scc0 .LBB383_696
; %bb.695:                              ;   in Loop: Header=BB383_593 Depth=1
	s_mov_b32 s9, s15
	s_branch .LBB383_593
.LBB383_696:
	s_barrier
	ds_write2_b64 v34, v[14:15], v[16:17] offset1:1
	ds_write2_b64 v34, v[10:11], v[12:13] offset0:2 offset1:3
	ds_write2_b64 v34, v[6:7], v[8:9] offset0:4 offset1:5
	;; [unrolled: 1-line block ×3, first 2 shown]
	s_waitcnt lgkmcnt(0)
	s_barrier
	ds_read_b64 v[2:3], v1
	ds_read_b64 v[4:5], v21 offset:2048
	ds_read_b64 v[6:7], v28 offset:4096
	;; [unrolled: 1-line block ×7, first 2 shown]
	v_mov_b32_e32 v21, 0
	v_lshl_add_u64 v[22:23], s[34:35], 0, v[20:21]
	s_movk_i32 s0, 0x1000
	s_waitcnt lgkmcnt(7)
	global_store_dwordx2 v20, v[2:3], s[34:35]
	s_waitcnt lgkmcnt(6)
	global_store_dwordx2 v20, v[4:5], s[34:35] offset:2048
	v_add_co_u32_e32 v2, vcc, s0, v22
	s_nop 1
	v_addc_co_u32_e32 v3, vcc, 0, v23, vcc
	s_waitcnt lgkmcnt(5)
	global_store_dwordx2 v[2:3], v[6:7], off
	s_waitcnt lgkmcnt(4)
	global_store_dwordx2 v[2:3], v[8:9], off offset:2048
	v_add_co_u32_e32 v2, vcc, 0x2000, v22
	s_mov_b64 s[40:41], -1
	s_nop 0
	v_addc_co_u32_e32 v3, vcc, 0, v23, vcc
	s_waitcnt lgkmcnt(3)
	global_store_dwordx2 v[2:3], v[10:11], off
	s_waitcnt lgkmcnt(2)
	global_store_dwordx2 v[2:3], v[12:13], off offset:2048
	v_add_co_u32_e32 v2, vcc, 0x3000, v22
	s_nop 1
	v_addc_co_u32_e32 v3, vcc, 0, v23, vcc
	s_waitcnt lgkmcnt(1)
	global_store_dwordx2 v[2:3], v[16:17], off
	s_branch .LBB383_1482
.LBB383_697:
	s_lshl_b64 s[0:1], s[6:7], 11
	s_sub_i32 s33, s8, s0
	v_cmp_gt_u32_e64 s[0:1], s33, v18
	v_lshlrev_b32_e32 v20, 3, v18
                                        ; implicit-def: $vgpr8_vgpr9
	s_and_saveexec_b64 s[2:3], s[0:1]
	s_cbranch_execz .LBB383_699
; %bb.698:
	global_load_dwordx2 v[8:9], v20, s[20:21]
.LBB383_699:
	s_or_b64 exec, exec, s[2:3]
	v_add_u32_e32 v1, 0x100, v18
	v_cmp_gt_u32_e64 s[2:3], s33, v1
                                        ; implicit-def: $vgpr10_vgpr11
	s_and_saveexec_b64 s[4:5], s[2:3]
	s_cbranch_execz .LBB383_701
; %bb.700:
	global_load_dwordx2 v[10:11], v20, s[20:21] offset:2048
.LBB383_701:
	s_or_b64 exec, exec, s[4:5]
	v_add_u32_e32 v2, 0x200, v18
	v_cmp_gt_u32_e64 s[4:5], s33, v2
                                        ; implicit-def: $vgpr12_vgpr13
	s_and_saveexec_b64 s[6:7], s[4:5]
	s_cbranch_execz .LBB383_703
; %bb.702:
	v_lshlrev_b32_e32 v3, 3, v2
	global_load_dwordx2 v[12:13], v3, s[20:21]
.LBB383_703:
	s_or_b64 exec, exec, s[6:7]
	v_add_u32_e32 v3, 0x300, v18
	v_cmp_gt_u32_e64 s[6:7], s33, v3
                                        ; implicit-def: $vgpr14_vgpr15
	s_and_saveexec_b64 s[8:9], s[6:7]
	s_cbranch_execz .LBB383_705
; %bb.704:
	v_lshlrev_b32_e32 v4, 3, v3
	s_waitcnt lgkmcnt(0)
	global_load_dwordx2 v[14:15], v4, s[20:21]
.LBB383_705:
	s_or_b64 exec, exec, s[8:9]
	v_or_b32_e32 v4, 0x400, v18
	v_cmp_gt_u32_e64 s[8:9], s33, v4
                                        ; implicit-def: $vgpr16_vgpr17
	s_and_saveexec_b64 s[10:11], s[8:9]
	s_cbranch_execz .LBB383_707
; %bb.706:
	v_lshlrev_b32_e32 v5, 3, v4
	global_load_dwordx2 v[16:17], v5, s[20:21]
.LBB383_707:
	s_or_b64 exec, exec, s[10:11]
	v_add_u32_e32 v5, 0x500, v18
	v_cmp_gt_u32_e64 s[10:11], s33, v5
                                        ; implicit-def: $vgpr22_vgpr23
	s_and_saveexec_b64 s[12:13], s[10:11]
	s_cbranch_execz .LBB383_709
; %bb.708:
	v_lshlrev_b32_e32 v6, 3, v5
	global_load_dwordx2 v[22:23], v6, s[20:21]
.LBB383_709:
	s_or_b64 exec, exec, s[12:13]
	v_add_u32_e32 v6, 0x600, v18
	v_cmp_gt_u32_e64 s[12:13], s33, v6
                                        ; implicit-def: $vgpr24_vgpr25
	s_and_saveexec_b64 s[22:23], s[12:13]
	s_cbranch_execz .LBB383_711
; %bb.710:
	v_lshlrev_b32_e32 v7, 3, v6
	global_load_dwordx2 v[24:25], v7, s[20:21]
.LBB383_711:
	s_or_b64 exec, exec, s[22:23]
	v_add_u32_e32 v7, 0x700, v18
	v_cmp_gt_u32_e64 s[40:41], s33, v7
                                        ; implicit-def: $vgpr32_vgpr33
	s_and_saveexec_b64 s[22:23], s[40:41]
	s_cbranch_execz .LBB383_713
; %bb.712:
	v_lshlrev_b32_e32 v19, 3, v7
	global_load_dwordx2 v[32:33], v19, s[20:21]
.LBB383_713:
	s_or_b64 exec, exec, s[22:23]
	v_lshrrev_b32_e32 v1, 2, v1
	v_and_b32_e32 v1, 0x1f8, v1
	v_add_u32_e32 v21, v1, v20
	v_lshrrev_b32_e32 v1, 2, v2
	v_and_b32_e32 v1, 0x1f8, v1
	v_add_u32_e32 v26, v1, v20
	;; [unrolled: 3-line block ×6, first 2 shown]
	v_lshrrev_b32_e32 v1, 2, v7
	v_and_b32_e32 v1, 0x3f8, v1
	v_lshrrev_b32_e32 v19, 2, v18
	v_add_u32_e32 v31, v1, v20
	v_lshlrev_b32_e32 v1, 1, v18
	v_and_b32_e32 v19, 0xf8, v19
	v_and_b32_e32 v1, 0x7f8, v1
	v_add_u32_e32 v19, v19, v20
	s_waitcnt vmcnt(0)
	ds_write_b64 v31, v[32:33] offset:14336
	v_lshl_add_u32 v32, v18, 6, v1
	ds_write_b64 v19, v[8:9]
	ds_write_b64 v21, v[10:11] offset:2048
	ds_write_b64 v26, v[12:13] offset:4096
	s_waitcnt lgkmcnt(4)
	ds_write_b64 v27, v[14:15] offset:6144
	ds_write_b64 v28, v[16:17] offset:8192
	;; [unrolled: 1-line block ×4, first 2 shown]
	s_waitcnt lgkmcnt(0)
	s_barrier
	ds_read2_b64 v[14:17], v32 offset1:1
	ds_read2_b64 v[10:13], v32 offset0:2 offset1:3
	ds_read2_b64 v[6:9], v32 offset0:4 offset1:5
	;; [unrolled: 1-line block ×3, first 2 shown]
	s_waitcnt lgkmcnt(0)
	s_barrier
	s_load_dword s15, s[16:17], 0xc
	v_mov_b32_e32 v1, 0
	v_bfe_u32 v22, v0, 10, 10
	v_bfe_u32 v0, v0, 20, 10
	v_cmp_gt_i64_e64 s[42:43], s[36:37], 0
	s_waitcnt lgkmcnt(0)
	s_lshr_b32 s19, s15, 16
	s_cmp_lt_u32 s14, s18
	s_cselect_b32 s14, 12, 18
	s_add_u32 s14, s16, s14
	s_addc_u32 s15, s17, 0
	global_load_ushort v1, v1, s[14:15]
	v_mad_u32_u24 v0, v0, s19, v22
	s_waitcnt vmcnt(0)
	v_mul_lo_u32 v0, v0, v1
	v_add_lshl_u32 v24, v0, v18, 3
	v_sub_u32_e64 v25, s33, v24 clamp
	v_cmp_lt_u32_e64 s[14:15], 1, v25
	s_and_saveexec_b64 s[20:21], s[14:15]
	s_cbranch_execz .LBB383_722
; %bb.714:
	s_andn2_b64 vcc, exec, s[42:43]
	s_cbranch_vccnz .LBB383_722
; %bb.715:
	v_mul_lo_u32 v22, v17, s36
	v_mul_lo_u32 v23, v16, s37
	v_mad_u64_u32 v[0:1], s[16:17], v16, s36, 0
	v_add3_u32 v1, v1, v23, v22
	v_mul_lo_u32 v33, v15, s36
	v_mul_lo_u32 v34, v14, s37
	v_mad_u64_u32 v[22:23], s[16:17], v14, s36, 0
	v_add3_u32 v23, v23, v34, v33
	v_lshl_add_u64 v[0:1], v[0:1], 2, s[38:39]
	v_lshl_add_u64 v[22:23], v[22:23], 2, s[38:39]
	s_mov_b64 s[24:25], 0
	s_mov_b64 s[46:47], s[36:37]
                                        ; implicit-def: $sgpr22_sgpr23
                                        ; implicit-def: $sgpr26_sgpr27
                                        ; implicit-def: $sgpr30_sgpr31
                                        ; implicit-def: $sgpr28_sgpr29
                                        ; implicit-def: $sgpr44_sgpr45
	s_branch .LBB383_717
.LBB383_716:                            ;   in Loop: Header=BB383_717 Depth=1
	s_or_b64 exec, exec, s[48:49]
	s_and_b64 s[16:17], s[16:17], s[44:45]
	s_or_b64 s[16:17], vcc, s[16:17]
	s_and_b64 s[18:19], exec, s[30:31]
	s_or_b64 s[24:25], s[18:19], s[24:25]
	s_andn2_b64 s[18:19], s[44:45], exec
	s_and_b64 s[16:17], s[16:17], exec
	s_or_b64 s[44:45], s[18:19], s[16:17]
	s_andn2_b64 s[18:19], s[26:27], exec
	s_and_b64 s[26:27], s[28:29], exec
	s_or_b64 s[26:27], s[18:19], s[26:27]
	s_andn2_b64 s[18:19], s[22:23], exec
	s_or_b64 s[22:23], s[18:19], s[16:17]
	s_andn2_b64 exec, exec, s[24:25]
	s_cbranch_execz .LBB383_719
.LBB383_717:                            ; =>This Inner Loop Header: Depth=1
	global_load_dword v33, v[0:1], off
	global_load_dword v34, v[22:23], off
	s_or_b64 s[28:29], s[28:29], exec
	s_or_b64 s[30:31], s[30:31], exec
	s_waitcnt vmcnt(0)
	v_cmp_lt_i32_e32 vcc, v33, v34
	v_cmp_le_i32_e64 s[16:17], v33, v34
	v_cmp_eq_u32_e64 s[18:19], v33, v34
	s_and_saveexec_b64 s[48:49], s[18:19]
	s_cbranch_execz .LBB383_716
; %bb.718:                              ;   in Loop: Header=BB383_717 Depth=1
	s_add_u32 s46, s46, -1
	s_addc_u32 s47, s47, -1
	s_cmp_eq_u64 s[46:47], 0
	s_cselect_b64 s[18:19], -1, 0
	s_andn2_b64 s[30:31], s[30:31], exec
	s_and_b64 s[18:19], s[18:19], exec
	v_lshl_add_u64 v[0:1], v[0:1], 0, 4
	v_lshl_add_u64 v[22:23], v[22:23], 0, 4
	s_andn2_b64 s[28:29], s[28:29], exec
	s_or_b64 s[30:31], s[30:31], s[18:19]
	s_branch .LBB383_716
.LBB383_719:
	s_or_b64 exec, exec, s[24:25]
	s_and_saveexec_b64 s[16:17], s[26:27]
	s_xor_b64 s[16:17], exec, s[16:17]
; %bb.720:
	v_cndmask_b32_e64 v1, v17, v15, s[22:23]
	v_cndmask_b32_e64 v0, v16, v14, s[22:23]
	;; [unrolled: 1-line block ×4, first 2 shown]
	v_mov_b64_e32 v[16:17], v[0:1]
; %bb.721:
	s_or_b64 exec, exec, s[16:17]
.LBB383_722:
	s_or_b64 exec, exec, s[20:21]
	v_cmp_lt_u32_e64 s[16:17], 3, v25
	s_and_saveexec_b64 s[22:23], s[16:17]
	s_cbranch_execz .LBB383_731
; %bb.723:
	s_andn2_b64 vcc, exec, s[42:43]
	s_cbranch_vccnz .LBB383_731
; %bb.724:
	v_mul_lo_u32 v22, v13, s36
	v_mul_lo_u32 v23, v12, s37
	v_mad_u64_u32 v[0:1], s[18:19], v12, s36, 0
	v_add3_u32 v1, v1, v23, v22
	v_mul_lo_u32 v33, v11, s36
	v_mul_lo_u32 v34, v10, s37
	v_mad_u64_u32 v[22:23], s[18:19], v10, s36, 0
	v_add3_u32 v23, v23, v34, v33
	v_lshl_add_u64 v[0:1], v[0:1], 2, s[38:39]
	v_lshl_add_u64 v[22:23], v[22:23], 2, s[38:39]
	s_mov_b64 s[26:27], 0
	s_mov_b64 s[48:49], s[36:37]
                                        ; implicit-def: $sgpr24_sgpr25
                                        ; implicit-def: $sgpr28_sgpr29
                                        ; implicit-def: $sgpr44_sgpr45
                                        ; implicit-def: $sgpr30_sgpr31
                                        ; implicit-def: $sgpr46_sgpr47
	s_branch .LBB383_726
.LBB383_725:                            ;   in Loop: Header=BB383_726 Depth=1
	s_or_b64 exec, exec, s[50:51]
	s_and_b64 s[18:19], s[18:19], s[46:47]
	s_or_b64 s[18:19], vcc, s[18:19]
	s_and_b64 s[20:21], exec, s[44:45]
	s_or_b64 s[26:27], s[20:21], s[26:27]
	s_andn2_b64 s[20:21], s[46:47], exec
	s_and_b64 s[18:19], s[18:19], exec
	s_or_b64 s[46:47], s[20:21], s[18:19]
	s_andn2_b64 s[20:21], s[28:29], exec
	s_and_b64 s[28:29], s[30:31], exec
	s_or_b64 s[28:29], s[20:21], s[28:29]
	s_andn2_b64 s[20:21], s[24:25], exec
	s_or_b64 s[24:25], s[20:21], s[18:19]
	s_andn2_b64 exec, exec, s[26:27]
	s_cbranch_execz .LBB383_728
.LBB383_726:                            ; =>This Inner Loop Header: Depth=1
	global_load_dword v33, v[0:1], off
	global_load_dword v34, v[22:23], off
	s_or_b64 s[30:31], s[30:31], exec
	s_or_b64 s[44:45], s[44:45], exec
	s_waitcnt vmcnt(0)
	v_cmp_lt_i32_e32 vcc, v33, v34
	v_cmp_le_i32_e64 s[18:19], v33, v34
	v_cmp_eq_u32_e64 s[20:21], v33, v34
	s_and_saveexec_b64 s[50:51], s[20:21]
	s_cbranch_execz .LBB383_725
; %bb.727:                              ;   in Loop: Header=BB383_726 Depth=1
	s_add_u32 s48, s48, -1
	s_addc_u32 s49, s49, -1
	s_cmp_eq_u64 s[48:49], 0
	s_cselect_b64 s[20:21], -1, 0
	s_andn2_b64 s[44:45], s[44:45], exec
	s_and_b64 s[20:21], s[20:21], exec
	v_lshl_add_u64 v[0:1], v[0:1], 0, 4
	v_lshl_add_u64 v[22:23], v[22:23], 0, 4
	s_andn2_b64 s[30:31], s[30:31], exec
	s_or_b64 s[44:45], s[44:45], s[20:21]
	s_branch .LBB383_725
.LBB383_728:
	s_or_b64 exec, exec, s[26:27]
	s_and_saveexec_b64 s[18:19], s[28:29]
	s_xor_b64 s[18:19], exec, s[18:19]
; %bb.729:
	v_cndmask_b32_e64 v1, v11, v13, s[24:25]
	v_cndmask_b32_e64 v0, v10, v12, s[24:25]
	;; [unrolled: 1-line block ×4, first 2 shown]
	v_mov_b64_e32 v[10:11], v[0:1]
; %bb.730:
	s_or_b64 exec, exec, s[18:19]
.LBB383_731:
	s_or_b64 exec, exec, s[22:23]
	v_cmp_lt_u32_e64 s[18:19], 5, v25
	s_and_saveexec_b64 s[24:25], s[18:19]
	s_cbranch_execz .LBB383_740
; %bb.732:
	s_andn2_b64 vcc, exec, s[42:43]
	s_cbranch_vccnz .LBB383_740
; %bb.733:
	v_mul_lo_u32 v22, v9, s36
	v_mul_lo_u32 v23, v8, s37
	v_mad_u64_u32 v[0:1], s[20:21], v8, s36, 0
	v_add3_u32 v1, v1, v23, v22
	v_mul_lo_u32 v33, v7, s36
	v_mul_lo_u32 v34, v6, s37
	v_mad_u64_u32 v[22:23], s[20:21], v6, s36, 0
	v_add3_u32 v23, v23, v34, v33
	v_lshl_add_u64 v[0:1], v[0:1], 2, s[38:39]
	v_lshl_add_u64 v[22:23], v[22:23], 2, s[38:39]
	s_mov_b64 s[28:29], 0
	s_mov_b64 s[50:51], s[36:37]
                                        ; implicit-def: $sgpr26_sgpr27
                                        ; implicit-def: $sgpr30_sgpr31
                                        ; implicit-def: $sgpr46_sgpr47
                                        ; implicit-def: $sgpr44_sgpr45
                                        ; implicit-def: $sgpr48_sgpr49
	s_branch .LBB383_735
.LBB383_734:                            ;   in Loop: Header=BB383_735 Depth=1
	s_or_b64 exec, exec, s[52:53]
	s_and_b64 s[20:21], s[20:21], s[48:49]
	s_or_b64 s[20:21], vcc, s[20:21]
	s_and_b64 s[22:23], exec, s[46:47]
	s_or_b64 s[28:29], s[22:23], s[28:29]
	s_andn2_b64 s[22:23], s[48:49], exec
	s_and_b64 s[20:21], s[20:21], exec
	s_or_b64 s[48:49], s[22:23], s[20:21]
	s_andn2_b64 s[22:23], s[30:31], exec
	s_and_b64 s[30:31], s[44:45], exec
	s_or_b64 s[30:31], s[22:23], s[30:31]
	s_andn2_b64 s[22:23], s[26:27], exec
	s_or_b64 s[26:27], s[22:23], s[20:21]
	s_andn2_b64 exec, exec, s[28:29]
	s_cbranch_execz .LBB383_737
.LBB383_735:                            ; =>This Inner Loop Header: Depth=1
	global_load_dword v33, v[0:1], off
	global_load_dword v34, v[22:23], off
	s_or_b64 s[44:45], s[44:45], exec
	s_or_b64 s[46:47], s[46:47], exec
	s_waitcnt vmcnt(0)
	v_cmp_lt_i32_e32 vcc, v33, v34
	v_cmp_le_i32_e64 s[20:21], v33, v34
	v_cmp_eq_u32_e64 s[22:23], v33, v34
	s_and_saveexec_b64 s[52:53], s[22:23]
	s_cbranch_execz .LBB383_734
; %bb.736:                              ;   in Loop: Header=BB383_735 Depth=1
	s_add_u32 s50, s50, -1
	s_addc_u32 s51, s51, -1
	s_cmp_eq_u64 s[50:51], 0
	s_cselect_b64 s[22:23], -1, 0
	s_andn2_b64 s[46:47], s[46:47], exec
	s_and_b64 s[22:23], s[22:23], exec
	v_lshl_add_u64 v[0:1], v[0:1], 0, 4
	v_lshl_add_u64 v[22:23], v[22:23], 0, 4
	s_andn2_b64 s[44:45], s[44:45], exec
	s_or_b64 s[46:47], s[46:47], s[22:23]
	s_branch .LBB383_734
.LBB383_737:
	s_or_b64 exec, exec, s[28:29]
	s_and_saveexec_b64 s[20:21], s[30:31]
	s_xor_b64 s[20:21], exec, s[20:21]
; %bb.738:
	v_cndmask_b32_e64 v1, v7, v9, s[26:27]
	v_cndmask_b32_e64 v0, v6, v8, s[26:27]
	;; [unrolled: 1-line block ×4, first 2 shown]
	v_mov_b64_e32 v[6:7], v[0:1]
; %bb.739:
	s_or_b64 exec, exec, s[20:21]
.LBB383_740:
	s_or_b64 exec, exec, s[24:25]
	v_cmp_lt_u32_e64 s[20:21], 7, v25
	s_and_saveexec_b64 s[26:27], s[20:21]
	s_cbranch_execz .LBB383_749
; %bb.741:
	s_andn2_b64 vcc, exec, s[42:43]
	s_cbranch_vccnz .LBB383_749
; %bb.742:
	v_mul_lo_u32 v22, v5, s36
	v_mul_lo_u32 v23, v4, s37
	v_mad_u64_u32 v[0:1], s[22:23], v4, s36, 0
	v_add3_u32 v1, v1, v23, v22
	v_mul_lo_u32 v33, v3, s36
	v_mul_lo_u32 v34, v2, s37
	v_mad_u64_u32 v[22:23], s[22:23], v2, s36, 0
	v_add3_u32 v23, v23, v34, v33
	v_lshl_add_u64 v[0:1], v[0:1], 2, s[38:39]
	v_lshl_add_u64 v[22:23], v[22:23], 2, s[38:39]
	s_mov_b64 s[30:31], 0
	s_mov_b64 s[52:53], s[36:37]
                                        ; implicit-def: $sgpr28_sgpr29
                                        ; implicit-def: $sgpr44_sgpr45
                                        ; implicit-def: $sgpr48_sgpr49
                                        ; implicit-def: $sgpr46_sgpr47
                                        ; implicit-def: $sgpr50_sgpr51
	s_branch .LBB383_744
.LBB383_743:                            ;   in Loop: Header=BB383_744 Depth=1
	s_or_b64 exec, exec, s[54:55]
	s_and_b64 s[22:23], s[22:23], s[50:51]
	s_or_b64 s[22:23], vcc, s[22:23]
	s_and_b64 s[24:25], exec, s[48:49]
	s_or_b64 s[30:31], s[24:25], s[30:31]
	s_andn2_b64 s[24:25], s[50:51], exec
	s_and_b64 s[22:23], s[22:23], exec
	s_or_b64 s[50:51], s[24:25], s[22:23]
	s_andn2_b64 s[24:25], s[44:45], exec
	s_and_b64 s[44:45], s[46:47], exec
	s_or_b64 s[44:45], s[24:25], s[44:45]
	s_andn2_b64 s[24:25], s[28:29], exec
	s_or_b64 s[28:29], s[24:25], s[22:23]
	s_andn2_b64 exec, exec, s[30:31]
	s_cbranch_execz .LBB383_746
.LBB383_744:                            ; =>This Inner Loop Header: Depth=1
	global_load_dword v33, v[0:1], off
	global_load_dword v34, v[22:23], off
	s_or_b64 s[46:47], s[46:47], exec
	s_or_b64 s[48:49], s[48:49], exec
	s_waitcnt vmcnt(0)
	v_cmp_lt_i32_e32 vcc, v33, v34
	v_cmp_le_i32_e64 s[22:23], v33, v34
	v_cmp_eq_u32_e64 s[24:25], v33, v34
	s_and_saveexec_b64 s[54:55], s[24:25]
	s_cbranch_execz .LBB383_743
; %bb.745:                              ;   in Loop: Header=BB383_744 Depth=1
	s_add_u32 s52, s52, -1
	s_addc_u32 s53, s53, -1
	s_cmp_eq_u64 s[52:53], 0
	s_cselect_b64 s[24:25], -1, 0
	s_andn2_b64 s[48:49], s[48:49], exec
	s_and_b64 s[24:25], s[24:25], exec
	v_lshl_add_u64 v[0:1], v[0:1], 0, 4
	v_lshl_add_u64 v[22:23], v[22:23], 0, 4
	s_andn2_b64 s[46:47], s[46:47], exec
	s_or_b64 s[48:49], s[48:49], s[24:25]
	s_branch .LBB383_743
.LBB383_746:
	s_or_b64 exec, exec, s[30:31]
	s_and_saveexec_b64 s[22:23], s[44:45]
	s_xor_b64 s[22:23], exec, s[22:23]
; %bb.747:
	v_cndmask_b32_e64 v1, v3, v5, s[28:29]
	v_cndmask_b32_e64 v0, v2, v4, s[28:29]
	v_cndmask_b32_e64 v5, v5, v3, s[28:29]
	v_cndmask_b32_e64 v4, v4, v2, s[28:29]
	v_mov_b64_e32 v[2:3], v[0:1]
; %bb.748:
	s_or_b64 exec, exec, s[22:23]
.LBB383_749:
	s_or_b64 exec, exec, s[26:27]
	v_cmp_lt_u32_e64 s[22:23], 2, v25
	s_and_saveexec_b64 s[24:25], s[22:23]
	s_xor_b64 s[28:29], exec, s[24:25]
	s_cbranch_execz .LBB383_758
; %bb.750:
	s_andn2_b64 vcc, exec, s[42:43]
	s_cbranch_vccnz .LBB383_758
; %bb.751:
	v_mul_lo_u32 v22, v11, s36
	v_mul_lo_u32 v23, v10, s37
	v_mad_u64_u32 v[0:1], s[24:25], v10, s36, 0
	v_add3_u32 v1, v1, v23, v22
	v_mul_lo_u32 v33, v17, s36
	v_mul_lo_u32 v34, v16, s37
	v_mad_u64_u32 v[22:23], s[24:25], v16, s36, 0
	v_add3_u32 v23, v23, v34, v33
	v_lshl_add_u64 v[0:1], v[0:1], 2, s[38:39]
	v_lshl_add_u64 v[22:23], v[22:23], 2, s[38:39]
	s_mov_b64 s[44:45], 0
	s_mov_b64 s[54:55], s[36:37]
                                        ; implicit-def: $sgpr30_sgpr31
                                        ; implicit-def: $sgpr46_sgpr47
                                        ; implicit-def: $sgpr50_sgpr51
                                        ; implicit-def: $sgpr48_sgpr49
                                        ; implicit-def: $sgpr52_sgpr53
	s_branch .LBB383_753
.LBB383_752:                            ;   in Loop: Header=BB383_753 Depth=1
	s_or_b64 exec, exec, s[56:57]
	s_and_b64 s[24:25], s[24:25], s[52:53]
	s_or_b64 s[24:25], vcc, s[24:25]
	s_and_b64 s[26:27], exec, s[50:51]
	s_or_b64 s[44:45], s[26:27], s[44:45]
	s_andn2_b64 s[26:27], s[52:53], exec
	s_and_b64 s[24:25], s[24:25], exec
	s_or_b64 s[52:53], s[26:27], s[24:25]
	s_andn2_b64 s[26:27], s[46:47], exec
	s_and_b64 s[46:47], s[48:49], exec
	s_or_b64 s[46:47], s[26:27], s[46:47]
	s_andn2_b64 s[26:27], s[30:31], exec
	s_or_b64 s[30:31], s[26:27], s[24:25]
	s_andn2_b64 exec, exec, s[44:45]
	s_cbranch_execz .LBB383_755
.LBB383_753:                            ; =>This Inner Loop Header: Depth=1
	global_load_dword v33, v[0:1], off
	global_load_dword v34, v[22:23], off
	s_or_b64 s[48:49], s[48:49], exec
	s_or_b64 s[50:51], s[50:51], exec
	s_waitcnt vmcnt(0)
	v_cmp_lt_i32_e32 vcc, v33, v34
	v_cmp_le_i32_e64 s[24:25], v33, v34
	v_cmp_eq_u32_e64 s[26:27], v33, v34
	s_and_saveexec_b64 s[56:57], s[26:27]
	s_cbranch_execz .LBB383_752
; %bb.754:                              ;   in Loop: Header=BB383_753 Depth=1
	s_add_u32 s54, s54, -1
	s_addc_u32 s55, s55, -1
	s_cmp_eq_u64 s[54:55], 0
	s_cselect_b64 s[26:27], -1, 0
	s_andn2_b64 s[50:51], s[50:51], exec
	s_and_b64 s[26:27], s[26:27], exec
	v_lshl_add_u64 v[0:1], v[0:1], 0, 4
	v_lshl_add_u64 v[22:23], v[22:23], 0, 4
	s_andn2_b64 s[48:49], s[48:49], exec
	s_or_b64 s[50:51], s[50:51], s[26:27]
	s_branch .LBB383_752
.LBB383_755:
	s_or_b64 exec, exec, s[44:45]
	s_and_saveexec_b64 s[24:25], s[46:47]
	s_xor_b64 s[24:25], exec, s[24:25]
; %bb.756:
	v_cndmask_b32_e64 v1, v17, v11, s[30:31]
	v_cndmask_b32_e64 v0, v16, v10, s[30:31]
	;; [unrolled: 1-line block ×4, first 2 shown]
	v_mov_b64_e32 v[16:17], v[0:1]
; %bb.757:
	s_or_b64 exec, exec, s[24:25]
.LBB383_758:
	s_or_b64 exec, exec, s[28:29]
	v_cmp_lt_u32_e64 s[24:25], 4, v25
	s_and_saveexec_b64 s[30:31], s[24:25]
	s_cbranch_execz .LBB383_767
; %bb.759:
	s_andn2_b64 vcc, exec, s[42:43]
	s_cbranch_vccnz .LBB383_767
; %bb.760:
	v_mul_lo_u32 v22, v7, s36
	v_mul_lo_u32 v23, v6, s37
	v_mad_u64_u32 v[0:1], s[26:27], v6, s36, 0
	v_add3_u32 v1, v1, v23, v22
	v_mul_lo_u32 v33, v13, s36
	v_mul_lo_u32 v34, v12, s37
	v_mad_u64_u32 v[22:23], s[26:27], v12, s36, 0
	v_add3_u32 v23, v23, v34, v33
	v_lshl_add_u64 v[0:1], v[0:1], 2, s[38:39]
	v_lshl_add_u64 v[22:23], v[22:23], 2, s[38:39]
	s_mov_b64 s[46:47], 0
	s_mov_b64 s[56:57], s[36:37]
                                        ; implicit-def: $sgpr44_sgpr45
                                        ; implicit-def: $sgpr48_sgpr49
                                        ; implicit-def: $sgpr52_sgpr53
                                        ; implicit-def: $sgpr50_sgpr51
                                        ; implicit-def: $sgpr54_sgpr55
	s_branch .LBB383_762
.LBB383_761:                            ;   in Loop: Header=BB383_762 Depth=1
	s_or_b64 exec, exec, s[58:59]
	s_and_b64 s[26:27], s[26:27], s[54:55]
	s_or_b64 s[26:27], vcc, s[26:27]
	s_and_b64 s[28:29], exec, s[52:53]
	s_or_b64 s[46:47], s[28:29], s[46:47]
	s_andn2_b64 s[28:29], s[54:55], exec
	s_and_b64 s[26:27], s[26:27], exec
	s_or_b64 s[54:55], s[28:29], s[26:27]
	s_andn2_b64 s[28:29], s[48:49], exec
	s_and_b64 s[48:49], s[50:51], exec
	s_or_b64 s[48:49], s[28:29], s[48:49]
	s_andn2_b64 s[28:29], s[44:45], exec
	s_or_b64 s[44:45], s[28:29], s[26:27]
	s_andn2_b64 exec, exec, s[46:47]
	s_cbranch_execz .LBB383_764
.LBB383_762:                            ; =>This Inner Loop Header: Depth=1
	global_load_dword v33, v[0:1], off
	global_load_dword v34, v[22:23], off
	s_or_b64 s[50:51], s[50:51], exec
	s_or_b64 s[52:53], s[52:53], exec
	s_waitcnt vmcnt(0)
	v_cmp_lt_i32_e32 vcc, v33, v34
	v_cmp_le_i32_e64 s[26:27], v33, v34
	v_cmp_eq_u32_e64 s[28:29], v33, v34
	s_and_saveexec_b64 s[58:59], s[28:29]
	s_cbranch_execz .LBB383_761
; %bb.763:                              ;   in Loop: Header=BB383_762 Depth=1
	s_add_u32 s56, s56, -1
	s_addc_u32 s57, s57, -1
	s_cmp_eq_u64 s[56:57], 0
	s_cselect_b64 s[28:29], -1, 0
	s_andn2_b64 s[52:53], s[52:53], exec
	s_and_b64 s[28:29], s[28:29], exec
	v_lshl_add_u64 v[0:1], v[0:1], 0, 4
	v_lshl_add_u64 v[22:23], v[22:23], 0, 4
	s_andn2_b64 s[50:51], s[50:51], exec
	s_or_b64 s[52:53], s[52:53], s[28:29]
	s_branch .LBB383_761
.LBB383_764:
	s_or_b64 exec, exec, s[46:47]
	s_and_saveexec_b64 s[26:27], s[48:49]
	s_xor_b64 s[26:27], exec, s[26:27]
; %bb.765:
	v_cndmask_b32_e64 v1, v13, v7, s[44:45]
	v_cndmask_b32_e64 v0, v12, v6, s[44:45]
	;; [unrolled: 1-line block ×4, first 2 shown]
	v_mov_b64_e32 v[12:13], v[0:1]
; %bb.766:
	s_or_b64 exec, exec, s[26:27]
.LBB383_767:
	s_or_b64 exec, exec, s[30:31]
	v_cmp_lt_u32_e64 s[26:27], 6, v25
	s_and_saveexec_b64 s[44:45], s[26:27]
	s_cbranch_execz .LBB383_776
; %bb.768:
	s_andn2_b64 vcc, exec, s[42:43]
	s_cbranch_vccnz .LBB383_776
; %bb.769:
	v_mul_lo_u32 v22, v3, s36
	v_mul_lo_u32 v23, v2, s37
	v_mad_u64_u32 v[0:1], s[28:29], v2, s36, 0
	v_add3_u32 v1, v1, v23, v22
	v_mul_lo_u32 v25, v9, s36
	v_mul_lo_u32 v33, v8, s37
	v_mad_u64_u32 v[22:23], s[28:29], v8, s36, 0
	v_add3_u32 v23, v23, v33, v25
	v_lshl_add_u64 v[0:1], v[0:1], 2, s[38:39]
	v_lshl_add_u64 v[22:23], v[22:23], 2, s[38:39]
	s_mov_b64 s[48:49], 0
	s_mov_b64 s[58:59], s[36:37]
                                        ; implicit-def: $sgpr46_sgpr47
                                        ; implicit-def: $sgpr50_sgpr51
                                        ; implicit-def: $sgpr54_sgpr55
                                        ; implicit-def: $sgpr52_sgpr53
                                        ; implicit-def: $sgpr56_sgpr57
	s_branch .LBB383_771
.LBB383_770:                            ;   in Loop: Header=BB383_771 Depth=1
	s_or_b64 exec, exec, s[60:61]
	s_and_b64 s[28:29], s[28:29], s[56:57]
	s_or_b64 s[28:29], vcc, s[28:29]
	s_and_b64 s[30:31], exec, s[54:55]
	s_or_b64 s[48:49], s[30:31], s[48:49]
	s_andn2_b64 s[30:31], s[56:57], exec
	s_and_b64 s[28:29], s[28:29], exec
	s_or_b64 s[56:57], s[30:31], s[28:29]
	s_andn2_b64 s[30:31], s[50:51], exec
	s_and_b64 s[50:51], s[52:53], exec
	s_or_b64 s[50:51], s[30:31], s[50:51]
	s_andn2_b64 s[30:31], s[46:47], exec
	s_or_b64 s[46:47], s[30:31], s[28:29]
	s_andn2_b64 exec, exec, s[48:49]
	s_cbranch_execz .LBB383_773
.LBB383_771:                            ; =>This Inner Loop Header: Depth=1
	global_load_dword v25, v[0:1], off
	global_load_dword v33, v[22:23], off
	s_or_b64 s[52:53], s[52:53], exec
	s_or_b64 s[54:55], s[54:55], exec
	s_waitcnt vmcnt(0)
	v_cmp_lt_i32_e32 vcc, v25, v33
	v_cmp_le_i32_e64 s[28:29], v25, v33
	v_cmp_eq_u32_e64 s[30:31], v25, v33
	s_and_saveexec_b64 s[60:61], s[30:31]
	s_cbranch_execz .LBB383_770
; %bb.772:                              ;   in Loop: Header=BB383_771 Depth=1
	s_add_u32 s58, s58, -1
	s_addc_u32 s59, s59, -1
	s_cmp_eq_u64 s[58:59], 0
	s_cselect_b64 s[30:31], -1, 0
	s_andn2_b64 s[54:55], s[54:55], exec
	s_and_b64 s[30:31], s[30:31], exec
	v_lshl_add_u64 v[0:1], v[0:1], 0, 4
	v_lshl_add_u64 v[22:23], v[22:23], 0, 4
	s_andn2_b64 s[52:53], s[52:53], exec
	s_or_b64 s[54:55], s[54:55], s[30:31]
	s_branch .LBB383_770
.LBB383_773:
	s_or_b64 exec, exec, s[48:49]
	s_and_saveexec_b64 s[28:29], s[50:51]
	s_xor_b64 s[28:29], exec, s[28:29]
; %bb.774:
	v_cndmask_b32_e64 v1, v9, v3, s[46:47]
	v_cndmask_b32_e64 v0, v8, v2, s[46:47]
	;; [unrolled: 1-line block ×4, first 2 shown]
	v_mov_b64_e32 v[8:9], v[0:1]
; %bb.775:
	s_or_b64 exec, exec, s[28:29]
.LBB383_776:
	s_or_b64 exec, exec, s[44:45]
	s_and_saveexec_b64 s[44:45], s[14:15]
	s_cbranch_execz .LBB383_785
; %bb.777:
	s_andn2_b64 vcc, exec, s[42:43]
	s_cbranch_vccnz .LBB383_785
; %bb.778:
	v_mul_lo_u32 v22, v17, s36
	v_mul_lo_u32 v23, v16, s37
	v_mad_u64_u32 v[0:1], s[28:29], v16, s36, 0
	v_add3_u32 v1, v1, v23, v22
	v_mul_lo_u32 v25, v15, s36
	v_mul_lo_u32 v33, v14, s37
	v_mad_u64_u32 v[22:23], s[28:29], v14, s36, 0
	v_add3_u32 v23, v23, v33, v25
	v_lshl_add_u64 v[0:1], v[0:1], 2, s[38:39]
	v_lshl_add_u64 v[22:23], v[22:23], 2, s[38:39]
	s_mov_b64 s[48:49], 0
	s_mov_b64 s[58:59], s[36:37]
                                        ; implicit-def: $sgpr46_sgpr47
                                        ; implicit-def: $sgpr50_sgpr51
                                        ; implicit-def: $sgpr54_sgpr55
                                        ; implicit-def: $sgpr52_sgpr53
                                        ; implicit-def: $sgpr56_sgpr57
	s_branch .LBB383_780
.LBB383_779:                            ;   in Loop: Header=BB383_780 Depth=1
	s_or_b64 exec, exec, s[60:61]
	s_and_b64 s[28:29], s[28:29], s[56:57]
	s_or_b64 s[28:29], vcc, s[28:29]
	s_and_b64 s[30:31], exec, s[54:55]
	s_or_b64 s[48:49], s[30:31], s[48:49]
	s_andn2_b64 s[30:31], s[56:57], exec
	s_and_b64 s[28:29], s[28:29], exec
	s_or_b64 s[56:57], s[30:31], s[28:29]
	s_andn2_b64 s[30:31], s[50:51], exec
	s_and_b64 s[50:51], s[52:53], exec
	s_or_b64 s[50:51], s[30:31], s[50:51]
	s_andn2_b64 s[30:31], s[46:47], exec
	s_or_b64 s[46:47], s[30:31], s[28:29]
	s_andn2_b64 exec, exec, s[48:49]
	s_cbranch_execz .LBB383_782
.LBB383_780:                            ; =>This Inner Loop Header: Depth=1
	global_load_dword v25, v[0:1], off
	global_load_dword v33, v[22:23], off
	s_or_b64 s[52:53], s[52:53], exec
	s_or_b64 s[54:55], s[54:55], exec
	s_waitcnt vmcnt(0)
	v_cmp_lt_i32_e32 vcc, v25, v33
	v_cmp_le_i32_e64 s[28:29], v25, v33
	v_cmp_eq_u32_e64 s[30:31], v25, v33
	s_and_saveexec_b64 s[60:61], s[30:31]
	s_cbranch_execz .LBB383_779
; %bb.781:                              ;   in Loop: Header=BB383_780 Depth=1
	s_add_u32 s58, s58, -1
	s_addc_u32 s59, s59, -1
	s_cmp_eq_u64 s[58:59], 0
	s_cselect_b64 s[30:31], -1, 0
	s_andn2_b64 s[54:55], s[54:55], exec
	s_and_b64 s[30:31], s[30:31], exec
	v_lshl_add_u64 v[0:1], v[0:1], 0, 4
	v_lshl_add_u64 v[22:23], v[22:23], 0, 4
	s_andn2_b64 s[52:53], s[52:53], exec
	s_or_b64 s[54:55], s[54:55], s[30:31]
	s_branch .LBB383_779
.LBB383_782:
	s_or_b64 exec, exec, s[48:49]
	s_and_saveexec_b64 s[28:29], s[50:51]
	s_xor_b64 s[28:29], exec, s[28:29]
; %bb.783:
	v_cndmask_b32_e64 v1, v17, v15, s[46:47]
	v_cndmask_b32_e64 v0, v16, v14, s[46:47]
	;; [unrolled: 1-line block ×4, first 2 shown]
	v_mov_b64_e32 v[16:17], v[0:1]
; %bb.784:
	s_or_b64 exec, exec, s[28:29]
.LBB383_785:
	s_or_b64 exec, exec, s[44:45]
	s_and_saveexec_b64 s[44:45], s[16:17]
	s_cbranch_execz .LBB383_794
; %bb.786:
	s_andn2_b64 vcc, exec, s[42:43]
	s_cbranch_vccnz .LBB383_794
; %bb.787:
	v_mul_lo_u32 v22, v13, s36
	v_mul_lo_u32 v23, v12, s37
	v_mad_u64_u32 v[0:1], s[28:29], v12, s36, 0
	v_add3_u32 v1, v1, v23, v22
	v_mul_lo_u32 v25, v11, s36
	v_mul_lo_u32 v33, v10, s37
	v_mad_u64_u32 v[22:23], s[28:29], v10, s36, 0
	v_add3_u32 v23, v23, v33, v25
	v_lshl_add_u64 v[0:1], v[0:1], 2, s[38:39]
	v_lshl_add_u64 v[22:23], v[22:23], 2, s[38:39]
	s_mov_b64 s[48:49], 0
	s_mov_b64 s[58:59], s[36:37]
                                        ; implicit-def: $sgpr46_sgpr47
                                        ; implicit-def: $sgpr50_sgpr51
                                        ; implicit-def: $sgpr54_sgpr55
                                        ; implicit-def: $sgpr52_sgpr53
                                        ; implicit-def: $sgpr56_sgpr57
	s_branch .LBB383_789
.LBB383_788:                            ;   in Loop: Header=BB383_789 Depth=1
	s_or_b64 exec, exec, s[60:61]
	s_and_b64 s[28:29], s[28:29], s[56:57]
	s_or_b64 s[28:29], vcc, s[28:29]
	s_and_b64 s[30:31], exec, s[54:55]
	s_or_b64 s[48:49], s[30:31], s[48:49]
	s_andn2_b64 s[30:31], s[56:57], exec
	s_and_b64 s[28:29], s[28:29], exec
	s_or_b64 s[56:57], s[30:31], s[28:29]
	s_andn2_b64 s[30:31], s[50:51], exec
	s_and_b64 s[50:51], s[52:53], exec
	s_or_b64 s[50:51], s[30:31], s[50:51]
	s_andn2_b64 s[30:31], s[46:47], exec
	s_or_b64 s[46:47], s[30:31], s[28:29]
	s_andn2_b64 exec, exec, s[48:49]
	s_cbranch_execz .LBB383_791
.LBB383_789:                            ; =>This Inner Loop Header: Depth=1
	global_load_dword v25, v[0:1], off
	global_load_dword v33, v[22:23], off
	s_or_b64 s[52:53], s[52:53], exec
	s_or_b64 s[54:55], s[54:55], exec
	s_waitcnt vmcnt(0)
	v_cmp_lt_i32_e32 vcc, v25, v33
	v_cmp_le_i32_e64 s[28:29], v25, v33
	v_cmp_eq_u32_e64 s[30:31], v25, v33
	s_and_saveexec_b64 s[60:61], s[30:31]
	s_cbranch_execz .LBB383_788
; %bb.790:                              ;   in Loop: Header=BB383_789 Depth=1
	s_add_u32 s58, s58, -1
	s_addc_u32 s59, s59, -1
	s_cmp_eq_u64 s[58:59], 0
	s_cselect_b64 s[30:31], -1, 0
	s_andn2_b64 s[54:55], s[54:55], exec
	s_and_b64 s[30:31], s[30:31], exec
	v_lshl_add_u64 v[0:1], v[0:1], 0, 4
	v_lshl_add_u64 v[22:23], v[22:23], 0, 4
	s_andn2_b64 s[52:53], s[52:53], exec
	s_or_b64 s[54:55], s[54:55], s[30:31]
	s_branch .LBB383_788
.LBB383_791:
	s_or_b64 exec, exec, s[48:49]
	s_and_saveexec_b64 s[28:29], s[50:51]
	s_xor_b64 s[28:29], exec, s[28:29]
; %bb.792:
	v_cndmask_b32_e64 v1, v11, v13, s[46:47]
	v_cndmask_b32_e64 v0, v10, v12, s[46:47]
	v_cndmask_b32_e64 v13, v13, v11, s[46:47]
	v_cndmask_b32_e64 v12, v12, v10, s[46:47]
	v_mov_b64_e32 v[10:11], v[0:1]
; %bb.793:
	s_or_b64 exec, exec, s[28:29]
.LBB383_794:
	s_or_b64 exec, exec, s[44:45]
	s_and_saveexec_b64 s[44:45], s[18:19]
	s_cbranch_execz .LBB383_803
; %bb.795:
	s_andn2_b64 vcc, exec, s[42:43]
	s_cbranch_vccnz .LBB383_803
; %bb.796:
	v_mul_lo_u32 v22, v9, s36
	v_mul_lo_u32 v23, v8, s37
	v_mad_u64_u32 v[0:1], s[28:29], v8, s36, 0
	v_add3_u32 v1, v1, v23, v22
	v_mul_lo_u32 v25, v7, s36
	v_mul_lo_u32 v33, v6, s37
	v_mad_u64_u32 v[22:23], s[28:29], v6, s36, 0
	v_add3_u32 v23, v23, v33, v25
	v_lshl_add_u64 v[0:1], v[0:1], 2, s[38:39]
	v_lshl_add_u64 v[22:23], v[22:23], 2, s[38:39]
	s_mov_b64 s[48:49], 0
	s_mov_b64 s[58:59], s[36:37]
                                        ; implicit-def: $sgpr46_sgpr47
                                        ; implicit-def: $sgpr50_sgpr51
                                        ; implicit-def: $sgpr54_sgpr55
                                        ; implicit-def: $sgpr52_sgpr53
                                        ; implicit-def: $sgpr56_sgpr57
	s_branch .LBB383_798
.LBB383_797:                            ;   in Loop: Header=BB383_798 Depth=1
	s_or_b64 exec, exec, s[60:61]
	s_and_b64 s[28:29], s[28:29], s[56:57]
	s_or_b64 s[28:29], vcc, s[28:29]
	s_and_b64 s[30:31], exec, s[54:55]
	s_or_b64 s[48:49], s[30:31], s[48:49]
	s_andn2_b64 s[30:31], s[56:57], exec
	s_and_b64 s[28:29], s[28:29], exec
	s_or_b64 s[56:57], s[30:31], s[28:29]
	s_andn2_b64 s[30:31], s[50:51], exec
	s_and_b64 s[50:51], s[52:53], exec
	s_or_b64 s[50:51], s[30:31], s[50:51]
	s_andn2_b64 s[30:31], s[46:47], exec
	s_or_b64 s[46:47], s[30:31], s[28:29]
	s_andn2_b64 exec, exec, s[48:49]
	s_cbranch_execz .LBB383_800
.LBB383_798:                            ; =>This Inner Loop Header: Depth=1
	global_load_dword v25, v[0:1], off
	global_load_dword v33, v[22:23], off
	s_or_b64 s[52:53], s[52:53], exec
	s_or_b64 s[54:55], s[54:55], exec
	s_waitcnt vmcnt(0)
	v_cmp_lt_i32_e32 vcc, v25, v33
	v_cmp_le_i32_e64 s[28:29], v25, v33
	v_cmp_eq_u32_e64 s[30:31], v25, v33
	s_and_saveexec_b64 s[60:61], s[30:31]
	s_cbranch_execz .LBB383_797
; %bb.799:                              ;   in Loop: Header=BB383_798 Depth=1
	s_add_u32 s58, s58, -1
	s_addc_u32 s59, s59, -1
	s_cmp_eq_u64 s[58:59], 0
	s_cselect_b64 s[30:31], -1, 0
	s_andn2_b64 s[54:55], s[54:55], exec
	s_and_b64 s[30:31], s[30:31], exec
	v_lshl_add_u64 v[0:1], v[0:1], 0, 4
	v_lshl_add_u64 v[22:23], v[22:23], 0, 4
	s_andn2_b64 s[52:53], s[52:53], exec
	s_or_b64 s[54:55], s[54:55], s[30:31]
	s_branch .LBB383_797
.LBB383_800:
	s_or_b64 exec, exec, s[48:49]
	s_and_saveexec_b64 s[28:29], s[50:51]
	s_xor_b64 s[28:29], exec, s[28:29]
; %bb.801:
	v_cndmask_b32_e64 v1, v7, v9, s[46:47]
	v_cndmask_b32_e64 v0, v6, v8, s[46:47]
	;; [unrolled: 1-line block ×4, first 2 shown]
	v_mov_b64_e32 v[6:7], v[0:1]
; %bb.802:
	s_or_b64 exec, exec, s[28:29]
.LBB383_803:
	s_or_b64 exec, exec, s[44:45]
	s_and_saveexec_b64 s[44:45], s[20:21]
	s_cbranch_execz .LBB383_812
; %bb.804:
	s_andn2_b64 vcc, exec, s[42:43]
	s_cbranch_vccnz .LBB383_812
; %bb.805:
	v_mul_lo_u32 v22, v5, s36
	v_mul_lo_u32 v23, v4, s37
	v_mad_u64_u32 v[0:1], s[28:29], v4, s36, 0
	v_add3_u32 v1, v1, v23, v22
	v_mul_lo_u32 v25, v3, s36
	v_mul_lo_u32 v33, v2, s37
	v_mad_u64_u32 v[22:23], s[28:29], v2, s36, 0
	v_add3_u32 v23, v23, v33, v25
	v_lshl_add_u64 v[0:1], v[0:1], 2, s[38:39]
	v_lshl_add_u64 v[22:23], v[22:23], 2, s[38:39]
	s_mov_b64 s[48:49], 0
	s_mov_b64 s[58:59], s[36:37]
                                        ; implicit-def: $sgpr46_sgpr47
                                        ; implicit-def: $sgpr50_sgpr51
                                        ; implicit-def: $sgpr54_sgpr55
                                        ; implicit-def: $sgpr52_sgpr53
                                        ; implicit-def: $sgpr56_sgpr57
	s_branch .LBB383_807
.LBB383_806:                            ;   in Loop: Header=BB383_807 Depth=1
	s_or_b64 exec, exec, s[60:61]
	s_and_b64 s[28:29], s[28:29], s[56:57]
	s_or_b64 s[28:29], vcc, s[28:29]
	s_and_b64 s[30:31], exec, s[54:55]
	s_or_b64 s[48:49], s[30:31], s[48:49]
	s_andn2_b64 s[30:31], s[56:57], exec
	s_and_b64 s[28:29], s[28:29], exec
	s_or_b64 s[56:57], s[30:31], s[28:29]
	s_andn2_b64 s[30:31], s[50:51], exec
	s_and_b64 s[50:51], s[52:53], exec
	s_or_b64 s[50:51], s[30:31], s[50:51]
	s_andn2_b64 s[30:31], s[46:47], exec
	s_or_b64 s[46:47], s[30:31], s[28:29]
	s_andn2_b64 exec, exec, s[48:49]
	s_cbranch_execz .LBB383_809
.LBB383_807:                            ; =>This Inner Loop Header: Depth=1
	global_load_dword v25, v[0:1], off
	global_load_dword v33, v[22:23], off
	s_or_b64 s[52:53], s[52:53], exec
	s_or_b64 s[54:55], s[54:55], exec
	s_waitcnt vmcnt(0)
	v_cmp_lt_i32_e32 vcc, v25, v33
	v_cmp_le_i32_e64 s[28:29], v25, v33
	v_cmp_eq_u32_e64 s[30:31], v25, v33
	s_and_saveexec_b64 s[60:61], s[30:31]
	s_cbranch_execz .LBB383_806
; %bb.808:                              ;   in Loop: Header=BB383_807 Depth=1
	s_add_u32 s58, s58, -1
	s_addc_u32 s59, s59, -1
	s_cmp_eq_u64 s[58:59], 0
	s_cselect_b64 s[30:31], -1, 0
	s_andn2_b64 s[54:55], s[54:55], exec
	s_and_b64 s[30:31], s[30:31], exec
	v_lshl_add_u64 v[0:1], v[0:1], 0, 4
	v_lshl_add_u64 v[22:23], v[22:23], 0, 4
	s_andn2_b64 s[52:53], s[52:53], exec
	s_or_b64 s[54:55], s[54:55], s[30:31]
	s_branch .LBB383_806
.LBB383_809:
	s_or_b64 exec, exec, s[48:49]
	s_and_saveexec_b64 s[28:29], s[50:51]
	s_xor_b64 s[28:29], exec, s[28:29]
; %bb.810:
	v_cndmask_b32_e64 v1, v3, v5, s[46:47]
	v_cndmask_b32_e64 v0, v2, v4, s[46:47]
	;; [unrolled: 1-line block ×4, first 2 shown]
	v_mov_b64_e32 v[2:3], v[0:1]
; %bb.811:
	s_or_b64 exec, exec, s[28:29]
.LBB383_812:
	s_or_b64 exec, exec, s[44:45]
	s_and_saveexec_b64 s[44:45], s[22:23]
	s_cbranch_execz .LBB383_821
; %bb.813:
	s_andn2_b64 vcc, exec, s[42:43]
	s_cbranch_vccnz .LBB383_821
; %bb.814:
	v_mul_lo_u32 v22, v11, s36
	v_mul_lo_u32 v23, v10, s37
	v_mad_u64_u32 v[0:1], s[28:29], v10, s36, 0
	v_add3_u32 v1, v1, v23, v22
	v_mul_lo_u32 v25, v17, s36
	v_mul_lo_u32 v33, v16, s37
	v_mad_u64_u32 v[22:23], s[28:29], v16, s36, 0
	v_add3_u32 v23, v23, v33, v25
	v_lshl_add_u64 v[0:1], v[0:1], 2, s[38:39]
	v_lshl_add_u64 v[22:23], v[22:23], 2, s[38:39]
	s_mov_b64 s[48:49], 0
	s_mov_b64 s[58:59], s[36:37]
                                        ; implicit-def: $sgpr46_sgpr47
                                        ; implicit-def: $sgpr50_sgpr51
                                        ; implicit-def: $sgpr54_sgpr55
                                        ; implicit-def: $sgpr52_sgpr53
                                        ; implicit-def: $sgpr56_sgpr57
	s_branch .LBB383_816
.LBB383_815:                            ;   in Loop: Header=BB383_816 Depth=1
	s_or_b64 exec, exec, s[60:61]
	s_and_b64 s[28:29], s[28:29], s[56:57]
	s_or_b64 s[28:29], vcc, s[28:29]
	s_and_b64 s[30:31], exec, s[54:55]
	s_or_b64 s[48:49], s[30:31], s[48:49]
	s_andn2_b64 s[30:31], s[56:57], exec
	s_and_b64 s[28:29], s[28:29], exec
	s_or_b64 s[56:57], s[30:31], s[28:29]
	s_andn2_b64 s[30:31], s[50:51], exec
	s_and_b64 s[50:51], s[52:53], exec
	s_or_b64 s[50:51], s[30:31], s[50:51]
	s_andn2_b64 s[30:31], s[46:47], exec
	s_or_b64 s[46:47], s[30:31], s[28:29]
	s_andn2_b64 exec, exec, s[48:49]
	s_cbranch_execz .LBB383_818
.LBB383_816:                            ; =>This Inner Loop Header: Depth=1
	global_load_dword v25, v[0:1], off
	global_load_dword v33, v[22:23], off
	s_or_b64 s[52:53], s[52:53], exec
	s_or_b64 s[54:55], s[54:55], exec
	s_waitcnt vmcnt(0)
	v_cmp_lt_i32_e32 vcc, v25, v33
	v_cmp_le_i32_e64 s[28:29], v25, v33
	v_cmp_eq_u32_e64 s[30:31], v25, v33
	s_and_saveexec_b64 s[60:61], s[30:31]
	s_cbranch_execz .LBB383_815
; %bb.817:                              ;   in Loop: Header=BB383_816 Depth=1
	s_add_u32 s58, s58, -1
	s_addc_u32 s59, s59, -1
	s_cmp_eq_u64 s[58:59], 0
	s_cselect_b64 s[30:31], -1, 0
	s_andn2_b64 s[54:55], s[54:55], exec
	s_and_b64 s[30:31], s[30:31], exec
	v_lshl_add_u64 v[0:1], v[0:1], 0, 4
	v_lshl_add_u64 v[22:23], v[22:23], 0, 4
	s_andn2_b64 s[52:53], s[52:53], exec
	s_or_b64 s[54:55], s[54:55], s[30:31]
	s_branch .LBB383_815
.LBB383_818:
	s_or_b64 exec, exec, s[48:49]
	s_and_saveexec_b64 s[28:29], s[50:51]
	s_xor_b64 s[28:29], exec, s[28:29]
; %bb.819:
	v_cndmask_b32_e64 v1, v17, v11, s[46:47]
	v_cndmask_b32_e64 v0, v16, v10, s[46:47]
	;; [unrolled: 1-line block ×4, first 2 shown]
	v_mov_b64_e32 v[16:17], v[0:1]
; %bb.820:
	s_or_b64 exec, exec, s[28:29]
.LBB383_821:
	s_or_b64 exec, exec, s[44:45]
	s_and_saveexec_b64 s[44:45], s[24:25]
	s_cbranch_execz .LBB383_830
; %bb.822:
	s_andn2_b64 vcc, exec, s[42:43]
	s_cbranch_vccnz .LBB383_830
; %bb.823:
	v_mul_lo_u32 v22, v7, s36
	v_mul_lo_u32 v23, v6, s37
	v_mad_u64_u32 v[0:1], s[28:29], v6, s36, 0
	v_add3_u32 v1, v1, v23, v22
	v_mul_lo_u32 v25, v13, s36
	v_mul_lo_u32 v33, v12, s37
	v_mad_u64_u32 v[22:23], s[28:29], v12, s36, 0
	v_add3_u32 v23, v23, v33, v25
	v_lshl_add_u64 v[0:1], v[0:1], 2, s[38:39]
	v_lshl_add_u64 v[22:23], v[22:23], 2, s[38:39]
	s_mov_b64 s[48:49], 0
	s_mov_b64 s[58:59], s[36:37]
                                        ; implicit-def: $sgpr46_sgpr47
                                        ; implicit-def: $sgpr50_sgpr51
                                        ; implicit-def: $sgpr54_sgpr55
                                        ; implicit-def: $sgpr52_sgpr53
                                        ; implicit-def: $sgpr56_sgpr57
	s_branch .LBB383_825
.LBB383_824:                            ;   in Loop: Header=BB383_825 Depth=1
	s_or_b64 exec, exec, s[60:61]
	s_and_b64 s[28:29], s[28:29], s[56:57]
	s_or_b64 s[28:29], vcc, s[28:29]
	s_and_b64 s[30:31], exec, s[54:55]
	s_or_b64 s[48:49], s[30:31], s[48:49]
	s_andn2_b64 s[30:31], s[56:57], exec
	s_and_b64 s[28:29], s[28:29], exec
	s_or_b64 s[56:57], s[30:31], s[28:29]
	s_andn2_b64 s[30:31], s[50:51], exec
	s_and_b64 s[50:51], s[52:53], exec
	s_or_b64 s[50:51], s[30:31], s[50:51]
	s_andn2_b64 s[30:31], s[46:47], exec
	s_or_b64 s[46:47], s[30:31], s[28:29]
	s_andn2_b64 exec, exec, s[48:49]
	s_cbranch_execz .LBB383_827
.LBB383_825:                            ; =>This Inner Loop Header: Depth=1
	global_load_dword v25, v[0:1], off
	global_load_dword v33, v[22:23], off
	s_or_b64 s[52:53], s[52:53], exec
	s_or_b64 s[54:55], s[54:55], exec
	s_waitcnt vmcnt(0)
	v_cmp_lt_i32_e32 vcc, v25, v33
	v_cmp_le_i32_e64 s[28:29], v25, v33
	v_cmp_eq_u32_e64 s[30:31], v25, v33
	s_and_saveexec_b64 s[60:61], s[30:31]
	s_cbranch_execz .LBB383_824
; %bb.826:                              ;   in Loop: Header=BB383_825 Depth=1
	s_add_u32 s58, s58, -1
	s_addc_u32 s59, s59, -1
	s_cmp_eq_u64 s[58:59], 0
	s_cselect_b64 s[30:31], -1, 0
	s_andn2_b64 s[54:55], s[54:55], exec
	s_and_b64 s[30:31], s[30:31], exec
	v_lshl_add_u64 v[0:1], v[0:1], 0, 4
	v_lshl_add_u64 v[22:23], v[22:23], 0, 4
	s_andn2_b64 s[52:53], s[52:53], exec
	s_or_b64 s[54:55], s[54:55], s[30:31]
	s_branch .LBB383_824
.LBB383_827:
	s_or_b64 exec, exec, s[48:49]
	s_and_saveexec_b64 s[28:29], s[50:51]
	s_xor_b64 s[28:29], exec, s[28:29]
; %bb.828:
	v_cndmask_b32_e64 v1, v13, v7, s[46:47]
	v_cndmask_b32_e64 v0, v12, v6, s[46:47]
	;; [unrolled: 1-line block ×4, first 2 shown]
	v_mov_b64_e32 v[12:13], v[0:1]
; %bb.829:
	s_or_b64 exec, exec, s[28:29]
.LBB383_830:
	s_or_b64 exec, exec, s[44:45]
	s_and_saveexec_b64 s[44:45], s[26:27]
	s_cbranch_execz .LBB383_839
; %bb.831:
	s_andn2_b64 vcc, exec, s[42:43]
	s_cbranch_vccnz .LBB383_839
; %bb.832:
	v_mul_lo_u32 v22, v3, s36
	v_mul_lo_u32 v23, v2, s37
	v_mad_u64_u32 v[0:1], s[28:29], v2, s36, 0
	v_add3_u32 v1, v1, v23, v22
	v_mul_lo_u32 v25, v9, s36
	v_mul_lo_u32 v33, v8, s37
	v_mad_u64_u32 v[22:23], s[28:29], v8, s36, 0
	v_add3_u32 v23, v23, v33, v25
	v_lshl_add_u64 v[0:1], v[0:1], 2, s[38:39]
	v_lshl_add_u64 v[22:23], v[22:23], 2, s[38:39]
	s_mov_b64 s[48:49], 0
	s_mov_b64 s[58:59], s[36:37]
                                        ; implicit-def: $sgpr46_sgpr47
                                        ; implicit-def: $sgpr50_sgpr51
                                        ; implicit-def: $sgpr54_sgpr55
                                        ; implicit-def: $sgpr52_sgpr53
                                        ; implicit-def: $sgpr56_sgpr57
	s_branch .LBB383_834
.LBB383_833:                            ;   in Loop: Header=BB383_834 Depth=1
	s_or_b64 exec, exec, s[60:61]
	s_and_b64 s[28:29], s[28:29], s[56:57]
	s_or_b64 s[28:29], vcc, s[28:29]
	s_and_b64 s[30:31], exec, s[54:55]
	s_or_b64 s[48:49], s[30:31], s[48:49]
	s_andn2_b64 s[30:31], s[56:57], exec
	s_and_b64 s[28:29], s[28:29], exec
	s_or_b64 s[56:57], s[30:31], s[28:29]
	s_andn2_b64 s[30:31], s[50:51], exec
	s_and_b64 s[50:51], s[52:53], exec
	s_or_b64 s[50:51], s[30:31], s[50:51]
	s_andn2_b64 s[30:31], s[46:47], exec
	s_or_b64 s[46:47], s[30:31], s[28:29]
	s_andn2_b64 exec, exec, s[48:49]
	s_cbranch_execz .LBB383_836
.LBB383_834:                            ; =>This Inner Loop Header: Depth=1
	global_load_dword v25, v[0:1], off
	global_load_dword v33, v[22:23], off
	s_or_b64 s[52:53], s[52:53], exec
	s_or_b64 s[54:55], s[54:55], exec
	s_waitcnt vmcnt(0)
	v_cmp_lt_i32_e32 vcc, v25, v33
	v_cmp_le_i32_e64 s[28:29], v25, v33
	v_cmp_eq_u32_e64 s[30:31], v25, v33
	s_and_saveexec_b64 s[60:61], s[30:31]
	s_cbranch_execz .LBB383_833
; %bb.835:                              ;   in Loop: Header=BB383_834 Depth=1
	s_add_u32 s58, s58, -1
	s_addc_u32 s59, s59, -1
	s_cmp_eq_u64 s[58:59], 0
	s_cselect_b64 s[30:31], -1, 0
	s_andn2_b64 s[54:55], s[54:55], exec
	s_and_b64 s[30:31], s[30:31], exec
	v_lshl_add_u64 v[0:1], v[0:1], 0, 4
	v_lshl_add_u64 v[22:23], v[22:23], 0, 4
	s_andn2_b64 s[52:53], s[52:53], exec
	s_or_b64 s[54:55], s[54:55], s[30:31]
	s_branch .LBB383_833
.LBB383_836:
	s_or_b64 exec, exec, s[48:49]
	s_and_saveexec_b64 s[28:29], s[50:51]
	s_xor_b64 s[28:29], exec, s[28:29]
; %bb.837:
	v_cndmask_b32_e64 v1, v9, v3, s[46:47]
	v_cndmask_b32_e64 v0, v8, v2, s[46:47]
	;; [unrolled: 1-line block ×4, first 2 shown]
	v_mov_b64_e32 v[8:9], v[0:1]
; %bb.838:
	s_or_b64 exec, exec, s[28:29]
.LBB383_839:
	s_or_b64 exec, exec, s[44:45]
	s_and_saveexec_b64 s[44:45], s[14:15]
	s_cbranch_execz .LBB383_848
; %bb.840:
	s_andn2_b64 vcc, exec, s[42:43]
	s_cbranch_vccnz .LBB383_848
; %bb.841:
	v_mul_lo_u32 v22, v17, s36
	v_mul_lo_u32 v23, v16, s37
	v_mad_u64_u32 v[0:1], s[28:29], v16, s36, 0
	v_add3_u32 v1, v1, v23, v22
	v_mul_lo_u32 v25, v15, s36
	v_mul_lo_u32 v33, v14, s37
	v_mad_u64_u32 v[22:23], s[28:29], v14, s36, 0
	v_add3_u32 v23, v23, v33, v25
	v_lshl_add_u64 v[0:1], v[0:1], 2, s[38:39]
	v_lshl_add_u64 v[22:23], v[22:23], 2, s[38:39]
	s_mov_b64 s[48:49], 0
	s_mov_b64 s[58:59], s[36:37]
                                        ; implicit-def: $sgpr46_sgpr47
                                        ; implicit-def: $sgpr50_sgpr51
                                        ; implicit-def: $sgpr54_sgpr55
                                        ; implicit-def: $sgpr52_sgpr53
                                        ; implicit-def: $sgpr56_sgpr57
	s_branch .LBB383_843
.LBB383_842:                            ;   in Loop: Header=BB383_843 Depth=1
	s_or_b64 exec, exec, s[60:61]
	s_and_b64 s[28:29], s[28:29], s[56:57]
	s_or_b64 s[28:29], vcc, s[28:29]
	s_and_b64 s[30:31], exec, s[54:55]
	s_or_b64 s[48:49], s[30:31], s[48:49]
	s_andn2_b64 s[30:31], s[56:57], exec
	s_and_b64 s[28:29], s[28:29], exec
	s_or_b64 s[56:57], s[30:31], s[28:29]
	s_andn2_b64 s[30:31], s[50:51], exec
	s_and_b64 s[50:51], s[52:53], exec
	s_or_b64 s[50:51], s[30:31], s[50:51]
	s_andn2_b64 s[30:31], s[46:47], exec
	s_or_b64 s[46:47], s[30:31], s[28:29]
	s_andn2_b64 exec, exec, s[48:49]
	s_cbranch_execz .LBB383_845
.LBB383_843:                            ; =>This Inner Loop Header: Depth=1
	global_load_dword v25, v[0:1], off
	global_load_dword v33, v[22:23], off
	s_or_b64 s[52:53], s[52:53], exec
	s_or_b64 s[54:55], s[54:55], exec
	s_waitcnt vmcnt(0)
	v_cmp_lt_i32_e32 vcc, v25, v33
	v_cmp_le_i32_e64 s[28:29], v25, v33
	v_cmp_eq_u32_e64 s[30:31], v25, v33
	s_and_saveexec_b64 s[60:61], s[30:31]
	s_cbranch_execz .LBB383_842
; %bb.844:                              ;   in Loop: Header=BB383_843 Depth=1
	s_add_u32 s58, s58, -1
	s_addc_u32 s59, s59, -1
	s_cmp_eq_u64 s[58:59], 0
	s_cselect_b64 s[30:31], -1, 0
	s_andn2_b64 s[54:55], s[54:55], exec
	s_and_b64 s[30:31], s[30:31], exec
	v_lshl_add_u64 v[0:1], v[0:1], 0, 4
	v_lshl_add_u64 v[22:23], v[22:23], 0, 4
	s_andn2_b64 s[52:53], s[52:53], exec
	s_or_b64 s[54:55], s[54:55], s[30:31]
	s_branch .LBB383_842
.LBB383_845:
	s_or_b64 exec, exec, s[48:49]
	s_and_saveexec_b64 s[28:29], s[50:51]
	s_xor_b64 s[28:29], exec, s[28:29]
; %bb.846:
	v_cndmask_b32_e64 v1, v17, v15, s[46:47]
	v_cndmask_b32_e64 v0, v16, v14, s[46:47]
	v_cndmask_b32_e64 v15, v15, v17, s[46:47]
	v_cndmask_b32_e64 v14, v14, v16, s[46:47]
	v_mov_b64_e32 v[16:17], v[0:1]
; %bb.847:
	s_or_b64 exec, exec, s[28:29]
.LBB383_848:
	s_or_b64 exec, exec, s[44:45]
	s_and_saveexec_b64 s[44:45], s[16:17]
	s_cbranch_execz .LBB383_857
; %bb.849:
	s_andn2_b64 vcc, exec, s[42:43]
	s_cbranch_vccnz .LBB383_857
; %bb.850:
	v_mul_lo_u32 v22, v13, s36
	v_mul_lo_u32 v23, v12, s37
	v_mad_u64_u32 v[0:1], s[28:29], v12, s36, 0
	v_add3_u32 v1, v1, v23, v22
	v_mul_lo_u32 v25, v11, s36
	v_mul_lo_u32 v33, v10, s37
	v_mad_u64_u32 v[22:23], s[28:29], v10, s36, 0
	v_add3_u32 v23, v23, v33, v25
	v_lshl_add_u64 v[0:1], v[0:1], 2, s[38:39]
	v_lshl_add_u64 v[22:23], v[22:23], 2, s[38:39]
	s_mov_b64 s[48:49], 0
	s_mov_b64 s[58:59], s[36:37]
                                        ; implicit-def: $sgpr46_sgpr47
                                        ; implicit-def: $sgpr50_sgpr51
                                        ; implicit-def: $sgpr54_sgpr55
                                        ; implicit-def: $sgpr52_sgpr53
                                        ; implicit-def: $sgpr56_sgpr57
	s_branch .LBB383_852
.LBB383_851:                            ;   in Loop: Header=BB383_852 Depth=1
	s_or_b64 exec, exec, s[60:61]
	s_and_b64 s[28:29], s[28:29], s[56:57]
	s_or_b64 s[28:29], vcc, s[28:29]
	s_and_b64 s[30:31], exec, s[54:55]
	s_or_b64 s[48:49], s[30:31], s[48:49]
	s_andn2_b64 s[30:31], s[56:57], exec
	s_and_b64 s[28:29], s[28:29], exec
	s_or_b64 s[56:57], s[30:31], s[28:29]
	s_andn2_b64 s[30:31], s[50:51], exec
	s_and_b64 s[50:51], s[52:53], exec
	s_or_b64 s[50:51], s[30:31], s[50:51]
	s_andn2_b64 s[30:31], s[46:47], exec
	s_or_b64 s[46:47], s[30:31], s[28:29]
	s_andn2_b64 exec, exec, s[48:49]
	s_cbranch_execz .LBB383_854
.LBB383_852:                            ; =>This Inner Loop Header: Depth=1
	global_load_dword v25, v[0:1], off
	global_load_dword v33, v[22:23], off
	s_or_b64 s[52:53], s[52:53], exec
	s_or_b64 s[54:55], s[54:55], exec
	s_waitcnt vmcnt(0)
	v_cmp_lt_i32_e32 vcc, v25, v33
	v_cmp_le_i32_e64 s[28:29], v25, v33
	v_cmp_eq_u32_e64 s[30:31], v25, v33
	s_and_saveexec_b64 s[60:61], s[30:31]
	s_cbranch_execz .LBB383_851
; %bb.853:                              ;   in Loop: Header=BB383_852 Depth=1
	s_add_u32 s58, s58, -1
	s_addc_u32 s59, s59, -1
	s_cmp_eq_u64 s[58:59], 0
	s_cselect_b64 s[30:31], -1, 0
	s_andn2_b64 s[54:55], s[54:55], exec
	s_and_b64 s[30:31], s[30:31], exec
	v_lshl_add_u64 v[0:1], v[0:1], 0, 4
	v_lshl_add_u64 v[22:23], v[22:23], 0, 4
	s_andn2_b64 s[52:53], s[52:53], exec
	s_or_b64 s[54:55], s[54:55], s[30:31]
	s_branch .LBB383_851
.LBB383_854:
	s_or_b64 exec, exec, s[48:49]
	s_and_saveexec_b64 s[28:29], s[50:51]
	s_xor_b64 s[28:29], exec, s[28:29]
; %bb.855:
	v_cndmask_b32_e64 v1, v11, v13, s[46:47]
	v_cndmask_b32_e64 v0, v10, v12, s[46:47]
	;; [unrolled: 1-line block ×4, first 2 shown]
	v_mov_b64_e32 v[10:11], v[0:1]
; %bb.856:
	s_or_b64 exec, exec, s[28:29]
.LBB383_857:
	s_or_b64 exec, exec, s[44:45]
	s_and_saveexec_b64 s[44:45], s[18:19]
	s_cbranch_execz .LBB383_866
; %bb.858:
	s_andn2_b64 vcc, exec, s[42:43]
	s_cbranch_vccnz .LBB383_866
; %bb.859:
	v_mul_lo_u32 v22, v9, s36
	v_mul_lo_u32 v23, v8, s37
	v_mad_u64_u32 v[0:1], s[28:29], v8, s36, 0
	v_add3_u32 v1, v1, v23, v22
	v_mul_lo_u32 v25, v7, s36
	v_mul_lo_u32 v33, v6, s37
	v_mad_u64_u32 v[22:23], s[28:29], v6, s36, 0
	v_add3_u32 v23, v23, v33, v25
	v_lshl_add_u64 v[0:1], v[0:1], 2, s[38:39]
	v_lshl_add_u64 v[22:23], v[22:23], 2, s[38:39]
	s_mov_b64 s[48:49], 0
	s_mov_b64 s[58:59], s[36:37]
                                        ; implicit-def: $sgpr46_sgpr47
                                        ; implicit-def: $sgpr50_sgpr51
                                        ; implicit-def: $sgpr54_sgpr55
                                        ; implicit-def: $sgpr52_sgpr53
                                        ; implicit-def: $sgpr56_sgpr57
	s_branch .LBB383_861
.LBB383_860:                            ;   in Loop: Header=BB383_861 Depth=1
	s_or_b64 exec, exec, s[60:61]
	s_and_b64 s[28:29], s[28:29], s[56:57]
	s_or_b64 s[28:29], vcc, s[28:29]
	s_and_b64 s[30:31], exec, s[54:55]
	s_or_b64 s[48:49], s[30:31], s[48:49]
	s_andn2_b64 s[30:31], s[56:57], exec
	s_and_b64 s[28:29], s[28:29], exec
	s_or_b64 s[56:57], s[30:31], s[28:29]
	s_andn2_b64 s[30:31], s[50:51], exec
	s_and_b64 s[50:51], s[52:53], exec
	s_or_b64 s[50:51], s[30:31], s[50:51]
	s_andn2_b64 s[30:31], s[46:47], exec
	s_or_b64 s[46:47], s[30:31], s[28:29]
	s_andn2_b64 exec, exec, s[48:49]
	s_cbranch_execz .LBB383_863
.LBB383_861:                            ; =>This Inner Loop Header: Depth=1
	global_load_dword v25, v[0:1], off
	global_load_dword v33, v[22:23], off
	s_or_b64 s[52:53], s[52:53], exec
	s_or_b64 s[54:55], s[54:55], exec
	s_waitcnt vmcnt(0)
	v_cmp_lt_i32_e32 vcc, v25, v33
	v_cmp_le_i32_e64 s[28:29], v25, v33
	v_cmp_eq_u32_e64 s[30:31], v25, v33
	s_and_saveexec_b64 s[60:61], s[30:31]
	s_cbranch_execz .LBB383_860
; %bb.862:                              ;   in Loop: Header=BB383_861 Depth=1
	s_add_u32 s58, s58, -1
	s_addc_u32 s59, s59, -1
	s_cmp_eq_u64 s[58:59], 0
	s_cselect_b64 s[30:31], -1, 0
	s_andn2_b64 s[54:55], s[54:55], exec
	s_and_b64 s[30:31], s[30:31], exec
	v_lshl_add_u64 v[0:1], v[0:1], 0, 4
	v_lshl_add_u64 v[22:23], v[22:23], 0, 4
	s_andn2_b64 s[52:53], s[52:53], exec
	s_or_b64 s[54:55], s[54:55], s[30:31]
	s_branch .LBB383_860
.LBB383_863:
	s_or_b64 exec, exec, s[48:49]
	s_and_saveexec_b64 s[28:29], s[50:51]
	s_xor_b64 s[28:29], exec, s[28:29]
; %bb.864:
	v_cndmask_b32_e64 v1, v7, v9, s[46:47]
	v_cndmask_b32_e64 v0, v6, v8, s[46:47]
	;; [unrolled: 1-line block ×4, first 2 shown]
	v_mov_b64_e32 v[6:7], v[0:1]
; %bb.865:
	s_or_b64 exec, exec, s[28:29]
.LBB383_866:
	s_or_b64 exec, exec, s[44:45]
	s_and_saveexec_b64 s[44:45], s[20:21]
	s_cbranch_execz .LBB383_875
; %bb.867:
	s_andn2_b64 vcc, exec, s[42:43]
	s_cbranch_vccnz .LBB383_875
; %bb.868:
	v_mul_lo_u32 v22, v5, s36
	v_mul_lo_u32 v23, v4, s37
	v_mad_u64_u32 v[0:1], s[28:29], v4, s36, 0
	v_add3_u32 v1, v1, v23, v22
	v_mul_lo_u32 v25, v3, s36
	v_mul_lo_u32 v33, v2, s37
	v_mad_u64_u32 v[22:23], s[28:29], v2, s36, 0
	v_add3_u32 v23, v23, v33, v25
	v_lshl_add_u64 v[0:1], v[0:1], 2, s[38:39]
	v_lshl_add_u64 v[22:23], v[22:23], 2, s[38:39]
	s_mov_b64 s[48:49], 0
	s_mov_b64 s[58:59], s[36:37]
                                        ; implicit-def: $sgpr46_sgpr47
                                        ; implicit-def: $sgpr50_sgpr51
                                        ; implicit-def: $sgpr54_sgpr55
                                        ; implicit-def: $sgpr52_sgpr53
                                        ; implicit-def: $sgpr56_sgpr57
	s_branch .LBB383_870
.LBB383_869:                            ;   in Loop: Header=BB383_870 Depth=1
	s_or_b64 exec, exec, s[60:61]
	s_and_b64 s[28:29], s[28:29], s[56:57]
	s_or_b64 s[28:29], vcc, s[28:29]
	s_and_b64 s[30:31], exec, s[54:55]
	s_or_b64 s[48:49], s[30:31], s[48:49]
	s_andn2_b64 s[30:31], s[56:57], exec
	s_and_b64 s[28:29], s[28:29], exec
	s_or_b64 s[56:57], s[30:31], s[28:29]
	s_andn2_b64 s[30:31], s[50:51], exec
	s_and_b64 s[50:51], s[52:53], exec
	s_or_b64 s[50:51], s[30:31], s[50:51]
	s_andn2_b64 s[30:31], s[46:47], exec
	s_or_b64 s[46:47], s[30:31], s[28:29]
	s_andn2_b64 exec, exec, s[48:49]
	s_cbranch_execz .LBB383_872
.LBB383_870:                            ; =>This Inner Loop Header: Depth=1
	global_load_dword v25, v[0:1], off
	global_load_dword v33, v[22:23], off
	s_or_b64 s[52:53], s[52:53], exec
	s_or_b64 s[54:55], s[54:55], exec
	s_waitcnt vmcnt(0)
	v_cmp_lt_i32_e32 vcc, v25, v33
	v_cmp_le_i32_e64 s[28:29], v25, v33
	v_cmp_eq_u32_e64 s[30:31], v25, v33
	s_and_saveexec_b64 s[60:61], s[30:31]
	s_cbranch_execz .LBB383_869
; %bb.871:                              ;   in Loop: Header=BB383_870 Depth=1
	s_add_u32 s58, s58, -1
	s_addc_u32 s59, s59, -1
	s_cmp_eq_u64 s[58:59], 0
	s_cselect_b64 s[30:31], -1, 0
	s_andn2_b64 s[54:55], s[54:55], exec
	s_and_b64 s[30:31], s[30:31], exec
	v_lshl_add_u64 v[0:1], v[0:1], 0, 4
	v_lshl_add_u64 v[22:23], v[22:23], 0, 4
	s_andn2_b64 s[52:53], s[52:53], exec
	s_or_b64 s[54:55], s[54:55], s[30:31]
	s_branch .LBB383_869
.LBB383_872:
	s_or_b64 exec, exec, s[48:49]
	s_and_saveexec_b64 s[28:29], s[50:51]
	s_xor_b64 s[28:29], exec, s[28:29]
; %bb.873:
	v_cndmask_b32_e64 v1, v3, v5, s[46:47]
	v_cndmask_b32_e64 v0, v2, v4, s[46:47]
	;; [unrolled: 1-line block ×4, first 2 shown]
	v_mov_b64_e32 v[2:3], v[0:1]
; %bb.874:
	s_or_b64 exec, exec, s[28:29]
.LBB383_875:
	s_or_b64 exec, exec, s[44:45]
	s_and_saveexec_b64 s[44:45], s[22:23]
	s_cbranch_execz .LBB383_884
; %bb.876:
	s_andn2_b64 vcc, exec, s[42:43]
	s_cbranch_vccnz .LBB383_884
; %bb.877:
	v_mul_lo_u32 v22, v11, s36
	v_mul_lo_u32 v23, v10, s37
	v_mad_u64_u32 v[0:1], s[28:29], v10, s36, 0
	v_add3_u32 v1, v1, v23, v22
	v_mul_lo_u32 v25, v17, s36
	v_mul_lo_u32 v33, v16, s37
	v_mad_u64_u32 v[22:23], s[28:29], v16, s36, 0
	v_add3_u32 v23, v23, v33, v25
	v_lshl_add_u64 v[0:1], v[0:1], 2, s[38:39]
	v_lshl_add_u64 v[22:23], v[22:23], 2, s[38:39]
	s_mov_b64 s[48:49], 0
	s_mov_b64 s[58:59], s[36:37]
                                        ; implicit-def: $sgpr46_sgpr47
                                        ; implicit-def: $sgpr50_sgpr51
                                        ; implicit-def: $sgpr54_sgpr55
                                        ; implicit-def: $sgpr52_sgpr53
                                        ; implicit-def: $sgpr56_sgpr57
	s_branch .LBB383_879
.LBB383_878:                            ;   in Loop: Header=BB383_879 Depth=1
	s_or_b64 exec, exec, s[60:61]
	s_and_b64 s[28:29], s[28:29], s[56:57]
	s_or_b64 s[28:29], vcc, s[28:29]
	s_and_b64 s[30:31], exec, s[54:55]
	s_or_b64 s[48:49], s[30:31], s[48:49]
	s_andn2_b64 s[30:31], s[56:57], exec
	s_and_b64 s[28:29], s[28:29], exec
	s_or_b64 s[56:57], s[30:31], s[28:29]
	s_andn2_b64 s[30:31], s[50:51], exec
	s_and_b64 s[50:51], s[52:53], exec
	s_or_b64 s[50:51], s[30:31], s[50:51]
	s_andn2_b64 s[30:31], s[46:47], exec
	s_or_b64 s[46:47], s[30:31], s[28:29]
	s_andn2_b64 exec, exec, s[48:49]
	s_cbranch_execz .LBB383_881
.LBB383_879:                            ; =>This Inner Loop Header: Depth=1
	global_load_dword v25, v[0:1], off
	global_load_dword v33, v[22:23], off
	s_or_b64 s[52:53], s[52:53], exec
	s_or_b64 s[54:55], s[54:55], exec
	s_waitcnt vmcnt(0)
	v_cmp_lt_i32_e32 vcc, v25, v33
	v_cmp_le_i32_e64 s[28:29], v25, v33
	v_cmp_eq_u32_e64 s[30:31], v25, v33
	s_and_saveexec_b64 s[60:61], s[30:31]
	s_cbranch_execz .LBB383_878
; %bb.880:                              ;   in Loop: Header=BB383_879 Depth=1
	s_add_u32 s58, s58, -1
	s_addc_u32 s59, s59, -1
	s_cmp_eq_u64 s[58:59], 0
	s_cselect_b64 s[30:31], -1, 0
	s_andn2_b64 s[54:55], s[54:55], exec
	s_and_b64 s[30:31], s[30:31], exec
	v_lshl_add_u64 v[0:1], v[0:1], 0, 4
	v_lshl_add_u64 v[22:23], v[22:23], 0, 4
	s_andn2_b64 s[52:53], s[52:53], exec
	s_or_b64 s[54:55], s[54:55], s[30:31]
	s_branch .LBB383_878
.LBB383_881:
	s_or_b64 exec, exec, s[48:49]
	s_and_saveexec_b64 s[28:29], s[50:51]
	s_xor_b64 s[28:29], exec, s[28:29]
; %bb.882:
	v_cndmask_b32_e64 v1, v17, v11, s[46:47]
	v_cndmask_b32_e64 v0, v16, v10, s[46:47]
	;; [unrolled: 1-line block ×4, first 2 shown]
	v_mov_b64_e32 v[16:17], v[0:1]
; %bb.883:
	s_or_b64 exec, exec, s[28:29]
.LBB383_884:
	s_or_b64 exec, exec, s[44:45]
	s_and_saveexec_b64 s[44:45], s[24:25]
	s_cbranch_execz .LBB383_893
; %bb.885:
	s_andn2_b64 vcc, exec, s[42:43]
	s_cbranch_vccnz .LBB383_893
; %bb.886:
	v_mul_lo_u32 v22, v7, s36
	v_mul_lo_u32 v23, v6, s37
	v_mad_u64_u32 v[0:1], s[28:29], v6, s36, 0
	v_add3_u32 v1, v1, v23, v22
	v_mul_lo_u32 v25, v13, s36
	v_mul_lo_u32 v33, v12, s37
	v_mad_u64_u32 v[22:23], s[28:29], v12, s36, 0
	v_add3_u32 v23, v23, v33, v25
	v_lshl_add_u64 v[0:1], v[0:1], 2, s[38:39]
	v_lshl_add_u64 v[22:23], v[22:23], 2, s[38:39]
	s_mov_b64 s[48:49], 0
	s_mov_b64 s[58:59], s[36:37]
                                        ; implicit-def: $sgpr46_sgpr47
                                        ; implicit-def: $sgpr50_sgpr51
                                        ; implicit-def: $sgpr54_sgpr55
                                        ; implicit-def: $sgpr52_sgpr53
                                        ; implicit-def: $sgpr56_sgpr57
	s_branch .LBB383_888
.LBB383_887:                            ;   in Loop: Header=BB383_888 Depth=1
	s_or_b64 exec, exec, s[60:61]
	s_and_b64 s[28:29], s[28:29], s[56:57]
	s_or_b64 s[28:29], vcc, s[28:29]
	s_and_b64 s[30:31], exec, s[54:55]
	s_or_b64 s[48:49], s[30:31], s[48:49]
	s_andn2_b64 s[30:31], s[56:57], exec
	s_and_b64 s[28:29], s[28:29], exec
	s_or_b64 s[56:57], s[30:31], s[28:29]
	s_andn2_b64 s[30:31], s[50:51], exec
	s_and_b64 s[50:51], s[52:53], exec
	s_or_b64 s[50:51], s[30:31], s[50:51]
	s_andn2_b64 s[30:31], s[46:47], exec
	s_or_b64 s[46:47], s[30:31], s[28:29]
	s_andn2_b64 exec, exec, s[48:49]
	s_cbranch_execz .LBB383_890
.LBB383_888:                            ; =>This Inner Loop Header: Depth=1
	global_load_dword v25, v[0:1], off
	global_load_dword v33, v[22:23], off
	s_or_b64 s[52:53], s[52:53], exec
	s_or_b64 s[54:55], s[54:55], exec
	s_waitcnt vmcnt(0)
	v_cmp_lt_i32_e32 vcc, v25, v33
	v_cmp_le_i32_e64 s[28:29], v25, v33
	v_cmp_eq_u32_e64 s[30:31], v25, v33
	s_and_saveexec_b64 s[60:61], s[30:31]
	s_cbranch_execz .LBB383_887
; %bb.889:                              ;   in Loop: Header=BB383_888 Depth=1
	s_add_u32 s58, s58, -1
	s_addc_u32 s59, s59, -1
	s_cmp_eq_u64 s[58:59], 0
	s_cselect_b64 s[30:31], -1, 0
	s_andn2_b64 s[54:55], s[54:55], exec
	s_and_b64 s[30:31], s[30:31], exec
	v_lshl_add_u64 v[0:1], v[0:1], 0, 4
	v_lshl_add_u64 v[22:23], v[22:23], 0, 4
	s_andn2_b64 s[52:53], s[52:53], exec
	s_or_b64 s[54:55], s[54:55], s[30:31]
	s_branch .LBB383_887
.LBB383_890:
	s_or_b64 exec, exec, s[48:49]
	s_and_saveexec_b64 s[28:29], s[50:51]
	s_xor_b64 s[28:29], exec, s[28:29]
; %bb.891:
	v_cndmask_b32_e64 v1, v13, v7, s[46:47]
	v_cndmask_b32_e64 v0, v12, v6, s[46:47]
	;; [unrolled: 1-line block ×4, first 2 shown]
	v_mov_b64_e32 v[12:13], v[0:1]
; %bb.892:
	s_or_b64 exec, exec, s[28:29]
.LBB383_893:
	s_or_b64 exec, exec, s[44:45]
	s_and_saveexec_b64 s[44:45], s[26:27]
	s_cbranch_execz .LBB383_902
; %bb.894:
	s_andn2_b64 vcc, exec, s[42:43]
	s_cbranch_vccnz .LBB383_902
; %bb.895:
	v_mul_lo_u32 v22, v3, s36
	v_mul_lo_u32 v23, v2, s37
	v_mad_u64_u32 v[0:1], s[28:29], v2, s36, 0
	v_add3_u32 v1, v1, v23, v22
	v_mul_lo_u32 v25, v9, s36
	v_mul_lo_u32 v33, v8, s37
	v_mad_u64_u32 v[22:23], s[28:29], v8, s36, 0
	v_add3_u32 v23, v23, v33, v25
	v_lshl_add_u64 v[0:1], v[0:1], 2, s[38:39]
	v_lshl_add_u64 v[22:23], v[22:23], 2, s[38:39]
	s_mov_b64 s[48:49], 0
	s_mov_b64 s[58:59], s[36:37]
                                        ; implicit-def: $sgpr46_sgpr47
                                        ; implicit-def: $sgpr50_sgpr51
                                        ; implicit-def: $sgpr54_sgpr55
                                        ; implicit-def: $sgpr52_sgpr53
                                        ; implicit-def: $sgpr56_sgpr57
	s_branch .LBB383_897
.LBB383_896:                            ;   in Loop: Header=BB383_897 Depth=1
	s_or_b64 exec, exec, s[60:61]
	s_and_b64 s[28:29], s[28:29], s[56:57]
	s_or_b64 s[28:29], vcc, s[28:29]
	s_and_b64 s[30:31], exec, s[54:55]
	s_or_b64 s[48:49], s[30:31], s[48:49]
	s_andn2_b64 s[30:31], s[56:57], exec
	s_and_b64 s[28:29], s[28:29], exec
	s_or_b64 s[56:57], s[30:31], s[28:29]
	s_andn2_b64 s[30:31], s[50:51], exec
	s_and_b64 s[50:51], s[52:53], exec
	s_or_b64 s[50:51], s[30:31], s[50:51]
	s_andn2_b64 s[30:31], s[46:47], exec
	s_or_b64 s[46:47], s[30:31], s[28:29]
	s_andn2_b64 exec, exec, s[48:49]
	s_cbranch_execz .LBB383_899
.LBB383_897:                            ; =>This Inner Loop Header: Depth=1
	global_load_dword v25, v[0:1], off
	global_load_dword v33, v[22:23], off
	s_or_b64 s[52:53], s[52:53], exec
	s_or_b64 s[54:55], s[54:55], exec
	s_waitcnt vmcnt(0)
	v_cmp_lt_i32_e32 vcc, v25, v33
	v_cmp_le_i32_e64 s[28:29], v25, v33
	v_cmp_eq_u32_e64 s[30:31], v25, v33
	s_and_saveexec_b64 s[60:61], s[30:31]
	s_cbranch_execz .LBB383_896
; %bb.898:                              ;   in Loop: Header=BB383_897 Depth=1
	s_add_u32 s58, s58, -1
	s_addc_u32 s59, s59, -1
	s_cmp_eq_u64 s[58:59], 0
	s_cselect_b64 s[30:31], -1, 0
	s_andn2_b64 s[54:55], s[54:55], exec
	s_and_b64 s[30:31], s[30:31], exec
	v_lshl_add_u64 v[0:1], v[0:1], 0, 4
	v_lshl_add_u64 v[22:23], v[22:23], 0, 4
	s_andn2_b64 s[52:53], s[52:53], exec
	s_or_b64 s[54:55], s[54:55], s[30:31]
	s_branch .LBB383_896
.LBB383_899:
	s_or_b64 exec, exec, s[48:49]
	s_and_saveexec_b64 s[28:29], s[50:51]
	s_xor_b64 s[28:29], exec, s[28:29]
; %bb.900:
	v_cndmask_b32_e64 v1, v9, v3, s[46:47]
	v_cndmask_b32_e64 v0, v8, v2, s[46:47]
	;; [unrolled: 1-line block ×4, first 2 shown]
	v_mov_b64_e32 v[8:9], v[0:1]
; %bb.901:
	s_or_b64 exec, exec, s[28:29]
.LBB383_902:
	s_or_b64 exec, exec, s[44:45]
	s_and_saveexec_b64 s[30:31], s[14:15]
	s_cbranch_execz .LBB383_911
; %bb.903:
	s_andn2_b64 vcc, exec, s[42:43]
	s_cbranch_vccnz .LBB383_911
; %bb.904:
	v_mul_lo_u32 v22, v17, s36
	v_mul_lo_u32 v23, v16, s37
	v_mad_u64_u32 v[0:1], s[14:15], v16, s36, 0
	v_add3_u32 v1, v1, v23, v22
	v_mul_lo_u32 v25, v15, s36
	v_mul_lo_u32 v33, v14, s37
	v_mad_u64_u32 v[22:23], s[14:15], v14, s36, 0
	v_add3_u32 v23, v23, v33, v25
	v_lshl_add_u64 v[0:1], v[0:1], 2, s[38:39]
	v_lshl_add_u64 v[22:23], v[22:23], 2, s[38:39]
	s_mov_b64 s[46:47], 0
	s_mov_b64 s[56:57], s[36:37]
                                        ; implicit-def: $sgpr44_sgpr45
                                        ; implicit-def: $sgpr48_sgpr49
                                        ; implicit-def: $sgpr52_sgpr53
                                        ; implicit-def: $sgpr50_sgpr51
                                        ; implicit-def: $sgpr54_sgpr55
	s_branch .LBB383_906
.LBB383_905:                            ;   in Loop: Header=BB383_906 Depth=1
	s_or_b64 exec, exec, s[58:59]
	s_and_b64 s[14:15], s[14:15], s[54:55]
	s_or_b64 s[14:15], vcc, s[14:15]
	s_and_b64 s[28:29], exec, s[52:53]
	s_or_b64 s[46:47], s[28:29], s[46:47]
	s_andn2_b64 s[28:29], s[54:55], exec
	s_and_b64 s[14:15], s[14:15], exec
	s_or_b64 s[54:55], s[28:29], s[14:15]
	s_andn2_b64 s[28:29], s[48:49], exec
	s_and_b64 s[48:49], s[50:51], exec
	s_or_b64 s[48:49], s[28:29], s[48:49]
	s_andn2_b64 s[28:29], s[44:45], exec
	s_or_b64 s[44:45], s[28:29], s[14:15]
	s_andn2_b64 exec, exec, s[46:47]
	s_cbranch_execz .LBB383_908
.LBB383_906:                            ; =>This Inner Loop Header: Depth=1
	global_load_dword v25, v[0:1], off
	global_load_dword v33, v[22:23], off
	s_or_b64 s[50:51], s[50:51], exec
	s_or_b64 s[52:53], s[52:53], exec
	s_waitcnt vmcnt(0)
	v_cmp_lt_i32_e32 vcc, v25, v33
	v_cmp_le_i32_e64 s[14:15], v25, v33
	v_cmp_eq_u32_e64 s[28:29], v25, v33
	s_and_saveexec_b64 s[58:59], s[28:29]
	s_cbranch_execz .LBB383_905
; %bb.907:                              ;   in Loop: Header=BB383_906 Depth=1
	s_add_u32 s56, s56, -1
	s_addc_u32 s57, s57, -1
	s_cmp_eq_u64 s[56:57], 0
	s_cselect_b64 s[28:29], -1, 0
	s_andn2_b64 s[52:53], s[52:53], exec
	s_and_b64 s[28:29], s[28:29], exec
	v_lshl_add_u64 v[0:1], v[0:1], 0, 4
	v_lshl_add_u64 v[22:23], v[22:23], 0, 4
	s_andn2_b64 s[50:51], s[50:51], exec
	s_or_b64 s[52:53], s[52:53], s[28:29]
	s_branch .LBB383_905
.LBB383_908:
	s_or_b64 exec, exec, s[46:47]
	s_and_saveexec_b64 s[14:15], s[48:49]
	s_xor_b64 s[14:15], exec, s[14:15]
; %bb.909:
	v_cndmask_b32_e64 v1, v17, v15, s[44:45]
	v_cndmask_b32_e64 v0, v16, v14, s[44:45]
	v_cndmask_b32_e64 v15, v15, v17, s[44:45]
	v_cndmask_b32_e64 v14, v14, v16, s[44:45]
	v_mov_b64_e32 v[16:17], v[0:1]
; %bb.910:
	s_or_b64 exec, exec, s[14:15]
.LBB383_911:
	s_or_b64 exec, exec, s[30:31]
	s_and_saveexec_b64 s[28:29], s[16:17]
	s_cbranch_execz .LBB383_920
; %bb.912:
	s_andn2_b64 vcc, exec, s[42:43]
	s_cbranch_vccnz .LBB383_920
; %bb.913:
	v_mul_lo_u32 v22, v13, s36
	v_mul_lo_u32 v23, v12, s37
	v_mad_u64_u32 v[0:1], s[14:15], v12, s36, 0
	v_add3_u32 v1, v1, v23, v22
	v_mul_lo_u32 v25, v11, s36
	v_mul_lo_u32 v33, v10, s37
	v_mad_u64_u32 v[22:23], s[14:15], v10, s36, 0
	v_add3_u32 v23, v23, v33, v25
	v_lshl_add_u64 v[0:1], v[0:1], 2, s[38:39]
	v_lshl_add_u64 v[22:23], v[22:23], 2, s[38:39]
	s_mov_b64 s[44:45], 0
	s_mov_b64 s[54:55], s[36:37]
                                        ; implicit-def: $sgpr30_sgpr31
                                        ; implicit-def: $sgpr46_sgpr47
                                        ; implicit-def: $sgpr50_sgpr51
                                        ; implicit-def: $sgpr48_sgpr49
                                        ; implicit-def: $sgpr52_sgpr53
	s_branch .LBB383_915
.LBB383_914:                            ;   in Loop: Header=BB383_915 Depth=1
	s_or_b64 exec, exec, s[56:57]
	s_and_b64 s[14:15], s[14:15], s[52:53]
	s_or_b64 s[14:15], vcc, s[14:15]
	s_and_b64 s[16:17], exec, s[50:51]
	s_or_b64 s[44:45], s[16:17], s[44:45]
	s_andn2_b64 s[16:17], s[52:53], exec
	s_and_b64 s[14:15], s[14:15], exec
	s_or_b64 s[52:53], s[16:17], s[14:15]
	s_andn2_b64 s[16:17], s[46:47], exec
	s_and_b64 s[46:47], s[48:49], exec
	s_or_b64 s[46:47], s[16:17], s[46:47]
	s_andn2_b64 s[16:17], s[30:31], exec
	s_or_b64 s[30:31], s[16:17], s[14:15]
	s_andn2_b64 exec, exec, s[44:45]
	s_cbranch_execz .LBB383_917
.LBB383_915:                            ; =>This Inner Loop Header: Depth=1
	global_load_dword v25, v[0:1], off
	global_load_dword v33, v[22:23], off
	s_or_b64 s[48:49], s[48:49], exec
	s_or_b64 s[50:51], s[50:51], exec
	s_waitcnt vmcnt(0)
	v_cmp_lt_i32_e32 vcc, v25, v33
	v_cmp_le_i32_e64 s[14:15], v25, v33
	v_cmp_eq_u32_e64 s[16:17], v25, v33
	s_and_saveexec_b64 s[56:57], s[16:17]
	s_cbranch_execz .LBB383_914
; %bb.916:                              ;   in Loop: Header=BB383_915 Depth=1
	s_add_u32 s54, s54, -1
	s_addc_u32 s55, s55, -1
	s_cmp_eq_u64 s[54:55], 0
	s_cselect_b64 s[16:17], -1, 0
	s_andn2_b64 s[50:51], s[50:51], exec
	s_and_b64 s[16:17], s[16:17], exec
	v_lshl_add_u64 v[0:1], v[0:1], 0, 4
	v_lshl_add_u64 v[22:23], v[22:23], 0, 4
	s_andn2_b64 s[48:49], s[48:49], exec
	s_or_b64 s[50:51], s[50:51], s[16:17]
	s_branch .LBB383_914
.LBB383_917:
	s_or_b64 exec, exec, s[44:45]
	s_and_saveexec_b64 s[14:15], s[46:47]
	s_xor_b64 s[14:15], exec, s[14:15]
; %bb.918:
	v_cndmask_b32_e64 v1, v11, v13, s[30:31]
	v_cndmask_b32_e64 v0, v10, v12, s[30:31]
	;; [unrolled: 1-line block ×4, first 2 shown]
	v_mov_b64_e32 v[10:11], v[0:1]
; %bb.919:
	s_or_b64 exec, exec, s[14:15]
.LBB383_920:
	s_or_b64 exec, exec, s[28:29]
	s_and_saveexec_b64 s[28:29], s[18:19]
	s_cbranch_execz .LBB383_929
; %bb.921:
	s_andn2_b64 vcc, exec, s[42:43]
	s_cbranch_vccnz .LBB383_929
; %bb.922:
	v_mul_lo_u32 v22, v9, s36
	v_mul_lo_u32 v23, v8, s37
	v_mad_u64_u32 v[0:1], s[14:15], v8, s36, 0
	v_add3_u32 v1, v1, v23, v22
	v_mul_lo_u32 v25, v7, s36
	v_mul_lo_u32 v33, v6, s37
	v_mad_u64_u32 v[22:23], s[14:15], v6, s36, 0
	v_add3_u32 v23, v23, v33, v25
	v_lshl_add_u64 v[0:1], v[0:1], 2, s[38:39]
	v_lshl_add_u64 v[22:23], v[22:23], 2, s[38:39]
	s_mov_b64 s[30:31], 0
	s_mov_b64 s[52:53], s[36:37]
                                        ; implicit-def: $sgpr18_sgpr19
                                        ; implicit-def: $sgpr44_sgpr45
                                        ; implicit-def: $sgpr48_sgpr49
                                        ; implicit-def: $sgpr46_sgpr47
                                        ; implicit-def: $sgpr50_sgpr51
	s_branch .LBB383_924
.LBB383_923:                            ;   in Loop: Header=BB383_924 Depth=1
	s_or_b64 exec, exec, s[54:55]
	s_and_b64 s[14:15], s[14:15], s[50:51]
	s_or_b64 s[14:15], vcc, s[14:15]
	s_and_b64 s[16:17], exec, s[48:49]
	s_or_b64 s[30:31], s[16:17], s[30:31]
	s_andn2_b64 s[16:17], s[50:51], exec
	s_and_b64 s[14:15], s[14:15], exec
	s_or_b64 s[50:51], s[16:17], s[14:15]
	s_andn2_b64 s[16:17], s[44:45], exec
	s_and_b64 s[44:45], s[46:47], exec
	s_or_b64 s[44:45], s[16:17], s[44:45]
	s_andn2_b64 s[16:17], s[18:19], exec
	s_or_b64 s[18:19], s[16:17], s[14:15]
	s_andn2_b64 exec, exec, s[30:31]
	s_cbranch_execz .LBB383_926
.LBB383_924:                            ; =>This Inner Loop Header: Depth=1
	global_load_dword v25, v[0:1], off
	global_load_dword v33, v[22:23], off
	s_or_b64 s[46:47], s[46:47], exec
	s_or_b64 s[48:49], s[48:49], exec
	s_waitcnt vmcnt(0)
	v_cmp_lt_i32_e32 vcc, v25, v33
	v_cmp_le_i32_e64 s[14:15], v25, v33
	v_cmp_eq_u32_e64 s[16:17], v25, v33
	s_and_saveexec_b64 s[54:55], s[16:17]
	s_cbranch_execz .LBB383_923
; %bb.925:                              ;   in Loop: Header=BB383_924 Depth=1
	s_add_u32 s52, s52, -1
	s_addc_u32 s53, s53, -1
	s_cmp_eq_u64 s[52:53], 0
	s_cselect_b64 s[16:17], -1, 0
	s_andn2_b64 s[48:49], s[48:49], exec
	s_and_b64 s[16:17], s[16:17], exec
	v_lshl_add_u64 v[0:1], v[0:1], 0, 4
	v_lshl_add_u64 v[22:23], v[22:23], 0, 4
	s_andn2_b64 s[46:47], s[46:47], exec
	s_or_b64 s[48:49], s[48:49], s[16:17]
	s_branch .LBB383_923
.LBB383_926:
	s_or_b64 exec, exec, s[30:31]
	s_and_saveexec_b64 s[14:15], s[44:45]
	s_xor_b64 s[14:15], exec, s[14:15]
; %bb.927:
	v_cndmask_b32_e64 v1, v7, v9, s[18:19]
	v_cndmask_b32_e64 v0, v6, v8, s[18:19]
	;; [unrolled: 1-line block ×4, first 2 shown]
	v_mov_b64_e32 v[6:7], v[0:1]
; %bb.928:
	s_or_b64 exec, exec, s[14:15]
.LBB383_929:
	s_or_b64 exec, exec, s[28:29]
	s_and_saveexec_b64 s[18:19], s[20:21]
	s_cbranch_execz .LBB383_938
; %bb.930:
	s_andn2_b64 vcc, exec, s[42:43]
	s_cbranch_vccnz .LBB383_938
; %bb.931:
	v_mul_lo_u32 v22, v5, s36
	v_mul_lo_u32 v23, v4, s37
	v_mad_u64_u32 v[0:1], s[14:15], v4, s36, 0
	v_add3_u32 v1, v1, v23, v22
	v_mul_lo_u32 v25, v3, s36
	v_mul_lo_u32 v33, v2, s37
	v_mad_u64_u32 v[22:23], s[14:15], v2, s36, 0
	v_add3_u32 v23, v23, v33, v25
	v_lshl_add_u64 v[0:1], v[0:1], 2, s[38:39]
	v_lshl_add_u64 v[22:23], v[22:23], 2, s[38:39]
	s_mov_b64 s[28:29], 0
	s_mov_b64 s[50:51], s[36:37]
                                        ; implicit-def: $sgpr20_sgpr21
                                        ; implicit-def: $sgpr30_sgpr31
                                        ; implicit-def: $sgpr46_sgpr47
                                        ; implicit-def: $sgpr44_sgpr45
                                        ; implicit-def: $sgpr48_sgpr49
	s_branch .LBB383_933
.LBB383_932:                            ;   in Loop: Header=BB383_933 Depth=1
	s_or_b64 exec, exec, s[52:53]
	s_and_b64 s[14:15], s[14:15], s[48:49]
	s_or_b64 s[14:15], vcc, s[14:15]
	s_and_b64 s[16:17], exec, s[46:47]
	s_or_b64 s[28:29], s[16:17], s[28:29]
	s_andn2_b64 s[16:17], s[48:49], exec
	s_and_b64 s[14:15], s[14:15], exec
	s_or_b64 s[48:49], s[16:17], s[14:15]
	s_andn2_b64 s[16:17], s[30:31], exec
	s_and_b64 s[30:31], s[44:45], exec
	s_or_b64 s[30:31], s[16:17], s[30:31]
	s_andn2_b64 s[16:17], s[20:21], exec
	s_or_b64 s[20:21], s[16:17], s[14:15]
	s_andn2_b64 exec, exec, s[28:29]
	s_cbranch_execz .LBB383_935
.LBB383_933:                            ; =>This Inner Loop Header: Depth=1
	global_load_dword v25, v[0:1], off
	global_load_dword v33, v[22:23], off
	s_or_b64 s[44:45], s[44:45], exec
	s_or_b64 s[46:47], s[46:47], exec
	s_waitcnt vmcnt(0)
	v_cmp_lt_i32_e32 vcc, v25, v33
	v_cmp_le_i32_e64 s[14:15], v25, v33
	v_cmp_eq_u32_e64 s[16:17], v25, v33
	s_and_saveexec_b64 s[52:53], s[16:17]
	s_cbranch_execz .LBB383_932
; %bb.934:                              ;   in Loop: Header=BB383_933 Depth=1
	s_add_u32 s50, s50, -1
	s_addc_u32 s51, s51, -1
	s_cmp_eq_u64 s[50:51], 0
	s_cselect_b64 s[16:17], -1, 0
	s_andn2_b64 s[46:47], s[46:47], exec
	s_and_b64 s[16:17], s[16:17], exec
	v_lshl_add_u64 v[0:1], v[0:1], 0, 4
	v_lshl_add_u64 v[22:23], v[22:23], 0, 4
	s_andn2_b64 s[44:45], s[44:45], exec
	s_or_b64 s[46:47], s[46:47], s[16:17]
	s_branch .LBB383_932
.LBB383_935:
	s_or_b64 exec, exec, s[28:29]
	s_and_saveexec_b64 s[14:15], s[30:31]
	s_xor_b64 s[14:15], exec, s[14:15]
; %bb.936:
	v_cndmask_b32_e64 v1, v3, v5, s[20:21]
	v_cndmask_b32_e64 v0, v2, v4, s[20:21]
	;; [unrolled: 1-line block ×4, first 2 shown]
	v_mov_b64_e32 v[2:3], v[0:1]
; %bb.937:
	s_or_b64 exec, exec, s[14:15]
.LBB383_938:
	s_or_b64 exec, exec, s[18:19]
	s_and_saveexec_b64 s[18:19], s[22:23]
	s_cbranch_execz .LBB383_947
; %bb.939:
	s_andn2_b64 vcc, exec, s[42:43]
	s_cbranch_vccnz .LBB383_947
; %bb.940:
	v_mul_lo_u32 v22, v11, s36
	v_mul_lo_u32 v23, v10, s37
	v_mad_u64_u32 v[0:1], s[14:15], v10, s36, 0
	v_add3_u32 v1, v1, v23, v22
	v_mul_lo_u32 v25, v17, s36
	v_mul_lo_u32 v33, v16, s37
	v_mad_u64_u32 v[22:23], s[14:15], v16, s36, 0
	v_add3_u32 v23, v23, v33, v25
	v_lshl_add_u64 v[0:1], v[0:1], 2, s[38:39]
	v_lshl_add_u64 v[22:23], v[22:23], 2, s[38:39]
	s_mov_b64 s[22:23], 0
	s_mov_b64 s[48:49], s[36:37]
                                        ; implicit-def: $sgpr20_sgpr21
                                        ; implicit-def: $sgpr28_sgpr29
                                        ; implicit-def: $sgpr44_sgpr45
                                        ; implicit-def: $sgpr30_sgpr31
                                        ; implicit-def: $sgpr46_sgpr47
	s_branch .LBB383_942
.LBB383_941:                            ;   in Loop: Header=BB383_942 Depth=1
	s_or_b64 exec, exec, s[50:51]
	s_and_b64 s[14:15], s[14:15], s[46:47]
	s_or_b64 s[14:15], vcc, s[14:15]
	s_and_b64 s[16:17], exec, s[44:45]
	s_or_b64 s[22:23], s[16:17], s[22:23]
	s_andn2_b64 s[16:17], s[46:47], exec
	s_and_b64 s[14:15], s[14:15], exec
	s_or_b64 s[46:47], s[16:17], s[14:15]
	s_andn2_b64 s[16:17], s[28:29], exec
	s_and_b64 s[28:29], s[30:31], exec
	s_or_b64 s[28:29], s[16:17], s[28:29]
	s_andn2_b64 s[16:17], s[20:21], exec
	s_or_b64 s[20:21], s[16:17], s[14:15]
	s_andn2_b64 exec, exec, s[22:23]
	s_cbranch_execz .LBB383_944
.LBB383_942:                            ; =>This Inner Loop Header: Depth=1
	global_load_dword v25, v[0:1], off
	global_load_dword v33, v[22:23], off
	s_or_b64 s[30:31], s[30:31], exec
	s_or_b64 s[44:45], s[44:45], exec
	s_waitcnt vmcnt(0)
	v_cmp_lt_i32_e32 vcc, v25, v33
	v_cmp_le_i32_e64 s[14:15], v25, v33
	v_cmp_eq_u32_e64 s[16:17], v25, v33
	s_and_saveexec_b64 s[50:51], s[16:17]
	s_cbranch_execz .LBB383_941
; %bb.943:                              ;   in Loop: Header=BB383_942 Depth=1
	s_add_u32 s48, s48, -1
	s_addc_u32 s49, s49, -1
	s_cmp_eq_u64 s[48:49], 0
	s_cselect_b64 s[16:17], -1, 0
	s_andn2_b64 s[44:45], s[44:45], exec
	s_and_b64 s[16:17], s[16:17], exec
	v_lshl_add_u64 v[0:1], v[0:1], 0, 4
	v_lshl_add_u64 v[22:23], v[22:23], 0, 4
	s_andn2_b64 s[30:31], s[30:31], exec
	s_or_b64 s[44:45], s[44:45], s[16:17]
	s_branch .LBB383_941
.LBB383_944:
	s_or_b64 exec, exec, s[22:23]
	s_and_saveexec_b64 s[14:15], s[28:29]
	s_xor_b64 s[14:15], exec, s[14:15]
; %bb.945:
	v_cndmask_b32_e64 v1, v17, v11, s[20:21]
	v_cndmask_b32_e64 v0, v16, v10, s[20:21]
	;; [unrolled: 1-line block ×4, first 2 shown]
	v_mov_b64_e32 v[16:17], v[0:1]
; %bb.946:
	s_or_b64 exec, exec, s[14:15]
.LBB383_947:
	s_or_b64 exec, exec, s[18:19]
	s_and_saveexec_b64 s[18:19], s[24:25]
	s_cbranch_execz .LBB383_956
; %bb.948:
	s_andn2_b64 vcc, exec, s[42:43]
	s_cbranch_vccnz .LBB383_956
; %bb.949:
	v_mul_lo_u32 v22, v7, s36
	v_mul_lo_u32 v23, v6, s37
	v_mad_u64_u32 v[0:1], s[14:15], v6, s36, 0
	v_add3_u32 v1, v1, v23, v22
	v_mul_lo_u32 v25, v13, s36
	v_mul_lo_u32 v33, v12, s37
	v_mad_u64_u32 v[22:23], s[14:15], v12, s36, 0
	v_add3_u32 v23, v23, v33, v25
	v_lshl_add_u64 v[0:1], v[0:1], 2, s[38:39]
	v_lshl_add_u64 v[22:23], v[22:23], 2, s[38:39]
	s_mov_b64 s[22:23], 0
	s_mov_b64 s[46:47], s[36:37]
                                        ; implicit-def: $sgpr20_sgpr21
                                        ; implicit-def: $sgpr24_sgpr25
                                        ; implicit-def: $sgpr30_sgpr31
                                        ; implicit-def: $sgpr28_sgpr29
                                        ; implicit-def: $sgpr44_sgpr45
	s_branch .LBB383_951
.LBB383_950:                            ;   in Loop: Header=BB383_951 Depth=1
	s_or_b64 exec, exec, s[48:49]
	s_and_b64 s[14:15], s[14:15], s[44:45]
	s_or_b64 s[14:15], vcc, s[14:15]
	s_and_b64 s[16:17], exec, s[30:31]
	s_or_b64 s[22:23], s[16:17], s[22:23]
	s_andn2_b64 s[16:17], s[44:45], exec
	s_and_b64 s[14:15], s[14:15], exec
	s_or_b64 s[44:45], s[16:17], s[14:15]
	s_andn2_b64 s[16:17], s[24:25], exec
	s_and_b64 s[24:25], s[28:29], exec
	s_or_b64 s[24:25], s[16:17], s[24:25]
	s_andn2_b64 s[16:17], s[20:21], exec
	s_or_b64 s[20:21], s[16:17], s[14:15]
	s_andn2_b64 exec, exec, s[22:23]
	s_cbranch_execz .LBB383_953
.LBB383_951:                            ; =>This Inner Loop Header: Depth=1
	global_load_dword v25, v[0:1], off
	global_load_dword v33, v[22:23], off
	s_or_b64 s[28:29], s[28:29], exec
	s_or_b64 s[30:31], s[30:31], exec
	s_waitcnt vmcnt(0)
	v_cmp_lt_i32_e32 vcc, v25, v33
	v_cmp_le_i32_e64 s[14:15], v25, v33
	v_cmp_eq_u32_e64 s[16:17], v25, v33
	s_and_saveexec_b64 s[48:49], s[16:17]
	s_cbranch_execz .LBB383_950
; %bb.952:                              ;   in Loop: Header=BB383_951 Depth=1
	s_add_u32 s46, s46, -1
	s_addc_u32 s47, s47, -1
	s_cmp_eq_u64 s[46:47], 0
	s_cselect_b64 s[16:17], -1, 0
	s_andn2_b64 s[30:31], s[30:31], exec
	s_and_b64 s[16:17], s[16:17], exec
	v_lshl_add_u64 v[0:1], v[0:1], 0, 4
	v_lshl_add_u64 v[22:23], v[22:23], 0, 4
	s_andn2_b64 s[28:29], s[28:29], exec
	s_or_b64 s[30:31], s[30:31], s[16:17]
	s_branch .LBB383_950
.LBB383_953:
	s_or_b64 exec, exec, s[22:23]
	s_and_saveexec_b64 s[14:15], s[24:25]
	s_xor_b64 s[14:15], exec, s[14:15]
; %bb.954:
	v_cndmask_b32_e64 v1, v13, v7, s[20:21]
	v_cndmask_b32_e64 v0, v12, v6, s[20:21]
	;; [unrolled: 1-line block ×4, first 2 shown]
	v_mov_b64_e32 v[12:13], v[0:1]
; %bb.955:
	s_or_b64 exec, exec, s[14:15]
.LBB383_956:
	s_or_b64 exec, exec, s[18:19]
	s_and_saveexec_b64 s[18:19], s[26:27]
	s_cbranch_execz .LBB383_965
; %bb.957:
	s_andn2_b64 vcc, exec, s[42:43]
	s_cbranch_vccnz .LBB383_965
; %bb.958:
	v_mul_lo_u32 v22, v3, s36
	v_mul_lo_u32 v23, v2, s37
	v_mad_u64_u32 v[0:1], s[14:15], v2, s36, 0
	v_add3_u32 v1, v1, v23, v22
	v_mul_lo_u32 v25, v9, s36
	v_mul_lo_u32 v33, v8, s37
	v_mad_u64_u32 v[22:23], s[14:15], v8, s36, 0
	v_add3_u32 v23, v23, v33, v25
	v_lshl_add_u64 v[0:1], v[0:1], 2, s[38:39]
	v_lshl_add_u64 v[22:23], v[22:23], 2, s[38:39]
	s_mov_b64 s[22:23], 0
	s_mov_b64 s[44:45], s[36:37]
                                        ; implicit-def: $sgpr20_sgpr21
                                        ; implicit-def: $sgpr24_sgpr25
                                        ; implicit-def: $sgpr28_sgpr29
                                        ; implicit-def: $sgpr26_sgpr27
                                        ; implicit-def: $sgpr30_sgpr31
	s_branch .LBB383_960
.LBB383_959:                            ;   in Loop: Header=BB383_960 Depth=1
	s_or_b64 exec, exec, s[46:47]
	s_and_b64 s[14:15], s[14:15], s[30:31]
	s_or_b64 s[14:15], vcc, s[14:15]
	s_and_b64 s[16:17], exec, s[28:29]
	s_or_b64 s[22:23], s[16:17], s[22:23]
	s_andn2_b64 s[16:17], s[30:31], exec
	s_and_b64 s[14:15], s[14:15], exec
	s_or_b64 s[30:31], s[16:17], s[14:15]
	s_andn2_b64 s[16:17], s[24:25], exec
	s_and_b64 s[24:25], s[26:27], exec
	s_or_b64 s[24:25], s[16:17], s[24:25]
	s_andn2_b64 s[16:17], s[20:21], exec
	s_or_b64 s[20:21], s[16:17], s[14:15]
	s_andn2_b64 exec, exec, s[22:23]
	s_cbranch_execz .LBB383_962
.LBB383_960:                            ; =>This Inner Loop Header: Depth=1
	global_load_dword v25, v[0:1], off
	global_load_dword v33, v[22:23], off
	s_or_b64 s[26:27], s[26:27], exec
	s_or_b64 s[28:29], s[28:29], exec
	s_waitcnt vmcnt(0)
	v_cmp_lt_i32_e32 vcc, v25, v33
	v_cmp_le_i32_e64 s[14:15], v25, v33
	v_cmp_eq_u32_e64 s[16:17], v25, v33
	s_and_saveexec_b64 s[46:47], s[16:17]
	s_cbranch_execz .LBB383_959
; %bb.961:                              ;   in Loop: Header=BB383_960 Depth=1
	s_add_u32 s44, s44, -1
	s_addc_u32 s45, s45, -1
	s_cmp_eq_u64 s[44:45], 0
	s_cselect_b64 s[16:17], -1, 0
	s_andn2_b64 s[28:29], s[28:29], exec
	s_and_b64 s[16:17], s[16:17], exec
	v_lshl_add_u64 v[0:1], v[0:1], 0, 4
	v_lshl_add_u64 v[22:23], v[22:23], 0, 4
	s_andn2_b64 s[26:27], s[26:27], exec
	s_or_b64 s[28:29], s[28:29], s[16:17]
	s_branch .LBB383_959
.LBB383_962:
	s_or_b64 exec, exec, s[22:23]
	s_and_saveexec_b64 s[14:15], s[24:25]
	s_xor_b64 s[14:15], exec, s[14:15]
; %bb.963:
	v_cndmask_b32_e64 v1, v9, v3, s[20:21]
	v_cndmask_b32_e64 v0, v8, v2, s[20:21]
	;; [unrolled: 1-line block ×4, first 2 shown]
	v_mov_b64_e32 v[8:9], v[0:1]
; %bb.964:
	s_or_b64 exec, exec, s[14:15]
.LBB383_965:
	s_or_b64 exec, exec, s[18:19]
	v_mbcnt_lo_u32_b32 v0, -1, 0
	v_mbcnt_hi_u32_b32 v0, -1, v0
	v_and_b32_e32 v1, 0xfffffe00, v24
	v_lshlrev_b32_e32 v33, 3, v1
	v_lshlrev_b32_e32 v35, 3, v0
	v_sub_u32_e64 v34, s33, v1 clamp
	v_lshl_add_u32 v36, v0, 6, v33
	v_or_b32_e32 v0, 8, v35
	v_min_u32_e32 v24, v34, v0
	v_add_u32_e32 v0, 8, v24
	v_and_b32_e32 v39, 0x3f0, v35
	v_min_u32_e32 v25, v34, v0
	v_and_b32_e32 v0, 8, v35
	v_min_u32_e32 v40, v34, v0
	v_sub_u32_e32 v0, v24, v39
	v_sub_u32_e32 v1, v25, v24
	v_sub_u32_e64 v38, v40, v1 clamp
	v_min_u32_e32 v41, v40, v0
	v_lshl_add_u32 v37, v39, 3, v33
	v_cmp_lt_u32_e32 vcc, v38, v41
	ds_write_b128 v36, v[14:17]
	ds_write_b128 v36, v[10:13] offset:16
	ds_write_b128 v36, v[6:9] offset:32
	;; [unrolled: 1-line block ×3, first 2 shown]
	; wave barrier
	s_and_saveexec_b64 s[20:21], vcc
	s_cbranch_execz .LBB383_975
; %bb.966:
	v_lshlrev_b32_e32 v0, 3, v24
	v_lshlrev_b32_e32 v1, 3, v40
	v_add3_u32 v42, v33, v0, v1
	v_cndmask_b32_e64 v0, 0, 1, s[42:43]
	s_lshl_b64 s[24:25], s[36:37], 2
	s_mov_b64 s[22:23], 0
	v_cmp_ne_u32_e64 s[14:15], 1, v0
	s_branch .LBB383_969
.LBB383_967:                            ;   in Loop: Header=BB383_969 Depth=1
	s_or_b64 exec, exec, s[28:29]
.LBB383_968:                            ;   in Loop: Header=BB383_969 Depth=1
	v_add_u32_e32 v0, 1, v43
	v_cndmask_b32_e64 v41, v41, v43, s[26:27]
	v_cndmask_b32_e64 v38, v0, v38, s[26:27]
	v_cmp_ge_u32_e32 vcc, v38, v41
	s_or_b64 s[22:23], vcc, s[22:23]
	s_andn2_b64 exec, exec, s[22:23]
	s_cbranch_execz .LBB383_974
.LBB383_969:                            ; =>This Loop Header: Depth=1
                                        ;     Child Loop BB383_972 Depth 2
	v_add_u32_e32 v0, v41, v38
	v_lshrrev_b32_e32 v43, 1, v0
	s_and_b64 vcc, exec, s[14:15]
	s_mov_b64 s[26:27], 0
	s_cbranch_vccnz .LBB383_968
; %bb.970:                              ;   in Loop: Header=BB383_969 Depth=1
	v_not_b32_e32 v0, v43
	v_lshl_add_u32 v0, v0, 3, v42
	ds_read_b64 v[0:1], v0
	v_lshl_add_u32 v44, v43, 3, v37
	ds_read_b64 v[44:45], v44
	v_mov_b64_e32 v[22:23], s[38:39]
	s_mov_b64 s[28:29], 0
	s_waitcnt lgkmcnt(1)
	v_mul_lo_u32 v46, s24, v1
	v_mul_lo_u32 v47, s25, v0
	v_mad_u64_u32 v[0:1], s[16:17], s24, v0, v[22:23]
	v_add3_u32 v1, v47, v1, v46
	s_waitcnt lgkmcnt(0)
	v_mul_lo_u32 v45, s24, v45
	v_mul_lo_u32 v46, s25, v44
	v_mad_u64_u32 v[22:23], s[16:17], s24, v44, v[22:23]
	v_add3_u32 v23, v46, v23, v45
	s_mov_b64 s[44:45], s[36:37]
                                        ; implicit-def: $sgpr26_sgpr27
                                        ; implicit-def: $sgpr30_sgpr31
                                        ; implicit-def: $sgpr16_sgpr17
                                        ; implicit-def: $sgpr46_sgpr47
	s_branch .LBB383_972
.LBB383_971:                            ;   in Loop: Header=BB383_972 Depth=2
	s_or_b64 exec, exec, s[50:51]
	s_and_b64 s[18:19], exec, s[30:31]
	s_or_b64 s[28:29], s[18:19], s[28:29]
	s_andn2_b64 s[18:19], s[46:47], exec
	s_and_b64 s[46:47], s[48:49], exec
	s_or_b64 s[46:47], s[18:19], s[46:47]
	s_andn2_b64 s[18:19], s[26:27], exec
	s_and_b64 s[26:27], s[16:17], exec
	s_or_b64 s[26:27], s[18:19], s[26:27]
	s_andn2_b64 exec, exec, s[28:29]
	s_cbranch_execz .LBB383_967
.LBB383_972:                            ;   Parent Loop BB383_969 Depth=1
                                        ; =>  This Inner Loop Header: Depth=2
	global_load_dword v44, v[0:1], off
	global_load_dword v45, v[22:23], off
	s_andn2_b64 s[50:51], s[16:17], exec
	s_or_b64 s[30:31], s[30:31], exec
	s_waitcnt vmcnt(0)
	v_cmp_le_i32_e64 s[16:17], v44, v45
	v_cmp_lt_i32_e32 vcc, v44, v45
	s_and_b64 s[16:17], s[16:17], s[46:47]
	s_or_b64 s[48:49], vcc, s[16:17]
	s_and_b64 s[16:17], s[48:49], exec
	v_cmp_eq_u32_e64 s[18:19], v44, v45
	s_or_b64 s[16:17], s[50:51], s[16:17]
	s_and_saveexec_b64 s[50:51], s[18:19]
	s_cbranch_execz .LBB383_971
; %bb.973:                              ;   in Loop: Header=BB383_972 Depth=2
	s_add_u32 s44, s44, -1
	s_addc_u32 s45, s45, -1
	s_cmp_eq_u64 s[44:45], 0
	s_cselect_b64 s[18:19], -1, 0
	s_andn2_b64 s[30:31], s[30:31], exec
	s_and_b64 s[18:19], s[18:19], exec
	v_lshl_add_u64 v[0:1], v[0:1], 0, 4
	v_lshl_add_u64 v[22:23], v[22:23], 0, 4
	s_andn2_b64 s[16:17], s[16:17], exec
	s_or_b64 s[30:31], s[30:31], s[18:19]
                                        ; implicit-def: $sgpr46_sgpr47
	s_branch .LBB383_971
.LBB383_974:
	s_or_b64 exec, exec, s[22:23]
.LBB383_975:
	s_or_b64 exec, exec, s[20:21]
	v_add_u32_e32 v0, v24, v40
	v_add_u32_e32 v23, v38, v39
	v_sub_u32_e32 v39, v0, v38
	v_cmp_le_u32_e32 vcc, v23, v24
	v_cmp_le_u32_e64 s[14:15], v39, v25
	s_or_b64 s[14:15], vcc, s[14:15]
	s_and_saveexec_b64 s[18:19], s[14:15]
	s_cbranch_execz .LBB383_1066
; %bb.976:
	v_cmp_ge_u32_e32 vcc, v23, v24
	v_cmp_lt_u32_e64 s[14:15], v23, v24
                                        ; implicit-def: $vgpr0_vgpr1
	s_and_saveexec_b64 s[16:17], s[14:15]
; %bb.977:
	v_lshl_add_u32 v0, v38, 3, v37
	ds_read_b64 v[0:1], v0
; %bb.978:
	s_or_b64 exec, exec, s[16:17]
	v_cmp_ge_u32_e64 s[20:21], v39, v25
	v_cmp_lt_u32_e64 s[14:15], v39, v25
                                        ; implicit-def: $vgpr2_vgpr3
	s_and_saveexec_b64 s[16:17], s[14:15]
; %bb.979:
	v_lshl_add_u32 v2, v39, 3, v33
	ds_read_b64 v[2:3], v2
; %bb.980:
	s_or_b64 exec, exec, s[16:17]
	s_nor_b64 s[14:15], vcc, s[20:21]
	s_and_saveexec_b64 s[22:23], s[14:15]
	s_cbranch_execz .LBB383_989
; %bb.981:
	s_andn2_b64 vcc, exec, s[42:43]
	s_cbranch_vccnz .LBB383_987
; %bb.982:
	s_waitcnt lgkmcnt(0)
	v_mul_lo_u32 v6, v3, s36
	v_mul_lo_u32 v7, v2, s37
	v_mad_u64_u32 v[4:5], s[14:15], v2, s36, 0
	v_add3_u32 v5, v5, v7, v6
	v_mul_lo_u32 v8, v1, s36
	v_mul_lo_u32 v9, v0, s37
	v_mad_u64_u32 v[6:7], s[14:15], v0, s36, 0
	v_add3_u32 v7, v7, v9, v8
	v_lshl_add_u64 v[4:5], v[4:5], 2, s[38:39]
	v_lshl_add_u64 v[6:7], v[6:7], 2, s[38:39]
	s_mov_b64 s[24:25], 0
	s_mov_b64 s[30:31], s[36:37]
                                        ; implicit-def: $sgpr26_sgpr27
                                        ; implicit-def: $sgpr28_sgpr29
                                        ; implicit-def: $sgpr14_sgpr15
                                        ; implicit-def: $sgpr44_sgpr45
	s_branch .LBB383_984
.LBB383_983:                            ;   in Loop: Header=BB383_984 Depth=1
	s_or_b64 exec, exec, s[48:49]
	s_and_b64 s[16:17], exec, s[28:29]
	s_or_b64 s[24:25], s[16:17], s[24:25]
	s_andn2_b64 s[16:17], s[44:45], exec
	s_and_b64 s[44:45], s[46:47], exec
	s_or_b64 s[44:45], s[16:17], s[44:45]
	s_andn2_b64 s[16:17], s[26:27], exec
	s_and_b64 s[26:27], s[14:15], exec
	s_or_b64 s[26:27], s[16:17], s[26:27]
	s_andn2_b64 exec, exec, s[24:25]
	s_cbranch_execz .LBB383_986
.LBB383_984:                            ; =>This Inner Loop Header: Depth=1
	global_load_dword v8, v[4:5], off
	global_load_dword v9, v[6:7], off
	s_andn2_b64 s[48:49], s[14:15], exec
	s_or_b64 s[28:29], s[28:29], exec
	s_waitcnt vmcnt(0)
	v_cmp_le_i32_e64 s[14:15], v8, v9
	v_cmp_lt_i32_e32 vcc, v8, v9
	s_and_b64 s[14:15], s[14:15], s[44:45]
	s_or_b64 s[46:47], vcc, s[14:15]
	s_and_b64 s[14:15], s[46:47], exec
	v_cmp_eq_u32_e64 s[16:17], v8, v9
	s_or_b64 s[14:15], s[48:49], s[14:15]
	s_and_saveexec_b64 s[48:49], s[16:17]
	s_cbranch_execz .LBB383_983
; %bb.985:                              ;   in Loop: Header=BB383_984 Depth=1
	s_add_u32 s30, s30, -1
	s_addc_u32 s31, s31, -1
	s_cmp_eq_u64 s[30:31], 0
	s_cselect_b64 s[16:17], -1, 0
	s_andn2_b64 s[28:29], s[28:29], exec
	s_and_b64 s[16:17], s[16:17], exec
	v_lshl_add_u64 v[4:5], v[4:5], 0, 4
	v_lshl_add_u64 v[6:7], v[6:7], 0, 4
	s_andn2_b64 s[14:15], s[14:15], exec
	s_or_b64 s[28:29], s[28:29], s[16:17]
                                        ; implicit-def: $sgpr44_sgpr45
	s_branch .LBB383_983
.LBB383_986:
	s_or_b64 exec, exec, s[24:25]
	s_xor_b64 s[14:15], s[26:27], -1
	s_branch .LBB383_988
.LBB383_987:
	s_mov_b64 s[14:15], -1
.LBB383_988:
	s_andn2_b64 s[16:17], s[20:21], exec
	s_and_b64 s[14:15], s[14:15], exec
	s_or_b64 s[20:21], s[16:17], s[14:15]
.LBB383_989:
	s_or_b64 exec, exec, s[22:23]
	v_cndmask_b32_e64 v4, v39, v23, s[20:21]
	v_cndmask_b32_e64 v5, v25, v24, s[20:21]
	v_add_u32_e32 v6, 1, v4
	v_add_u32_e32 v4, -1, v5
	v_min_u32_e32 v4, v6, v4
	v_lshl_add_u32 v4, v4, 3, v33
	ds_read_b64 v[4:5], v4
	v_cndmask_b32_e64 v8, v6, v39, s[20:21]
	v_cndmask_b32_e64 v9, v23, v6, s[20:21]
	v_cmp_lt_u32_e32 vcc, v8, v25
	s_mov_b64 s[24:25], -1
	s_waitcnt lgkmcnt(0)
	v_cndmask_b32_e64 v14, v5, v3, s[20:21]
	v_cndmask_b32_e64 v15, v4, v2, s[20:21]
	;; [unrolled: 1-line block ×4, first 2 shown]
	s_mov_b64 s[22:23], -1
	s_and_saveexec_b64 s[26:27], vcc
	s_cbranch_execz .LBB383_1000
; %bb.990:
	v_cmp_lt_u32_e32 vcc, v9, v24
	s_mov_b64 s[14:15], 0
	s_and_saveexec_b64 s[22:23], vcc
	s_cbranch_execz .LBB383_999
; %bb.991:
	s_andn2_b64 vcc, exec, s[42:43]
	s_cbranch_vccnz .LBB383_997
; %bb.992:
	v_mul_lo_u32 v6, v14, s36
	v_mul_lo_u32 v7, v15, s37
	v_mad_u64_u32 v[4:5], s[14:15], v15, s36, 0
	v_add3_u32 v5, v5, v7, v6
	v_mul_lo_u32 v10, v16, s36
	v_mul_lo_u32 v11, v22, s37
	v_mad_u64_u32 v[6:7], s[14:15], v22, s36, 0
	v_add3_u32 v7, v7, v11, v10
	v_lshl_add_u64 v[4:5], v[4:5], 2, s[38:39]
	v_lshl_add_u64 v[6:7], v[6:7], 2, s[38:39]
	s_mov_b64 s[28:29], 0
	s_mov_b64 s[46:47], s[36:37]
                                        ; implicit-def: $sgpr30_sgpr31
                                        ; implicit-def: $sgpr44_sgpr45
                                        ; implicit-def: $sgpr14_sgpr15
                                        ; implicit-def: $sgpr48_sgpr49
	s_branch .LBB383_994
.LBB383_993:                            ;   in Loop: Header=BB383_994 Depth=1
	s_or_b64 exec, exec, s[52:53]
	s_and_b64 s[16:17], exec, s[44:45]
	s_or_b64 s[28:29], s[16:17], s[28:29]
	s_andn2_b64 s[16:17], s[48:49], exec
	s_and_b64 s[48:49], s[50:51], exec
	s_or_b64 s[48:49], s[16:17], s[48:49]
	s_andn2_b64 s[16:17], s[30:31], exec
	s_and_b64 s[30:31], s[14:15], exec
	s_or_b64 s[30:31], s[16:17], s[30:31]
	s_andn2_b64 exec, exec, s[28:29]
	s_cbranch_execz .LBB383_996
.LBB383_994:                            ; =>This Inner Loop Header: Depth=1
	global_load_dword v10, v[4:5], off
	global_load_dword v11, v[6:7], off
	s_andn2_b64 s[52:53], s[14:15], exec
	s_or_b64 s[44:45], s[44:45], exec
	s_waitcnt vmcnt(0)
	v_cmp_le_i32_e64 s[14:15], v10, v11
	v_cmp_lt_i32_e32 vcc, v10, v11
	s_and_b64 s[14:15], s[14:15], s[48:49]
	s_or_b64 s[50:51], vcc, s[14:15]
	s_and_b64 s[14:15], s[50:51], exec
	v_cmp_eq_u32_e64 s[16:17], v10, v11
	s_or_b64 s[14:15], s[52:53], s[14:15]
	s_and_saveexec_b64 s[52:53], s[16:17]
	s_cbranch_execz .LBB383_993
; %bb.995:                              ;   in Loop: Header=BB383_994 Depth=1
	s_add_u32 s46, s46, -1
	s_addc_u32 s47, s47, -1
	s_cmp_eq_u64 s[46:47], 0
	s_cselect_b64 s[16:17], -1, 0
	s_andn2_b64 s[44:45], s[44:45], exec
	s_and_b64 s[16:17], s[16:17], exec
	v_lshl_add_u64 v[4:5], v[4:5], 0, 4
	v_lshl_add_u64 v[6:7], v[6:7], 0, 4
	s_andn2_b64 s[14:15], s[14:15], exec
	s_or_b64 s[44:45], s[44:45], s[16:17]
                                        ; implicit-def: $sgpr48_sgpr49
	s_branch .LBB383_993
.LBB383_996:
	s_or_b64 exec, exec, s[28:29]
	s_xor_b64 s[14:15], s[30:31], -1
	s_branch .LBB383_998
.LBB383_997:
	s_mov_b64 s[14:15], -1
.LBB383_998:
	s_and_b64 s[14:15], s[14:15], exec
.LBB383_999:
	s_or_b64 exec, exec, s[22:23]
	s_orn2_b64 s[22:23], s[14:15], exec
.LBB383_1000:
	s_or_b64 exec, exec, s[26:27]
	v_cndmask_b32_e64 v4, v8, v9, s[22:23]
	v_cndmask_b32_e64 v5, v25, v24, s[22:23]
	v_add_u32_e32 v6, 1, v4
	v_add_u32_e32 v4, -1, v5
	v_min_u32_e32 v4, v6, v4
	v_lshl_add_u32 v4, v4, 3, v33
	ds_read_b64 v[4:5], v4
	v_cndmask_b32_e64 v8, v6, v8, s[22:23]
	v_cndmask_b32_e64 v9, v9, v6, s[22:23]
	v_cmp_lt_u32_e32 vcc, v8, v25
	s_waitcnt lgkmcnt(0)
	v_cndmask_b32_e64 v10, v5, v14, s[22:23]
	v_cndmask_b32_e64 v17, v4, v15, s[22:23]
	v_cndmask_b32_e64 v11, v16, v5, s[22:23]
	v_cndmask_b32_e64 v23, v22, v4, s[22:23]
	s_and_saveexec_b64 s[26:27], vcc
	s_cbranch_execz .LBB383_1011
; %bb.1001:
	v_cmp_lt_u32_e32 vcc, v9, v24
	s_mov_b64 s[14:15], 0
	s_and_saveexec_b64 s[24:25], vcc
	s_cbranch_execz .LBB383_1010
; %bb.1002:
	s_andn2_b64 vcc, exec, s[42:43]
	s_cbranch_vccnz .LBB383_1008
; %bb.1003:
	v_mul_lo_u32 v6, v10, s36
	v_mul_lo_u32 v7, v17, s37
	v_mad_u64_u32 v[4:5], s[14:15], v17, s36, 0
	v_add3_u32 v5, v5, v7, v6
	v_mul_lo_u32 v12, v11, s36
	v_mul_lo_u32 v13, v23, s37
	v_mad_u64_u32 v[6:7], s[14:15], v23, s36, 0
	v_add3_u32 v7, v7, v13, v12
	v_lshl_add_u64 v[4:5], v[4:5], 2, s[38:39]
	v_lshl_add_u64 v[6:7], v[6:7], 2, s[38:39]
	s_mov_b64 s[28:29], 0
	s_mov_b64 s[46:47], s[36:37]
                                        ; implicit-def: $sgpr30_sgpr31
                                        ; implicit-def: $sgpr44_sgpr45
                                        ; implicit-def: $sgpr14_sgpr15
                                        ; implicit-def: $sgpr48_sgpr49
	s_branch .LBB383_1005
.LBB383_1004:                           ;   in Loop: Header=BB383_1005 Depth=1
	s_or_b64 exec, exec, s[52:53]
	s_and_b64 s[16:17], exec, s[44:45]
	s_or_b64 s[28:29], s[16:17], s[28:29]
	s_andn2_b64 s[16:17], s[48:49], exec
	s_and_b64 s[48:49], s[50:51], exec
	s_or_b64 s[48:49], s[16:17], s[48:49]
	s_andn2_b64 s[16:17], s[30:31], exec
	s_and_b64 s[30:31], s[14:15], exec
	s_or_b64 s[30:31], s[16:17], s[30:31]
	s_andn2_b64 exec, exec, s[28:29]
	s_cbranch_execz .LBB383_1007
.LBB383_1005:                           ; =>This Inner Loop Header: Depth=1
	global_load_dword v12, v[4:5], off
	global_load_dword v13, v[6:7], off
	s_andn2_b64 s[52:53], s[14:15], exec
	s_or_b64 s[44:45], s[44:45], exec
	s_waitcnt vmcnt(0)
	v_cmp_le_i32_e64 s[14:15], v12, v13
	v_cmp_lt_i32_e32 vcc, v12, v13
	s_and_b64 s[14:15], s[14:15], s[48:49]
	s_or_b64 s[50:51], vcc, s[14:15]
	s_and_b64 s[14:15], s[50:51], exec
	v_cmp_eq_u32_e64 s[16:17], v12, v13
	s_or_b64 s[14:15], s[52:53], s[14:15]
	s_and_saveexec_b64 s[52:53], s[16:17]
	s_cbranch_execz .LBB383_1004
; %bb.1006:                             ;   in Loop: Header=BB383_1005 Depth=1
	s_add_u32 s46, s46, -1
	s_addc_u32 s47, s47, -1
	s_cmp_eq_u64 s[46:47], 0
	s_cselect_b64 s[16:17], -1, 0
	s_andn2_b64 s[44:45], s[44:45], exec
	s_and_b64 s[16:17], s[16:17], exec
	v_lshl_add_u64 v[4:5], v[4:5], 0, 4
	v_lshl_add_u64 v[6:7], v[6:7], 0, 4
	s_andn2_b64 s[14:15], s[14:15], exec
	s_or_b64 s[44:45], s[44:45], s[16:17]
                                        ; implicit-def: $sgpr48_sgpr49
	s_branch .LBB383_1004
.LBB383_1007:
	s_or_b64 exec, exec, s[28:29]
	s_xor_b64 s[14:15], s[30:31], -1
	s_branch .LBB383_1009
.LBB383_1008:
	s_mov_b64 s[14:15], -1
.LBB383_1009:
	s_and_b64 s[14:15], s[14:15], exec
.LBB383_1010:
	s_or_b64 exec, exec, s[24:25]
	s_orn2_b64 s[24:25], s[14:15], exec
.LBB383_1011:
	s_or_b64 exec, exec, s[26:27]
	v_cndmask_b32_e64 v4, v8, v9, s[24:25]
	v_cndmask_b32_e64 v5, v25, v24, s[24:25]
	v_add_u32_e32 v6, 1, v4
	v_add_u32_e32 v4, -1, v5
	v_min_u32_e32 v4, v6, v4
	v_lshl_add_u32 v4, v4, 3, v33
	ds_read_b64 v[4:5], v4
	v_cndmask_b32_e64 v8, v6, v8, s[24:25]
	v_cndmask_b32_e64 v9, v9, v6, s[24:25]
	v_cmp_lt_u32_e32 vcc, v8, v25
	s_mov_b64 s[28:29], -1
	s_waitcnt lgkmcnt(0)
	v_cndmask_b32_e64 v12, v5, v10, s[24:25]
	v_cndmask_b32_e64 v37, v4, v17, s[24:25]
	;; [unrolled: 1-line block ×4, first 2 shown]
	s_mov_b64 s[26:27], -1
	s_and_saveexec_b64 s[30:31], vcc
	s_cbranch_execz .LBB383_1022
; %bb.1012:
	v_cmp_lt_u32_e32 vcc, v9, v24
	s_mov_b64 s[14:15], 0
	s_and_saveexec_b64 s[26:27], vcc
	s_cbranch_execz .LBB383_1021
; %bb.1013:
	s_andn2_b64 vcc, exec, s[42:43]
	s_cbranch_vccnz .LBB383_1019
; %bb.1014:
	v_mul_lo_u32 v6, v12, s36
	v_mul_lo_u32 v7, v37, s37
	v_mad_u64_u32 v[4:5], s[14:15], v37, s36, 0
	v_add3_u32 v5, v5, v7, v6
	v_mul_lo_u32 v39, v13, s36
	v_mul_lo_u32 v40, v38, s37
	v_mad_u64_u32 v[6:7], s[14:15], v38, s36, 0
	v_add3_u32 v7, v7, v40, v39
	v_lshl_add_u64 v[4:5], v[4:5], 2, s[38:39]
	v_lshl_add_u64 v[6:7], v[6:7], 2, s[38:39]
	s_mov_b64 s[44:45], 0
	s_mov_b64 s[50:51], s[36:37]
                                        ; implicit-def: $sgpr46_sgpr47
                                        ; implicit-def: $sgpr48_sgpr49
                                        ; implicit-def: $sgpr14_sgpr15
                                        ; implicit-def: $sgpr52_sgpr53
	s_branch .LBB383_1016
.LBB383_1015:                           ;   in Loop: Header=BB383_1016 Depth=1
	s_or_b64 exec, exec, s[56:57]
	s_and_b64 s[16:17], exec, s[48:49]
	s_or_b64 s[44:45], s[16:17], s[44:45]
	s_andn2_b64 s[16:17], s[52:53], exec
	s_and_b64 s[52:53], s[54:55], exec
	s_or_b64 s[52:53], s[16:17], s[52:53]
	s_andn2_b64 s[16:17], s[46:47], exec
	s_and_b64 s[46:47], s[14:15], exec
	s_or_b64 s[46:47], s[16:17], s[46:47]
	s_andn2_b64 exec, exec, s[44:45]
	s_cbranch_execz .LBB383_1018
.LBB383_1016:                           ; =>This Inner Loop Header: Depth=1
	global_load_dword v39, v[4:5], off
	global_load_dword v40, v[6:7], off
	s_andn2_b64 s[56:57], s[14:15], exec
	s_or_b64 s[48:49], s[48:49], exec
	s_waitcnt vmcnt(0)
	v_cmp_le_i32_e64 s[14:15], v39, v40
	v_cmp_lt_i32_e32 vcc, v39, v40
	s_and_b64 s[14:15], s[14:15], s[52:53]
	s_or_b64 s[54:55], vcc, s[14:15]
	s_and_b64 s[14:15], s[54:55], exec
	v_cmp_eq_u32_e64 s[16:17], v39, v40
	s_or_b64 s[14:15], s[56:57], s[14:15]
	s_and_saveexec_b64 s[56:57], s[16:17]
	s_cbranch_execz .LBB383_1015
; %bb.1017:                             ;   in Loop: Header=BB383_1016 Depth=1
	s_add_u32 s50, s50, -1
	s_addc_u32 s51, s51, -1
	s_cmp_eq_u64 s[50:51], 0
	s_cselect_b64 s[16:17], -1, 0
	s_andn2_b64 s[48:49], s[48:49], exec
	s_and_b64 s[16:17], s[16:17], exec
	v_lshl_add_u64 v[4:5], v[4:5], 0, 4
	v_lshl_add_u64 v[6:7], v[6:7], 0, 4
	s_andn2_b64 s[14:15], s[14:15], exec
	s_or_b64 s[48:49], s[48:49], s[16:17]
                                        ; implicit-def: $sgpr52_sgpr53
	s_branch .LBB383_1015
.LBB383_1018:
	s_or_b64 exec, exec, s[44:45]
	s_xor_b64 s[14:15], s[46:47], -1
	s_branch .LBB383_1020
.LBB383_1019:
	s_mov_b64 s[14:15], -1
.LBB383_1020:
	s_and_b64 s[14:15], s[14:15], exec
.LBB383_1021:
	s_or_b64 exec, exec, s[26:27]
	s_orn2_b64 s[26:27], s[14:15], exec
.LBB383_1022:
	s_or_b64 exec, exec, s[30:31]
	v_cndmask_b32_e64 v4, v8, v9, s[26:27]
	v_cndmask_b32_e64 v5, v25, v24, s[26:27]
	v_add_u32_e32 v6, 1, v4
	v_add_u32_e32 v4, -1, v5
	v_min_u32_e32 v4, v6, v4
	v_lshl_add_u32 v4, v4, 3, v33
	ds_read_b64 v[4:5], v4
	v_cndmask_b32_e64 v45, v6, v8, s[26:27]
	v_cndmask_b32_e64 v46, v9, v6, s[26:27]
	v_cmp_lt_u32_e32 vcc, v45, v25
	s_waitcnt lgkmcnt(0)
	v_cndmask_b32_e64 v39, v5, v12, s[26:27]
	v_cndmask_b32_e64 v40, v4, v37, s[26:27]
	;; [unrolled: 1-line block ×4, first 2 shown]
	s_and_saveexec_b64 s[30:31], vcc
	s_cbranch_execz .LBB383_1033
; %bb.1023:
	v_cmp_lt_u32_e32 vcc, v46, v24
	s_mov_b64 s[14:15], 0
	s_and_saveexec_b64 s[28:29], vcc
	s_cbranch_execz .LBB383_1032
; %bb.1024:
	s_andn2_b64 vcc, exec, s[42:43]
	s_cbranch_vccnz .LBB383_1030
; %bb.1025:
	v_mul_lo_u32 v6, v39, s36
	v_mul_lo_u32 v7, v40, s37
	v_mad_u64_u32 v[4:5], s[14:15], v40, s36, 0
	v_add3_u32 v5, v5, v7, v6
	v_mul_lo_u32 v8, v41, s36
	v_mul_lo_u32 v9, v42, s37
	v_mad_u64_u32 v[6:7], s[14:15], v42, s36, 0
	v_add3_u32 v7, v7, v9, v8
	v_lshl_add_u64 v[4:5], v[4:5], 2, s[38:39]
	v_lshl_add_u64 v[6:7], v[6:7], 2, s[38:39]
	s_mov_b64 s[44:45], 0
	s_mov_b64 s[50:51], s[36:37]
                                        ; implicit-def: $sgpr46_sgpr47
                                        ; implicit-def: $sgpr48_sgpr49
                                        ; implicit-def: $sgpr14_sgpr15
                                        ; implicit-def: $sgpr52_sgpr53
	s_branch .LBB383_1027
.LBB383_1026:                           ;   in Loop: Header=BB383_1027 Depth=1
	s_or_b64 exec, exec, s[56:57]
	s_and_b64 s[16:17], exec, s[48:49]
	s_or_b64 s[44:45], s[16:17], s[44:45]
	s_andn2_b64 s[16:17], s[52:53], exec
	s_and_b64 s[52:53], s[54:55], exec
	s_or_b64 s[52:53], s[16:17], s[52:53]
	s_andn2_b64 s[16:17], s[46:47], exec
	s_and_b64 s[46:47], s[14:15], exec
	s_or_b64 s[46:47], s[16:17], s[46:47]
	s_andn2_b64 exec, exec, s[44:45]
	s_cbranch_execz .LBB383_1029
.LBB383_1027:                           ; =>This Inner Loop Header: Depth=1
	global_load_dword v8, v[4:5], off
	global_load_dword v9, v[6:7], off
	s_andn2_b64 s[56:57], s[14:15], exec
	s_or_b64 s[48:49], s[48:49], exec
	s_waitcnt vmcnt(0)
	v_cmp_le_i32_e64 s[14:15], v8, v9
	v_cmp_lt_i32_e32 vcc, v8, v9
	s_and_b64 s[14:15], s[14:15], s[52:53]
	s_or_b64 s[54:55], vcc, s[14:15]
	s_and_b64 s[14:15], s[54:55], exec
	v_cmp_eq_u32_e64 s[16:17], v8, v9
	s_or_b64 s[14:15], s[56:57], s[14:15]
	s_and_saveexec_b64 s[56:57], s[16:17]
	s_cbranch_execz .LBB383_1026
; %bb.1028:                             ;   in Loop: Header=BB383_1027 Depth=1
	s_add_u32 s50, s50, -1
	s_addc_u32 s51, s51, -1
	s_cmp_eq_u64 s[50:51], 0
	s_cselect_b64 s[16:17], -1, 0
	s_andn2_b64 s[48:49], s[48:49], exec
	s_and_b64 s[16:17], s[16:17], exec
	v_lshl_add_u64 v[4:5], v[4:5], 0, 4
	v_lshl_add_u64 v[6:7], v[6:7], 0, 4
	s_andn2_b64 s[14:15], s[14:15], exec
	s_or_b64 s[48:49], s[48:49], s[16:17]
                                        ; implicit-def: $sgpr52_sgpr53
	s_branch .LBB383_1026
.LBB383_1029:
	s_or_b64 exec, exec, s[44:45]
	s_xor_b64 s[14:15], s[46:47], -1
	s_branch .LBB383_1031
.LBB383_1030:
	s_mov_b64 s[14:15], -1
.LBB383_1031:
	s_and_b64 s[14:15], s[14:15], exec
.LBB383_1032:
	s_or_b64 exec, exec, s[28:29]
	s_orn2_b64 s[28:29], s[14:15], exec
.LBB383_1033:
	s_or_b64 exec, exec, s[30:31]
	v_cndmask_b32_e64 v4, v45, v46, s[28:29]
	v_cndmask_b32_e64 v5, v25, v24, s[28:29]
	v_add_u32_e32 v6, 1, v4
	v_add_u32_e32 v4, -1, v5
	v_min_u32_e32 v4, v6, v4
	v_lshl_add_u32 v4, v4, 3, v33
	ds_read_b64 v[4:5], v4
	v_cndmask_b32_e64 v47, v6, v45, s[28:29]
	v_cndmask_b32_e64 v51, v46, v6, s[28:29]
	v_cmp_lt_u32_e32 vcc, v47, v25
	s_mov_b64 s[30:31], -1
	s_waitcnt lgkmcnt(0)
	v_cndmask_b32_e64 v8, v5, v39, s[28:29]
	v_cndmask_b32_e64 v43, v4, v40, s[28:29]
	;; [unrolled: 1-line block ×4, first 2 shown]
	s_mov_b64 s[44:45], -1
	s_and_saveexec_b64 s[46:47], vcc
	s_cbranch_execz .LBB383_1044
; %bb.1034:
	v_cmp_lt_u32_e32 vcc, v51, v24
	s_mov_b64 s[14:15], 0
	s_and_saveexec_b64 s[44:45], vcc
	s_cbranch_execz .LBB383_1043
; %bb.1035:
	s_andn2_b64 vcc, exec, s[42:43]
	s_cbranch_vccnz .LBB383_1041
; %bb.1036:
	v_mul_lo_u32 v6, v8, s36
	v_mul_lo_u32 v7, v43, s37
	v_mad_u64_u32 v[4:5], s[14:15], v43, s36, 0
	v_add3_u32 v5, v5, v7, v6
	v_mul_lo_u32 v45, v9, s36
	v_mul_lo_u32 v46, v44, s37
	v_mad_u64_u32 v[6:7], s[14:15], v44, s36, 0
	v_add3_u32 v7, v7, v46, v45
	v_lshl_add_u64 v[4:5], v[4:5], 2, s[38:39]
	v_lshl_add_u64 v[6:7], v[6:7], 2, s[38:39]
	s_mov_b64 s[48:49], 0
	s_mov_b64 s[54:55], s[36:37]
                                        ; implicit-def: $sgpr50_sgpr51
                                        ; implicit-def: $sgpr52_sgpr53
                                        ; implicit-def: $sgpr14_sgpr15
                                        ; implicit-def: $sgpr56_sgpr57
	s_branch .LBB383_1038
.LBB383_1037:                           ;   in Loop: Header=BB383_1038 Depth=1
	s_or_b64 exec, exec, s[60:61]
	s_and_b64 s[16:17], exec, s[52:53]
	s_or_b64 s[48:49], s[16:17], s[48:49]
	s_andn2_b64 s[16:17], s[56:57], exec
	s_and_b64 s[56:57], s[58:59], exec
	s_or_b64 s[56:57], s[16:17], s[56:57]
	s_andn2_b64 s[16:17], s[50:51], exec
	s_and_b64 s[50:51], s[14:15], exec
	s_or_b64 s[50:51], s[16:17], s[50:51]
	s_andn2_b64 exec, exec, s[48:49]
	s_cbranch_execz .LBB383_1040
.LBB383_1038:                           ; =>This Inner Loop Header: Depth=1
	global_load_dword v45, v[4:5], off
	global_load_dword v46, v[6:7], off
	s_andn2_b64 s[60:61], s[14:15], exec
	s_or_b64 s[52:53], s[52:53], exec
	s_waitcnt vmcnt(0)
	v_cmp_le_i32_e64 s[14:15], v45, v46
	v_cmp_lt_i32_e32 vcc, v45, v46
	s_and_b64 s[14:15], s[14:15], s[56:57]
	s_or_b64 s[58:59], vcc, s[14:15]
	s_and_b64 s[14:15], s[58:59], exec
	v_cmp_eq_u32_e64 s[16:17], v45, v46
	s_or_b64 s[14:15], s[60:61], s[14:15]
	s_and_saveexec_b64 s[60:61], s[16:17]
	s_cbranch_execz .LBB383_1037
; %bb.1039:                             ;   in Loop: Header=BB383_1038 Depth=1
	s_add_u32 s54, s54, -1
	s_addc_u32 s55, s55, -1
	s_cmp_eq_u64 s[54:55], 0
	s_cselect_b64 s[16:17], -1, 0
	s_andn2_b64 s[52:53], s[52:53], exec
	s_and_b64 s[16:17], s[16:17], exec
	v_lshl_add_u64 v[4:5], v[4:5], 0, 4
	v_lshl_add_u64 v[6:7], v[6:7], 0, 4
	s_andn2_b64 s[14:15], s[14:15], exec
	s_or_b64 s[52:53], s[52:53], s[16:17]
                                        ; implicit-def: $sgpr56_sgpr57
	s_branch .LBB383_1037
.LBB383_1040:
	s_or_b64 exec, exec, s[48:49]
	s_xor_b64 s[14:15], s[50:51], -1
	s_branch .LBB383_1042
.LBB383_1041:
	s_mov_b64 s[14:15], -1
.LBB383_1042:
	s_and_b64 s[14:15], s[14:15], exec
.LBB383_1043:
	s_or_b64 exec, exec, s[44:45]
	s_orn2_b64 s[44:45], s[14:15], exec
.LBB383_1044:
	s_or_b64 exec, exec, s[46:47]
	v_cndmask_b32_e64 v4, v47, v51, s[44:45]
	v_cndmask_b32_e64 v5, v25, v24, s[44:45]
	v_add_u32_e32 v6, 1, v4
	v_add_u32_e32 v4, -1, v5
	v_min_u32_e32 v4, v6, v4
	v_lshl_add_u32 v4, v4, 3, v33
	ds_read_b64 v[4:5], v4
	v_cndmask_b32_e64 v48, v6, v47, s[44:45]
	v_cndmask_b32_e64 v47, v51, v6, s[44:45]
	v_cmp_lt_u32_e32 vcc, v48, v25
	s_waitcnt lgkmcnt(0)
	v_cndmask_b32_e64 v45, v5, v8, s[44:45]
	v_cndmask_b32_e64 v46, v4, v43, s[44:45]
	;; [unrolled: 1-line block ×4, first 2 shown]
	s_and_saveexec_b64 s[46:47], vcc
	s_cbranch_execz .LBB383_1055
; %bb.1045:
	v_cmp_lt_u32_e32 vcc, v47, v24
	s_mov_b64 s[14:15], 0
	s_and_saveexec_b64 s[30:31], vcc
	s_cbranch_execz .LBB383_1054
; %bb.1046:
	s_andn2_b64 vcc, exec, s[42:43]
	s_cbranch_vccnz .LBB383_1052
; %bb.1047:
	v_mul_lo_u32 v6, v45, s36
	v_mul_lo_u32 v7, v46, s37
	v_mad_u64_u32 v[4:5], s[14:15], v46, s36, 0
	v_add3_u32 v5, v5, v7, v6
	v_mul_lo_u32 v51, v49, s36
	v_mul_lo_u32 v52, v50, s37
	v_mad_u64_u32 v[6:7], s[14:15], v50, s36, 0
	v_add3_u32 v7, v7, v52, v51
	v_lshl_add_u64 v[4:5], v[4:5], 2, s[38:39]
	v_lshl_add_u64 v[6:7], v[6:7], 2, s[38:39]
	s_mov_b64 s[48:49], 0
	s_mov_b64 s[54:55], s[36:37]
                                        ; implicit-def: $sgpr50_sgpr51
                                        ; implicit-def: $sgpr52_sgpr53
                                        ; implicit-def: $sgpr14_sgpr15
                                        ; implicit-def: $sgpr56_sgpr57
	s_branch .LBB383_1049
.LBB383_1048:                           ;   in Loop: Header=BB383_1049 Depth=1
	s_or_b64 exec, exec, s[60:61]
	s_and_b64 s[16:17], exec, s[52:53]
	s_or_b64 s[48:49], s[16:17], s[48:49]
	s_andn2_b64 s[16:17], s[56:57], exec
	s_and_b64 s[56:57], s[58:59], exec
	s_or_b64 s[56:57], s[16:17], s[56:57]
	s_andn2_b64 s[16:17], s[50:51], exec
	s_and_b64 s[50:51], s[14:15], exec
	s_or_b64 s[50:51], s[16:17], s[50:51]
	s_andn2_b64 exec, exec, s[48:49]
	s_cbranch_execz .LBB383_1051
.LBB383_1049:                           ; =>This Inner Loop Header: Depth=1
	global_load_dword v51, v[4:5], off
	global_load_dword v52, v[6:7], off
	s_andn2_b64 s[60:61], s[14:15], exec
	s_or_b64 s[52:53], s[52:53], exec
	s_waitcnt vmcnt(0)
	v_cmp_le_i32_e64 s[14:15], v51, v52
	v_cmp_lt_i32_e32 vcc, v51, v52
	s_and_b64 s[14:15], s[14:15], s[56:57]
	s_or_b64 s[58:59], vcc, s[14:15]
	s_and_b64 s[14:15], s[58:59], exec
	v_cmp_eq_u32_e64 s[16:17], v51, v52
	s_or_b64 s[14:15], s[60:61], s[14:15]
	s_and_saveexec_b64 s[60:61], s[16:17]
	s_cbranch_execz .LBB383_1048
; %bb.1050:                             ;   in Loop: Header=BB383_1049 Depth=1
	s_add_u32 s54, s54, -1
	s_addc_u32 s55, s55, -1
	s_cmp_eq_u64 s[54:55], 0
	s_cselect_b64 s[16:17], -1, 0
	s_andn2_b64 s[52:53], s[52:53], exec
	s_and_b64 s[16:17], s[16:17], exec
	v_lshl_add_u64 v[4:5], v[4:5], 0, 4
	v_lshl_add_u64 v[6:7], v[6:7], 0, 4
	s_andn2_b64 s[14:15], s[14:15], exec
	s_or_b64 s[52:53], s[52:53], s[16:17]
                                        ; implicit-def: $sgpr56_sgpr57
	s_branch .LBB383_1048
.LBB383_1051:
	s_or_b64 exec, exec, s[48:49]
	s_xor_b64 s[14:15], s[50:51], -1
	s_branch .LBB383_1053
.LBB383_1052:
	s_mov_b64 s[14:15], -1
.LBB383_1053:
	s_and_b64 s[14:15], s[14:15], exec
.LBB383_1054:
	s_or_b64 exec, exec, s[30:31]
	s_orn2_b64 s[30:31], s[14:15], exec
.LBB383_1055:
	s_or_b64 exec, exec, s[46:47]
	v_cndmask_b32_e64 v4, v48, v47, s[30:31]
	v_cndmask_b32_e64 v5, v25, v24, s[30:31]
	;; [unrolled: 1-line block ×4, first 2 shown]
	v_add_u32_e32 v37, 1, v4
	v_add_u32_e32 v4, -1, v5
	v_min_u32_e32 v4, v37, v4
	v_lshl_add_u32 v4, v4, 3, v33
	v_cndmask_b32_e64 v11, v10, v11, s[24:25]
	v_cndmask_b32_e64 v10, v17, v23, s[24:25]
	;; [unrolled: 1-line block ×4, first 2 shown]
	ds_read_b64 v[22:23], v4
	v_cndmask_b32_e64 v14, v2, v0, s[20:21]
	v_cndmask_b32_e64 v0, v37, v48, s[30:31]
	;; [unrolled: 1-line block ×9, first 2 shown]
	s_waitcnt lgkmcnt(0)
	v_cndmask_b32_e64 v5, v49, v23, s[30:31]
	v_cndmask_b32_e64 v4, v50, v22, s[30:31]
	v_cmp_lt_u32_e32 vcc, v0, v25
	s_and_saveexec_b64 s[20:21], vcc
	s_cbranch_execz .LBB383_1065
; %bb.1056:
	v_cndmask_b32_e64 v0, v22, v46, s[30:31]
	v_cndmask_b32_e64 v22, v47, v37, s[30:31]
	;; [unrolled: 1-line block ×3, first 2 shown]
	v_cmp_lt_u32_e32 vcc, v22, v24
	s_and_saveexec_b64 s[22:23], vcc
	s_cbranch_execz .LBB383_1064
; %bb.1057:
	s_andn2_b64 vcc, exec, s[42:43]
	s_cbranch_vccnz .LBB383_1063
; %bb.1058:
	v_mul_lo_u32 v24, v1, s36
	v_mul_lo_u32 v25, v0, s37
	v_mad_u64_u32 v[22:23], s[14:15], v0, s36, 0
	v_add3_u32 v23, v23, v25, v24
	v_mul_lo_u32 v37, v5, s36
	v_mul_lo_u32 v38, v4, s37
	v_mad_u64_u32 v[24:25], s[14:15], v4, s36, 0
	v_add3_u32 v25, v25, v38, v37
	v_lshl_add_u64 v[22:23], v[22:23], 2, s[38:39]
	v_lshl_add_u64 v[24:25], v[24:25], 2, s[38:39]
	s_mov_b64 s[24:25], 0
	s_mov_b64 s[30:31], s[36:37]
                                        ; implicit-def: $sgpr26_sgpr27
                                        ; implicit-def: $sgpr28_sgpr29
                                        ; implicit-def: $sgpr14_sgpr15
                                        ; implicit-def: $sgpr44_sgpr45
	s_branch .LBB383_1060
.LBB383_1059:                           ;   in Loop: Header=BB383_1060 Depth=1
	s_or_b64 exec, exec, s[48:49]
	s_and_b64 s[16:17], exec, s[28:29]
	s_or_b64 s[24:25], s[16:17], s[24:25]
	s_andn2_b64 s[16:17], s[44:45], exec
	s_and_b64 s[44:45], s[46:47], exec
	s_or_b64 s[44:45], s[16:17], s[44:45]
	s_andn2_b64 s[16:17], s[26:27], exec
	s_and_b64 s[26:27], s[14:15], exec
	s_or_b64 s[26:27], s[16:17], s[26:27]
	s_andn2_b64 exec, exec, s[24:25]
	s_cbranch_execz .LBB383_1062
.LBB383_1060:                           ; =>This Inner Loop Header: Depth=1
	global_load_dword v37, v[22:23], off
	global_load_dword v38, v[24:25], off
	s_andn2_b64 s[48:49], s[14:15], exec
	s_or_b64 s[28:29], s[28:29], exec
	s_waitcnt vmcnt(0)
	v_cmp_le_i32_e64 s[14:15], v37, v38
	v_cmp_lt_i32_e32 vcc, v37, v38
	s_and_b64 s[14:15], s[14:15], s[44:45]
	s_or_b64 s[46:47], vcc, s[14:15]
	s_and_b64 s[14:15], s[46:47], exec
	v_cmp_eq_u32_e64 s[16:17], v37, v38
	s_or_b64 s[14:15], s[48:49], s[14:15]
	s_and_saveexec_b64 s[48:49], s[16:17]
	s_cbranch_execz .LBB383_1059
; %bb.1061:                             ;   in Loop: Header=BB383_1060 Depth=1
	s_add_u32 s30, s30, -1
	s_addc_u32 s31, s31, -1
	s_cmp_eq_u64 s[30:31], 0
	s_cselect_b64 s[16:17], -1, 0
	s_andn2_b64 s[28:29], s[28:29], exec
	s_and_b64 s[16:17], s[16:17], exec
	v_lshl_add_u64 v[22:23], v[22:23], 0, 4
	v_lshl_add_u64 v[24:25], v[24:25], 0, 4
	s_andn2_b64 s[14:15], s[14:15], exec
	s_or_b64 s[28:29], s[28:29], s[16:17]
                                        ; implicit-def: $sgpr44_sgpr45
	s_branch .LBB383_1059
.LBB383_1062:
	s_or_b64 exec, exec, s[24:25]
	v_cndmask_b32_e64 v5, v5, v1, s[26:27]
	v_cndmask_b32_e64 v4, v4, v0, s[26:27]
.LBB383_1063:
	v_mov_b64_e32 v[0:1], v[4:5]
.LBB383_1064:
	s_or_b64 exec, exec, s[22:23]
	v_mov_b64_e32 v[4:5], v[0:1]
.LBB383_1065:
	s_or_b64 exec, exec, s[20:21]
.LBB383_1066:
	s_or_b64 exec, exec, s[18:19]
	v_and_b32_e32 v39, 0x3e0, v35
	v_or_b32_e32 v0, 16, v39
	v_min_u32_e32 v24, v34, v0
	v_add_u32_e32 v0, 16, v24
	v_min_u32_e32 v25, v34, v0
	v_and_b32_e32 v0, 24, v35
	v_min_u32_e32 v40, v34, v0
	v_sub_u32_e32 v0, v24, v39
	v_sub_u32_e32 v1, v25, v24
	v_sub_u32_e64 v38, v40, v1 clamp
	v_min_u32_e32 v41, v40, v0
	v_lshl_add_u32 v37, v39, 3, v33
	v_cmp_lt_u32_e32 vcc, v38, v41
	; wave barrier
	ds_write_b128 v36, v[14:17]
	ds_write_b128 v36, v[10:13] offset:16
	ds_write_b128 v36, v[6:9] offset:32
	;; [unrolled: 1-line block ×3, first 2 shown]
	; wave barrier
	s_and_saveexec_b64 s[20:21], vcc
	s_cbranch_execz .LBB383_1076
; %bb.1067:
	v_lshlrev_b32_e32 v0, 3, v24
	v_lshlrev_b32_e32 v1, 3, v40
	v_add3_u32 v42, v33, v0, v1
	v_cndmask_b32_e64 v0, 0, 1, s[42:43]
	s_lshl_b64 s[24:25], s[36:37], 2
	s_mov_b64 s[22:23], 0
	v_cmp_ne_u32_e64 s[14:15], 1, v0
	s_branch .LBB383_1070
.LBB383_1068:                           ;   in Loop: Header=BB383_1070 Depth=1
	s_or_b64 exec, exec, s[28:29]
.LBB383_1069:                           ;   in Loop: Header=BB383_1070 Depth=1
	v_add_u32_e32 v0, 1, v43
	v_cndmask_b32_e64 v41, v41, v43, s[26:27]
	v_cndmask_b32_e64 v38, v0, v38, s[26:27]
	v_cmp_ge_u32_e32 vcc, v38, v41
	s_or_b64 s[22:23], vcc, s[22:23]
	s_andn2_b64 exec, exec, s[22:23]
	s_cbranch_execz .LBB383_1075
.LBB383_1070:                           ; =>This Loop Header: Depth=1
                                        ;     Child Loop BB383_1073 Depth 2
	v_add_u32_e32 v0, v41, v38
	v_lshrrev_b32_e32 v43, 1, v0
	s_and_b64 vcc, exec, s[14:15]
	s_mov_b64 s[26:27], 0
	s_cbranch_vccnz .LBB383_1069
; %bb.1071:                             ;   in Loop: Header=BB383_1070 Depth=1
	v_not_b32_e32 v0, v43
	v_lshl_add_u32 v0, v0, 3, v42
	ds_read_b64 v[0:1], v0
	v_lshl_add_u32 v44, v43, 3, v37
	ds_read_b64 v[44:45], v44
	v_mov_b64_e32 v[22:23], s[38:39]
	s_mov_b64 s[28:29], 0
	s_waitcnt lgkmcnt(1)
	v_mul_lo_u32 v46, s24, v1
	v_mul_lo_u32 v47, s25, v0
	v_mad_u64_u32 v[0:1], s[16:17], s24, v0, v[22:23]
	v_add3_u32 v1, v47, v1, v46
	s_waitcnt lgkmcnt(0)
	v_mul_lo_u32 v45, s24, v45
	v_mul_lo_u32 v46, s25, v44
	v_mad_u64_u32 v[22:23], s[16:17], s24, v44, v[22:23]
	v_add3_u32 v23, v46, v23, v45
	s_mov_b64 s[44:45], s[36:37]
                                        ; implicit-def: $sgpr26_sgpr27
                                        ; implicit-def: $sgpr30_sgpr31
                                        ; implicit-def: $sgpr16_sgpr17
                                        ; implicit-def: $sgpr46_sgpr47
	s_branch .LBB383_1073
.LBB383_1072:                           ;   in Loop: Header=BB383_1073 Depth=2
	s_or_b64 exec, exec, s[50:51]
	s_and_b64 s[18:19], exec, s[30:31]
	s_or_b64 s[28:29], s[18:19], s[28:29]
	s_andn2_b64 s[18:19], s[46:47], exec
	s_and_b64 s[46:47], s[48:49], exec
	s_or_b64 s[46:47], s[18:19], s[46:47]
	s_andn2_b64 s[18:19], s[26:27], exec
	s_and_b64 s[26:27], s[16:17], exec
	s_or_b64 s[26:27], s[18:19], s[26:27]
	s_andn2_b64 exec, exec, s[28:29]
	s_cbranch_execz .LBB383_1068
.LBB383_1073:                           ;   Parent Loop BB383_1070 Depth=1
                                        ; =>  This Inner Loop Header: Depth=2
	global_load_dword v44, v[0:1], off
	global_load_dword v45, v[22:23], off
	s_andn2_b64 s[50:51], s[16:17], exec
	s_or_b64 s[30:31], s[30:31], exec
	s_waitcnt vmcnt(0)
	v_cmp_le_i32_e64 s[16:17], v44, v45
	v_cmp_lt_i32_e32 vcc, v44, v45
	s_and_b64 s[16:17], s[16:17], s[46:47]
	s_or_b64 s[48:49], vcc, s[16:17]
	s_and_b64 s[16:17], s[48:49], exec
	v_cmp_eq_u32_e64 s[18:19], v44, v45
	s_or_b64 s[16:17], s[50:51], s[16:17]
	s_and_saveexec_b64 s[50:51], s[18:19]
	s_cbranch_execz .LBB383_1072
; %bb.1074:                             ;   in Loop: Header=BB383_1073 Depth=2
	s_add_u32 s44, s44, -1
	s_addc_u32 s45, s45, -1
	s_cmp_eq_u64 s[44:45], 0
	s_cselect_b64 s[18:19], -1, 0
	s_andn2_b64 s[30:31], s[30:31], exec
	s_and_b64 s[18:19], s[18:19], exec
	v_lshl_add_u64 v[0:1], v[0:1], 0, 4
	v_lshl_add_u64 v[22:23], v[22:23], 0, 4
	s_andn2_b64 s[16:17], s[16:17], exec
	s_or_b64 s[30:31], s[30:31], s[18:19]
                                        ; implicit-def: $sgpr46_sgpr47
	s_branch .LBB383_1072
.LBB383_1075:
	s_or_b64 exec, exec, s[22:23]
.LBB383_1076:
	s_or_b64 exec, exec, s[20:21]
	v_add_u32_e32 v0, v24, v40
	v_add_u32_e32 v23, v38, v39
	v_sub_u32_e32 v39, v0, v38
	v_cmp_le_u32_e32 vcc, v23, v24
	v_cmp_le_u32_e64 s[14:15], v39, v25
	s_or_b64 s[14:15], vcc, s[14:15]
	s_and_saveexec_b64 s[18:19], s[14:15]
	s_cbranch_execz .LBB383_1167
; %bb.1077:
	v_cmp_ge_u32_e32 vcc, v23, v24
	v_cmp_lt_u32_e64 s[14:15], v23, v24
                                        ; implicit-def: $vgpr0_vgpr1
	s_and_saveexec_b64 s[16:17], s[14:15]
; %bb.1078:
	v_lshl_add_u32 v0, v38, 3, v37
	ds_read_b64 v[0:1], v0
; %bb.1079:
	s_or_b64 exec, exec, s[16:17]
	v_cmp_ge_u32_e64 s[20:21], v39, v25
	v_cmp_lt_u32_e64 s[14:15], v39, v25
                                        ; implicit-def: $vgpr2_vgpr3
	s_and_saveexec_b64 s[16:17], s[14:15]
; %bb.1080:
	v_lshl_add_u32 v2, v39, 3, v33
	ds_read_b64 v[2:3], v2
; %bb.1081:
	s_or_b64 exec, exec, s[16:17]
	s_nor_b64 s[14:15], vcc, s[20:21]
	s_and_saveexec_b64 s[22:23], s[14:15]
	s_cbranch_execz .LBB383_1090
; %bb.1082:
	s_andn2_b64 vcc, exec, s[42:43]
	s_cbranch_vccnz .LBB383_1088
; %bb.1083:
	s_waitcnt lgkmcnt(0)
	v_mul_lo_u32 v6, v3, s36
	v_mul_lo_u32 v7, v2, s37
	v_mad_u64_u32 v[4:5], s[14:15], v2, s36, 0
	v_add3_u32 v5, v5, v7, v6
	v_mul_lo_u32 v8, v1, s36
	v_mul_lo_u32 v9, v0, s37
	v_mad_u64_u32 v[6:7], s[14:15], v0, s36, 0
	v_add3_u32 v7, v7, v9, v8
	v_lshl_add_u64 v[4:5], v[4:5], 2, s[38:39]
	v_lshl_add_u64 v[6:7], v[6:7], 2, s[38:39]
	s_mov_b64 s[24:25], 0
	s_mov_b64 s[30:31], s[36:37]
                                        ; implicit-def: $sgpr26_sgpr27
                                        ; implicit-def: $sgpr28_sgpr29
                                        ; implicit-def: $sgpr14_sgpr15
                                        ; implicit-def: $sgpr44_sgpr45
	s_branch .LBB383_1085
.LBB383_1084:                           ;   in Loop: Header=BB383_1085 Depth=1
	s_or_b64 exec, exec, s[48:49]
	s_and_b64 s[16:17], exec, s[28:29]
	s_or_b64 s[24:25], s[16:17], s[24:25]
	s_andn2_b64 s[16:17], s[44:45], exec
	s_and_b64 s[44:45], s[46:47], exec
	s_or_b64 s[44:45], s[16:17], s[44:45]
	s_andn2_b64 s[16:17], s[26:27], exec
	s_and_b64 s[26:27], s[14:15], exec
	s_or_b64 s[26:27], s[16:17], s[26:27]
	s_andn2_b64 exec, exec, s[24:25]
	s_cbranch_execz .LBB383_1087
.LBB383_1085:                           ; =>This Inner Loop Header: Depth=1
	global_load_dword v8, v[4:5], off
	global_load_dword v9, v[6:7], off
	s_andn2_b64 s[48:49], s[14:15], exec
	s_or_b64 s[28:29], s[28:29], exec
	s_waitcnt vmcnt(0)
	v_cmp_le_i32_e64 s[14:15], v8, v9
	v_cmp_lt_i32_e32 vcc, v8, v9
	s_and_b64 s[14:15], s[14:15], s[44:45]
	s_or_b64 s[46:47], vcc, s[14:15]
	s_and_b64 s[14:15], s[46:47], exec
	v_cmp_eq_u32_e64 s[16:17], v8, v9
	s_or_b64 s[14:15], s[48:49], s[14:15]
	s_and_saveexec_b64 s[48:49], s[16:17]
	s_cbranch_execz .LBB383_1084
; %bb.1086:                             ;   in Loop: Header=BB383_1085 Depth=1
	s_add_u32 s30, s30, -1
	s_addc_u32 s31, s31, -1
	s_cmp_eq_u64 s[30:31], 0
	s_cselect_b64 s[16:17], -1, 0
	s_andn2_b64 s[28:29], s[28:29], exec
	s_and_b64 s[16:17], s[16:17], exec
	v_lshl_add_u64 v[4:5], v[4:5], 0, 4
	v_lshl_add_u64 v[6:7], v[6:7], 0, 4
	s_andn2_b64 s[14:15], s[14:15], exec
	s_or_b64 s[28:29], s[28:29], s[16:17]
                                        ; implicit-def: $sgpr44_sgpr45
	s_branch .LBB383_1084
.LBB383_1087:
	s_or_b64 exec, exec, s[24:25]
	s_xor_b64 s[14:15], s[26:27], -1
	s_branch .LBB383_1089
.LBB383_1088:
	s_mov_b64 s[14:15], -1
.LBB383_1089:
	s_andn2_b64 s[16:17], s[20:21], exec
	s_and_b64 s[14:15], s[14:15], exec
	s_or_b64 s[20:21], s[16:17], s[14:15]
.LBB383_1090:
	s_or_b64 exec, exec, s[22:23]
	v_cndmask_b32_e64 v4, v39, v23, s[20:21]
	v_cndmask_b32_e64 v5, v25, v24, s[20:21]
	v_add_u32_e32 v6, 1, v4
	v_add_u32_e32 v4, -1, v5
	v_min_u32_e32 v4, v6, v4
	v_lshl_add_u32 v4, v4, 3, v33
	ds_read_b64 v[4:5], v4
	v_cndmask_b32_e64 v8, v6, v39, s[20:21]
	v_cndmask_b32_e64 v9, v23, v6, s[20:21]
	v_cmp_lt_u32_e32 vcc, v8, v25
	s_mov_b64 s[24:25], -1
	s_waitcnt lgkmcnt(0)
	v_cndmask_b32_e64 v14, v5, v3, s[20:21]
	v_cndmask_b32_e64 v15, v4, v2, s[20:21]
	;; [unrolled: 1-line block ×4, first 2 shown]
	s_mov_b64 s[22:23], -1
	s_and_saveexec_b64 s[26:27], vcc
	s_cbranch_execz .LBB383_1101
; %bb.1091:
	v_cmp_lt_u32_e32 vcc, v9, v24
	s_mov_b64 s[14:15], 0
	s_and_saveexec_b64 s[22:23], vcc
	s_cbranch_execz .LBB383_1100
; %bb.1092:
	s_andn2_b64 vcc, exec, s[42:43]
	s_cbranch_vccnz .LBB383_1098
; %bb.1093:
	v_mul_lo_u32 v6, v14, s36
	v_mul_lo_u32 v7, v15, s37
	v_mad_u64_u32 v[4:5], s[14:15], v15, s36, 0
	v_add3_u32 v5, v5, v7, v6
	v_mul_lo_u32 v10, v16, s36
	v_mul_lo_u32 v11, v22, s37
	v_mad_u64_u32 v[6:7], s[14:15], v22, s36, 0
	v_add3_u32 v7, v7, v11, v10
	v_lshl_add_u64 v[4:5], v[4:5], 2, s[38:39]
	v_lshl_add_u64 v[6:7], v[6:7], 2, s[38:39]
	s_mov_b64 s[28:29], 0
	s_mov_b64 s[46:47], s[36:37]
                                        ; implicit-def: $sgpr30_sgpr31
                                        ; implicit-def: $sgpr44_sgpr45
                                        ; implicit-def: $sgpr14_sgpr15
                                        ; implicit-def: $sgpr48_sgpr49
	s_branch .LBB383_1095
.LBB383_1094:                           ;   in Loop: Header=BB383_1095 Depth=1
	s_or_b64 exec, exec, s[52:53]
	s_and_b64 s[16:17], exec, s[44:45]
	s_or_b64 s[28:29], s[16:17], s[28:29]
	s_andn2_b64 s[16:17], s[48:49], exec
	s_and_b64 s[48:49], s[50:51], exec
	s_or_b64 s[48:49], s[16:17], s[48:49]
	s_andn2_b64 s[16:17], s[30:31], exec
	s_and_b64 s[30:31], s[14:15], exec
	s_or_b64 s[30:31], s[16:17], s[30:31]
	s_andn2_b64 exec, exec, s[28:29]
	s_cbranch_execz .LBB383_1097
.LBB383_1095:                           ; =>This Inner Loop Header: Depth=1
	global_load_dword v10, v[4:5], off
	global_load_dword v11, v[6:7], off
	s_andn2_b64 s[52:53], s[14:15], exec
	s_or_b64 s[44:45], s[44:45], exec
	s_waitcnt vmcnt(0)
	v_cmp_le_i32_e64 s[14:15], v10, v11
	v_cmp_lt_i32_e32 vcc, v10, v11
	s_and_b64 s[14:15], s[14:15], s[48:49]
	s_or_b64 s[50:51], vcc, s[14:15]
	s_and_b64 s[14:15], s[50:51], exec
	v_cmp_eq_u32_e64 s[16:17], v10, v11
	s_or_b64 s[14:15], s[52:53], s[14:15]
	s_and_saveexec_b64 s[52:53], s[16:17]
	s_cbranch_execz .LBB383_1094
; %bb.1096:                             ;   in Loop: Header=BB383_1095 Depth=1
	s_add_u32 s46, s46, -1
	s_addc_u32 s47, s47, -1
	s_cmp_eq_u64 s[46:47], 0
	s_cselect_b64 s[16:17], -1, 0
	s_andn2_b64 s[44:45], s[44:45], exec
	s_and_b64 s[16:17], s[16:17], exec
	v_lshl_add_u64 v[4:5], v[4:5], 0, 4
	v_lshl_add_u64 v[6:7], v[6:7], 0, 4
	s_andn2_b64 s[14:15], s[14:15], exec
	s_or_b64 s[44:45], s[44:45], s[16:17]
                                        ; implicit-def: $sgpr48_sgpr49
	s_branch .LBB383_1094
.LBB383_1097:
	s_or_b64 exec, exec, s[28:29]
	s_xor_b64 s[14:15], s[30:31], -1
	s_branch .LBB383_1099
.LBB383_1098:
	s_mov_b64 s[14:15], -1
.LBB383_1099:
	s_and_b64 s[14:15], s[14:15], exec
.LBB383_1100:
	s_or_b64 exec, exec, s[22:23]
	s_orn2_b64 s[22:23], s[14:15], exec
.LBB383_1101:
	s_or_b64 exec, exec, s[26:27]
	v_cndmask_b32_e64 v4, v8, v9, s[22:23]
	v_cndmask_b32_e64 v5, v25, v24, s[22:23]
	v_add_u32_e32 v6, 1, v4
	v_add_u32_e32 v4, -1, v5
	v_min_u32_e32 v4, v6, v4
	v_lshl_add_u32 v4, v4, 3, v33
	ds_read_b64 v[4:5], v4
	v_cndmask_b32_e64 v8, v6, v8, s[22:23]
	v_cndmask_b32_e64 v9, v9, v6, s[22:23]
	v_cmp_lt_u32_e32 vcc, v8, v25
	s_waitcnt lgkmcnt(0)
	v_cndmask_b32_e64 v10, v5, v14, s[22:23]
	v_cndmask_b32_e64 v17, v4, v15, s[22:23]
	;; [unrolled: 1-line block ×4, first 2 shown]
	s_and_saveexec_b64 s[26:27], vcc
	s_cbranch_execz .LBB383_1112
; %bb.1102:
	v_cmp_lt_u32_e32 vcc, v9, v24
	s_mov_b64 s[14:15], 0
	s_and_saveexec_b64 s[24:25], vcc
	s_cbranch_execz .LBB383_1111
; %bb.1103:
	s_andn2_b64 vcc, exec, s[42:43]
	s_cbranch_vccnz .LBB383_1109
; %bb.1104:
	v_mul_lo_u32 v6, v10, s36
	v_mul_lo_u32 v7, v17, s37
	v_mad_u64_u32 v[4:5], s[14:15], v17, s36, 0
	v_add3_u32 v5, v5, v7, v6
	v_mul_lo_u32 v12, v11, s36
	v_mul_lo_u32 v13, v23, s37
	v_mad_u64_u32 v[6:7], s[14:15], v23, s36, 0
	v_add3_u32 v7, v7, v13, v12
	v_lshl_add_u64 v[4:5], v[4:5], 2, s[38:39]
	v_lshl_add_u64 v[6:7], v[6:7], 2, s[38:39]
	s_mov_b64 s[28:29], 0
	s_mov_b64 s[46:47], s[36:37]
                                        ; implicit-def: $sgpr30_sgpr31
                                        ; implicit-def: $sgpr44_sgpr45
                                        ; implicit-def: $sgpr14_sgpr15
                                        ; implicit-def: $sgpr48_sgpr49
	s_branch .LBB383_1106
.LBB383_1105:                           ;   in Loop: Header=BB383_1106 Depth=1
	s_or_b64 exec, exec, s[52:53]
	s_and_b64 s[16:17], exec, s[44:45]
	s_or_b64 s[28:29], s[16:17], s[28:29]
	s_andn2_b64 s[16:17], s[48:49], exec
	s_and_b64 s[48:49], s[50:51], exec
	s_or_b64 s[48:49], s[16:17], s[48:49]
	s_andn2_b64 s[16:17], s[30:31], exec
	s_and_b64 s[30:31], s[14:15], exec
	s_or_b64 s[30:31], s[16:17], s[30:31]
	s_andn2_b64 exec, exec, s[28:29]
	s_cbranch_execz .LBB383_1108
.LBB383_1106:                           ; =>This Inner Loop Header: Depth=1
	global_load_dword v12, v[4:5], off
	global_load_dword v13, v[6:7], off
	s_andn2_b64 s[52:53], s[14:15], exec
	s_or_b64 s[44:45], s[44:45], exec
	s_waitcnt vmcnt(0)
	v_cmp_le_i32_e64 s[14:15], v12, v13
	v_cmp_lt_i32_e32 vcc, v12, v13
	s_and_b64 s[14:15], s[14:15], s[48:49]
	s_or_b64 s[50:51], vcc, s[14:15]
	s_and_b64 s[14:15], s[50:51], exec
	v_cmp_eq_u32_e64 s[16:17], v12, v13
	s_or_b64 s[14:15], s[52:53], s[14:15]
	s_and_saveexec_b64 s[52:53], s[16:17]
	s_cbranch_execz .LBB383_1105
; %bb.1107:                             ;   in Loop: Header=BB383_1106 Depth=1
	s_add_u32 s46, s46, -1
	s_addc_u32 s47, s47, -1
	s_cmp_eq_u64 s[46:47], 0
	s_cselect_b64 s[16:17], -1, 0
	s_andn2_b64 s[44:45], s[44:45], exec
	s_and_b64 s[16:17], s[16:17], exec
	v_lshl_add_u64 v[4:5], v[4:5], 0, 4
	v_lshl_add_u64 v[6:7], v[6:7], 0, 4
	s_andn2_b64 s[14:15], s[14:15], exec
	s_or_b64 s[44:45], s[44:45], s[16:17]
                                        ; implicit-def: $sgpr48_sgpr49
	s_branch .LBB383_1105
.LBB383_1108:
	s_or_b64 exec, exec, s[28:29]
	s_xor_b64 s[14:15], s[30:31], -1
	s_branch .LBB383_1110
.LBB383_1109:
	s_mov_b64 s[14:15], -1
.LBB383_1110:
	s_and_b64 s[14:15], s[14:15], exec
.LBB383_1111:
	s_or_b64 exec, exec, s[24:25]
	s_orn2_b64 s[24:25], s[14:15], exec
.LBB383_1112:
	s_or_b64 exec, exec, s[26:27]
	v_cndmask_b32_e64 v4, v8, v9, s[24:25]
	v_cndmask_b32_e64 v5, v25, v24, s[24:25]
	v_add_u32_e32 v6, 1, v4
	v_add_u32_e32 v4, -1, v5
	v_min_u32_e32 v4, v6, v4
	v_lshl_add_u32 v4, v4, 3, v33
	ds_read_b64 v[4:5], v4
	v_cndmask_b32_e64 v8, v6, v8, s[24:25]
	v_cndmask_b32_e64 v9, v9, v6, s[24:25]
	v_cmp_lt_u32_e32 vcc, v8, v25
	s_mov_b64 s[28:29], -1
	s_waitcnt lgkmcnt(0)
	v_cndmask_b32_e64 v12, v5, v10, s[24:25]
	v_cndmask_b32_e64 v37, v4, v17, s[24:25]
	;; [unrolled: 1-line block ×4, first 2 shown]
	s_mov_b64 s[26:27], -1
	s_and_saveexec_b64 s[30:31], vcc
	s_cbranch_execz .LBB383_1123
; %bb.1113:
	v_cmp_lt_u32_e32 vcc, v9, v24
	s_mov_b64 s[14:15], 0
	s_and_saveexec_b64 s[26:27], vcc
	s_cbranch_execz .LBB383_1122
; %bb.1114:
	s_andn2_b64 vcc, exec, s[42:43]
	s_cbranch_vccnz .LBB383_1120
; %bb.1115:
	v_mul_lo_u32 v6, v12, s36
	v_mul_lo_u32 v7, v37, s37
	v_mad_u64_u32 v[4:5], s[14:15], v37, s36, 0
	v_add3_u32 v5, v5, v7, v6
	v_mul_lo_u32 v39, v13, s36
	v_mul_lo_u32 v40, v38, s37
	v_mad_u64_u32 v[6:7], s[14:15], v38, s36, 0
	v_add3_u32 v7, v7, v40, v39
	v_lshl_add_u64 v[4:5], v[4:5], 2, s[38:39]
	v_lshl_add_u64 v[6:7], v[6:7], 2, s[38:39]
	s_mov_b64 s[44:45], 0
	s_mov_b64 s[50:51], s[36:37]
                                        ; implicit-def: $sgpr46_sgpr47
                                        ; implicit-def: $sgpr48_sgpr49
                                        ; implicit-def: $sgpr14_sgpr15
                                        ; implicit-def: $sgpr52_sgpr53
	s_branch .LBB383_1117
.LBB383_1116:                           ;   in Loop: Header=BB383_1117 Depth=1
	s_or_b64 exec, exec, s[56:57]
	s_and_b64 s[16:17], exec, s[48:49]
	s_or_b64 s[44:45], s[16:17], s[44:45]
	s_andn2_b64 s[16:17], s[52:53], exec
	s_and_b64 s[52:53], s[54:55], exec
	s_or_b64 s[52:53], s[16:17], s[52:53]
	s_andn2_b64 s[16:17], s[46:47], exec
	s_and_b64 s[46:47], s[14:15], exec
	s_or_b64 s[46:47], s[16:17], s[46:47]
	s_andn2_b64 exec, exec, s[44:45]
	s_cbranch_execz .LBB383_1119
.LBB383_1117:                           ; =>This Inner Loop Header: Depth=1
	global_load_dword v39, v[4:5], off
	global_load_dword v40, v[6:7], off
	s_andn2_b64 s[56:57], s[14:15], exec
	s_or_b64 s[48:49], s[48:49], exec
	s_waitcnt vmcnt(0)
	v_cmp_le_i32_e64 s[14:15], v39, v40
	v_cmp_lt_i32_e32 vcc, v39, v40
	s_and_b64 s[14:15], s[14:15], s[52:53]
	s_or_b64 s[54:55], vcc, s[14:15]
	s_and_b64 s[14:15], s[54:55], exec
	v_cmp_eq_u32_e64 s[16:17], v39, v40
	s_or_b64 s[14:15], s[56:57], s[14:15]
	s_and_saveexec_b64 s[56:57], s[16:17]
	s_cbranch_execz .LBB383_1116
; %bb.1118:                             ;   in Loop: Header=BB383_1117 Depth=1
	s_add_u32 s50, s50, -1
	s_addc_u32 s51, s51, -1
	s_cmp_eq_u64 s[50:51], 0
	s_cselect_b64 s[16:17], -1, 0
	s_andn2_b64 s[48:49], s[48:49], exec
	s_and_b64 s[16:17], s[16:17], exec
	v_lshl_add_u64 v[4:5], v[4:5], 0, 4
	v_lshl_add_u64 v[6:7], v[6:7], 0, 4
	s_andn2_b64 s[14:15], s[14:15], exec
	s_or_b64 s[48:49], s[48:49], s[16:17]
                                        ; implicit-def: $sgpr52_sgpr53
	s_branch .LBB383_1116
.LBB383_1119:
	s_or_b64 exec, exec, s[44:45]
	s_xor_b64 s[14:15], s[46:47], -1
	s_branch .LBB383_1121
.LBB383_1120:
	s_mov_b64 s[14:15], -1
.LBB383_1121:
	s_and_b64 s[14:15], s[14:15], exec
.LBB383_1122:
	s_or_b64 exec, exec, s[26:27]
	s_orn2_b64 s[26:27], s[14:15], exec
.LBB383_1123:
	s_or_b64 exec, exec, s[30:31]
	v_cndmask_b32_e64 v4, v8, v9, s[26:27]
	v_cndmask_b32_e64 v5, v25, v24, s[26:27]
	v_add_u32_e32 v6, 1, v4
	v_add_u32_e32 v4, -1, v5
	v_min_u32_e32 v4, v6, v4
	v_lshl_add_u32 v4, v4, 3, v33
	ds_read_b64 v[4:5], v4
	v_cndmask_b32_e64 v45, v6, v8, s[26:27]
	v_cndmask_b32_e64 v46, v9, v6, s[26:27]
	v_cmp_lt_u32_e32 vcc, v45, v25
	s_waitcnt lgkmcnt(0)
	v_cndmask_b32_e64 v39, v5, v12, s[26:27]
	v_cndmask_b32_e64 v40, v4, v37, s[26:27]
	;; [unrolled: 1-line block ×4, first 2 shown]
	s_and_saveexec_b64 s[30:31], vcc
	s_cbranch_execz .LBB383_1134
; %bb.1124:
	v_cmp_lt_u32_e32 vcc, v46, v24
	s_mov_b64 s[14:15], 0
	s_and_saveexec_b64 s[28:29], vcc
	s_cbranch_execz .LBB383_1133
; %bb.1125:
	s_andn2_b64 vcc, exec, s[42:43]
	s_cbranch_vccnz .LBB383_1131
; %bb.1126:
	v_mul_lo_u32 v6, v39, s36
	v_mul_lo_u32 v7, v40, s37
	v_mad_u64_u32 v[4:5], s[14:15], v40, s36, 0
	v_add3_u32 v5, v5, v7, v6
	v_mul_lo_u32 v8, v41, s36
	v_mul_lo_u32 v9, v42, s37
	v_mad_u64_u32 v[6:7], s[14:15], v42, s36, 0
	v_add3_u32 v7, v7, v9, v8
	v_lshl_add_u64 v[4:5], v[4:5], 2, s[38:39]
	v_lshl_add_u64 v[6:7], v[6:7], 2, s[38:39]
	s_mov_b64 s[44:45], 0
	s_mov_b64 s[50:51], s[36:37]
                                        ; implicit-def: $sgpr46_sgpr47
                                        ; implicit-def: $sgpr48_sgpr49
                                        ; implicit-def: $sgpr14_sgpr15
                                        ; implicit-def: $sgpr52_sgpr53
	s_branch .LBB383_1128
.LBB383_1127:                           ;   in Loop: Header=BB383_1128 Depth=1
	s_or_b64 exec, exec, s[56:57]
	s_and_b64 s[16:17], exec, s[48:49]
	s_or_b64 s[44:45], s[16:17], s[44:45]
	s_andn2_b64 s[16:17], s[52:53], exec
	s_and_b64 s[52:53], s[54:55], exec
	s_or_b64 s[52:53], s[16:17], s[52:53]
	s_andn2_b64 s[16:17], s[46:47], exec
	s_and_b64 s[46:47], s[14:15], exec
	s_or_b64 s[46:47], s[16:17], s[46:47]
	s_andn2_b64 exec, exec, s[44:45]
	s_cbranch_execz .LBB383_1130
.LBB383_1128:                           ; =>This Inner Loop Header: Depth=1
	global_load_dword v8, v[4:5], off
	global_load_dword v9, v[6:7], off
	s_andn2_b64 s[56:57], s[14:15], exec
	s_or_b64 s[48:49], s[48:49], exec
	s_waitcnt vmcnt(0)
	v_cmp_le_i32_e64 s[14:15], v8, v9
	v_cmp_lt_i32_e32 vcc, v8, v9
	s_and_b64 s[14:15], s[14:15], s[52:53]
	s_or_b64 s[54:55], vcc, s[14:15]
	s_and_b64 s[14:15], s[54:55], exec
	v_cmp_eq_u32_e64 s[16:17], v8, v9
	s_or_b64 s[14:15], s[56:57], s[14:15]
	s_and_saveexec_b64 s[56:57], s[16:17]
	s_cbranch_execz .LBB383_1127
; %bb.1129:                             ;   in Loop: Header=BB383_1128 Depth=1
	s_add_u32 s50, s50, -1
	s_addc_u32 s51, s51, -1
	s_cmp_eq_u64 s[50:51], 0
	s_cselect_b64 s[16:17], -1, 0
	s_andn2_b64 s[48:49], s[48:49], exec
	s_and_b64 s[16:17], s[16:17], exec
	v_lshl_add_u64 v[4:5], v[4:5], 0, 4
	v_lshl_add_u64 v[6:7], v[6:7], 0, 4
	s_andn2_b64 s[14:15], s[14:15], exec
	s_or_b64 s[48:49], s[48:49], s[16:17]
                                        ; implicit-def: $sgpr52_sgpr53
	s_branch .LBB383_1127
.LBB383_1130:
	s_or_b64 exec, exec, s[44:45]
	s_xor_b64 s[14:15], s[46:47], -1
	s_branch .LBB383_1132
.LBB383_1131:
	s_mov_b64 s[14:15], -1
.LBB383_1132:
	s_and_b64 s[14:15], s[14:15], exec
.LBB383_1133:
	s_or_b64 exec, exec, s[28:29]
	s_orn2_b64 s[28:29], s[14:15], exec
.LBB383_1134:
	s_or_b64 exec, exec, s[30:31]
	v_cndmask_b32_e64 v4, v45, v46, s[28:29]
	v_cndmask_b32_e64 v5, v25, v24, s[28:29]
	v_add_u32_e32 v6, 1, v4
	v_add_u32_e32 v4, -1, v5
	v_min_u32_e32 v4, v6, v4
	v_lshl_add_u32 v4, v4, 3, v33
	ds_read_b64 v[4:5], v4
	v_cndmask_b32_e64 v47, v6, v45, s[28:29]
	v_cndmask_b32_e64 v51, v46, v6, s[28:29]
	v_cmp_lt_u32_e32 vcc, v47, v25
	s_mov_b64 s[30:31], -1
	s_waitcnt lgkmcnt(0)
	v_cndmask_b32_e64 v8, v5, v39, s[28:29]
	v_cndmask_b32_e64 v43, v4, v40, s[28:29]
	;; [unrolled: 1-line block ×4, first 2 shown]
	s_mov_b64 s[44:45], -1
	s_and_saveexec_b64 s[46:47], vcc
	s_cbranch_execz .LBB383_1145
; %bb.1135:
	v_cmp_lt_u32_e32 vcc, v51, v24
	s_mov_b64 s[14:15], 0
	s_and_saveexec_b64 s[44:45], vcc
	s_cbranch_execz .LBB383_1144
; %bb.1136:
	s_andn2_b64 vcc, exec, s[42:43]
	s_cbranch_vccnz .LBB383_1142
; %bb.1137:
	v_mul_lo_u32 v6, v8, s36
	v_mul_lo_u32 v7, v43, s37
	v_mad_u64_u32 v[4:5], s[14:15], v43, s36, 0
	v_add3_u32 v5, v5, v7, v6
	v_mul_lo_u32 v45, v9, s36
	v_mul_lo_u32 v46, v44, s37
	v_mad_u64_u32 v[6:7], s[14:15], v44, s36, 0
	v_add3_u32 v7, v7, v46, v45
	v_lshl_add_u64 v[4:5], v[4:5], 2, s[38:39]
	v_lshl_add_u64 v[6:7], v[6:7], 2, s[38:39]
	s_mov_b64 s[48:49], 0
	s_mov_b64 s[54:55], s[36:37]
                                        ; implicit-def: $sgpr50_sgpr51
                                        ; implicit-def: $sgpr52_sgpr53
                                        ; implicit-def: $sgpr14_sgpr15
                                        ; implicit-def: $sgpr56_sgpr57
	s_branch .LBB383_1139
.LBB383_1138:                           ;   in Loop: Header=BB383_1139 Depth=1
	s_or_b64 exec, exec, s[60:61]
	s_and_b64 s[16:17], exec, s[52:53]
	s_or_b64 s[48:49], s[16:17], s[48:49]
	s_andn2_b64 s[16:17], s[56:57], exec
	s_and_b64 s[56:57], s[58:59], exec
	s_or_b64 s[56:57], s[16:17], s[56:57]
	s_andn2_b64 s[16:17], s[50:51], exec
	s_and_b64 s[50:51], s[14:15], exec
	s_or_b64 s[50:51], s[16:17], s[50:51]
	s_andn2_b64 exec, exec, s[48:49]
	s_cbranch_execz .LBB383_1141
.LBB383_1139:                           ; =>This Inner Loop Header: Depth=1
	global_load_dword v45, v[4:5], off
	global_load_dword v46, v[6:7], off
	s_andn2_b64 s[60:61], s[14:15], exec
	s_or_b64 s[52:53], s[52:53], exec
	s_waitcnt vmcnt(0)
	v_cmp_le_i32_e64 s[14:15], v45, v46
	v_cmp_lt_i32_e32 vcc, v45, v46
	s_and_b64 s[14:15], s[14:15], s[56:57]
	s_or_b64 s[58:59], vcc, s[14:15]
	s_and_b64 s[14:15], s[58:59], exec
	v_cmp_eq_u32_e64 s[16:17], v45, v46
	s_or_b64 s[14:15], s[60:61], s[14:15]
	s_and_saveexec_b64 s[60:61], s[16:17]
	s_cbranch_execz .LBB383_1138
; %bb.1140:                             ;   in Loop: Header=BB383_1139 Depth=1
	s_add_u32 s54, s54, -1
	s_addc_u32 s55, s55, -1
	s_cmp_eq_u64 s[54:55], 0
	s_cselect_b64 s[16:17], -1, 0
	s_andn2_b64 s[52:53], s[52:53], exec
	s_and_b64 s[16:17], s[16:17], exec
	v_lshl_add_u64 v[4:5], v[4:5], 0, 4
	v_lshl_add_u64 v[6:7], v[6:7], 0, 4
	s_andn2_b64 s[14:15], s[14:15], exec
	s_or_b64 s[52:53], s[52:53], s[16:17]
                                        ; implicit-def: $sgpr56_sgpr57
	s_branch .LBB383_1138
.LBB383_1141:
	s_or_b64 exec, exec, s[48:49]
	s_xor_b64 s[14:15], s[50:51], -1
	s_branch .LBB383_1143
.LBB383_1142:
	s_mov_b64 s[14:15], -1
.LBB383_1143:
	s_and_b64 s[14:15], s[14:15], exec
.LBB383_1144:
	s_or_b64 exec, exec, s[44:45]
	s_orn2_b64 s[44:45], s[14:15], exec
.LBB383_1145:
	s_or_b64 exec, exec, s[46:47]
	v_cndmask_b32_e64 v4, v47, v51, s[44:45]
	v_cndmask_b32_e64 v5, v25, v24, s[44:45]
	v_add_u32_e32 v6, 1, v4
	v_add_u32_e32 v4, -1, v5
	v_min_u32_e32 v4, v6, v4
	v_lshl_add_u32 v4, v4, 3, v33
	ds_read_b64 v[4:5], v4
	v_cndmask_b32_e64 v48, v6, v47, s[44:45]
	v_cndmask_b32_e64 v47, v51, v6, s[44:45]
	v_cmp_lt_u32_e32 vcc, v48, v25
	s_waitcnt lgkmcnt(0)
	v_cndmask_b32_e64 v45, v5, v8, s[44:45]
	v_cndmask_b32_e64 v46, v4, v43, s[44:45]
	;; [unrolled: 1-line block ×4, first 2 shown]
	s_and_saveexec_b64 s[46:47], vcc
	s_cbranch_execz .LBB383_1156
; %bb.1146:
	v_cmp_lt_u32_e32 vcc, v47, v24
	s_mov_b64 s[14:15], 0
	s_and_saveexec_b64 s[30:31], vcc
	s_cbranch_execz .LBB383_1155
; %bb.1147:
	s_andn2_b64 vcc, exec, s[42:43]
	s_cbranch_vccnz .LBB383_1153
; %bb.1148:
	v_mul_lo_u32 v6, v45, s36
	v_mul_lo_u32 v7, v46, s37
	v_mad_u64_u32 v[4:5], s[14:15], v46, s36, 0
	v_add3_u32 v5, v5, v7, v6
	v_mul_lo_u32 v51, v49, s36
	v_mul_lo_u32 v52, v50, s37
	v_mad_u64_u32 v[6:7], s[14:15], v50, s36, 0
	v_add3_u32 v7, v7, v52, v51
	v_lshl_add_u64 v[4:5], v[4:5], 2, s[38:39]
	v_lshl_add_u64 v[6:7], v[6:7], 2, s[38:39]
	s_mov_b64 s[48:49], 0
	s_mov_b64 s[54:55], s[36:37]
                                        ; implicit-def: $sgpr50_sgpr51
                                        ; implicit-def: $sgpr52_sgpr53
                                        ; implicit-def: $sgpr14_sgpr15
                                        ; implicit-def: $sgpr56_sgpr57
	s_branch .LBB383_1150
.LBB383_1149:                           ;   in Loop: Header=BB383_1150 Depth=1
	s_or_b64 exec, exec, s[60:61]
	s_and_b64 s[16:17], exec, s[52:53]
	s_or_b64 s[48:49], s[16:17], s[48:49]
	s_andn2_b64 s[16:17], s[56:57], exec
	s_and_b64 s[56:57], s[58:59], exec
	s_or_b64 s[56:57], s[16:17], s[56:57]
	s_andn2_b64 s[16:17], s[50:51], exec
	s_and_b64 s[50:51], s[14:15], exec
	s_or_b64 s[50:51], s[16:17], s[50:51]
	s_andn2_b64 exec, exec, s[48:49]
	s_cbranch_execz .LBB383_1152
.LBB383_1150:                           ; =>This Inner Loop Header: Depth=1
	global_load_dword v51, v[4:5], off
	global_load_dword v52, v[6:7], off
	s_andn2_b64 s[60:61], s[14:15], exec
	s_or_b64 s[52:53], s[52:53], exec
	s_waitcnt vmcnt(0)
	v_cmp_le_i32_e64 s[14:15], v51, v52
	v_cmp_lt_i32_e32 vcc, v51, v52
	s_and_b64 s[14:15], s[14:15], s[56:57]
	s_or_b64 s[58:59], vcc, s[14:15]
	s_and_b64 s[14:15], s[58:59], exec
	v_cmp_eq_u32_e64 s[16:17], v51, v52
	s_or_b64 s[14:15], s[60:61], s[14:15]
	s_and_saveexec_b64 s[60:61], s[16:17]
	s_cbranch_execz .LBB383_1149
; %bb.1151:                             ;   in Loop: Header=BB383_1150 Depth=1
	s_add_u32 s54, s54, -1
	s_addc_u32 s55, s55, -1
	s_cmp_eq_u64 s[54:55], 0
	s_cselect_b64 s[16:17], -1, 0
	s_andn2_b64 s[52:53], s[52:53], exec
	s_and_b64 s[16:17], s[16:17], exec
	v_lshl_add_u64 v[4:5], v[4:5], 0, 4
	v_lshl_add_u64 v[6:7], v[6:7], 0, 4
	s_andn2_b64 s[14:15], s[14:15], exec
	s_or_b64 s[52:53], s[52:53], s[16:17]
                                        ; implicit-def: $sgpr56_sgpr57
	s_branch .LBB383_1149
.LBB383_1152:
	s_or_b64 exec, exec, s[48:49]
	s_xor_b64 s[14:15], s[50:51], -1
	s_branch .LBB383_1154
.LBB383_1153:
	s_mov_b64 s[14:15], -1
.LBB383_1154:
	s_and_b64 s[14:15], s[14:15], exec
.LBB383_1155:
	s_or_b64 exec, exec, s[30:31]
	s_orn2_b64 s[30:31], s[14:15], exec
.LBB383_1156:
	s_or_b64 exec, exec, s[46:47]
	v_cndmask_b32_e64 v4, v48, v47, s[30:31]
	v_cndmask_b32_e64 v5, v25, v24, s[30:31]
	;; [unrolled: 1-line block ×4, first 2 shown]
	v_add_u32_e32 v37, 1, v4
	v_add_u32_e32 v4, -1, v5
	v_min_u32_e32 v4, v37, v4
	v_lshl_add_u32 v4, v4, 3, v33
	v_cndmask_b32_e64 v11, v10, v11, s[24:25]
	v_cndmask_b32_e64 v10, v17, v23, s[24:25]
	;; [unrolled: 1-line block ×4, first 2 shown]
	ds_read_b64 v[22:23], v4
	v_cndmask_b32_e64 v14, v2, v0, s[20:21]
	v_cndmask_b32_e64 v0, v37, v48, s[30:31]
	;; [unrolled: 1-line block ×9, first 2 shown]
	s_waitcnt lgkmcnt(0)
	v_cndmask_b32_e64 v5, v49, v23, s[30:31]
	v_cndmask_b32_e64 v4, v50, v22, s[30:31]
	v_cmp_lt_u32_e32 vcc, v0, v25
	s_and_saveexec_b64 s[20:21], vcc
	s_cbranch_execz .LBB383_1166
; %bb.1157:
	v_cndmask_b32_e64 v0, v22, v46, s[30:31]
	v_cndmask_b32_e64 v22, v47, v37, s[30:31]
	;; [unrolled: 1-line block ×3, first 2 shown]
	v_cmp_lt_u32_e32 vcc, v22, v24
	s_and_saveexec_b64 s[22:23], vcc
	s_cbranch_execz .LBB383_1165
; %bb.1158:
	s_andn2_b64 vcc, exec, s[42:43]
	s_cbranch_vccnz .LBB383_1164
; %bb.1159:
	v_mul_lo_u32 v24, v1, s36
	v_mul_lo_u32 v25, v0, s37
	v_mad_u64_u32 v[22:23], s[14:15], v0, s36, 0
	v_add3_u32 v23, v23, v25, v24
	v_mul_lo_u32 v37, v5, s36
	v_mul_lo_u32 v38, v4, s37
	v_mad_u64_u32 v[24:25], s[14:15], v4, s36, 0
	v_add3_u32 v25, v25, v38, v37
	v_lshl_add_u64 v[22:23], v[22:23], 2, s[38:39]
	v_lshl_add_u64 v[24:25], v[24:25], 2, s[38:39]
	s_mov_b64 s[24:25], 0
	s_mov_b64 s[30:31], s[36:37]
                                        ; implicit-def: $sgpr26_sgpr27
                                        ; implicit-def: $sgpr28_sgpr29
                                        ; implicit-def: $sgpr14_sgpr15
                                        ; implicit-def: $sgpr44_sgpr45
	s_branch .LBB383_1161
.LBB383_1160:                           ;   in Loop: Header=BB383_1161 Depth=1
	s_or_b64 exec, exec, s[48:49]
	s_and_b64 s[16:17], exec, s[28:29]
	s_or_b64 s[24:25], s[16:17], s[24:25]
	s_andn2_b64 s[16:17], s[44:45], exec
	s_and_b64 s[44:45], s[46:47], exec
	s_or_b64 s[44:45], s[16:17], s[44:45]
	s_andn2_b64 s[16:17], s[26:27], exec
	s_and_b64 s[26:27], s[14:15], exec
	s_or_b64 s[26:27], s[16:17], s[26:27]
	s_andn2_b64 exec, exec, s[24:25]
	s_cbranch_execz .LBB383_1163
.LBB383_1161:                           ; =>This Inner Loop Header: Depth=1
	global_load_dword v37, v[22:23], off
	global_load_dword v38, v[24:25], off
	s_andn2_b64 s[48:49], s[14:15], exec
	s_or_b64 s[28:29], s[28:29], exec
	s_waitcnt vmcnt(0)
	v_cmp_le_i32_e64 s[14:15], v37, v38
	v_cmp_lt_i32_e32 vcc, v37, v38
	s_and_b64 s[14:15], s[14:15], s[44:45]
	s_or_b64 s[46:47], vcc, s[14:15]
	s_and_b64 s[14:15], s[46:47], exec
	v_cmp_eq_u32_e64 s[16:17], v37, v38
	s_or_b64 s[14:15], s[48:49], s[14:15]
	s_and_saveexec_b64 s[48:49], s[16:17]
	s_cbranch_execz .LBB383_1160
; %bb.1162:                             ;   in Loop: Header=BB383_1161 Depth=1
	s_add_u32 s30, s30, -1
	s_addc_u32 s31, s31, -1
	s_cmp_eq_u64 s[30:31], 0
	s_cselect_b64 s[16:17], -1, 0
	s_andn2_b64 s[28:29], s[28:29], exec
	s_and_b64 s[16:17], s[16:17], exec
	v_lshl_add_u64 v[22:23], v[22:23], 0, 4
	v_lshl_add_u64 v[24:25], v[24:25], 0, 4
	s_andn2_b64 s[14:15], s[14:15], exec
	s_or_b64 s[28:29], s[28:29], s[16:17]
                                        ; implicit-def: $sgpr44_sgpr45
	s_branch .LBB383_1160
.LBB383_1163:
	s_or_b64 exec, exec, s[24:25]
	v_cndmask_b32_e64 v5, v5, v1, s[26:27]
	v_cndmask_b32_e64 v4, v4, v0, s[26:27]
.LBB383_1164:
	v_mov_b64_e32 v[0:1], v[4:5]
.LBB383_1165:
	s_or_b64 exec, exec, s[22:23]
	v_mov_b64_e32 v[4:5], v[0:1]
.LBB383_1166:
	s_or_b64 exec, exec, s[20:21]
.LBB383_1167:
	s_or_b64 exec, exec, s[18:19]
	v_and_b32_e32 v39, 0x3c0, v35
	v_or_b32_e32 v0, 32, v39
	v_min_u32_e32 v24, v34, v0
	v_add_u32_e32 v0, 32, v24
	v_min_u32_e32 v25, v34, v0
	v_and_b32_e32 v0, 56, v35
	v_min_u32_e32 v40, v34, v0
	v_sub_u32_e32 v0, v24, v39
	v_sub_u32_e32 v1, v25, v24
	v_sub_u32_e64 v38, v40, v1 clamp
	v_min_u32_e32 v41, v40, v0
	v_lshl_add_u32 v37, v39, 3, v33
	v_cmp_lt_u32_e32 vcc, v38, v41
	; wave barrier
	ds_write_b128 v36, v[14:17]
	ds_write_b128 v36, v[10:13] offset:16
	ds_write_b128 v36, v[6:9] offset:32
	;; [unrolled: 1-line block ×3, first 2 shown]
	; wave barrier
	s_and_saveexec_b64 s[20:21], vcc
	s_cbranch_execz .LBB383_1177
; %bb.1168:
	v_lshlrev_b32_e32 v0, 3, v24
	v_lshlrev_b32_e32 v1, 3, v40
	v_add3_u32 v42, v33, v0, v1
	v_cndmask_b32_e64 v0, 0, 1, s[42:43]
	s_lshl_b64 s[24:25], s[36:37], 2
	s_mov_b64 s[22:23], 0
	v_cmp_ne_u32_e64 s[14:15], 1, v0
	s_branch .LBB383_1171
.LBB383_1169:                           ;   in Loop: Header=BB383_1171 Depth=1
	s_or_b64 exec, exec, s[28:29]
.LBB383_1170:                           ;   in Loop: Header=BB383_1171 Depth=1
	v_add_u32_e32 v0, 1, v43
	v_cndmask_b32_e64 v41, v41, v43, s[26:27]
	v_cndmask_b32_e64 v38, v0, v38, s[26:27]
	v_cmp_ge_u32_e32 vcc, v38, v41
	s_or_b64 s[22:23], vcc, s[22:23]
	s_andn2_b64 exec, exec, s[22:23]
	s_cbranch_execz .LBB383_1176
.LBB383_1171:                           ; =>This Loop Header: Depth=1
                                        ;     Child Loop BB383_1174 Depth 2
	v_add_u32_e32 v0, v41, v38
	v_lshrrev_b32_e32 v43, 1, v0
	s_and_b64 vcc, exec, s[14:15]
	s_mov_b64 s[26:27], 0
	s_cbranch_vccnz .LBB383_1170
; %bb.1172:                             ;   in Loop: Header=BB383_1171 Depth=1
	v_not_b32_e32 v0, v43
	v_lshl_add_u32 v0, v0, 3, v42
	ds_read_b64 v[0:1], v0
	v_lshl_add_u32 v44, v43, 3, v37
	ds_read_b64 v[44:45], v44
	v_mov_b64_e32 v[22:23], s[38:39]
	s_mov_b64 s[28:29], 0
	s_waitcnt lgkmcnt(1)
	v_mul_lo_u32 v46, s24, v1
	v_mul_lo_u32 v47, s25, v0
	v_mad_u64_u32 v[0:1], s[16:17], s24, v0, v[22:23]
	v_add3_u32 v1, v47, v1, v46
	s_waitcnt lgkmcnt(0)
	v_mul_lo_u32 v45, s24, v45
	v_mul_lo_u32 v46, s25, v44
	v_mad_u64_u32 v[22:23], s[16:17], s24, v44, v[22:23]
	v_add3_u32 v23, v46, v23, v45
	s_mov_b64 s[44:45], s[36:37]
                                        ; implicit-def: $sgpr26_sgpr27
                                        ; implicit-def: $sgpr30_sgpr31
                                        ; implicit-def: $sgpr16_sgpr17
                                        ; implicit-def: $sgpr46_sgpr47
	s_branch .LBB383_1174
.LBB383_1173:                           ;   in Loop: Header=BB383_1174 Depth=2
	s_or_b64 exec, exec, s[50:51]
	s_and_b64 s[18:19], exec, s[30:31]
	s_or_b64 s[28:29], s[18:19], s[28:29]
	s_andn2_b64 s[18:19], s[46:47], exec
	s_and_b64 s[46:47], s[48:49], exec
	s_or_b64 s[46:47], s[18:19], s[46:47]
	s_andn2_b64 s[18:19], s[26:27], exec
	s_and_b64 s[26:27], s[16:17], exec
	s_or_b64 s[26:27], s[18:19], s[26:27]
	s_andn2_b64 exec, exec, s[28:29]
	s_cbranch_execz .LBB383_1169
.LBB383_1174:                           ;   Parent Loop BB383_1171 Depth=1
                                        ; =>  This Inner Loop Header: Depth=2
	global_load_dword v44, v[0:1], off
	global_load_dword v45, v[22:23], off
	s_andn2_b64 s[50:51], s[16:17], exec
	s_or_b64 s[30:31], s[30:31], exec
	s_waitcnt vmcnt(0)
	v_cmp_le_i32_e64 s[16:17], v44, v45
	v_cmp_lt_i32_e32 vcc, v44, v45
	s_and_b64 s[16:17], s[16:17], s[46:47]
	s_or_b64 s[48:49], vcc, s[16:17]
	s_and_b64 s[16:17], s[48:49], exec
	v_cmp_eq_u32_e64 s[18:19], v44, v45
	s_or_b64 s[16:17], s[50:51], s[16:17]
	s_and_saveexec_b64 s[50:51], s[18:19]
	s_cbranch_execz .LBB383_1173
; %bb.1175:                             ;   in Loop: Header=BB383_1174 Depth=2
	s_add_u32 s44, s44, -1
	s_addc_u32 s45, s45, -1
	s_cmp_eq_u64 s[44:45], 0
	s_cselect_b64 s[18:19], -1, 0
	s_andn2_b64 s[30:31], s[30:31], exec
	s_and_b64 s[18:19], s[18:19], exec
	v_lshl_add_u64 v[0:1], v[0:1], 0, 4
	v_lshl_add_u64 v[22:23], v[22:23], 0, 4
	s_andn2_b64 s[16:17], s[16:17], exec
	s_or_b64 s[30:31], s[30:31], s[18:19]
                                        ; implicit-def: $sgpr46_sgpr47
	s_branch .LBB383_1173
.LBB383_1176:
	s_or_b64 exec, exec, s[22:23]
.LBB383_1177:
	s_or_b64 exec, exec, s[20:21]
	v_add_u32_e32 v0, v24, v40
	v_add_u32_e32 v23, v38, v39
	v_sub_u32_e32 v39, v0, v38
	v_cmp_le_u32_e32 vcc, v23, v24
	v_cmp_le_u32_e64 s[14:15], v39, v25
	s_or_b64 s[14:15], vcc, s[14:15]
	s_and_saveexec_b64 s[18:19], s[14:15]
	s_cbranch_execz .LBB383_1268
; %bb.1178:
	v_cmp_ge_u32_e32 vcc, v23, v24
	v_cmp_lt_u32_e64 s[14:15], v23, v24
                                        ; implicit-def: $vgpr0_vgpr1
	s_and_saveexec_b64 s[16:17], s[14:15]
; %bb.1179:
	v_lshl_add_u32 v0, v38, 3, v37
	ds_read_b64 v[0:1], v0
; %bb.1180:
	s_or_b64 exec, exec, s[16:17]
	v_cmp_ge_u32_e64 s[20:21], v39, v25
	v_cmp_lt_u32_e64 s[14:15], v39, v25
                                        ; implicit-def: $vgpr2_vgpr3
	s_and_saveexec_b64 s[16:17], s[14:15]
; %bb.1181:
	v_lshl_add_u32 v2, v39, 3, v33
	ds_read_b64 v[2:3], v2
; %bb.1182:
	s_or_b64 exec, exec, s[16:17]
	s_nor_b64 s[14:15], vcc, s[20:21]
	s_and_saveexec_b64 s[22:23], s[14:15]
	s_cbranch_execz .LBB383_1191
; %bb.1183:
	s_andn2_b64 vcc, exec, s[42:43]
	s_cbranch_vccnz .LBB383_1189
; %bb.1184:
	s_waitcnt lgkmcnt(0)
	v_mul_lo_u32 v6, v3, s36
	v_mul_lo_u32 v7, v2, s37
	v_mad_u64_u32 v[4:5], s[14:15], v2, s36, 0
	v_add3_u32 v5, v5, v7, v6
	v_mul_lo_u32 v8, v1, s36
	v_mul_lo_u32 v9, v0, s37
	v_mad_u64_u32 v[6:7], s[14:15], v0, s36, 0
	v_add3_u32 v7, v7, v9, v8
	v_lshl_add_u64 v[4:5], v[4:5], 2, s[38:39]
	v_lshl_add_u64 v[6:7], v[6:7], 2, s[38:39]
	s_mov_b64 s[24:25], 0
	s_mov_b64 s[30:31], s[36:37]
                                        ; implicit-def: $sgpr26_sgpr27
                                        ; implicit-def: $sgpr28_sgpr29
                                        ; implicit-def: $sgpr14_sgpr15
                                        ; implicit-def: $sgpr44_sgpr45
	s_branch .LBB383_1186
.LBB383_1185:                           ;   in Loop: Header=BB383_1186 Depth=1
	s_or_b64 exec, exec, s[48:49]
	s_and_b64 s[16:17], exec, s[28:29]
	s_or_b64 s[24:25], s[16:17], s[24:25]
	s_andn2_b64 s[16:17], s[44:45], exec
	s_and_b64 s[44:45], s[46:47], exec
	s_or_b64 s[44:45], s[16:17], s[44:45]
	s_andn2_b64 s[16:17], s[26:27], exec
	s_and_b64 s[26:27], s[14:15], exec
	s_or_b64 s[26:27], s[16:17], s[26:27]
	s_andn2_b64 exec, exec, s[24:25]
	s_cbranch_execz .LBB383_1188
.LBB383_1186:                           ; =>This Inner Loop Header: Depth=1
	global_load_dword v8, v[4:5], off
	global_load_dword v9, v[6:7], off
	s_andn2_b64 s[48:49], s[14:15], exec
	s_or_b64 s[28:29], s[28:29], exec
	s_waitcnt vmcnt(0)
	v_cmp_le_i32_e64 s[14:15], v8, v9
	v_cmp_lt_i32_e32 vcc, v8, v9
	s_and_b64 s[14:15], s[14:15], s[44:45]
	s_or_b64 s[46:47], vcc, s[14:15]
	s_and_b64 s[14:15], s[46:47], exec
	v_cmp_eq_u32_e64 s[16:17], v8, v9
	s_or_b64 s[14:15], s[48:49], s[14:15]
	s_and_saveexec_b64 s[48:49], s[16:17]
	s_cbranch_execz .LBB383_1185
; %bb.1187:                             ;   in Loop: Header=BB383_1186 Depth=1
	s_add_u32 s30, s30, -1
	s_addc_u32 s31, s31, -1
	s_cmp_eq_u64 s[30:31], 0
	s_cselect_b64 s[16:17], -1, 0
	s_andn2_b64 s[28:29], s[28:29], exec
	s_and_b64 s[16:17], s[16:17], exec
	v_lshl_add_u64 v[4:5], v[4:5], 0, 4
	v_lshl_add_u64 v[6:7], v[6:7], 0, 4
	s_andn2_b64 s[14:15], s[14:15], exec
	s_or_b64 s[28:29], s[28:29], s[16:17]
                                        ; implicit-def: $sgpr44_sgpr45
	s_branch .LBB383_1185
.LBB383_1188:
	s_or_b64 exec, exec, s[24:25]
	s_xor_b64 s[14:15], s[26:27], -1
	s_branch .LBB383_1190
.LBB383_1189:
	s_mov_b64 s[14:15], -1
.LBB383_1190:
	s_andn2_b64 s[16:17], s[20:21], exec
	s_and_b64 s[14:15], s[14:15], exec
	s_or_b64 s[20:21], s[16:17], s[14:15]
.LBB383_1191:
	s_or_b64 exec, exec, s[22:23]
	v_cndmask_b32_e64 v4, v39, v23, s[20:21]
	v_cndmask_b32_e64 v5, v25, v24, s[20:21]
	v_add_u32_e32 v6, 1, v4
	v_add_u32_e32 v4, -1, v5
	v_min_u32_e32 v4, v6, v4
	v_lshl_add_u32 v4, v4, 3, v33
	ds_read_b64 v[4:5], v4
	v_cndmask_b32_e64 v8, v6, v39, s[20:21]
	v_cndmask_b32_e64 v9, v23, v6, s[20:21]
	v_cmp_lt_u32_e32 vcc, v8, v25
	s_mov_b64 s[24:25], -1
	s_waitcnt lgkmcnt(0)
	v_cndmask_b32_e64 v14, v5, v3, s[20:21]
	v_cndmask_b32_e64 v15, v4, v2, s[20:21]
	;; [unrolled: 1-line block ×4, first 2 shown]
	s_mov_b64 s[22:23], -1
	s_and_saveexec_b64 s[26:27], vcc
	s_cbranch_execz .LBB383_1202
; %bb.1192:
	v_cmp_lt_u32_e32 vcc, v9, v24
	s_mov_b64 s[14:15], 0
	s_and_saveexec_b64 s[22:23], vcc
	s_cbranch_execz .LBB383_1201
; %bb.1193:
	s_andn2_b64 vcc, exec, s[42:43]
	s_cbranch_vccnz .LBB383_1199
; %bb.1194:
	v_mul_lo_u32 v6, v14, s36
	v_mul_lo_u32 v7, v15, s37
	v_mad_u64_u32 v[4:5], s[14:15], v15, s36, 0
	v_add3_u32 v5, v5, v7, v6
	v_mul_lo_u32 v10, v16, s36
	v_mul_lo_u32 v11, v22, s37
	v_mad_u64_u32 v[6:7], s[14:15], v22, s36, 0
	v_add3_u32 v7, v7, v11, v10
	v_lshl_add_u64 v[4:5], v[4:5], 2, s[38:39]
	v_lshl_add_u64 v[6:7], v[6:7], 2, s[38:39]
	s_mov_b64 s[28:29], 0
	s_mov_b64 s[46:47], s[36:37]
                                        ; implicit-def: $sgpr30_sgpr31
                                        ; implicit-def: $sgpr44_sgpr45
                                        ; implicit-def: $sgpr14_sgpr15
                                        ; implicit-def: $sgpr48_sgpr49
	s_branch .LBB383_1196
.LBB383_1195:                           ;   in Loop: Header=BB383_1196 Depth=1
	s_or_b64 exec, exec, s[52:53]
	s_and_b64 s[16:17], exec, s[44:45]
	s_or_b64 s[28:29], s[16:17], s[28:29]
	s_andn2_b64 s[16:17], s[48:49], exec
	s_and_b64 s[48:49], s[50:51], exec
	s_or_b64 s[48:49], s[16:17], s[48:49]
	s_andn2_b64 s[16:17], s[30:31], exec
	s_and_b64 s[30:31], s[14:15], exec
	s_or_b64 s[30:31], s[16:17], s[30:31]
	s_andn2_b64 exec, exec, s[28:29]
	s_cbranch_execz .LBB383_1198
.LBB383_1196:                           ; =>This Inner Loop Header: Depth=1
	global_load_dword v10, v[4:5], off
	global_load_dword v11, v[6:7], off
	s_andn2_b64 s[52:53], s[14:15], exec
	s_or_b64 s[44:45], s[44:45], exec
	s_waitcnt vmcnt(0)
	v_cmp_le_i32_e64 s[14:15], v10, v11
	v_cmp_lt_i32_e32 vcc, v10, v11
	s_and_b64 s[14:15], s[14:15], s[48:49]
	s_or_b64 s[50:51], vcc, s[14:15]
	s_and_b64 s[14:15], s[50:51], exec
	v_cmp_eq_u32_e64 s[16:17], v10, v11
	s_or_b64 s[14:15], s[52:53], s[14:15]
	s_and_saveexec_b64 s[52:53], s[16:17]
	s_cbranch_execz .LBB383_1195
; %bb.1197:                             ;   in Loop: Header=BB383_1196 Depth=1
	s_add_u32 s46, s46, -1
	s_addc_u32 s47, s47, -1
	s_cmp_eq_u64 s[46:47], 0
	s_cselect_b64 s[16:17], -1, 0
	s_andn2_b64 s[44:45], s[44:45], exec
	s_and_b64 s[16:17], s[16:17], exec
	v_lshl_add_u64 v[4:5], v[4:5], 0, 4
	v_lshl_add_u64 v[6:7], v[6:7], 0, 4
	s_andn2_b64 s[14:15], s[14:15], exec
	s_or_b64 s[44:45], s[44:45], s[16:17]
                                        ; implicit-def: $sgpr48_sgpr49
	s_branch .LBB383_1195
.LBB383_1198:
	s_or_b64 exec, exec, s[28:29]
	s_xor_b64 s[14:15], s[30:31], -1
	s_branch .LBB383_1200
.LBB383_1199:
	s_mov_b64 s[14:15], -1
.LBB383_1200:
	s_and_b64 s[14:15], s[14:15], exec
.LBB383_1201:
	s_or_b64 exec, exec, s[22:23]
	s_orn2_b64 s[22:23], s[14:15], exec
.LBB383_1202:
	s_or_b64 exec, exec, s[26:27]
	v_cndmask_b32_e64 v4, v8, v9, s[22:23]
	v_cndmask_b32_e64 v5, v25, v24, s[22:23]
	v_add_u32_e32 v6, 1, v4
	v_add_u32_e32 v4, -1, v5
	v_min_u32_e32 v4, v6, v4
	v_lshl_add_u32 v4, v4, 3, v33
	ds_read_b64 v[4:5], v4
	v_cndmask_b32_e64 v8, v6, v8, s[22:23]
	v_cndmask_b32_e64 v9, v9, v6, s[22:23]
	v_cmp_lt_u32_e32 vcc, v8, v25
	s_waitcnt lgkmcnt(0)
	v_cndmask_b32_e64 v10, v5, v14, s[22:23]
	v_cndmask_b32_e64 v17, v4, v15, s[22:23]
	v_cndmask_b32_e64 v11, v16, v5, s[22:23]
	v_cndmask_b32_e64 v23, v22, v4, s[22:23]
	s_and_saveexec_b64 s[26:27], vcc
	s_cbranch_execz .LBB383_1213
; %bb.1203:
	v_cmp_lt_u32_e32 vcc, v9, v24
	s_mov_b64 s[14:15], 0
	s_and_saveexec_b64 s[24:25], vcc
	s_cbranch_execz .LBB383_1212
; %bb.1204:
	s_andn2_b64 vcc, exec, s[42:43]
	s_cbranch_vccnz .LBB383_1210
; %bb.1205:
	v_mul_lo_u32 v6, v10, s36
	v_mul_lo_u32 v7, v17, s37
	v_mad_u64_u32 v[4:5], s[14:15], v17, s36, 0
	v_add3_u32 v5, v5, v7, v6
	v_mul_lo_u32 v12, v11, s36
	v_mul_lo_u32 v13, v23, s37
	v_mad_u64_u32 v[6:7], s[14:15], v23, s36, 0
	v_add3_u32 v7, v7, v13, v12
	v_lshl_add_u64 v[4:5], v[4:5], 2, s[38:39]
	v_lshl_add_u64 v[6:7], v[6:7], 2, s[38:39]
	s_mov_b64 s[28:29], 0
	s_mov_b64 s[46:47], s[36:37]
                                        ; implicit-def: $sgpr30_sgpr31
                                        ; implicit-def: $sgpr44_sgpr45
                                        ; implicit-def: $sgpr14_sgpr15
                                        ; implicit-def: $sgpr48_sgpr49
	s_branch .LBB383_1207
.LBB383_1206:                           ;   in Loop: Header=BB383_1207 Depth=1
	s_or_b64 exec, exec, s[52:53]
	s_and_b64 s[16:17], exec, s[44:45]
	s_or_b64 s[28:29], s[16:17], s[28:29]
	s_andn2_b64 s[16:17], s[48:49], exec
	s_and_b64 s[48:49], s[50:51], exec
	s_or_b64 s[48:49], s[16:17], s[48:49]
	s_andn2_b64 s[16:17], s[30:31], exec
	s_and_b64 s[30:31], s[14:15], exec
	s_or_b64 s[30:31], s[16:17], s[30:31]
	s_andn2_b64 exec, exec, s[28:29]
	s_cbranch_execz .LBB383_1209
.LBB383_1207:                           ; =>This Inner Loop Header: Depth=1
	global_load_dword v12, v[4:5], off
	global_load_dword v13, v[6:7], off
	s_andn2_b64 s[52:53], s[14:15], exec
	s_or_b64 s[44:45], s[44:45], exec
	s_waitcnt vmcnt(0)
	v_cmp_le_i32_e64 s[14:15], v12, v13
	v_cmp_lt_i32_e32 vcc, v12, v13
	s_and_b64 s[14:15], s[14:15], s[48:49]
	s_or_b64 s[50:51], vcc, s[14:15]
	s_and_b64 s[14:15], s[50:51], exec
	v_cmp_eq_u32_e64 s[16:17], v12, v13
	s_or_b64 s[14:15], s[52:53], s[14:15]
	s_and_saveexec_b64 s[52:53], s[16:17]
	s_cbranch_execz .LBB383_1206
; %bb.1208:                             ;   in Loop: Header=BB383_1207 Depth=1
	s_add_u32 s46, s46, -1
	s_addc_u32 s47, s47, -1
	s_cmp_eq_u64 s[46:47], 0
	s_cselect_b64 s[16:17], -1, 0
	s_andn2_b64 s[44:45], s[44:45], exec
	s_and_b64 s[16:17], s[16:17], exec
	v_lshl_add_u64 v[4:5], v[4:5], 0, 4
	v_lshl_add_u64 v[6:7], v[6:7], 0, 4
	s_andn2_b64 s[14:15], s[14:15], exec
	s_or_b64 s[44:45], s[44:45], s[16:17]
                                        ; implicit-def: $sgpr48_sgpr49
	s_branch .LBB383_1206
.LBB383_1209:
	s_or_b64 exec, exec, s[28:29]
	s_xor_b64 s[14:15], s[30:31], -1
	s_branch .LBB383_1211
.LBB383_1210:
	s_mov_b64 s[14:15], -1
.LBB383_1211:
	s_and_b64 s[14:15], s[14:15], exec
.LBB383_1212:
	s_or_b64 exec, exec, s[24:25]
	s_orn2_b64 s[24:25], s[14:15], exec
.LBB383_1213:
	s_or_b64 exec, exec, s[26:27]
	v_cndmask_b32_e64 v4, v8, v9, s[24:25]
	v_cndmask_b32_e64 v5, v25, v24, s[24:25]
	v_add_u32_e32 v6, 1, v4
	v_add_u32_e32 v4, -1, v5
	v_min_u32_e32 v4, v6, v4
	v_lshl_add_u32 v4, v4, 3, v33
	ds_read_b64 v[4:5], v4
	v_cndmask_b32_e64 v8, v6, v8, s[24:25]
	v_cndmask_b32_e64 v9, v9, v6, s[24:25]
	v_cmp_lt_u32_e32 vcc, v8, v25
	s_mov_b64 s[28:29], -1
	s_waitcnt lgkmcnt(0)
	v_cndmask_b32_e64 v12, v5, v10, s[24:25]
	v_cndmask_b32_e64 v37, v4, v17, s[24:25]
	;; [unrolled: 1-line block ×4, first 2 shown]
	s_mov_b64 s[26:27], -1
	s_and_saveexec_b64 s[30:31], vcc
	s_cbranch_execz .LBB383_1224
; %bb.1214:
	v_cmp_lt_u32_e32 vcc, v9, v24
	s_mov_b64 s[14:15], 0
	s_and_saveexec_b64 s[26:27], vcc
	s_cbranch_execz .LBB383_1223
; %bb.1215:
	s_andn2_b64 vcc, exec, s[42:43]
	s_cbranch_vccnz .LBB383_1221
; %bb.1216:
	v_mul_lo_u32 v6, v12, s36
	v_mul_lo_u32 v7, v37, s37
	v_mad_u64_u32 v[4:5], s[14:15], v37, s36, 0
	v_add3_u32 v5, v5, v7, v6
	v_mul_lo_u32 v39, v13, s36
	v_mul_lo_u32 v40, v38, s37
	v_mad_u64_u32 v[6:7], s[14:15], v38, s36, 0
	v_add3_u32 v7, v7, v40, v39
	v_lshl_add_u64 v[4:5], v[4:5], 2, s[38:39]
	v_lshl_add_u64 v[6:7], v[6:7], 2, s[38:39]
	s_mov_b64 s[44:45], 0
	s_mov_b64 s[50:51], s[36:37]
                                        ; implicit-def: $sgpr46_sgpr47
                                        ; implicit-def: $sgpr48_sgpr49
                                        ; implicit-def: $sgpr14_sgpr15
                                        ; implicit-def: $sgpr52_sgpr53
	s_branch .LBB383_1218
.LBB383_1217:                           ;   in Loop: Header=BB383_1218 Depth=1
	s_or_b64 exec, exec, s[56:57]
	s_and_b64 s[16:17], exec, s[48:49]
	s_or_b64 s[44:45], s[16:17], s[44:45]
	s_andn2_b64 s[16:17], s[52:53], exec
	s_and_b64 s[52:53], s[54:55], exec
	s_or_b64 s[52:53], s[16:17], s[52:53]
	s_andn2_b64 s[16:17], s[46:47], exec
	s_and_b64 s[46:47], s[14:15], exec
	s_or_b64 s[46:47], s[16:17], s[46:47]
	s_andn2_b64 exec, exec, s[44:45]
	s_cbranch_execz .LBB383_1220
.LBB383_1218:                           ; =>This Inner Loop Header: Depth=1
	global_load_dword v39, v[4:5], off
	global_load_dword v40, v[6:7], off
	s_andn2_b64 s[56:57], s[14:15], exec
	s_or_b64 s[48:49], s[48:49], exec
	s_waitcnt vmcnt(0)
	v_cmp_le_i32_e64 s[14:15], v39, v40
	v_cmp_lt_i32_e32 vcc, v39, v40
	s_and_b64 s[14:15], s[14:15], s[52:53]
	s_or_b64 s[54:55], vcc, s[14:15]
	s_and_b64 s[14:15], s[54:55], exec
	v_cmp_eq_u32_e64 s[16:17], v39, v40
	s_or_b64 s[14:15], s[56:57], s[14:15]
	s_and_saveexec_b64 s[56:57], s[16:17]
	s_cbranch_execz .LBB383_1217
; %bb.1219:                             ;   in Loop: Header=BB383_1218 Depth=1
	s_add_u32 s50, s50, -1
	s_addc_u32 s51, s51, -1
	s_cmp_eq_u64 s[50:51], 0
	s_cselect_b64 s[16:17], -1, 0
	s_andn2_b64 s[48:49], s[48:49], exec
	s_and_b64 s[16:17], s[16:17], exec
	v_lshl_add_u64 v[4:5], v[4:5], 0, 4
	v_lshl_add_u64 v[6:7], v[6:7], 0, 4
	s_andn2_b64 s[14:15], s[14:15], exec
	s_or_b64 s[48:49], s[48:49], s[16:17]
                                        ; implicit-def: $sgpr52_sgpr53
	s_branch .LBB383_1217
.LBB383_1220:
	s_or_b64 exec, exec, s[44:45]
	s_xor_b64 s[14:15], s[46:47], -1
	s_branch .LBB383_1222
.LBB383_1221:
	s_mov_b64 s[14:15], -1
.LBB383_1222:
	s_and_b64 s[14:15], s[14:15], exec
.LBB383_1223:
	s_or_b64 exec, exec, s[26:27]
	s_orn2_b64 s[26:27], s[14:15], exec
.LBB383_1224:
	s_or_b64 exec, exec, s[30:31]
	v_cndmask_b32_e64 v4, v8, v9, s[26:27]
	v_cndmask_b32_e64 v5, v25, v24, s[26:27]
	v_add_u32_e32 v6, 1, v4
	v_add_u32_e32 v4, -1, v5
	v_min_u32_e32 v4, v6, v4
	v_lshl_add_u32 v4, v4, 3, v33
	ds_read_b64 v[4:5], v4
	v_cndmask_b32_e64 v45, v6, v8, s[26:27]
	v_cndmask_b32_e64 v46, v9, v6, s[26:27]
	v_cmp_lt_u32_e32 vcc, v45, v25
	s_waitcnt lgkmcnt(0)
	v_cndmask_b32_e64 v39, v5, v12, s[26:27]
	v_cndmask_b32_e64 v40, v4, v37, s[26:27]
	;; [unrolled: 1-line block ×4, first 2 shown]
	s_and_saveexec_b64 s[30:31], vcc
	s_cbranch_execz .LBB383_1235
; %bb.1225:
	v_cmp_lt_u32_e32 vcc, v46, v24
	s_mov_b64 s[14:15], 0
	s_and_saveexec_b64 s[28:29], vcc
	s_cbranch_execz .LBB383_1234
; %bb.1226:
	s_andn2_b64 vcc, exec, s[42:43]
	s_cbranch_vccnz .LBB383_1232
; %bb.1227:
	v_mul_lo_u32 v6, v39, s36
	v_mul_lo_u32 v7, v40, s37
	v_mad_u64_u32 v[4:5], s[14:15], v40, s36, 0
	v_add3_u32 v5, v5, v7, v6
	v_mul_lo_u32 v8, v41, s36
	v_mul_lo_u32 v9, v42, s37
	v_mad_u64_u32 v[6:7], s[14:15], v42, s36, 0
	v_add3_u32 v7, v7, v9, v8
	v_lshl_add_u64 v[4:5], v[4:5], 2, s[38:39]
	v_lshl_add_u64 v[6:7], v[6:7], 2, s[38:39]
	s_mov_b64 s[44:45], 0
	s_mov_b64 s[50:51], s[36:37]
                                        ; implicit-def: $sgpr46_sgpr47
                                        ; implicit-def: $sgpr48_sgpr49
                                        ; implicit-def: $sgpr14_sgpr15
                                        ; implicit-def: $sgpr52_sgpr53
	s_branch .LBB383_1229
.LBB383_1228:                           ;   in Loop: Header=BB383_1229 Depth=1
	s_or_b64 exec, exec, s[56:57]
	s_and_b64 s[16:17], exec, s[48:49]
	s_or_b64 s[44:45], s[16:17], s[44:45]
	s_andn2_b64 s[16:17], s[52:53], exec
	s_and_b64 s[52:53], s[54:55], exec
	s_or_b64 s[52:53], s[16:17], s[52:53]
	s_andn2_b64 s[16:17], s[46:47], exec
	s_and_b64 s[46:47], s[14:15], exec
	s_or_b64 s[46:47], s[16:17], s[46:47]
	s_andn2_b64 exec, exec, s[44:45]
	s_cbranch_execz .LBB383_1231
.LBB383_1229:                           ; =>This Inner Loop Header: Depth=1
	global_load_dword v8, v[4:5], off
	global_load_dword v9, v[6:7], off
	s_andn2_b64 s[56:57], s[14:15], exec
	s_or_b64 s[48:49], s[48:49], exec
	s_waitcnt vmcnt(0)
	v_cmp_le_i32_e64 s[14:15], v8, v9
	v_cmp_lt_i32_e32 vcc, v8, v9
	s_and_b64 s[14:15], s[14:15], s[52:53]
	s_or_b64 s[54:55], vcc, s[14:15]
	s_and_b64 s[14:15], s[54:55], exec
	v_cmp_eq_u32_e64 s[16:17], v8, v9
	s_or_b64 s[14:15], s[56:57], s[14:15]
	s_and_saveexec_b64 s[56:57], s[16:17]
	s_cbranch_execz .LBB383_1228
; %bb.1230:                             ;   in Loop: Header=BB383_1229 Depth=1
	s_add_u32 s50, s50, -1
	s_addc_u32 s51, s51, -1
	s_cmp_eq_u64 s[50:51], 0
	s_cselect_b64 s[16:17], -1, 0
	s_andn2_b64 s[48:49], s[48:49], exec
	s_and_b64 s[16:17], s[16:17], exec
	v_lshl_add_u64 v[4:5], v[4:5], 0, 4
	v_lshl_add_u64 v[6:7], v[6:7], 0, 4
	s_andn2_b64 s[14:15], s[14:15], exec
	s_or_b64 s[48:49], s[48:49], s[16:17]
                                        ; implicit-def: $sgpr52_sgpr53
	s_branch .LBB383_1228
.LBB383_1231:
	s_or_b64 exec, exec, s[44:45]
	s_xor_b64 s[14:15], s[46:47], -1
	s_branch .LBB383_1233
.LBB383_1232:
	s_mov_b64 s[14:15], -1
.LBB383_1233:
	s_and_b64 s[14:15], s[14:15], exec
.LBB383_1234:
	s_or_b64 exec, exec, s[28:29]
	s_orn2_b64 s[28:29], s[14:15], exec
.LBB383_1235:
	s_or_b64 exec, exec, s[30:31]
	v_cndmask_b32_e64 v4, v45, v46, s[28:29]
	v_cndmask_b32_e64 v5, v25, v24, s[28:29]
	v_add_u32_e32 v6, 1, v4
	v_add_u32_e32 v4, -1, v5
	v_min_u32_e32 v4, v6, v4
	v_lshl_add_u32 v4, v4, 3, v33
	ds_read_b64 v[4:5], v4
	v_cndmask_b32_e64 v47, v6, v45, s[28:29]
	v_cndmask_b32_e64 v51, v46, v6, s[28:29]
	v_cmp_lt_u32_e32 vcc, v47, v25
	s_mov_b64 s[30:31], -1
	s_waitcnt lgkmcnt(0)
	v_cndmask_b32_e64 v8, v5, v39, s[28:29]
	v_cndmask_b32_e64 v43, v4, v40, s[28:29]
	;; [unrolled: 1-line block ×4, first 2 shown]
	s_mov_b64 s[44:45], -1
	s_and_saveexec_b64 s[46:47], vcc
	s_cbranch_execz .LBB383_1246
; %bb.1236:
	v_cmp_lt_u32_e32 vcc, v51, v24
	s_mov_b64 s[14:15], 0
	s_and_saveexec_b64 s[44:45], vcc
	s_cbranch_execz .LBB383_1245
; %bb.1237:
	s_andn2_b64 vcc, exec, s[42:43]
	s_cbranch_vccnz .LBB383_1243
; %bb.1238:
	v_mul_lo_u32 v6, v8, s36
	v_mul_lo_u32 v7, v43, s37
	v_mad_u64_u32 v[4:5], s[14:15], v43, s36, 0
	v_add3_u32 v5, v5, v7, v6
	v_mul_lo_u32 v45, v9, s36
	v_mul_lo_u32 v46, v44, s37
	v_mad_u64_u32 v[6:7], s[14:15], v44, s36, 0
	v_add3_u32 v7, v7, v46, v45
	v_lshl_add_u64 v[4:5], v[4:5], 2, s[38:39]
	v_lshl_add_u64 v[6:7], v[6:7], 2, s[38:39]
	s_mov_b64 s[48:49], 0
	s_mov_b64 s[54:55], s[36:37]
                                        ; implicit-def: $sgpr50_sgpr51
                                        ; implicit-def: $sgpr52_sgpr53
                                        ; implicit-def: $sgpr14_sgpr15
                                        ; implicit-def: $sgpr56_sgpr57
	s_branch .LBB383_1240
.LBB383_1239:                           ;   in Loop: Header=BB383_1240 Depth=1
	s_or_b64 exec, exec, s[60:61]
	s_and_b64 s[16:17], exec, s[52:53]
	s_or_b64 s[48:49], s[16:17], s[48:49]
	s_andn2_b64 s[16:17], s[56:57], exec
	s_and_b64 s[56:57], s[58:59], exec
	s_or_b64 s[56:57], s[16:17], s[56:57]
	s_andn2_b64 s[16:17], s[50:51], exec
	s_and_b64 s[50:51], s[14:15], exec
	s_or_b64 s[50:51], s[16:17], s[50:51]
	s_andn2_b64 exec, exec, s[48:49]
	s_cbranch_execz .LBB383_1242
.LBB383_1240:                           ; =>This Inner Loop Header: Depth=1
	global_load_dword v45, v[4:5], off
	global_load_dword v46, v[6:7], off
	s_andn2_b64 s[60:61], s[14:15], exec
	s_or_b64 s[52:53], s[52:53], exec
	s_waitcnt vmcnt(0)
	v_cmp_le_i32_e64 s[14:15], v45, v46
	v_cmp_lt_i32_e32 vcc, v45, v46
	s_and_b64 s[14:15], s[14:15], s[56:57]
	s_or_b64 s[58:59], vcc, s[14:15]
	s_and_b64 s[14:15], s[58:59], exec
	v_cmp_eq_u32_e64 s[16:17], v45, v46
	s_or_b64 s[14:15], s[60:61], s[14:15]
	s_and_saveexec_b64 s[60:61], s[16:17]
	s_cbranch_execz .LBB383_1239
; %bb.1241:                             ;   in Loop: Header=BB383_1240 Depth=1
	s_add_u32 s54, s54, -1
	s_addc_u32 s55, s55, -1
	s_cmp_eq_u64 s[54:55], 0
	s_cselect_b64 s[16:17], -1, 0
	s_andn2_b64 s[52:53], s[52:53], exec
	s_and_b64 s[16:17], s[16:17], exec
	v_lshl_add_u64 v[4:5], v[4:5], 0, 4
	v_lshl_add_u64 v[6:7], v[6:7], 0, 4
	s_andn2_b64 s[14:15], s[14:15], exec
	s_or_b64 s[52:53], s[52:53], s[16:17]
                                        ; implicit-def: $sgpr56_sgpr57
	s_branch .LBB383_1239
.LBB383_1242:
	s_or_b64 exec, exec, s[48:49]
	s_xor_b64 s[14:15], s[50:51], -1
	s_branch .LBB383_1244
.LBB383_1243:
	s_mov_b64 s[14:15], -1
.LBB383_1244:
	s_and_b64 s[14:15], s[14:15], exec
.LBB383_1245:
	s_or_b64 exec, exec, s[44:45]
	s_orn2_b64 s[44:45], s[14:15], exec
.LBB383_1246:
	s_or_b64 exec, exec, s[46:47]
	v_cndmask_b32_e64 v4, v47, v51, s[44:45]
	v_cndmask_b32_e64 v5, v25, v24, s[44:45]
	v_add_u32_e32 v6, 1, v4
	v_add_u32_e32 v4, -1, v5
	v_min_u32_e32 v4, v6, v4
	v_lshl_add_u32 v4, v4, 3, v33
	ds_read_b64 v[4:5], v4
	v_cndmask_b32_e64 v48, v6, v47, s[44:45]
	v_cndmask_b32_e64 v47, v51, v6, s[44:45]
	v_cmp_lt_u32_e32 vcc, v48, v25
	s_waitcnt lgkmcnt(0)
	v_cndmask_b32_e64 v45, v5, v8, s[44:45]
	v_cndmask_b32_e64 v46, v4, v43, s[44:45]
	;; [unrolled: 1-line block ×4, first 2 shown]
	s_and_saveexec_b64 s[46:47], vcc
	s_cbranch_execz .LBB383_1257
; %bb.1247:
	v_cmp_lt_u32_e32 vcc, v47, v24
	s_mov_b64 s[14:15], 0
	s_and_saveexec_b64 s[30:31], vcc
	s_cbranch_execz .LBB383_1256
; %bb.1248:
	s_andn2_b64 vcc, exec, s[42:43]
	s_cbranch_vccnz .LBB383_1254
; %bb.1249:
	v_mul_lo_u32 v6, v45, s36
	v_mul_lo_u32 v7, v46, s37
	v_mad_u64_u32 v[4:5], s[14:15], v46, s36, 0
	v_add3_u32 v5, v5, v7, v6
	v_mul_lo_u32 v51, v49, s36
	v_mul_lo_u32 v52, v50, s37
	v_mad_u64_u32 v[6:7], s[14:15], v50, s36, 0
	v_add3_u32 v7, v7, v52, v51
	v_lshl_add_u64 v[4:5], v[4:5], 2, s[38:39]
	v_lshl_add_u64 v[6:7], v[6:7], 2, s[38:39]
	s_mov_b64 s[48:49], 0
	s_mov_b64 s[54:55], s[36:37]
                                        ; implicit-def: $sgpr50_sgpr51
                                        ; implicit-def: $sgpr52_sgpr53
                                        ; implicit-def: $sgpr14_sgpr15
                                        ; implicit-def: $sgpr56_sgpr57
	s_branch .LBB383_1251
.LBB383_1250:                           ;   in Loop: Header=BB383_1251 Depth=1
	s_or_b64 exec, exec, s[60:61]
	s_and_b64 s[16:17], exec, s[52:53]
	s_or_b64 s[48:49], s[16:17], s[48:49]
	s_andn2_b64 s[16:17], s[56:57], exec
	s_and_b64 s[56:57], s[58:59], exec
	s_or_b64 s[56:57], s[16:17], s[56:57]
	s_andn2_b64 s[16:17], s[50:51], exec
	s_and_b64 s[50:51], s[14:15], exec
	s_or_b64 s[50:51], s[16:17], s[50:51]
	s_andn2_b64 exec, exec, s[48:49]
	s_cbranch_execz .LBB383_1253
.LBB383_1251:                           ; =>This Inner Loop Header: Depth=1
	global_load_dword v51, v[4:5], off
	global_load_dword v52, v[6:7], off
	s_andn2_b64 s[60:61], s[14:15], exec
	s_or_b64 s[52:53], s[52:53], exec
	s_waitcnt vmcnt(0)
	v_cmp_le_i32_e64 s[14:15], v51, v52
	v_cmp_lt_i32_e32 vcc, v51, v52
	s_and_b64 s[14:15], s[14:15], s[56:57]
	s_or_b64 s[58:59], vcc, s[14:15]
	s_and_b64 s[14:15], s[58:59], exec
	v_cmp_eq_u32_e64 s[16:17], v51, v52
	s_or_b64 s[14:15], s[60:61], s[14:15]
	s_and_saveexec_b64 s[60:61], s[16:17]
	s_cbranch_execz .LBB383_1250
; %bb.1252:                             ;   in Loop: Header=BB383_1251 Depth=1
	s_add_u32 s54, s54, -1
	s_addc_u32 s55, s55, -1
	s_cmp_eq_u64 s[54:55], 0
	s_cselect_b64 s[16:17], -1, 0
	s_andn2_b64 s[52:53], s[52:53], exec
	s_and_b64 s[16:17], s[16:17], exec
	v_lshl_add_u64 v[4:5], v[4:5], 0, 4
	v_lshl_add_u64 v[6:7], v[6:7], 0, 4
	s_andn2_b64 s[14:15], s[14:15], exec
	s_or_b64 s[52:53], s[52:53], s[16:17]
                                        ; implicit-def: $sgpr56_sgpr57
	s_branch .LBB383_1250
.LBB383_1253:
	s_or_b64 exec, exec, s[48:49]
	s_xor_b64 s[14:15], s[50:51], -1
	s_branch .LBB383_1255
.LBB383_1254:
	s_mov_b64 s[14:15], -1
.LBB383_1255:
	s_and_b64 s[14:15], s[14:15], exec
.LBB383_1256:
	s_or_b64 exec, exec, s[30:31]
	s_orn2_b64 s[30:31], s[14:15], exec
.LBB383_1257:
	s_or_b64 exec, exec, s[46:47]
	v_cndmask_b32_e64 v4, v48, v47, s[30:31]
	v_cndmask_b32_e64 v5, v25, v24, s[30:31]
	v_cndmask_b32_e64 v13, v12, v13, s[26:27]
	v_cndmask_b32_e64 v12, v37, v38, s[26:27]
	v_add_u32_e32 v37, 1, v4
	v_add_u32_e32 v4, -1, v5
	v_min_u32_e32 v4, v37, v4
	v_lshl_add_u32 v4, v4, 3, v33
	v_cndmask_b32_e64 v11, v10, v11, s[24:25]
	v_cndmask_b32_e64 v10, v17, v23, s[24:25]
	;; [unrolled: 1-line block ×4, first 2 shown]
	ds_read_b64 v[22:23], v4
	v_cndmask_b32_e64 v14, v2, v0, s[20:21]
	v_cndmask_b32_e64 v0, v37, v48, s[30:31]
	;; [unrolled: 1-line block ×9, first 2 shown]
	s_waitcnt lgkmcnt(0)
	v_cndmask_b32_e64 v5, v49, v23, s[30:31]
	v_cndmask_b32_e64 v4, v50, v22, s[30:31]
	v_cmp_lt_u32_e32 vcc, v0, v25
	s_and_saveexec_b64 s[20:21], vcc
	s_cbranch_execz .LBB383_1267
; %bb.1258:
	v_cndmask_b32_e64 v0, v22, v46, s[30:31]
	v_cndmask_b32_e64 v22, v47, v37, s[30:31]
	;; [unrolled: 1-line block ×3, first 2 shown]
	v_cmp_lt_u32_e32 vcc, v22, v24
	s_and_saveexec_b64 s[22:23], vcc
	s_cbranch_execz .LBB383_1266
; %bb.1259:
	s_andn2_b64 vcc, exec, s[42:43]
	s_cbranch_vccnz .LBB383_1265
; %bb.1260:
	v_mul_lo_u32 v24, v1, s36
	v_mul_lo_u32 v25, v0, s37
	v_mad_u64_u32 v[22:23], s[14:15], v0, s36, 0
	v_add3_u32 v23, v23, v25, v24
	v_mul_lo_u32 v37, v5, s36
	v_mul_lo_u32 v38, v4, s37
	v_mad_u64_u32 v[24:25], s[14:15], v4, s36, 0
	v_add3_u32 v25, v25, v38, v37
	v_lshl_add_u64 v[22:23], v[22:23], 2, s[38:39]
	v_lshl_add_u64 v[24:25], v[24:25], 2, s[38:39]
	s_mov_b64 s[24:25], 0
	s_mov_b64 s[30:31], s[36:37]
                                        ; implicit-def: $sgpr26_sgpr27
                                        ; implicit-def: $sgpr28_sgpr29
                                        ; implicit-def: $sgpr14_sgpr15
                                        ; implicit-def: $sgpr44_sgpr45
	s_branch .LBB383_1262
.LBB383_1261:                           ;   in Loop: Header=BB383_1262 Depth=1
	s_or_b64 exec, exec, s[48:49]
	s_and_b64 s[16:17], exec, s[28:29]
	s_or_b64 s[24:25], s[16:17], s[24:25]
	s_andn2_b64 s[16:17], s[44:45], exec
	s_and_b64 s[44:45], s[46:47], exec
	s_or_b64 s[44:45], s[16:17], s[44:45]
	s_andn2_b64 s[16:17], s[26:27], exec
	s_and_b64 s[26:27], s[14:15], exec
	s_or_b64 s[26:27], s[16:17], s[26:27]
	s_andn2_b64 exec, exec, s[24:25]
	s_cbranch_execz .LBB383_1264
.LBB383_1262:                           ; =>This Inner Loop Header: Depth=1
	global_load_dword v37, v[22:23], off
	global_load_dword v38, v[24:25], off
	s_andn2_b64 s[48:49], s[14:15], exec
	s_or_b64 s[28:29], s[28:29], exec
	s_waitcnt vmcnt(0)
	v_cmp_le_i32_e64 s[14:15], v37, v38
	v_cmp_lt_i32_e32 vcc, v37, v38
	s_and_b64 s[14:15], s[14:15], s[44:45]
	s_or_b64 s[46:47], vcc, s[14:15]
	s_and_b64 s[14:15], s[46:47], exec
	v_cmp_eq_u32_e64 s[16:17], v37, v38
	s_or_b64 s[14:15], s[48:49], s[14:15]
	s_and_saveexec_b64 s[48:49], s[16:17]
	s_cbranch_execz .LBB383_1261
; %bb.1263:                             ;   in Loop: Header=BB383_1262 Depth=1
	s_add_u32 s30, s30, -1
	s_addc_u32 s31, s31, -1
	s_cmp_eq_u64 s[30:31], 0
	s_cselect_b64 s[16:17], -1, 0
	s_andn2_b64 s[28:29], s[28:29], exec
	s_and_b64 s[16:17], s[16:17], exec
	v_lshl_add_u64 v[22:23], v[22:23], 0, 4
	v_lshl_add_u64 v[24:25], v[24:25], 0, 4
	s_andn2_b64 s[14:15], s[14:15], exec
	s_or_b64 s[28:29], s[28:29], s[16:17]
                                        ; implicit-def: $sgpr44_sgpr45
	s_branch .LBB383_1261
.LBB383_1264:
	s_or_b64 exec, exec, s[24:25]
	v_cndmask_b32_e64 v5, v5, v1, s[26:27]
	v_cndmask_b32_e64 v4, v4, v0, s[26:27]
.LBB383_1265:
	v_mov_b64_e32 v[0:1], v[4:5]
.LBB383_1266:
	s_or_b64 exec, exec, s[22:23]
	v_mov_b64_e32 v[4:5], v[0:1]
.LBB383_1267:
	s_or_b64 exec, exec, s[20:21]
.LBB383_1268:
	s_or_b64 exec, exec, s[18:19]
	; wave barrier
	ds_write_b128 v36, v[14:17]
	ds_write_b128 v36, v[10:13] offset:16
	ds_write_b128 v36, v[6:9] offset:32
	;; [unrolled: 1-line block ×3, first 2 shown]
	v_and_b32_e32 v36, 0x380, v35
	v_or_b32_e32 v0, 64, v36
	v_min_u32_e32 v24, v34, v0
	v_add_u32_e32 v0, 64, v24
	v_min_u32_e32 v25, v34, v0
	v_and_b32_e32 v0, 0x78, v35
	v_min_u32_e32 v37, v34, v0
	v_sub_u32_e32 v0, v24, v36
	v_sub_u32_e32 v1, v25, v24
	v_sub_u32_e64 v35, v37, v1 clamp
	v_min_u32_e32 v38, v37, v0
	v_lshl_add_u32 v34, v36, 3, v33
	v_cmp_lt_u32_e32 vcc, v35, v38
	; wave barrier
	s_and_saveexec_b64 s[20:21], vcc
	s_cbranch_execz .LBB383_1278
; %bb.1269:
	v_lshlrev_b32_e32 v0, 3, v24
	v_lshlrev_b32_e32 v1, 3, v37
	v_add3_u32 v39, v33, v0, v1
	v_cndmask_b32_e64 v0, 0, 1, s[42:43]
	s_lshl_b64 s[24:25], s[36:37], 2
	s_mov_b64 s[22:23], 0
	v_cmp_ne_u32_e64 s[14:15], 1, v0
	s_branch .LBB383_1272
.LBB383_1270:                           ;   in Loop: Header=BB383_1272 Depth=1
	s_or_b64 exec, exec, s[28:29]
.LBB383_1271:                           ;   in Loop: Header=BB383_1272 Depth=1
	v_add_u32_e32 v0, 1, v40
	v_cndmask_b32_e64 v38, v38, v40, s[26:27]
	v_cndmask_b32_e64 v35, v0, v35, s[26:27]
	v_cmp_ge_u32_e32 vcc, v35, v38
	s_or_b64 s[22:23], vcc, s[22:23]
	s_andn2_b64 exec, exec, s[22:23]
	s_cbranch_execz .LBB383_1277
.LBB383_1272:                           ; =>This Loop Header: Depth=1
                                        ;     Child Loop BB383_1275 Depth 2
	v_add_u32_e32 v0, v38, v35
	v_lshrrev_b32_e32 v40, 1, v0
	s_and_b64 vcc, exec, s[14:15]
	s_mov_b64 s[26:27], 0
	s_cbranch_vccnz .LBB383_1271
; %bb.1273:                             ;   in Loop: Header=BB383_1272 Depth=1
	v_not_b32_e32 v0, v40
	v_lshl_add_u32 v0, v0, 3, v39
	ds_read_b64 v[0:1], v0
	v_lshl_add_u32 v41, v40, 3, v34
	ds_read_b64 v[42:43], v41
	v_mov_b64_e32 v[22:23], s[38:39]
	s_mov_b64 s[28:29], 0
	s_waitcnt lgkmcnt(1)
	v_mul_lo_u32 v41, s24, v1
	v_mul_lo_u32 v44, s25, v0
	v_mad_u64_u32 v[0:1], s[16:17], s24, v0, v[22:23]
	v_add3_u32 v1, v44, v1, v41
	s_waitcnt lgkmcnt(0)
	v_mul_lo_u32 v41, s24, v43
	v_mul_lo_u32 v43, s25, v42
	v_mad_u64_u32 v[22:23], s[16:17], s24, v42, v[22:23]
	v_add3_u32 v23, v43, v23, v41
	s_mov_b64 s[44:45], s[36:37]
                                        ; implicit-def: $sgpr26_sgpr27
                                        ; implicit-def: $sgpr30_sgpr31
                                        ; implicit-def: $sgpr16_sgpr17
                                        ; implicit-def: $sgpr46_sgpr47
	s_branch .LBB383_1275
.LBB383_1274:                           ;   in Loop: Header=BB383_1275 Depth=2
	s_or_b64 exec, exec, s[50:51]
	s_and_b64 s[18:19], exec, s[30:31]
	s_or_b64 s[28:29], s[18:19], s[28:29]
	s_andn2_b64 s[18:19], s[46:47], exec
	s_and_b64 s[46:47], s[48:49], exec
	s_or_b64 s[46:47], s[18:19], s[46:47]
	s_andn2_b64 s[18:19], s[26:27], exec
	s_and_b64 s[26:27], s[16:17], exec
	s_or_b64 s[26:27], s[18:19], s[26:27]
	s_andn2_b64 exec, exec, s[28:29]
	s_cbranch_execz .LBB383_1270
.LBB383_1275:                           ;   Parent Loop BB383_1272 Depth=1
                                        ; =>  This Inner Loop Header: Depth=2
	global_load_dword v41, v[0:1], off
	global_load_dword v42, v[22:23], off
	s_andn2_b64 s[50:51], s[16:17], exec
	s_or_b64 s[30:31], s[30:31], exec
	s_waitcnt vmcnt(0)
	v_cmp_le_i32_e64 s[16:17], v41, v42
	v_cmp_lt_i32_e32 vcc, v41, v42
	s_and_b64 s[16:17], s[16:17], s[46:47]
	s_or_b64 s[48:49], vcc, s[16:17]
	s_and_b64 s[16:17], s[48:49], exec
	v_cmp_eq_u32_e64 s[18:19], v41, v42
	s_or_b64 s[16:17], s[50:51], s[16:17]
	s_and_saveexec_b64 s[50:51], s[18:19]
	s_cbranch_execz .LBB383_1274
; %bb.1276:                             ;   in Loop: Header=BB383_1275 Depth=2
	s_add_u32 s44, s44, -1
	s_addc_u32 s45, s45, -1
	s_cmp_eq_u64 s[44:45], 0
	s_cselect_b64 s[18:19], -1, 0
	s_andn2_b64 s[30:31], s[30:31], exec
	s_and_b64 s[18:19], s[18:19], exec
	v_lshl_add_u64 v[0:1], v[0:1], 0, 4
	v_lshl_add_u64 v[22:23], v[22:23], 0, 4
	s_andn2_b64 s[16:17], s[16:17], exec
	s_or_b64 s[30:31], s[30:31], s[18:19]
                                        ; implicit-def: $sgpr46_sgpr47
	s_branch .LBB383_1274
.LBB383_1277:
	s_or_b64 exec, exec, s[22:23]
.LBB383_1278:
	s_or_b64 exec, exec, s[20:21]
	v_add_u32_e32 v0, v24, v37
	v_add_u32_e32 v23, v35, v36
	v_sub_u32_e32 v36, v0, v35
	v_cmp_le_u32_e32 vcc, v23, v24
	v_cmp_le_u32_e64 s[14:15], v36, v25
	s_or_b64 s[14:15], vcc, s[14:15]
	s_and_saveexec_b64 s[18:19], s[14:15]
	s_cbranch_execz .LBB383_1369
; %bb.1279:
	v_cmp_ge_u32_e32 vcc, v23, v24
	v_cmp_lt_u32_e64 s[14:15], v23, v24
                                        ; implicit-def: $vgpr0_vgpr1
	s_and_saveexec_b64 s[16:17], s[14:15]
; %bb.1280:
	v_lshl_add_u32 v0, v35, 3, v34
	ds_read_b64 v[0:1], v0
; %bb.1281:
	s_or_b64 exec, exec, s[16:17]
	v_cmp_ge_u32_e64 s[20:21], v36, v25
	v_cmp_lt_u32_e64 s[14:15], v36, v25
                                        ; implicit-def: $vgpr2_vgpr3
	s_and_saveexec_b64 s[16:17], s[14:15]
; %bb.1282:
	v_lshl_add_u32 v2, v36, 3, v33
	ds_read_b64 v[2:3], v2
; %bb.1283:
	s_or_b64 exec, exec, s[16:17]
	s_nor_b64 s[14:15], vcc, s[20:21]
	s_and_saveexec_b64 s[22:23], s[14:15]
	s_cbranch_execz .LBB383_1292
; %bb.1284:
	s_andn2_b64 vcc, exec, s[42:43]
	s_cbranch_vccnz .LBB383_1290
; %bb.1285:
	s_waitcnt lgkmcnt(0)
	v_mul_lo_u32 v6, v3, s36
	v_mul_lo_u32 v7, v2, s37
	v_mad_u64_u32 v[4:5], s[14:15], v2, s36, 0
	v_add3_u32 v5, v5, v7, v6
	v_mul_lo_u32 v8, v1, s36
	v_mul_lo_u32 v9, v0, s37
	v_mad_u64_u32 v[6:7], s[14:15], v0, s36, 0
	v_add3_u32 v7, v7, v9, v8
	v_lshl_add_u64 v[4:5], v[4:5], 2, s[38:39]
	v_lshl_add_u64 v[6:7], v[6:7], 2, s[38:39]
	s_mov_b64 s[24:25], 0
	s_mov_b64 s[30:31], s[36:37]
                                        ; implicit-def: $sgpr26_sgpr27
                                        ; implicit-def: $sgpr28_sgpr29
                                        ; implicit-def: $sgpr14_sgpr15
                                        ; implicit-def: $sgpr44_sgpr45
	s_branch .LBB383_1287
.LBB383_1286:                           ;   in Loop: Header=BB383_1287 Depth=1
	s_or_b64 exec, exec, s[48:49]
	s_and_b64 s[16:17], exec, s[28:29]
	s_or_b64 s[24:25], s[16:17], s[24:25]
	s_andn2_b64 s[16:17], s[44:45], exec
	s_and_b64 s[44:45], s[46:47], exec
	s_or_b64 s[44:45], s[16:17], s[44:45]
	s_andn2_b64 s[16:17], s[26:27], exec
	s_and_b64 s[26:27], s[14:15], exec
	s_or_b64 s[26:27], s[16:17], s[26:27]
	s_andn2_b64 exec, exec, s[24:25]
	s_cbranch_execz .LBB383_1289
.LBB383_1287:                           ; =>This Inner Loop Header: Depth=1
	global_load_dword v8, v[4:5], off
	global_load_dword v9, v[6:7], off
	s_andn2_b64 s[48:49], s[14:15], exec
	s_or_b64 s[28:29], s[28:29], exec
	s_waitcnt vmcnt(0)
	v_cmp_le_i32_e64 s[14:15], v8, v9
	v_cmp_lt_i32_e32 vcc, v8, v9
	s_and_b64 s[14:15], s[14:15], s[44:45]
	s_or_b64 s[46:47], vcc, s[14:15]
	s_and_b64 s[14:15], s[46:47], exec
	v_cmp_eq_u32_e64 s[16:17], v8, v9
	s_or_b64 s[14:15], s[48:49], s[14:15]
	s_and_saveexec_b64 s[48:49], s[16:17]
	s_cbranch_execz .LBB383_1286
; %bb.1288:                             ;   in Loop: Header=BB383_1287 Depth=1
	s_add_u32 s30, s30, -1
	s_addc_u32 s31, s31, -1
	s_cmp_eq_u64 s[30:31], 0
	s_cselect_b64 s[16:17], -1, 0
	s_andn2_b64 s[28:29], s[28:29], exec
	s_and_b64 s[16:17], s[16:17], exec
	v_lshl_add_u64 v[4:5], v[4:5], 0, 4
	v_lshl_add_u64 v[6:7], v[6:7], 0, 4
	s_andn2_b64 s[14:15], s[14:15], exec
	s_or_b64 s[28:29], s[28:29], s[16:17]
                                        ; implicit-def: $sgpr44_sgpr45
	s_branch .LBB383_1286
.LBB383_1289:
	s_or_b64 exec, exec, s[24:25]
	s_xor_b64 s[14:15], s[26:27], -1
	s_branch .LBB383_1291
.LBB383_1290:
	s_mov_b64 s[14:15], -1
.LBB383_1291:
	s_andn2_b64 s[16:17], s[20:21], exec
	s_and_b64 s[14:15], s[14:15], exec
	s_or_b64 s[20:21], s[16:17], s[14:15]
.LBB383_1292:
	s_or_b64 exec, exec, s[22:23]
	v_cndmask_b32_e64 v4, v36, v23, s[20:21]
	v_cndmask_b32_e64 v5, v25, v24, s[20:21]
	v_add_u32_e32 v6, 1, v4
	v_add_u32_e32 v4, -1, v5
	v_min_u32_e32 v4, v6, v4
	v_lshl_add_u32 v4, v4, 3, v33
	ds_read_b64 v[4:5], v4
	v_cndmask_b32_e64 v8, v6, v36, s[20:21]
	v_cndmask_b32_e64 v9, v23, v6, s[20:21]
	v_cmp_lt_u32_e32 vcc, v8, v25
	s_mov_b64 s[24:25], -1
	s_waitcnt lgkmcnt(0)
	v_cndmask_b32_e64 v14, v5, v3, s[20:21]
	v_cndmask_b32_e64 v15, v4, v2, s[20:21]
	;; [unrolled: 1-line block ×4, first 2 shown]
	s_mov_b64 s[22:23], -1
	s_and_saveexec_b64 s[26:27], vcc
	s_cbranch_execz .LBB383_1303
; %bb.1293:
	v_cmp_lt_u32_e32 vcc, v9, v24
	s_mov_b64 s[14:15], 0
	s_and_saveexec_b64 s[22:23], vcc
	s_cbranch_execz .LBB383_1302
; %bb.1294:
	s_andn2_b64 vcc, exec, s[42:43]
	s_cbranch_vccnz .LBB383_1300
; %bb.1295:
	v_mul_lo_u32 v6, v14, s36
	v_mul_lo_u32 v7, v15, s37
	v_mad_u64_u32 v[4:5], s[14:15], v15, s36, 0
	v_add3_u32 v5, v5, v7, v6
	v_mul_lo_u32 v10, v16, s36
	v_mul_lo_u32 v11, v22, s37
	v_mad_u64_u32 v[6:7], s[14:15], v22, s36, 0
	v_add3_u32 v7, v7, v11, v10
	v_lshl_add_u64 v[4:5], v[4:5], 2, s[38:39]
	v_lshl_add_u64 v[6:7], v[6:7], 2, s[38:39]
	s_mov_b64 s[28:29], 0
	s_mov_b64 s[46:47], s[36:37]
                                        ; implicit-def: $sgpr30_sgpr31
                                        ; implicit-def: $sgpr44_sgpr45
                                        ; implicit-def: $sgpr14_sgpr15
                                        ; implicit-def: $sgpr48_sgpr49
	s_branch .LBB383_1297
.LBB383_1296:                           ;   in Loop: Header=BB383_1297 Depth=1
	s_or_b64 exec, exec, s[52:53]
	s_and_b64 s[16:17], exec, s[44:45]
	s_or_b64 s[28:29], s[16:17], s[28:29]
	s_andn2_b64 s[16:17], s[48:49], exec
	s_and_b64 s[48:49], s[50:51], exec
	s_or_b64 s[48:49], s[16:17], s[48:49]
	s_andn2_b64 s[16:17], s[30:31], exec
	s_and_b64 s[30:31], s[14:15], exec
	s_or_b64 s[30:31], s[16:17], s[30:31]
	s_andn2_b64 exec, exec, s[28:29]
	s_cbranch_execz .LBB383_1299
.LBB383_1297:                           ; =>This Inner Loop Header: Depth=1
	global_load_dword v10, v[4:5], off
	global_load_dword v11, v[6:7], off
	s_andn2_b64 s[52:53], s[14:15], exec
	s_or_b64 s[44:45], s[44:45], exec
	s_waitcnt vmcnt(0)
	v_cmp_le_i32_e64 s[14:15], v10, v11
	v_cmp_lt_i32_e32 vcc, v10, v11
	s_and_b64 s[14:15], s[14:15], s[48:49]
	s_or_b64 s[50:51], vcc, s[14:15]
	s_and_b64 s[14:15], s[50:51], exec
	v_cmp_eq_u32_e64 s[16:17], v10, v11
	s_or_b64 s[14:15], s[52:53], s[14:15]
	s_and_saveexec_b64 s[52:53], s[16:17]
	s_cbranch_execz .LBB383_1296
; %bb.1298:                             ;   in Loop: Header=BB383_1297 Depth=1
	s_add_u32 s46, s46, -1
	s_addc_u32 s47, s47, -1
	s_cmp_eq_u64 s[46:47], 0
	s_cselect_b64 s[16:17], -1, 0
	s_andn2_b64 s[44:45], s[44:45], exec
	s_and_b64 s[16:17], s[16:17], exec
	v_lshl_add_u64 v[4:5], v[4:5], 0, 4
	v_lshl_add_u64 v[6:7], v[6:7], 0, 4
	s_andn2_b64 s[14:15], s[14:15], exec
	s_or_b64 s[44:45], s[44:45], s[16:17]
                                        ; implicit-def: $sgpr48_sgpr49
	s_branch .LBB383_1296
.LBB383_1299:
	s_or_b64 exec, exec, s[28:29]
	s_xor_b64 s[14:15], s[30:31], -1
	s_branch .LBB383_1301
.LBB383_1300:
	s_mov_b64 s[14:15], -1
.LBB383_1301:
	s_and_b64 s[14:15], s[14:15], exec
.LBB383_1302:
	s_or_b64 exec, exec, s[22:23]
	s_orn2_b64 s[22:23], s[14:15], exec
.LBB383_1303:
	s_or_b64 exec, exec, s[26:27]
	v_cndmask_b32_e64 v4, v8, v9, s[22:23]
	v_cndmask_b32_e64 v5, v25, v24, s[22:23]
	v_add_u32_e32 v6, 1, v4
	v_add_u32_e32 v4, -1, v5
	v_min_u32_e32 v4, v6, v4
	v_lshl_add_u32 v4, v4, 3, v33
	ds_read_b64 v[4:5], v4
	v_cndmask_b32_e64 v8, v6, v8, s[22:23]
	v_cndmask_b32_e64 v9, v9, v6, s[22:23]
	v_cmp_lt_u32_e32 vcc, v8, v25
	s_waitcnt lgkmcnt(0)
	v_cndmask_b32_e64 v10, v5, v14, s[22:23]
	v_cndmask_b32_e64 v17, v4, v15, s[22:23]
	;; [unrolled: 1-line block ×4, first 2 shown]
	s_and_saveexec_b64 s[26:27], vcc
	s_cbranch_execz .LBB383_1314
; %bb.1304:
	v_cmp_lt_u32_e32 vcc, v9, v24
	s_mov_b64 s[14:15], 0
	s_and_saveexec_b64 s[24:25], vcc
	s_cbranch_execz .LBB383_1313
; %bb.1305:
	s_andn2_b64 vcc, exec, s[42:43]
	s_cbranch_vccnz .LBB383_1311
; %bb.1306:
	v_mul_lo_u32 v6, v10, s36
	v_mul_lo_u32 v7, v17, s37
	v_mad_u64_u32 v[4:5], s[14:15], v17, s36, 0
	v_add3_u32 v5, v5, v7, v6
	v_mul_lo_u32 v12, v11, s36
	v_mul_lo_u32 v13, v23, s37
	v_mad_u64_u32 v[6:7], s[14:15], v23, s36, 0
	v_add3_u32 v7, v7, v13, v12
	v_lshl_add_u64 v[4:5], v[4:5], 2, s[38:39]
	v_lshl_add_u64 v[6:7], v[6:7], 2, s[38:39]
	s_mov_b64 s[28:29], 0
	s_mov_b64 s[46:47], s[36:37]
                                        ; implicit-def: $sgpr30_sgpr31
                                        ; implicit-def: $sgpr44_sgpr45
                                        ; implicit-def: $sgpr14_sgpr15
                                        ; implicit-def: $sgpr48_sgpr49
	s_branch .LBB383_1308
.LBB383_1307:                           ;   in Loop: Header=BB383_1308 Depth=1
	s_or_b64 exec, exec, s[52:53]
	s_and_b64 s[16:17], exec, s[44:45]
	s_or_b64 s[28:29], s[16:17], s[28:29]
	s_andn2_b64 s[16:17], s[48:49], exec
	s_and_b64 s[48:49], s[50:51], exec
	s_or_b64 s[48:49], s[16:17], s[48:49]
	s_andn2_b64 s[16:17], s[30:31], exec
	s_and_b64 s[30:31], s[14:15], exec
	s_or_b64 s[30:31], s[16:17], s[30:31]
	s_andn2_b64 exec, exec, s[28:29]
	s_cbranch_execz .LBB383_1310
.LBB383_1308:                           ; =>This Inner Loop Header: Depth=1
	global_load_dword v12, v[4:5], off
	global_load_dword v13, v[6:7], off
	s_andn2_b64 s[52:53], s[14:15], exec
	s_or_b64 s[44:45], s[44:45], exec
	s_waitcnt vmcnt(0)
	v_cmp_le_i32_e64 s[14:15], v12, v13
	v_cmp_lt_i32_e32 vcc, v12, v13
	s_and_b64 s[14:15], s[14:15], s[48:49]
	s_or_b64 s[50:51], vcc, s[14:15]
	s_and_b64 s[14:15], s[50:51], exec
	v_cmp_eq_u32_e64 s[16:17], v12, v13
	s_or_b64 s[14:15], s[52:53], s[14:15]
	s_and_saveexec_b64 s[52:53], s[16:17]
	s_cbranch_execz .LBB383_1307
; %bb.1309:                             ;   in Loop: Header=BB383_1308 Depth=1
	s_add_u32 s46, s46, -1
	s_addc_u32 s47, s47, -1
	s_cmp_eq_u64 s[46:47], 0
	s_cselect_b64 s[16:17], -1, 0
	s_andn2_b64 s[44:45], s[44:45], exec
	s_and_b64 s[16:17], s[16:17], exec
	v_lshl_add_u64 v[4:5], v[4:5], 0, 4
	v_lshl_add_u64 v[6:7], v[6:7], 0, 4
	s_andn2_b64 s[14:15], s[14:15], exec
	s_or_b64 s[44:45], s[44:45], s[16:17]
                                        ; implicit-def: $sgpr48_sgpr49
	s_branch .LBB383_1307
.LBB383_1310:
	s_or_b64 exec, exec, s[28:29]
	s_xor_b64 s[14:15], s[30:31], -1
	s_branch .LBB383_1312
.LBB383_1311:
	s_mov_b64 s[14:15], -1
.LBB383_1312:
	s_and_b64 s[14:15], s[14:15], exec
.LBB383_1313:
	s_or_b64 exec, exec, s[24:25]
	s_orn2_b64 s[24:25], s[14:15], exec
.LBB383_1314:
	s_or_b64 exec, exec, s[26:27]
	v_cndmask_b32_e64 v4, v8, v9, s[24:25]
	v_cndmask_b32_e64 v5, v25, v24, s[24:25]
	v_add_u32_e32 v6, 1, v4
	v_add_u32_e32 v4, -1, v5
	v_min_u32_e32 v4, v6, v4
	v_lshl_add_u32 v4, v4, 3, v33
	ds_read_b64 v[4:5], v4
	v_cndmask_b32_e64 v8, v6, v8, s[24:25]
	v_cndmask_b32_e64 v9, v9, v6, s[24:25]
	v_cmp_lt_u32_e32 vcc, v8, v25
	s_mov_b64 s[28:29], -1
	s_waitcnt lgkmcnt(0)
	v_cndmask_b32_e64 v12, v5, v10, s[24:25]
	v_cndmask_b32_e64 v34, v4, v17, s[24:25]
	v_cndmask_b32_e64 v13, v11, v5, s[24:25]
	v_cndmask_b32_e64 v35, v23, v4, s[24:25]
	s_mov_b64 s[26:27], -1
	s_and_saveexec_b64 s[30:31], vcc
	s_cbranch_execz .LBB383_1325
; %bb.1315:
	v_cmp_lt_u32_e32 vcc, v9, v24
	s_mov_b64 s[14:15], 0
	s_and_saveexec_b64 s[26:27], vcc
	s_cbranch_execz .LBB383_1324
; %bb.1316:
	s_andn2_b64 vcc, exec, s[42:43]
	s_cbranch_vccnz .LBB383_1322
; %bb.1317:
	v_mul_lo_u32 v6, v12, s36
	v_mul_lo_u32 v7, v34, s37
	v_mad_u64_u32 v[4:5], s[14:15], v34, s36, 0
	v_add3_u32 v5, v5, v7, v6
	v_mul_lo_u32 v36, v13, s36
	v_mul_lo_u32 v37, v35, s37
	v_mad_u64_u32 v[6:7], s[14:15], v35, s36, 0
	v_add3_u32 v7, v7, v37, v36
	v_lshl_add_u64 v[4:5], v[4:5], 2, s[38:39]
	v_lshl_add_u64 v[6:7], v[6:7], 2, s[38:39]
	s_mov_b64 s[44:45], 0
	s_mov_b64 s[50:51], s[36:37]
                                        ; implicit-def: $sgpr46_sgpr47
                                        ; implicit-def: $sgpr48_sgpr49
                                        ; implicit-def: $sgpr14_sgpr15
                                        ; implicit-def: $sgpr52_sgpr53
	s_branch .LBB383_1319
.LBB383_1318:                           ;   in Loop: Header=BB383_1319 Depth=1
	s_or_b64 exec, exec, s[56:57]
	s_and_b64 s[16:17], exec, s[48:49]
	s_or_b64 s[44:45], s[16:17], s[44:45]
	s_andn2_b64 s[16:17], s[52:53], exec
	s_and_b64 s[52:53], s[54:55], exec
	s_or_b64 s[52:53], s[16:17], s[52:53]
	s_andn2_b64 s[16:17], s[46:47], exec
	s_and_b64 s[46:47], s[14:15], exec
	s_or_b64 s[46:47], s[16:17], s[46:47]
	s_andn2_b64 exec, exec, s[44:45]
	s_cbranch_execz .LBB383_1321
.LBB383_1319:                           ; =>This Inner Loop Header: Depth=1
	global_load_dword v36, v[4:5], off
	global_load_dword v37, v[6:7], off
	s_andn2_b64 s[56:57], s[14:15], exec
	s_or_b64 s[48:49], s[48:49], exec
	s_waitcnt vmcnt(0)
	v_cmp_le_i32_e64 s[14:15], v36, v37
	v_cmp_lt_i32_e32 vcc, v36, v37
	s_and_b64 s[14:15], s[14:15], s[52:53]
	s_or_b64 s[54:55], vcc, s[14:15]
	s_and_b64 s[14:15], s[54:55], exec
	v_cmp_eq_u32_e64 s[16:17], v36, v37
	s_or_b64 s[14:15], s[56:57], s[14:15]
	s_and_saveexec_b64 s[56:57], s[16:17]
	s_cbranch_execz .LBB383_1318
; %bb.1320:                             ;   in Loop: Header=BB383_1319 Depth=1
	s_add_u32 s50, s50, -1
	s_addc_u32 s51, s51, -1
	s_cmp_eq_u64 s[50:51], 0
	s_cselect_b64 s[16:17], -1, 0
	s_andn2_b64 s[48:49], s[48:49], exec
	s_and_b64 s[16:17], s[16:17], exec
	v_lshl_add_u64 v[4:5], v[4:5], 0, 4
	v_lshl_add_u64 v[6:7], v[6:7], 0, 4
	s_andn2_b64 s[14:15], s[14:15], exec
	s_or_b64 s[48:49], s[48:49], s[16:17]
                                        ; implicit-def: $sgpr52_sgpr53
	s_branch .LBB383_1318
.LBB383_1321:
	s_or_b64 exec, exec, s[44:45]
	s_xor_b64 s[14:15], s[46:47], -1
	s_branch .LBB383_1323
.LBB383_1322:
	s_mov_b64 s[14:15], -1
.LBB383_1323:
	s_and_b64 s[14:15], s[14:15], exec
.LBB383_1324:
	s_or_b64 exec, exec, s[26:27]
	s_orn2_b64 s[26:27], s[14:15], exec
.LBB383_1325:
	s_or_b64 exec, exec, s[30:31]
	v_cndmask_b32_e64 v4, v8, v9, s[26:27]
	v_cndmask_b32_e64 v5, v25, v24, s[26:27]
	v_add_u32_e32 v6, 1, v4
	v_add_u32_e32 v4, -1, v5
	v_min_u32_e32 v4, v6, v4
	v_lshl_add_u32 v4, v4, 3, v33
	ds_read_b64 v[4:5], v4
	v_cndmask_b32_e64 v42, v6, v8, s[26:27]
	v_cndmask_b32_e64 v43, v9, v6, s[26:27]
	v_cmp_lt_u32_e32 vcc, v42, v25
	s_waitcnt lgkmcnt(0)
	v_cndmask_b32_e64 v36, v5, v12, s[26:27]
	v_cndmask_b32_e64 v37, v4, v34, s[26:27]
	v_cndmask_b32_e64 v38, v13, v5, s[26:27]
	v_cndmask_b32_e64 v39, v35, v4, s[26:27]
	s_and_saveexec_b64 s[30:31], vcc
	s_cbranch_execz .LBB383_1336
; %bb.1326:
	v_cmp_lt_u32_e32 vcc, v43, v24
	s_mov_b64 s[14:15], 0
	s_and_saveexec_b64 s[28:29], vcc
	s_cbranch_execz .LBB383_1335
; %bb.1327:
	s_andn2_b64 vcc, exec, s[42:43]
	s_cbranch_vccnz .LBB383_1333
; %bb.1328:
	v_mul_lo_u32 v6, v36, s36
	v_mul_lo_u32 v7, v37, s37
	v_mad_u64_u32 v[4:5], s[14:15], v37, s36, 0
	v_add3_u32 v5, v5, v7, v6
	v_mul_lo_u32 v8, v38, s36
	v_mul_lo_u32 v9, v39, s37
	v_mad_u64_u32 v[6:7], s[14:15], v39, s36, 0
	v_add3_u32 v7, v7, v9, v8
	v_lshl_add_u64 v[4:5], v[4:5], 2, s[38:39]
	v_lshl_add_u64 v[6:7], v[6:7], 2, s[38:39]
	s_mov_b64 s[44:45], 0
	s_mov_b64 s[50:51], s[36:37]
                                        ; implicit-def: $sgpr46_sgpr47
                                        ; implicit-def: $sgpr48_sgpr49
                                        ; implicit-def: $sgpr14_sgpr15
                                        ; implicit-def: $sgpr52_sgpr53
	s_branch .LBB383_1330
.LBB383_1329:                           ;   in Loop: Header=BB383_1330 Depth=1
	s_or_b64 exec, exec, s[56:57]
	s_and_b64 s[16:17], exec, s[48:49]
	s_or_b64 s[44:45], s[16:17], s[44:45]
	s_andn2_b64 s[16:17], s[52:53], exec
	s_and_b64 s[52:53], s[54:55], exec
	s_or_b64 s[52:53], s[16:17], s[52:53]
	s_andn2_b64 s[16:17], s[46:47], exec
	s_and_b64 s[46:47], s[14:15], exec
	s_or_b64 s[46:47], s[16:17], s[46:47]
	s_andn2_b64 exec, exec, s[44:45]
	s_cbranch_execz .LBB383_1332
.LBB383_1330:                           ; =>This Inner Loop Header: Depth=1
	global_load_dword v8, v[4:5], off
	global_load_dword v9, v[6:7], off
	s_andn2_b64 s[56:57], s[14:15], exec
	s_or_b64 s[48:49], s[48:49], exec
	s_waitcnt vmcnt(0)
	v_cmp_le_i32_e64 s[14:15], v8, v9
	v_cmp_lt_i32_e32 vcc, v8, v9
	s_and_b64 s[14:15], s[14:15], s[52:53]
	s_or_b64 s[54:55], vcc, s[14:15]
	s_and_b64 s[14:15], s[54:55], exec
	v_cmp_eq_u32_e64 s[16:17], v8, v9
	s_or_b64 s[14:15], s[56:57], s[14:15]
	s_and_saveexec_b64 s[56:57], s[16:17]
	s_cbranch_execz .LBB383_1329
; %bb.1331:                             ;   in Loop: Header=BB383_1330 Depth=1
	s_add_u32 s50, s50, -1
	s_addc_u32 s51, s51, -1
	s_cmp_eq_u64 s[50:51], 0
	s_cselect_b64 s[16:17], -1, 0
	s_andn2_b64 s[48:49], s[48:49], exec
	s_and_b64 s[16:17], s[16:17], exec
	v_lshl_add_u64 v[4:5], v[4:5], 0, 4
	v_lshl_add_u64 v[6:7], v[6:7], 0, 4
	s_andn2_b64 s[14:15], s[14:15], exec
	s_or_b64 s[48:49], s[48:49], s[16:17]
                                        ; implicit-def: $sgpr52_sgpr53
	s_branch .LBB383_1329
.LBB383_1332:
	s_or_b64 exec, exec, s[44:45]
	s_xor_b64 s[14:15], s[46:47], -1
	s_branch .LBB383_1334
.LBB383_1333:
	s_mov_b64 s[14:15], -1
.LBB383_1334:
	s_and_b64 s[14:15], s[14:15], exec
.LBB383_1335:
	s_or_b64 exec, exec, s[28:29]
	s_orn2_b64 s[28:29], s[14:15], exec
.LBB383_1336:
	s_or_b64 exec, exec, s[30:31]
	v_cndmask_b32_e64 v4, v42, v43, s[28:29]
	v_cndmask_b32_e64 v5, v25, v24, s[28:29]
	v_add_u32_e32 v6, 1, v4
	v_add_u32_e32 v4, -1, v5
	v_min_u32_e32 v4, v6, v4
	v_lshl_add_u32 v4, v4, 3, v33
	ds_read_b64 v[4:5], v4
	v_cndmask_b32_e64 v44, v6, v42, s[28:29]
	v_cndmask_b32_e64 v48, v43, v6, s[28:29]
	v_cmp_lt_u32_e32 vcc, v44, v25
	s_mov_b64 s[30:31], -1
	s_waitcnt lgkmcnt(0)
	v_cndmask_b32_e64 v8, v5, v36, s[28:29]
	v_cndmask_b32_e64 v40, v4, v37, s[28:29]
	v_cndmask_b32_e64 v9, v38, v5, s[28:29]
	v_cndmask_b32_e64 v41, v39, v4, s[28:29]
	s_mov_b64 s[44:45], -1
	s_and_saveexec_b64 s[46:47], vcc
	s_cbranch_execz .LBB383_1347
; %bb.1337:
	v_cmp_lt_u32_e32 vcc, v48, v24
	s_mov_b64 s[14:15], 0
	s_and_saveexec_b64 s[44:45], vcc
	s_cbranch_execz .LBB383_1346
; %bb.1338:
	s_andn2_b64 vcc, exec, s[42:43]
	s_cbranch_vccnz .LBB383_1344
; %bb.1339:
	v_mul_lo_u32 v6, v8, s36
	v_mul_lo_u32 v7, v40, s37
	v_mad_u64_u32 v[4:5], s[14:15], v40, s36, 0
	v_add3_u32 v5, v5, v7, v6
	v_mul_lo_u32 v42, v9, s36
	v_mul_lo_u32 v43, v41, s37
	v_mad_u64_u32 v[6:7], s[14:15], v41, s36, 0
	v_add3_u32 v7, v7, v43, v42
	v_lshl_add_u64 v[4:5], v[4:5], 2, s[38:39]
	v_lshl_add_u64 v[6:7], v[6:7], 2, s[38:39]
	s_mov_b64 s[48:49], 0
	s_mov_b64 s[54:55], s[36:37]
                                        ; implicit-def: $sgpr50_sgpr51
                                        ; implicit-def: $sgpr52_sgpr53
                                        ; implicit-def: $sgpr14_sgpr15
                                        ; implicit-def: $sgpr56_sgpr57
	s_branch .LBB383_1341
.LBB383_1340:                           ;   in Loop: Header=BB383_1341 Depth=1
	s_or_b64 exec, exec, s[60:61]
	s_and_b64 s[16:17], exec, s[52:53]
	s_or_b64 s[48:49], s[16:17], s[48:49]
	s_andn2_b64 s[16:17], s[56:57], exec
	s_and_b64 s[56:57], s[58:59], exec
	s_or_b64 s[56:57], s[16:17], s[56:57]
	s_andn2_b64 s[16:17], s[50:51], exec
	s_and_b64 s[50:51], s[14:15], exec
	s_or_b64 s[50:51], s[16:17], s[50:51]
	s_andn2_b64 exec, exec, s[48:49]
	s_cbranch_execz .LBB383_1343
.LBB383_1341:                           ; =>This Inner Loop Header: Depth=1
	global_load_dword v42, v[4:5], off
	global_load_dword v43, v[6:7], off
	s_andn2_b64 s[60:61], s[14:15], exec
	s_or_b64 s[52:53], s[52:53], exec
	s_waitcnt vmcnt(0)
	v_cmp_le_i32_e64 s[14:15], v42, v43
	v_cmp_lt_i32_e32 vcc, v42, v43
	s_and_b64 s[14:15], s[14:15], s[56:57]
	s_or_b64 s[58:59], vcc, s[14:15]
	s_and_b64 s[14:15], s[58:59], exec
	v_cmp_eq_u32_e64 s[16:17], v42, v43
	s_or_b64 s[14:15], s[60:61], s[14:15]
	s_and_saveexec_b64 s[60:61], s[16:17]
	s_cbranch_execz .LBB383_1340
; %bb.1342:                             ;   in Loop: Header=BB383_1341 Depth=1
	s_add_u32 s54, s54, -1
	s_addc_u32 s55, s55, -1
	s_cmp_eq_u64 s[54:55], 0
	s_cselect_b64 s[16:17], -1, 0
	s_andn2_b64 s[52:53], s[52:53], exec
	s_and_b64 s[16:17], s[16:17], exec
	v_lshl_add_u64 v[4:5], v[4:5], 0, 4
	v_lshl_add_u64 v[6:7], v[6:7], 0, 4
	s_andn2_b64 s[14:15], s[14:15], exec
	s_or_b64 s[52:53], s[52:53], s[16:17]
                                        ; implicit-def: $sgpr56_sgpr57
	s_branch .LBB383_1340
.LBB383_1343:
	s_or_b64 exec, exec, s[48:49]
	s_xor_b64 s[14:15], s[50:51], -1
	s_branch .LBB383_1345
.LBB383_1344:
	s_mov_b64 s[14:15], -1
.LBB383_1345:
	s_and_b64 s[14:15], s[14:15], exec
.LBB383_1346:
	s_or_b64 exec, exec, s[44:45]
	s_orn2_b64 s[44:45], s[14:15], exec
.LBB383_1347:
	s_or_b64 exec, exec, s[46:47]
	v_cndmask_b32_e64 v4, v44, v48, s[44:45]
	v_cndmask_b32_e64 v5, v25, v24, s[44:45]
	v_add_u32_e32 v6, 1, v4
	v_add_u32_e32 v4, -1, v5
	v_min_u32_e32 v4, v6, v4
	v_lshl_add_u32 v4, v4, 3, v33
	ds_read_b64 v[4:5], v4
	v_cndmask_b32_e64 v45, v6, v44, s[44:45]
	v_cndmask_b32_e64 v44, v48, v6, s[44:45]
	v_cmp_lt_u32_e32 vcc, v45, v25
	s_waitcnt lgkmcnt(0)
	v_cndmask_b32_e64 v42, v5, v8, s[44:45]
	v_cndmask_b32_e64 v43, v4, v40, s[44:45]
	;; [unrolled: 1-line block ×4, first 2 shown]
	s_and_saveexec_b64 s[46:47], vcc
	s_cbranch_execz .LBB383_1358
; %bb.1348:
	v_cmp_lt_u32_e32 vcc, v44, v24
	s_mov_b64 s[14:15], 0
	s_and_saveexec_b64 s[30:31], vcc
	s_cbranch_execz .LBB383_1357
; %bb.1349:
	s_andn2_b64 vcc, exec, s[42:43]
	s_cbranch_vccnz .LBB383_1355
; %bb.1350:
	v_mul_lo_u32 v6, v42, s36
	v_mul_lo_u32 v7, v43, s37
	v_mad_u64_u32 v[4:5], s[14:15], v43, s36, 0
	v_add3_u32 v5, v5, v7, v6
	v_mul_lo_u32 v48, v46, s36
	v_mul_lo_u32 v49, v47, s37
	v_mad_u64_u32 v[6:7], s[14:15], v47, s36, 0
	v_add3_u32 v7, v7, v49, v48
	v_lshl_add_u64 v[4:5], v[4:5], 2, s[38:39]
	v_lshl_add_u64 v[6:7], v[6:7], 2, s[38:39]
	s_mov_b64 s[48:49], 0
	s_mov_b64 s[54:55], s[36:37]
                                        ; implicit-def: $sgpr50_sgpr51
                                        ; implicit-def: $sgpr52_sgpr53
                                        ; implicit-def: $sgpr14_sgpr15
                                        ; implicit-def: $sgpr56_sgpr57
	s_branch .LBB383_1352
.LBB383_1351:                           ;   in Loop: Header=BB383_1352 Depth=1
	s_or_b64 exec, exec, s[60:61]
	s_and_b64 s[16:17], exec, s[52:53]
	s_or_b64 s[48:49], s[16:17], s[48:49]
	s_andn2_b64 s[16:17], s[56:57], exec
	s_and_b64 s[56:57], s[58:59], exec
	s_or_b64 s[56:57], s[16:17], s[56:57]
	s_andn2_b64 s[16:17], s[50:51], exec
	s_and_b64 s[50:51], s[14:15], exec
	s_or_b64 s[50:51], s[16:17], s[50:51]
	s_andn2_b64 exec, exec, s[48:49]
	s_cbranch_execz .LBB383_1354
.LBB383_1352:                           ; =>This Inner Loop Header: Depth=1
	global_load_dword v48, v[4:5], off
	global_load_dword v49, v[6:7], off
	s_andn2_b64 s[60:61], s[14:15], exec
	s_or_b64 s[52:53], s[52:53], exec
	s_waitcnt vmcnt(0)
	v_cmp_le_i32_e64 s[14:15], v48, v49
	v_cmp_lt_i32_e32 vcc, v48, v49
	s_and_b64 s[14:15], s[14:15], s[56:57]
	s_or_b64 s[58:59], vcc, s[14:15]
	s_and_b64 s[14:15], s[58:59], exec
	v_cmp_eq_u32_e64 s[16:17], v48, v49
	s_or_b64 s[14:15], s[60:61], s[14:15]
	s_and_saveexec_b64 s[60:61], s[16:17]
	s_cbranch_execz .LBB383_1351
; %bb.1353:                             ;   in Loop: Header=BB383_1352 Depth=1
	s_add_u32 s54, s54, -1
	s_addc_u32 s55, s55, -1
	s_cmp_eq_u64 s[54:55], 0
	s_cselect_b64 s[16:17], -1, 0
	s_andn2_b64 s[52:53], s[52:53], exec
	s_and_b64 s[16:17], s[16:17], exec
	v_lshl_add_u64 v[4:5], v[4:5], 0, 4
	v_lshl_add_u64 v[6:7], v[6:7], 0, 4
	s_andn2_b64 s[14:15], s[14:15], exec
	s_or_b64 s[52:53], s[52:53], s[16:17]
                                        ; implicit-def: $sgpr56_sgpr57
	s_branch .LBB383_1351
.LBB383_1354:
	s_or_b64 exec, exec, s[48:49]
	s_xor_b64 s[14:15], s[50:51], -1
	s_branch .LBB383_1356
.LBB383_1355:
	s_mov_b64 s[14:15], -1
.LBB383_1356:
	s_and_b64 s[14:15], s[14:15], exec
.LBB383_1357:
	s_or_b64 exec, exec, s[30:31]
	s_orn2_b64 s[30:31], s[14:15], exec
.LBB383_1358:
	s_or_b64 exec, exec, s[46:47]
	v_cndmask_b32_e64 v4, v45, v44, s[30:31]
	v_cndmask_b32_e64 v5, v25, v24, s[30:31]
	;; [unrolled: 1-line block ×4, first 2 shown]
	v_add_u32_e32 v34, 1, v4
	v_add_u32_e32 v4, -1, v5
	v_min_u32_e32 v4, v34, v4
	v_lshl_add_u32 v4, v4, 3, v33
	v_cndmask_b32_e64 v11, v10, v11, s[24:25]
	v_cndmask_b32_e64 v10, v17, v23, s[24:25]
	;; [unrolled: 1-line block ×4, first 2 shown]
	ds_read_b64 v[22:23], v4
	v_cndmask_b32_e64 v14, v2, v0, s[20:21]
	v_cndmask_b32_e64 v0, v34, v45, s[30:31]
	v_cndmask_b32_e64 v9, v8, v9, s[44:45]
	v_cndmask_b32_e64 v8, v40, v41, s[44:45]
	v_cndmask_b32_e64 v7, v36, v38, s[28:29]
	v_cndmask_b32_e64 v6, v37, v39, s[28:29]
	v_cndmask_b32_e64 v15, v3, v1, s[20:21]
	v_cndmask_b32_e64 v3, v42, v46, s[30:31]
	v_cndmask_b32_e64 v2, v43, v47, s[30:31]
	s_waitcnt lgkmcnt(0)
	v_cndmask_b32_e64 v5, v46, v23, s[30:31]
	v_cndmask_b32_e64 v4, v47, v22, s[30:31]
	v_cmp_lt_u32_e32 vcc, v0, v25
	s_and_saveexec_b64 s[20:21], vcc
	s_cbranch_execz .LBB383_1368
; %bb.1359:
	v_cndmask_b32_e64 v0, v22, v43, s[30:31]
	v_cndmask_b32_e64 v22, v44, v34, s[30:31]
	;; [unrolled: 1-line block ×3, first 2 shown]
	v_cmp_lt_u32_e32 vcc, v22, v24
	s_and_saveexec_b64 s[22:23], vcc
	s_cbranch_execz .LBB383_1367
; %bb.1360:
	s_andn2_b64 vcc, exec, s[42:43]
	s_cbranch_vccnz .LBB383_1366
; %bb.1361:
	v_mul_lo_u32 v24, v1, s36
	v_mul_lo_u32 v25, v0, s37
	v_mad_u64_u32 v[22:23], s[14:15], v0, s36, 0
	v_add3_u32 v23, v23, v25, v24
	v_mul_lo_u32 v33, v5, s36
	v_mul_lo_u32 v34, v4, s37
	v_mad_u64_u32 v[24:25], s[14:15], v4, s36, 0
	v_add3_u32 v25, v25, v34, v33
	v_lshl_add_u64 v[22:23], v[22:23], 2, s[38:39]
	v_lshl_add_u64 v[24:25], v[24:25], 2, s[38:39]
	s_mov_b64 s[24:25], 0
	s_mov_b64 s[30:31], s[36:37]
                                        ; implicit-def: $sgpr26_sgpr27
                                        ; implicit-def: $sgpr28_sgpr29
                                        ; implicit-def: $sgpr14_sgpr15
                                        ; implicit-def: $sgpr44_sgpr45
	s_branch .LBB383_1363
.LBB383_1362:                           ;   in Loop: Header=BB383_1363 Depth=1
	s_or_b64 exec, exec, s[48:49]
	s_and_b64 s[16:17], exec, s[28:29]
	s_or_b64 s[24:25], s[16:17], s[24:25]
	s_andn2_b64 s[16:17], s[44:45], exec
	s_and_b64 s[44:45], s[46:47], exec
	s_or_b64 s[44:45], s[16:17], s[44:45]
	s_andn2_b64 s[16:17], s[26:27], exec
	s_and_b64 s[26:27], s[14:15], exec
	s_or_b64 s[26:27], s[16:17], s[26:27]
	s_andn2_b64 exec, exec, s[24:25]
	s_cbranch_execz .LBB383_1365
.LBB383_1363:                           ; =>This Inner Loop Header: Depth=1
	global_load_dword v33, v[22:23], off
	global_load_dword v34, v[24:25], off
	s_andn2_b64 s[48:49], s[14:15], exec
	s_or_b64 s[28:29], s[28:29], exec
	s_waitcnt vmcnt(0)
	v_cmp_le_i32_e64 s[14:15], v33, v34
	v_cmp_lt_i32_e32 vcc, v33, v34
	s_and_b64 s[14:15], s[14:15], s[44:45]
	s_or_b64 s[46:47], vcc, s[14:15]
	s_and_b64 s[14:15], s[46:47], exec
	v_cmp_eq_u32_e64 s[16:17], v33, v34
	s_or_b64 s[14:15], s[48:49], s[14:15]
	s_and_saveexec_b64 s[48:49], s[16:17]
	s_cbranch_execz .LBB383_1362
; %bb.1364:                             ;   in Loop: Header=BB383_1363 Depth=1
	s_add_u32 s30, s30, -1
	s_addc_u32 s31, s31, -1
	s_cmp_eq_u64 s[30:31], 0
	s_cselect_b64 s[16:17], -1, 0
	s_andn2_b64 s[28:29], s[28:29], exec
	s_and_b64 s[16:17], s[16:17], exec
	v_lshl_add_u64 v[22:23], v[22:23], 0, 4
	v_lshl_add_u64 v[24:25], v[24:25], 0, 4
	s_andn2_b64 s[14:15], s[14:15], exec
	s_or_b64 s[28:29], s[28:29], s[16:17]
                                        ; implicit-def: $sgpr44_sgpr45
	s_branch .LBB383_1362
.LBB383_1365:
	s_or_b64 exec, exec, s[24:25]
	v_cndmask_b32_e64 v5, v5, v1, s[26:27]
	v_cndmask_b32_e64 v4, v4, v0, s[26:27]
.LBB383_1366:
	v_mov_b64_e32 v[0:1], v[4:5]
.LBB383_1367:
	s_or_b64 exec, exec, s[22:23]
	v_mov_b64_e32 v[4:5], v[0:1]
.LBB383_1368:
	s_or_b64 exec, exec, s[20:21]
.LBB383_1369:
	s_or_b64 exec, exec, s[18:19]
	s_cmpk_lt_u32 s33, 0x81
	; wave barrier
	s_waitcnt lgkmcnt(0)
	s_barrier
	s_cbranch_scc1 .LBB383_1473
; %bb.1370:
	v_cndmask_b32_e64 v0, 0, 1, s[42:43]
	v_lshlrev_b32_e32 v24, 3, v20
	s_lshl_b64 s[20:21], s[36:37], 2
	s_movk_i32 s66, 0x80
	v_cmp_ne_u32_e64 s[14:15], 1, v0
	s_branch .LBB383_1376
.LBB383_1371:                           ;   in Loop: Header=BB383_1376 Depth=1
	s_or_b64 exec, exec, s[52:53]
	v_cndmask_b32_e64 v5, v5, v7, s[54:55]
	v_cndmask_b32_e64 v4, v4, v6, s[54:55]
.LBB383_1372:                           ;   in Loop: Header=BB383_1376 Depth=1
	v_mov_b64_e32 v[6:7], v[4:5]
.LBB383_1373:                           ;   in Loop: Header=BB383_1376 Depth=1
	s_or_b64 exec, exec, s[50:51]
	v_mov_b64_e32 v[4:5], v[6:7]
.LBB383_1374:                           ;   in Loop: Header=BB383_1376 Depth=1
	s_or_b64 exec, exec, s[48:49]
	v_cndmask_b32_e64 v9, v42, v44, s[46:47]
	v_cndmask_b32_e64 v8, v43, v45, s[46:47]
	;; [unrolled: 1-line block ×14, first 2 shown]
.LBB383_1375:                           ;   in Loop: Header=BB383_1376 Depth=1
	s_or_b64 exec, exec, s[22:23]
	s_cmp_lt_u32 s66, s33
	s_barrier
	s_cbranch_scc0 .LBB383_1473
.LBB383_1376:                           ; =>This Loop Header: Depth=1
                                        ;     Child Loop BB383_1380 Depth 2
                                        ;       Child Loop BB383_1383 Depth 3
                                        ;     Child Loop BB383_1395 Depth 2
                                        ;     Child Loop BB383_1405 Depth 2
	;; [unrolled: 1-line block ×8, first 2 shown]
	s_mov_b32 s16, s66
	s_lshl_b32 s66, s66, 1
	s_sub_i32 s18, 0, s66
	v_and_b32_e32 v36, s18, v20
	v_add_u32_e32 v0, s16, v36
	v_min_u32_e32 v25, s33, v0
	s_add_i32 s17, s66, -1
	v_add_u32_e32 v0, s16, v25
	v_min_u32_e32 v33, s33, v0
	v_and_b32_e32 v0, s17, v20
	v_min_u32_e32 v37, s33, v0
	v_sub_u32_e32 v0, v25, v36
	v_sub_u32_e32 v1, v33, v25
	v_sub_u32_e64 v35, v37, v1 clamp
	v_min_u32_e32 v38, v37, v0
	v_lshlrev_b32_e32 v34, 3, v36
	v_cmp_lt_u32_e32 vcc, v35, v38
	ds_write_b128 v24, v[14:17]
	ds_write_b128 v24, v[10:13] offset:16
	ds_write_b128 v24, v[6:9] offset:32
	;; [unrolled: 1-line block ×3, first 2 shown]
	s_waitcnt lgkmcnt(0)
	s_barrier
	s_and_saveexec_b64 s[22:23], vcc
	s_cbranch_execz .LBB383_1386
; %bb.1377:                             ;   in Loop: Header=BB383_1376 Depth=1
	v_lshlrev_b32_e32 v0, 3, v37
	v_lshl_add_u32 v39, v25, 3, v0
	s_mov_b64 s[24:25], 0
	s_branch .LBB383_1380
.LBB383_1378:                           ;   in Loop: Header=BB383_1380 Depth=2
	s_or_b64 exec, exec, s[28:29]
.LBB383_1379:                           ;   in Loop: Header=BB383_1380 Depth=2
	v_add_u32_e32 v0, 1, v40
	v_cndmask_b32_e64 v38, v38, v40, s[26:27]
	v_cndmask_b32_e64 v35, v0, v35, s[26:27]
	v_cmp_ge_u32_e32 vcc, v35, v38
	s_or_b64 s[24:25], vcc, s[24:25]
	s_andn2_b64 exec, exec, s[24:25]
	s_cbranch_execz .LBB383_1385
.LBB383_1380:                           ;   Parent Loop BB383_1376 Depth=1
                                        ; =>  This Loop Header: Depth=2
                                        ;       Child Loop BB383_1383 Depth 3
	v_add_u32_e32 v0, v38, v35
	v_lshrrev_b32_e32 v40, 1, v0
	s_and_b64 vcc, exec, s[14:15]
	s_mov_b64 s[26:27], 0
	s_cbranch_vccnz .LBB383_1379
; %bb.1381:                             ;   in Loop: Header=BB383_1380 Depth=2
	v_not_b32_e32 v0, v40
	v_lshl_add_u32 v0, v0, 3, v39
	ds_read_b64 v[0:1], v0
	v_lshl_add_u32 v41, v40, 3, v34
	ds_read_b64 v[42:43], v41
	v_mov_b64_e32 v[22:23], s[38:39]
	s_mov_b64 s[28:29], 0
	s_waitcnt lgkmcnt(1)
	v_mul_lo_u32 v41, s20, v1
	v_mul_lo_u32 v44, s21, v0
	v_mad_u64_u32 v[0:1], s[16:17], s20, v0, v[22:23]
	v_add3_u32 v1, v44, v1, v41
	s_waitcnt lgkmcnt(0)
	v_mul_lo_u32 v41, s20, v43
	v_mul_lo_u32 v43, s21, v42
	v_mad_u64_u32 v[22:23], s[16:17], s20, v42, v[22:23]
	v_add3_u32 v23, v43, v23, v41
	s_mov_b64 s[42:43], s[36:37]
                                        ; implicit-def: $sgpr26_sgpr27
                                        ; implicit-def: $sgpr30_sgpr31
                                        ; implicit-def: $sgpr16_sgpr17
                                        ; implicit-def: $sgpr44_sgpr45
	s_branch .LBB383_1383
.LBB383_1382:                           ;   in Loop: Header=BB383_1383 Depth=3
	s_or_b64 exec, exec, s[48:49]
	s_and_b64 s[18:19], exec, s[30:31]
	s_or_b64 s[28:29], s[18:19], s[28:29]
	s_andn2_b64 s[18:19], s[44:45], exec
	s_and_b64 s[44:45], s[46:47], exec
	s_or_b64 s[44:45], s[18:19], s[44:45]
	s_andn2_b64 s[18:19], s[26:27], exec
	s_and_b64 s[26:27], s[16:17], exec
	s_or_b64 s[26:27], s[18:19], s[26:27]
	s_andn2_b64 exec, exec, s[28:29]
	s_cbranch_execz .LBB383_1378
.LBB383_1383:                           ;   Parent Loop BB383_1376 Depth=1
                                        ;     Parent Loop BB383_1380 Depth=2
                                        ; =>    This Inner Loop Header: Depth=3
	global_load_dword v41, v[0:1], off
	global_load_dword v42, v[22:23], off
	s_andn2_b64 s[48:49], s[16:17], exec
	s_or_b64 s[30:31], s[30:31], exec
	s_waitcnt vmcnt(0)
	v_cmp_le_i32_e64 s[16:17], v41, v42
	v_cmp_lt_i32_e32 vcc, v41, v42
	s_and_b64 s[16:17], s[16:17], s[44:45]
	s_or_b64 s[46:47], vcc, s[16:17]
	s_and_b64 s[16:17], s[46:47], exec
	v_cmp_eq_u32_e64 s[18:19], v41, v42
	s_or_b64 s[16:17], s[48:49], s[16:17]
	s_and_saveexec_b64 s[48:49], s[18:19]
	s_cbranch_execz .LBB383_1382
; %bb.1384:                             ;   in Loop: Header=BB383_1383 Depth=3
	s_add_u32 s42, s42, -1
	s_addc_u32 s43, s43, -1
	s_cmp_eq_u64 s[42:43], 0
	s_cselect_b64 s[18:19], -1, 0
	s_andn2_b64 s[30:31], s[30:31], exec
	s_and_b64 s[18:19], s[18:19], exec
	v_lshl_add_u64 v[0:1], v[0:1], 0, 4
	v_lshl_add_u64 v[22:23], v[22:23], 0, 4
	s_andn2_b64 s[16:17], s[16:17], exec
	s_or_b64 s[30:31], s[30:31], s[18:19]
                                        ; implicit-def: $sgpr44_sgpr45
	s_branch .LBB383_1382
.LBB383_1385:                           ;   in Loop: Header=BB383_1376 Depth=1
	s_or_b64 exec, exec, s[24:25]
.LBB383_1386:                           ;   in Loop: Header=BB383_1376 Depth=1
	s_or_b64 exec, exec, s[22:23]
	v_sub_u32_e32 v0, v37, v35
	v_add_u32_e32 v23, v35, v36
	v_add_u32_e32 v36, v0, v25
	v_cmp_le_u32_e32 vcc, v23, v25
	v_cmp_le_u32_e64 s[16:17], v36, v33
	s_or_b64 s[16:17], vcc, s[16:17]
	s_and_saveexec_b64 s[22:23], s[16:17]
	s_cbranch_execz .LBB383_1375
; %bb.1387:                             ;   in Loop: Header=BB383_1376 Depth=1
	v_cmp_ge_u32_e32 vcc, v23, v25
	v_cmp_lt_u32_e64 s[16:17], v23, v25
                                        ; implicit-def: $vgpr0_vgpr1
	s_and_saveexec_b64 s[18:19], s[16:17]
; %bb.1388:                             ;   in Loop: Header=BB383_1376 Depth=1
	v_lshl_add_u32 v0, v35, 3, v34
	ds_read_b64 v[0:1], v0
; %bb.1389:                             ;   in Loop: Header=BB383_1376 Depth=1
	s_or_b64 exec, exec, s[18:19]
	v_cmp_ge_u32_e64 s[24:25], v36, v33
	v_cmp_lt_u32_e64 s[16:17], v36, v33
                                        ; implicit-def: $vgpr2_vgpr3
	s_and_saveexec_b64 s[18:19], s[16:17]
; %bb.1390:                             ;   in Loop: Header=BB383_1376 Depth=1
	v_lshlrev_b32_e32 v2, 3, v36
	ds_read_b64 v[2:3], v2
; %bb.1391:                             ;   in Loop: Header=BB383_1376 Depth=1
	s_or_b64 exec, exec, s[18:19]
	s_nor_b64 s[16:17], vcc, s[24:25]
	s_and_saveexec_b64 s[26:27], s[16:17]
	s_cbranch_execz .LBB383_1400
; %bb.1392:                             ;   in Loop: Header=BB383_1376 Depth=1
	s_and_b64 vcc, exec, s[14:15]
	s_cbranch_vccnz .LBB383_1398
; %bb.1393:                             ;   in Loop: Header=BB383_1376 Depth=1
	v_mov_b64_e32 v[6:7], s[38:39]
	s_waitcnt lgkmcnt(0)
	v_mad_u64_u32 v[4:5], s[16:17], s20, v2, v[6:7]
	v_mul_lo_u32 v8, s20, v3
	v_mul_lo_u32 v9, s21, v2
	v_add3_u32 v5, v9, v5, v8
	v_mad_u64_u32 v[6:7], s[16:17], s20, v0, v[6:7]
	v_mul_lo_u32 v8, s20, v1
	v_mul_lo_u32 v9, s21, v0
	v_add3_u32 v7, v9, v7, v8
	s_mov_b64 s[28:29], 0
	s_mov_b64 s[44:45], s[36:37]
                                        ; implicit-def: $sgpr30_sgpr31
                                        ; implicit-def: $sgpr42_sgpr43
                                        ; implicit-def: $sgpr16_sgpr17
                                        ; implicit-def: $sgpr46_sgpr47
	s_branch .LBB383_1395
.LBB383_1394:                           ;   in Loop: Header=BB383_1395 Depth=2
	s_or_b64 exec, exec, s[50:51]
	s_and_b64 s[18:19], exec, s[42:43]
	s_or_b64 s[28:29], s[18:19], s[28:29]
	s_andn2_b64 s[18:19], s[46:47], exec
	s_and_b64 s[46:47], s[48:49], exec
	s_or_b64 s[46:47], s[18:19], s[46:47]
	s_andn2_b64 s[18:19], s[30:31], exec
	s_and_b64 s[30:31], s[16:17], exec
	s_or_b64 s[30:31], s[18:19], s[30:31]
	s_andn2_b64 exec, exec, s[28:29]
	s_cbranch_execz .LBB383_1397
.LBB383_1395:                           ;   Parent Loop BB383_1376 Depth=1
                                        ; =>  This Inner Loop Header: Depth=2
	global_load_dword v8, v[4:5], off
	global_load_dword v9, v[6:7], off
	s_andn2_b64 s[50:51], s[16:17], exec
	s_or_b64 s[42:43], s[42:43], exec
	s_waitcnt vmcnt(0)
	v_cmp_le_i32_e64 s[16:17], v8, v9
	v_cmp_lt_i32_e32 vcc, v8, v9
	s_and_b64 s[16:17], s[16:17], s[46:47]
	s_or_b64 s[48:49], vcc, s[16:17]
	s_and_b64 s[16:17], s[48:49], exec
	v_cmp_eq_u32_e64 s[18:19], v8, v9
	s_or_b64 s[16:17], s[50:51], s[16:17]
	s_and_saveexec_b64 s[50:51], s[18:19]
	s_cbranch_execz .LBB383_1394
; %bb.1396:                             ;   in Loop: Header=BB383_1395 Depth=2
	s_add_u32 s44, s44, -1
	s_addc_u32 s45, s45, -1
	s_cmp_eq_u64 s[44:45], 0
	s_cselect_b64 s[18:19], -1, 0
	s_andn2_b64 s[42:43], s[42:43], exec
	s_and_b64 s[18:19], s[18:19], exec
	v_lshl_add_u64 v[4:5], v[4:5], 0, 4
	v_lshl_add_u64 v[6:7], v[6:7], 0, 4
	s_andn2_b64 s[16:17], s[16:17], exec
	s_or_b64 s[42:43], s[42:43], s[18:19]
                                        ; implicit-def: $sgpr46_sgpr47
	s_branch .LBB383_1394
.LBB383_1397:                           ;   in Loop: Header=BB383_1376 Depth=1
	s_or_b64 exec, exec, s[28:29]
	s_xor_b64 s[16:17], s[30:31], -1
	s_branch .LBB383_1399
.LBB383_1398:                           ;   in Loop: Header=BB383_1376 Depth=1
	s_mov_b64 s[16:17], -1
.LBB383_1399:                           ;   in Loop: Header=BB383_1376 Depth=1
	s_andn2_b64 s[18:19], s[24:25], exec
	s_and_b64 s[16:17], s[16:17], exec
	s_or_b64 s[24:25], s[18:19], s[16:17]
.LBB383_1400:                           ;   in Loop: Header=BB383_1376 Depth=1
	s_or_b64 exec, exec, s[26:27]
	v_cndmask_b32_e64 v4, v36, v23, s[24:25]
	v_cndmask_b32_e64 v5, v33, v25, s[24:25]
	v_add_u32_e32 v6, 1, v4
	v_add_u32_e32 v4, -1, v5
	v_min_u32_e32 v4, v6, v4
	v_lshlrev_b32_e32 v4, 3, v4
	ds_read_b64 v[4:5], v4
	v_cndmask_b32_e64 v8, v6, v36, s[24:25]
	v_cndmask_b32_e64 v9, v23, v6, s[24:25]
	v_cmp_lt_u32_e32 vcc, v8, v33
	s_mov_b64 s[28:29], -1
	s_waitcnt lgkmcnt(0)
	v_cndmask_b32_e64 v14, v5, v3, s[24:25]
	v_cndmask_b32_e64 v15, v4, v2, s[24:25]
	;; [unrolled: 1-line block ×4, first 2 shown]
	s_mov_b64 s[26:27], -1
	s_and_saveexec_b64 s[30:31], vcc
	s_cbranch_execz .LBB383_1411
; %bb.1401:                             ;   in Loop: Header=BB383_1376 Depth=1
	v_cmp_lt_u32_e32 vcc, v9, v25
	s_mov_b64 s[16:17], 0
	s_and_saveexec_b64 s[26:27], vcc
	s_cbranch_execz .LBB383_1410
; %bb.1402:                             ;   in Loop: Header=BB383_1376 Depth=1
	s_and_b64 vcc, exec, s[14:15]
	s_cbranch_vccnz .LBB383_1408
; %bb.1403:                             ;   in Loop: Header=BB383_1376 Depth=1
	v_mov_b64_e32 v[6:7], s[38:39]
	v_mad_u64_u32 v[4:5], s[16:17], s20, v15, v[6:7]
	v_mul_lo_u32 v10, s20, v14
	v_mul_lo_u32 v11, s21, v15
	v_add3_u32 v5, v11, v5, v10
	v_mad_u64_u32 v[6:7], s[16:17], s20, v22, v[6:7]
	v_mul_lo_u32 v10, s20, v16
	v_mul_lo_u32 v11, s21, v22
	v_add3_u32 v7, v11, v7, v10
	s_mov_b64 s[42:43], 0
	s_mov_b64 s[48:49], s[36:37]
                                        ; implicit-def: $sgpr44_sgpr45
                                        ; implicit-def: $sgpr46_sgpr47
                                        ; implicit-def: $sgpr16_sgpr17
                                        ; implicit-def: $sgpr50_sgpr51
	s_branch .LBB383_1405
.LBB383_1404:                           ;   in Loop: Header=BB383_1405 Depth=2
	s_or_b64 exec, exec, s[54:55]
	s_and_b64 s[18:19], exec, s[46:47]
	s_or_b64 s[42:43], s[18:19], s[42:43]
	s_andn2_b64 s[18:19], s[50:51], exec
	s_and_b64 s[50:51], s[52:53], exec
	s_or_b64 s[50:51], s[18:19], s[50:51]
	s_andn2_b64 s[18:19], s[44:45], exec
	s_and_b64 s[44:45], s[16:17], exec
	s_or_b64 s[44:45], s[18:19], s[44:45]
	s_andn2_b64 exec, exec, s[42:43]
	s_cbranch_execz .LBB383_1407
.LBB383_1405:                           ;   Parent Loop BB383_1376 Depth=1
                                        ; =>  This Inner Loop Header: Depth=2
	global_load_dword v10, v[4:5], off
	global_load_dword v11, v[6:7], off
	s_andn2_b64 s[54:55], s[16:17], exec
	s_or_b64 s[46:47], s[46:47], exec
	s_waitcnt vmcnt(0)
	v_cmp_le_i32_e64 s[16:17], v10, v11
	v_cmp_lt_i32_e32 vcc, v10, v11
	s_and_b64 s[16:17], s[16:17], s[50:51]
	s_or_b64 s[52:53], vcc, s[16:17]
	s_and_b64 s[16:17], s[52:53], exec
	v_cmp_eq_u32_e64 s[18:19], v10, v11
	s_or_b64 s[16:17], s[54:55], s[16:17]
	s_and_saveexec_b64 s[54:55], s[18:19]
	s_cbranch_execz .LBB383_1404
; %bb.1406:                             ;   in Loop: Header=BB383_1405 Depth=2
	s_add_u32 s48, s48, -1
	s_addc_u32 s49, s49, -1
	s_cmp_eq_u64 s[48:49], 0
	s_cselect_b64 s[18:19], -1, 0
	s_andn2_b64 s[46:47], s[46:47], exec
	s_and_b64 s[18:19], s[18:19], exec
	v_lshl_add_u64 v[4:5], v[4:5], 0, 4
	v_lshl_add_u64 v[6:7], v[6:7], 0, 4
	s_andn2_b64 s[16:17], s[16:17], exec
	s_or_b64 s[46:47], s[46:47], s[18:19]
                                        ; implicit-def: $sgpr50_sgpr51
	s_branch .LBB383_1404
.LBB383_1407:                           ;   in Loop: Header=BB383_1376 Depth=1
	s_or_b64 exec, exec, s[42:43]
	s_xor_b64 s[16:17], s[44:45], -1
	s_branch .LBB383_1409
.LBB383_1408:                           ;   in Loop: Header=BB383_1376 Depth=1
	s_mov_b64 s[16:17], -1
.LBB383_1409:                           ;   in Loop: Header=BB383_1376 Depth=1
	s_and_b64 s[16:17], s[16:17], exec
.LBB383_1410:                           ;   in Loop: Header=BB383_1376 Depth=1
	s_or_b64 exec, exec, s[26:27]
	s_orn2_b64 s[26:27], s[16:17], exec
.LBB383_1411:                           ;   in Loop: Header=BB383_1376 Depth=1
	s_or_b64 exec, exec, s[30:31]
	v_cndmask_b32_e64 v4, v8, v9, s[26:27]
	v_cndmask_b32_e64 v5, v33, v25, s[26:27]
	v_add_u32_e32 v6, 1, v4
	v_add_u32_e32 v4, -1, v5
	v_min_u32_e32 v4, v6, v4
	v_lshlrev_b32_e32 v4, 3, v4
	ds_read_b64 v[4:5], v4
	v_cndmask_b32_e64 v8, v6, v8, s[26:27]
	v_cndmask_b32_e64 v9, v9, v6, s[26:27]
	v_cmp_lt_u32_e32 vcc, v8, v33
	s_waitcnt lgkmcnt(0)
	v_cndmask_b32_e64 v17, v5, v14, s[26:27]
	v_cndmask_b32_e64 v23, v4, v15, s[26:27]
	;; [unrolled: 1-line block ×4, first 2 shown]
	s_and_saveexec_b64 s[30:31], vcc
	s_cbranch_execz .LBB383_1422
; %bb.1412:                             ;   in Loop: Header=BB383_1376 Depth=1
	v_cmp_lt_u32_e32 vcc, v9, v25
	s_mov_b64 s[16:17], 0
	s_and_saveexec_b64 s[28:29], vcc
	s_cbranch_execz .LBB383_1421
; %bb.1413:                             ;   in Loop: Header=BB383_1376 Depth=1
	s_and_b64 vcc, exec, s[14:15]
	s_cbranch_vccnz .LBB383_1419
; %bb.1414:                             ;   in Loop: Header=BB383_1376 Depth=1
	v_mov_b64_e32 v[6:7], s[38:39]
	v_mad_u64_u32 v[4:5], s[16:17], s20, v23, v[6:7]
	v_mul_lo_u32 v10, s20, v17
	v_mul_lo_u32 v11, s21, v23
	v_add3_u32 v5, v11, v5, v10
	v_mad_u64_u32 v[6:7], s[16:17], s20, v35, v[6:7]
	v_mul_lo_u32 v10, s20, v34
	v_mul_lo_u32 v11, s21, v35
	v_add3_u32 v7, v11, v7, v10
	s_mov_b64 s[42:43], 0
	s_mov_b64 s[48:49], s[36:37]
                                        ; implicit-def: $sgpr44_sgpr45
                                        ; implicit-def: $sgpr46_sgpr47
                                        ; implicit-def: $sgpr16_sgpr17
                                        ; implicit-def: $sgpr50_sgpr51
	s_branch .LBB383_1416
.LBB383_1415:                           ;   in Loop: Header=BB383_1416 Depth=2
	s_or_b64 exec, exec, s[54:55]
	s_and_b64 s[18:19], exec, s[46:47]
	s_or_b64 s[42:43], s[18:19], s[42:43]
	s_andn2_b64 s[18:19], s[50:51], exec
	s_and_b64 s[50:51], s[52:53], exec
	s_or_b64 s[50:51], s[18:19], s[50:51]
	s_andn2_b64 s[18:19], s[44:45], exec
	s_and_b64 s[44:45], s[16:17], exec
	s_or_b64 s[44:45], s[18:19], s[44:45]
	s_andn2_b64 exec, exec, s[42:43]
	s_cbranch_execz .LBB383_1418
.LBB383_1416:                           ;   Parent Loop BB383_1376 Depth=1
                                        ; =>  This Inner Loop Header: Depth=2
	global_load_dword v10, v[4:5], off
	global_load_dword v11, v[6:7], off
	s_andn2_b64 s[54:55], s[16:17], exec
	s_or_b64 s[46:47], s[46:47], exec
	s_waitcnt vmcnt(0)
	v_cmp_le_i32_e64 s[16:17], v10, v11
	v_cmp_lt_i32_e32 vcc, v10, v11
	s_and_b64 s[16:17], s[16:17], s[50:51]
	s_or_b64 s[52:53], vcc, s[16:17]
	s_and_b64 s[16:17], s[52:53], exec
	v_cmp_eq_u32_e64 s[18:19], v10, v11
	s_or_b64 s[16:17], s[54:55], s[16:17]
	s_and_saveexec_b64 s[54:55], s[18:19]
	s_cbranch_execz .LBB383_1415
; %bb.1417:                             ;   in Loop: Header=BB383_1416 Depth=2
	s_add_u32 s48, s48, -1
	s_addc_u32 s49, s49, -1
	s_cmp_eq_u64 s[48:49], 0
	s_cselect_b64 s[18:19], -1, 0
	s_andn2_b64 s[46:47], s[46:47], exec
	s_and_b64 s[18:19], s[18:19], exec
	v_lshl_add_u64 v[4:5], v[4:5], 0, 4
	v_lshl_add_u64 v[6:7], v[6:7], 0, 4
	s_andn2_b64 s[16:17], s[16:17], exec
	s_or_b64 s[46:47], s[46:47], s[18:19]
                                        ; implicit-def: $sgpr50_sgpr51
	s_branch .LBB383_1415
.LBB383_1418:                           ;   in Loop: Header=BB383_1376 Depth=1
	s_or_b64 exec, exec, s[42:43]
	s_xor_b64 s[16:17], s[44:45], -1
	s_branch .LBB383_1420
.LBB383_1419:                           ;   in Loop: Header=BB383_1376 Depth=1
	s_mov_b64 s[16:17], -1
.LBB383_1420:                           ;   in Loop: Header=BB383_1376 Depth=1
	s_and_b64 s[16:17], s[16:17], exec
.LBB383_1421:                           ;   in Loop: Header=BB383_1376 Depth=1
	s_or_b64 exec, exec, s[28:29]
	s_orn2_b64 s[28:29], s[16:17], exec
.LBB383_1422:                           ;   in Loop: Header=BB383_1376 Depth=1
	s_or_b64 exec, exec, s[30:31]
	v_cndmask_b32_e64 v4, v8, v9, s[28:29]
	v_cndmask_b32_e64 v5, v33, v25, s[28:29]
	v_add_u32_e32 v6, 1, v4
	v_add_u32_e32 v4, -1, v5
	v_min_u32_e32 v4, v6, v4
	v_lshlrev_b32_e32 v4, 3, v4
	ds_read_b64 v[4:5], v4
	v_cndmask_b32_e64 v8, v6, v8, s[28:29]
	v_cndmask_b32_e64 v9, v9, v6, s[28:29]
	v_cmp_lt_u32_e32 vcc, v8, v33
	s_mov_b64 s[42:43], -1
	s_waitcnt lgkmcnt(0)
	v_cndmask_b32_e64 v12, v5, v17, s[28:29]
	v_cndmask_b32_e64 v36, v4, v23, s[28:29]
	;; [unrolled: 1-line block ×4, first 2 shown]
	s_mov_b64 s[30:31], -1
	s_and_saveexec_b64 s[44:45], vcc
	s_cbranch_execz .LBB383_1433
; %bb.1423:                             ;   in Loop: Header=BB383_1376 Depth=1
	v_cmp_lt_u32_e32 vcc, v9, v25
	s_mov_b64 s[16:17], 0
	s_and_saveexec_b64 s[30:31], vcc
	s_cbranch_execz .LBB383_1432
; %bb.1424:                             ;   in Loop: Header=BB383_1376 Depth=1
	s_and_b64 vcc, exec, s[14:15]
	s_cbranch_vccnz .LBB383_1430
; %bb.1425:                             ;   in Loop: Header=BB383_1376 Depth=1
	v_mov_b64_e32 v[6:7], s[38:39]
	v_mad_u64_u32 v[4:5], s[16:17], s20, v36, v[6:7]
	v_mul_lo_u32 v10, s20, v12
	v_mul_lo_u32 v11, s21, v36
	v_add3_u32 v5, v11, v5, v10
	v_mad_u64_u32 v[6:7], s[16:17], s20, v37, v[6:7]
	v_mul_lo_u32 v10, s20, v13
	v_mul_lo_u32 v11, s21, v37
	v_add3_u32 v7, v11, v7, v10
	s_mov_b64 s[46:47], 0
	s_mov_b64 s[52:53], s[36:37]
                                        ; implicit-def: $sgpr48_sgpr49
                                        ; implicit-def: $sgpr50_sgpr51
                                        ; implicit-def: $sgpr16_sgpr17
                                        ; implicit-def: $sgpr54_sgpr55
	s_branch .LBB383_1427
.LBB383_1426:                           ;   in Loop: Header=BB383_1427 Depth=2
	s_or_b64 exec, exec, s[58:59]
	s_and_b64 s[18:19], exec, s[50:51]
	s_or_b64 s[46:47], s[18:19], s[46:47]
	s_andn2_b64 s[18:19], s[54:55], exec
	s_and_b64 s[54:55], s[56:57], exec
	s_or_b64 s[54:55], s[18:19], s[54:55]
	s_andn2_b64 s[18:19], s[48:49], exec
	s_and_b64 s[48:49], s[16:17], exec
	s_or_b64 s[48:49], s[18:19], s[48:49]
	s_andn2_b64 exec, exec, s[46:47]
	s_cbranch_execz .LBB383_1429
.LBB383_1427:                           ;   Parent Loop BB383_1376 Depth=1
                                        ; =>  This Inner Loop Header: Depth=2
	global_load_dword v10, v[4:5], off
	global_load_dword v11, v[6:7], off
	s_andn2_b64 s[58:59], s[16:17], exec
	s_or_b64 s[50:51], s[50:51], exec
	s_waitcnt vmcnt(0)
	v_cmp_le_i32_e64 s[16:17], v10, v11
	v_cmp_lt_i32_e32 vcc, v10, v11
	s_and_b64 s[16:17], s[16:17], s[54:55]
	s_or_b64 s[56:57], vcc, s[16:17]
	s_and_b64 s[16:17], s[56:57], exec
	v_cmp_eq_u32_e64 s[18:19], v10, v11
	s_or_b64 s[16:17], s[58:59], s[16:17]
	s_and_saveexec_b64 s[58:59], s[18:19]
	s_cbranch_execz .LBB383_1426
; %bb.1428:                             ;   in Loop: Header=BB383_1427 Depth=2
	s_add_u32 s52, s52, -1
	s_addc_u32 s53, s53, -1
	s_cmp_eq_u64 s[52:53], 0
	s_cselect_b64 s[18:19], -1, 0
	s_andn2_b64 s[50:51], s[50:51], exec
	s_and_b64 s[18:19], s[18:19], exec
	v_lshl_add_u64 v[4:5], v[4:5], 0, 4
	v_lshl_add_u64 v[6:7], v[6:7], 0, 4
	s_andn2_b64 s[16:17], s[16:17], exec
	s_or_b64 s[50:51], s[50:51], s[18:19]
                                        ; implicit-def: $sgpr54_sgpr55
	s_branch .LBB383_1426
.LBB383_1429:                           ;   in Loop: Header=BB383_1376 Depth=1
	s_or_b64 exec, exec, s[46:47]
	s_xor_b64 s[16:17], s[48:49], -1
	s_branch .LBB383_1431
.LBB383_1430:                           ;   in Loop: Header=BB383_1376 Depth=1
	s_mov_b64 s[16:17], -1
.LBB383_1431:                           ;   in Loop: Header=BB383_1376 Depth=1
	s_and_b64 s[16:17], s[16:17], exec
.LBB383_1432:                           ;   in Loop: Header=BB383_1376 Depth=1
	s_or_b64 exec, exec, s[30:31]
	s_orn2_b64 s[30:31], s[16:17], exec
.LBB383_1433:                           ;   in Loop: Header=BB383_1376 Depth=1
	s_or_b64 exec, exec, s[44:45]
	v_cndmask_b32_e64 v4, v8, v9, s[30:31]
	v_cndmask_b32_e64 v5, v33, v25, s[30:31]
	v_add_u32_e32 v6, 1, v4
	v_add_u32_e32 v4, -1, v5
	v_min_u32_e32 v4, v6, v4
	v_lshlrev_b32_e32 v4, 3, v4
	ds_read_b64 v[4:5], v4
	v_cndmask_b32_e64 v8, v6, v8, s[30:31]
	v_cndmask_b32_e64 v9, v9, v6, s[30:31]
	v_cmp_lt_u32_e32 vcc, v8, v33
	s_waitcnt lgkmcnt(0)
	v_cndmask_b32_e64 v38, v5, v12, s[30:31]
	v_cndmask_b32_e64 v39, v4, v36, s[30:31]
	;; [unrolled: 1-line block ×4, first 2 shown]
	s_and_saveexec_b64 s[44:45], vcc
	s_cbranch_execz .LBB383_1444
; %bb.1434:                             ;   in Loop: Header=BB383_1376 Depth=1
	v_cmp_lt_u32_e32 vcc, v9, v25
	s_mov_b64 s[16:17], 0
	s_and_saveexec_b64 s[42:43], vcc
	s_cbranch_execz .LBB383_1443
; %bb.1435:                             ;   in Loop: Header=BB383_1376 Depth=1
	s_and_b64 vcc, exec, s[14:15]
	s_cbranch_vccnz .LBB383_1441
; %bb.1436:                             ;   in Loop: Header=BB383_1376 Depth=1
	v_mov_b64_e32 v[6:7], s[38:39]
	v_mad_u64_u32 v[4:5], s[16:17], s20, v39, v[6:7]
	v_mul_lo_u32 v10, s20, v38
	v_mul_lo_u32 v11, s21, v39
	v_add3_u32 v5, v11, v5, v10
	v_mad_u64_u32 v[6:7], s[16:17], s20, v41, v[6:7]
	v_mul_lo_u32 v10, s20, v40
	v_mul_lo_u32 v11, s21, v41
	v_add3_u32 v7, v11, v7, v10
	s_mov_b64 s[46:47], 0
	s_mov_b64 s[52:53], s[36:37]
                                        ; implicit-def: $sgpr48_sgpr49
                                        ; implicit-def: $sgpr50_sgpr51
                                        ; implicit-def: $sgpr16_sgpr17
                                        ; implicit-def: $sgpr54_sgpr55
	s_branch .LBB383_1438
.LBB383_1437:                           ;   in Loop: Header=BB383_1438 Depth=2
	s_or_b64 exec, exec, s[58:59]
	s_and_b64 s[18:19], exec, s[50:51]
	s_or_b64 s[46:47], s[18:19], s[46:47]
	s_andn2_b64 s[18:19], s[54:55], exec
	s_and_b64 s[54:55], s[56:57], exec
	s_or_b64 s[54:55], s[18:19], s[54:55]
	s_andn2_b64 s[18:19], s[48:49], exec
	s_and_b64 s[48:49], s[16:17], exec
	s_or_b64 s[48:49], s[18:19], s[48:49]
	s_andn2_b64 exec, exec, s[46:47]
	s_cbranch_execz .LBB383_1440
.LBB383_1438:                           ;   Parent Loop BB383_1376 Depth=1
                                        ; =>  This Inner Loop Header: Depth=2
	global_load_dword v10, v[4:5], off
	global_load_dword v11, v[6:7], off
	s_andn2_b64 s[58:59], s[16:17], exec
	s_or_b64 s[50:51], s[50:51], exec
	s_waitcnt vmcnt(0)
	v_cmp_le_i32_e64 s[16:17], v10, v11
	v_cmp_lt_i32_e32 vcc, v10, v11
	s_and_b64 s[16:17], s[16:17], s[54:55]
	s_or_b64 s[56:57], vcc, s[16:17]
	s_and_b64 s[16:17], s[56:57], exec
	v_cmp_eq_u32_e64 s[18:19], v10, v11
	s_or_b64 s[16:17], s[58:59], s[16:17]
	s_and_saveexec_b64 s[58:59], s[18:19]
	s_cbranch_execz .LBB383_1437
; %bb.1439:                             ;   in Loop: Header=BB383_1438 Depth=2
	s_add_u32 s52, s52, -1
	s_addc_u32 s53, s53, -1
	s_cmp_eq_u64 s[52:53], 0
	s_cselect_b64 s[18:19], -1, 0
	s_andn2_b64 s[50:51], s[50:51], exec
	s_and_b64 s[18:19], s[18:19], exec
	v_lshl_add_u64 v[4:5], v[4:5], 0, 4
	v_lshl_add_u64 v[6:7], v[6:7], 0, 4
	s_andn2_b64 s[16:17], s[16:17], exec
	s_or_b64 s[50:51], s[50:51], s[18:19]
                                        ; implicit-def: $sgpr54_sgpr55
	s_branch .LBB383_1437
.LBB383_1440:                           ;   in Loop: Header=BB383_1376 Depth=1
	s_or_b64 exec, exec, s[46:47]
	s_xor_b64 s[16:17], s[48:49], -1
	s_branch .LBB383_1442
.LBB383_1441:                           ;   in Loop: Header=BB383_1376 Depth=1
	s_mov_b64 s[16:17], -1
.LBB383_1442:                           ;   in Loop: Header=BB383_1376 Depth=1
	s_and_b64 s[16:17], s[16:17], exec
.LBB383_1443:                           ;   in Loop: Header=BB383_1376 Depth=1
	s_or_b64 exec, exec, s[42:43]
	s_orn2_b64 s[42:43], s[16:17], exec
.LBB383_1444:                           ;   in Loop: Header=BB383_1376 Depth=1
	s_or_b64 exec, exec, s[44:45]
	v_cndmask_b32_e64 v4, v8, v9, s[42:43]
	v_cndmask_b32_e64 v5, v33, v25, s[42:43]
	v_add_u32_e32 v6, 1, v4
	v_add_u32_e32 v4, -1, v5
	v_min_u32_e32 v4, v6, v4
	v_lshlrev_b32_e32 v4, 3, v4
	ds_read_b64 v[4:5], v4
	v_cndmask_b32_e64 v8, v6, v8, s[42:43]
	v_cndmask_b32_e64 v9, v9, v6, s[42:43]
	v_cmp_lt_u32_e32 vcc, v8, v33
	s_mov_b64 s[44:45], -1
	s_waitcnt lgkmcnt(0)
	v_cndmask_b32_e64 v42, v5, v38, s[42:43]
	v_cndmask_b32_e64 v43, v4, v39, s[42:43]
	;; [unrolled: 1-line block ×4, first 2 shown]
	s_mov_b64 s[46:47], -1
	s_and_saveexec_b64 s[48:49], vcc
	s_cbranch_execz .LBB383_1455
; %bb.1445:                             ;   in Loop: Header=BB383_1376 Depth=1
	v_cmp_lt_u32_e32 vcc, v9, v25
	s_mov_b64 s[16:17], 0
	s_and_saveexec_b64 s[46:47], vcc
	s_cbranch_execz .LBB383_1454
; %bb.1446:                             ;   in Loop: Header=BB383_1376 Depth=1
	s_and_b64 vcc, exec, s[14:15]
	s_cbranch_vccnz .LBB383_1452
; %bb.1447:                             ;   in Loop: Header=BB383_1376 Depth=1
	v_mov_b64_e32 v[6:7], s[38:39]
	v_mad_u64_u32 v[4:5], s[16:17], s20, v43, v[6:7]
	v_mul_lo_u32 v10, s20, v42
	v_mul_lo_u32 v11, s21, v43
	v_add3_u32 v5, v11, v5, v10
	v_mad_u64_u32 v[6:7], s[16:17], s20, v45, v[6:7]
	v_mul_lo_u32 v10, s20, v44
	v_mul_lo_u32 v11, s21, v45
	v_add3_u32 v7, v11, v7, v10
	s_mov_b64 s[50:51], 0
	s_mov_b64 s[56:57], s[36:37]
                                        ; implicit-def: $sgpr52_sgpr53
                                        ; implicit-def: $sgpr54_sgpr55
                                        ; implicit-def: $sgpr16_sgpr17
                                        ; implicit-def: $sgpr58_sgpr59
	s_branch .LBB383_1449
.LBB383_1448:                           ;   in Loop: Header=BB383_1449 Depth=2
	s_or_b64 exec, exec, s[62:63]
	s_and_b64 s[18:19], exec, s[54:55]
	s_or_b64 s[50:51], s[18:19], s[50:51]
	s_andn2_b64 s[18:19], s[58:59], exec
	s_and_b64 s[58:59], s[60:61], exec
	s_or_b64 s[58:59], s[18:19], s[58:59]
	s_andn2_b64 s[18:19], s[52:53], exec
	s_and_b64 s[52:53], s[16:17], exec
	s_or_b64 s[52:53], s[18:19], s[52:53]
	s_andn2_b64 exec, exec, s[50:51]
	s_cbranch_execz .LBB383_1451
.LBB383_1449:                           ;   Parent Loop BB383_1376 Depth=1
                                        ; =>  This Inner Loop Header: Depth=2
	global_load_dword v10, v[4:5], off
	global_load_dword v11, v[6:7], off
	s_andn2_b64 s[62:63], s[16:17], exec
	s_or_b64 s[54:55], s[54:55], exec
	s_waitcnt vmcnt(0)
	v_cmp_le_i32_e64 s[16:17], v10, v11
	v_cmp_lt_i32_e32 vcc, v10, v11
	s_and_b64 s[16:17], s[16:17], s[58:59]
	s_or_b64 s[60:61], vcc, s[16:17]
	s_and_b64 s[16:17], s[60:61], exec
	v_cmp_eq_u32_e64 s[18:19], v10, v11
	s_or_b64 s[16:17], s[62:63], s[16:17]
	s_and_saveexec_b64 s[62:63], s[18:19]
	s_cbranch_execz .LBB383_1448
; %bb.1450:                             ;   in Loop: Header=BB383_1449 Depth=2
	s_add_u32 s56, s56, -1
	s_addc_u32 s57, s57, -1
	s_cmp_eq_u64 s[56:57], 0
	s_cselect_b64 s[18:19], -1, 0
	s_andn2_b64 s[54:55], s[54:55], exec
	s_and_b64 s[18:19], s[18:19], exec
	v_lshl_add_u64 v[4:5], v[4:5], 0, 4
	v_lshl_add_u64 v[6:7], v[6:7], 0, 4
	s_andn2_b64 s[16:17], s[16:17], exec
	s_or_b64 s[54:55], s[54:55], s[18:19]
                                        ; implicit-def: $sgpr58_sgpr59
	s_branch .LBB383_1448
.LBB383_1451:                           ;   in Loop: Header=BB383_1376 Depth=1
	s_or_b64 exec, exec, s[50:51]
	s_xor_b64 s[16:17], s[52:53], -1
	s_branch .LBB383_1453
.LBB383_1452:                           ;   in Loop: Header=BB383_1376 Depth=1
	s_mov_b64 s[16:17], -1
.LBB383_1453:                           ;   in Loop: Header=BB383_1376 Depth=1
	s_and_b64 s[16:17], s[16:17], exec
.LBB383_1454:                           ;   in Loop: Header=BB383_1376 Depth=1
	s_or_b64 exec, exec, s[46:47]
	s_orn2_b64 s[46:47], s[16:17], exec
.LBB383_1455:                           ;   in Loop: Header=BB383_1376 Depth=1
	s_or_b64 exec, exec, s[48:49]
	v_cndmask_b32_e64 v4, v8, v9, s[46:47]
	v_cndmask_b32_e64 v5, v33, v25, s[46:47]
	v_add_u32_e32 v6, 1, v4
	v_add_u32_e32 v4, -1, v5
	v_min_u32_e32 v4, v6, v4
	v_lshlrev_b32_e32 v4, 3, v4
	ds_read_b64 v[4:5], v4
	v_cndmask_b32_e64 v10, v6, v8, s[46:47]
	v_cndmask_b32_e64 v8, v9, v6, s[46:47]
	v_cmp_lt_u32_e32 vcc, v10, v33
	s_waitcnt lgkmcnt(0)
	v_cndmask_b32_e64 v46, v5, v42, s[46:47]
	v_cndmask_b32_e64 v47, v4, v43, s[46:47]
	;; [unrolled: 1-line block ×4, first 2 shown]
	s_and_saveexec_b64 s[48:49], vcc
	s_cbranch_execz .LBB383_1466
; %bb.1456:                             ;   in Loop: Header=BB383_1376 Depth=1
	v_cmp_lt_u32_e32 vcc, v8, v25
	s_mov_b64 s[16:17], 0
	s_and_saveexec_b64 s[44:45], vcc
	s_cbranch_execz .LBB383_1465
; %bb.1457:                             ;   in Loop: Header=BB383_1376 Depth=1
	s_and_b64 vcc, exec, s[14:15]
	s_cbranch_vccnz .LBB383_1463
; %bb.1458:                             ;   in Loop: Header=BB383_1376 Depth=1
	v_mov_b64_e32 v[6:7], s[38:39]
	v_mad_u64_u32 v[4:5], s[16:17], s20, v47, v[6:7]
	v_mul_lo_u32 v9, s20, v46
	v_mul_lo_u32 v11, s21, v47
	v_add3_u32 v5, v11, v5, v9
	v_mad_u64_u32 v[6:7], s[16:17], s20, v49, v[6:7]
	v_mul_lo_u32 v9, s20, v48
	v_mul_lo_u32 v11, s21, v49
	v_add3_u32 v7, v11, v7, v9
	s_mov_b64 s[50:51], 0
	s_mov_b64 s[56:57], s[36:37]
                                        ; implicit-def: $sgpr52_sgpr53
                                        ; implicit-def: $sgpr54_sgpr55
                                        ; implicit-def: $sgpr16_sgpr17
                                        ; implicit-def: $sgpr58_sgpr59
	s_branch .LBB383_1460
.LBB383_1459:                           ;   in Loop: Header=BB383_1460 Depth=2
	s_or_b64 exec, exec, s[62:63]
	s_and_b64 s[18:19], exec, s[54:55]
	s_or_b64 s[50:51], s[18:19], s[50:51]
	s_andn2_b64 s[18:19], s[58:59], exec
	s_and_b64 s[58:59], s[60:61], exec
	s_or_b64 s[58:59], s[18:19], s[58:59]
	s_andn2_b64 s[18:19], s[52:53], exec
	s_and_b64 s[52:53], s[16:17], exec
	s_or_b64 s[52:53], s[18:19], s[52:53]
	s_andn2_b64 exec, exec, s[50:51]
	s_cbranch_execz .LBB383_1462
.LBB383_1460:                           ;   Parent Loop BB383_1376 Depth=1
                                        ; =>  This Inner Loop Header: Depth=2
	global_load_dword v9, v[4:5], off
	global_load_dword v11, v[6:7], off
	s_andn2_b64 s[62:63], s[16:17], exec
	s_or_b64 s[54:55], s[54:55], exec
	s_waitcnt vmcnt(0)
	v_cmp_le_i32_e64 s[16:17], v9, v11
	v_cmp_lt_i32_e32 vcc, v9, v11
	s_and_b64 s[16:17], s[16:17], s[58:59]
	s_or_b64 s[60:61], vcc, s[16:17]
	s_and_b64 s[16:17], s[60:61], exec
	v_cmp_eq_u32_e64 s[18:19], v9, v11
	s_or_b64 s[16:17], s[62:63], s[16:17]
	s_and_saveexec_b64 s[62:63], s[18:19]
	s_cbranch_execz .LBB383_1459
; %bb.1461:                             ;   in Loop: Header=BB383_1460 Depth=2
	s_add_u32 s56, s56, -1
	s_addc_u32 s57, s57, -1
	s_cmp_eq_u64 s[56:57], 0
	s_cselect_b64 s[18:19], -1, 0
	s_andn2_b64 s[54:55], s[54:55], exec
	s_and_b64 s[18:19], s[18:19], exec
	v_lshl_add_u64 v[4:5], v[4:5], 0, 4
	v_lshl_add_u64 v[6:7], v[6:7], 0, 4
	s_andn2_b64 s[16:17], s[16:17], exec
	s_or_b64 s[54:55], s[54:55], s[18:19]
                                        ; implicit-def: $sgpr58_sgpr59
	s_branch .LBB383_1459
.LBB383_1462:                           ;   in Loop: Header=BB383_1376 Depth=1
	s_or_b64 exec, exec, s[50:51]
	s_xor_b64 s[16:17], s[52:53], -1
	s_branch .LBB383_1464
.LBB383_1463:                           ;   in Loop: Header=BB383_1376 Depth=1
	s_mov_b64 s[16:17], -1
.LBB383_1464:                           ;   in Loop: Header=BB383_1376 Depth=1
	s_and_b64 s[16:17], s[16:17], exec
.LBB383_1465:                           ;   in Loop: Header=BB383_1376 Depth=1
	s_or_b64 exec, exec, s[44:45]
	s_orn2_b64 s[44:45], s[16:17], exec
.LBB383_1466:                           ;   in Loop: Header=BB383_1376 Depth=1
	s_or_b64 exec, exec, s[48:49]
	v_cndmask_b32_e64 v4, v10, v8, s[44:45]
	v_cndmask_b32_e64 v5, v33, v25, s[44:45]
	v_add_u32_e32 v9, 1, v4
	v_add_u32_e32 v4, -1, v5
	v_min_u32_e32 v4, v9, v4
	v_lshlrev_b32_e32 v4, 3, v4
	ds_read_b64 v[6:7], v4
	v_cndmask_b32_e64 v10, v9, v10, s[44:45]
	v_cmp_lt_u32_e32 vcc, v10, v33
	s_waitcnt lgkmcnt(0)
	v_cndmask_b32_e64 v5, v48, v7, s[44:45]
	v_cndmask_b32_e64 v4, v49, v6, s[44:45]
	s_and_saveexec_b64 s[48:49], vcc
	s_cbranch_execz .LBB383_1374
; %bb.1467:                             ;   in Loop: Header=BB383_1376 Depth=1
	v_cndmask_b32_e64 v8, v8, v9, s[44:45]
	v_cndmask_b32_e64 v7, v7, v46, s[44:45]
	;; [unrolled: 1-line block ×3, first 2 shown]
	v_cmp_lt_u32_e32 vcc, v8, v25
	s_and_saveexec_b64 s[50:51], vcc
	s_cbranch_execz .LBB383_1373
; %bb.1468:                             ;   in Loop: Header=BB383_1376 Depth=1
	s_and_b64 vcc, exec, s[14:15]
	s_cbranch_vccnz .LBB383_1372
; %bb.1469:                             ;   in Loop: Header=BB383_1376 Depth=1
	v_mov_b64_e32 v[10:11], s[38:39]
	v_mad_u64_u32 v[8:9], s[16:17], s20, v6, v[10:11]
	v_mul_lo_u32 v25, s20, v7
	v_mul_lo_u32 v33, s21, v6
	v_add3_u32 v9, v33, v9, v25
	v_mad_u64_u32 v[10:11], s[16:17], s20, v4, v[10:11]
	v_mul_lo_u32 v25, s20, v5
	v_mul_lo_u32 v33, s21, v4
	v_add3_u32 v11, v33, v11, v25
	s_mov_b64 s[52:53], 0
	s_mov_b64 s[58:59], s[36:37]
                                        ; implicit-def: $sgpr54_sgpr55
                                        ; implicit-def: $sgpr56_sgpr57
                                        ; implicit-def: $sgpr16_sgpr17
                                        ; implicit-def: $sgpr60_sgpr61
	s_branch .LBB383_1471
.LBB383_1470:                           ;   in Loop: Header=BB383_1471 Depth=2
	s_or_b64 exec, exec, s[64:65]
	s_and_b64 s[18:19], exec, s[56:57]
	s_or_b64 s[52:53], s[18:19], s[52:53]
	s_andn2_b64 s[18:19], s[60:61], exec
	s_and_b64 s[60:61], s[62:63], exec
	s_or_b64 s[60:61], s[18:19], s[60:61]
	s_andn2_b64 s[18:19], s[54:55], exec
	s_and_b64 s[54:55], s[16:17], exec
	s_or_b64 s[54:55], s[18:19], s[54:55]
	s_andn2_b64 exec, exec, s[52:53]
	s_cbranch_execz .LBB383_1371
.LBB383_1471:                           ;   Parent Loop BB383_1376 Depth=1
                                        ; =>  This Inner Loop Header: Depth=2
	global_load_dword v25, v[8:9], off
	global_load_dword v33, v[10:11], off
	s_andn2_b64 s[64:65], s[16:17], exec
	s_or_b64 s[56:57], s[56:57], exec
	s_waitcnt vmcnt(0)
	v_cmp_le_i32_e64 s[16:17], v25, v33
	v_cmp_lt_i32_e32 vcc, v25, v33
	s_and_b64 s[16:17], s[16:17], s[60:61]
	s_or_b64 s[62:63], vcc, s[16:17]
	s_and_b64 s[16:17], s[62:63], exec
	v_cmp_eq_u32_e64 s[18:19], v25, v33
	s_or_b64 s[16:17], s[64:65], s[16:17]
	s_and_saveexec_b64 s[64:65], s[18:19]
	s_cbranch_execz .LBB383_1470
; %bb.1472:                             ;   in Loop: Header=BB383_1471 Depth=2
	s_add_u32 s58, s58, -1
	s_addc_u32 s59, s59, -1
	s_cmp_eq_u64 s[58:59], 0
	s_cselect_b64 s[18:19], -1, 0
	s_andn2_b64 s[56:57], s[56:57], exec
	s_and_b64 s[18:19], s[18:19], exec
	v_lshl_add_u64 v[8:9], v[8:9], 0, 4
	v_lshl_add_u64 v[10:11], v[10:11], 0, 4
	s_andn2_b64 s[16:17], s[16:17], exec
	s_or_b64 s[56:57], s[56:57], s[18:19]
                                        ; implicit-def: $sgpr60_sgpr61
	s_branch .LBB383_1470
.LBB383_1473:
	s_barrier
	ds_write2_b64 v32, v[14:15], v[16:17] offset1:1
	ds_write2_b64 v32, v[10:11], v[12:13] offset0:2 offset1:3
	ds_write2_b64 v32, v[6:7], v[8:9] offset0:4 offset1:5
	;; [unrolled: 1-line block ×3, first 2 shown]
	s_waitcnt lgkmcnt(0)
	s_barrier
	ds_read_b64 v[12:13], v21 offset:2048
	ds_read_b64 v[10:11], v26 offset:4096
	;; [unrolled: 1-line block ×7, first 2 shown]
	v_mov_b32_e32 v21, 0
	v_lshl_add_u64 v[2:3], s[34:35], 0, v[20:21]
	s_and_saveexec_b64 s[14:15], s[0:1]
	s_cbranch_execnz .LBB383_1485
; %bb.1474:
	s_or_b64 exec, exec, s[14:15]
	s_and_saveexec_b64 s[0:1], s[2:3]
	s_cbranch_execnz .LBB383_1486
.LBB383_1475:
	s_or_b64 exec, exec, s[0:1]
	s_and_saveexec_b64 s[0:1], s[4:5]
	s_cbranch_execnz .LBB383_1487
.LBB383_1476:
	s_or_b64 exec, exec, s[0:1]
	s_and_saveexec_b64 s[0:1], s[6:7]
	s_cbranch_execnz .LBB383_1488
.LBB383_1477:
	s_or_b64 exec, exec, s[0:1]
	s_and_saveexec_b64 s[0:1], s[8:9]
	s_cbranch_execnz .LBB383_1489
.LBB383_1478:
	s_or_b64 exec, exec, s[0:1]
	s_and_saveexec_b64 s[0:1], s[10:11]
	s_cbranch_execnz .LBB383_1490
.LBB383_1479:
	s_or_b64 exec, exec, s[0:1]
	s_and_saveexec_b64 s[0:1], s[12:13]
	s_cbranch_execz .LBB383_1481
.LBB383_1480:
	v_add_co_u32_e32 v2, vcc, 0x3000, v2
	s_nop 1
	v_addc_co_u32_e32 v3, vcc, 0, v3, vcc
	s_waitcnt lgkmcnt(1)
	global_store_dwordx2 v[2:3], v[0:1], off
.LBB383_1481:
	s_or_b64 exec, exec, s[0:1]
	v_mov_b32_e32 v19, v21
.LBB383_1482:
	s_and_saveexec_b64 s[0:1], s[40:41]
	s_cbranch_execz .LBB383_1484
; %bb.1483:
	s_waitcnt lgkmcnt(1)
	v_lshl_add_u64 v[0:1], v[18:19], 3, s[34:35]
	v_add_co_u32_e32 v0, vcc, 0x3000, v0
	s_nop 1
	v_addc_co_u32_e32 v1, vcc, 0, v1, vcc
	s_waitcnt lgkmcnt(0)
	global_store_dwordx2 v[0:1], v[14:15], off offset:2048
.LBB383_1484:
	s_endpgm
.LBB383_1485:
	ds_read_b64 v[16:17], v19
	s_waitcnt lgkmcnt(0)
	global_store_dwordx2 v[2:3], v[16:17], off
	s_or_b64 exec, exec, s[14:15]
	s_and_saveexec_b64 s[0:1], s[2:3]
	s_cbranch_execz .LBB383_1475
.LBB383_1486:
	s_waitcnt lgkmcnt(6)
	global_store_dwordx2 v[2:3], v[12:13], off offset:2048
	s_or_b64 exec, exec, s[0:1]
	s_and_saveexec_b64 s[0:1], s[4:5]
	s_cbranch_execz .LBB383_1476
.LBB383_1487:
	s_waitcnt lgkmcnt(6)
	v_add_co_u32_e32 v12, vcc, 0x1000, v2
	s_nop 1
	v_addc_co_u32_e32 v13, vcc, 0, v3, vcc
	s_waitcnt lgkmcnt(5)
	global_store_dwordx2 v[12:13], v[10:11], off
	s_or_b64 exec, exec, s[0:1]
	s_and_saveexec_b64 s[0:1], s[6:7]
	s_cbranch_execz .LBB383_1477
.LBB383_1488:
	s_waitcnt lgkmcnt(5)
	v_add_co_u32_e32 v10, vcc, 0x1000, v2
	s_nop 1
	v_addc_co_u32_e32 v11, vcc, 0, v3, vcc
	s_waitcnt lgkmcnt(4)
	global_store_dwordx2 v[10:11], v[8:9], off offset:2048
	s_or_b64 exec, exec, s[0:1]
	s_and_saveexec_b64 s[0:1], s[8:9]
	s_cbranch_execz .LBB383_1478
.LBB383_1489:
	s_waitcnt lgkmcnt(4)
	v_add_co_u32_e32 v8, vcc, 0x2000, v2
	s_nop 1
	v_addc_co_u32_e32 v9, vcc, 0, v3, vcc
	s_waitcnt lgkmcnt(3)
	global_store_dwordx2 v[8:9], v[6:7], off
	s_or_b64 exec, exec, s[0:1]
	s_and_saveexec_b64 s[0:1], s[10:11]
	s_cbranch_execz .LBB383_1479
.LBB383_1490:
	s_waitcnt lgkmcnt(3)
	v_add_co_u32_e32 v6, vcc, 0x2000, v2
	s_nop 1
	v_addc_co_u32_e32 v7, vcc, 0, v3, vcc
	s_waitcnt lgkmcnt(2)
	global_store_dwordx2 v[6:7], v[4:5], off offset:2048
	s_or_b64 exec, exec, s[0:1]
	s_and_saveexec_b64 s[0:1], s[12:13]
	s_cbranch_execnz .LBB383_1480
	s_branch .LBB383_1481
	.section	.rodata,"a",@progbits
	.p2align	6, 0x0
	.amdhsa_kernel _ZN7rocprim17ROCPRIM_400000_NS6detail17trampoline_kernelINS0_14default_configENS1_37merge_sort_block_sort_config_selectorIlNS0_10empty_typeEEEZNS1_21merge_sort_block_sortIS3_PlS8_PS5_S9_ZN2at6native12_GLOBAL__N_124unique_dim_cuda_templateIiEESt5tupleIJNSA_6TensorESF_SF_EERKSF_lbbbEUlllE_EE10hipError_tT0_T1_T2_T3_mRjT4_P12ihipStream_tbNS1_7vsmem_tEEUlT_E_NS1_11comp_targetILNS1_3genE0ELNS1_11target_archE4294967295ELNS1_3gpuE0ELNS1_3repE0EEENS1_30default_config_static_selectorELNS0_4arch9wavefront6targetE1EEEvSM_
		.amdhsa_group_segment_fixed_size 16896
		.amdhsa_private_segment_fixed_size 0
		.amdhsa_kernarg_size 328
		.amdhsa_user_sgpr_count 2
		.amdhsa_user_sgpr_dispatch_ptr 0
		.amdhsa_user_sgpr_queue_ptr 0
		.amdhsa_user_sgpr_kernarg_segment_ptr 1
		.amdhsa_user_sgpr_dispatch_id 0
		.amdhsa_user_sgpr_kernarg_preload_length 0
		.amdhsa_user_sgpr_kernarg_preload_offset 0
		.amdhsa_user_sgpr_private_segment_size 0
		.amdhsa_uses_dynamic_stack 0
		.amdhsa_enable_private_segment 0
		.amdhsa_system_sgpr_workgroup_id_x 1
		.amdhsa_system_sgpr_workgroup_id_y 1
		.amdhsa_system_sgpr_workgroup_id_z 1
		.amdhsa_system_sgpr_workgroup_info 0
		.amdhsa_system_vgpr_workitem_id 2
		.amdhsa_next_free_vgpr 55
		.amdhsa_next_free_sgpr 67
		.amdhsa_accum_offset 56
		.amdhsa_reserve_vcc 1
		.amdhsa_float_round_mode_32 0
		.amdhsa_float_round_mode_16_64 0
		.amdhsa_float_denorm_mode_32 3
		.amdhsa_float_denorm_mode_16_64 3
		.amdhsa_dx10_clamp 1
		.amdhsa_ieee_mode 1
		.amdhsa_fp16_overflow 0
		.amdhsa_tg_split 0
		.amdhsa_exception_fp_ieee_invalid_op 0
		.amdhsa_exception_fp_denorm_src 0
		.amdhsa_exception_fp_ieee_div_zero 0
		.amdhsa_exception_fp_ieee_overflow 0
		.amdhsa_exception_fp_ieee_underflow 0
		.amdhsa_exception_fp_ieee_inexact 0
		.amdhsa_exception_int_div_zero 0
	.end_amdhsa_kernel
	.section	.text._ZN7rocprim17ROCPRIM_400000_NS6detail17trampoline_kernelINS0_14default_configENS1_37merge_sort_block_sort_config_selectorIlNS0_10empty_typeEEEZNS1_21merge_sort_block_sortIS3_PlS8_PS5_S9_ZN2at6native12_GLOBAL__N_124unique_dim_cuda_templateIiEESt5tupleIJNSA_6TensorESF_SF_EERKSF_lbbbEUlllE_EE10hipError_tT0_T1_T2_T3_mRjT4_P12ihipStream_tbNS1_7vsmem_tEEUlT_E_NS1_11comp_targetILNS1_3genE0ELNS1_11target_archE4294967295ELNS1_3gpuE0ELNS1_3repE0EEENS1_30default_config_static_selectorELNS0_4arch9wavefront6targetE1EEEvSM_,"axG",@progbits,_ZN7rocprim17ROCPRIM_400000_NS6detail17trampoline_kernelINS0_14default_configENS1_37merge_sort_block_sort_config_selectorIlNS0_10empty_typeEEEZNS1_21merge_sort_block_sortIS3_PlS8_PS5_S9_ZN2at6native12_GLOBAL__N_124unique_dim_cuda_templateIiEESt5tupleIJNSA_6TensorESF_SF_EERKSF_lbbbEUlllE_EE10hipError_tT0_T1_T2_T3_mRjT4_P12ihipStream_tbNS1_7vsmem_tEEUlT_E_NS1_11comp_targetILNS1_3genE0ELNS1_11target_archE4294967295ELNS1_3gpuE0ELNS1_3repE0EEENS1_30default_config_static_selectorELNS0_4arch9wavefront6targetE1EEEvSM_,comdat
.Lfunc_end383:
	.size	_ZN7rocprim17ROCPRIM_400000_NS6detail17trampoline_kernelINS0_14default_configENS1_37merge_sort_block_sort_config_selectorIlNS0_10empty_typeEEEZNS1_21merge_sort_block_sortIS3_PlS8_PS5_S9_ZN2at6native12_GLOBAL__N_124unique_dim_cuda_templateIiEESt5tupleIJNSA_6TensorESF_SF_EERKSF_lbbbEUlllE_EE10hipError_tT0_T1_T2_T3_mRjT4_P12ihipStream_tbNS1_7vsmem_tEEUlT_E_NS1_11comp_targetILNS1_3genE0ELNS1_11target_archE4294967295ELNS1_3gpuE0ELNS1_3repE0EEENS1_30default_config_static_selectorELNS0_4arch9wavefront6targetE1EEEvSM_, .Lfunc_end383-_ZN7rocprim17ROCPRIM_400000_NS6detail17trampoline_kernelINS0_14default_configENS1_37merge_sort_block_sort_config_selectorIlNS0_10empty_typeEEEZNS1_21merge_sort_block_sortIS3_PlS8_PS5_S9_ZN2at6native12_GLOBAL__N_124unique_dim_cuda_templateIiEESt5tupleIJNSA_6TensorESF_SF_EERKSF_lbbbEUlllE_EE10hipError_tT0_T1_T2_T3_mRjT4_P12ihipStream_tbNS1_7vsmem_tEEUlT_E_NS1_11comp_targetILNS1_3genE0ELNS1_11target_archE4294967295ELNS1_3gpuE0ELNS1_3repE0EEENS1_30default_config_static_selectorELNS0_4arch9wavefront6targetE1EEEvSM_
                                        ; -- End function
	.set _ZN7rocprim17ROCPRIM_400000_NS6detail17trampoline_kernelINS0_14default_configENS1_37merge_sort_block_sort_config_selectorIlNS0_10empty_typeEEEZNS1_21merge_sort_block_sortIS3_PlS8_PS5_S9_ZN2at6native12_GLOBAL__N_124unique_dim_cuda_templateIiEESt5tupleIJNSA_6TensorESF_SF_EERKSF_lbbbEUlllE_EE10hipError_tT0_T1_T2_T3_mRjT4_P12ihipStream_tbNS1_7vsmem_tEEUlT_E_NS1_11comp_targetILNS1_3genE0ELNS1_11target_archE4294967295ELNS1_3gpuE0ELNS1_3repE0EEENS1_30default_config_static_selectorELNS0_4arch9wavefront6targetE1EEEvSM_.num_vgpr, 55
	.set _ZN7rocprim17ROCPRIM_400000_NS6detail17trampoline_kernelINS0_14default_configENS1_37merge_sort_block_sort_config_selectorIlNS0_10empty_typeEEEZNS1_21merge_sort_block_sortIS3_PlS8_PS5_S9_ZN2at6native12_GLOBAL__N_124unique_dim_cuda_templateIiEESt5tupleIJNSA_6TensorESF_SF_EERKSF_lbbbEUlllE_EE10hipError_tT0_T1_T2_T3_mRjT4_P12ihipStream_tbNS1_7vsmem_tEEUlT_E_NS1_11comp_targetILNS1_3genE0ELNS1_11target_archE4294967295ELNS1_3gpuE0ELNS1_3repE0EEENS1_30default_config_static_selectorELNS0_4arch9wavefront6targetE1EEEvSM_.num_agpr, 0
	.set _ZN7rocprim17ROCPRIM_400000_NS6detail17trampoline_kernelINS0_14default_configENS1_37merge_sort_block_sort_config_selectorIlNS0_10empty_typeEEEZNS1_21merge_sort_block_sortIS3_PlS8_PS5_S9_ZN2at6native12_GLOBAL__N_124unique_dim_cuda_templateIiEESt5tupleIJNSA_6TensorESF_SF_EERKSF_lbbbEUlllE_EE10hipError_tT0_T1_T2_T3_mRjT4_P12ihipStream_tbNS1_7vsmem_tEEUlT_E_NS1_11comp_targetILNS1_3genE0ELNS1_11target_archE4294967295ELNS1_3gpuE0ELNS1_3repE0EEENS1_30default_config_static_selectorELNS0_4arch9wavefront6targetE1EEEvSM_.numbered_sgpr, 67
	.set _ZN7rocprim17ROCPRIM_400000_NS6detail17trampoline_kernelINS0_14default_configENS1_37merge_sort_block_sort_config_selectorIlNS0_10empty_typeEEEZNS1_21merge_sort_block_sortIS3_PlS8_PS5_S9_ZN2at6native12_GLOBAL__N_124unique_dim_cuda_templateIiEESt5tupleIJNSA_6TensorESF_SF_EERKSF_lbbbEUlllE_EE10hipError_tT0_T1_T2_T3_mRjT4_P12ihipStream_tbNS1_7vsmem_tEEUlT_E_NS1_11comp_targetILNS1_3genE0ELNS1_11target_archE4294967295ELNS1_3gpuE0ELNS1_3repE0EEENS1_30default_config_static_selectorELNS0_4arch9wavefront6targetE1EEEvSM_.num_named_barrier, 0
	.set _ZN7rocprim17ROCPRIM_400000_NS6detail17trampoline_kernelINS0_14default_configENS1_37merge_sort_block_sort_config_selectorIlNS0_10empty_typeEEEZNS1_21merge_sort_block_sortIS3_PlS8_PS5_S9_ZN2at6native12_GLOBAL__N_124unique_dim_cuda_templateIiEESt5tupleIJNSA_6TensorESF_SF_EERKSF_lbbbEUlllE_EE10hipError_tT0_T1_T2_T3_mRjT4_P12ihipStream_tbNS1_7vsmem_tEEUlT_E_NS1_11comp_targetILNS1_3genE0ELNS1_11target_archE4294967295ELNS1_3gpuE0ELNS1_3repE0EEENS1_30default_config_static_selectorELNS0_4arch9wavefront6targetE1EEEvSM_.private_seg_size, 0
	.set _ZN7rocprim17ROCPRIM_400000_NS6detail17trampoline_kernelINS0_14default_configENS1_37merge_sort_block_sort_config_selectorIlNS0_10empty_typeEEEZNS1_21merge_sort_block_sortIS3_PlS8_PS5_S9_ZN2at6native12_GLOBAL__N_124unique_dim_cuda_templateIiEESt5tupleIJNSA_6TensorESF_SF_EERKSF_lbbbEUlllE_EE10hipError_tT0_T1_T2_T3_mRjT4_P12ihipStream_tbNS1_7vsmem_tEEUlT_E_NS1_11comp_targetILNS1_3genE0ELNS1_11target_archE4294967295ELNS1_3gpuE0ELNS1_3repE0EEENS1_30default_config_static_selectorELNS0_4arch9wavefront6targetE1EEEvSM_.uses_vcc, 1
	.set _ZN7rocprim17ROCPRIM_400000_NS6detail17trampoline_kernelINS0_14default_configENS1_37merge_sort_block_sort_config_selectorIlNS0_10empty_typeEEEZNS1_21merge_sort_block_sortIS3_PlS8_PS5_S9_ZN2at6native12_GLOBAL__N_124unique_dim_cuda_templateIiEESt5tupleIJNSA_6TensorESF_SF_EERKSF_lbbbEUlllE_EE10hipError_tT0_T1_T2_T3_mRjT4_P12ihipStream_tbNS1_7vsmem_tEEUlT_E_NS1_11comp_targetILNS1_3genE0ELNS1_11target_archE4294967295ELNS1_3gpuE0ELNS1_3repE0EEENS1_30default_config_static_selectorELNS0_4arch9wavefront6targetE1EEEvSM_.uses_flat_scratch, 0
	.set _ZN7rocprim17ROCPRIM_400000_NS6detail17trampoline_kernelINS0_14default_configENS1_37merge_sort_block_sort_config_selectorIlNS0_10empty_typeEEEZNS1_21merge_sort_block_sortIS3_PlS8_PS5_S9_ZN2at6native12_GLOBAL__N_124unique_dim_cuda_templateIiEESt5tupleIJNSA_6TensorESF_SF_EERKSF_lbbbEUlllE_EE10hipError_tT0_T1_T2_T3_mRjT4_P12ihipStream_tbNS1_7vsmem_tEEUlT_E_NS1_11comp_targetILNS1_3genE0ELNS1_11target_archE4294967295ELNS1_3gpuE0ELNS1_3repE0EEENS1_30default_config_static_selectorELNS0_4arch9wavefront6targetE1EEEvSM_.has_dyn_sized_stack, 0
	.set _ZN7rocprim17ROCPRIM_400000_NS6detail17trampoline_kernelINS0_14default_configENS1_37merge_sort_block_sort_config_selectorIlNS0_10empty_typeEEEZNS1_21merge_sort_block_sortIS3_PlS8_PS5_S9_ZN2at6native12_GLOBAL__N_124unique_dim_cuda_templateIiEESt5tupleIJNSA_6TensorESF_SF_EERKSF_lbbbEUlllE_EE10hipError_tT0_T1_T2_T3_mRjT4_P12ihipStream_tbNS1_7vsmem_tEEUlT_E_NS1_11comp_targetILNS1_3genE0ELNS1_11target_archE4294967295ELNS1_3gpuE0ELNS1_3repE0EEENS1_30default_config_static_selectorELNS0_4arch9wavefront6targetE1EEEvSM_.has_recursion, 0
	.set _ZN7rocprim17ROCPRIM_400000_NS6detail17trampoline_kernelINS0_14default_configENS1_37merge_sort_block_sort_config_selectorIlNS0_10empty_typeEEEZNS1_21merge_sort_block_sortIS3_PlS8_PS5_S9_ZN2at6native12_GLOBAL__N_124unique_dim_cuda_templateIiEESt5tupleIJNSA_6TensorESF_SF_EERKSF_lbbbEUlllE_EE10hipError_tT0_T1_T2_T3_mRjT4_P12ihipStream_tbNS1_7vsmem_tEEUlT_E_NS1_11comp_targetILNS1_3genE0ELNS1_11target_archE4294967295ELNS1_3gpuE0ELNS1_3repE0EEENS1_30default_config_static_selectorELNS0_4arch9wavefront6targetE1EEEvSM_.has_indirect_call, 0
	.section	.AMDGPU.csdata,"",@progbits
; Kernel info:
; codeLenInByte = 60688
; TotalNumSgprs: 73
; NumVgprs: 55
; NumAgprs: 0
; TotalNumVgprs: 55
; ScratchSize: 0
; MemoryBound: 0
; FloatMode: 240
; IeeeMode: 1
; LDSByteSize: 16896 bytes/workgroup (compile time only)
; SGPRBlocks: 9
; VGPRBlocks: 6
; NumSGPRsForWavesPerEU: 73
; NumVGPRsForWavesPerEU: 55
; AccumOffset: 56
; Occupancy: 8
; WaveLimiterHint : 1
; COMPUTE_PGM_RSRC2:SCRATCH_EN: 0
; COMPUTE_PGM_RSRC2:USER_SGPR: 2
; COMPUTE_PGM_RSRC2:TRAP_HANDLER: 0
; COMPUTE_PGM_RSRC2:TGID_X_EN: 1
; COMPUTE_PGM_RSRC2:TGID_Y_EN: 1
; COMPUTE_PGM_RSRC2:TGID_Z_EN: 1
; COMPUTE_PGM_RSRC2:TIDIG_COMP_CNT: 2
; COMPUTE_PGM_RSRC3_GFX90A:ACCUM_OFFSET: 13
; COMPUTE_PGM_RSRC3_GFX90A:TG_SPLIT: 0
	.section	.text._ZN7rocprim17ROCPRIM_400000_NS6detail17trampoline_kernelINS0_14default_configENS1_37merge_sort_block_sort_config_selectorIlNS0_10empty_typeEEEZNS1_21merge_sort_block_sortIS3_PlS8_PS5_S9_ZN2at6native12_GLOBAL__N_124unique_dim_cuda_templateIiEESt5tupleIJNSA_6TensorESF_SF_EERKSF_lbbbEUlllE_EE10hipError_tT0_T1_T2_T3_mRjT4_P12ihipStream_tbNS1_7vsmem_tEEUlT_E_NS1_11comp_targetILNS1_3genE5ELNS1_11target_archE942ELNS1_3gpuE9ELNS1_3repE0EEENS1_30default_config_static_selectorELNS0_4arch9wavefront6targetE1EEEvSM_,"axG",@progbits,_ZN7rocprim17ROCPRIM_400000_NS6detail17trampoline_kernelINS0_14default_configENS1_37merge_sort_block_sort_config_selectorIlNS0_10empty_typeEEEZNS1_21merge_sort_block_sortIS3_PlS8_PS5_S9_ZN2at6native12_GLOBAL__N_124unique_dim_cuda_templateIiEESt5tupleIJNSA_6TensorESF_SF_EERKSF_lbbbEUlllE_EE10hipError_tT0_T1_T2_T3_mRjT4_P12ihipStream_tbNS1_7vsmem_tEEUlT_E_NS1_11comp_targetILNS1_3genE5ELNS1_11target_archE942ELNS1_3gpuE9ELNS1_3repE0EEENS1_30default_config_static_selectorELNS0_4arch9wavefront6targetE1EEEvSM_,comdat
	.globl	_ZN7rocprim17ROCPRIM_400000_NS6detail17trampoline_kernelINS0_14default_configENS1_37merge_sort_block_sort_config_selectorIlNS0_10empty_typeEEEZNS1_21merge_sort_block_sortIS3_PlS8_PS5_S9_ZN2at6native12_GLOBAL__N_124unique_dim_cuda_templateIiEESt5tupleIJNSA_6TensorESF_SF_EERKSF_lbbbEUlllE_EE10hipError_tT0_T1_T2_T3_mRjT4_P12ihipStream_tbNS1_7vsmem_tEEUlT_E_NS1_11comp_targetILNS1_3genE5ELNS1_11target_archE942ELNS1_3gpuE9ELNS1_3repE0EEENS1_30default_config_static_selectorELNS0_4arch9wavefront6targetE1EEEvSM_ ; -- Begin function _ZN7rocprim17ROCPRIM_400000_NS6detail17trampoline_kernelINS0_14default_configENS1_37merge_sort_block_sort_config_selectorIlNS0_10empty_typeEEEZNS1_21merge_sort_block_sortIS3_PlS8_PS5_S9_ZN2at6native12_GLOBAL__N_124unique_dim_cuda_templateIiEESt5tupleIJNSA_6TensorESF_SF_EERKSF_lbbbEUlllE_EE10hipError_tT0_T1_T2_T3_mRjT4_P12ihipStream_tbNS1_7vsmem_tEEUlT_E_NS1_11comp_targetILNS1_3genE5ELNS1_11target_archE942ELNS1_3gpuE9ELNS1_3repE0EEENS1_30default_config_static_selectorELNS0_4arch9wavefront6targetE1EEEvSM_
	.p2align	8
	.type	_ZN7rocprim17ROCPRIM_400000_NS6detail17trampoline_kernelINS0_14default_configENS1_37merge_sort_block_sort_config_selectorIlNS0_10empty_typeEEEZNS1_21merge_sort_block_sortIS3_PlS8_PS5_S9_ZN2at6native12_GLOBAL__N_124unique_dim_cuda_templateIiEESt5tupleIJNSA_6TensorESF_SF_EERKSF_lbbbEUlllE_EE10hipError_tT0_T1_T2_T3_mRjT4_P12ihipStream_tbNS1_7vsmem_tEEUlT_E_NS1_11comp_targetILNS1_3genE5ELNS1_11target_archE942ELNS1_3gpuE9ELNS1_3repE0EEENS1_30default_config_static_selectorELNS0_4arch9wavefront6targetE1EEEvSM_,@function
_ZN7rocprim17ROCPRIM_400000_NS6detail17trampoline_kernelINS0_14default_configENS1_37merge_sort_block_sort_config_selectorIlNS0_10empty_typeEEEZNS1_21merge_sort_block_sortIS3_PlS8_PS5_S9_ZN2at6native12_GLOBAL__N_124unique_dim_cuda_templateIiEESt5tupleIJNSA_6TensorESF_SF_EERKSF_lbbbEUlllE_EE10hipError_tT0_T1_T2_T3_mRjT4_P12ihipStream_tbNS1_7vsmem_tEEUlT_E_NS1_11comp_targetILNS1_3genE5ELNS1_11target_archE942ELNS1_3gpuE9ELNS1_3repE0EEENS1_30default_config_static_selectorELNS0_4arch9wavefront6targetE1EEEvSM_: ; @_ZN7rocprim17ROCPRIM_400000_NS6detail17trampoline_kernelINS0_14default_configENS1_37merge_sort_block_sort_config_selectorIlNS0_10empty_typeEEEZNS1_21merge_sort_block_sortIS3_PlS8_PS5_S9_ZN2at6native12_GLOBAL__N_124unique_dim_cuda_templateIiEESt5tupleIJNSA_6TensorESF_SF_EERKSF_lbbbEUlllE_EE10hipError_tT0_T1_T2_T3_mRjT4_P12ihipStream_tbNS1_7vsmem_tEEUlT_E_NS1_11comp_targetILNS1_3genE5ELNS1_11target_archE942ELNS1_3gpuE9ELNS1_3repE0EEENS1_30default_config_static_selectorELNS0_4arch9wavefront6targetE1EEEvSM_
; %bb.0:
	.section	.rodata,"a",@progbits
	.p2align	6, 0x0
	.amdhsa_kernel _ZN7rocprim17ROCPRIM_400000_NS6detail17trampoline_kernelINS0_14default_configENS1_37merge_sort_block_sort_config_selectorIlNS0_10empty_typeEEEZNS1_21merge_sort_block_sortIS3_PlS8_PS5_S9_ZN2at6native12_GLOBAL__N_124unique_dim_cuda_templateIiEESt5tupleIJNSA_6TensorESF_SF_EERKSF_lbbbEUlllE_EE10hipError_tT0_T1_T2_T3_mRjT4_P12ihipStream_tbNS1_7vsmem_tEEUlT_E_NS1_11comp_targetILNS1_3genE5ELNS1_11target_archE942ELNS1_3gpuE9ELNS1_3repE0EEENS1_30default_config_static_selectorELNS0_4arch9wavefront6targetE1EEEvSM_
		.amdhsa_group_segment_fixed_size 0
		.amdhsa_private_segment_fixed_size 0
		.amdhsa_kernarg_size 72
		.amdhsa_user_sgpr_count 2
		.amdhsa_user_sgpr_dispatch_ptr 0
		.amdhsa_user_sgpr_queue_ptr 0
		.amdhsa_user_sgpr_kernarg_segment_ptr 1
		.amdhsa_user_sgpr_dispatch_id 0
		.amdhsa_user_sgpr_kernarg_preload_length 0
		.amdhsa_user_sgpr_kernarg_preload_offset 0
		.amdhsa_user_sgpr_private_segment_size 0
		.amdhsa_uses_dynamic_stack 0
		.amdhsa_enable_private_segment 0
		.amdhsa_system_sgpr_workgroup_id_x 1
		.amdhsa_system_sgpr_workgroup_id_y 0
		.amdhsa_system_sgpr_workgroup_id_z 0
		.amdhsa_system_sgpr_workgroup_info 0
		.amdhsa_system_vgpr_workitem_id 0
		.amdhsa_next_free_vgpr 1
		.amdhsa_next_free_sgpr 0
		.amdhsa_accum_offset 4
		.amdhsa_reserve_vcc 0
		.amdhsa_float_round_mode_32 0
		.amdhsa_float_round_mode_16_64 0
		.amdhsa_float_denorm_mode_32 3
		.amdhsa_float_denorm_mode_16_64 3
		.amdhsa_dx10_clamp 1
		.amdhsa_ieee_mode 1
		.amdhsa_fp16_overflow 0
		.amdhsa_tg_split 0
		.amdhsa_exception_fp_ieee_invalid_op 0
		.amdhsa_exception_fp_denorm_src 0
		.amdhsa_exception_fp_ieee_div_zero 0
		.amdhsa_exception_fp_ieee_overflow 0
		.amdhsa_exception_fp_ieee_underflow 0
		.amdhsa_exception_fp_ieee_inexact 0
		.amdhsa_exception_int_div_zero 0
	.end_amdhsa_kernel
	.section	.text._ZN7rocprim17ROCPRIM_400000_NS6detail17trampoline_kernelINS0_14default_configENS1_37merge_sort_block_sort_config_selectorIlNS0_10empty_typeEEEZNS1_21merge_sort_block_sortIS3_PlS8_PS5_S9_ZN2at6native12_GLOBAL__N_124unique_dim_cuda_templateIiEESt5tupleIJNSA_6TensorESF_SF_EERKSF_lbbbEUlllE_EE10hipError_tT0_T1_T2_T3_mRjT4_P12ihipStream_tbNS1_7vsmem_tEEUlT_E_NS1_11comp_targetILNS1_3genE5ELNS1_11target_archE942ELNS1_3gpuE9ELNS1_3repE0EEENS1_30default_config_static_selectorELNS0_4arch9wavefront6targetE1EEEvSM_,"axG",@progbits,_ZN7rocprim17ROCPRIM_400000_NS6detail17trampoline_kernelINS0_14default_configENS1_37merge_sort_block_sort_config_selectorIlNS0_10empty_typeEEEZNS1_21merge_sort_block_sortIS3_PlS8_PS5_S9_ZN2at6native12_GLOBAL__N_124unique_dim_cuda_templateIiEESt5tupleIJNSA_6TensorESF_SF_EERKSF_lbbbEUlllE_EE10hipError_tT0_T1_T2_T3_mRjT4_P12ihipStream_tbNS1_7vsmem_tEEUlT_E_NS1_11comp_targetILNS1_3genE5ELNS1_11target_archE942ELNS1_3gpuE9ELNS1_3repE0EEENS1_30default_config_static_selectorELNS0_4arch9wavefront6targetE1EEEvSM_,comdat
.Lfunc_end384:
	.size	_ZN7rocprim17ROCPRIM_400000_NS6detail17trampoline_kernelINS0_14default_configENS1_37merge_sort_block_sort_config_selectorIlNS0_10empty_typeEEEZNS1_21merge_sort_block_sortIS3_PlS8_PS5_S9_ZN2at6native12_GLOBAL__N_124unique_dim_cuda_templateIiEESt5tupleIJNSA_6TensorESF_SF_EERKSF_lbbbEUlllE_EE10hipError_tT0_T1_T2_T3_mRjT4_P12ihipStream_tbNS1_7vsmem_tEEUlT_E_NS1_11comp_targetILNS1_3genE5ELNS1_11target_archE942ELNS1_3gpuE9ELNS1_3repE0EEENS1_30default_config_static_selectorELNS0_4arch9wavefront6targetE1EEEvSM_, .Lfunc_end384-_ZN7rocprim17ROCPRIM_400000_NS6detail17trampoline_kernelINS0_14default_configENS1_37merge_sort_block_sort_config_selectorIlNS0_10empty_typeEEEZNS1_21merge_sort_block_sortIS3_PlS8_PS5_S9_ZN2at6native12_GLOBAL__N_124unique_dim_cuda_templateIiEESt5tupleIJNSA_6TensorESF_SF_EERKSF_lbbbEUlllE_EE10hipError_tT0_T1_T2_T3_mRjT4_P12ihipStream_tbNS1_7vsmem_tEEUlT_E_NS1_11comp_targetILNS1_3genE5ELNS1_11target_archE942ELNS1_3gpuE9ELNS1_3repE0EEENS1_30default_config_static_selectorELNS0_4arch9wavefront6targetE1EEEvSM_
                                        ; -- End function
	.set _ZN7rocprim17ROCPRIM_400000_NS6detail17trampoline_kernelINS0_14default_configENS1_37merge_sort_block_sort_config_selectorIlNS0_10empty_typeEEEZNS1_21merge_sort_block_sortIS3_PlS8_PS5_S9_ZN2at6native12_GLOBAL__N_124unique_dim_cuda_templateIiEESt5tupleIJNSA_6TensorESF_SF_EERKSF_lbbbEUlllE_EE10hipError_tT0_T1_T2_T3_mRjT4_P12ihipStream_tbNS1_7vsmem_tEEUlT_E_NS1_11comp_targetILNS1_3genE5ELNS1_11target_archE942ELNS1_3gpuE9ELNS1_3repE0EEENS1_30default_config_static_selectorELNS0_4arch9wavefront6targetE1EEEvSM_.num_vgpr, 0
	.set _ZN7rocprim17ROCPRIM_400000_NS6detail17trampoline_kernelINS0_14default_configENS1_37merge_sort_block_sort_config_selectorIlNS0_10empty_typeEEEZNS1_21merge_sort_block_sortIS3_PlS8_PS5_S9_ZN2at6native12_GLOBAL__N_124unique_dim_cuda_templateIiEESt5tupleIJNSA_6TensorESF_SF_EERKSF_lbbbEUlllE_EE10hipError_tT0_T1_T2_T3_mRjT4_P12ihipStream_tbNS1_7vsmem_tEEUlT_E_NS1_11comp_targetILNS1_3genE5ELNS1_11target_archE942ELNS1_3gpuE9ELNS1_3repE0EEENS1_30default_config_static_selectorELNS0_4arch9wavefront6targetE1EEEvSM_.num_agpr, 0
	.set _ZN7rocprim17ROCPRIM_400000_NS6detail17trampoline_kernelINS0_14default_configENS1_37merge_sort_block_sort_config_selectorIlNS0_10empty_typeEEEZNS1_21merge_sort_block_sortIS3_PlS8_PS5_S9_ZN2at6native12_GLOBAL__N_124unique_dim_cuda_templateIiEESt5tupleIJNSA_6TensorESF_SF_EERKSF_lbbbEUlllE_EE10hipError_tT0_T1_T2_T3_mRjT4_P12ihipStream_tbNS1_7vsmem_tEEUlT_E_NS1_11comp_targetILNS1_3genE5ELNS1_11target_archE942ELNS1_3gpuE9ELNS1_3repE0EEENS1_30default_config_static_selectorELNS0_4arch9wavefront6targetE1EEEvSM_.numbered_sgpr, 0
	.set _ZN7rocprim17ROCPRIM_400000_NS6detail17trampoline_kernelINS0_14default_configENS1_37merge_sort_block_sort_config_selectorIlNS0_10empty_typeEEEZNS1_21merge_sort_block_sortIS3_PlS8_PS5_S9_ZN2at6native12_GLOBAL__N_124unique_dim_cuda_templateIiEESt5tupleIJNSA_6TensorESF_SF_EERKSF_lbbbEUlllE_EE10hipError_tT0_T1_T2_T3_mRjT4_P12ihipStream_tbNS1_7vsmem_tEEUlT_E_NS1_11comp_targetILNS1_3genE5ELNS1_11target_archE942ELNS1_3gpuE9ELNS1_3repE0EEENS1_30default_config_static_selectorELNS0_4arch9wavefront6targetE1EEEvSM_.num_named_barrier, 0
	.set _ZN7rocprim17ROCPRIM_400000_NS6detail17trampoline_kernelINS0_14default_configENS1_37merge_sort_block_sort_config_selectorIlNS0_10empty_typeEEEZNS1_21merge_sort_block_sortIS3_PlS8_PS5_S9_ZN2at6native12_GLOBAL__N_124unique_dim_cuda_templateIiEESt5tupleIJNSA_6TensorESF_SF_EERKSF_lbbbEUlllE_EE10hipError_tT0_T1_T2_T3_mRjT4_P12ihipStream_tbNS1_7vsmem_tEEUlT_E_NS1_11comp_targetILNS1_3genE5ELNS1_11target_archE942ELNS1_3gpuE9ELNS1_3repE0EEENS1_30default_config_static_selectorELNS0_4arch9wavefront6targetE1EEEvSM_.private_seg_size, 0
	.set _ZN7rocprim17ROCPRIM_400000_NS6detail17trampoline_kernelINS0_14default_configENS1_37merge_sort_block_sort_config_selectorIlNS0_10empty_typeEEEZNS1_21merge_sort_block_sortIS3_PlS8_PS5_S9_ZN2at6native12_GLOBAL__N_124unique_dim_cuda_templateIiEESt5tupleIJNSA_6TensorESF_SF_EERKSF_lbbbEUlllE_EE10hipError_tT0_T1_T2_T3_mRjT4_P12ihipStream_tbNS1_7vsmem_tEEUlT_E_NS1_11comp_targetILNS1_3genE5ELNS1_11target_archE942ELNS1_3gpuE9ELNS1_3repE0EEENS1_30default_config_static_selectorELNS0_4arch9wavefront6targetE1EEEvSM_.uses_vcc, 0
	.set _ZN7rocprim17ROCPRIM_400000_NS6detail17trampoline_kernelINS0_14default_configENS1_37merge_sort_block_sort_config_selectorIlNS0_10empty_typeEEEZNS1_21merge_sort_block_sortIS3_PlS8_PS5_S9_ZN2at6native12_GLOBAL__N_124unique_dim_cuda_templateIiEESt5tupleIJNSA_6TensorESF_SF_EERKSF_lbbbEUlllE_EE10hipError_tT0_T1_T2_T3_mRjT4_P12ihipStream_tbNS1_7vsmem_tEEUlT_E_NS1_11comp_targetILNS1_3genE5ELNS1_11target_archE942ELNS1_3gpuE9ELNS1_3repE0EEENS1_30default_config_static_selectorELNS0_4arch9wavefront6targetE1EEEvSM_.uses_flat_scratch, 0
	.set _ZN7rocprim17ROCPRIM_400000_NS6detail17trampoline_kernelINS0_14default_configENS1_37merge_sort_block_sort_config_selectorIlNS0_10empty_typeEEEZNS1_21merge_sort_block_sortIS3_PlS8_PS5_S9_ZN2at6native12_GLOBAL__N_124unique_dim_cuda_templateIiEESt5tupleIJNSA_6TensorESF_SF_EERKSF_lbbbEUlllE_EE10hipError_tT0_T1_T2_T3_mRjT4_P12ihipStream_tbNS1_7vsmem_tEEUlT_E_NS1_11comp_targetILNS1_3genE5ELNS1_11target_archE942ELNS1_3gpuE9ELNS1_3repE0EEENS1_30default_config_static_selectorELNS0_4arch9wavefront6targetE1EEEvSM_.has_dyn_sized_stack, 0
	.set _ZN7rocprim17ROCPRIM_400000_NS6detail17trampoline_kernelINS0_14default_configENS1_37merge_sort_block_sort_config_selectorIlNS0_10empty_typeEEEZNS1_21merge_sort_block_sortIS3_PlS8_PS5_S9_ZN2at6native12_GLOBAL__N_124unique_dim_cuda_templateIiEESt5tupleIJNSA_6TensorESF_SF_EERKSF_lbbbEUlllE_EE10hipError_tT0_T1_T2_T3_mRjT4_P12ihipStream_tbNS1_7vsmem_tEEUlT_E_NS1_11comp_targetILNS1_3genE5ELNS1_11target_archE942ELNS1_3gpuE9ELNS1_3repE0EEENS1_30default_config_static_selectorELNS0_4arch9wavefront6targetE1EEEvSM_.has_recursion, 0
	.set _ZN7rocprim17ROCPRIM_400000_NS6detail17trampoline_kernelINS0_14default_configENS1_37merge_sort_block_sort_config_selectorIlNS0_10empty_typeEEEZNS1_21merge_sort_block_sortIS3_PlS8_PS5_S9_ZN2at6native12_GLOBAL__N_124unique_dim_cuda_templateIiEESt5tupleIJNSA_6TensorESF_SF_EERKSF_lbbbEUlllE_EE10hipError_tT0_T1_T2_T3_mRjT4_P12ihipStream_tbNS1_7vsmem_tEEUlT_E_NS1_11comp_targetILNS1_3genE5ELNS1_11target_archE942ELNS1_3gpuE9ELNS1_3repE0EEENS1_30default_config_static_selectorELNS0_4arch9wavefront6targetE1EEEvSM_.has_indirect_call, 0
	.section	.AMDGPU.csdata,"",@progbits
; Kernel info:
; codeLenInByte = 0
; TotalNumSgprs: 6
; NumVgprs: 0
; NumAgprs: 0
; TotalNumVgprs: 0
; ScratchSize: 0
; MemoryBound: 0
; FloatMode: 240
; IeeeMode: 1
; LDSByteSize: 0 bytes/workgroup (compile time only)
; SGPRBlocks: 0
; VGPRBlocks: 0
; NumSGPRsForWavesPerEU: 6
; NumVGPRsForWavesPerEU: 1
; AccumOffset: 4
; Occupancy: 8
; WaveLimiterHint : 0
; COMPUTE_PGM_RSRC2:SCRATCH_EN: 0
; COMPUTE_PGM_RSRC2:USER_SGPR: 2
; COMPUTE_PGM_RSRC2:TRAP_HANDLER: 0
; COMPUTE_PGM_RSRC2:TGID_X_EN: 1
; COMPUTE_PGM_RSRC2:TGID_Y_EN: 0
; COMPUTE_PGM_RSRC2:TGID_Z_EN: 0
; COMPUTE_PGM_RSRC2:TIDIG_COMP_CNT: 0
; COMPUTE_PGM_RSRC3_GFX90A:ACCUM_OFFSET: 0
; COMPUTE_PGM_RSRC3_GFX90A:TG_SPLIT: 0
	.section	.text._ZN7rocprim17ROCPRIM_400000_NS6detail17trampoline_kernelINS0_14default_configENS1_37merge_sort_block_sort_config_selectorIlNS0_10empty_typeEEEZNS1_21merge_sort_block_sortIS3_PlS8_PS5_S9_ZN2at6native12_GLOBAL__N_124unique_dim_cuda_templateIiEESt5tupleIJNSA_6TensorESF_SF_EERKSF_lbbbEUlllE_EE10hipError_tT0_T1_T2_T3_mRjT4_P12ihipStream_tbNS1_7vsmem_tEEUlT_E_NS1_11comp_targetILNS1_3genE4ELNS1_11target_archE910ELNS1_3gpuE8ELNS1_3repE0EEENS1_30default_config_static_selectorELNS0_4arch9wavefront6targetE1EEEvSM_,"axG",@progbits,_ZN7rocprim17ROCPRIM_400000_NS6detail17trampoline_kernelINS0_14default_configENS1_37merge_sort_block_sort_config_selectorIlNS0_10empty_typeEEEZNS1_21merge_sort_block_sortIS3_PlS8_PS5_S9_ZN2at6native12_GLOBAL__N_124unique_dim_cuda_templateIiEESt5tupleIJNSA_6TensorESF_SF_EERKSF_lbbbEUlllE_EE10hipError_tT0_T1_T2_T3_mRjT4_P12ihipStream_tbNS1_7vsmem_tEEUlT_E_NS1_11comp_targetILNS1_3genE4ELNS1_11target_archE910ELNS1_3gpuE8ELNS1_3repE0EEENS1_30default_config_static_selectorELNS0_4arch9wavefront6targetE1EEEvSM_,comdat
	.globl	_ZN7rocprim17ROCPRIM_400000_NS6detail17trampoline_kernelINS0_14default_configENS1_37merge_sort_block_sort_config_selectorIlNS0_10empty_typeEEEZNS1_21merge_sort_block_sortIS3_PlS8_PS5_S9_ZN2at6native12_GLOBAL__N_124unique_dim_cuda_templateIiEESt5tupleIJNSA_6TensorESF_SF_EERKSF_lbbbEUlllE_EE10hipError_tT0_T1_T2_T3_mRjT4_P12ihipStream_tbNS1_7vsmem_tEEUlT_E_NS1_11comp_targetILNS1_3genE4ELNS1_11target_archE910ELNS1_3gpuE8ELNS1_3repE0EEENS1_30default_config_static_selectorELNS0_4arch9wavefront6targetE1EEEvSM_ ; -- Begin function _ZN7rocprim17ROCPRIM_400000_NS6detail17trampoline_kernelINS0_14default_configENS1_37merge_sort_block_sort_config_selectorIlNS0_10empty_typeEEEZNS1_21merge_sort_block_sortIS3_PlS8_PS5_S9_ZN2at6native12_GLOBAL__N_124unique_dim_cuda_templateIiEESt5tupleIJNSA_6TensorESF_SF_EERKSF_lbbbEUlllE_EE10hipError_tT0_T1_T2_T3_mRjT4_P12ihipStream_tbNS1_7vsmem_tEEUlT_E_NS1_11comp_targetILNS1_3genE4ELNS1_11target_archE910ELNS1_3gpuE8ELNS1_3repE0EEENS1_30default_config_static_selectorELNS0_4arch9wavefront6targetE1EEEvSM_
	.p2align	8
	.type	_ZN7rocprim17ROCPRIM_400000_NS6detail17trampoline_kernelINS0_14default_configENS1_37merge_sort_block_sort_config_selectorIlNS0_10empty_typeEEEZNS1_21merge_sort_block_sortIS3_PlS8_PS5_S9_ZN2at6native12_GLOBAL__N_124unique_dim_cuda_templateIiEESt5tupleIJNSA_6TensorESF_SF_EERKSF_lbbbEUlllE_EE10hipError_tT0_T1_T2_T3_mRjT4_P12ihipStream_tbNS1_7vsmem_tEEUlT_E_NS1_11comp_targetILNS1_3genE4ELNS1_11target_archE910ELNS1_3gpuE8ELNS1_3repE0EEENS1_30default_config_static_selectorELNS0_4arch9wavefront6targetE1EEEvSM_,@function
_ZN7rocprim17ROCPRIM_400000_NS6detail17trampoline_kernelINS0_14default_configENS1_37merge_sort_block_sort_config_selectorIlNS0_10empty_typeEEEZNS1_21merge_sort_block_sortIS3_PlS8_PS5_S9_ZN2at6native12_GLOBAL__N_124unique_dim_cuda_templateIiEESt5tupleIJNSA_6TensorESF_SF_EERKSF_lbbbEUlllE_EE10hipError_tT0_T1_T2_T3_mRjT4_P12ihipStream_tbNS1_7vsmem_tEEUlT_E_NS1_11comp_targetILNS1_3genE4ELNS1_11target_archE910ELNS1_3gpuE8ELNS1_3repE0EEENS1_30default_config_static_selectorELNS0_4arch9wavefront6targetE1EEEvSM_: ; @_ZN7rocprim17ROCPRIM_400000_NS6detail17trampoline_kernelINS0_14default_configENS1_37merge_sort_block_sort_config_selectorIlNS0_10empty_typeEEEZNS1_21merge_sort_block_sortIS3_PlS8_PS5_S9_ZN2at6native12_GLOBAL__N_124unique_dim_cuda_templateIiEESt5tupleIJNSA_6TensorESF_SF_EERKSF_lbbbEUlllE_EE10hipError_tT0_T1_T2_T3_mRjT4_P12ihipStream_tbNS1_7vsmem_tEEUlT_E_NS1_11comp_targetILNS1_3genE4ELNS1_11target_archE910ELNS1_3gpuE8ELNS1_3repE0EEENS1_30default_config_static_selectorELNS0_4arch9wavefront6targetE1EEEvSM_
; %bb.0:
	.section	.rodata,"a",@progbits
	.p2align	6, 0x0
	.amdhsa_kernel _ZN7rocprim17ROCPRIM_400000_NS6detail17trampoline_kernelINS0_14default_configENS1_37merge_sort_block_sort_config_selectorIlNS0_10empty_typeEEEZNS1_21merge_sort_block_sortIS3_PlS8_PS5_S9_ZN2at6native12_GLOBAL__N_124unique_dim_cuda_templateIiEESt5tupleIJNSA_6TensorESF_SF_EERKSF_lbbbEUlllE_EE10hipError_tT0_T1_T2_T3_mRjT4_P12ihipStream_tbNS1_7vsmem_tEEUlT_E_NS1_11comp_targetILNS1_3genE4ELNS1_11target_archE910ELNS1_3gpuE8ELNS1_3repE0EEENS1_30default_config_static_selectorELNS0_4arch9wavefront6targetE1EEEvSM_
		.amdhsa_group_segment_fixed_size 0
		.amdhsa_private_segment_fixed_size 0
		.amdhsa_kernarg_size 72
		.amdhsa_user_sgpr_count 2
		.amdhsa_user_sgpr_dispatch_ptr 0
		.amdhsa_user_sgpr_queue_ptr 0
		.amdhsa_user_sgpr_kernarg_segment_ptr 1
		.amdhsa_user_sgpr_dispatch_id 0
		.amdhsa_user_sgpr_kernarg_preload_length 0
		.amdhsa_user_sgpr_kernarg_preload_offset 0
		.amdhsa_user_sgpr_private_segment_size 0
		.amdhsa_uses_dynamic_stack 0
		.amdhsa_enable_private_segment 0
		.amdhsa_system_sgpr_workgroup_id_x 1
		.amdhsa_system_sgpr_workgroup_id_y 0
		.amdhsa_system_sgpr_workgroup_id_z 0
		.amdhsa_system_sgpr_workgroup_info 0
		.amdhsa_system_vgpr_workitem_id 0
		.amdhsa_next_free_vgpr 1
		.amdhsa_next_free_sgpr 0
		.amdhsa_accum_offset 4
		.amdhsa_reserve_vcc 0
		.amdhsa_float_round_mode_32 0
		.amdhsa_float_round_mode_16_64 0
		.amdhsa_float_denorm_mode_32 3
		.amdhsa_float_denorm_mode_16_64 3
		.amdhsa_dx10_clamp 1
		.amdhsa_ieee_mode 1
		.amdhsa_fp16_overflow 0
		.amdhsa_tg_split 0
		.amdhsa_exception_fp_ieee_invalid_op 0
		.amdhsa_exception_fp_denorm_src 0
		.amdhsa_exception_fp_ieee_div_zero 0
		.amdhsa_exception_fp_ieee_overflow 0
		.amdhsa_exception_fp_ieee_underflow 0
		.amdhsa_exception_fp_ieee_inexact 0
		.amdhsa_exception_int_div_zero 0
	.end_amdhsa_kernel
	.section	.text._ZN7rocprim17ROCPRIM_400000_NS6detail17trampoline_kernelINS0_14default_configENS1_37merge_sort_block_sort_config_selectorIlNS0_10empty_typeEEEZNS1_21merge_sort_block_sortIS3_PlS8_PS5_S9_ZN2at6native12_GLOBAL__N_124unique_dim_cuda_templateIiEESt5tupleIJNSA_6TensorESF_SF_EERKSF_lbbbEUlllE_EE10hipError_tT0_T1_T2_T3_mRjT4_P12ihipStream_tbNS1_7vsmem_tEEUlT_E_NS1_11comp_targetILNS1_3genE4ELNS1_11target_archE910ELNS1_3gpuE8ELNS1_3repE0EEENS1_30default_config_static_selectorELNS0_4arch9wavefront6targetE1EEEvSM_,"axG",@progbits,_ZN7rocprim17ROCPRIM_400000_NS6detail17trampoline_kernelINS0_14default_configENS1_37merge_sort_block_sort_config_selectorIlNS0_10empty_typeEEEZNS1_21merge_sort_block_sortIS3_PlS8_PS5_S9_ZN2at6native12_GLOBAL__N_124unique_dim_cuda_templateIiEESt5tupleIJNSA_6TensorESF_SF_EERKSF_lbbbEUlllE_EE10hipError_tT0_T1_T2_T3_mRjT4_P12ihipStream_tbNS1_7vsmem_tEEUlT_E_NS1_11comp_targetILNS1_3genE4ELNS1_11target_archE910ELNS1_3gpuE8ELNS1_3repE0EEENS1_30default_config_static_selectorELNS0_4arch9wavefront6targetE1EEEvSM_,comdat
.Lfunc_end385:
	.size	_ZN7rocprim17ROCPRIM_400000_NS6detail17trampoline_kernelINS0_14default_configENS1_37merge_sort_block_sort_config_selectorIlNS0_10empty_typeEEEZNS1_21merge_sort_block_sortIS3_PlS8_PS5_S9_ZN2at6native12_GLOBAL__N_124unique_dim_cuda_templateIiEESt5tupleIJNSA_6TensorESF_SF_EERKSF_lbbbEUlllE_EE10hipError_tT0_T1_T2_T3_mRjT4_P12ihipStream_tbNS1_7vsmem_tEEUlT_E_NS1_11comp_targetILNS1_3genE4ELNS1_11target_archE910ELNS1_3gpuE8ELNS1_3repE0EEENS1_30default_config_static_selectorELNS0_4arch9wavefront6targetE1EEEvSM_, .Lfunc_end385-_ZN7rocprim17ROCPRIM_400000_NS6detail17trampoline_kernelINS0_14default_configENS1_37merge_sort_block_sort_config_selectorIlNS0_10empty_typeEEEZNS1_21merge_sort_block_sortIS3_PlS8_PS5_S9_ZN2at6native12_GLOBAL__N_124unique_dim_cuda_templateIiEESt5tupleIJNSA_6TensorESF_SF_EERKSF_lbbbEUlllE_EE10hipError_tT0_T1_T2_T3_mRjT4_P12ihipStream_tbNS1_7vsmem_tEEUlT_E_NS1_11comp_targetILNS1_3genE4ELNS1_11target_archE910ELNS1_3gpuE8ELNS1_3repE0EEENS1_30default_config_static_selectorELNS0_4arch9wavefront6targetE1EEEvSM_
                                        ; -- End function
	.set _ZN7rocprim17ROCPRIM_400000_NS6detail17trampoline_kernelINS0_14default_configENS1_37merge_sort_block_sort_config_selectorIlNS0_10empty_typeEEEZNS1_21merge_sort_block_sortIS3_PlS8_PS5_S9_ZN2at6native12_GLOBAL__N_124unique_dim_cuda_templateIiEESt5tupleIJNSA_6TensorESF_SF_EERKSF_lbbbEUlllE_EE10hipError_tT0_T1_T2_T3_mRjT4_P12ihipStream_tbNS1_7vsmem_tEEUlT_E_NS1_11comp_targetILNS1_3genE4ELNS1_11target_archE910ELNS1_3gpuE8ELNS1_3repE0EEENS1_30default_config_static_selectorELNS0_4arch9wavefront6targetE1EEEvSM_.num_vgpr, 0
	.set _ZN7rocprim17ROCPRIM_400000_NS6detail17trampoline_kernelINS0_14default_configENS1_37merge_sort_block_sort_config_selectorIlNS0_10empty_typeEEEZNS1_21merge_sort_block_sortIS3_PlS8_PS5_S9_ZN2at6native12_GLOBAL__N_124unique_dim_cuda_templateIiEESt5tupleIJNSA_6TensorESF_SF_EERKSF_lbbbEUlllE_EE10hipError_tT0_T1_T2_T3_mRjT4_P12ihipStream_tbNS1_7vsmem_tEEUlT_E_NS1_11comp_targetILNS1_3genE4ELNS1_11target_archE910ELNS1_3gpuE8ELNS1_3repE0EEENS1_30default_config_static_selectorELNS0_4arch9wavefront6targetE1EEEvSM_.num_agpr, 0
	.set _ZN7rocprim17ROCPRIM_400000_NS6detail17trampoline_kernelINS0_14default_configENS1_37merge_sort_block_sort_config_selectorIlNS0_10empty_typeEEEZNS1_21merge_sort_block_sortIS3_PlS8_PS5_S9_ZN2at6native12_GLOBAL__N_124unique_dim_cuda_templateIiEESt5tupleIJNSA_6TensorESF_SF_EERKSF_lbbbEUlllE_EE10hipError_tT0_T1_T2_T3_mRjT4_P12ihipStream_tbNS1_7vsmem_tEEUlT_E_NS1_11comp_targetILNS1_3genE4ELNS1_11target_archE910ELNS1_3gpuE8ELNS1_3repE0EEENS1_30default_config_static_selectorELNS0_4arch9wavefront6targetE1EEEvSM_.numbered_sgpr, 0
	.set _ZN7rocprim17ROCPRIM_400000_NS6detail17trampoline_kernelINS0_14default_configENS1_37merge_sort_block_sort_config_selectorIlNS0_10empty_typeEEEZNS1_21merge_sort_block_sortIS3_PlS8_PS5_S9_ZN2at6native12_GLOBAL__N_124unique_dim_cuda_templateIiEESt5tupleIJNSA_6TensorESF_SF_EERKSF_lbbbEUlllE_EE10hipError_tT0_T1_T2_T3_mRjT4_P12ihipStream_tbNS1_7vsmem_tEEUlT_E_NS1_11comp_targetILNS1_3genE4ELNS1_11target_archE910ELNS1_3gpuE8ELNS1_3repE0EEENS1_30default_config_static_selectorELNS0_4arch9wavefront6targetE1EEEvSM_.num_named_barrier, 0
	.set _ZN7rocprim17ROCPRIM_400000_NS6detail17trampoline_kernelINS0_14default_configENS1_37merge_sort_block_sort_config_selectorIlNS0_10empty_typeEEEZNS1_21merge_sort_block_sortIS3_PlS8_PS5_S9_ZN2at6native12_GLOBAL__N_124unique_dim_cuda_templateIiEESt5tupleIJNSA_6TensorESF_SF_EERKSF_lbbbEUlllE_EE10hipError_tT0_T1_T2_T3_mRjT4_P12ihipStream_tbNS1_7vsmem_tEEUlT_E_NS1_11comp_targetILNS1_3genE4ELNS1_11target_archE910ELNS1_3gpuE8ELNS1_3repE0EEENS1_30default_config_static_selectorELNS0_4arch9wavefront6targetE1EEEvSM_.private_seg_size, 0
	.set _ZN7rocprim17ROCPRIM_400000_NS6detail17trampoline_kernelINS0_14default_configENS1_37merge_sort_block_sort_config_selectorIlNS0_10empty_typeEEEZNS1_21merge_sort_block_sortIS3_PlS8_PS5_S9_ZN2at6native12_GLOBAL__N_124unique_dim_cuda_templateIiEESt5tupleIJNSA_6TensorESF_SF_EERKSF_lbbbEUlllE_EE10hipError_tT0_T1_T2_T3_mRjT4_P12ihipStream_tbNS1_7vsmem_tEEUlT_E_NS1_11comp_targetILNS1_3genE4ELNS1_11target_archE910ELNS1_3gpuE8ELNS1_3repE0EEENS1_30default_config_static_selectorELNS0_4arch9wavefront6targetE1EEEvSM_.uses_vcc, 0
	.set _ZN7rocprim17ROCPRIM_400000_NS6detail17trampoline_kernelINS0_14default_configENS1_37merge_sort_block_sort_config_selectorIlNS0_10empty_typeEEEZNS1_21merge_sort_block_sortIS3_PlS8_PS5_S9_ZN2at6native12_GLOBAL__N_124unique_dim_cuda_templateIiEESt5tupleIJNSA_6TensorESF_SF_EERKSF_lbbbEUlllE_EE10hipError_tT0_T1_T2_T3_mRjT4_P12ihipStream_tbNS1_7vsmem_tEEUlT_E_NS1_11comp_targetILNS1_3genE4ELNS1_11target_archE910ELNS1_3gpuE8ELNS1_3repE0EEENS1_30default_config_static_selectorELNS0_4arch9wavefront6targetE1EEEvSM_.uses_flat_scratch, 0
	.set _ZN7rocprim17ROCPRIM_400000_NS6detail17trampoline_kernelINS0_14default_configENS1_37merge_sort_block_sort_config_selectorIlNS0_10empty_typeEEEZNS1_21merge_sort_block_sortIS3_PlS8_PS5_S9_ZN2at6native12_GLOBAL__N_124unique_dim_cuda_templateIiEESt5tupleIJNSA_6TensorESF_SF_EERKSF_lbbbEUlllE_EE10hipError_tT0_T1_T2_T3_mRjT4_P12ihipStream_tbNS1_7vsmem_tEEUlT_E_NS1_11comp_targetILNS1_3genE4ELNS1_11target_archE910ELNS1_3gpuE8ELNS1_3repE0EEENS1_30default_config_static_selectorELNS0_4arch9wavefront6targetE1EEEvSM_.has_dyn_sized_stack, 0
	.set _ZN7rocprim17ROCPRIM_400000_NS6detail17trampoline_kernelINS0_14default_configENS1_37merge_sort_block_sort_config_selectorIlNS0_10empty_typeEEEZNS1_21merge_sort_block_sortIS3_PlS8_PS5_S9_ZN2at6native12_GLOBAL__N_124unique_dim_cuda_templateIiEESt5tupleIJNSA_6TensorESF_SF_EERKSF_lbbbEUlllE_EE10hipError_tT0_T1_T2_T3_mRjT4_P12ihipStream_tbNS1_7vsmem_tEEUlT_E_NS1_11comp_targetILNS1_3genE4ELNS1_11target_archE910ELNS1_3gpuE8ELNS1_3repE0EEENS1_30default_config_static_selectorELNS0_4arch9wavefront6targetE1EEEvSM_.has_recursion, 0
	.set _ZN7rocprim17ROCPRIM_400000_NS6detail17trampoline_kernelINS0_14default_configENS1_37merge_sort_block_sort_config_selectorIlNS0_10empty_typeEEEZNS1_21merge_sort_block_sortIS3_PlS8_PS5_S9_ZN2at6native12_GLOBAL__N_124unique_dim_cuda_templateIiEESt5tupleIJNSA_6TensorESF_SF_EERKSF_lbbbEUlllE_EE10hipError_tT0_T1_T2_T3_mRjT4_P12ihipStream_tbNS1_7vsmem_tEEUlT_E_NS1_11comp_targetILNS1_3genE4ELNS1_11target_archE910ELNS1_3gpuE8ELNS1_3repE0EEENS1_30default_config_static_selectorELNS0_4arch9wavefront6targetE1EEEvSM_.has_indirect_call, 0
	.section	.AMDGPU.csdata,"",@progbits
; Kernel info:
; codeLenInByte = 0
; TotalNumSgprs: 6
; NumVgprs: 0
; NumAgprs: 0
; TotalNumVgprs: 0
; ScratchSize: 0
; MemoryBound: 0
; FloatMode: 240
; IeeeMode: 1
; LDSByteSize: 0 bytes/workgroup (compile time only)
; SGPRBlocks: 0
; VGPRBlocks: 0
; NumSGPRsForWavesPerEU: 6
; NumVGPRsForWavesPerEU: 1
; AccumOffset: 4
; Occupancy: 8
; WaveLimiterHint : 0
; COMPUTE_PGM_RSRC2:SCRATCH_EN: 0
; COMPUTE_PGM_RSRC2:USER_SGPR: 2
; COMPUTE_PGM_RSRC2:TRAP_HANDLER: 0
; COMPUTE_PGM_RSRC2:TGID_X_EN: 1
; COMPUTE_PGM_RSRC2:TGID_Y_EN: 0
; COMPUTE_PGM_RSRC2:TGID_Z_EN: 0
; COMPUTE_PGM_RSRC2:TIDIG_COMP_CNT: 0
; COMPUTE_PGM_RSRC3_GFX90A:ACCUM_OFFSET: 0
; COMPUTE_PGM_RSRC3_GFX90A:TG_SPLIT: 0
	.section	.text._ZN7rocprim17ROCPRIM_400000_NS6detail17trampoline_kernelINS0_14default_configENS1_37merge_sort_block_sort_config_selectorIlNS0_10empty_typeEEEZNS1_21merge_sort_block_sortIS3_PlS8_PS5_S9_ZN2at6native12_GLOBAL__N_124unique_dim_cuda_templateIiEESt5tupleIJNSA_6TensorESF_SF_EERKSF_lbbbEUlllE_EE10hipError_tT0_T1_T2_T3_mRjT4_P12ihipStream_tbNS1_7vsmem_tEEUlT_E_NS1_11comp_targetILNS1_3genE3ELNS1_11target_archE908ELNS1_3gpuE7ELNS1_3repE0EEENS1_30default_config_static_selectorELNS0_4arch9wavefront6targetE1EEEvSM_,"axG",@progbits,_ZN7rocprim17ROCPRIM_400000_NS6detail17trampoline_kernelINS0_14default_configENS1_37merge_sort_block_sort_config_selectorIlNS0_10empty_typeEEEZNS1_21merge_sort_block_sortIS3_PlS8_PS5_S9_ZN2at6native12_GLOBAL__N_124unique_dim_cuda_templateIiEESt5tupleIJNSA_6TensorESF_SF_EERKSF_lbbbEUlllE_EE10hipError_tT0_T1_T2_T3_mRjT4_P12ihipStream_tbNS1_7vsmem_tEEUlT_E_NS1_11comp_targetILNS1_3genE3ELNS1_11target_archE908ELNS1_3gpuE7ELNS1_3repE0EEENS1_30default_config_static_selectorELNS0_4arch9wavefront6targetE1EEEvSM_,comdat
	.globl	_ZN7rocprim17ROCPRIM_400000_NS6detail17trampoline_kernelINS0_14default_configENS1_37merge_sort_block_sort_config_selectorIlNS0_10empty_typeEEEZNS1_21merge_sort_block_sortIS3_PlS8_PS5_S9_ZN2at6native12_GLOBAL__N_124unique_dim_cuda_templateIiEESt5tupleIJNSA_6TensorESF_SF_EERKSF_lbbbEUlllE_EE10hipError_tT0_T1_T2_T3_mRjT4_P12ihipStream_tbNS1_7vsmem_tEEUlT_E_NS1_11comp_targetILNS1_3genE3ELNS1_11target_archE908ELNS1_3gpuE7ELNS1_3repE0EEENS1_30default_config_static_selectorELNS0_4arch9wavefront6targetE1EEEvSM_ ; -- Begin function _ZN7rocprim17ROCPRIM_400000_NS6detail17trampoline_kernelINS0_14default_configENS1_37merge_sort_block_sort_config_selectorIlNS0_10empty_typeEEEZNS1_21merge_sort_block_sortIS3_PlS8_PS5_S9_ZN2at6native12_GLOBAL__N_124unique_dim_cuda_templateIiEESt5tupleIJNSA_6TensorESF_SF_EERKSF_lbbbEUlllE_EE10hipError_tT0_T1_T2_T3_mRjT4_P12ihipStream_tbNS1_7vsmem_tEEUlT_E_NS1_11comp_targetILNS1_3genE3ELNS1_11target_archE908ELNS1_3gpuE7ELNS1_3repE0EEENS1_30default_config_static_selectorELNS0_4arch9wavefront6targetE1EEEvSM_
	.p2align	8
	.type	_ZN7rocprim17ROCPRIM_400000_NS6detail17trampoline_kernelINS0_14default_configENS1_37merge_sort_block_sort_config_selectorIlNS0_10empty_typeEEEZNS1_21merge_sort_block_sortIS3_PlS8_PS5_S9_ZN2at6native12_GLOBAL__N_124unique_dim_cuda_templateIiEESt5tupleIJNSA_6TensorESF_SF_EERKSF_lbbbEUlllE_EE10hipError_tT0_T1_T2_T3_mRjT4_P12ihipStream_tbNS1_7vsmem_tEEUlT_E_NS1_11comp_targetILNS1_3genE3ELNS1_11target_archE908ELNS1_3gpuE7ELNS1_3repE0EEENS1_30default_config_static_selectorELNS0_4arch9wavefront6targetE1EEEvSM_,@function
_ZN7rocprim17ROCPRIM_400000_NS6detail17trampoline_kernelINS0_14default_configENS1_37merge_sort_block_sort_config_selectorIlNS0_10empty_typeEEEZNS1_21merge_sort_block_sortIS3_PlS8_PS5_S9_ZN2at6native12_GLOBAL__N_124unique_dim_cuda_templateIiEESt5tupleIJNSA_6TensorESF_SF_EERKSF_lbbbEUlllE_EE10hipError_tT0_T1_T2_T3_mRjT4_P12ihipStream_tbNS1_7vsmem_tEEUlT_E_NS1_11comp_targetILNS1_3genE3ELNS1_11target_archE908ELNS1_3gpuE7ELNS1_3repE0EEENS1_30default_config_static_selectorELNS0_4arch9wavefront6targetE1EEEvSM_: ; @_ZN7rocprim17ROCPRIM_400000_NS6detail17trampoline_kernelINS0_14default_configENS1_37merge_sort_block_sort_config_selectorIlNS0_10empty_typeEEEZNS1_21merge_sort_block_sortIS3_PlS8_PS5_S9_ZN2at6native12_GLOBAL__N_124unique_dim_cuda_templateIiEESt5tupleIJNSA_6TensorESF_SF_EERKSF_lbbbEUlllE_EE10hipError_tT0_T1_T2_T3_mRjT4_P12ihipStream_tbNS1_7vsmem_tEEUlT_E_NS1_11comp_targetILNS1_3genE3ELNS1_11target_archE908ELNS1_3gpuE7ELNS1_3repE0EEENS1_30default_config_static_selectorELNS0_4arch9wavefront6targetE1EEEvSM_
; %bb.0:
	.section	.rodata,"a",@progbits
	.p2align	6, 0x0
	.amdhsa_kernel _ZN7rocprim17ROCPRIM_400000_NS6detail17trampoline_kernelINS0_14default_configENS1_37merge_sort_block_sort_config_selectorIlNS0_10empty_typeEEEZNS1_21merge_sort_block_sortIS3_PlS8_PS5_S9_ZN2at6native12_GLOBAL__N_124unique_dim_cuda_templateIiEESt5tupleIJNSA_6TensorESF_SF_EERKSF_lbbbEUlllE_EE10hipError_tT0_T1_T2_T3_mRjT4_P12ihipStream_tbNS1_7vsmem_tEEUlT_E_NS1_11comp_targetILNS1_3genE3ELNS1_11target_archE908ELNS1_3gpuE7ELNS1_3repE0EEENS1_30default_config_static_selectorELNS0_4arch9wavefront6targetE1EEEvSM_
		.amdhsa_group_segment_fixed_size 0
		.amdhsa_private_segment_fixed_size 0
		.amdhsa_kernarg_size 72
		.amdhsa_user_sgpr_count 2
		.amdhsa_user_sgpr_dispatch_ptr 0
		.amdhsa_user_sgpr_queue_ptr 0
		.amdhsa_user_sgpr_kernarg_segment_ptr 1
		.amdhsa_user_sgpr_dispatch_id 0
		.amdhsa_user_sgpr_kernarg_preload_length 0
		.amdhsa_user_sgpr_kernarg_preload_offset 0
		.amdhsa_user_sgpr_private_segment_size 0
		.amdhsa_uses_dynamic_stack 0
		.amdhsa_enable_private_segment 0
		.amdhsa_system_sgpr_workgroup_id_x 1
		.amdhsa_system_sgpr_workgroup_id_y 0
		.amdhsa_system_sgpr_workgroup_id_z 0
		.amdhsa_system_sgpr_workgroup_info 0
		.amdhsa_system_vgpr_workitem_id 0
		.amdhsa_next_free_vgpr 1
		.amdhsa_next_free_sgpr 0
		.amdhsa_accum_offset 4
		.amdhsa_reserve_vcc 0
		.amdhsa_float_round_mode_32 0
		.amdhsa_float_round_mode_16_64 0
		.amdhsa_float_denorm_mode_32 3
		.amdhsa_float_denorm_mode_16_64 3
		.amdhsa_dx10_clamp 1
		.amdhsa_ieee_mode 1
		.amdhsa_fp16_overflow 0
		.amdhsa_tg_split 0
		.amdhsa_exception_fp_ieee_invalid_op 0
		.amdhsa_exception_fp_denorm_src 0
		.amdhsa_exception_fp_ieee_div_zero 0
		.amdhsa_exception_fp_ieee_overflow 0
		.amdhsa_exception_fp_ieee_underflow 0
		.amdhsa_exception_fp_ieee_inexact 0
		.amdhsa_exception_int_div_zero 0
	.end_amdhsa_kernel
	.section	.text._ZN7rocprim17ROCPRIM_400000_NS6detail17trampoline_kernelINS0_14default_configENS1_37merge_sort_block_sort_config_selectorIlNS0_10empty_typeEEEZNS1_21merge_sort_block_sortIS3_PlS8_PS5_S9_ZN2at6native12_GLOBAL__N_124unique_dim_cuda_templateIiEESt5tupleIJNSA_6TensorESF_SF_EERKSF_lbbbEUlllE_EE10hipError_tT0_T1_T2_T3_mRjT4_P12ihipStream_tbNS1_7vsmem_tEEUlT_E_NS1_11comp_targetILNS1_3genE3ELNS1_11target_archE908ELNS1_3gpuE7ELNS1_3repE0EEENS1_30default_config_static_selectorELNS0_4arch9wavefront6targetE1EEEvSM_,"axG",@progbits,_ZN7rocprim17ROCPRIM_400000_NS6detail17trampoline_kernelINS0_14default_configENS1_37merge_sort_block_sort_config_selectorIlNS0_10empty_typeEEEZNS1_21merge_sort_block_sortIS3_PlS8_PS5_S9_ZN2at6native12_GLOBAL__N_124unique_dim_cuda_templateIiEESt5tupleIJNSA_6TensorESF_SF_EERKSF_lbbbEUlllE_EE10hipError_tT0_T1_T2_T3_mRjT4_P12ihipStream_tbNS1_7vsmem_tEEUlT_E_NS1_11comp_targetILNS1_3genE3ELNS1_11target_archE908ELNS1_3gpuE7ELNS1_3repE0EEENS1_30default_config_static_selectorELNS0_4arch9wavefront6targetE1EEEvSM_,comdat
.Lfunc_end386:
	.size	_ZN7rocprim17ROCPRIM_400000_NS6detail17trampoline_kernelINS0_14default_configENS1_37merge_sort_block_sort_config_selectorIlNS0_10empty_typeEEEZNS1_21merge_sort_block_sortIS3_PlS8_PS5_S9_ZN2at6native12_GLOBAL__N_124unique_dim_cuda_templateIiEESt5tupleIJNSA_6TensorESF_SF_EERKSF_lbbbEUlllE_EE10hipError_tT0_T1_T2_T3_mRjT4_P12ihipStream_tbNS1_7vsmem_tEEUlT_E_NS1_11comp_targetILNS1_3genE3ELNS1_11target_archE908ELNS1_3gpuE7ELNS1_3repE0EEENS1_30default_config_static_selectorELNS0_4arch9wavefront6targetE1EEEvSM_, .Lfunc_end386-_ZN7rocprim17ROCPRIM_400000_NS6detail17trampoline_kernelINS0_14default_configENS1_37merge_sort_block_sort_config_selectorIlNS0_10empty_typeEEEZNS1_21merge_sort_block_sortIS3_PlS8_PS5_S9_ZN2at6native12_GLOBAL__N_124unique_dim_cuda_templateIiEESt5tupleIJNSA_6TensorESF_SF_EERKSF_lbbbEUlllE_EE10hipError_tT0_T1_T2_T3_mRjT4_P12ihipStream_tbNS1_7vsmem_tEEUlT_E_NS1_11comp_targetILNS1_3genE3ELNS1_11target_archE908ELNS1_3gpuE7ELNS1_3repE0EEENS1_30default_config_static_selectorELNS0_4arch9wavefront6targetE1EEEvSM_
                                        ; -- End function
	.set _ZN7rocprim17ROCPRIM_400000_NS6detail17trampoline_kernelINS0_14default_configENS1_37merge_sort_block_sort_config_selectorIlNS0_10empty_typeEEEZNS1_21merge_sort_block_sortIS3_PlS8_PS5_S9_ZN2at6native12_GLOBAL__N_124unique_dim_cuda_templateIiEESt5tupleIJNSA_6TensorESF_SF_EERKSF_lbbbEUlllE_EE10hipError_tT0_T1_T2_T3_mRjT4_P12ihipStream_tbNS1_7vsmem_tEEUlT_E_NS1_11comp_targetILNS1_3genE3ELNS1_11target_archE908ELNS1_3gpuE7ELNS1_3repE0EEENS1_30default_config_static_selectorELNS0_4arch9wavefront6targetE1EEEvSM_.num_vgpr, 0
	.set _ZN7rocprim17ROCPRIM_400000_NS6detail17trampoline_kernelINS0_14default_configENS1_37merge_sort_block_sort_config_selectorIlNS0_10empty_typeEEEZNS1_21merge_sort_block_sortIS3_PlS8_PS5_S9_ZN2at6native12_GLOBAL__N_124unique_dim_cuda_templateIiEESt5tupleIJNSA_6TensorESF_SF_EERKSF_lbbbEUlllE_EE10hipError_tT0_T1_T2_T3_mRjT4_P12ihipStream_tbNS1_7vsmem_tEEUlT_E_NS1_11comp_targetILNS1_3genE3ELNS1_11target_archE908ELNS1_3gpuE7ELNS1_3repE0EEENS1_30default_config_static_selectorELNS0_4arch9wavefront6targetE1EEEvSM_.num_agpr, 0
	.set _ZN7rocprim17ROCPRIM_400000_NS6detail17trampoline_kernelINS0_14default_configENS1_37merge_sort_block_sort_config_selectorIlNS0_10empty_typeEEEZNS1_21merge_sort_block_sortIS3_PlS8_PS5_S9_ZN2at6native12_GLOBAL__N_124unique_dim_cuda_templateIiEESt5tupleIJNSA_6TensorESF_SF_EERKSF_lbbbEUlllE_EE10hipError_tT0_T1_T2_T3_mRjT4_P12ihipStream_tbNS1_7vsmem_tEEUlT_E_NS1_11comp_targetILNS1_3genE3ELNS1_11target_archE908ELNS1_3gpuE7ELNS1_3repE0EEENS1_30default_config_static_selectorELNS0_4arch9wavefront6targetE1EEEvSM_.numbered_sgpr, 0
	.set _ZN7rocprim17ROCPRIM_400000_NS6detail17trampoline_kernelINS0_14default_configENS1_37merge_sort_block_sort_config_selectorIlNS0_10empty_typeEEEZNS1_21merge_sort_block_sortIS3_PlS8_PS5_S9_ZN2at6native12_GLOBAL__N_124unique_dim_cuda_templateIiEESt5tupleIJNSA_6TensorESF_SF_EERKSF_lbbbEUlllE_EE10hipError_tT0_T1_T2_T3_mRjT4_P12ihipStream_tbNS1_7vsmem_tEEUlT_E_NS1_11comp_targetILNS1_3genE3ELNS1_11target_archE908ELNS1_3gpuE7ELNS1_3repE0EEENS1_30default_config_static_selectorELNS0_4arch9wavefront6targetE1EEEvSM_.num_named_barrier, 0
	.set _ZN7rocprim17ROCPRIM_400000_NS6detail17trampoline_kernelINS0_14default_configENS1_37merge_sort_block_sort_config_selectorIlNS0_10empty_typeEEEZNS1_21merge_sort_block_sortIS3_PlS8_PS5_S9_ZN2at6native12_GLOBAL__N_124unique_dim_cuda_templateIiEESt5tupleIJNSA_6TensorESF_SF_EERKSF_lbbbEUlllE_EE10hipError_tT0_T1_T2_T3_mRjT4_P12ihipStream_tbNS1_7vsmem_tEEUlT_E_NS1_11comp_targetILNS1_3genE3ELNS1_11target_archE908ELNS1_3gpuE7ELNS1_3repE0EEENS1_30default_config_static_selectorELNS0_4arch9wavefront6targetE1EEEvSM_.private_seg_size, 0
	.set _ZN7rocprim17ROCPRIM_400000_NS6detail17trampoline_kernelINS0_14default_configENS1_37merge_sort_block_sort_config_selectorIlNS0_10empty_typeEEEZNS1_21merge_sort_block_sortIS3_PlS8_PS5_S9_ZN2at6native12_GLOBAL__N_124unique_dim_cuda_templateIiEESt5tupleIJNSA_6TensorESF_SF_EERKSF_lbbbEUlllE_EE10hipError_tT0_T1_T2_T3_mRjT4_P12ihipStream_tbNS1_7vsmem_tEEUlT_E_NS1_11comp_targetILNS1_3genE3ELNS1_11target_archE908ELNS1_3gpuE7ELNS1_3repE0EEENS1_30default_config_static_selectorELNS0_4arch9wavefront6targetE1EEEvSM_.uses_vcc, 0
	.set _ZN7rocprim17ROCPRIM_400000_NS6detail17trampoline_kernelINS0_14default_configENS1_37merge_sort_block_sort_config_selectorIlNS0_10empty_typeEEEZNS1_21merge_sort_block_sortIS3_PlS8_PS5_S9_ZN2at6native12_GLOBAL__N_124unique_dim_cuda_templateIiEESt5tupleIJNSA_6TensorESF_SF_EERKSF_lbbbEUlllE_EE10hipError_tT0_T1_T2_T3_mRjT4_P12ihipStream_tbNS1_7vsmem_tEEUlT_E_NS1_11comp_targetILNS1_3genE3ELNS1_11target_archE908ELNS1_3gpuE7ELNS1_3repE0EEENS1_30default_config_static_selectorELNS0_4arch9wavefront6targetE1EEEvSM_.uses_flat_scratch, 0
	.set _ZN7rocprim17ROCPRIM_400000_NS6detail17trampoline_kernelINS0_14default_configENS1_37merge_sort_block_sort_config_selectorIlNS0_10empty_typeEEEZNS1_21merge_sort_block_sortIS3_PlS8_PS5_S9_ZN2at6native12_GLOBAL__N_124unique_dim_cuda_templateIiEESt5tupleIJNSA_6TensorESF_SF_EERKSF_lbbbEUlllE_EE10hipError_tT0_T1_T2_T3_mRjT4_P12ihipStream_tbNS1_7vsmem_tEEUlT_E_NS1_11comp_targetILNS1_3genE3ELNS1_11target_archE908ELNS1_3gpuE7ELNS1_3repE0EEENS1_30default_config_static_selectorELNS0_4arch9wavefront6targetE1EEEvSM_.has_dyn_sized_stack, 0
	.set _ZN7rocprim17ROCPRIM_400000_NS6detail17trampoline_kernelINS0_14default_configENS1_37merge_sort_block_sort_config_selectorIlNS0_10empty_typeEEEZNS1_21merge_sort_block_sortIS3_PlS8_PS5_S9_ZN2at6native12_GLOBAL__N_124unique_dim_cuda_templateIiEESt5tupleIJNSA_6TensorESF_SF_EERKSF_lbbbEUlllE_EE10hipError_tT0_T1_T2_T3_mRjT4_P12ihipStream_tbNS1_7vsmem_tEEUlT_E_NS1_11comp_targetILNS1_3genE3ELNS1_11target_archE908ELNS1_3gpuE7ELNS1_3repE0EEENS1_30default_config_static_selectorELNS0_4arch9wavefront6targetE1EEEvSM_.has_recursion, 0
	.set _ZN7rocprim17ROCPRIM_400000_NS6detail17trampoline_kernelINS0_14default_configENS1_37merge_sort_block_sort_config_selectorIlNS0_10empty_typeEEEZNS1_21merge_sort_block_sortIS3_PlS8_PS5_S9_ZN2at6native12_GLOBAL__N_124unique_dim_cuda_templateIiEESt5tupleIJNSA_6TensorESF_SF_EERKSF_lbbbEUlllE_EE10hipError_tT0_T1_T2_T3_mRjT4_P12ihipStream_tbNS1_7vsmem_tEEUlT_E_NS1_11comp_targetILNS1_3genE3ELNS1_11target_archE908ELNS1_3gpuE7ELNS1_3repE0EEENS1_30default_config_static_selectorELNS0_4arch9wavefront6targetE1EEEvSM_.has_indirect_call, 0
	.section	.AMDGPU.csdata,"",@progbits
; Kernel info:
; codeLenInByte = 0
; TotalNumSgprs: 6
; NumVgprs: 0
; NumAgprs: 0
; TotalNumVgprs: 0
; ScratchSize: 0
; MemoryBound: 0
; FloatMode: 240
; IeeeMode: 1
; LDSByteSize: 0 bytes/workgroup (compile time only)
; SGPRBlocks: 0
; VGPRBlocks: 0
; NumSGPRsForWavesPerEU: 6
; NumVGPRsForWavesPerEU: 1
; AccumOffset: 4
; Occupancy: 8
; WaveLimiterHint : 0
; COMPUTE_PGM_RSRC2:SCRATCH_EN: 0
; COMPUTE_PGM_RSRC2:USER_SGPR: 2
; COMPUTE_PGM_RSRC2:TRAP_HANDLER: 0
; COMPUTE_PGM_RSRC2:TGID_X_EN: 1
; COMPUTE_PGM_RSRC2:TGID_Y_EN: 0
; COMPUTE_PGM_RSRC2:TGID_Z_EN: 0
; COMPUTE_PGM_RSRC2:TIDIG_COMP_CNT: 0
; COMPUTE_PGM_RSRC3_GFX90A:ACCUM_OFFSET: 0
; COMPUTE_PGM_RSRC3_GFX90A:TG_SPLIT: 0
	.section	.text._ZN7rocprim17ROCPRIM_400000_NS6detail17trampoline_kernelINS0_14default_configENS1_37merge_sort_block_sort_config_selectorIlNS0_10empty_typeEEEZNS1_21merge_sort_block_sortIS3_PlS8_PS5_S9_ZN2at6native12_GLOBAL__N_124unique_dim_cuda_templateIiEESt5tupleIJNSA_6TensorESF_SF_EERKSF_lbbbEUlllE_EE10hipError_tT0_T1_T2_T3_mRjT4_P12ihipStream_tbNS1_7vsmem_tEEUlT_E_NS1_11comp_targetILNS1_3genE2ELNS1_11target_archE906ELNS1_3gpuE6ELNS1_3repE0EEENS1_30default_config_static_selectorELNS0_4arch9wavefront6targetE1EEEvSM_,"axG",@progbits,_ZN7rocprim17ROCPRIM_400000_NS6detail17trampoline_kernelINS0_14default_configENS1_37merge_sort_block_sort_config_selectorIlNS0_10empty_typeEEEZNS1_21merge_sort_block_sortIS3_PlS8_PS5_S9_ZN2at6native12_GLOBAL__N_124unique_dim_cuda_templateIiEESt5tupleIJNSA_6TensorESF_SF_EERKSF_lbbbEUlllE_EE10hipError_tT0_T1_T2_T3_mRjT4_P12ihipStream_tbNS1_7vsmem_tEEUlT_E_NS1_11comp_targetILNS1_3genE2ELNS1_11target_archE906ELNS1_3gpuE6ELNS1_3repE0EEENS1_30default_config_static_selectorELNS0_4arch9wavefront6targetE1EEEvSM_,comdat
	.globl	_ZN7rocprim17ROCPRIM_400000_NS6detail17trampoline_kernelINS0_14default_configENS1_37merge_sort_block_sort_config_selectorIlNS0_10empty_typeEEEZNS1_21merge_sort_block_sortIS3_PlS8_PS5_S9_ZN2at6native12_GLOBAL__N_124unique_dim_cuda_templateIiEESt5tupleIJNSA_6TensorESF_SF_EERKSF_lbbbEUlllE_EE10hipError_tT0_T1_T2_T3_mRjT4_P12ihipStream_tbNS1_7vsmem_tEEUlT_E_NS1_11comp_targetILNS1_3genE2ELNS1_11target_archE906ELNS1_3gpuE6ELNS1_3repE0EEENS1_30default_config_static_selectorELNS0_4arch9wavefront6targetE1EEEvSM_ ; -- Begin function _ZN7rocprim17ROCPRIM_400000_NS6detail17trampoline_kernelINS0_14default_configENS1_37merge_sort_block_sort_config_selectorIlNS0_10empty_typeEEEZNS1_21merge_sort_block_sortIS3_PlS8_PS5_S9_ZN2at6native12_GLOBAL__N_124unique_dim_cuda_templateIiEESt5tupleIJNSA_6TensorESF_SF_EERKSF_lbbbEUlllE_EE10hipError_tT0_T1_T2_T3_mRjT4_P12ihipStream_tbNS1_7vsmem_tEEUlT_E_NS1_11comp_targetILNS1_3genE2ELNS1_11target_archE906ELNS1_3gpuE6ELNS1_3repE0EEENS1_30default_config_static_selectorELNS0_4arch9wavefront6targetE1EEEvSM_
	.p2align	8
	.type	_ZN7rocprim17ROCPRIM_400000_NS6detail17trampoline_kernelINS0_14default_configENS1_37merge_sort_block_sort_config_selectorIlNS0_10empty_typeEEEZNS1_21merge_sort_block_sortIS3_PlS8_PS5_S9_ZN2at6native12_GLOBAL__N_124unique_dim_cuda_templateIiEESt5tupleIJNSA_6TensorESF_SF_EERKSF_lbbbEUlllE_EE10hipError_tT0_T1_T2_T3_mRjT4_P12ihipStream_tbNS1_7vsmem_tEEUlT_E_NS1_11comp_targetILNS1_3genE2ELNS1_11target_archE906ELNS1_3gpuE6ELNS1_3repE0EEENS1_30default_config_static_selectorELNS0_4arch9wavefront6targetE1EEEvSM_,@function
_ZN7rocprim17ROCPRIM_400000_NS6detail17trampoline_kernelINS0_14default_configENS1_37merge_sort_block_sort_config_selectorIlNS0_10empty_typeEEEZNS1_21merge_sort_block_sortIS3_PlS8_PS5_S9_ZN2at6native12_GLOBAL__N_124unique_dim_cuda_templateIiEESt5tupleIJNSA_6TensorESF_SF_EERKSF_lbbbEUlllE_EE10hipError_tT0_T1_T2_T3_mRjT4_P12ihipStream_tbNS1_7vsmem_tEEUlT_E_NS1_11comp_targetILNS1_3genE2ELNS1_11target_archE906ELNS1_3gpuE6ELNS1_3repE0EEENS1_30default_config_static_selectorELNS0_4arch9wavefront6targetE1EEEvSM_: ; @_ZN7rocprim17ROCPRIM_400000_NS6detail17trampoline_kernelINS0_14default_configENS1_37merge_sort_block_sort_config_selectorIlNS0_10empty_typeEEEZNS1_21merge_sort_block_sortIS3_PlS8_PS5_S9_ZN2at6native12_GLOBAL__N_124unique_dim_cuda_templateIiEESt5tupleIJNSA_6TensorESF_SF_EERKSF_lbbbEUlllE_EE10hipError_tT0_T1_T2_T3_mRjT4_P12ihipStream_tbNS1_7vsmem_tEEUlT_E_NS1_11comp_targetILNS1_3genE2ELNS1_11target_archE906ELNS1_3gpuE6ELNS1_3repE0EEENS1_30default_config_static_selectorELNS0_4arch9wavefront6targetE1EEEvSM_
; %bb.0:
	.section	.rodata,"a",@progbits
	.p2align	6, 0x0
	.amdhsa_kernel _ZN7rocprim17ROCPRIM_400000_NS6detail17trampoline_kernelINS0_14default_configENS1_37merge_sort_block_sort_config_selectorIlNS0_10empty_typeEEEZNS1_21merge_sort_block_sortIS3_PlS8_PS5_S9_ZN2at6native12_GLOBAL__N_124unique_dim_cuda_templateIiEESt5tupleIJNSA_6TensorESF_SF_EERKSF_lbbbEUlllE_EE10hipError_tT0_T1_T2_T3_mRjT4_P12ihipStream_tbNS1_7vsmem_tEEUlT_E_NS1_11comp_targetILNS1_3genE2ELNS1_11target_archE906ELNS1_3gpuE6ELNS1_3repE0EEENS1_30default_config_static_selectorELNS0_4arch9wavefront6targetE1EEEvSM_
		.amdhsa_group_segment_fixed_size 0
		.amdhsa_private_segment_fixed_size 0
		.amdhsa_kernarg_size 72
		.amdhsa_user_sgpr_count 2
		.amdhsa_user_sgpr_dispatch_ptr 0
		.amdhsa_user_sgpr_queue_ptr 0
		.amdhsa_user_sgpr_kernarg_segment_ptr 1
		.amdhsa_user_sgpr_dispatch_id 0
		.amdhsa_user_sgpr_kernarg_preload_length 0
		.amdhsa_user_sgpr_kernarg_preload_offset 0
		.amdhsa_user_sgpr_private_segment_size 0
		.amdhsa_uses_dynamic_stack 0
		.amdhsa_enable_private_segment 0
		.amdhsa_system_sgpr_workgroup_id_x 1
		.amdhsa_system_sgpr_workgroup_id_y 0
		.amdhsa_system_sgpr_workgroup_id_z 0
		.amdhsa_system_sgpr_workgroup_info 0
		.amdhsa_system_vgpr_workitem_id 0
		.amdhsa_next_free_vgpr 1
		.amdhsa_next_free_sgpr 0
		.amdhsa_accum_offset 4
		.amdhsa_reserve_vcc 0
		.amdhsa_float_round_mode_32 0
		.amdhsa_float_round_mode_16_64 0
		.amdhsa_float_denorm_mode_32 3
		.amdhsa_float_denorm_mode_16_64 3
		.amdhsa_dx10_clamp 1
		.amdhsa_ieee_mode 1
		.amdhsa_fp16_overflow 0
		.amdhsa_tg_split 0
		.amdhsa_exception_fp_ieee_invalid_op 0
		.amdhsa_exception_fp_denorm_src 0
		.amdhsa_exception_fp_ieee_div_zero 0
		.amdhsa_exception_fp_ieee_overflow 0
		.amdhsa_exception_fp_ieee_underflow 0
		.amdhsa_exception_fp_ieee_inexact 0
		.amdhsa_exception_int_div_zero 0
	.end_amdhsa_kernel
	.section	.text._ZN7rocprim17ROCPRIM_400000_NS6detail17trampoline_kernelINS0_14default_configENS1_37merge_sort_block_sort_config_selectorIlNS0_10empty_typeEEEZNS1_21merge_sort_block_sortIS3_PlS8_PS5_S9_ZN2at6native12_GLOBAL__N_124unique_dim_cuda_templateIiEESt5tupleIJNSA_6TensorESF_SF_EERKSF_lbbbEUlllE_EE10hipError_tT0_T1_T2_T3_mRjT4_P12ihipStream_tbNS1_7vsmem_tEEUlT_E_NS1_11comp_targetILNS1_3genE2ELNS1_11target_archE906ELNS1_3gpuE6ELNS1_3repE0EEENS1_30default_config_static_selectorELNS0_4arch9wavefront6targetE1EEEvSM_,"axG",@progbits,_ZN7rocprim17ROCPRIM_400000_NS6detail17trampoline_kernelINS0_14default_configENS1_37merge_sort_block_sort_config_selectorIlNS0_10empty_typeEEEZNS1_21merge_sort_block_sortIS3_PlS8_PS5_S9_ZN2at6native12_GLOBAL__N_124unique_dim_cuda_templateIiEESt5tupleIJNSA_6TensorESF_SF_EERKSF_lbbbEUlllE_EE10hipError_tT0_T1_T2_T3_mRjT4_P12ihipStream_tbNS1_7vsmem_tEEUlT_E_NS1_11comp_targetILNS1_3genE2ELNS1_11target_archE906ELNS1_3gpuE6ELNS1_3repE0EEENS1_30default_config_static_selectorELNS0_4arch9wavefront6targetE1EEEvSM_,comdat
.Lfunc_end387:
	.size	_ZN7rocprim17ROCPRIM_400000_NS6detail17trampoline_kernelINS0_14default_configENS1_37merge_sort_block_sort_config_selectorIlNS0_10empty_typeEEEZNS1_21merge_sort_block_sortIS3_PlS8_PS5_S9_ZN2at6native12_GLOBAL__N_124unique_dim_cuda_templateIiEESt5tupleIJNSA_6TensorESF_SF_EERKSF_lbbbEUlllE_EE10hipError_tT0_T1_T2_T3_mRjT4_P12ihipStream_tbNS1_7vsmem_tEEUlT_E_NS1_11comp_targetILNS1_3genE2ELNS1_11target_archE906ELNS1_3gpuE6ELNS1_3repE0EEENS1_30default_config_static_selectorELNS0_4arch9wavefront6targetE1EEEvSM_, .Lfunc_end387-_ZN7rocprim17ROCPRIM_400000_NS6detail17trampoline_kernelINS0_14default_configENS1_37merge_sort_block_sort_config_selectorIlNS0_10empty_typeEEEZNS1_21merge_sort_block_sortIS3_PlS8_PS5_S9_ZN2at6native12_GLOBAL__N_124unique_dim_cuda_templateIiEESt5tupleIJNSA_6TensorESF_SF_EERKSF_lbbbEUlllE_EE10hipError_tT0_T1_T2_T3_mRjT4_P12ihipStream_tbNS1_7vsmem_tEEUlT_E_NS1_11comp_targetILNS1_3genE2ELNS1_11target_archE906ELNS1_3gpuE6ELNS1_3repE0EEENS1_30default_config_static_selectorELNS0_4arch9wavefront6targetE1EEEvSM_
                                        ; -- End function
	.set _ZN7rocprim17ROCPRIM_400000_NS6detail17trampoline_kernelINS0_14default_configENS1_37merge_sort_block_sort_config_selectorIlNS0_10empty_typeEEEZNS1_21merge_sort_block_sortIS3_PlS8_PS5_S9_ZN2at6native12_GLOBAL__N_124unique_dim_cuda_templateIiEESt5tupleIJNSA_6TensorESF_SF_EERKSF_lbbbEUlllE_EE10hipError_tT0_T1_T2_T3_mRjT4_P12ihipStream_tbNS1_7vsmem_tEEUlT_E_NS1_11comp_targetILNS1_3genE2ELNS1_11target_archE906ELNS1_3gpuE6ELNS1_3repE0EEENS1_30default_config_static_selectorELNS0_4arch9wavefront6targetE1EEEvSM_.num_vgpr, 0
	.set _ZN7rocprim17ROCPRIM_400000_NS6detail17trampoline_kernelINS0_14default_configENS1_37merge_sort_block_sort_config_selectorIlNS0_10empty_typeEEEZNS1_21merge_sort_block_sortIS3_PlS8_PS5_S9_ZN2at6native12_GLOBAL__N_124unique_dim_cuda_templateIiEESt5tupleIJNSA_6TensorESF_SF_EERKSF_lbbbEUlllE_EE10hipError_tT0_T1_T2_T3_mRjT4_P12ihipStream_tbNS1_7vsmem_tEEUlT_E_NS1_11comp_targetILNS1_3genE2ELNS1_11target_archE906ELNS1_3gpuE6ELNS1_3repE0EEENS1_30default_config_static_selectorELNS0_4arch9wavefront6targetE1EEEvSM_.num_agpr, 0
	.set _ZN7rocprim17ROCPRIM_400000_NS6detail17trampoline_kernelINS0_14default_configENS1_37merge_sort_block_sort_config_selectorIlNS0_10empty_typeEEEZNS1_21merge_sort_block_sortIS3_PlS8_PS5_S9_ZN2at6native12_GLOBAL__N_124unique_dim_cuda_templateIiEESt5tupleIJNSA_6TensorESF_SF_EERKSF_lbbbEUlllE_EE10hipError_tT0_T1_T2_T3_mRjT4_P12ihipStream_tbNS1_7vsmem_tEEUlT_E_NS1_11comp_targetILNS1_3genE2ELNS1_11target_archE906ELNS1_3gpuE6ELNS1_3repE0EEENS1_30default_config_static_selectorELNS0_4arch9wavefront6targetE1EEEvSM_.numbered_sgpr, 0
	.set _ZN7rocprim17ROCPRIM_400000_NS6detail17trampoline_kernelINS0_14default_configENS1_37merge_sort_block_sort_config_selectorIlNS0_10empty_typeEEEZNS1_21merge_sort_block_sortIS3_PlS8_PS5_S9_ZN2at6native12_GLOBAL__N_124unique_dim_cuda_templateIiEESt5tupleIJNSA_6TensorESF_SF_EERKSF_lbbbEUlllE_EE10hipError_tT0_T1_T2_T3_mRjT4_P12ihipStream_tbNS1_7vsmem_tEEUlT_E_NS1_11comp_targetILNS1_3genE2ELNS1_11target_archE906ELNS1_3gpuE6ELNS1_3repE0EEENS1_30default_config_static_selectorELNS0_4arch9wavefront6targetE1EEEvSM_.num_named_barrier, 0
	.set _ZN7rocprim17ROCPRIM_400000_NS6detail17trampoline_kernelINS0_14default_configENS1_37merge_sort_block_sort_config_selectorIlNS0_10empty_typeEEEZNS1_21merge_sort_block_sortIS3_PlS8_PS5_S9_ZN2at6native12_GLOBAL__N_124unique_dim_cuda_templateIiEESt5tupleIJNSA_6TensorESF_SF_EERKSF_lbbbEUlllE_EE10hipError_tT0_T1_T2_T3_mRjT4_P12ihipStream_tbNS1_7vsmem_tEEUlT_E_NS1_11comp_targetILNS1_3genE2ELNS1_11target_archE906ELNS1_3gpuE6ELNS1_3repE0EEENS1_30default_config_static_selectorELNS0_4arch9wavefront6targetE1EEEvSM_.private_seg_size, 0
	.set _ZN7rocprim17ROCPRIM_400000_NS6detail17trampoline_kernelINS0_14default_configENS1_37merge_sort_block_sort_config_selectorIlNS0_10empty_typeEEEZNS1_21merge_sort_block_sortIS3_PlS8_PS5_S9_ZN2at6native12_GLOBAL__N_124unique_dim_cuda_templateIiEESt5tupleIJNSA_6TensorESF_SF_EERKSF_lbbbEUlllE_EE10hipError_tT0_T1_T2_T3_mRjT4_P12ihipStream_tbNS1_7vsmem_tEEUlT_E_NS1_11comp_targetILNS1_3genE2ELNS1_11target_archE906ELNS1_3gpuE6ELNS1_3repE0EEENS1_30default_config_static_selectorELNS0_4arch9wavefront6targetE1EEEvSM_.uses_vcc, 0
	.set _ZN7rocprim17ROCPRIM_400000_NS6detail17trampoline_kernelINS0_14default_configENS1_37merge_sort_block_sort_config_selectorIlNS0_10empty_typeEEEZNS1_21merge_sort_block_sortIS3_PlS8_PS5_S9_ZN2at6native12_GLOBAL__N_124unique_dim_cuda_templateIiEESt5tupleIJNSA_6TensorESF_SF_EERKSF_lbbbEUlllE_EE10hipError_tT0_T1_T2_T3_mRjT4_P12ihipStream_tbNS1_7vsmem_tEEUlT_E_NS1_11comp_targetILNS1_3genE2ELNS1_11target_archE906ELNS1_3gpuE6ELNS1_3repE0EEENS1_30default_config_static_selectorELNS0_4arch9wavefront6targetE1EEEvSM_.uses_flat_scratch, 0
	.set _ZN7rocprim17ROCPRIM_400000_NS6detail17trampoline_kernelINS0_14default_configENS1_37merge_sort_block_sort_config_selectorIlNS0_10empty_typeEEEZNS1_21merge_sort_block_sortIS3_PlS8_PS5_S9_ZN2at6native12_GLOBAL__N_124unique_dim_cuda_templateIiEESt5tupleIJNSA_6TensorESF_SF_EERKSF_lbbbEUlllE_EE10hipError_tT0_T1_T2_T3_mRjT4_P12ihipStream_tbNS1_7vsmem_tEEUlT_E_NS1_11comp_targetILNS1_3genE2ELNS1_11target_archE906ELNS1_3gpuE6ELNS1_3repE0EEENS1_30default_config_static_selectorELNS0_4arch9wavefront6targetE1EEEvSM_.has_dyn_sized_stack, 0
	.set _ZN7rocprim17ROCPRIM_400000_NS6detail17trampoline_kernelINS0_14default_configENS1_37merge_sort_block_sort_config_selectorIlNS0_10empty_typeEEEZNS1_21merge_sort_block_sortIS3_PlS8_PS5_S9_ZN2at6native12_GLOBAL__N_124unique_dim_cuda_templateIiEESt5tupleIJNSA_6TensorESF_SF_EERKSF_lbbbEUlllE_EE10hipError_tT0_T1_T2_T3_mRjT4_P12ihipStream_tbNS1_7vsmem_tEEUlT_E_NS1_11comp_targetILNS1_3genE2ELNS1_11target_archE906ELNS1_3gpuE6ELNS1_3repE0EEENS1_30default_config_static_selectorELNS0_4arch9wavefront6targetE1EEEvSM_.has_recursion, 0
	.set _ZN7rocprim17ROCPRIM_400000_NS6detail17trampoline_kernelINS0_14default_configENS1_37merge_sort_block_sort_config_selectorIlNS0_10empty_typeEEEZNS1_21merge_sort_block_sortIS3_PlS8_PS5_S9_ZN2at6native12_GLOBAL__N_124unique_dim_cuda_templateIiEESt5tupleIJNSA_6TensorESF_SF_EERKSF_lbbbEUlllE_EE10hipError_tT0_T1_T2_T3_mRjT4_P12ihipStream_tbNS1_7vsmem_tEEUlT_E_NS1_11comp_targetILNS1_3genE2ELNS1_11target_archE906ELNS1_3gpuE6ELNS1_3repE0EEENS1_30default_config_static_selectorELNS0_4arch9wavefront6targetE1EEEvSM_.has_indirect_call, 0
	.section	.AMDGPU.csdata,"",@progbits
; Kernel info:
; codeLenInByte = 0
; TotalNumSgprs: 6
; NumVgprs: 0
; NumAgprs: 0
; TotalNumVgprs: 0
; ScratchSize: 0
; MemoryBound: 0
; FloatMode: 240
; IeeeMode: 1
; LDSByteSize: 0 bytes/workgroup (compile time only)
; SGPRBlocks: 0
; VGPRBlocks: 0
; NumSGPRsForWavesPerEU: 6
; NumVGPRsForWavesPerEU: 1
; AccumOffset: 4
; Occupancy: 8
; WaveLimiterHint : 0
; COMPUTE_PGM_RSRC2:SCRATCH_EN: 0
; COMPUTE_PGM_RSRC2:USER_SGPR: 2
; COMPUTE_PGM_RSRC2:TRAP_HANDLER: 0
; COMPUTE_PGM_RSRC2:TGID_X_EN: 1
; COMPUTE_PGM_RSRC2:TGID_Y_EN: 0
; COMPUTE_PGM_RSRC2:TGID_Z_EN: 0
; COMPUTE_PGM_RSRC2:TIDIG_COMP_CNT: 0
; COMPUTE_PGM_RSRC3_GFX90A:ACCUM_OFFSET: 0
; COMPUTE_PGM_RSRC3_GFX90A:TG_SPLIT: 0
	.section	.text._ZN7rocprim17ROCPRIM_400000_NS6detail17trampoline_kernelINS0_14default_configENS1_37merge_sort_block_sort_config_selectorIlNS0_10empty_typeEEEZNS1_21merge_sort_block_sortIS3_PlS8_PS5_S9_ZN2at6native12_GLOBAL__N_124unique_dim_cuda_templateIiEESt5tupleIJNSA_6TensorESF_SF_EERKSF_lbbbEUlllE_EE10hipError_tT0_T1_T2_T3_mRjT4_P12ihipStream_tbNS1_7vsmem_tEEUlT_E_NS1_11comp_targetILNS1_3genE10ELNS1_11target_archE1201ELNS1_3gpuE5ELNS1_3repE0EEENS1_30default_config_static_selectorELNS0_4arch9wavefront6targetE1EEEvSM_,"axG",@progbits,_ZN7rocprim17ROCPRIM_400000_NS6detail17trampoline_kernelINS0_14default_configENS1_37merge_sort_block_sort_config_selectorIlNS0_10empty_typeEEEZNS1_21merge_sort_block_sortIS3_PlS8_PS5_S9_ZN2at6native12_GLOBAL__N_124unique_dim_cuda_templateIiEESt5tupleIJNSA_6TensorESF_SF_EERKSF_lbbbEUlllE_EE10hipError_tT0_T1_T2_T3_mRjT4_P12ihipStream_tbNS1_7vsmem_tEEUlT_E_NS1_11comp_targetILNS1_3genE10ELNS1_11target_archE1201ELNS1_3gpuE5ELNS1_3repE0EEENS1_30default_config_static_selectorELNS0_4arch9wavefront6targetE1EEEvSM_,comdat
	.globl	_ZN7rocprim17ROCPRIM_400000_NS6detail17trampoline_kernelINS0_14default_configENS1_37merge_sort_block_sort_config_selectorIlNS0_10empty_typeEEEZNS1_21merge_sort_block_sortIS3_PlS8_PS5_S9_ZN2at6native12_GLOBAL__N_124unique_dim_cuda_templateIiEESt5tupleIJNSA_6TensorESF_SF_EERKSF_lbbbEUlllE_EE10hipError_tT0_T1_T2_T3_mRjT4_P12ihipStream_tbNS1_7vsmem_tEEUlT_E_NS1_11comp_targetILNS1_3genE10ELNS1_11target_archE1201ELNS1_3gpuE5ELNS1_3repE0EEENS1_30default_config_static_selectorELNS0_4arch9wavefront6targetE1EEEvSM_ ; -- Begin function _ZN7rocprim17ROCPRIM_400000_NS6detail17trampoline_kernelINS0_14default_configENS1_37merge_sort_block_sort_config_selectorIlNS0_10empty_typeEEEZNS1_21merge_sort_block_sortIS3_PlS8_PS5_S9_ZN2at6native12_GLOBAL__N_124unique_dim_cuda_templateIiEESt5tupleIJNSA_6TensorESF_SF_EERKSF_lbbbEUlllE_EE10hipError_tT0_T1_T2_T3_mRjT4_P12ihipStream_tbNS1_7vsmem_tEEUlT_E_NS1_11comp_targetILNS1_3genE10ELNS1_11target_archE1201ELNS1_3gpuE5ELNS1_3repE0EEENS1_30default_config_static_selectorELNS0_4arch9wavefront6targetE1EEEvSM_
	.p2align	8
	.type	_ZN7rocprim17ROCPRIM_400000_NS6detail17trampoline_kernelINS0_14default_configENS1_37merge_sort_block_sort_config_selectorIlNS0_10empty_typeEEEZNS1_21merge_sort_block_sortIS3_PlS8_PS5_S9_ZN2at6native12_GLOBAL__N_124unique_dim_cuda_templateIiEESt5tupleIJNSA_6TensorESF_SF_EERKSF_lbbbEUlllE_EE10hipError_tT0_T1_T2_T3_mRjT4_P12ihipStream_tbNS1_7vsmem_tEEUlT_E_NS1_11comp_targetILNS1_3genE10ELNS1_11target_archE1201ELNS1_3gpuE5ELNS1_3repE0EEENS1_30default_config_static_selectorELNS0_4arch9wavefront6targetE1EEEvSM_,@function
_ZN7rocprim17ROCPRIM_400000_NS6detail17trampoline_kernelINS0_14default_configENS1_37merge_sort_block_sort_config_selectorIlNS0_10empty_typeEEEZNS1_21merge_sort_block_sortIS3_PlS8_PS5_S9_ZN2at6native12_GLOBAL__N_124unique_dim_cuda_templateIiEESt5tupleIJNSA_6TensorESF_SF_EERKSF_lbbbEUlllE_EE10hipError_tT0_T1_T2_T3_mRjT4_P12ihipStream_tbNS1_7vsmem_tEEUlT_E_NS1_11comp_targetILNS1_3genE10ELNS1_11target_archE1201ELNS1_3gpuE5ELNS1_3repE0EEENS1_30default_config_static_selectorELNS0_4arch9wavefront6targetE1EEEvSM_: ; @_ZN7rocprim17ROCPRIM_400000_NS6detail17trampoline_kernelINS0_14default_configENS1_37merge_sort_block_sort_config_selectorIlNS0_10empty_typeEEEZNS1_21merge_sort_block_sortIS3_PlS8_PS5_S9_ZN2at6native12_GLOBAL__N_124unique_dim_cuda_templateIiEESt5tupleIJNSA_6TensorESF_SF_EERKSF_lbbbEUlllE_EE10hipError_tT0_T1_T2_T3_mRjT4_P12ihipStream_tbNS1_7vsmem_tEEUlT_E_NS1_11comp_targetILNS1_3genE10ELNS1_11target_archE1201ELNS1_3gpuE5ELNS1_3repE0EEENS1_30default_config_static_selectorELNS0_4arch9wavefront6targetE1EEEvSM_
; %bb.0:
	.section	.rodata,"a",@progbits
	.p2align	6, 0x0
	.amdhsa_kernel _ZN7rocprim17ROCPRIM_400000_NS6detail17trampoline_kernelINS0_14default_configENS1_37merge_sort_block_sort_config_selectorIlNS0_10empty_typeEEEZNS1_21merge_sort_block_sortIS3_PlS8_PS5_S9_ZN2at6native12_GLOBAL__N_124unique_dim_cuda_templateIiEESt5tupleIJNSA_6TensorESF_SF_EERKSF_lbbbEUlllE_EE10hipError_tT0_T1_T2_T3_mRjT4_P12ihipStream_tbNS1_7vsmem_tEEUlT_E_NS1_11comp_targetILNS1_3genE10ELNS1_11target_archE1201ELNS1_3gpuE5ELNS1_3repE0EEENS1_30default_config_static_selectorELNS0_4arch9wavefront6targetE1EEEvSM_
		.amdhsa_group_segment_fixed_size 0
		.amdhsa_private_segment_fixed_size 0
		.amdhsa_kernarg_size 72
		.amdhsa_user_sgpr_count 2
		.amdhsa_user_sgpr_dispatch_ptr 0
		.amdhsa_user_sgpr_queue_ptr 0
		.amdhsa_user_sgpr_kernarg_segment_ptr 1
		.amdhsa_user_sgpr_dispatch_id 0
		.amdhsa_user_sgpr_kernarg_preload_length 0
		.amdhsa_user_sgpr_kernarg_preload_offset 0
		.amdhsa_user_sgpr_private_segment_size 0
		.amdhsa_uses_dynamic_stack 0
		.amdhsa_enable_private_segment 0
		.amdhsa_system_sgpr_workgroup_id_x 1
		.amdhsa_system_sgpr_workgroup_id_y 0
		.amdhsa_system_sgpr_workgroup_id_z 0
		.amdhsa_system_sgpr_workgroup_info 0
		.amdhsa_system_vgpr_workitem_id 0
		.amdhsa_next_free_vgpr 1
		.amdhsa_next_free_sgpr 0
		.amdhsa_accum_offset 4
		.amdhsa_reserve_vcc 0
		.amdhsa_float_round_mode_32 0
		.amdhsa_float_round_mode_16_64 0
		.amdhsa_float_denorm_mode_32 3
		.amdhsa_float_denorm_mode_16_64 3
		.amdhsa_dx10_clamp 1
		.amdhsa_ieee_mode 1
		.amdhsa_fp16_overflow 0
		.amdhsa_tg_split 0
		.amdhsa_exception_fp_ieee_invalid_op 0
		.amdhsa_exception_fp_denorm_src 0
		.amdhsa_exception_fp_ieee_div_zero 0
		.amdhsa_exception_fp_ieee_overflow 0
		.amdhsa_exception_fp_ieee_underflow 0
		.amdhsa_exception_fp_ieee_inexact 0
		.amdhsa_exception_int_div_zero 0
	.end_amdhsa_kernel
	.section	.text._ZN7rocprim17ROCPRIM_400000_NS6detail17trampoline_kernelINS0_14default_configENS1_37merge_sort_block_sort_config_selectorIlNS0_10empty_typeEEEZNS1_21merge_sort_block_sortIS3_PlS8_PS5_S9_ZN2at6native12_GLOBAL__N_124unique_dim_cuda_templateIiEESt5tupleIJNSA_6TensorESF_SF_EERKSF_lbbbEUlllE_EE10hipError_tT0_T1_T2_T3_mRjT4_P12ihipStream_tbNS1_7vsmem_tEEUlT_E_NS1_11comp_targetILNS1_3genE10ELNS1_11target_archE1201ELNS1_3gpuE5ELNS1_3repE0EEENS1_30default_config_static_selectorELNS0_4arch9wavefront6targetE1EEEvSM_,"axG",@progbits,_ZN7rocprim17ROCPRIM_400000_NS6detail17trampoline_kernelINS0_14default_configENS1_37merge_sort_block_sort_config_selectorIlNS0_10empty_typeEEEZNS1_21merge_sort_block_sortIS3_PlS8_PS5_S9_ZN2at6native12_GLOBAL__N_124unique_dim_cuda_templateIiEESt5tupleIJNSA_6TensorESF_SF_EERKSF_lbbbEUlllE_EE10hipError_tT0_T1_T2_T3_mRjT4_P12ihipStream_tbNS1_7vsmem_tEEUlT_E_NS1_11comp_targetILNS1_3genE10ELNS1_11target_archE1201ELNS1_3gpuE5ELNS1_3repE0EEENS1_30default_config_static_selectorELNS0_4arch9wavefront6targetE1EEEvSM_,comdat
.Lfunc_end388:
	.size	_ZN7rocprim17ROCPRIM_400000_NS6detail17trampoline_kernelINS0_14default_configENS1_37merge_sort_block_sort_config_selectorIlNS0_10empty_typeEEEZNS1_21merge_sort_block_sortIS3_PlS8_PS5_S9_ZN2at6native12_GLOBAL__N_124unique_dim_cuda_templateIiEESt5tupleIJNSA_6TensorESF_SF_EERKSF_lbbbEUlllE_EE10hipError_tT0_T1_T2_T3_mRjT4_P12ihipStream_tbNS1_7vsmem_tEEUlT_E_NS1_11comp_targetILNS1_3genE10ELNS1_11target_archE1201ELNS1_3gpuE5ELNS1_3repE0EEENS1_30default_config_static_selectorELNS0_4arch9wavefront6targetE1EEEvSM_, .Lfunc_end388-_ZN7rocprim17ROCPRIM_400000_NS6detail17trampoline_kernelINS0_14default_configENS1_37merge_sort_block_sort_config_selectorIlNS0_10empty_typeEEEZNS1_21merge_sort_block_sortIS3_PlS8_PS5_S9_ZN2at6native12_GLOBAL__N_124unique_dim_cuda_templateIiEESt5tupleIJNSA_6TensorESF_SF_EERKSF_lbbbEUlllE_EE10hipError_tT0_T1_T2_T3_mRjT4_P12ihipStream_tbNS1_7vsmem_tEEUlT_E_NS1_11comp_targetILNS1_3genE10ELNS1_11target_archE1201ELNS1_3gpuE5ELNS1_3repE0EEENS1_30default_config_static_selectorELNS0_4arch9wavefront6targetE1EEEvSM_
                                        ; -- End function
	.set _ZN7rocprim17ROCPRIM_400000_NS6detail17trampoline_kernelINS0_14default_configENS1_37merge_sort_block_sort_config_selectorIlNS0_10empty_typeEEEZNS1_21merge_sort_block_sortIS3_PlS8_PS5_S9_ZN2at6native12_GLOBAL__N_124unique_dim_cuda_templateIiEESt5tupleIJNSA_6TensorESF_SF_EERKSF_lbbbEUlllE_EE10hipError_tT0_T1_T2_T3_mRjT4_P12ihipStream_tbNS1_7vsmem_tEEUlT_E_NS1_11comp_targetILNS1_3genE10ELNS1_11target_archE1201ELNS1_3gpuE5ELNS1_3repE0EEENS1_30default_config_static_selectorELNS0_4arch9wavefront6targetE1EEEvSM_.num_vgpr, 0
	.set _ZN7rocprim17ROCPRIM_400000_NS6detail17trampoline_kernelINS0_14default_configENS1_37merge_sort_block_sort_config_selectorIlNS0_10empty_typeEEEZNS1_21merge_sort_block_sortIS3_PlS8_PS5_S9_ZN2at6native12_GLOBAL__N_124unique_dim_cuda_templateIiEESt5tupleIJNSA_6TensorESF_SF_EERKSF_lbbbEUlllE_EE10hipError_tT0_T1_T2_T3_mRjT4_P12ihipStream_tbNS1_7vsmem_tEEUlT_E_NS1_11comp_targetILNS1_3genE10ELNS1_11target_archE1201ELNS1_3gpuE5ELNS1_3repE0EEENS1_30default_config_static_selectorELNS0_4arch9wavefront6targetE1EEEvSM_.num_agpr, 0
	.set _ZN7rocprim17ROCPRIM_400000_NS6detail17trampoline_kernelINS0_14default_configENS1_37merge_sort_block_sort_config_selectorIlNS0_10empty_typeEEEZNS1_21merge_sort_block_sortIS3_PlS8_PS5_S9_ZN2at6native12_GLOBAL__N_124unique_dim_cuda_templateIiEESt5tupleIJNSA_6TensorESF_SF_EERKSF_lbbbEUlllE_EE10hipError_tT0_T1_T2_T3_mRjT4_P12ihipStream_tbNS1_7vsmem_tEEUlT_E_NS1_11comp_targetILNS1_3genE10ELNS1_11target_archE1201ELNS1_3gpuE5ELNS1_3repE0EEENS1_30default_config_static_selectorELNS0_4arch9wavefront6targetE1EEEvSM_.numbered_sgpr, 0
	.set _ZN7rocprim17ROCPRIM_400000_NS6detail17trampoline_kernelINS0_14default_configENS1_37merge_sort_block_sort_config_selectorIlNS0_10empty_typeEEEZNS1_21merge_sort_block_sortIS3_PlS8_PS5_S9_ZN2at6native12_GLOBAL__N_124unique_dim_cuda_templateIiEESt5tupleIJNSA_6TensorESF_SF_EERKSF_lbbbEUlllE_EE10hipError_tT0_T1_T2_T3_mRjT4_P12ihipStream_tbNS1_7vsmem_tEEUlT_E_NS1_11comp_targetILNS1_3genE10ELNS1_11target_archE1201ELNS1_3gpuE5ELNS1_3repE0EEENS1_30default_config_static_selectorELNS0_4arch9wavefront6targetE1EEEvSM_.num_named_barrier, 0
	.set _ZN7rocprim17ROCPRIM_400000_NS6detail17trampoline_kernelINS0_14default_configENS1_37merge_sort_block_sort_config_selectorIlNS0_10empty_typeEEEZNS1_21merge_sort_block_sortIS3_PlS8_PS5_S9_ZN2at6native12_GLOBAL__N_124unique_dim_cuda_templateIiEESt5tupleIJNSA_6TensorESF_SF_EERKSF_lbbbEUlllE_EE10hipError_tT0_T1_T2_T3_mRjT4_P12ihipStream_tbNS1_7vsmem_tEEUlT_E_NS1_11comp_targetILNS1_3genE10ELNS1_11target_archE1201ELNS1_3gpuE5ELNS1_3repE0EEENS1_30default_config_static_selectorELNS0_4arch9wavefront6targetE1EEEvSM_.private_seg_size, 0
	.set _ZN7rocprim17ROCPRIM_400000_NS6detail17trampoline_kernelINS0_14default_configENS1_37merge_sort_block_sort_config_selectorIlNS0_10empty_typeEEEZNS1_21merge_sort_block_sortIS3_PlS8_PS5_S9_ZN2at6native12_GLOBAL__N_124unique_dim_cuda_templateIiEESt5tupleIJNSA_6TensorESF_SF_EERKSF_lbbbEUlllE_EE10hipError_tT0_T1_T2_T3_mRjT4_P12ihipStream_tbNS1_7vsmem_tEEUlT_E_NS1_11comp_targetILNS1_3genE10ELNS1_11target_archE1201ELNS1_3gpuE5ELNS1_3repE0EEENS1_30default_config_static_selectorELNS0_4arch9wavefront6targetE1EEEvSM_.uses_vcc, 0
	.set _ZN7rocprim17ROCPRIM_400000_NS6detail17trampoline_kernelINS0_14default_configENS1_37merge_sort_block_sort_config_selectorIlNS0_10empty_typeEEEZNS1_21merge_sort_block_sortIS3_PlS8_PS5_S9_ZN2at6native12_GLOBAL__N_124unique_dim_cuda_templateIiEESt5tupleIJNSA_6TensorESF_SF_EERKSF_lbbbEUlllE_EE10hipError_tT0_T1_T2_T3_mRjT4_P12ihipStream_tbNS1_7vsmem_tEEUlT_E_NS1_11comp_targetILNS1_3genE10ELNS1_11target_archE1201ELNS1_3gpuE5ELNS1_3repE0EEENS1_30default_config_static_selectorELNS0_4arch9wavefront6targetE1EEEvSM_.uses_flat_scratch, 0
	.set _ZN7rocprim17ROCPRIM_400000_NS6detail17trampoline_kernelINS0_14default_configENS1_37merge_sort_block_sort_config_selectorIlNS0_10empty_typeEEEZNS1_21merge_sort_block_sortIS3_PlS8_PS5_S9_ZN2at6native12_GLOBAL__N_124unique_dim_cuda_templateIiEESt5tupleIJNSA_6TensorESF_SF_EERKSF_lbbbEUlllE_EE10hipError_tT0_T1_T2_T3_mRjT4_P12ihipStream_tbNS1_7vsmem_tEEUlT_E_NS1_11comp_targetILNS1_3genE10ELNS1_11target_archE1201ELNS1_3gpuE5ELNS1_3repE0EEENS1_30default_config_static_selectorELNS0_4arch9wavefront6targetE1EEEvSM_.has_dyn_sized_stack, 0
	.set _ZN7rocprim17ROCPRIM_400000_NS6detail17trampoline_kernelINS0_14default_configENS1_37merge_sort_block_sort_config_selectorIlNS0_10empty_typeEEEZNS1_21merge_sort_block_sortIS3_PlS8_PS5_S9_ZN2at6native12_GLOBAL__N_124unique_dim_cuda_templateIiEESt5tupleIJNSA_6TensorESF_SF_EERKSF_lbbbEUlllE_EE10hipError_tT0_T1_T2_T3_mRjT4_P12ihipStream_tbNS1_7vsmem_tEEUlT_E_NS1_11comp_targetILNS1_3genE10ELNS1_11target_archE1201ELNS1_3gpuE5ELNS1_3repE0EEENS1_30default_config_static_selectorELNS0_4arch9wavefront6targetE1EEEvSM_.has_recursion, 0
	.set _ZN7rocprim17ROCPRIM_400000_NS6detail17trampoline_kernelINS0_14default_configENS1_37merge_sort_block_sort_config_selectorIlNS0_10empty_typeEEEZNS1_21merge_sort_block_sortIS3_PlS8_PS5_S9_ZN2at6native12_GLOBAL__N_124unique_dim_cuda_templateIiEESt5tupleIJNSA_6TensorESF_SF_EERKSF_lbbbEUlllE_EE10hipError_tT0_T1_T2_T3_mRjT4_P12ihipStream_tbNS1_7vsmem_tEEUlT_E_NS1_11comp_targetILNS1_3genE10ELNS1_11target_archE1201ELNS1_3gpuE5ELNS1_3repE0EEENS1_30default_config_static_selectorELNS0_4arch9wavefront6targetE1EEEvSM_.has_indirect_call, 0
	.section	.AMDGPU.csdata,"",@progbits
; Kernel info:
; codeLenInByte = 0
; TotalNumSgprs: 6
; NumVgprs: 0
; NumAgprs: 0
; TotalNumVgprs: 0
; ScratchSize: 0
; MemoryBound: 0
; FloatMode: 240
; IeeeMode: 1
; LDSByteSize: 0 bytes/workgroup (compile time only)
; SGPRBlocks: 0
; VGPRBlocks: 0
; NumSGPRsForWavesPerEU: 6
; NumVGPRsForWavesPerEU: 1
; AccumOffset: 4
; Occupancy: 8
; WaveLimiterHint : 0
; COMPUTE_PGM_RSRC2:SCRATCH_EN: 0
; COMPUTE_PGM_RSRC2:USER_SGPR: 2
; COMPUTE_PGM_RSRC2:TRAP_HANDLER: 0
; COMPUTE_PGM_RSRC2:TGID_X_EN: 1
; COMPUTE_PGM_RSRC2:TGID_Y_EN: 0
; COMPUTE_PGM_RSRC2:TGID_Z_EN: 0
; COMPUTE_PGM_RSRC2:TIDIG_COMP_CNT: 0
; COMPUTE_PGM_RSRC3_GFX90A:ACCUM_OFFSET: 0
; COMPUTE_PGM_RSRC3_GFX90A:TG_SPLIT: 0
	.section	.text._ZN7rocprim17ROCPRIM_400000_NS6detail17trampoline_kernelINS0_14default_configENS1_37merge_sort_block_sort_config_selectorIlNS0_10empty_typeEEEZNS1_21merge_sort_block_sortIS3_PlS8_PS5_S9_ZN2at6native12_GLOBAL__N_124unique_dim_cuda_templateIiEESt5tupleIJNSA_6TensorESF_SF_EERKSF_lbbbEUlllE_EE10hipError_tT0_T1_T2_T3_mRjT4_P12ihipStream_tbNS1_7vsmem_tEEUlT_E_NS1_11comp_targetILNS1_3genE10ELNS1_11target_archE1200ELNS1_3gpuE4ELNS1_3repE0EEENS1_30default_config_static_selectorELNS0_4arch9wavefront6targetE1EEEvSM_,"axG",@progbits,_ZN7rocprim17ROCPRIM_400000_NS6detail17trampoline_kernelINS0_14default_configENS1_37merge_sort_block_sort_config_selectorIlNS0_10empty_typeEEEZNS1_21merge_sort_block_sortIS3_PlS8_PS5_S9_ZN2at6native12_GLOBAL__N_124unique_dim_cuda_templateIiEESt5tupleIJNSA_6TensorESF_SF_EERKSF_lbbbEUlllE_EE10hipError_tT0_T1_T2_T3_mRjT4_P12ihipStream_tbNS1_7vsmem_tEEUlT_E_NS1_11comp_targetILNS1_3genE10ELNS1_11target_archE1200ELNS1_3gpuE4ELNS1_3repE0EEENS1_30default_config_static_selectorELNS0_4arch9wavefront6targetE1EEEvSM_,comdat
	.globl	_ZN7rocprim17ROCPRIM_400000_NS6detail17trampoline_kernelINS0_14default_configENS1_37merge_sort_block_sort_config_selectorIlNS0_10empty_typeEEEZNS1_21merge_sort_block_sortIS3_PlS8_PS5_S9_ZN2at6native12_GLOBAL__N_124unique_dim_cuda_templateIiEESt5tupleIJNSA_6TensorESF_SF_EERKSF_lbbbEUlllE_EE10hipError_tT0_T1_T2_T3_mRjT4_P12ihipStream_tbNS1_7vsmem_tEEUlT_E_NS1_11comp_targetILNS1_3genE10ELNS1_11target_archE1200ELNS1_3gpuE4ELNS1_3repE0EEENS1_30default_config_static_selectorELNS0_4arch9wavefront6targetE1EEEvSM_ ; -- Begin function _ZN7rocprim17ROCPRIM_400000_NS6detail17trampoline_kernelINS0_14default_configENS1_37merge_sort_block_sort_config_selectorIlNS0_10empty_typeEEEZNS1_21merge_sort_block_sortIS3_PlS8_PS5_S9_ZN2at6native12_GLOBAL__N_124unique_dim_cuda_templateIiEESt5tupleIJNSA_6TensorESF_SF_EERKSF_lbbbEUlllE_EE10hipError_tT0_T1_T2_T3_mRjT4_P12ihipStream_tbNS1_7vsmem_tEEUlT_E_NS1_11comp_targetILNS1_3genE10ELNS1_11target_archE1200ELNS1_3gpuE4ELNS1_3repE0EEENS1_30default_config_static_selectorELNS0_4arch9wavefront6targetE1EEEvSM_
	.p2align	8
	.type	_ZN7rocprim17ROCPRIM_400000_NS6detail17trampoline_kernelINS0_14default_configENS1_37merge_sort_block_sort_config_selectorIlNS0_10empty_typeEEEZNS1_21merge_sort_block_sortIS3_PlS8_PS5_S9_ZN2at6native12_GLOBAL__N_124unique_dim_cuda_templateIiEESt5tupleIJNSA_6TensorESF_SF_EERKSF_lbbbEUlllE_EE10hipError_tT0_T1_T2_T3_mRjT4_P12ihipStream_tbNS1_7vsmem_tEEUlT_E_NS1_11comp_targetILNS1_3genE10ELNS1_11target_archE1200ELNS1_3gpuE4ELNS1_3repE0EEENS1_30default_config_static_selectorELNS0_4arch9wavefront6targetE1EEEvSM_,@function
_ZN7rocprim17ROCPRIM_400000_NS6detail17trampoline_kernelINS0_14default_configENS1_37merge_sort_block_sort_config_selectorIlNS0_10empty_typeEEEZNS1_21merge_sort_block_sortIS3_PlS8_PS5_S9_ZN2at6native12_GLOBAL__N_124unique_dim_cuda_templateIiEESt5tupleIJNSA_6TensorESF_SF_EERKSF_lbbbEUlllE_EE10hipError_tT0_T1_T2_T3_mRjT4_P12ihipStream_tbNS1_7vsmem_tEEUlT_E_NS1_11comp_targetILNS1_3genE10ELNS1_11target_archE1200ELNS1_3gpuE4ELNS1_3repE0EEENS1_30default_config_static_selectorELNS0_4arch9wavefront6targetE1EEEvSM_: ; @_ZN7rocprim17ROCPRIM_400000_NS6detail17trampoline_kernelINS0_14default_configENS1_37merge_sort_block_sort_config_selectorIlNS0_10empty_typeEEEZNS1_21merge_sort_block_sortIS3_PlS8_PS5_S9_ZN2at6native12_GLOBAL__N_124unique_dim_cuda_templateIiEESt5tupleIJNSA_6TensorESF_SF_EERKSF_lbbbEUlllE_EE10hipError_tT0_T1_T2_T3_mRjT4_P12ihipStream_tbNS1_7vsmem_tEEUlT_E_NS1_11comp_targetILNS1_3genE10ELNS1_11target_archE1200ELNS1_3gpuE4ELNS1_3repE0EEENS1_30default_config_static_selectorELNS0_4arch9wavefront6targetE1EEEvSM_
; %bb.0:
	.section	.rodata,"a",@progbits
	.p2align	6, 0x0
	.amdhsa_kernel _ZN7rocprim17ROCPRIM_400000_NS6detail17trampoline_kernelINS0_14default_configENS1_37merge_sort_block_sort_config_selectorIlNS0_10empty_typeEEEZNS1_21merge_sort_block_sortIS3_PlS8_PS5_S9_ZN2at6native12_GLOBAL__N_124unique_dim_cuda_templateIiEESt5tupleIJNSA_6TensorESF_SF_EERKSF_lbbbEUlllE_EE10hipError_tT0_T1_T2_T3_mRjT4_P12ihipStream_tbNS1_7vsmem_tEEUlT_E_NS1_11comp_targetILNS1_3genE10ELNS1_11target_archE1200ELNS1_3gpuE4ELNS1_3repE0EEENS1_30default_config_static_selectorELNS0_4arch9wavefront6targetE1EEEvSM_
		.amdhsa_group_segment_fixed_size 0
		.amdhsa_private_segment_fixed_size 0
		.amdhsa_kernarg_size 72
		.amdhsa_user_sgpr_count 2
		.amdhsa_user_sgpr_dispatch_ptr 0
		.amdhsa_user_sgpr_queue_ptr 0
		.amdhsa_user_sgpr_kernarg_segment_ptr 1
		.amdhsa_user_sgpr_dispatch_id 0
		.amdhsa_user_sgpr_kernarg_preload_length 0
		.amdhsa_user_sgpr_kernarg_preload_offset 0
		.amdhsa_user_sgpr_private_segment_size 0
		.amdhsa_uses_dynamic_stack 0
		.amdhsa_enable_private_segment 0
		.amdhsa_system_sgpr_workgroup_id_x 1
		.amdhsa_system_sgpr_workgroup_id_y 0
		.amdhsa_system_sgpr_workgroup_id_z 0
		.amdhsa_system_sgpr_workgroup_info 0
		.amdhsa_system_vgpr_workitem_id 0
		.amdhsa_next_free_vgpr 1
		.amdhsa_next_free_sgpr 0
		.amdhsa_accum_offset 4
		.amdhsa_reserve_vcc 0
		.amdhsa_float_round_mode_32 0
		.amdhsa_float_round_mode_16_64 0
		.amdhsa_float_denorm_mode_32 3
		.amdhsa_float_denorm_mode_16_64 3
		.amdhsa_dx10_clamp 1
		.amdhsa_ieee_mode 1
		.amdhsa_fp16_overflow 0
		.amdhsa_tg_split 0
		.amdhsa_exception_fp_ieee_invalid_op 0
		.amdhsa_exception_fp_denorm_src 0
		.amdhsa_exception_fp_ieee_div_zero 0
		.amdhsa_exception_fp_ieee_overflow 0
		.amdhsa_exception_fp_ieee_underflow 0
		.amdhsa_exception_fp_ieee_inexact 0
		.amdhsa_exception_int_div_zero 0
	.end_amdhsa_kernel
	.section	.text._ZN7rocprim17ROCPRIM_400000_NS6detail17trampoline_kernelINS0_14default_configENS1_37merge_sort_block_sort_config_selectorIlNS0_10empty_typeEEEZNS1_21merge_sort_block_sortIS3_PlS8_PS5_S9_ZN2at6native12_GLOBAL__N_124unique_dim_cuda_templateIiEESt5tupleIJNSA_6TensorESF_SF_EERKSF_lbbbEUlllE_EE10hipError_tT0_T1_T2_T3_mRjT4_P12ihipStream_tbNS1_7vsmem_tEEUlT_E_NS1_11comp_targetILNS1_3genE10ELNS1_11target_archE1200ELNS1_3gpuE4ELNS1_3repE0EEENS1_30default_config_static_selectorELNS0_4arch9wavefront6targetE1EEEvSM_,"axG",@progbits,_ZN7rocprim17ROCPRIM_400000_NS6detail17trampoline_kernelINS0_14default_configENS1_37merge_sort_block_sort_config_selectorIlNS0_10empty_typeEEEZNS1_21merge_sort_block_sortIS3_PlS8_PS5_S9_ZN2at6native12_GLOBAL__N_124unique_dim_cuda_templateIiEESt5tupleIJNSA_6TensorESF_SF_EERKSF_lbbbEUlllE_EE10hipError_tT0_T1_T2_T3_mRjT4_P12ihipStream_tbNS1_7vsmem_tEEUlT_E_NS1_11comp_targetILNS1_3genE10ELNS1_11target_archE1200ELNS1_3gpuE4ELNS1_3repE0EEENS1_30default_config_static_selectorELNS0_4arch9wavefront6targetE1EEEvSM_,comdat
.Lfunc_end389:
	.size	_ZN7rocprim17ROCPRIM_400000_NS6detail17trampoline_kernelINS0_14default_configENS1_37merge_sort_block_sort_config_selectorIlNS0_10empty_typeEEEZNS1_21merge_sort_block_sortIS3_PlS8_PS5_S9_ZN2at6native12_GLOBAL__N_124unique_dim_cuda_templateIiEESt5tupleIJNSA_6TensorESF_SF_EERKSF_lbbbEUlllE_EE10hipError_tT0_T1_T2_T3_mRjT4_P12ihipStream_tbNS1_7vsmem_tEEUlT_E_NS1_11comp_targetILNS1_3genE10ELNS1_11target_archE1200ELNS1_3gpuE4ELNS1_3repE0EEENS1_30default_config_static_selectorELNS0_4arch9wavefront6targetE1EEEvSM_, .Lfunc_end389-_ZN7rocprim17ROCPRIM_400000_NS6detail17trampoline_kernelINS0_14default_configENS1_37merge_sort_block_sort_config_selectorIlNS0_10empty_typeEEEZNS1_21merge_sort_block_sortIS3_PlS8_PS5_S9_ZN2at6native12_GLOBAL__N_124unique_dim_cuda_templateIiEESt5tupleIJNSA_6TensorESF_SF_EERKSF_lbbbEUlllE_EE10hipError_tT0_T1_T2_T3_mRjT4_P12ihipStream_tbNS1_7vsmem_tEEUlT_E_NS1_11comp_targetILNS1_3genE10ELNS1_11target_archE1200ELNS1_3gpuE4ELNS1_3repE0EEENS1_30default_config_static_selectorELNS0_4arch9wavefront6targetE1EEEvSM_
                                        ; -- End function
	.set _ZN7rocprim17ROCPRIM_400000_NS6detail17trampoline_kernelINS0_14default_configENS1_37merge_sort_block_sort_config_selectorIlNS0_10empty_typeEEEZNS1_21merge_sort_block_sortIS3_PlS8_PS5_S9_ZN2at6native12_GLOBAL__N_124unique_dim_cuda_templateIiEESt5tupleIJNSA_6TensorESF_SF_EERKSF_lbbbEUlllE_EE10hipError_tT0_T1_T2_T3_mRjT4_P12ihipStream_tbNS1_7vsmem_tEEUlT_E_NS1_11comp_targetILNS1_3genE10ELNS1_11target_archE1200ELNS1_3gpuE4ELNS1_3repE0EEENS1_30default_config_static_selectorELNS0_4arch9wavefront6targetE1EEEvSM_.num_vgpr, 0
	.set _ZN7rocprim17ROCPRIM_400000_NS6detail17trampoline_kernelINS0_14default_configENS1_37merge_sort_block_sort_config_selectorIlNS0_10empty_typeEEEZNS1_21merge_sort_block_sortIS3_PlS8_PS5_S9_ZN2at6native12_GLOBAL__N_124unique_dim_cuda_templateIiEESt5tupleIJNSA_6TensorESF_SF_EERKSF_lbbbEUlllE_EE10hipError_tT0_T1_T2_T3_mRjT4_P12ihipStream_tbNS1_7vsmem_tEEUlT_E_NS1_11comp_targetILNS1_3genE10ELNS1_11target_archE1200ELNS1_3gpuE4ELNS1_3repE0EEENS1_30default_config_static_selectorELNS0_4arch9wavefront6targetE1EEEvSM_.num_agpr, 0
	.set _ZN7rocprim17ROCPRIM_400000_NS6detail17trampoline_kernelINS0_14default_configENS1_37merge_sort_block_sort_config_selectorIlNS0_10empty_typeEEEZNS1_21merge_sort_block_sortIS3_PlS8_PS5_S9_ZN2at6native12_GLOBAL__N_124unique_dim_cuda_templateIiEESt5tupleIJNSA_6TensorESF_SF_EERKSF_lbbbEUlllE_EE10hipError_tT0_T1_T2_T3_mRjT4_P12ihipStream_tbNS1_7vsmem_tEEUlT_E_NS1_11comp_targetILNS1_3genE10ELNS1_11target_archE1200ELNS1_3gpuE4ELNS1_3repE0EEENS1_30default_config_static_selectorELNS0_4arch9wavefront6targetE1EEEvSM_.numbered_sgpr, 0
	.set _ZN7rocprim17ROCPRIM_400000_NS6detail17trampoline_kernelINS0_14default_configENS1_37merge_sort_block_sort_config_selectorIlNS0_10empty_typeEEEZNS1_21merge_sort_block_sortIS3_PlS8_PS5_S9_ZN2at6native12_GLOBAL__N_124unique_dim_cuda_templateIiEESt5tupleIJNSA_6TensorESF_SF_EERKSF_lbbbEUlllE_EE10hipError_tT0_T1_T2_T3_mRjT4_P12ihipStream_tbNS1_7vsmem_tEEUlT_E_NS1_11comp_targetILNS1_3genE10ELNS1_11target_archE1200ELNS1_3gpuE4ELNS1_3repE0EEENS1_30default_config_static_selectorELNS0_4arch9wavefront6targetE1EEEvSM_.num_named_barrier, 0
	.set _ZN7rocprim17ROCPRIM_400000_NS6detail17trampoline_kernelINS0_14default_configENS1_37merge_sort_block_sort_config_selectorIlNS0_10empty_typeEEEZNS1_21merge_sort_block_sortIS3_PlS8_PS5_S9_ZN2at6native12_GLOBAL__N_124unique_dim_cuda_templateIiEESt5tupleIJNSA_6TensorESF_SF_EERKSF_lbbbEUlllE_EE10hipError_tT0_T1_T2_T3_mRjT4_P12ihipStream_tbNS1_7vsmem_tEEUlT_E_NS1_11comp_targetILNS1_3genE10ELNS1_11target_archE1200ELNS1_3gpuE4ELNS1_3repE0EEENS1_30default_config_static_selectorELNS0_4arch9wavefront6targetE1EEEvSM_.private_seg_size, 0
	.set _ZN7rocprim17ROCPRIM_400000_NS6detail17trampoline_kernelINS0_14default_configENS1_37merge_sort_block_sort_config_selectorIlNS0_10empty_typeEEEZNS1_21merge_sort_block_sortIS3_PlS8_PS5_S9_ZN2at6native12_GLOBAL__N_124unique_dim_cuda_templateIiEESt5tupleIJNSA_6TensorESF_SF_EERKSF_lbbbEUlllE_EE10hipError_tT0_T1_T2_T3_mRjT4_P12ihipStream_tbNS1_7vsmem_tEEUlT_E_NS1_11comp_targetILNS1_3genE10ELNS1_11target_archE1200ELNS1_3gpuE4ELNS1_3repE0EEENS1_30default_config_static_selectorELNS0_4arch9wavefront6targetE1EEEvSM_.uses_vcc, 0
	.set _ZN7rocprim17ROCPRIM_400000_NS6detail17trampoline_kernelINS0_14default_configENS1_37merge_sort_block_sort_config_selectorIlNS0_10empty_typeEEEZNS1_21merge_sort_block_sortIS3_PlS8_PS5_S9_ZN2at6native12_GLOBAL__N_124unique_dim_cuda_templateIiEESt5tupleIJNSA_6TensorESF_SF_EERKSF_lbbbEUlllE_EE10hipError_tT0_T1_T2_T3_mRjT4_P12ihipStream_tbNS1_7vsmem_tEEUlT_E_NS1_11comp_targetILNS1_3genE10ELNS1_11target_archE1200ELNS1_3gpuE4ELNS1_3repE0EEENS1_30default_config_static_selectorELNS0_4arch9wavefront6targetE1EEEvSM_.uses_flat_scratch, 0
	.set _ZN7rocprim17ROCPRIM_400000_NS6detail17trampoline_kernelINS0_14default_configENS1_37merge_sort_block_sort_config_selectorIlNS0_10empty_typeEEEZNS1_21merge_sort_block_sortIS3_PlS8_PS5_S9_ZN2at6native12_GLOBAL__N_124unique_dim_cuda_templateIiEESt5tupleIJNSA_6TensorESF_SF_EERKSF_lbbbEUlllE_EE10hipError_tT0_T1_T2_T3_mRjT4_P12ihipStream_tbNS1_7vsmem_tEEUlT_E_NS1_11comp_targetILNS1_3genE10ELNS1_11target_archE1200ELNS1_3gpuE4ELNS1_3repE0EEENS1_30default_config_static_selectorELNS0_4arch9wavefront6targetE1EEEvSM_.has_dyn_sized_stack, 0
	.set _ZN7rocprim17ROCPRIM_400000_NS6detail17trampoline_kernelINS0_14default_configENS1_37merge_sort_block_sort_config_selectorIlNS0_10empty_typeEEEZNS1_21merge_sort_block_sortIS3_PlS8_PS5_S9_ZN2at6native12_GLOBAL__N_124unique_dim_cuda_templateIiEESt5tupleIJNSA_6TensorESF_SF_EERKSF_lbbbEUlllE_EE10hipError_tT0_T1_T2_T3_mRjT4_P12ihipStream_tbNS1_7vsmem_tEEUlT_E_NS1_11comp_targetILNS1_3genE10ELNS1_11target_archE1200ELNS1_3gpuE4ELNS1_3repE0EEENS1_30default_config_static_selectorELNS0_4arch9wavefront6targetE1EEEvSM_.has_recursion, 0
	.set _ZN7rocprim17ROCPRIM_400000_NS6detail17trampoline_kernelINS0_14default_configENS1_37merge_sort_block_sort_config_selectorIlNS0_10empty_typeEEEZNS1_21merge_sort_block_sortIS3_PlS8_PS5_S9_ZN2at6native12_GLOBAL__N_124unique_dim_cuda_templateIiEESt5tupleIJNSA_6TensorESF_SF_EERKSF_lbbbEUlllE_EE10hipError_tT0_T1_T2_T3_mRjT4_P12ihipStream_tbNS1_7vsmem_tEEUlT_E_NS1_11comp_targetILNS1_3genE10ELNS1_11target_archE1200ELNS1_3gpuE4ELNS1_3repE0EEENS1_30default_config_static_selectorELNS0_4arch9wavefront6targetE1EEEvSM_.has_indirect_call, 0
	.section	.AMDGPU.csdata,"",@progbits
; Kernel info:
; codeLenInByte = 0
; TotalNumSgprs: 6
; NumVgprs: 0
; NumAgprs: 0
; TotalNumVgprs: 0
; ScratchSize: 0
; MemoryBound: 0
; FloatMode: 240
; IeeeMode: 1
; LDSByteSize: 0 bytes/workgroup (compile time only)
; SGPRBlocks: 0
; VGPRBlocks: 0
; NumSGPRsForWavesPerEU: 6
; NumVGPRsForWavesPerEU: 1
; AccumOffset: 4
; Occupancy: 8
; WaveLimiterHint : 0
; COMPUTE_PGM_RSRC2:SCRATCH_EN: 0
; COMPUTE_PGM_RSRC2:USER_SGPR: 2
; COMPUTE_PGM_RSRC2:TRAP_HANDLER: 0
; COMPUTE_PGM_RSRC2:TGID_X_EN: 1
; COMPUTE_PGM_RSRC2:TGID_Y_EN: 0
; COMPUTE_PGM_RSRC2:TGID_Z_EN: 0
; COMPUTE_PGM_RSRC2:TIDIG_COMP_CNT: 0
; COMPUTE_PGM_RSRC3_GFX90A:ACCUM_OFFSET: 0
; COMPUTE_PGM_RSRC3_GFX90A:TG_SPLIT: 0
	.section	.text._ZN7rocprim17ROCPRIM_400000_NS6detail17trampoline_kernelINS0_14default_configENS1_37merge_sort_block_sort_config_selectorIlNS0_10empty_typeEEEZNS1_21merge_sort_block_sortIS3_PlS8_PS5_S9_ZN2at6native12_GLOBAL__N_124unique_dim_cuda_templateIiEESt5tupleIJNSA_6TensorESF_SF_EERKSF_lbbbEUlllE_EE10hipError_tT0_T1_T2_T3_mRjT4_P12ihipStream_tbNS1_7vsmem_tEEUlT_E_NS1_11comp_targetILNS1_3genE9ELNS1_11target_archE1100ELNS1_3gpuE3ELNS1_3repE0EEENS1_30default_config_static_selectorELNS0_4arch9wavefront6targetE1EEEvSM_,"axG",@progbits,_ZN7rocprim17ROCPRIM_400000_NS6detail17trampoline_kernelINS0_14default_configENS1_37merge_sort_block_sort_config_selectorIlNS0_10empty_typeEEEZNS1_21merge_sort_block_sortIS3_PlS8_PS5_S9_ZN2at6native12_GLOBAL__N_124unique_dim_cuda_templateIiEESt5tupleIJNSA_6TensorESF_SF_EERKSF_lbbbEUlllE_EE10hipError_tT0_T1_T2_T3_mRjT4_P12ihipStream_tbNS1_7vsmem_tEEUlT_E_NS1_11comp_targetILNS1_3genE9ELNS1_11target_archE1100ELNS1_3gpuE3ELNS1_3repE0EEENS1_30default_config_static_selectorELNS0_4arch9wavefront6targetE1EEEvSM_,comdat
	.globl	_ZN7rocprim17ROCPRIM_400000_NS6detail17trampoline_kernelINS0_14default_configENS1_37merge_sort_block_sort_config_selectorIlNS0_10empty_typeEEEZNS1_21merge_sort_block_sortIS3_PlS8_PS5_S9_ZN2at6native12_GLOBAL__N_124unique_dim_cuda_templateIiEESt5tupleIJNSA_6TensorESF_SF_EERKSF_lbbbEUlllE_EE10hipError_tT0_T1_T2_T3_mRjT4_P12ihipStream_tbNS1_7vsmem_tEEUlT_E_NS1_11comp_targetILNS1_3genE9ELNS1_11target_archE1100ELNS1_3gpuE3ELNS1_3repE0EEENS1_30default_config_static_selectorELNS0_4arch9wavefront6targetE1EEEvSM_ ; -- Begin function _ZN7rocprim17ROCPRIM_400000_NS6detail17trampoline_kernelINS0_14default_configENS1_37merge_sort_block_sort_config_selectorIlNS0_10empty_typeEEEZNS1_21merge_sort_block_sortIS3_PlS8_PS5_S9_ZN2at6native12_GLOBAL__N_124unique_dim_cuda_templateIiEESt5tupleIJNSA_6TensorESF_SF_EERKSF_lbbbEUlllE_EE10hipError_tT0_T1_T2_T3_mRjT4_P12ihipStream_tbNS1_7vsmem_tEEUlT_E_NS1_11comp_targetILNS1_3genE9ELNS1_11target_archE1100ELNS1_3gpuE3ELNS1_3repE0EEENS1_30default_config_static_selectorELNS0_4arch9wavefront6targetE1EEEvSM_
	.p2align	8
	.type	_ZN7rocprim17ROCPRIM_400000_NS6detail17trampoline_kernelINS0_14default_configENS1_37merge_sort_block_sort_config_selectorIlNS0_10empty_typeEEEZNS1_21merge_sort_block_sortIS3_PlS8_PS5_S9_ZN2at6native12_GLOBAL__N_124unique_dim_cuda_templateIiEESt5tupleIJNSA_6TensorESF_SF_EERKSF_lbbbEUlllE_EE10hipError_tT0_T1_T2_T3_mRjT4_P12ihipStream_tbNS1_7vsmem_tEEUlT_E_NS1_11comp_targetILNS1_3genE9ELNS1_11target_archE1100ELNS1_3gpuE3ELNS1_3repE0EEENS1_30default_config_static_selectorELNS0_4arch9wavefront6targetE1EEEvSM_,@function
_ZN7rocprim17ROCPRIM_400000_NS6detail17trampoline_kernelINS0_14default_configENS1_37merge_sort_block_sort_config_selectorIlNS0_10empty_typeEEEZNS1_21merge_sort_block_sortIS3_PlS8_PS5_S9_ZN2at6native12_GLOBAL__N_124unique_dim_cuda_templateIiEESt5tupleIJNSA_6TensorESF_SF_EERKSF_lbbbEUlllE_EE10hipError_tT0_T1_T2_T3_mRjT4_P12ihipStream_tbNS1_7vsmem_tEEUlT_E_NS1_11comp_targetILNS1_3genE9ELNS1_11target_archE1100ELNS1_3gpuE3ELNS1_3repE0EEENS1_30default_config_static_selectorELNS0_4arch9wavefront6targetE1EEEvSM_: ; @_ZN7rocprim17ROCPRIM_400000_NS6detail17trampoline_kernelINS0_14default_configENS1_37merge_sort_block_sort_config_selectorIlNS0_10empty_typeEEEZNS1_21merge_sort_block_sortIS3_PlS8_PS5_S9_ZN2at6native12_GLOBAL__N_124unique_dim_cuda_templateIiEESt5tupleIJNSA_6TensorESF_SF_EERKSF_lbbbEUlllE_EE10hipError_tT0_T1_T2_T3_mRjT4_P12ihipStream_tbNS1_7vsmem_tEEUlT_E_NS1_11comp_targetILNS1_3genE9ELNS1_11target_archE1100ELNS1_3gpuE3ELNS1_3repE0EEENS1_30default_config_static_selectorELNS0_4arch9wavefront6targetE1EEEvSM_
; %bb.0:
	.section	.rodata,"a",@progbits
	.p2align	6, 0x0
	.amdhsa_kernel _ZN7rocprim17ROCPRIM_400000_NS6detail17trampoline_kernelINS0_14default_configENS1_37merge_sort_block_sort_config_selectorIlNS0_10empty_typeEEEZNS1_21merge_sort_block_sortIS3_PlS8_PS5_S9_ZN2at6native12_GLOBAL__N_124unique_dim_cuda_templateIiEESt5tupleIJNSA_6TensorESF_SF_EERKSF_lbbbEUlllE_EE10hipError_tT0_T1_T2_T3_mRjT4_P12ihipStream_tbNS1_7vsmem_tEEUlT_E_NS1_11comp_targetILNS1_3genE9ELNS1_11target_archE1100ELNS1_3gpuE3ELNS1_3repE0EEENS1_30default_config_static_selectorELNS0_4arch9wavefront6targetE1EEEvSM_
		.amdhsa_group_segment_fixed_size 0
		.amdhsa_private_segment_fixed_size 0
		.amdhsa_kernarg_size 72
		.amdhsa_user_sgpr_count 2
		.amdhsa_user_sgpr_dispatch_ptr 0
		.amdhsa_user_sgpr_queue_ptr 0
		.amdhsa_user_sgpr_kernarg_segment_ptr 1
		.amdhsa_user_sgpr_dispatch_id 0
		.amdhsa_user_sgpr_kernarg_preload_length 0
		.amdhsa_user_sgpr_kernarg_preload_offset 0
		.amdhsa_user_sgpr_private_segment_size 0
		.amdhsa_uses_dynamic_stack 0
		.amdhsa_enable_private_segment 0
		.amdhsa_system_sgpr_workgroup_id_x 1
		.amdhsa_system_sgpr_workgroup_id_y 0
		.amdhsa_system_sgpr_workgroup_id_z 0
		.amdhsa_system_sgpr_workgroup_info 0
		.amdhsa_system_vgpr_workitem_id 0
		.amdhsa_next_free_vgpr 1
		.amdhsa_next_free_sgpr 0
		.amdhsa_accum_offset 4
		.amdhsa_reserve_vcc 0
		.amdhsa_float_round_mode_32 0
		.amdhsa_float_round_mode_16_64 0
		.amdhsa_float_denorm_mode_32 3
		.amdhsa_float_denorm_mode_16_64 3
		.amdhsa_dx10_clamp 1
		.amdhsa_ieee_mode 1
		.amdhsa_fp16_overflow 0
		.amdhsa_tg_split 0
		.amdhsa_exception_fp_ieee_invalid_op 0
		.amdhsa_exception_fp_denorm_src 0
		.amdhsa_exception_fp_ieee_div_zero 0
		.amdhsa_exception_fp_ieee_overflow 0
		.amdhsa_exception_fp_ieee_underflow 0
		.amdhsa_exception_fp_ieee_inexact 0
		.amdhsa_exception_int_div_zero 0
	.end_amdhsa_kernel
	.section	.text._ZN7rocprim17ROCPRIM_400000_NS6detail17trampoline_kernelINS0_14default_configENS1_37merge_sort_block_sort_config_selectorIlNS0_10empty_typeEEEZNS1_21merge_sort_block_sortIS3_PlS8_PS5_S9_ZN2at6native12_GLOBAL__N_124unique_dim_cuda_templateIiEESt5tupleIJNSA_6TensorESF_SF_EERKSF_lbbbEUlllE_EE10hipError_tT0_T1_T2_T3_mRjT4_P12ihipStream_tbNS1_7vsmem_tEEUlT_E_NS1_11comp_targetILNS1_3genE9ELNS1_11target_archE1100ELNS1_3gpuE3ELNS1_3repE0EEENS1_30default_config_static_selectorELNS0_4arch9wavefront6targetE1EEEvSM_,"axG",@progbits,_ZN7rocprim17ROCPRIM_400000_NS6detail17trampoline_kernelINS0_14default_configENS1_37merge_sort_block_sort_config_selectorIlNS0_10empty_typeEEEZNS1_21merge_sort_block_sortIS3_PlS8_PS5_S9_ZN2at6native12_GLOBAL__N_124unique_dim_cuda_templateIiEESt5tupleIJNSA_6TensorESF_SF_EERKSF_lbbbEUlllE_EE10hipError_tT0_T1_T2_T3_mRjT4_P12ihipStream_tbNS1_7vsmem_tEEUlT_E_NS1_11comp_targetILNS1_3genE9ELNS1_11target_archE1100ELNS1_3gpuE3ELNS1_3repE0EEENS1_30default_config_static_selectorELNS0_4arch9wavefront6targetE1EEEvSM_,comdat
.Lfunc_end390:
	.size	_ZN7rocprim17ROCPRIM_400000_NS6detail17trampoline_kernelINS0_14default_configENS1_37merge_sort_block_sort_config_selectorIlNS0_10empty_typeEEEZNS1_21merge_sort_block_sortIS3_PlS8_PS5_S9_ZN2at6native12_GLOBAL__N_124unique_dim_cuda_templateIiEESt5tupleIJNSA_6TensorESF_SF_EERKSF_lbbbEUlllE_EE10hipError_tT0_T1_T2_T3_mRjT4_P12ihipStream_tbNS1_7vsmem_tEEUlT_E_NS1_11comp_targetILNS1_3genE9ELNS1_11target_archE1100ELNS1_3gpuE3ELNS1_3repE0EEENS1_30default_config_static_selectorELNS0_4arch9wavefront6targetE1EEEvSM_, .Lfunc_end390-_ZN7rocprim17ROCPRIM_400000_NS6detail17trampoline_kernelINS0_14default_configENS1_37merge_sort_block_sort_config_selectorIlNS0_10empty_typeEEEZNS1_21merge_sort_block_sortIS3_PlS8_PS5_S9_ZN2at6native12_GLOBAL__N_124unique_dim_cuda_templateIiEESt5tupleIJNSA_6TensorESF_SF_EERKSF_lbbbEUlllE_EE10hipError_tT0_T1_T2_T3_mRjT4_P12ihipStream_tbNS1_7vsmem_tEEUlT_E_NS1_11comp_targetILNS1_3genE9ELNS1_11target_archE1100ELNS1_3gpuE3ELNS1_3repE0EEENS1_30default_config_static_selectorELNS0_4arch9wavefront6targetE1EEEvSM_
                                        ; -- End function
	.set _ZN7rocprim17ROCPRIM_400000_NS6detail17trampoline_kernelINS0_14default_configENS1_37merge_sort_block_sort_config_selectorIlNS0_10empty_typeEEEZNS1_21merge_sort_block_sortIS3_PlS8_PS5_S9_ZN2at6native12_GLOBAL__N_124unique_dim_cuda_templateIiEESt5tupleIJNSA_6TensorESF_SF_EERKSF_lbbbEUlllE_EE10hipError_tT0_T1_T2_T3_mRjT4_P12ihipStream_tbNS1_7vsmem_tEEUlT_E_NS1_11comp_targetILNS1_3genE9ELNS1_11target_archE1100ELNS1_3gpuE3ELNS1_3repE0EEENS1_30default_config_static_selectorELNS0_4arch9wavefront6targetE1EEEvSM_.num_vgpr, 0
	.set _ZN7rocprim17ROCPRIM_400000_NS6detail17trampoline_kernelINS0_14default_configENS1_37merge_sort_block_sort_config_selectorIlNS0_10empty_typeEEEZNS1_21merge_sort_block_sortIS3_PlS8_PS5_S9_ZN2at6native12_GLOBAL__N_124unique_dim_cuda_templateIiEESt5tupleIJNSA_6TensorESF_SF_EERKSF_lbbbEUlllE_EE10hipError_tT0_T1_T2_T3_mRjT4_P12ihipStream_tbNS1_7vsmem_tEEUlT_E_NS1_11comp_targetILNS1_3genE9ELNS1_11target_archE1100ELNS1_3gpuE3ELNS1_3repE0EEENS1_30default_config_static_selectorELNS0_4arch9wavefront6targetE1EEEvSM_.num_agpr, 0
	.set _ZN7rocprim17ROCPRIM_400000_NS6detail17trampoline_kernelINS0_14default_configENS1_37merge_sort_block_sort_config_selectorIlNS0_10empty_typeEEEZNS1_21merge_sort_block_sortIS3_PlS8_PS5_S9_ZN2at6native12_GLOBAL__N_124unique_dim_cuda_templateIiEESt5tupleIJNSA_6TensorESF_SF_EERKSF_lbbbEUlllE_EE10hipError_tT0_T1_T2_T3_mRjT4_P12ihipStream_tbNS1_7vsmem_tEEUlT_E_NS1_11comp_targetILNS1_3genE9ELNS1_11target_archE1100ELNS1_3gpuE3ELNS1_3repE0EEENS1_30default_config_static_selectorELNS0_4arch9wavefront6targetE1EEEvSM_.numbered_sgpr, 0
	.set _ZN7rocprim17ROCPRIM_400000_NS6detail17trampoline_kernelINS0_14default_configENS1_37merge_sort_block_sort_config_selectorIlNS0_10empty_typeEEEZNS1_21merge_sort_block_sortIS3_PlS8_PS5_S9_ZN2at6native12_GLOBAL__N_124unique_dim_cuda_templateIiEESt5tupleIJNSA_6TensorESF_SF_EERKSF_lbbbEUlllE_EE10hipError_tT0_T1_T2_T3_mRjT4_P12ihipStream_tbNS1_7vsmem_tEEUlT_E_NS1_11comp_targetILNS1_3genE9ELNS1_11target_archE1100ELNS1_3gpuE3ELNS1_3repE0EEENS1_30default_config_static_selectorELNS0_4arch9wavefront6targetE1EEEvSM_.num_named_barrier, 0
	.set _ZN7rocprim17ROCPRIM_400000_NS6detail17trampoline_kernelINS0_14default_configENS1_37merge_sort_block_sort_config_selectorIlNS0_10empty_typeEEEZNS1_21merge_sort_block_sortIS3_PlS8_PS5_S9_ZN2at6native12_GLOBAL__N_124unique_dim_cuda_templateIiEESt5tupleIJNSA_6TensorESF_SF_EERKSF_lbbbEUlllE_EE10hipError_tT0_T1_T2_T3_mRjT4_P12ihipStream_tbNS1_7vsmem_tEEUlT_E_NS1_11comp_targetILNS1_3genE9ELNS1_11target_archE1100ELNS1_3gpuE3ELNS1_3repE0EEENS1_30default_config_static_selectorELNS0_4arch9wavefront6targetE1EEEvSM_.private_seg_size, 0
	.set _ZN7rocprim17ROCPRIM_400000_NS6detail17trampoline_kernelINS0_14default_configENS1_37merge_sort_block_sort_config_selectorIlNS0_10empty_typeEEEZNS1_21merge_sort_block_sortIS3_PlS8_PS5_S9_ZN2at6native12_GLOBAL__N_124unique_dim_cuda_templateIiEESt5tupleIJNSA_6TensorESF_SF_EERKSF_lbbbEUlllE_EE10hipError_tT0_T1_T2_T3_mRjT4_P12ihipStream_tbNS1_7vsmem_tEEUlT_E_NS1_11comp_targetILNS1_3genE9ELNS1_11target_archE1100ELNS1_3gpuE3ELNS1_3repE0EEENS1_30default_config_static_selectorELNS0_4arch9wavefront6targetE1EEEvSM_.uses_vcc, 0
	.set _ZN7rocprim17ROCPRIM_400000_NS6detail17trampoline_kernelINS0_14default_configENS1_37merge_sort_block_sort_config_selectorIlNS0_10empty_typeEEEZNS1_21merge_sort_block_sortIS3_PlS8_PS5_S9_ZN2at6native12_GLOBAL__N_124unique_dim_cuda_templateIiEESt5tupleIJNSA_6TensorESF_SF_EERKSF_lbbbEUlllE_EE10hipError_tT0_T1_T2_T3_mRjT4_P12ihipStream_tbNS1_7vsmem_tEEUlT_E_NS1_11comp_targetILNS1_3genE9ELNS1_11target_archE1100ELNS1_3gpuE3ELNS1_3repE0EEENS1_30default_config_static_selectorELNS0_4arch9wavefront6targetE1EEEvSM_.uses_flat_scratch, 0
	.set _ZN7rocprim17ROCPRIM_400000_NS6detail17trampoline_kernelINS0_14default_configENS1_37merge_sort_block_sort_config_selectorIlNS0_10empty_typeEEEZNS1_21merge_sort_block_sortIS3_PlS8_PS5_S9_ZN2at6native12_GLOBAL__N_124unique_dim_cuda_templateIiEESt5tupleIJNSA_6TensorESF_SF_EERKSF_lbbbEUlllE_EE10hipError_tT0_T1_T2_T3_mRjT4_P12ihipStream_tbNS1_7vsmem_tEEUlT_E_NS1_11comp_targetILNS1_3genE9ELNS1_11target_archE1100ELNS1_3gpuE3ELNS1_3repE0EEENS1_30default_config_static_selectorELNS0_4arch9wavefront6targetE1EEEvSM_.has_dyn_sized_stack, 0
	.set _ZN7rocprim17ROCPRIM_400000_NS6detail17trampoline_kernelINS0_14default_configENS1_37merge_sort_block_sort_config_selectorIlNS0_10empty_typeEEEZNS1_21merge_sort_block_sortIS3_PlS8_PS5_S9_ZN2at6native12_GLOBAL__N_124unique_dim_cuda_templateIiEESt5tupleIJNSA_6TensorESF_SF_EERKSF_lbbbEUlllE_EE10hipError_tT0_T1_T2_T3_mRjT4_P12ihipStream_tbNS1_7vsmem_tEEUlT_E_NS1_11comp_targetILNS1_3genE9ELNS1_11target_archE1100ELNS1_3gpuE3ELNS1_3repE0EEENS1_30default_config_static_selectorELNS0_4arch9wavefront6targetE1EEEvSM_.has_recursion, 0
	.set _ZN7rocprim17ROCPRIM_400000_NS6detail17trampoline_kernelINS0_14default_configENS1_37merge_sort_block_sort_config_selectorIlNS0_10empty_typeEEEZNS1_21merge_sort_block_sortIS3_PlS8_PS5_S9_ZN2at6native12_GLOBAL__N_124unique_dim_cuda_templateIiEESt5tupleIJNSA_6TensorESF_SF_EERKSF_lbbbEUlllE_EE10hipError_tT0_T1_T2_T3_mRjT4_P12ihipStream_tbNS1_7vsmem_tEEUlT_E_NS1_11comp_targetILNS1_3genE9ELNS1_11target_archE1100ELNS1_3gpuE3ELNS1_3repE0EEENS1_30default_config_static_selectorELNS0_4arch9wavefront6targetE1EEEvSM_.has_indirect_call, 0
	.section	.AMDGPU.csdata,"",@progbits
; Kernel info:
; codeLenInByte = 0
; TotalNumSgprs: 6
; NumVgprs: 0
; NumAgprs: 0
; TotalNumVgprs: 0
; ScratchSize: 0
; MemoryBound: 0
; FloatMode: 240
; IeeeMode: 1
; LDSByteSize: 0 bytes/workgroup (compile time only)
; SGPRBlocks: 0
; VGPRBlocks: 0
; NumSGPRsForWavesPerEU: 6
; NumVGPRsForWavesPerEU: 1
; AccumOffset: 4
; Occupancy: 8
; WaveLimiterHint : 0
; COMPUTE_PGM_RSRC2:SCRATCH_EN: 0
; COMPUTE_PGM_RSRC2:USER_SGPR: 2
; COMPUTE_PGM_RSRC2:TRAP_HANDLER: 0
; COMPUTE_PGM_RSRC2:TGID_X_EN: 1
; COMPUTE_PGM_RSRC2:TGID_Y_EN: 0
; COMPUTE_PGM_RSRC2:TGID_Z_EN: 0
; COMPUTE_PGM_RSRC2:TIDIG_COMP_CNT: 0
; COMPUTE_PGM_RSRC3_GFX90A:ACCUM_OFFSET: 0
; COMPUTE_PGM_RSRC3_GFX90A:TG_SPLIT: 0
	.section	.text._ZN7rocprim17ROCPRIM_400000_NS6detail17trampoline_kernelINS0_14default_configENS1_37merge_sort_block_sort_config_selectorIlNS0_10empty_typeEEEZNS1_21merge_sort_block_sortIS3_PlS8_PS5_S9_ZN2at6native12_GLOBAL__N_124unique_dim_cuda_templateIiEESt5tupleIJNSA_6TensorESF_SF_EERKSF_lbbbEUlllE_EE10hipError_tT0_T1_T2_T3_mRjT4_P12ihipStream_tbNS1_7vsmem_tEEUlT_E_NS1_11comp_targetILNS1_3genE8ELNS1_11target_archE1030ELNS1_3gpuE2ELNS1_3repE0EEENS1_30default_config_static_selectorELNS0_4arch9wavefront6targetE1EEEvSM_,"axG",@progbits,_ZN7rocprim17ROCPRIM_400000_NS6detail17trampoline_kernelINS0_14default_configENS1_37merge_sort_block_sort_config_selectorIlNS0_10empty_typeEEEZNS1_21merge_sort_block_sortIS3_PlS8_PS5_S9_ZN2at6native12_GLOBAL__N_124unique_dim_cuda_templateIiEESt5tupleIJNSA_6TensorESF_SF_EERKSF_lbbbEUlllE_EE10hipError_tT0_T1_T2_T3_mRjT4_P12ihipStream_tbNS1_7vsmem_tEEUlT_E_NS1_11comp_targetILNS1_3genE8ELNS1_11target_archE1030ELNS1_3gpuE2ELNS1_3repE0EEENS1_30default_config_static_selectorELNS0_4arch9wavefront6targetE1EEEvSM_,comdat
	.globl	_ZN7rocprim17ROCPRIM_400000_NS6detail17trampoline_kernelINS0_14default_configENS1_37merge_sort_block_sort_config_selectorIlNS0_10empty_typeEEEZNS1_21merge_sort_block_sortIS3_PlS8_PS5_S9_ZN2at6native12_GLOBAL__N_124unique_dim_cuda_templateIiEESt5tupleIJNSA_6TensorESF_SF_EERKSF_lbbbEUlllE_EE10hipError_tT0_T1_T2_T3_mRjT4_P12ihipStream_tbNS1_7vsmem_tEEUlT_E_NS1_11comp_targetILNS1_3genE8ELNS1_11target_archE1030ELNS1_3gpuE2ELNS1_3repE0EEENS1_30default_config_static_selectorELNS0_4arch9wavefront6targetE1EEEvSM_ ; -- Begin function _ZN7rocprim17ROCPRIM_400000_NS6detail17trampoline_kernelINS0_14default_configENS1_37merge_sort_block_sort_config_selectorIlNS0_10empty_typeEEEZNS1_21merge_sort_block_sortIS3_PlS8_PS5_S9_ZN2at6native12_GLOBAL__N_124unique_dim_cuda_templateIiEESt5tupleIJNSA_6TensorESF_SF_EERKSF_lbbbEUlllE_EE10hipError_tT0_T1_T2_T3_mRjT4_P12ihipStream_tbNS1_7vsmem_tEEUlT_E_NS1_11comp_targetILNS1_3genE8ELNS1_11target_archE1030ELNS1_3gpuE2ELNS1_3repE0EEENS1_30default_config_static_selectorELNS0_4arch9wavefront6targetE1EEEvSM_
	.p2align	8
	.type	_ZN7rocprim17ROCPRIM_400000_NS6detail17trampoline_kernelINS0_14default_configENS1_37merge_sort_block_sort_config_selectorIlNS0_10empty_typeEEEZNS1_21merge_sort_block_sortIS3_PlS8_PS5_S9_ZN2at6native12_GLOBAL__N_124unique_dim_cuda_templateIiEESt5tupleIJNSA_6TensorESF_SF_EERKSF_lbbbEUlllE_EE10hipError_tT0_T1_T2_T3_mRjT4_P12ihipStream_tbNS1_7vsmem_tEEUlT_E_NS1_11comp_targetILNS1_3genE8ELNS1_11target_archE1030ELNS1_3gpuE2ELNS1_3repE0EEENS1_30default_config_static_selectorELNS0_4arch9wavefront6targetE1EEEvSM_,@function
_ZN7rocprim17ROCPRIM_400000_NS6detail17trampoline_kernelINS0_14default_configENS1_37merge_sort_block_sort_config_selectorIlNS0_10empty_typeEEEZNS1_21merge_sort_block_sortIS3_PlS8_PS5_S9_ZN2at6native12_GLOBAL__N_124unique_dim_cuda_templateIiEESt5tupleIJNSA_6TensorESF_SF_EERKSF_lbbbEUlllE_EE10hipError_tT0_T1_T2_T3_mRjT4_P12ihipStream_tbNS1_7vsmem_tEEUlT_E_NS1_11comp_targetILNS1_3genE8ELNS1_11target_archE1030ELNS1_3gpuE2ELNS1_3repE0EEENS1_30default_config_static_selectorELNS0_4arch9wavefront6targetE1EEEvSM_: ; @_ZN7rocprim17ROCPRIM_400000_NS6detail17trampoline_kernelINS0_14default_configENS1_37merge_sort_block_sort_config_selectorIlNS0_10empty_typeEEEZNS1_21merge_sort_block_sortIS3_PlS8_PS5_S9_ZN2at6native12_GLOBAL__N_124unique_dim_cuda_templateIiEESt5tupleIJNSA_6TensorESF_SF_EERKSF_lbbbEUlllE_EE10hipError_tT0_T1_T2_T3_mRjT4_P12ihipStream_tbNS1_7vsmem_tEEUlT_E_NS1_11comp_targetILNS1_3genE8ELNS1_11target_archE1030ELNS1_3gpuE2ELNS1_3repE0EEENS1_30default_config_static_selectorELNS0_4arch9wavefront6targetE1EEEvSM_
; %bb.0:
	.section	.rodata,"a",@progbits
	.p2align	6, 0x0
	.amdhsa_kernel _ZN7rocprim17ROCPRIM_400000_NS6detail17trampoline_kernelINS0_14default_configENS1_37merge_sort_block_sort_config_selectorIlNS0_10empty_typeEEEZNS1_21merge_sort_block_sortIS3_PlS8_PS5_S9_ZN2at6native12_GLOBAL__N_124unique_dim_cuda_templateIiEESt5tupleIJNSA_6TensorESF_SF_EERKSF_lbbbEUlllE_EE10hipError_tT0_T1_T2_T3_mRjT4_P12ihipStream_tbNS1_7vsmem_tEEUlT_E_NS1_11comp_targetILNS1_3genE8ELNS1_11target_archE1030ELNS1_3gpuE2ELNS1_3repE0EEENS1_30default_config_static_selectorELNS0_4arch9wavefront6targetE1EEEvSM_
		.amdhsa_group_segment_fixed_size 0
		.amdhsa_private_segment_fixed_size 0
		.amdhsa_kernarg_size 72
		.amdhsa_user_sgpr_count 2
		.amdhsa_user_sgpr_dispatch_ptr 0
		.amdhsa_user_sgpr_queue_ptr 0
		.amdhsa_user_sgpr_kernarg_segment_ptr 1
		.amdhsa_user_sgpr_dispatch_id 0
		.amdhsa_user_sgpr_kernarg_preload_length 0
		.amdhsa_user_sgpr_kernarg_preload_offset 0
		.amdhsa_user_sgpr_private_segment_size 0
		.amdhsa_uses_dynamic_stack 0
		.amdhsa_enable_private_segment 0
		.amdhsa_system_sgpr_workgroup_id_x 1
		.amdhsa_system_sgpr_workgroup_id_y 0
		.amdhsa_system_sgpr_workgroup_id_z 0
		.amdhsa_system_sgpr_workgroup_info 0
		.amdhsa_system_vgpr_workitem_id 0
		.amdhsa_next_free_vgpr 1
		.amdhsa_next_free_sgpr 0
		.amdhsa_accum_offset 4
		.amdhsa_reserve_vcc 0
		.amdhsa_float_round_mode_32 0
		.amdhsa_float_round_mode_16_64 0
		.amdhsa_float_denorm_mode_32 3
		.amdhsa_float_denorm_mode_16_64 3
		.amdhsa_dx10_clamp 1
		.amdhsa_ieee_mode 1
		.amdhsa_fp16_overflow 0
		.amdhsa_tg_split 0
		.amdhsa_exception_fp_ieee_invalid_op 0
		.amdhsa_exception_fp_denorm_src 0
		.amdhsa_exception_fp_ieee_div_zero 0
		.amdhsa_exception_fp_ieee_overflow 0
		.amdhsa_exception_fp_ieee_underflow 0
		.amdhsa_exception_fp_ieee_inexact 0
		.amdhsa_exception_int_div_zero 0
	.end_amdhsa_kernel
	.section	.text._ZN7rocprim17ROCPRIM_400000_NS6detail17trampoline_kernelINS0_14default_configENS1_37merge_sort_block_sort_config_selectorIlNS0_10empty_typeEEEZNS1_21merge_sort_block_sortIS3_PlS8_PS5_S9_ZN2at6native12_GLOBAL__N_124unique_dim_cuda_templateIiEESt5tupleIJNSA_6TensorESF_SF_EERKSF_lbbbEUlllE_EE10hipError_tT0_T1_T2_T3_mRjT4_P12ihipStream_tbNS1_7vsmem_tEEUlT_E_NS1_11comp_targetILNS1_3genE8ELNS1_11target_archE1030ELNS1_3gpuE2ELNS1_3repE0EEENS1_30default_config_static_selectorELNS0_4arch9wavefront6targetE1EEEvSM_,"axG",@progbits,_ZN7rocprim17ROCPRIM_400000_NS6detail17trampoline_kernelINS0_14default_configENS1_37merge_sort_block_sort_config_selectorIlNS0_10empty_typeEEEZNS1_21merge_sort_block_sortIS3_PlS8_PS5_S9_ZN2at6native12_GLOBAL__N_124unique_dim_cuda_templateIiEESt5tupleIJNSA_6TensorESF_SF_EERKSF_lbbbEUlllE_EE10hipError_tT0_T1_T2_T3_mRjT4_P12ihipStream_tbNS1_7vsmem_tEEUlT_E_NS1_11comp_targetILNS1_3genE8ELNS1_11target_archE1030ELNS1_3gpuE2ELNS1_3repE0EEENS1_30default_config_static_selectorELNS0_4arch9wavefront6targetE1EEEvSM_,comdat
.Lfunc_end391:
	.size	_ZN7rocprim17ROCPRIM_400000_NS6detail17trampoline_kernelINS0_14default_configENS1_37merge_sort_block_sort_config_selectorIlNS0_10empty_typeEEEZNS1_21merge_sort_block_sortIS3_PlS8_PS5_S9_ZN2at6native12_GLOBAL__N_124unique_dim_cuda_templateIiEESt5tupleIJNSA_6TensorESF_SF_EERKSF_lbbbEUlllE_EE10hipError_tT0_T1_T2_T3_mRjT4_P12ihipStream_tbNS1_7vsmem_tEEUlT_E_NS1_11comp_targetILNS1_3genE8ELNS1_11target_archE1030ELNS1_3gpuE2ELNS1_3repE0EEENS1_30default_config_static_selectorELNS0_4arch9wavefront6targetE1EEEvSM_, .Lfunc_end391-_ZN7rocprim17ROCPRIM_400000_NS6detail17trampoline_kernelINS0_14default_configENS1_37merge_sort_block_sort_config_selectorIlNS0_10empty_typeEEEZNS1_21merge_sort_block_sortIS3_PlS8_PS5_S9_ZN2at6native12_GLOBAL__N_124unique_dim_cuda_templateIiEESt5tupleIJNSA_6TensorESF_SF_EERKSF_lbbbEUlllE_EE10hipError_tT0_T1_T2_T3_mRjT4_P12ihipStream_tbNS1_7vsmem_tEEUlT_E_NS1_11comp_targetILNS1_3genE8ELNS1_11target_archE1030ELNS1_3gpuE2ELNS1_3repE0EEENS1_30default_config_static_selectorELNS0_4arch9wavefront6targetE1EEEvSM_
                                        ; -- End function
	.set _ZN7rocprim17ROCPRIM_400000_NS6detail17trampoline_kernelINS0_14default_configENS1_37merge_sort_block_sort_config_selectorIlNS0_10empty_typeEEEZNS1_21merge_sort_block_sortIS3_PlS8_PS5_S9_ZN2at6native12_GLOBAL__N_124unique_dim_cuda_templateIiEESt5tupleIJNSA_6TensorESF_SF_EERKSF_lbbbEUlllE_EE10hipError_tT0_T1_T2_T3_mRjT4_P12ihipStream_tbNS1_7vsmem_tEEUlT_E_NS1_11comp_targetILNS1_3genE8ELNS1_11target_archE1030ELNS1_3gpuE2ELNS1_3repE0EEENS1_30default_config_static_selectorELNS0_4arch9wavefront6targetE1EEEvSM_.num_vgpr, 0
	.set _ZN7rocprim17ROCPRIM_400000_NS6detail17trampoline_kernelINS0_14default_configENS1_37merge_sort_block_sort_config_selectorIlNS0_10empty_typeEEEZNS1_21merge_sort_block_sortIS3_PlS8_PS5_S9_ZN2at6native12_GLOBAL__N_124unique_dim_cuda_templateIiEESt5tupleIJNSA_6TensorESF_SF_EERKSF_lbbbEUlllE_EE10hipError_tT0_T1_T2_T3_mRjT4_P12ihipStream_tbNS1_7vsmem_tEEUlT_E_NS1_11comp_targetILNS1_3genE8ELNS1_11target_archE1030ELNS1_3gpuE2ELNS1_3repE0EEENS1_30default_config_static_selectorELNS0_4arch9wavefront6targetE1EEEvSM_.num_agpr, 0
	.set _ZN7rocprim17ROCPRIM_400000_NS6detail17trampoline_kernelINS0_14default_configENS1_37merge_sort_block_sort_config_selectorIlNS0_10empty_typeEEEZNS1_21merge_sort_block_sortIS3_PlS8_PS5_S9_ZN2at6native12_GLOBAL__N_124unique_dim_cuda_templateIiEESt5tupleIJNSA_6TensorESF_SF_EERKSF_lbbbEUlllE_EE10hipError_tT0_T1_T2_T3_mRjT4_P12ihipStream_tbNS1_7vsmem_tEEUlT_E_NS1_11comp_targetILNS1_3genE8ELNS1_11target_archE1030ELNS1_3gpuE2ELNS1_3repE0EEENS1_30default_config_static_selectorELNS0_4arch9wavefront6targetE1EEEvSM_.numbered_sgpr, 0
	.set _ZN7rocprim17ROCPRIM_400000_NS6detail17trampoline_kernelINS0_14default_configENS1_37merge_sort_block_sort_config_selectorIlNS0_10empty_typeEEEZNS1_21merge_sort_block_sortIS3_PlS8_PS5_S9_ZN2at6native12_GLOBAL__N_124unique_dim_cuda_templateIiEESt5tupleIJNSA_6TensorESF_SF_EERKSF_lbbbEUlllE_EE10hipError_tT0_T1_T2_T3_mRjT4_P12ihipStream_tbNS1_7vsmem_tEEUlT_E_NS1_11comp_targetILNS1_3genE8ELNS1_11target_archE1030ELNS1_3gpuE2ELNS1_3repE0EEENS1_30default_config_static_selectorELNS0_4arch9wavefront6targetE1EEEvSM_.num_named_barrier, 0
	.set _ZN7rocprim17ROCPRIM_400000_NS6detail17trampoline_kernelINS0_14default_configENS1_37merge_sort_block_sort_config_selectorIlNS0_10empty_typeEEEZNS1_21merge_sort_block_sortIS3_PlS8_PS5_S9_ZN2at6native12_GLOBAL__N_124unique_dim_cuda_templateIiEESt5tupleIJNSA_6TensorESF_SF_EERKSF_lbbbEUlllE_EE10hipError_tT0_T1_T2_T3_mRjT4_P12ihipStream_tbNS1_7vsmem_tEEUlT_E_NS1_11comp_targetILNS1_3genE8ELNS1_11target_archE1030ELNS1_3gpuE2ELNS1_3repE0EEENS1_30default_config_static_selectorELNS0_4arch9wavefront6targetE1EEEvSM_.private_seg_size, 0
	.set _ZN7rocprim17ROCPRIM_400000_NS6detail17trampoline_kernelINS0_14default_configENS1_37merge_sort_block_sort_config_selectorIlNS0_10empty_typeEEEZNS1_21merge_sort_block_sortIS3_PlS8_PS5_S9_ZN2at6native12_GLOBAL__N_124unique_dim_cuda_templateIiEESt5tupleIJNSA_6TensorESF_SF_EERKSF_lbbbEUlllE_EE10hipError_tT0_T1_T2_T3_mRjT4_P12ihipStream_tbNS1_7vsmem_tEEUlT_E_NS1_11comp_targetILNS1_3genE8ELNS1_11target_archE1030ELNS1_3gpuE2ELNS1_3repE0EEENS1_30default_config_static_selectorELNS0_4arch9wavefront6targetE1EEEvSM_.uses_vcc, 0
	.set _ZN7rocprim17ROCPRIM_400000_NS6detail17trampoline_kernelINS0_14default_configENS1_37merge_sort_block_sort_config_selectorIlNS0_10empty_typeEEEZNS1_21merge_sort_block_sortIS3_PlS8_PS5_S9_ZN2at6native12_GLOBAL__N_124unique_dim_cuda_templateIiEESt5tupleIJNSA_6TensorESF_SF_EERKSF_lbbbEUlllE_EE10hipError_tT0_T1_T2_T3_mRjT4_P12ihipStream_tbNS1_7vsmem_tEEUlT_E_NS1_11comp_targetILNS1_3genE8ELNS1_11target_archE1030ELNS1_3gpuE2ELNS1_3repE0EEENS1_30default_config_static_selectorELNS0_4arch9wavefront6targetE1EEEvSM_.uses_flat_scratch, 0
	.set _ZN7rocprim17ROCPRIM_400000_NS6detail17trampoline_kernelINS0_14default_configENS1_37merge_sort_block_sort_config_selectorIlNS0_10empty_typeEEEZNS1_21merge_sort_block_sortIS3_PlS8_PS5_S9_ZN2at6native12_GLOBAL__N_124unique_dim_cuda_templateIiEESt5tupleIJNSA_6TensorESF_SF_EERKSF_lbbbEUlllE_EE10hipError_tT0_T1_T2_T3_mRjT4_P12ihipStream_tbNS1_7vsmem_tEEUlT_E_NS1_11comp_targetILNS1_3genE8ELNS1_11target_archE1030ELNS1_3gpuE2ELNS1_3repE0EEENS1_30default_config_static_selectorELNS0_4arch9wavefront6targetE1EEEvSM_.has_dyn_sized_stack, 0
	.set _ZN7rocprim17ROCPRIM_400000_NS6detail17trampoline_kernelINS0_14default_configENS1_37merge_sort_block_sort_config_selectorIlNS0_10empty_typeEEEZNS1_21merge_sort_block_sortIS3_PlS8_PS5_S9_ZN2at6native12_GLOBAL__N_124unique_dim_cuda_templateIiEESt5tupleIJNSA_6TensorESF_SF_EERKSF_lbbbEUlllE_EE10hipError_tT0_T1_T2_T3_mRjT4_P12ihipStream_tbNS1_7vsmem_tEEUlT_E_NS1_11comp_targetILNS1_3genE8ELNS1_11target_archE1030ELNS1_3gpuE2ELNS1_3repE0EEENS1_30default_config_static_selectorELNS0_4arch9wavefront6targetE1EEEvSM_.has_recursion, 0
	.set _ZN7rocprim17ROCPRIM_400000_NS6detail17trampoline_kernelINS0_14default_configENS1_37merge_sort_block_sort_config_selectorIlNS0_10empty_typeEEEZNS1_21merge_sort_block_sortIS3_PlS8_PS5_S9_ZN2at6native12_GLOBAL__N_124unique_dim_cuda_templateIiEESt5tupleIJNSA_6TensorESF_SF_EERKSF_lbbbEUlllE_EE10hipError_tT0_T1_T2_T3_mRjT4_P12ihipStream_tbNS1_7vsmem_tEEUlT_E_NS1_11comp_targetILNS1_3genE8ELNS1_11target_archE1030ELNS1_3gpuE2ELNS1_3repE0EEENS1_30default_config_static_selectorELNS0_4arch9wavefront6targetE1EEEvSM_.has_indirect_call, 0
	.section	.AMDGPU.csdata,"",@progbits
; Kernel info:
; codeLenInByte = 0
; TotalNumSgprs: 6
; NumVgprs: 0
; NumAgprs: 0
; TotalNumVgprs: 0
; ScratchSize: 0
; MemoryBound: 0
; FloatMode: 240
; IeeeMode: 1
; LDSByteSize: 0 bytes/workgroup (compile time only)
; SGPRBlocks: 0
; VGPRBlocks: 0
; NumSGPRsForWavesPerEU: 6
; NumVGPRsForWavesPerEU: 1
; AccumOffset: 4
; Occupancy: 8
; WaveLimiterHint : 0
; COMPUTE_PGM_RSRC2:SCRATCH_EN: 0
; COMPUTE_PGM_RSRC2:USER_SGPR: 2
; COMPUTE_PGM_RSRC2:TRAP_HANDLER: 0
; COMPUTE_PGM_RSRC2:TGID_X_EN: 1
; COMPUTE_PGM_RSRC2:TGID_Y_EN: 0
; COMPUTE_PGM_RSRC2:TGID_Z_EN: 0
; COMPUTE_PGM_RSRC2:TIDIG_COMP_CNT: 0
; COMPUTE_PGM_RSRC3_GFX90A:ACCUM_OFFSET: 0
; COMPUTE_PGM_RSRC3_GFX90A:TG_SPLIT: 0
	.section	.text._ZN7rocprim17ROCPRIM_400000_NS6detail17trampoline_kernelINS0_14default_configENS1_38merge_sort_block_merge_config_selectorIlNS0_10empty_typeEEEZZNS1_27merge_sort_block_merge_implIS3_PlPS5_mZN2at6native12_GLOBAL__N_124unique_dim_cuda_templateIiEESt5tupleIJNSA_6TensorESF_SF_EERKSF_lbbbEUlllE_EE10hipError_tT0_T1_T2_jT3_P12ihipStream_tbPNSt15iterator_traitsISL_E10value_typeEPNSR_ISM_E10value_typeEPSN_NS1_7vsmem_tEENKUlT_SL_SM_SN_E_clIS8_S8_S9_S9_EESK_S10_SL_SM_SN_EUlS10_E_NS1_11comp_targetILNS1_3genE0ELNS1_11target_archE4294967295ELNS1_3gpuE0ELNS1_3repE0EEENS1_48merge_mergepath_partition_config_static_selectorELNS0_4arch9wavefront6targetE1EEEvSM_,"axG",@progbits,_ZN7rocprim17ROCPRIM_400000_NS6detail17trampoline_kernelINS0_14default_configENS1_38merge_sort_block_merge_config_selectorIlNS0_10empty_typeEEEZZNS1_27merge_sort_block_merge_implIS3_PlPS5_mZN2at6native12_GLOBAL__N_124unique_dim_cuda_templateIiEESt5tupleIJNSA_6TensorESF_SF_EERKSF_lbbbEUlllE_EE10hipError_tT0_T1_T2_jT3_P12ihipStream_tbPNSt15iterator_traitsISL_E10value_typeEPNSR_ISM_E10value_typeEPSN_NS1_7vsmem_tEENKUlT_SL_SM_SN_E_clIS8_S8_S9_S9_EESK_S10_SL_SM_SN_EUlS10_E_NS1_11comp_targetILNS1_3genE0ELNS1_11target_archE4294967295ELNS1_3gpuE0ELNS1_3repE0EEENS1_48merge_mergepath_partition_config_static_selectorELNS0_4arch9wavefront6targetE1EEEvSM_,comdat
	.globl	_ZN7rocprim17ROCPRIM_400000_NS6detail17trampoline_kernelINS0_14default_configENS1_38merge_sort_block_merge_config_selectorIlNS0_10empty_typeEEEZZNS1_27merge_sort_block_merge_implIS3_PlPS5_mZN2at6native12_GLOBAL__N_124unique_dim_cuda_templateIiEESt5tupleIJNSA_6TensorESF_SF_EERKSF_lbbbEUlllE_EE10hipError_tT0_T1_T2_jT3_P12ihipStream_tbPNSt15iterator_traitsISL_E10value_typeEPNSR_ISM_E10value_typeEPSN_NS1_7vsmem_tEENKUlT_SL_SM_SN_E_clIS8_S8_S9_S9_EESK_S10_SL_SM_SN_EUlS10_E_NS1_11comp_targetILNS1_3genE0ELNS1_11target_archE4294967295ELNS1_3gpuE0ELNS1_3repE0EEENS1_48merge_mergepath_partition_config_static_selectorELNS0_4arch9wavefront6targetE1EEEvSM_ ; -- Begin function _ZN7rocprim17ROCPRIM_400000_NS6detail17trampoline_kernelINS0_14default_configENS1_38merge_sort_block_merge_config_selectorIlNS0_10empty_typeEEEZZNS1_27merge_sort_block_merge_implIS3_PlPS5_mZN2at6native12_GLOBAL__N_124unique_dim_cuda_templateIiEESt5tupleIJNSA_6TensorESF_SF_EERKSF_lbbbEUlllE_EE10hipError_tT0_T1_T2_jT3_P12ihipStream_tbPNSt15iterator_traitsISL_E10value_typeEPNSR_ISM_E10value_typeEPSN_NS1_7vsmem_tEENKUlT_SL_SM_SN_E_clIS8_S8_S9_S9_EESK_S10_SL_SM_SN_EUlS10_E_NS1_11comp_targetILNS1_3genE0ELNS1_11target_archE4294967295ELNS1_3gpuE0ELNS1_3repE0EEENS1_48merge_mergepath_partition_config_static_selectorELNS0_4arch9wavefront6targetE1EEEvSM_
	.p2align	8
	.type	_ZN7rocprim17ROCPRIM_400000_NS6detail17trampoline_kernelINS0_14default_configENS1_38merge_sort_block_merge_config_selectorIlNS0_10empty_typeEEEZZNS1_27merge_sort_block_merge_implIS3_PlPS5_mZN2at6native12_GLOBAL__N_124unique_dim_cuda_templateIiEESt5tupleIJNSA_6TensorESF_SF_EERKSF_lbbbEUlllE_EE10hipError_tT0_T1_T2_jT3_P12ihipStream_tbPNSt15iterator_traitsISL_E10value_typeEPNSR_ISM_E10value_typeEPSN_NS1_7vsmem_tEENKUlT_SL_SM_SN_E_clIS8_S8_S9_S9_EESK_S10_SL_SM_SN_EUlS10_E_NS1_11comp_targetILNS1_3genE0ELNS1_11target_archE4294967295ELNS1_3gpuE0ELNS1_3repE0EEENS1_48merge_mergepath_partition_config_static_selectorELNS0_4arch9wavefront6targetE1EEEvSM_,@function
_ZN7rocprim17ROCPRIM_400000_NS6detail17trampoline_kernelINS0_14default_configENS1_38merge_sort_block_merge_config_selectorIlNS0_10empty_typeEEEZZNS1_27merge_sort_block_merge_implIS3_PlPS5_mZN2at6native12_GLOBAL__N_124unique_dim_cuda_templateIiEESt5tupleIJNSA_6TensorESF_SF_EERKSF_lbbbEUlllE_EE10hipError_tT0_T1_T2_jT3_P12ihipStream_tbPNSt15iterator_traitsISL_E10value_typeEPNSR_ISM_E10value_typeEPSN_NS1_7vsmem_tEENKUlT_SL_SM_SN_E_clIS8_S8_S9_S9_EESK_S10_SL_SM_SN_EUlS10_E_NS1_11comp_targetILNS1_3genE0ELNS1_11target_archE4294967295ELNS1_3gpuE0ELNS1_3repE0EEENS1_48merge_mergepath_partition_config_static_selectorELNS0_4arch9wavefront6targetE1EEEvSM_: ; @_ZN7rocprim17ROCPRIM_400000_NS6detail17trampoline_kernelINS0_14default_configENS1_38merge_sort_block_merge_config_selectorIlNS0_10empty_typeEEEZZNS1_27merge_sort_block_merge_implIS3_PlPS5_mZN2at6native12_GLOBAL__N_124unique_dim_cuda_templateIiEESt5tupleIJNSA_6TensorESF_SF_EERKSF_lbbbEUlllE_EE10hipError_tT0_T1_T2_jT3_P12ihipStream_tbPNSt15iterator_traitsISL_E10value_typeEPNSR_ISM_E10value_typeEPSN_NS1_7vsmem_tEENKUlT_SL_SM_SN_E_clIS8_S8_S9_S9_EESK_S10_SL_SM_SN_EUlS10_E_NS1_11comp_targetILNS1_3genE0ELNS1_11target_archE4294967295ELNS1_3gpuE0ELNS1_3repE0EEENS1_48merge_mergepath_partition_config_static_selectorELNS0_4arch9wavefront6targetE1EEEvSM_
; %bb.0:
	s_load_dword s3, s[0:1], 0x0
	v_lshl_or_b32 v0, s2, 7, v0
	s_waitcnt lgkmcnt(0)
	v_cmp_gt_u32_e32 vcc, s3, v0
	s_and_saveexec_b64 s[2:3], vcc
	s_cbranch_execz .LBB392_12
; %bb.1:
	s_load_dwordx4 s[12:15], s[0:1], 0x8
	s_load_dwordx8 s[4:11], s[0:1], 0x18
	v_mov_b32_e32 v5, 0
	v_mov_b32_e32 v7, v5
	s_waitcnt lgkmcnt(0)
	s_lshr_b64 s[0:1], s[12:13], 9
	s_and_b32 s0, s0, -2
	s_add_i32 s1, s0, -1
	s_sub_i32 s0, 0, s0
	v_and_b32_e32 v4, s0, v0
	v_lshlrev_b64 v[8:9], 10, v[4:5]
	v_mov_b32_e32 v1, s15
	v_cmp_lt_u64_e32 vcc, s[14:15], v[8:9]
	v_mov_b32_e32 v4, s14
	v_and_b32_e32 v6, s1, v0
	v_cndmask_b32_e32 v3, v9, v1, vcc
	v_cndmask_b32_e32 v2, v8, v4, vcc
	v_lshl_add_u64 v[8:9], v[8:9], 0, s[12:13]
	v_cmp_lt_u64_e32 vcc, s[14:15], v[8:9]
	s_nop 1
	v_cndmask_b32_e32 v11, v9, v1, vcc
	v_cndmask_b32_e32 v10, v8, v4, vcc
	v_lshl_add_u64 v[8:9], v[10:11], 0, s[12:13]
	v_cmp_lt_u64_e32 vcc, s[14:15], v[8:9]
	s_nop 1
	v_cndmask_b32_e32 v14, v8, v4, vcc
	v_cndmask_b32_e32 v1, v9, v1, vcc
	v_sub_co_u32_e32 v8, vcc, v14, v2
	v_lshlrev_b64 v[4:5], 10, v[6:7]
	s_nop 0
	v_subb_co_u32_e32 v9, vcc, v1, v3, vcc
	v_cmp_lt_u64_e32 vcc, v[8:9], v[4:5]
	s_nop 1
	v_cndmask_b32_e32 v13, v5, v9, vcc
	v_cndmask_b32_e32 v12, v4, v8, vcc
	v_sub_co_u32_e32 v6, vcc, v10, v2
	s_nop 1
	v_subb_co_u32_e32 v7, vcc, v11, v3, vcc
	v_sub_co_u32_e32 v4, vcc, v10, v14
	s_nop 1
	v_subb_co_u32_e32 v5, vcc, v11, v1, vcc
	v_lshl_add_u64 v[4:5], v[12:13], 0, v[4:5]
	v_cmp_gt_u64_e32 vcc, v[4:5], v[12:13]
	s_nop 1
	v_cndmask_b32_e64 v5, v5, 0, vcc
	v_cndmask_b32_e64 v4, v4, 0, vcc
	v_cmp_lt_u64_e32 vcc, v[12:13], v[6:7]
	s_nop 1
	v_cndmask_b32_e32 v7, v7, v13, vcc
	v_cndmask_b32_e32 v6, v6, v12, vcc
	v_cmp_lt_u64_e32 vcc, v[4:5], v[6:7]
	s_and_saveexec_b64 s[12:13], vcc
	s_cbranch_execz .LBB392_11
; %bb.2:
	v_cmp_gt_i64_e64 s[0:1], s[6:7], 0
	v_lshl_add_u64 v[10:11], v[10:11], 3, s[4:5]
	v_lshl_add_u64 v[8:9], v[2:3], 3, s[4:5]
	v_cndmask_b32_e64 v1, 0, 1, s[0:1]
	v_lshl_add_u64 v[10:11], v[12:13], 3, v[10:11]
	s_mov_b64 s[14:15], 0
	s_lshl_b64 s[16:17], s[6:7], 2
	v_cmp_ne_u32_e64 s[0:1], 1, v1
	s_branch .LBB392_5
.LBB392_3:                              ;   in Loop: Header=BB392_5 Depth=1
	s_or_b64 exec, exec, s[20:21]
.LBB392_4:                              ;   in Loop: Header=BB392_5 Depth=1
	v_lshl_add_u64 v[14:15], v[12:13], 0, 1
	v_cndmask_b32_e64 v7, v7, v13, s[18:19]
	v_cndmask_b32_e64 v6, v6, v12, s[18:19]
	;; [unrolled: 1-line block ×4, first 2 shown]
	v_cmp_ge_u64_e32 vcc, v[4:5], v[6:7]
	s_or_b64 s[14:15], vcc, s[14:15]
	s_andn2_b64 exec, exec, s[14:15]
	s_cbranch_execz .LBB392_10
.LBB392_5:                              ; =>This Loop Header: Depth=1
                                        ;     Child Loop BB392_8 Depth 2
	v_lshl_add_u64 v[12:13], v[6:7], 0, v[4:5]
	v_lshrrev_b64 v[12:13], 1, v[12:13]
	s_and_b64 vcc, exec, s[0:1]
	s_mov_b64 s[18:19], 0
	s_cbranch_vccnz .LBB392_4
; %bb.6:                                ;   in Loop: Header=BB392_5 Depth=1
	v_not_b32_e32 v15, v13
	v_not_b32_e32 v14, v12
	v_lshl_add_u64 v[14:15], v[14:15], 3, v[10:11]
	v_lshl_add_u64 v[16:17], v[12:13], 3, v[8:9]
	global_load_dwordx2 v[14:15], v[14:15], off
	v_mov_b64_e32 v[18:19], s[8:9]
	global_load_dwordx2 v[16:17], v[16:17], off
	s_mov_b64 s[20:21], 0
	s_mov_b64 s[24:25], s[6:7]
                                        ; implicit-def: $sgpr18_sgpr19
                                        ; implicit-def: $sgpr22_sgpr23
                                        ; implicit-def: $sgpr2_sgpr3
                                        ; implicit-def: $sgpr26_sgpr27
	s_waitcnt vmcnt(1)
	v_mul_lo_u32 v1, s16, v15
	v_mul_lo_u32 v20, s17, v14
	v_mad_u64_u32 v[14:15], s[4:5], s16, v14, v[18:19]
	s_waitcnt vmcnt(0)
	v_mul_lo_u32 v21, s16, v17
	v_mul_lo_u32 v22, s17, v16
	v_mad_u64_u32 v[16:17], s[4:5], s16, v16, v[18:19]
	v_add3_u32 v15, v20, v15, v1
	v_add3_u32 v17, v22, v17, v21
	s_branch .LBB392_8
.LBB392_7:                              ;   in Loop: Header=BB392_8 Depth=2
	s_or_b64 exec, exec, s[30:31]
	s_and_b64 s[4:5], exec, s[22:23]
	s_or_b64 s[20:21], s[4:5], s[20:21]
	s_andn2_b64 s[4:5], s[26:27], exec
	s_and_b64 s[26:27], s[28:29], exec
	s_or_b64 s[26:27], s[4:5], s[26:27]
	s_andn2_b64 s[4:5], s[18:19], exec
	s_and_b64 s[18:19], s[2:3], exec
	s_or_b64 s[18:19], s[4:5], s[18:19]
	s_andn2_b64 exec, exec, s[20:21]
	s_cbranch_execz .LBB392_3
.LBB392_8:                              ;   Parent Loop BB392_5 Depth=1
                                        ; =>  This Inner Loop Header: Depth=2
	global_load_dword v1, v[14:15], off
	global_load_dword v18, v[16:17], off
	s_andn2_b64 s[30:31], s[2:3], exec
	s_or_b64 s[22:23], s[22:23], exec
	s_waitcnt vmcnt(0)
	v_cmp_le_i32_e64 s[2:3], v1, v18
	v_cmp_lt_i32_e32 vcc, v1, v18
	s_and_b64 s[2:3], s[2:3], s[26:27]
	s_or_b64 s[28:29], vcc, s[2:3]
	s_and_b64 s[2:3], s[28:29], exec
	v_cmp_eq_u32_e64 s[4:5], v1, v18
	s_or_b64 s[2:3], s[30:31], s[2:3]
	s_and_saveexec_b64 s[30:31], s[4:5]
	s_cbranch_execz .LBB392_7
; %bb.9:                                ;   in Loop: Header=BB392_8 Depth=2
	s_add_u32 s24, s24, -1
	s_addc_u32 s25, s25, -1
	s_cmp_eq_u64 s[24:25], 0
	s_cselect_b64 s[4:5], -1, 0
	s_andn2_b64 s[22:23], s[22:23], exec
	s_and_b64 s[4:5], s[4:5], exec
	v_lshl_add_u64 v[14:15], v[14:15], 0, 4
	v_lshl_add_u64 v[16:17], v[16:17], 0, 4
	s_andn2_b64 s[2:3], s[2:3], exec
	s_or_b64 s[22:23], s[22:23], s[4:5]
                                        ; implicit-def: $sgpr26_sgpr27
	s_branch .LBB392_7
.LBB392_10:
	s_or_b64 exec, exec, s[14:15]
.LBB392_11:
	s_or_b64 exec, exec, s[12:13]
	v_mov_b32_e32 v6, s10
	v_mov_b32_e32 v7, s11
	;; [unrolled: 1-line block ×3, first 2 shown]
	v_lshl_add_u64 v[2:3], v[4:5], 0, v[2:3]
	v_lshl_add_u64 v[0:1], v[0:1], 3, v[6:7]
	global_store_dwordx2 v[0:1], v[2:3], off
.LBB392_12:
	s_endpgm
	.section	.rodata,"a",@progbits
	.p2align	6, 0x0
	.amdhsa_kernel _ZN7rocprim17ROCPRIM_400000_NS6detail17trampoline_kernelINS0_14default_configENS1_38merge_sort_block_merge_config_selectorIlNS0_10empty_typeEEEZZNS1_27merge_sort_block_merge_implIS3_PlPS5_mZN2at6native12_GLOBAL__N_124unique_dim_cuda_templateIiEESt5tupleIJNSA_6TensorESF_SF_EERKSF_lbbbEUlllE_EE10hipError_tT0_T1_T2_jT3_P12ihipStream_tbPNSt15iterator_traitsISL_E10value_typeEPNSR_ISM_E10value_typeEPSN_NS1_7vsmem_tEENKUlT_SL_SM_SN_E_clIS8_S8_S9_S9_EESK_S10_SL_SM_SN_EUlS10_E_NS1_11comp_targetILNS1_3genE0ELNS1_11target_archE4294967295ELNS1_3gpuE0ELNS1_3repE0EEENS1_48merge_mergepath_partition_config_static_selectorELNS0_4arch9wavefront6targetE1EEEvSM_
		.amdhsa_group_segment_fixed_size 0
		.amdhsa_private_segment_fixed_size 0
		.amdhsa_kernarg_size 56
		.amdhsa_user_sgpr_count 2
		.amdhsa_user_sgpr_dispatch_ptr 0
		.amdhsa_user_sgpr_queue_ptr 0
		.amdhsa_user_sgpr_kernarg_segment_ptr 1
		.amdhsa_user_sgpr_dispatch_id 0
		.amdhsa_user_sgpr_kernarg_preload_length 0
		.amdhsa_user_sgpr_kernarg_preload_offset 0
		.amdhsa_user_sgpr_private_segment_size 0
		.amdhsa_uses_dynamic_stack 0
		.amdhsa_enable_private_segment 0
		.amdhsa_system_sgpr_workgroup_id_x 1
		.amdhsa_system_sgpr_workgroup_id_y 0
		.amdhsa_system_sgpr_workgroup_id_z 0
		.amdhsa_system_sgpr_workgroup_info 0
		.amdhsa_system_vgpr_workitem_id 0
		.amdhsa_next_free_vgpr 23
		.amdhsa_next_free_sgpr 32
		.amdhsa_accum_offset 24
		.amdhsa_reserve_vcc 1
		.amdhsa_float_round_mode_32 0
		.amdhsa_float_round_mode_16_64 0
		.amdhsa_float_denorm_mode_32 3
		.amdhsa_float_denorm_mode_16_64 3
		.amdhsa_dx10_clamp 1
		.amdhsa_ieee_mode 1
		.amdhsa_fp16_overflow 0
		.amdhsa_tg_split 0
		.amdhsa_exception_fp_ieee_invalid_op 0
		.amdhsa_exception_fp_denorm_src 0
		.amdhsa_exception_fp_ieee_div_zero 0
		.amdhsa_exception_fp_ieee_overflow 0
		.amdhsa_exception_fp_ieee_underflow 0
		.amdhsa_exception_fp_ieee_inexact 0
		.amdhsa_exception_int_div_zero 0
	.end_amdhsa_kernel
	.section	.text._ZN7rocprim17ROCPRIM_400000_NS6detail17trampoline_kernelINS0_14default_configENS1_38merge_sort_block_merge_config_selectorIlNS0_10empty_typeEEEZZNS1_27merge_sort_block_merge_implIS3_PlPS5_mZN2at6native12_GLOBAL__N_124unique_dim_cuda_templateIiEESt5tupleIJNSA_6TensorESF_SF_EERKSF_lbbbEUlllE_EE10hipError_tT0_T1_T2_jT3_P12ihipStream_tbPNSt15iterator_traitsISL_E10value_typeEPNSR_ISM_E10value_typeEPSN_NS1_7vsmem_tEENKUlT_SL_SM_SN_E_clIS8_S8_S9_S9_EESK_S10_SL_SM_SN_EUlS10_E_NS1_11comp_targetILNS1_3genE0ELNS1_11target_archE4294967295ELNS1_3gpuE0ELNS1_3repE0EEENS1_48merge_mergepath_partition_config_static_selectorELNS0_4arch9wavefront6targetE1EEEvSM_,"axG",@progbits,_ZN7rocprim17ROCPRIM_400000_NS6detail17trampoline_kernelINS0_14default_configENS1_38merge_sort_block_merge_config_selectorIlNS0_10empty_typeEEEZZNS1_27merge_sort_block_merge_implIS3_PlPS5_mZN2at6native12_GLOBAL__N_124unique_dim_cuda_templateIiEESt5tupleIJNSA_6TensorESF_SF_EERKSF_lbbbEUlllE_EE10hipError_tT0_T1_T2_jT3_P12ihipStream_tbPNSt15iterator_traitsISL_E10value_typeEPNSR_ISM_E10value_typeEPSN_NS1_7vsmem_tEENKUlT_SL_SM_SN_E_clIS8_S8_S9_S9_EESK_S10_SL_SM_SN_EUlS10_E_NS1_11comp_targetILNS1_3genE0ELNS1_11target_archE4294967295ELNS1_3gpuE0ELNS1_3repE0EEENS1_48merge_mergepath_partition_config_static_selectorELNS0_4arch9wavefront6targetE1EEEvSM_,comdat
.Lfunc_end392:
	.size	_ZN7rocprim17ROCPRIM_400000_NS6detail17trampoline_kernelINS0_14default_configENS1_38merge_sort_block_merge_config_selectorIlNS0_10empty_typeEEEZZNS1_27merge_sort_block_merge_implIS3_PlPS5_mZN2at6native12_GLOBAL__N_124unique_dim_cuda_templateIiEESt5tupleIJNSA_6TensorESF_SF_EERKSF_lbbbEUlllE_EE10hipError_tT0_T1_T2_jT3_P12ihipStream_tbPNSt15iterator_traitsISL_E10value_typeEPNSR_ISM_E10value_typeEPSN_NS1_7vsmem_tEENKUlT_SL_SM_SN_E_clIS8_S8_S9_S9_EESK_S10_SL_SM_SN_EUlS10_E_NS1_11comp_targetILNS1_3genE0ELNS1_11target_archE4294967295ELNS1_3gpuE0ELNS1_3repE0EEENS1_48merge_mergepath_partition_config_static_selectorELNS0_4arch9wavefront6targetE1EEEvSM_, .Lfunc_end392-_ZN7rocprim17ROCPRIM_400000_NS6detail17trampoline_kernelINS0_14default_configENS1_38merge_sort_block_merge_config_selectorIlNS0_10empty_typeEEEZZNS1_27merge_sort_block_merge_implIS3_PlPS5_mZN2at6native12_GLOBAL__N_124unique_dim_cuda_templateIiEESt5tupleIJNSA_6TensorESF_SF_EERKSF_lbbbEUlllE_EE10hipError_tT0_T1_T2_jT3_P12ihipStream_tbPNSt15iterator_traitsISL_E10value_typeEPNSR_ISM_E10value_typeEPSN_NS1_7vsmem_tEENKUlT_SL_SM_SN_E_clIS8_S8_S9_S9_EESK_S10_SL_SM_SN_EUlS10_E_NS1_11comp_targetILNS1_3genE0ELNS1_11target_archE4294967295ELNS1_3gpuE0ELNS1_3repE0EEENS1_48merge_mergepath_partition_config_static_selectorELNS0_4arch9wavefront6targetE1EEEvSM_
                                        ; -- End function
	.set _ZN7rocprim17ROCPRIM_400000_NS6detail17trampoline_kernelINS0_14default_configENS1_38merge_sort_block_merge_config_selectorIlNS0_10empty_typeEEEZZNS1_27merge_sort_block_merge_implIS3_PlPS5_mZN2at6native12_GLOBAL__N_124unique_dim_cuda_templateIiEESt5tupleIJNSA_6TensorESF_SF_EERKSF_lbbbEUlllE_EE10hipError_tT0_T1_T2_jT3_P12ihipStream_tbPNSt15iterator_traitsISL_E10value_typeEPNSR_ISM_E10value_typeEPSN_NS1_7vsmem_tEENKUlT_SL_SM_SN_E_clIS8_S8_S9_S9_EESK_S10_SL_SM_SN_EUlS10_E_NS1_11comp_targetILNS1_3genE0ELNS1_11target_archE4294967295ELNS1_3gpuE0ELNS1_3repE0EEENS1_48merge_mergepath_partition_config_static_selectorELNS0_4arch9wavefront6targetE1EEEvSM_.num_vgpr, 23
	.set _ZN7rocprim17ROCPRIM_400000_NS6detail17trampoline_kernelINS0_14default_configENS1_38merge_sort_block_merge_config_selectorIlNS0_10empty_typeEEEZZNS1_27merge_sort_block_merge_implIS3_PlPS5_mZN2at6native12_GLOBAL__N_124unique_dim_cuda_templateIiEESt5tupleIJNSA_6TensorESF_SF_EERKSF_lbbbEUlllE_EE10hipError_tT0_T1_T2_jT3_P12ihipStream_tbPNSt15iterator_traitsISL_E10value_typeEPNSR_ISM_E10value_typeEPSN_NS1_7vsmem_tEENKUlT_SL_SM_SN_E_clIS8_S8_S9_S9_EESK_S10_SL_SM_SN_EUlS10_E_NS1_11comp_targetILNS1_3genE0ELNS1_11target_archE4294967295ELNS1_3gpuE0ELNS1_3repE0EEENS1_48merge_mergepath_partition_config_static_selectorELNS0_4arch9wavefront6targetE1EEEvSM_.num_agpr, 0
	.set _ZN7rocprim17ROCPRIM_400000_NS6detail17trampoline_kernelINS0_14default_configENS1_38merge_sort_block_merge_config_selectorIlNS0_10empty_typeEEEZZNS1_27merge_sort_block_merge_implIS3_PlPS5_mZN2at6native12_GLOBAL__N_124unique_dim_cuda_templateIiEESt5tupleIJNSA_6TensorESF_SF_EERKSF_lbbbEUlllE_EE10hipError_tT0_T1_T2_jT3_P12ihipStream_tbPNSt15iterator_traitsISL_E10value_typeEPNSR_ISM_E10value_typeEPSN_NS1_7vsmem_tEENKUlT_SL_SM_SN_E_clIS8_S8_S9_S9_EESK_S10_SL_SM_SN_EUlS10_E_NS1_11comp_targetILNS1_3genE0ELNS1_11target_archE4294967295ELNS1_3gpuE0ELNS1_3repE0EEENS1_48merge_mergepath_partition_config_static_selectorELNS0_4arch9wavefront6targetE1EEEvSM_.numbered_sgpr, 32
	.set _ZN7rocprim17ROCPRIM_400000_NS6detail17trampoline_kernelINS0_14default_configENS1_38merge_sort_block_merge_config_selectorIlNS0_10empty_typeEEEZZNS1_27merge_sort_block_merge_implIS3_PlPS5_mZN2at6native12_GLOBAL__N_124unique_dim_cuda_templateIiEESt5tupleIJNSA_6TensorESF_SF_EERKSF_lbbbEUlllE_EE10hipError_tT0_T1_T2_jT3_P12ihipStream_tbPNSt15iterator_traitsISL_E10value_typeEPNSR_ISM_E10value_typeEPSN_NS1_7vsmem_tEENKUlT_SL_SM_SN_E_clIS8_S8_S9_S9_EESK_S10_SL_SM_SN_EUlS10_E_NS1_11comp_targetILNS1_3genE0ELNS1_11target_archE4294967295ELNS1_3gpuE0ELNS1_3repE0EEENS1_48merge_mergepath_partition_config_static_selectorELNS0_4arch9wavefront6targetE1EEEvSM_.num_named_barrier, 0
	.set _ZN7rocprim17ROCPRIM_400000_NS6detail17trampoline_kernelINS0_14default_configENS1_38merge_sort_block_merge_config_selectorIlNS0_10empty_typeEEEZZNS1_27merge_sort_block_merge_implIS3_PlPS5_mZN2at6native12_GLOBAL__N_124unique_dim_cuda_templateIiEESt5tupleIJNSA_6TensorESF_SF_EERKSF_lbbbEUlllE_EE10hipError_tT0_T1_T2_jT3_P12ihipStream_tbPNSt15iterator_traitsISL_E10value_typeEPNSR_ISM_E10value_typeEPSN_NS1_7vsmem_tEENKUlT_SL_SM_SN_E_clIS8_S8_S9_S9_EESK_S10_SL_SM_SN_EUlS10_E_NS1_11comp_targetILNS1_3genE0ELNS1_11target_archE4294967295ELNS1_3gpuE0ELNS1_3repE0EEENS1_48merge_mergepath_partition_config_static_selectorELNS0_4arch9wavefront6targetE1EEEvSM_.private_seg_size, 0
	.set _ZN7rocprim17ROCPRIM_400000_NS6detail17trampoline_kernelINS0_14default_configENS1_38merge_sort_block_merge_config_selectorIlNS0_10empty_typeEEEZZNS1_27merge_sort_block_merge_implIS3_PlPS5_mZN2at6native12_GLOBAL__N_124unique_dim_cuda_templateIiEESt5tupleIJNSA_6TensorESF_SF_EERKSF_lbbbEUlllE_EE10hipError_tT0_T1_T2_jT3_P12ihipStream_tbPNSt15iterator_traitsISL_E10value_typeEPNSR_ISM_E10value_typeEPSN_NS1_7vsmem_tEENKUlT_SL_SM_SN_E_clIS8_S8_S9_S9_EESK_S10_SL_SM_SN_EUlS10_E_NS1_11comp_targetILNS1_3genE0ELNS1_11target_archE4294967295ELNS1_3gpuE0ELNS1_3repE0EEENS1_48merge_mergepath_partition_config_static_selectorELNS0_4arch9wavefront6targetE1EEEvSM_.uses_vcc, 1
	.set _ZN7rocprim17ROCPRIM_400000_NS6detail17trampoline_kernelINS0_14default_configENS1_38merge_sort_block_merge_config_selectorIlNS0_10empty_typeEEEZZNS1_27merge_sort_block_merge_implIS3_PlPS5_mZN2at6native12_GLOBAL__N_124unique_dim_cuda_templateIiEESt5tupleIJNSA_6TensorESF_SF_EERKSF_lbbbEUlllE_EE10hipError_tT0_T1_T2_jT3_P12ihipStream_tbPNSt15iterator_traitsISL_E10value_typeEPNSR_ISM_E10value_typeEPSN_NS1_7vsmem_tEENKUlT_SL_SM_SN_E_clIS8_S8_S9_S9_EESK_S10_SL_SM_SN_EUlS10_E_NS1_11comp_targetILNS1_3genE0ELNS1_11target_archE4294967295ELNS1_3gpuE0ELNS1_3repE0EEENS1_48merge_mergepath_partition_config_static_selectorELNS0_4arch9wavefront6targetE1EEEvSM_.uses_flat_scratch, 0
	.set _ZN7rocprim17ROCPRIM_400000_NS6detail17trampoline_kernelINS0_14default_configENS1_38merge_sort_block_merge_config_selectorIlNS0_10empty_typeEEEZZNS1_27merge_sort_block_merge_implIS3_PlPS5_mZN2at6native12_GLOBAL__N_124unique_dim_cuda_templateIiEESt5tupleIJNSA_6TensorESF_SF_EERKSF_lbbbEUlllE_EE10hipError_tT0_T1_T2_jT3_P12ihipStream_tbPNSt15iterator_traitsISL_E10value_typeEPNSR_ISM_E10value_typeEPSN_NS1_7vsmem_tEENKUlT_SL_SM_SN_E_clIS8_S8_S9_S9_EESK_S10_SL_SM_SN_EUlS10_E_NS1_11comp_targetILNS1_3genE0ELNS1_11target_archE4294967295ELNS1_3gpuE0ELNS1_3repE0EEENS1_48merge_mergepath_partition_config_static_selectorELNS0_4arch9wavefront6targetE1EEEvSM_.has_dyn_sized_stack, 0
	.set _ZN7rocprim17ROCPRIM_400000_NS6detail17trampoline_kernelINS0_14default_configENS1_38merge_sort_block_merge_config_selectorIlNS0_10empty_typeEEEZZNS1_27merge_sort_block_merge_implIS3_PlPS5_mZN2at6native12_GLOBAL__N_124unique_dim_cuda_templateIiEESt5tupleIJNSA_6TensorESF_SF_EERKSF_lbbbEUlllE_EE10hipError_tT0_T1_T2_jT3_P12ihipStream_tbPNSt15iterator_traitsISL_E10value_typeEPNSR_ISM_E10value_typeEPSN_NS1_7vsmem_tEENKUlT_SL_SM_SN_E_clIS8_S8_S9_S9_EESK_S10_SL_SM_SN_EUlS10_E_NS1_11comp_targetILNS1_3genE0ELNS1_11target_archE4294967295ELNS1_3gpuE0ELNS1_3repE0EEENS1_48merge_mergepath_partition_config_static_selectorELNS0_4arch9wavefront6targetE1EEEvSM_.has_recursion, 0
	.set _ZN7rocprim17ROCPRIM_400000_NS6detail17trampoline_kernelINS0_14default_configENS1_38merge_sort_block_merge_config_selectorIlNS0_10empty_typeEEEZZNS1_27merge_sort_block_merge_implIS3_PlPS5_mZN2at6native12_GLOBAL__N_124unique_dim_cuda_templateIiEESt5tupleIJNSA_6TensorESF_SF_EERKSF_lbbbEUlllE_EE10hipError_tT0_T1_T2_jT3_P12ihipStream_tbPNSt15iterator_traitsISL_E10value_typeEPNSR_ISM_E10value_typeEPSN_NS1_7vsmem_tEENKUlT_SL_SM_SN_E_clIS8_S8_S9_S9_EESK_S10_SL_SM_SN_EUlS10_E_NS1_11comp_targetILNS1_3genE0ELNS1_11target_archE4294967295ELNS1_3gpuE0ELNS1_3repE0EEENS1_48merge_mergepath_partition_config_static_selectorELNS0_4arch9wavefront6targetE1EEEvSM_.has_indirect_call, 0
	.section	.AMDGPU.csdata,"",@progbits
; Kernel info:
; codeLenInByte = 772
; TotalNumSgprs: 38
; NumVgprs: 23
; NumAgprs: 0
; TotalNumVgprs: 23
; ScratchSize: 0
; MemoryBound: 0
; FloatMode: 240
; IeeeMode: 1
; LDSByteSize: 0 bytes/workgroup (compile time only)
; SGPRBlocks: 4
; VGPRBlocks: 2
; NumSGPRsForWavesPerEU: 38
; NumVGPRsForWavesPerEU: 23
; AccumOffset: 24
; Occupancy: 8
; WaveLimiterHint : 0
; COMPUTE_PGM_RSRC2:SCRATCH_EN: 0
; COMPUTE_PGM_RSRC2:USER_SGPR: 2
; COMPUTE_PGM_RSRC2:TRAP_HANDLER: 0
; COMPUTE_PGM_RSRC2:TGID_X_EN: 1
; COMPUTE_PGM_RSRC2:TGID_Y_EN: 0
; COMPUTE_PGM_RSRC2:TGID_Z_EN: 0
; COMPUTE_PGM_RSRC2:TIDIG_COMP_CNT: 0
; COMPUTE_PGM_RSRC3_GFX90A:ACCUM_OFFSET: 5
; COMPUTE_PGM_RSRC3_GFX90A:TG_SPLIT: 0
	.section	.text._ZN7rocprim17ROCPRIM_400000_NS6detail17trampoline_kernelINS0_14default_configENS1_38merge_sort_block_merge_config_selectorIlNS0_10empty_typeEEEZZNS1_27merge_sort_block_merge_implIS3_PlPS5_mZN2at6native12_GLOBAL__N_124unique_dim_cuda_templateIiEESt5tupleIJNSA_6TensorESF_SF_EERKSF_lbbbEUlllE_EE10hipError_tT0_T1_T2_jT3_P12ihipStream_tbPNSt15iterator_traitsISL_E10value_typeEPNSR_ISM_E10value_typeEPSN_NS1_7vsmem_tEENKUlT_SL_SM_SN_E_clIS8_S8_S9_S9_EESK_S10_SL_SM_SN_EUlS10_E_NS1_11comp_targetILNS1_3genE10ELNS1_11target_archE1201ELNS1_3gpuE5ELNS1_3repE0EEENS1_48merge_mergepath_partition_config_static_selectorELNS0_4arch9wavefront6targetE1EEEvSM_,"axG",@progbits,_ZN7rocprim17ROCPRIM_400000_NS6detail17trampoline_kernelINS0_14default_configENS1_38merge_sort_block_merge_config_selectorIlNS0_10empty_typeEEEZZNS1_27merge_sort_block_merge_implIS3_PlPS5_mZN2at6native12_GLOBAL__N_124unique_dim_cuda_templateIiEESt5tupleIJNSA_6TensorESF_SF_EERKSF_lbbbEUlllE_EE10hipError_tT0_T1_T2_jT3_P12ihipStream_tbPNSt15iterator_traitsISL_E10value_typeEPNSR_ISM_E10value_typeEPSN_NS1_7vsmem_tEENKUlT_SL_SM_SN_E_clIS8_S8_S9_S9_EESK_S10_SL_SM_SN_EUlS10_E_NS1_11comp_targetILNS1_3genE10ELNS1_11target_archE1201ELNS1_3gpuE5ELNS1_3repE0EEENS1_48merge_mergepath_partition_config_static_selectorELNS0_4arch9wavefront6targetE1EEEvSM_,comdat
	.globl	_ZN7rocprim17ROCPRIM_400000_NS6detail17trampoline_kernelINS0_14default_configENS1_38merge_sort_block_merge_config_selectorIlNS0_10empty_typeEEEZZNS1_27merge_sort_block_merge_implIS3_PlPS5_mZN2at6native12_GLOBAL__N_124unique_dim_cuda_templateIiEESt5tupleIJNSA_6TensorESF_SF_EERKSF_lbbbEUlllE_EE10hipError_tT0_T1_T2_jT3_P12ihipStream_tbPNSt15iterator_traitsISL_E10value_typeEPNSR_ISM_E10value_typeEPSN_NS1_7vsmem_tEENKUlT_SL_SM_SN_E_clIS8_S8_S9_S9_EESK_S10_SL_SM_SN_EUlS10_E_NS1_11comp_targetILNS1_3genE10ELNS1_11target_archE1201ELNS1_3gpuE5ELNS1_3repE0EEENS1_48merge_mergepath_partition_config_static_selectorELNS0_4arch9wavefront6targetE1EEEvSM_ ; -- Begin function _ZN7rocprim17ROCPRIM_400000_NS6detail17trampoline_kernelINS0_14default_configENS1_38merge_sort_block_merge_config_selectorIlNS0_10empty_typeEEEZZNS1_27merge_sort_block_merge_implIS3_PlPS5_mZN2at6native12_GLOBAL__N_124unique_dim_cuda_templateIiEESt5tupleIJNSA_6TensorESF_SF_EERKSF_lbbbEUlllE_EE10hipError_tT0_T1_T2_jT3_P12ihipStream_tbPNSt15iterator_traitsISL_E10value_typeEPNSR_ISM_E10value_typeEPSN_NS1_7vsmem_tEENKUlT_SL_SM_SN_E_clIS8_S8_S9_S9_EESK_S10_SL_SM_SN_EUlS10_E_NS1_11comp_targetILNS1_3genE10ELNS1_11target_archE1201ELNS1_3gpuE5ELNS1_3repE0EEENS1_48merge_mergepath_partition_config_static_selectorELNS0_4arch9wavefront6targetE1EEEvSM_
	.p2align	8
	.type	_ZN7rocprim17ROCPRIM_400000_NS6detail17trampoline_kernelINS0_14default_configENS1_38merge_sort_block_merge_config_selectorIlNS0_10empty_typeEEEZZNS1_27merge_sort_block_merge_implIS3_PlPS5_mZN2at6native12_GLOBAL__N_124unique_dim_cuda_templateIiEESt5tupleIJNSA_6TensorESF_SF_EERKSF_lbbbEUlllE_EE10hipError_tT0_T1_T2_jT3_P12ihipStream_tbPNSt15iterator_traitsISL_E10value_typeEPNSR_ISM_E10value_typeEPSN_NS1_7vsmem_tEENKUlT_SL_SM_SN_E_clIS8_S8_S9_S9_EESK_S10_SL_SM_SN_EUlS10_E_NS1_11comp_targetILNS1_3genE10ELNS1_11target_archE1201ELNS1_3gpuE5ELNS1_3repE0EEENS1_48merge_mergepath_partition_config_static_selectorELNS0_4arch9wavefront6targetE1EEEvSM_,@function
_ZN7rocprim17ROCPRIM_400000_NS6detail17trampoline_kernelINS0_14default_configENS1_38merge_sort_block_merge_config_selectorIlNS0_10empty_typeEEEZZNS1_27merge_sort_block_merge_implIS3_PlPS5_mZN2at6native12_GLOBAL__N_124unique_dim_cuda_templateIiEESt5tupleIJNSA_6TensorESF_SF_EERKSF_lbbbEUlllE_EE10hipError_tT0_T1_T2_jT3_P12ihipStream_tbPNSt15iterator_traitsISL_E10value_typeEPNSR_ISM_E10value_typeEPSN_NS1_7vsmem_tEENKUlT_SL_SM_SN_E_clIS8_S8_S9_S9_EESK_S10_SL_SM_SN_EUlS10_E_NS1_11comp_targetILNS1_3genE10ELNS1_11target_archE1201ELNS1_3gpuE5ELNS1_3repE0EEENS1_48merge_mergepath_partition_config_static_selectorELNS0_4arch9wavefront6targetE1EEEvSM_: ; @_ZN7rocprim17ROCPRIM_400000_NS6detail17trampoline_kernelINS0_14default_configENS1_38merge_sort_block_merge_config_selectorIlNS0_10empty_typeEEEZZNS1_27merge_sort_block_merge_implIS3_PlPS5_mZN2at6native12_GLOBAL__N_124unique_dim_cuda_templateIiEESt5tupleIJNSA_6TensorESF_SF_EERKSF_lbbbEUlllE_EE10hipError_tT0_T1_T2_jT3_P12ihipStream_tbPNSt15iterator_traitsISL_E10value_typeEPNSR_ISM_E10value_typeEPSN_NS1_7vsmem_tEENKUlT_SL_SM_SN_E_clIS8_S8_S9_S9_EESK_S10_SL_SM_SN_EUlS10_E_NS1_11comp_targetILNS1_3genE10ELNS1_11target_archE1201ELNS1_3gpuE5ELNS1_3repE0EEENS1_48merge_mergepath_partition_config_static_selectorELNS0_4arch9wavefront6targetE1EEEvSM_
; %bb.0:
	.section	.rodata,"a",@progbits
	.p2align	6, 0x0
	.amdhsa_kernel _ZN7rocprim17ROCPRIM_400000_NS6detail17trampoline_kernelINS0_14default_configENS1_38merge_sort_block_merge_config_selectorIlNS0_10empty_typeEEEZZNS1_27merge_sort_block_merge_implIS3_PlPS5_mZN2at6native12_GLOBAL__N_124unique_dim_cuda_templateIiEESt5tupleIJNSA_6TensorESF_SF_EERKSF_lbbbEUlllE_EE10hipError_tT0_T1_T2_jT3_P12ihipStream_tbPNSt15iterator_traitsISL_E10value_typeEPNSR_ISM_E10value_typeEPSN_NS1_7vsmem_tEENKUlT_SL_SM_SN_E_clIS8_S8_S9_S9_EESK_S10_SL_SM_SN_EUlS10_E_NS1_11comp_targetILNS1_3genE10ELNS1_11target_archE1201ELNS1_3gpuE5ELNS1_3repE0EEENS1_48merge_mergepath_partition_config_static_selectorELNS0_4arch9wavefront6targetE1EEEvSM_
		.amdhsa_group_segment_fixed_size 0
		.amdhsa_private_segment_fixed_size 0
		.amdhsa_kernarg_size 56
		.amdhsa_user_sgpr_count 2
		.amdhsa_user_sgpr_dispatch_ptr 0
		.amdhsa_user_sgpr_queue_ptr 0
		.amdhsa_user_sgpr_kernarg_segment_ptr 1
		.amdhsa_user_sgpr_dispatch_id 0
		.amdhsa_user_sgpr_kernarg_preload_length 0
		.amdhsa_user_sgpr_kernarg_preload_offset 0
		.amdhsa_user_sgpr_private_segment_size 0
		.amdhsa_uses_dynamic_stack 0
		.amdhsa_enable_private_segment 0
		.amdhsa_system_sgpr_workgroup_id_x 1
		.amdhsa_system_sgpr_workgroup_id_y 0
		.amdhsa_system_sgpr_workgroup_id_z 0
		.amdhsa_system_sgpr_workgroup_info 0
		.amdhsa_system_vgpr_workitem_id 0
		.amdhsa_next_free_vgpr 1
		.amdhsa_next_free_sgpr 0
		.amdhsa_accum_offset 4
		.amdhsa_reserve_vcc 0
		.amdhsa_float_round_mode_32 0
		.amdhsa_float_round_mode_16_64 0
		.amdhsa_float_denorm_mode_32 3
		.amdhsa_float_denorm_mode_16_64 3
		.amdhsa_dx10_clamp 1
		.amdhsa_ieee_mode 1
		.amdhsa_fp16_overflow 0
		.amdhsa_tg_split 0
		.amdhsa_exception_fp_ieee_invalid_op 0
		.amdhsa_exception_fp_denorm_src 0
		.amdhsa_exception_fp_ieee_div_zero 0
		.amdhsa_exception_fp_ieee_overflow 0
		.amdhsa_exception_fp_ieee_underflow 0
		.amdhsa_exception_fp_ieee_inexact 0
		.amdhsa_exception_int_div_zero 0
	.end_amdhsa_kernel
	.section	.text._ZN7rocprim17ROCPRIM_400000_NS6detail17trampoline_kernelINS0_14default_configENS1_38merge_sort_block_merge_config_selectorIlNS0_10empty_typeEEEZZNS1_27merge_sort_block_merge_implIS3_PlPS5_mZN2at6native12_GLOBAL__N_124unique_dim_cuda_templateIiEESt5tupleIJNSA_6TensorESF_SF_EERKSF_lbbbEUlllE_EE10hipError_tT0_T1_T2_jT3_P12ihipStream_tbPNSt15iterator_traitsISL_E10value_typeEPNSR_ISM_E10value_typeEPSN_NS1_7vsmem_tEENKUlT_SL_SM_SN_E_clIS8_S8_S9_S9_EESK_S10_SL_SM_SN_EUlS10_E_NS1_11comp_targetILNS1_3genE10ELNS1_11target_archE1201ELNS1_3gpuE5ELNS1_3repE0EEENS1_48merge_mergepath_partition_config_static_selectorELNS0_4arch9wavefront6targetE1EEEvSM_,"axG",@progbits,_ZN7rocprim17ROCPRIM_400000_NS6detail17trampoline_kernelINS0_14default_configENS1_38merge_sort_block_merge_config_selectorIlNS0_10empty_typeEEEZZNS1_27merge_sort_block_merge_implIS3_PlPS5_mZN2at6native12_GLOBAL__N_124unique_dim_cuda_templateIiEESt5tupleIJNSA_6TensorESF_SF_EERKSF_lbbbEUlllE_EE10hipError_tT0_T1_T2_jT3_P12ihipStream_tbPNSt15iterator_traitsISL_E10value_typeEPNSR_ISM_E10value_typeEPSN_NS1_7vsmem_tEENKUlT_SL_SM_SN_E_clIS8_S8_S9_S9_EESK_S10_SL_SM_SN_EUlS10_E_NS1_11comp_targetILNS1_3genE10ELNS1_11target_archE1201ELNS1_3gpuE5ELNS1_3repE0EEENS1_48merge_mergepath_partition_config_static_selectorELNS0_4arch9wavefront6targetE1EEEvSM_,comdat
.Lfunc_end393:
	.size	_ZN7rocprim17ROCPRIM_400000_NS6detail17trampoline_kernelINS0_14default_configENS1_38merge_sort_block_merge_config_selectorIlNS0_10empty_typeEEEZZNS1_27merge_sort_block_merge_implIS3_PlPS5_mZN2at6native12_GLOBAL__N_124unique_dim_cuda_templateIiEESt5tupleIJNSA_6TensorESF_SF_EERKSF_lbbbEUlllE_EE10hipError_tT0_T1_T2_jT3_P12ihipStream_tbPNSt15iterator_traitsISL_E10value_typeEPNSR_ISM_E10value_typeEPSN_NS1_7vsmem_tEENKUlT_SL_SM_SN_E_clIS8_S8_S9_S9_EESK_S10_SL_SM_SN_EUlS10_E_NS1_11comp_targetILNS1_3genE10ELNS1_11target_archE1201ELNS1_3gpuE5ELNS1_3repE0EEENS1_48merge_mergepath_partition_config_static_selectorELNS0_4arch9wavefront6targetE1EEEvSM_, .Lfunc_end393-_ZN7rocprim17ROCPRIM_400000_NS6detail17trampoline_kernelINS0_14default_configENS1_38merge_sort_block_merge_config_selectorIlNS0_10empty_typeEEEZZNS1_27merge_sort_block_merge_implIS3_PlPS5_mZN2at6native12_GLOBAL__N_124unique_dim_cuda_templateIiEESt5tupleIJNSA_6TensorESF_SF_EERKSF_lbbbEUlllE_EE10hipError_tT0_T1_T2_jT3_P12ihipStream_tbPNSt15iterator_traitsISL_E10value_typeEPNSR_ISM_E10value_typeEPSN_NS1_7vsmem_tEENKUlT_SL_SM_SN_E_clIS8_S8_S9_S9_EESK_S10_SL_SM_SN_EUlS10_E_NS1_11comp_targetILNS1_3genE10ELNS1_11target_archE1201ELNS1_3gpuE5ELNS1_3repE0EEENS1_48merge_mergepath_partition_config_static_selectorELNS0_4arch9wavefront6targetE1EEEvSM_
                                        ; -- End function
	.set _ZN7rocprim17ROCPRIM_400000_NS6detail17trampoline_kernelINS0_14default_configENS1_38merge_sort_block_merge_config_selectorIlNS0_10empty_typeEEEZZNS1_27merge_sort_block_merge_implIS3_PlPS5_mZN2at6native12_GLOBAL__N_124unique_dim_cuda_templateIiEESt5tupleIJNSA_6TensorESF_SF_EERKSF_lbbbEUlllE_EE10hipError_tT0_T1_T2_jT3_P12ihipStream_tbPNSt15iterator_traitsISL_E10value_typeEPNSR_ISM_E10value_typeEPSN_NS1_7vsmem_tEENKUlT_SL_SM_SN_E_clIS8_S8_S9_S9_EESK_S10_SL_SM_SN_EUlS10_E_NS1_11comp_targetILNS1_3genE10ELNS1_11target_archE1201ELNS1_3gpuE5ELNS1_3repE0EEENS1_48merge_mergepath_partition_config_static_selectorELNS0_4arch9wavefront6targetE1EEEvSM_.num_vgpr, 0
	.set _ZN7rocprim17ROCPRIM_400000_NS6detail17trampoline_kernelINS0_14default_configENS1_38merge_sort_block_merge_config_selectorIlNS0_10empty_typeEEEZZNS1_27merge_sort_block_merge_implIS3_PlPS5_mZN2at6native12_GLOBAL__N_124unique_dim_cuda_templateIiEESt5tupleIJNSA_6TensorESF_SF_EERKSF_lbbbEUlllE_EE10hipError_tT0_T1_T2_jT3_P12ihipStream_tbPNSt15iterator_traitsISL_E10value_typeEPNSR_ISM_E10value_typeEPSN_NS1_7vsmem_tEENKUlT_SL_SM_SN_E_clIS8_S8_S9_S9_EESK_S10_SL_SM_SN_EUlS10_E_NS1_11comp_targetILNS1_3genE10ELNS1_11target_archE1201ELNS1_3gpuE5ELNS1_3repE0EEENS1_48merge_mergepath_partition_config_static_selectorELNS0_4arch9wavefront6targetE1EEEvSM_.num_agpr, 0
	.set _ZN7rocprim17ROCPRIM_400000_NS6detail17trampoline_kernelINS0_14default_configENS1_38merge_sort_block_merge_config_selectorIlNS0_10empty_typeEEEZZNS1_27merge_sort_block_merge_implIS3_PlPS5_mZN2at6native12_GLOBAL__N_124unique_dim_cuda_templateIiEESt5tupleIJNSA_6TensorESF_SF_EERKSF_lbbbEUlllE_EE10hipError_tT0_T1_T2_jT3_P12ihipStream_tbPNSt15iterator_traitsISL_E10value_typeEPNSR_ISM_E10value_typeEPSN_NS1_7vsmem_tEENKUlT_SL_SM_SN_E_clIS8_S8_S9_S9_EESK_S10_SL_SM_SN_EUlS10_E_NS1_11comp_targetILNS1_3genE10ELNS1_11target_archE1201ELNS1_3gpuE5ELNS1_3repE0EEENS1_48merge_mergepath_partition_config_static_selectorELNS0_4arch9wavefront6targetE1EEEvSM_.numbered_sgpr, 0
	.set _ZN7rocprim17ROCPRIM_400000_NS6detail17trampoline_kernelINS0_14default_configENS1_38merge_sort_block_merge_config_selectorIlNS0_10empty_typeEEEZZNS1_27merge_sort_block_merge_implIS3_PlPS5_mZN2at6native12_GLOBAL__N_124unique_dim_cuda_templateIiEESt5tupleIJNSA_6TensorESF_SF_EERKSF_lbbbEUlllE_EE10hipError_tT0_T1_T2_jT3_P12ihipStream_tbPNSt15iterator_traitsISL_E10value_typeEPNSR_ISM_E10value_typeEPSN_NS1_7vsmem_tEENKUlT_SL_SM_SN_E_clIS8_S8_S9_S9_EESK_S10_SL_SM_SN_EUlS10_E_NS1_11comp_targetILNS1_3genE10ELNS1_11target_archE1201ELNS1_3gpuE5ELNS1_3repE0EEENS1_48merge_mergepath_partition_config_static_selectorELNS0_4arch9wavefront6targetE1EEEvSM_.num_named_barrier, 0
	.set _ZN7rocprim17ROCPRIM_400000_NS6detail17trampoline_kernelINS0_14default_configENS1_38merge_sort_block_merge_config_selectorIlNS0_10empty_typeEEEZZNS1_27merge_sort_block_merge_implIS3_PlPS5_mZN2at6native12_GLOBAL__N_124unique_dim_cuda_templateIiEESt5tupleIJNSA_6TensorESF_SF_EERKSF_lbbbEUlllE_EE10hipError_tT0_T1_T2_jT3_P12ihipStream_tbPNSt15iterator_traitsISL_E10value_typeEPNSR_ISM_E10value_typeEPSN_NS1_7vsmem_tEENKUlT_SL_SM_SN_E_clIS8_S8_S9_S9_EESK_S10_SL_SM_SN_EUlS10_E_NS1_11comp_targetILNS1_3genE10ELNS1_11target_archE1201ELNS1_3gpuE5ELNS1_3repE0EEENS1_48merge_mergepath_partition_config_static_selectorELNS0_4arch9wavefront6targetE1EEEvSM_.private_seg_size, 0
	.set _ZN7rocprim17ROCPRIM_400000_NS6detail17trampoline_kernelINS0_14default_configENS1_38merge_sort_block_merge_config_selectorIlNS0_10empty_typeEEEZZNS1_27merge_sort_block_merge_implIS3_PlPS5_mZN2at6native12_GLOBAL__N_124unique_dim_cuda_templateIiEESt5tupleIJNSA_6TensorESF_SF_EERKSF_lbbbEUlllE_EE10hipError_tT0_T1_T2_jT3_P12ihipStream_tbPNSt15iterator_traitsISL_E10value_typeEPNSR_ISM_E10value_typeEPSN_NS1_7vsmem_tEENKUlT_SL_SM_SN_E_clIS8_S8_S9_S9_EESK_S10_SL_SM_SN_EUlS10_E_NS1_11comp_targetILNS1_3genE10ELNS1_11target_archE1201ELNS1_3gpuE5ELNS1_3repE0EEENS1_48merge_mergepath_partition_config_static_selectorELNS0_4arch9wavefront6targetE1EEEvSM_.uses_vcc, 0
	.set _ZN7rocprim17ROCPRIM_400000_NS6detail17trampoline_kernelINS0_14default_configENS1_38merge_sort_block_merge_config_selectorIlNS0_10empty_typeEEEZZNS1_27merge_sort_block_merge_implIS3_PlPS5_mZN2at6native12_GLOBAL__N_124unique_dim_cuda_templateIiEESt5tupleIJNSA_6TensorESF_SF_EERKSF_lbbbEUlllE_EE10hipError_tT0_T1_T2_jT3_P12ihipStream_tbPNSt15iterator_traitsISL_E10value_typeEPNSR_ISM_E10value_typeEPSN_NS1_7vsmem_tEENKUlT_SL_SM_SN_E_clIS8_S8_S9_S9_EESK_S10_SL_SM_SN_EUlS10_E_NS1_11comp_targetILNS1_3genE10ELNS1_11target_archE1201ELNS1_3gpuE5ELNS1_3repE0EEENS1_48merge_mergepath_partition_config_static_selectorELNS0_4arch9wavefront6targetE1EEEvSM_.uses_flat_scratch, 0
	.set _ZN7rocprim17ROCPRIM_400000_NS6detail17trampoline_kernelINS0_14default_configENS1_38merge_sort_block_merge_config_selectorIlNS0_10empty_typeEEEZZNS1_27merge_sort_block_merge_implIS3_PlPS5_mZN2at6native12_GLOBAL__N_124unique_dim_cuda_templateIiEESt5tupleIJNSA_6TensorESF_SF_EERKSF_lbbbEUlllE_EE10hipError_tT0_T1_T2_jT3_P12ihipStream_tbPNSt15iterator_traitsISL_E10value_typeEPNSR_ISM_E10value_typeEPSN_NS1_7vsmem_tEENKUlT_SL_SM_SN_E_clIS8_S8_S9_S9_EESK_S10_SL_SM_SN_EUlS10_E_NS1_11comp_targetILNS1_3genE10ELNS1_11target_archE1201ELNS1_3gpuE5ELNS1_3repE0EEENS1_48merge_mergepath_partition_config_static_selectorELNS0_4arch9wavefront6targetE1EEEvSM_.has_dyn_sized_stack, 0
	.set _ZN7rocprim17ROCPRIM_400000_NS6detail17trampoline_kernelINS0_14default_configENS1_38merge_sort_block_merge_config_selectorIlNS0_10empty_typeEEEZZNS1_27merge_sort_block_merge_implIS3_PlPS5_mZN2at6native12_GLOBAL__N_124unique_dim_cuda_templateIiEESt5tupleIJNSA_6TensorESF_SF_EERKSF_lbbbEUlllE_EE10hipError_tT0_T1_T2_jT3_P12ihipStream_tbPNSt15iterator_traitsISL_E10value_typeEPNSR_ISM_E10value_typeEPSN_NS1_7vsmem_tEENKUlT_SL_SM_SN_E_clIS8_S8_S9_S9_EESK_S10_SL_SM_SN_EUlS10_E_NS1_11comp_targetILNS1_3genE10ELNS1_11target_archE1201ELNS1_3gpuE5ELNS1_3repE0EEENS1_48merge_mergepath_partition_config_static_selectorELNS0_4arch9wavefront6targetE1EEEvSM_.has_recursion, 0
	.set _ZN7rocprim17ROCPRIM_400000_NS6detail17trampoline_kernelINS0_14default_configENS1_38merge_sort_block_merge_config_selectorIlNS0_10empty_typeEEEZZNS1_27merge_sort_block_merge_implIS3_PlPS5_mZN2at6native12_GLOBAL__N_124unique_dim_cuda_templateIiEESt5tupleIJNSA_6TensorESF_SF_EERKSF_lbbbEUlllE_EE10hipError_tT0_T1_T2_jT3_P12ihipStream_tbPNSt15iterator_traitsISL_E10value_typeEPNSR_ISM_E10value_typeEPSN_NS1_7vsmem_tEENKUlT_SL_SM_SN_E_clIS8_S8_S9_S9_EESK_S10_SL_SM_SN_EUlS10_E_NS1_11comp_targetILNS1_3genE10ELNS1_11target_archE1201ELNS1_3gpuE5ELNS1_3repE0EEENS1_48merge_mergepath_partition_config_static_selectorELNS0_4arch9wavefront6targetE1EEEvSM_.has_indirect_call, 0
	.section	.AMDGPU.csdata,"",@progbits
; Kernel info:
; codeLenInByte = 0
; TotalNumSgprs: 6
; NumVgprs: 0
; NumAgprs: 0
; TotalNumVgprs: 0
; ScratchSize: 0
; MemoryBound: 0
; FloatMode: 240
; IeeeMode: 1
; LDSByteSize: 0 bytes/workgroup (compile time only)
; SGPRBlocks: 0
; VGPRBlocks: 0
; NumSGPRsForWavesPerEU: 6
; NumVGPRsForWavesPerEU: 1
; AccumOffset: 4
; Occupancy: 8
; WaveLimiterHint : 0
; COMPUTE_PGM_RSRC2:SCRATCH_EN: 0
; COMPUTE_PGM_RSRC2:USER_SGPR: 2
; COMPUTE_PGM_RSRC2:TRAP_HANDLER: 0
; COMPUTE_PGM_RSRC2:TGID_X_EN: 1
; COMPUTE_PGM_RSRC2:TGID_Y_EN: 0
; COMPUTE_PGM_RSRC2:TGID_Z_EN: 0
; COMPUTE_PGM_RSRC2:TIDIG_COMP_CNT: 0
; COMPUTE_PGM_RSRC3_GFX90A:ACCUM_OFFSET: 0
; COMPUTE_PGM_RSRC3_GFX90A:TG_SPLIT: 0
	.section	.text._ZN7rocprim17ROCPRIM_400000_NS6detail17trampoline_kernelINS0_14default_configENS1_38merge_sort_block_merge_config_selectorIlNS0_10empty_typeEEEZZNS1_27merge_sort_block_merge_implIS3_PlPS5_mZN2at6native12_GLOBAL__N_124unique_dim_cuda_templateIiEESt5tupleIJNSA_6TensorESF_SF_EERKSF_lbbbEUlllE_EE10hipError_tT0_T1_T2_jT3_P12ihipStream_tbPNSt15iterator_traitsISL_E10value_typeEPNSR_ISM_E10value_typeEPSN_NS1_7vsmem_tEENKUlT_SL_SM_SN_E_clIS8_S8_S9_S9_EESK_S10_SL_SM_SN_EUlS10_E_NS1_11comp_targetILNS1_3genE5ELNS1_11target_archE942ELNS1_3gpuE9ELNS1_3repE0EEENS1_48merge_mergepath_partition_config_static_selectorELNS0_4arch9wavefront6targetE1EEEvSM_,"axG",@progbits,_ZN7rocprim17ROCPRIM_400000_NS6detail17trampoline_kernelINS0_14default_configENS1_38merge_sort_block_merge_config_selectorIlNS0_10empty_typeEEEZZNS1_27merge_sort_block_merge_implIS3_PlPS5_mZN2at6native12_GLOBAL__N_124unique_dim_cuda_templateIiEESt5tupleIJNSA_6TensorESF_SF_EERKSF_lbbbEUlllE_EE10hipError_tT0_T1_T2_jT3_P12ihipStream_tbPNSt15iterator_traitsISL_E10value_typeEPNSR_ISM_E10value_typeEPSN_NS1_7vsmem_tEENKUlT_SL_SM_SN_E_clIS8_S8_S9_S9_EESK_S10_SL_SM_SN_EUlS10_E_NS1_11comp_targetILNS1_3genE5ELNS1_11target_archE942ELNS1_3gpuE9ELNS1_3repE0EEENS1_48merge_mergepath_partition_config_static_selectorELNS0_4arch9wavefront6targetE1EEEvSM_,comdat
	.globl	_ZN7rocprim17ROCPRIM_400000_NS6detail17trampoline_kernelINS0_14default_configENS1_38merge_sort_block_merge_config_selectorIlNS0_10empty_typeEEEZZNS1_27merge_sort_block_merge_implIS3_PlPS5_mZN2at6native12_GLOBAL__N_124unique_dim_cuda_templateIiEESt5tupleIJNSA_6TensorESF_SF_EERKSF_lbbbEUlllE_EE10hipError_tT0_T1_T2_jT3_P12ihipStream_tbPNSt15iterator_traitsISL_E10value_typeEPNSR_ISM_E10value_typeEPSN_NS1_7vsmem_tEENKUlT_SL_SM_SN_E_clIS8_S8_S9_S9_EESK_S10_SL_SM_SN_EUlS10_E_NS1_11comp_targetILNS1_3genE5ELNS1_11target_archE942ELNS1_3gpuE9ELNS1_3repE0EEENS1_48merge_mergepath_partition_config_static_selectorELNS0_4arch9wavefront6targetE1EEEvSM_ ; -- Begin function _ZN7rocprim17ROCPRIM_400000_NS6detail17trampoline_kernelINS0_14default_configENS1_38merge_sort_block_merge_config_selectorIlNS0_10empty_typeEEEZZNS1_27merge_sort_block_merge_implIS3_PlPS5_mZN2at6native12_GLOBAL__N_124unique_dim_cuda_templateIiEESt5tupleIJNSA_6TensorESF_SF_EERKSF_lbbbEUlllE_EE10hipError_tT0_T1_T2_jT3_P12ihipStream_tbPNSt15iterator_traitsISL_E10value_typeEPNSR_ISM_E10value_typeEPSN_NS1_7vsmem_tEENKUlT_SL_SM_SN_E_clIS8_S8_S9_S9_EESK_S10_SL_SM_SN_EUlS10_E_NS1_11comp_targetILNS1_3genE5ELNS1_11target_archE942ELNS1_3gpuE9ELNS1_3repE0EEENS1_48merge_mergepath_partition_config_static_selectorELNS0_4arch9wavefront6targetE1EEEvSM_
	.p2align	8
	.type	_ZN7rocprim17ROCPRIM_400000_NS6detail17trampoline_kernelINS0_14default_configENS1_38merge_sort_block_merge_config_selectorIlNS0_10empty_typeEEEZZNS1_27merge_sort_block_merge_implIS3_PlPS5_mZN2at6native12_GLOBAL__N_124unique_dim_cuda_templateIiEESt5tupleIJNSA_6TensorESF_SF_EERKSF_lbbbEUlllE_EE10hipError_tT0_T1_T2_jT3_P12ihipStream_tbPNSt15iterator_traitsISL_E10value_typeEPNSR_ISM_E10value_typeEPSN_NS1_7vsmem_tEENKUlT_SL_SM_SN_E_clIS8_S8_S9_S9_EESK_S10_SL_SM_SN_EUlS10_E_NS1_11comp_targetILNS1_3genE5ELNS1_11target_archE942ELNS1_3gpuE9ELNS1_3repE0EEENS1_48merge_mergepath_partition_config_static_selectorELNS0_4arch9wavefront6targetE1EEEvSM_,@function
_ZN7rocprim17ROCPRIM_400000_NS6detail17trampoline_kernelINS0_14default_configENS1_38merge_sort_block_merge_config_selectorIlNS0_10empty_typeEEEZZNS1_27merge_sort_block_merge_implIS3_PlPS5_mZN2at6native12_GLOBAL__N_124unique_dim_cuda_templateIiEESt5tupleIJNSA_6TensorESF_SF_EERKSF_lbbbEUlllE_EE10hipError_tT0_T1_T2_jT3_P12ihipStream_tbPNSt15iterator_traitsISL_E10value_typeEPNSR_ISM_E10value_typeEPSN_NS1_7vsmem_tEENKUlT_SL_SM_SN_E_clIS8_S8_S9_S9_EESK_S10_SL_SM_SN_EUlS10_E_NS1_11comp_targetILNS1_3genE5ELNS1_11target_archE942ELNS1_3gpuE9ELNS1_3repE0EEENS1_48merge_mergepath_partition_config_static_selectorELNS0_4arch9wavefront6targetE1EEEvSM_: ; @_ZN7rocprim17ROCPRIM_400000_NS6detail17trampoline_kernelINS0_14default_configENS1_38merge_sort_block_merge_config_selectorIlNS0_10empty_typeEEEZZNS1_27merge_sort_block_merge_implIS3_PlPS5_mZN2at6native12_GLOBAL__N_124unique_dim_cuda_templateIiEESt5tupleIJNSA_6TensorESF_SF_EERKSF_lbbbEUlllE_EE10hipError_tT0_T1_T2_jT3_P12ihipStream_tbPNSt15iterator_traitsISL_E10value_typeEPNSR_ISM_E10value_typeEPSN_NS1_7vsmem_tEENKUlT_SL_SM_SN_E_clIS8_S8_S9_S9_EESK_S10_SL_SM_SN_EUlS10_E_NS1_11comp_targetILNS1_3genE5ELNS1_11target_archE942ELNS1_3gpuE9ELNS1_3repE0EEENS1_48merge_mergepath_partition_config_static_selectorELNS0_4arch9wavefront6targetE1EEEvSM_
; %bb.0:
	.section	.rodata,"a",@progbits
	.p2align	6, 0x0
	.amdhsa_kernel _ZN7rocprim17ROCPRIM_400000_NS6detail17trampoline_kernelINS0_14default_configENS1_38merge_sort_block_merge_config_selectorIlNS0_10empty_typeEEEZZNS1_27merge_sort_block_merge_implIS3_PlPS5_mZN2at6native12_GLOBAL__N_124unique_dim_cuda_templateIiEESt5tupleIJNSA_6TensorESF_SF_EERKSF_lbbbEUlllE_EE10hipError_tT0_T1_T2_jT3_P12ihipStream_tbPNSt15iterator_traitsISL_E10value_typeEPNSR_ISM_E10value_typeEPSN_NS1_7vsmem_tEENKUlT_SL_SM_SN_E_clIS8_S8_S9_S9_EESK_S10_SL_SM_SN_EUlS10_E_NS1_11comp_targetILNS1_3genE5ELNS1_11target_archE942ELNS1_3gpuE9ELNS1_3repE0EEENS1_48merge_mergepath_partition_config_static_selectorELNS0_4arch9wavefront6targetE1EEEvSM_
		.amdhsa_group_segment_fixed_size 0
		.amdhsa_private_segment_fixed_size 0
		.amdhsa_kernarg_size 56
		.amdhsa_user_sgpr_count 2
		.amdhsa_user_sgpr_dispatch_ptr 0
		.amdhsa_user_sgpr_queue_ptr 0
		.amdhsa_user_sgpr_kernarg_segment_ptr 1
		.amdhsa_user_sgpr_dispatch_id 0
		.amdhsa_user_sgpr_kernarg_preload_length 0
		.amdhsa_user_sgpr_kernarg_preload_offset 0
		.amdhsa_user_sgpr_private_segment_size 0
		.amdhsa_uses_dynamic_stack 0
		.amdhsa_enable_private_segment 0
		.amdhsa_system_sgpr_workgroup_id_x 1
		.amdhsa_system_sgpr_workgroup_id_y 0
		.amdhsa_system_sgpr_workgroup_id_z 0
		.amdhsa_system_sgpr_workgroup_info 0
		.amdhsa_system_vgpr_workitem_id 0
		.amdhsa_next_free_vgpr 1
		.amdhsa_next_free_sgpr 0
		.amdhsa_accum_offset 4
		.amdhsa_reserve_vcc 0
		.amdhsa_float_round_mode_32 0
		.amdhsa_float_round_mode_16_64 0
		.amdhsa_float_denorm_mode_32 3
		.amdhsa_float_denorm_mode_16_64 3
		.amdhsa_dx10_clamp 1
		.amdhsa_ieee_mode 1
		.amdhsa_fp16_overflow 0
		.amdhsa_tg_split 0
		.amdhsa_exception_fp_ieee_invalid_op 0
		.amdhsa_exception_fp_denorm_src 0
		.amdhsa_exception_fp_ieee_div_zero 0
		.amdhsa_exception_fp_ieee_overflow 0
		.amdhsa_exception_fp_ieee_underflow 0
		.amdhsa_exception_fp_ieee_inexact 0
		.amdhsa_exception_int_div_zero 0
	.end_amdhsa_kernel
	.section	.text._ZN7rocprim17ROCPRIM_400000_NS6detail17trampoline_kernelINS0_14default_configENS1_38merge_sort_block_merge_config_selectorIlNS0_10empty_typeEEEZZNS1_27merge_sort_block_merge_implIS3_PlPS5_mZN2at6native12_GLOBAL__N_124unique_dim_cuda_templateIiEESt5tupleIJNSA_6TensorESF_SF_EERKSF_lbbbEUlllE_EE10hipError_tT0_T1_T2_jT3_P12ihipStream_tbPNSt15iterator_traitsISL_E10value_typeEPNSR_ISM_E10value_typeEPSN_NS1_7vsmem_tEENKUlT_SL_SM_SN_E_clIS8_S8_S9_S9_EESK_S10_SL_SM_SN_EUlS10_E_NS1_11comp_targetILNS1_3genE5ELNS1_11target_archE942ELNS1_3gpuE9ELNS1_3repE0EEENS1_48merge_mergepath_partition_config_static_selectorELNS0_4arch9wavefront6targetE1EEEvSM_,"axG",@progbits,_ZN7rocprim17ROCPRIM_400000_NS6detail17trampoline_kernelINS0_14default_configENS1_38merge_sort_block_merge_config_selectorIlNS0_10empty_typeEEEZZNS1_27merge_sort_block_merge_implIS3_PlPS5_mZN2at6native12_GLOBAL__N_124unique_dim_cuda_templateIiEESt5tupleIJNSA_6TensorESF_SF_EERKSF_lbbbEUlllE_EE10hipError_tT0_T1_T2_jT3_P12ihipStream_tbPNSt15iterator_traitsISL_E10value_typeEPNSR_ISM_E10value_typeEPSN_NS1_7vsmem_tEENKUlT_SL_SM_SN_E_clIS8_S8_S9_S9_EESK_S10_SL_SM_SN_EUlS10_E_NS1_11comp_targetILNS1_3genE5ELNS1_11target_archE942ELNS1_3gpuE9ELNS1_3repE0EEENS1_48merge_mergepath_partition_config_static_selectorELNS0_4arch9wavefront6targetE1EEEvSM_,comdat
.Lfunc_end394:
	.size	_ZN7rocprim17ROCPRIM_400000_NS6detail17trampoline_kernelINS0_14default_configENS1_38merge_sort_block_merge_config_selectorIlNS0_10empty_typeEEEZZNS1_27merge_sort_block_merge_implIS3_PlPS5_mZN2at6native12_GLOBAL__N_124unique_dim_cuda_templateIiEESt5tupleIJNSA_6TensorESF_SF_EERKSF_lbbbEUlllE_EE10hipError_tT0_T1_T2_jT3_P12ihipStream_tbPNSt15iterator_traitsISL_E10value_typeEPNSR_ISM_E10value_typeEPSN_NS1_7vsmem_tEENKUlT_SL_SM_SN_E_clIS8_S8_S9_S9_EESK_S10_SL_SM_SN_EUlS10_E_NS1_11comp_targetILNS1_3genE5ELNS1_11target_archE942ELNS1_3gpuE9ELNS1_3repE0EEENS1_48merge_mergepath_partition_config_static_selectorELNS0_4arch9wavefront6targetE1EEEvSM_, .Lfunc_end394-_ZN7rocprim17ROCPRIM_400000_NS6detail17trampoline_kernelINS0_14default_configENS1_38merge_sort_block_merge_config_selectorIlNS0_10empty_typeEEEZZNS1_27merge_sort_block_merge_implIS3_PlPS5_mZN2at6native12_GLOBAL__N_124unique_dim_cuda_templateIiEESt5tupleIJNSA_6TensorESF_SF_EERKSF_lbbbEUlllE_EE10hipError_tT0_T1_T2_jT3_P12ihipStream_tbPNSt15iterator_traitsISL_E10value_typeEPNSR_ISM_E10value_typeEPSN_NS1_7vsmem_tEENKUlT_SL_SM_SN_E_clIS8_S8_S9_S9_EESK_S10_SL_SM_SN_EUlS10_E_NS1_11comp_targetILNS1_3genE5ELNS1_11target_archE942ELNS1_3gpuE9ELNS1_3repE0EEENS1_48merge_mergepath_partition_config_static_selectorELNS0_4arch9wavefront6targetE1EEEvSM_
                                        ; -- End function
	.set _ZN7rocprim17ROCPRIM_400000_NS6detail17trampoline_kernelINS0_14default_configENS1_38merge_sort_block_merge_config_selectorIlNS0_10empty_typeEEEZZNS1_27merge_sort_block_merge_implIS3_PlPS5_mZN2at6native12_GLOBAL__N_124unique_dim_cuda_templateIiEESt5tupleIJNSA_6TensorESF_SF_EERKSF_lbbbEUlllE_EE10hipError_tT0_T1_T2_jT3_P12ihipStream_tbPNSt15iterator_traitsISL_E10value_typeEPNSR_ISM_E10value_typeEPSN_NS1_7vsmem_tEENKUlT_SL_SM_SN_E_clIS8_S8_S9_S9_EESK_S10_SL_SM_SN_EUlS10_E_NS1_11comp_targetILNS1_3genE5ELNS1_11target_archE942ELNS1_3gpuE9ELNS1_3repE0EEENS1_48merge_mergepath_partition_config_static_selectorELNS0_4arch9wavefront6targetE1EEEvSM_.num_vgpr, 0
	.set _ZN7rocprim17ROCPRIM_400000_NS6detail17trampoline_kernelINS0_14default_configENS1_38merge_sort_block_merge_config_selectorIlNS0_10empty_typeEEEZZNS1_27merge_sort_block_merge_implIS3_PlPS5_mZN2at6native12_GLOBAL__N_124unique_dim_cuda_templateIiEESt5tupleIJNSA_6TensorESF_SF_EERKSF_lbbbEUlllE_EE10hipError_tT0_T1_T2_jT3_P12ihipStream_tbPNSt15iterator_traitsISL_E10value_typeEPNSR_ISM_E10value_typeEPSN_NS1_7vsmem_tEENKUlT_SL_SM_SN_E_clIS8_S8_S9_S9_EESK_S10_SL_SM_SN_EUlS10_E_NS1_11comp_targetILNS1_3genE5ELNS1_11target_archE942ELNS1_3gpuE9ELNS1_3repE0EEENS1_48merge_mergepath_partition_config_static_selectorELNS0_4arch9wavefront6targetE1EEEvSM_.num_agpr, 0
	.set _ZN7rocprim17ROCPRIM_400000_NS6detail17trampoline_kernelINS0_14default_configENS1_38merge_sort_block_merge_config_selectorIlNS0_10empty_typeEEEZZNS1_27merge_sort_block_merge_implIS3_PlPS5_mZN2at6native12_GLOBAL__N_124unique_dim_cuda_templateIiEESt5tupleIJNSA_6TensorESF_SF_EERKSF_lbbbEUlllE_EE10hipError_tT0_T1_T2_jT3_P12ihipStream_tbPNSt15iterator_traitsISL_E10value_typeEPNSR_ISM_E10value_typeEPSN_NS1_7vsmem_tEENKUlT_SL_SM_SN_E_clIS8_S8_S9_S9_EESK_S10_SL_SM_SN_EUlS10_E_NS1_11comp_targetILNS1_3genE5ELNS1_11target_archE942ELNS1_3gpuE9ELNS1_3repE0EEENS1_48merge_mergepath_partition_config_static_selectorELNS0_4arch9wavefront6targetE1EEEvSM_.numbered_sgpr, 0
	.set _ZN7rocprim17ROCPRIM_400000_NS6detail17trampoline_kernelINS0_14default_configENS1_38merge_sort_block_merge_config_selectorIlNS0_10empty_typeEEEZZNS1_27merge_sort_block_merge_implIS3_PlPS5_mZN2at6native12_GLOBAL__N_124unique_dim_cuda_templateIiEESt5tupleIJNSA_6TensorESF_SF_EERKSF_lbbbEUlllE_EE10hipError_tT0_T1_T2_jT3_P12ihipStream_tbPNSt15iterator_traitsISL_E10value_typeEPNSR_ISM_E10value_typeEPSN_NS1_7vsmem_tEENKUlT_SL_SM_SN_E_clIS8_S8_S9_S9_EESK_S10_SL_SM_SN_EUlS10_E_NS1_11comp_targetILNS1_3genE5ELNS1_11target_archE942ELNS1_3gpuE9ELNS1_3repE0EEENS1_48merge_mergepath_partition_config_static_selectorELNS0_4arch9wavefront6targetE1EEEvSM_.num_named_barrier, 0
	.set _ZN7rocprim17ROCPRIM_400000_NS6detail17trampoline_kernelINS0_14default_configENS1_38merge_sort_block_merge_config_selectorIlNS0_10empty_typeEEEZZNS1_27merge_sort_block_merge_implIS3_PlPS5_mZN2at6native12_GLOBAL__N_124unique_dim_cuda_templateIiEESt5tupleIJNSA_6TensorESF_SF_EERKSF_lbbbEUlllE_EE10hipError_tT0_T1_T2_jT3_P12ihipStream_tbPNSt15iterator_traitsISL_E10value_typeEPNSR_ISM_E10value_typeEPSN_NS1_7vsmem_tEENKUlT_SL_SM_SN_E_clIS8_S8_S9_S9_EESK_S10_SL_SM_SN_EUlS10_E_NS1_11comp_targetILNS1_3genE5ELNS1_11target_archE942ELNS1_3gpuE9ELNS1_3repE0EEENS1_48merge_mergepath_partition_config_static_selectorELNS0_4arch9wavefront6targetE1EEEvSM_.private_seg_size, 0
	.set _ZN7rocprim17ROCPRIM_400000_NS6detail17trampoline_kernelINS0_14default_configENS1_38merge_sort_block_merge_config_selectorIlNS0_10empty_typeEEEZZNS1_27merge_sort_block_merge_implIS3_PlPS5_mZN2at6native12_GLOBAL__N_124unique_dim_cuda_templateIiEESt5tupleIJNSA_6TensorESF_SF_EERKSF_lbbbEUlllE_EE10hipError_tT0_T1_T2_jT3_P12ihipStream_tbPNSt15iterator_traitsISL_E10value_typeEPNSR_ISM_E10value_typeEPSN_NS1_7vsmem_tEENKUlT_SL_SM_SN_E_clIS8_S8_S9_S9_EESK_S10_SL_SM_SN_EUlS10_E_NS1_11comp_targetILNS1_3genE5ELNS1_11target_archE942ELNS1_3gpuE9ELNS1_3repE0EEENS1_48merge_mergepath_partition_config_static_selectorELNS0_4arch9wavefront6targetE1EEEvSM_.uses_vcc, 0
	.set _ZN7rocprim17ROCPRIM_400000_NS6detail17trampoline_kernelINS0_14default_configENS1_38merge_sort_block_merge_config_selectorIlNS0_10empty_typeEEEZZNS1_27merge_sort_block_merge_implIS3_PlPS5_mZN2at6native12_GLOBAL__N_124unique_dim_cuda_templateIiEESt5tupleIJNSA_6TensorESF_SF_EERKSF_lbbbEUlllE_EE10hipError_tT0_T1_T2_jT3_P12ihipStream_tbPNSt15iterator_traitsISL_E10value_typeEPNSR_ISM_E10value_typeEPSN_NS1_7vsmem_tEENKUlT_SL_SM_SN_E_clIS8_S8_S9_S9_EESK_S10_SL_SM_SN_EUlS10_E_NS1_11comp_targetILNS1_3genE5ELNS1_11target_archE942ELNS1_3gpuE9ELNS1_3repE0EEENS1_48merge_mergepath_partition_config_static_selectorELNS0_4arch9wavefront6targetE1EEEvSM_.uses_flat_scratch, 0
	.set _ZN7rocprim17ROCPRIM_400000_NS6detail17trampoline_kernelINS0_14default_configENS1_38merge_sort_block_merge_config_selectorIlNS0_10empty_typeEEEZZNS1_27merge_sort_block_merge_implIS3_PlPS5_mZN2at6native12_GLOBAL__N_124unique_dim_cuda_templateIiEESt5tupleIJNSA_6TensorESF_SF_EERKSF_lbbbEUlllE_EE10hipError_tT0_T1_T2_jT3_P12ihipStream_tbPNSt15iterator_traitsISL_E10value_typeEPNSR_ISM_E10value_typeEPSN_NS1_7vsmem_tEENKUlT_SL_SM_SN_E_clIS8_S8_S9_S9_EESK_S10_SL_SM_SN_EUlS10_E_NS1_11comp_targetILNS1_3genE5ELNS1_11target_archE942ELNS1_3gpuE9ELNS1_3repE0EEENS1_48merge_mergepath_partition_config_static_selectorELNS0_4arch9wavefront6targetE1EEEvSM_.has_dyn_sized_stack, 0
	.set _ZN7rocprim17ROCPRIM_400000_NS6detail17trampoline_kernelINS0_14default_configENS1_38merge_sort_block_merge_config_selectorIlNS0_10empty_typeEEEZZNS1_27merge_sort_block_merge_implIS3_PlPS5_mZN2at6native12_GLOBAL__N_124unique_dim_cuda_templateIiEESt5tupleIJNSA_6TensorESF_SF_EERKSF_lbbbEUlllE_EE10hipError_tT0_T1_T2_jT3_P12ihipStream_tbPNSt15iterator_traitsISL_E10value_typeEPNSR_ISM_E10value_typeEPSN_NS1_7vsmem_tEENKUlT_SL_SM_SN_E_clIS8_S8_S9_S9_EESK_S10_SL_SM_SN_EUlS10_E_NS1_11comp_targetILNS1_3genE5ELNS1_11target_archE942ELNS1_3gpuE9ELNS1_3repE0EEENS1_48merge_mergepath_partition_config_static_selectorELNS0_4arch9wavefront6targetE1EEEvSM_.has_recursion, 0
	.set _ZN7rocprim17ROCPRIM_400000_NS6detail17trampoline_kernelINS0_14default_configENS1_38merge_sort_block_merge_config_selectorIlNS0_10empty_typeEEEZZNS1_27merge_sort_block_merge_implIS3_PlPS5_mZN2at6native12_GLOBAL__N_124unique_dim_cuda_templateIiEESt5tupleIJNSA_6TensorESF_SF_EERKSF_lbbbEUlllE_EE10hipError_tT0_T1_T2_jT3_P12ihipStream_tbPNSt15iterator_traitsISL_E10value_typeEPNSR_ISM_E10value_typeEPSN_NS1_7vsmem_tEENKUlT_SL_SM_SN_E_clIS8_S8_S9_S9_EESK_S10_SL_SM_SN_EUlS10_E_NS1_11comp_targetILNS1_3genE5ELNS1_11target_archE942ELNS1_3gpuE9ELNS1_3repE0EEENS1_48merge_mergepath_partition_config_static_selectorELNS0_4arch9wavefront6targetE1EEEvSM_.has_indirect_call, 0
	.section	.AMDGPU.csdata,"",@progbits
; Kernel info:
; codeLenInByte = 0
; TotalNumSgprs: 6
; NumVgprs: 0
; NumAgprs: 0
; TotalNumVgprs: 0
; ScratchSize: 0
; MemoryBound: 0
; FloatMode: 240
; IeeeMode: 1
; LDSByteSize: 0 bytes/workgroup (compile time only)
; SGPRBlocks: 0
; VGPRBlocks: 0
; NumSGPRsForWavesPerEU: 6
; NumVGPRsForWavesPerEU: 1
; AccumOffset: 4
; Occupancy: 8
; WaveLimiterHint : 0
; COMPUTE_PGM_RSRC2:SCRATCH_EN: 0
; COMPUTE_PGM_RSRC2:USER_SGPR: 2
; COMPUTE_PGM_RSRC2:TRAP_HANDLER: 0
; COMPUTE_PGM_RSRC2:TGID_X_EN: 1
; COMPUTE_PGM_RSRC2:TGID_Y_EN: 0
; COMPUTE_PGM_RSRC2:TGID_Z_EN: 0
; COMPUTE_PGM_RSRC2:TIDIG_COMP_CNT: 0
; COMPUTE_PGM_RSRC3_GFX90A:ACCUM_OFFSET: 0
; COMPUTE_PGM_RSRC3_GFX90A:TG_SPLIT: 0
	.section	.text._ZN7rocprim17ROCPRIM_400000_NS6detail17trampoline_kernelINS0_14default_configENS1_38merge_sort_block_merge_config_selectorIlNS0_10empty_typeEEEZZNS1_27merge_sort_block_merge_implIS3_PlPS5_mZN2at6native12_GLOBAL__N_124unique_dim_cuda_templateIiEESt5tupleIJNSA_6TensorESF_SF_EERKSF_lbbbEUlllE_EE10hipError_tT0_T1_T2_jT3_P12ihipStream_tbPNSt15iterator_traitsISL_E10value_typeEPNSR_ISM_E10value_typeEPSN_NS1_7vsmem_tEENKUlT_SL_SM_SN_E_clIS8_S8_S9_S9_EESK_S10_SL_SM_SN_EUlS10_E_NS1_11comp_targetILNS1_3genE4ELNS1_11target_archE910ELNS1_3gpuE8ELNS1_3repE0EEENS1_48merge_mergepath_partition_config_static_selectorELNS0_4arch9wavefront6targetE1EEEvSM_,"axG",@progbits,_ZN7rocprim17ROCPRIM_400000_NS6detail17trampoline_kernelINS0_14default_configENS1_38merge_sort_block_merge_config_selectorIlNS0_10empty_typeEEEZZNS1_27merge_sort_block_merge_implIS3_PlPS5_mZN2at6native12_GLOBAL__N_124unique_dim_cuda_templateIiEESt5tupleIJNSA_6TensorESF_SF_EERKSF_lbbbEUlllE_EE10hipError_tT0_T1_T2_jT3_P12ihipStream_tbPNSt15iterator_traitsISL_E10value_typeEPNSR_ISM_E10value_typeEPSN_NS1_7vsmem_tEENKUlT_SL_SM_SN_E_clIS8_S8_S9_S9_EESK_S10_SL_SM_SN_EUlS10_E_NS1_11comp_targetILNS1_3genE4ELNS1_11target_archE910ELNS1_3gpuE8ELNS1_3repE0EEENS1_48merge_mergepath_partition_config_static_selectorELNS0_4arch9wavefront6targetE1EEEvSM_,comdat
	.globl	_ZN7rocprim17ROCPRIM_400000_NS6detail17trampoline_kernelINS0_14default_configENS1_38merge_sort_block_merge_config_selectorIlNS0_10empty_typeEEEZZNS1_27merge_sort_block_merge_implIS3_PlPS5_mZN2at6native12_GLOBAL__N_124unique_dim_cuda_templateIiEESt5tupleIJNSA_6TensorESF_SF_EERKSF_lbbbEUlllE_EE10hipError_tT0_T1_T2_jT3_P12ihipStream_tbPNSt15iterator_traitsISL_E10value_typeEPNSR_ISM_E10value_typeEPSN_NS1_7vsmem_tEENKUlT_SL_SM_SN_E_clIS8_S8_S9_S9_EESK_S10_SL_SM_SN_EUlS10_E_NS1_11comp_targetILNS1_3genE4ELNS1_11target_archE910ELNS1_3gpuE8ELNS1_3repE0EEENS1_48merge_mergepath_partition_config_static_selectorELNS0_4arch9wavefront6targetE1EEEvSM_ ; -- Begin function _ZN7rocprim17ROCPRIM_400000_NS6detail17trampoline_kernelINS0_14default_configENS1_38merge_sort_block_merge_config_selectorIlNS0_10empty_typeEEEZZNS1_27merge_sort_block_merge_implIS3_PlPS5_mZN2at6native12_GLOBAL__N_124unique_dim_cuda_templateIiEESt5tupleIJNSA_6TensorESF_SF_EERKSF_lbbbEUlllE_EE10hipError_tT0_T1_T2_jT3_P12ihipStream_tbPNSt15iterator_traitsISL_E10value_typeEPNSR_ISM_E10value_typeEPSN_NS1_7vsmem_tEENKUlT_SL_SM_SN_E_clIS8_S8_S9_S9_EESK_S10_SL_SM_SN_EUlS10_E_NS1_11comp_targetILNS1_3genE4ELNS1_11target_archE910ELNS1_3gpuE8ELNS1_3repE0EEENS1_48merge_mergepath_partition_config_static_selectorELNS0_4arch9wavefront6targetE1EEEvSM_
	.p2align	8
	.type	_ZN7rocprim17ROCPRIM_400000_NS6detail17trampoline_kernelINS0_14default_configENS1_38merge_sort_block_merge_config_selectorIlNS0_10empty_typeEEEZZNS1_27merge_sort_block_merge_implIS3_PlPS5_mZN2at6native12_GLOBAL__N_124unique_dim_cuda_templateIiEESt5tupleIJNSA_6TensorESF_SF_EERKSF_lbbbEUlllE_EE10hipError_tT0_T1_T2_jT3_P12ihipStream_tbPNSt15iterator_traitsISL_E10value_typeEPNSR_ISM_E10value_typeEPSN_NS1_7vsmem_tEENKUlT_SL_SM_SN_E_clIS8_S8_S9_S9_EESK_S10_SL_SM_SN_EUlS10_E_NS1_11comp_targetILNS1_3genE4ELNS1_11target_archE910ELNS1_3gpuE8ELNS1_3repE0EEENS1_48merge_mergepath_partition_config_static_selectorELNS0_4arch9wavefront6targetE1EEEvSM_,@function
_ZN7rocprim17ROCPRIM_400000_NS6detail17trampoline_kernelINS0_14default_configENS1_38merge_sort_block_merge_config_selectorIlNS0_10empty_typeEEEZZNS1_27merge_sort_block_merge_implIS3_PlPS5_mZN2at6native12_GLOBAL__N_124unique_dim_cuda_templateIiEESt5tupleIJNSA_6TensorESF_SF_EERKSF_lbbbEUlllE_EE10hipError_tT0_T1_T2_jT3_P12ihipStream_tbPNSt15iterator_traitsISL_E10value_typeEPNSR_ISM_E10value_typeEPSN_NS1_7vsmem_tEENKUlT_SL_SM_SN_E_clIS8_S8_S9_S9_EESK_S10_SL_SM_SN_EUlS10_E_NS1_11comp_targetILNS1_3genE4ELNS1_11target_archE910ELNS1_3gpuE8ELNS1_3repE0EEENS1_48merge_mergepath_partition_config_static_selectorELNS0_4arch9wavefront6targetE1EEEvSM_: ; @_ZN7rocprim17ROCPRIM_400000_NS6detail17trampoline_kernelINS0_14default_configENS1_38merge_sort_block_merge_config_selectorIlNS0_10empty_typeEEEZZNS1_27merge_sort_block_merge_implIS3_PlPS5_mZN2at6native12_GLOBAL__N_124unique_dim_cuda_templateIiEESt5tupleIJNSA_6TensorESF_SF_EERKSF_lbbbEUlllE_EE10hipError_tT0_T1_T2_jT3_P12ihipStream_tbPNSt15iterator_traitsISL_E10value_typeEPNSR_ISM_E10value_typeEPSN_NS1_7vsmem_tEENKUlT_SL_SM_SN_E_clIS8_S8_S9_S9_EESK_S10_SL_SM_SN_EUlS10_E_NS1_11comp_targetILNS1_3genE4ELNS1_11target_archE910ELNS1_3gpuE8ELNS1_3repE0EEENS1_48merge_mergepath_partition_config_static_selectorELNS0_4arch9wavefront6targetE1EEEvSM_
; %bb.0:
	.section	.rodata,"a",@progbits
	.p2align	6, 0x0
	.amdhsa_kernel _ZN7rocprim17ROCPRIM_400000_NS6detail17trampoline_kernelINS0_14default_configENS1_38merge_sort_block_merge_config_selectorIlNS0_10empty_typeEEEZZNS1_27merge_sort_block_merge_implIS3_PlPS5_mZN2at6native12_GLOBAL__N_124unique_dim_cuda_templateIiEESt5tupleIJNSA_6TensorESF_SF_EERKSF_lbbbEUlllE_EE10hipError_tT0_T1_T2_jT3_P12ihipStream_tbPNSt15iterator_traitsISL_E10value_typeEPNSR_ISM_E10value_typeEPSN_NS1_7vsmem_tEENKUlT_SL_SM_SN_E_clIS8_S8_S9_S9_EESK_S10_SL_SM_SN_EUlS10_E_NS1_11comp_targetILNS1_3genE4ELNS1_11target_archE910ELNS1_3gpuE8ELNS1_3repE0EEENS1_48merge_mergepath_partition_config_static_selectorELNS0_4arch9wavefront6targetE1EEEvSM_
		.amdhsa_group_segment_fixed_size 0
		.amdhsa_private_segment_fixed_size 0
		.amdhsa_kernarg_size 56
		.amdhsa_user_sgpr_count 2
		.amdhsa_user_sgpr_dispatch_ptr 0
		.amdhsa_user_sgpr_queue_ptr 0
		.amdhsa_user_sgpr_kernarg_segment_ptr 1
		.amdhsa_user_sgpr_dispatch_id 0
		.amdhsa_user_sgpr_kernarg_preload_length 0
		.amdhsa_user_sgpr_kernarg_preload_offset 0
		.amdhsa_user_sgpr_private_segment_size 0
		.amdhsa_uses_dynamic_stack 0
		.amdhsa_enable_private_segment 0
		.amdhsa_system_sgpr_workgroup_id_x 1
		.amdhsa_system_sgpr_workgroup_id_y 0
		.amdhsa_system_sgpr_workgroup_id_z 0
		.amdhsa_system_sgpr_workgroup_info 0
		.amdhsa_system_vgpr_workitem_id 0
		.amdhsa_next_free_vgpr 1
		.amdhsa_next_free_sgpr 0
		.amdhsa_accum_offset 4
		.amdhsa_reserve_vcc 0
		.amdhsa_float_round_mode_32 0
		.amdhsa_float_round_mode_16_64 0
		.amdhsa_float_denorm_mode_32 3
		.amdhsa_float_denorm_mode_16_64 3
		.amdhsa_dx10_clamp 1
		.amdhsa_ieee_mode 1
		.amdhsa_fp16_overflow 0
		.amdhsa_tg_split 0
		.amdhsa_exception_fp_ieee_invalid_op 0
		.amdhsa_exception_fp_denorm_src 0
		.amdhsa_exception_fp_ieee_div_zero 0
		.amdhsa_exception_fp_ieee_overflow 0
		.amdhsa_exception_fp_ieee_underflow 0
		.amdhsa_exception_fp_ieee_inexact 0
		.amdhsa_exception_int_div_zero 0
	.end_amdhsa_kernel
	.section	.text._ZN7rocprim17ROCPRIM_400000_NS6detail17trampoline_kernelINS0_14default_configENS1_38merge_sort_block_merge_config_selectorIlNS0_10empty_typeEEEZZNS1_27merge_sort_block_merge_implIS3_PlPS5_mZN2at6native12_GLOBAL__N_124unique_dim_cuda_templateIiEESt5tupleIJNSA_6TensorESF_SF_EERKSF_lbbbEUlllE_EE10hipError_tT0_T1_T2_jT3_P12ihipStream_tbPNSt15iterator_traitsISL_E10value_typeEPNSR_ISM_E10value_typeEPSN_NS1_7vsmem_tEENKUlT_SL_SM_SN_E_clIS8_S8_S9_S9_EESK_S10_SL_SM_SN_EUlS10_E_NS1_11comp_targetILNS1_3genE4ELNS1_11target_archE910ELNS1_3gpuE8ELNS1_3repE0EEENS1_48merge_mergepath_partition_config_static_selectorELNS0_4arch9wavefront6targetE1EEEvSM_,"axG",@progbits,_ZN7rocprim17ROCPRIM_400000_NS6detail17trampoline_kernelINS0_14default_configENS1_38merge_sort_block_merge_config_selectorIlNS0_10empty_typeEEEZZNS1_27merge_sort_block_merge_implIS3_PlPS5_mZN2at6native12_GLOBAL__N_124unique_dim_cuda_templateIiEESt5tupleIJNSA_6TensorESF_SF_EERKSF_lbbbEUlllE_EE10hipError_tT0_T1_T2_jT3_P12ihipStream_tbPNSt15iterator_traitsISL_E10value_typeEPNSR_ISM_E10value_typeEPSN_NS1_7vsmem_tEENKUlT_SL_SM_SN_E_clIS8_S8_S9_S9_EESK_S10_SL_SM_SN_EUlS10_E_NS1_11comp_targetILNS1_3genE4ELNS1_11target_archE910ELNS1_3gpuE8ELNS1_3repE0EEENS1_48merge_mergepath_partition_config_static_selectorELNS0_4arch9wavefront6targetE1EEEvSM_,comdat
.Lfunc_end395:
	.size	_ZN7rocprim17ROCPRIM_400000_NS6detail17trampoline_kernelINS0_14default_configENS1_38merge_sort_block_merge_config_selectorIlNS0_10empty_typeEEEZZNS1_27merge_sort_block_merge_implIS3_PlPS5_mZN2at6native12_GLOBAL__N_124unique_dim_cuda_templateIiEESt5tupleIJNSA_6TensorESF_SF_EERKSF_lbbbEUlllE_EE10hipError_tT0_T1_T2_jT3_P12ihipStream_tbPNSt15iterator_traitsISL_E10value_typeEPNSR_ISM_E10value_typeEPSN_NS1_7vsmem_tEENKUlT_SL_SM_SN_E_clIS8_S8_S9_S9_EESK_S10_SL_SM_SN_EUlS10_E_NS1_11comp_targetILNS1_3genE4ELNS1_11target_archE910ELNS1_3gpuE8ELNS1_3repE0EEENS1_48merge_mergepath_partition_config_static_selectorELNS0_4arch9wavefront6targetE1EEEvSM_, .Lfunc_end395-_ZN7rocprim17ROCPRIM_400000_NS6detail17trampoline_kernelINS0_14default_configENS1_38merge_sort_block_merge_config_selectorIlNS0_10empty_typeEEEZZNS1_27merge_sort_block_merge_implIS3_PlPS5_mZN2at6native12_GLOBAL__N_124unique_dim_cuda_templateIiEESt5tupleIJNSA_6TensorESF_SF_EERKSF_lbbbEUlllE_EE10hipError_tT0_T1_T2_jT3_P12ihipStream_tbPNSt15iterator_traitsISL_E10value_typeEPNSR_ISM_E10value_typeEPSN_NS1_7vsmem_tEENKUlT_SL_SM_SN_E_clIS8_S8_S9_S9_EESK_S10_SL_SM_SN_EUlS10_E_NS1_11comp_targetILNS1_3genE4ELNS1_11target_archE910ELNS1_3gpuE8ELNS1_3repE0EEENS1_48merge_mergepath_partition_config_static_selectorELNS0_4arch9wavefront6targetE1EEEvSM_
                                        ; -- End function
	.set _ZN7rocprim17ROCPRIM_400000_NS6detail17trampoline_kernelINS0_14default_configENS1_38merge_sort_block_merge_config_selectorIlNS0_10empty_typeEEEZZNS1_27merge_sort_block_merge_implIS3_PlPS5_mZN2at6native12_GLOBAL__N_124unique_dim_cuda_templateIiEESt5tupleIJNSA_6TensorESF_SF_EERKSF_lbbbEUlllE_EE10hipError_tT0_T1_T2_jT3_P12ihipStream_tbPNSt15iterator_traitsISL_E10value_typeEPNSR_ISM_E10value_typeEPSN_NS1_7vsmem_tEENKUlT_SL_SM_SN_E_clIS8_S8_S9_S9_EESK_S10_SL_SM_SN_EUlS10_E_NS1_11comp_targetILNS1_3genE4ELNS1_11target_archE910ELNS1_3gpuE8ELNS1_3repE0EEENS1_48merge_mergepath_partition_config_static_selectorELNS0_4arch9wavefront6targetE1EEEvSM_.num_vgpr, 0
	.set _ZN7rocprim17ROCPRIM_400000_NS6detail17trampoline_kernelINS0_14default_configENS1_38merge_sort_block_merge_config_selectorIlNS0_10empty_typeEEEZZNS1_27merge_sort_block_merge_implIS3_PlPS5_mZN2at6native12_GLOBAL__N_124unique_dim_cuda_templateIiEESt5tupleIJNSA_6TensorESF_SF_EERKSF_lbbbEUlllE_EE10hipError_tT0_T1_T2_jT3_P12ihipStream_tbPNSt15iterator_traitsISL_E10value_typeEPNSR_ISM_E10value_typeEPSN_NS1_7vsmem_tEENKUlT_SL_SM_SN_E_clIS8_S8_S9_S9_EESK_S10_SL_SM_SN_EUlS10_E_NS1_11comp_targetILNS1_3genE4ELNS1_11target_archE910ELNS1_3gpuE8ELNS1_3repE0EEENS1_48merge_mergepath_partition_config_static_selectorELNS0_4arch9wavefront6targetE1EEEvSM_.num_agpr, 0
	.set _ZN7rocprim17ROCPRIM_400000_NS6detail17trampoline_kernelINS0_14default_configENS1_38merge_sort_block_merge_config_selectorIlNS0_10empty_typeEEEZZNS1_27merge_sort_block_merge_implIS3_PlPS5_mZN2at6native12_GLOBAL__N_124unique_dim_cuda_templateIiEESt5tupleIJNSA_6TensorESF_SF_EERKSF_lbbbEUlllE_EE10hipError_tT0_T1_T2_jT3_P12ihipStream_tbPNSt15iterator_traitsISL_E10value_typeEPNSR_ISM_E10value_typeEPSN_NS1_7vsmem_tEENKUlT_SL_SM_SN_E_clIS8_S8_S9_S9_EESK_S10_SL_SM_SN_EUlS10_E_NS1_11comp_targetILNS1_3genE4ELNS1_11target_archE910ELNS1_3gpuE8ELNS1_3repE0EEENS1_48merge_mergepath_partition_config_static_selectorELNS0_4arch9wavefront6targetE1EEEvSM_.numbered_sgpr, 0
	.set _ZN7rocprim17ROCPRIM_400000_NS6detail17trampoline_kernelINS0_14default_configENS1_38merge_sort_block_merge_config_selectorIlNS0_10empty_typeEEEZZNS1_27merge_sort_block_merge_implIS3_PlPS5_mZN2at6native12_GLOBAL__N_124unique_dim_cuda_templateIiEESt5tupleIJNSA_6TensorESF_SF_EERKSF_lbbbEUlllE_EE10hipError_tT0_T1_T2_jT3_P12ihipStream_tbPNSt15iterator_traitsISL_E10value_typeEPNSR_ISM_E10value_typeEPSN_NS1_7vsmem_tEENKUlT_SL_SM_SN_E_clIS8_S8_S9_S9_EESK_S10_SL_SM_SN_EUlS10_E_NS1_11comp_targetILNS1_3genE4ELNS1_11target_archE910ELNS1_3gpuE8ELNS1_3repE0EEENS1_48merge_mergepath_partition_config_static_selectorELNS0_4arch9wavefront6targetE1EEEvSM_.num_named_barrier, 0
	.set _ZN7rocprim17ROCPRIM_400000_NS6detail17trampoline_kernelINS0_14default_configENS1_38merge_sort_block_merge_config_selectorIlNS0_10empty_typeEEEZZNS1_27merge_sort_block_merge_implIS3_PlPS5_mZN2at6native12_GLOBAL__N_124unique_dim_cuda_templateIiEESt5tupleIJNSA_6TensorESF_SF_EERKSF_lbbbEUlllE_EE10hipError_tT0_T1_T2_jT3_P12ihipStream_tbPNSt15iterator_traitsISL_E10value_typeEPNSR_ISM_E10value_typeEPSN_NS1_7vsmem_tEENKUlT_SL_SM_SN_E_clIS8_S8_S9_S9_EESK_S10_SL_SM_SN_EUlS10_E_NS1_11comp_targetILNS1_3genE4ELNS1_11target_archE910ELNS1_3gpuE8ELNS1_3repE0EEENS1_48merge_mergepath_partition_config_static_selectorELNS0_4arch9wavefront6targetE1EEEvSM_.private_seg_size, 0
	.set _ZN7rocprim17ROCPRIM_400000_NS6detail17trampoline_kernelINS0_14default_configENS1_38merge_sort_block_merge_config_selectorIlNS0_10empty_typeEEEZZNS1_27merge_sort_block_merge_implIS3_PlPS5_mZN2at6native12_GLOBAL__N_124unique_dim_cuda_templateIiEESt5tupleIJNSA_6TensorESF_SF_EERKSF_lbbbEUlllE_EE10hipError_tT0_T1_T2_jT3_P12ihipStream_tbPNSt15iterator_traitsISL_E10value_typeEPNSR_ISM_E10value_typeEPSN_NS1_7vsmem_tEENKUlT_SL_SM_SN_E_clIS8_S8_S9_S9_EESK_S10_SL_SM_SN_EUlS10_E_NS1_11comp_targetILNS1_3genE4ELNS1_11target_archE910ELNS1_3gpuE8ELNS1_3repE0EEENS1_48merge_mergepath_partition_config_static_selectorELNS0_4arch9wavefront6targetE1EEEvSM_.uses_vcc, 0
	.set _ZN7rocprim17ROCPRIM_400000_NS6detail17trampoline_kernelINS0_14default_configENS1_38merge_sort_block_merge_config_selectorIlNS0_10empty_typeEEEZZNS1_27merge_sort_block_merge_implIS3_PlPS5_mZN2at6native12_GLOBAL__N_124unique_dim_cuda_templateIiEESt5tupleIJNSA_6TensorESF_SF_EERKSF_lbbbEUlllE_EE10hipError_tT0_T1_T2_jT3_P12ihipStream_tbPNSt15iterator_traitsISL_E10value_typeEPNSR_ISM_E10value_typeEPSN_NS1_7vsmem_tEENKUlT_SL_SM_SN_E_clIS8_S8_S9_S9_EESK_S10_SL_SM_SN_EUlS10_E_NS1_11comp_targetILNS1_3genE4ELNS1_11target_archE910ELNS1_3gpuE8ELNS1_3repE0EEENS1_48merge_mergepath_partition_config_static_selectorELNS0_4arch9wavefront6targetE1EEEvSM_.uses_flat_scratch, 0
	.set _ZN7rocprim17ROCPRIM_400000_NS6detail17trampoline_kernelINS0_14default_configENS1_38merge_sort_block_merge_config_selectorIlNS0_10empty_typeEEEZZNS1_27merge_sort_block_merge_implIS3_PlPS5_mZN2at6native12_GLOBAL__N_124unique_dim_cuda_templateIiEESt5tupleIJNSA_6TensorESF_SF_EERKSF_lbbbEUlllE_EE10hipError_tT0_T1_T2_jT3_P12ihipStream_tbPNSt15iterator_traitsISL_E10value_typeEPNSR_ISM_E10value_typeEPSN_NS1_7vsmem_tEENKUlT_SL_SM_SN_E_clIS8_S8_S9_S9_EESK_S10_SL_SM_SN_EUlS10_E_NS1_11comp_targetILNS1_3genE4ELNS1_11target_archE910ELNS1_3gpuE8ELNS1_3repE0EEENS1_48merge_mergepath_partition_config_static_selectorELNS0_4arch9wavefront6targetE1EEEvSM_.has_dyn_sized_stack, 0
	.set _ZN7rocprim17ROCPRIM_400000_NS6detail17trampoline_kernelINS0_14default_configENS1_38merge_sort_block_merge_config_selectorIlNS0_10empty_typeEEEZZNS1_27merge_sort_block_merge_implIS3_PlPS5_mZN2at6native12_GLOBAL__N_124unique_dim_cuda_templateIiEESt5tupleIJNSA_6TensorESF_SF_EERKSF_lbbbEUlllE_EE10hipError_tT0_T1_T2_jT3_P12ihipStream_tbPNSt15iterator_traitsISL_E10value_typeEPNSR_ISM_E10value_typeEPSN_NS1_7vsmem_tEENKUlT_SL_SM_SN_E_clIS8_S8_S9_S9_EESK_S10_SL_SM_SN_EUlS10_E_NS1_11comp_targetILNS1_3genE4ELNS1_11target_archE910ELNS1_3gpuE8ELNS1_3repE0EEENS1_48merge_mergepath_partition_config_static_selectorELNS0_4arch9wavefront6targetE1EEEvSM_.has_recursion, 0
	.set _ZN7rocprim17ROCPRIM_400000_NS6detail17trampoline_kernelINS0_14default_configENS1_38merge_sort_block_merge_config_selectorIlNS0_10empty_typeEEEZZNS1_27merge_sort_block_merge_implIS3_PlPS5_mZN2at6native12_GLOBAL__N_124unique_dim_cuda_templateIiEESt5tupleIJNSA_6TensorESF_SF_EERKSF_lbbbEUlllE_EE10hipError_tT0_T1_T2_jT3_P12ihipStream_tbPNSt15iterator_traitsISL_E10value_typeEPNSR_ISM_E10value_typeEPSN_NS1_7vsmem_tEENKUlT_SL_SM_SN_E_clIS8_S8_S9_S9_EESK_S10_SL_SM_SN_EUlS10_E_NS1_11comp_targetILNS1_3genE4ELNS1_11target_archE910ELNS1_3gpuE8ELNS1_3repE0EEENS1_48merge_mergepath_partition_config_static_selectorELNS0_4arch9wavefront6targetE1EEEvSM_.has_indirect_call, 0
	.section	.AMDGPU.csdata,"",@progbits
; Kernel info:
; codeLenInByte = 0
; TotalNumSgprs: 6
; NumVgprs: 0
; NumAgprs: 0
; TotalNumVgprs: 0
; ScratchSize: 0
; MemoryBound: 0
; FloatMode: 240
; IeeeMode: 1
; LDSByteSize: 0 bytes/workgroup (compile time only)
; SGPRBlocks: 0
; VGPRBlocks: 0
; NumSGPRsForWavesPerEU: 6
; NumVGPRsForWavesPerEU: 1
; AccumOffset: 4
; Occupancy: 8
; WaveLimiterHint : 0
; COMPUTE_PGM_RSRC2:SCRATCH_EN: 0
; COMPUTE_PGM_RSRC2:USER_SGPR: 2
; COMPUTE_PGM_RSRC2:TRAP_HANDLER: 0
; COMPUTE_PGM_RSRC2:TGID_X_EN: 1
; COMPUTE_PGM_RSRC2:TGID_Y_EN: 0
; COMPUTE_PGM_RSRC2:TGID_Z_EN: 0
; COMPUTE_PGM_RSRC2:TIDIG_COMP_CNT: 0
; COMPUTE_PGM_RSRC3_GFX90A:ACCUM_OFFSET: 0
; COMPUTE_PGM_RSRC3_GFX90A:TG_SPLIT: 0
	.section	.text._ZN7rocprim17ROCPRIM_400000_NS6detail17trampoline_kernelINS0_14default_configENS1_38merge_sort_block_merge_config_selectorIlNS0_10empty_typeEEEZZNS1_27merge_sort_block_merge_implIS3_PlPS5_mZN2at6native12_GLOBAL__N_124unique_dim_cuda_templateIiEESt5tupleIJNSA_6TensorESF_SF_EERKSF_lbbbEUlllE_EE10hipError_tT0_T1_T2_jT3_P12ihipStream_tbPNSt15iterator_traitsISL_E10value_typeEPNSR_ISM_E10value_typeEPSN_NS1_7vsmem_tEENKUlT_SL_SM_SN_E_clIS8_S8_S9_S9_EESK_S10_SL_SM_SN_EUlS10_E_NS1_11comp_targetILNS1_3genE3ELNS1_11target_archE908ELNS1_3gpuE7ELNS1_3repE0EEENS1_48merge_mergepath_partition_config_static_selectorELNS0_4arch9wavefront6targetE1EEEvSM_,"axG",@progbits,_ZN7rocprim17ROCPRIM_400000_NS6detail17trampoline_kernelINS0_14default_configENS1_38merge_sort_block_merge_config_selectorIlNS0_10empty_typeEEEZZNS1_27merge_sort_block_merge_implIS3_PlPS5_mZN2at6native12_GLOBAL__N_124unique_dim_cuda_templateIiEESt5tupleIJNSA_6TensorESF_SF_EERKSF_lbbbEUlllE_EE10hipError_tT0_T1_T2_jT3_P12ihipStream_tbPNSt15iterator_traitsISL_E10value_typeEPNSR_ISM_E10value_typeEPSN_NS1_7vsmem_tEENKUlT_SL_SM_SN_E_clIS8_S8_S9_S9_EESK_S10_SL_SM_SN_EUlS10_E_NS1_11comp_targetILNS1_3genE3ELNS1_11target_archE908ELNS1_3gpuE7ELNS1_3repE0EEENS1_48merge_mergepath_partition_config_static_selectorELNS0_4arch9wavefront6targetE1EEEvSM_,comdat
	.globl	_ZN7rocprim17ROCPRIM_400000_NS6detail17trampoline_kernelINS0_14default_configENS1_38merge_sort_block_merge_config_selectorIlNS0_10empty_typeEEEZZNS1_27merge_sort_block_merge_implIS3_PlPS5_mZN2at6native12_GLOBAL__N_124unique_dim_cuda_templateIiEESt5tupleIJNSA_6TensorESF_SF_EERKSF_lbbbEUlllE_EE10hipError_tT0_T1_T2_jT3_P12ihipStream_tbPNSt15iterator_traitsISL_E10value_typeEPNSR_ISM_E10value_typeEPSN_NS1_7vsmem_tEENKUlT_SL_SM_SN_E_clIS8_S8_S9_S9_EESK_S10_SL_SM_SN_EUlS10_E_NS1_11comp_targetILNS1_3genE3ELNS1_11target_archE908ELNS1_3gpuE7ELNS1_3repE0EEENS1_48merge_mergepath_partition_config_static_selectorELNS0_4arch9wavefront6targetE1EEEvSM_ ; -- Begin function _ZN7rocprim17ROCPRIM_400000_NS6detail17trampoline_kernelINS0_14default_configENS1_38merge_sort_block_merge_config_selectorIlNS0_10empty_typeEEEZZNS1_27merge_sort_block_merge_implIS3_PlPS5_mZN2at6native12_GLOBAL__N_124unique_dim_cuda_templateIiEESt5tupleIJNSA_6TensorESF_SF_EERKSF_lbbbEUlllE_EE10hipError_tT0_T1_T2_jT3_P12ihipStream_tbPNSt15iterator_traitsISL_E10value_typeEPNSR_ISM_E10value_typeEPSN_NS1_7vsmem_tEENKUlT_SL_SM_SN_E_clIS8_S8_S9_S9_EESK_S10_SL_SM_SN_EUlS10_E_NS1_11comp_targetILNS1_3genE3ELNS1_11target_archE908ELNS1_3gpuE7ELNS1_3repE0EEENS1_48merge_mergepath_partition_config_static_selectorELNS0_4arch9wavefront6targetE1EEEvSM_
	.p2align	8
	.type	_ZN7rocprim17ROCPRIM_400000_NS6detail17trampoline_kernelINS0_14default_configENS1_38merge_sort_block_merge_config_selectorIlNS0_10empty_typeEEEZZNS1_27merge_sort_block_merge_implIS3_PlPS5_mZN2at6native12_GLOBAL__N_124unique_dim_cuda_templateIiEESt5tupleIJNSA_6TensorESF_SF_EERKSF_lbbbEUlllE_EE10hipError_tT0_T1_T2_jT3_P12ihipStream_tbPNSt15iterator_traitsISL_E10value_typeEPNSR_ISM_E10value_typeEPSN_NS1_7vsmem_tEENKUlT_SL_SM_SN_E_clIS8_S8_S9_S9_EESK_S10_SL_SM_SN_EUlS10_E_NS1_11comp_targetILNS1_3genE3ELNS1_11target_archE908ELNS1_3gpuE7ELNS1_3repE0EEENS1_48merge_mergepath_partition_config_static_selectorELNS0_4arch9wavefront6targetE1EEEvSM_,@function
_ZN7rocprim17ROCPRIM_400000_NS6detail17trampoline_kernelINS0_14default_configENS1_38merge_sort_block_merge_config_selectorIlNS0_10empty_typeEEEZZNS1_27merge_sort_block_merge_implIS3_PlPS5_mZN2at6native12_GLOBAL__N_124unique_dim_cuda_templateIiEESt5tupleIJNSA_6TensorESF_SF_EERKSF_lbbbEUlllE_EE10hipError_tT0_T1_T2_jT3_P12ihipStream_tbPNSt15iterator_traitsISL_E10value_typeEPNSR_ISM_E10value_typeEPSN_NS1_7vsmem_tEENKUlT_SL_SM_SN_E_clIS8_S8_S9_S9_EESK_S10_SL_SM_SN_EUlS10_E_NS1_11comp_targetILNS1_3genE3ELNS1_11target_archE908ELNS1_3gpuE7ELNS1_3repE0EEENS1_48merge_mergepath_partition_config_static_selectorELNS0_4arch9wavefront6targetE1EEEvSM_: ; @_ZN7rocprim17ROCPRIM_400000_NS6detail17trampoline_kernelINS0_14default_configENS1_38merge_sort_block_merge_config_selectorIlNS0_10empty_typeEEEZZNS1_27merge_sort_block_merge_implIS3_PlPS5_mZN2at6native12_GLOBAL__N_124unique_dim_cuda_templateIiEESt5tupleIJNSA_6TensorESF_SF_EERKSF_lbbbEUlllE_EE10hipError_tT0_T1_T2_jT3_P12ihipStream_tbPNSt15iterator_traitsISL_E10value_typeEPNSR_ISM_E10value_typeEPSN_NS1_7vsmem_tEENKUlT_SL_SM_SN_E_clIS8_S8_S9_S9_EESK_S10_SL_SM_SN_EUlS10_E_NS1_11comp_targetILNS1_3genE3ELNS1_11target_archE908ELNS1_3gpuE7ELNS1_3repE0EEENS1_48merge_mergepath_partition_config_static_selectorELNS0_4arch9wavefront6targetE1EEEvSM_
; %bb.0:
	.section	.rodata,"a",@progbits
	.p2align	6, 0x0
	.amdhsa_kernel _ZN7rocprim17ROCPRIM_400000_NS6detail17trampoline_kernelINS0_14default_configENS1_38merge_sort_block_merge_config_selectorIlNS0_10empty_typeEEEZZNS1_27merge_sort_block_merge_implIS3_PlPS5_mZN2at6native12_GLOBAL__N_124unique_dim_cuda_templateIiEESt5tupleIJNSA_6TensorESF_SF_EERKSF_lbbbEUlllE_EE10hipError_tT0_T1_T2_jT3_P12ihipStream_tbPNSt15iterator_traitsISL_E10value_typeEPNSR_ISM_E10value_typeEPSN_NS1_7vsmem_tEENKUlT_SL_SM_SN_E_clIS8_S8_S9_S9_EESK_S10_SL_SM_SN_EUlS10_E_NS1_11comp_targetILNS1_3genE3ELNS1_11target_archE908ELNS1_3gpuE7ELNS1_3repE0EEENS1_48merge_mergepath_partition_config_static_selectorELNS0_4arch9wavefront6targetE1EEEvSM_
		.amdhsa_group_segment_fixed_size 0
		.amdhsa_private_segment_fixed_size 0
		.amdhsa_kernarg_size 56
		.amdhsa_user_sgpr_count 2
		.amdhsa_user_sgpr_dispatch_ptr 0
		.amdhsa_user_sgpr_queue_ptr 0
		.amdhsa_user_sgpr_kernarg_segment_ptr 1
		.amdhsa_user_sgpr_dispatch_id 0
		.amdhsa_user_sgpr_kernarg_preload_length 0
		.amdhsa_user_sgpr_kernarg_preload_offset 0
		.amdhsa_user_sgpr_private_segment_size 0
		.amdhsa_uses_dynamic_stack 0
		.amdhsa_enable_private_segment 0
		.amdhsa_system_sgpr_workgroup_id_x 1
		.amdhsa_system_sgpr_workgroup_id_y 0
		.amdhsa_system_sgpr_workgroup_id_z 0
		.amdhsa_system_sgpr_workgroup_info 0
		.amdhsa_system_vgpr_workitem_id 0
		.amdhsa_next_free_vgpr 1
		.amdhsa_next_free_sgpr 0
		.amdhsa_accum_offset 4
		.amdhsa_reserve_vcc 0
		.amdhsa_float_round_mode_32 0
		.amdhsa_float_round_mode_16_64 0
		.amdhsa_float_denorm_mode_32 3
		.amdhsa_float_denorm_mode_16_64 3
		.amdhsa_dx10_clamp 1
		.amdhsa_ieee_mode 1
		.amdhsa_fp16_overflow 0
		.amdhsa_tg_split 0
		.amdhsa_exception_fp_ieee_invalid_op 0
		.amdhsa_exception_fp_denorm_src 0
		.amdhsa_exception_fp_ieee_div_zero 0
		.amdhsa_exception_fp_ieee_overflow 0
		.amdhsa_exception_fp_ieee_underflow 0
		.amdhsa_exception_fp_ieee_inexact 0
		.amdhsa_exception_int_div_zero 0
	.end_amdhsa_kernel
	.section	.text._ZN7rocprim17ROCPRIM_400000_NS6detail17trampoline_kernelINS0_14default_configENS1_38merge_sort_block_merge_config_selectorIlNS0_10empty_typeEEEZZNS1_27merge_sort_block_merge_implIS3_PlPS5_mZN2at6native12_GLOBAL__N_124unique_dim_cuda_templateIiEESt5tupleIJNSA_6TensorESF_SF_EERKSF_lbbbEUlllE_EE10hipError_tT0_T1_T2_jT3_P12ihipStream_tbPNSt15iterator_traitsISL_E10value_typeEPNSR_ISM_E10value_typeEPSN_NS1_7vsmem_tEENKUlT_SL_SM_SN_E_clIS8_S8_S9_S9_EESK_S10_SL_SM_SN_EUlS10_E_NS1_11comp_targetILNS1_3genE3ELNS1_11target_archE908ELNS1_3gpuE7ELNS1_3repE0EEENS1_48merge_mergepath_partition_config_static_selectorELNS0_4arch9wavefront6targetE1EEEvSM_,"axG",@progbits,_ZN7rocprim17ROCPRIM_400000_NS6detail17trampoline_kernelINS0_14default_configENS1_38merge_sort_block_merge_config_selectorIlNS0_10empty_typeEEEZZNS1_27merge_sort_block_merge_implIS3_PlPS5_mZN2at6native12_GLOBAL__N_124unique_dim_cuda_templateIiEESt5tupleIJNSA_6TensorESF_SF_EERKSF_lbbbEUlllE_EE10hipError_tT0_T1_T2_jT3_P12ihipStream_tbPNSt15iterator_traitsISL_E10value_typeEPNSR_ISM_E10value_typeEPSN_NS1_7vsmem_tEENKUlT_SL_SM_SN_E_clIS8_S8_S9_S9_EESK_S10_SL_SM_SN_EUlS10_E_NS1_11comp_targetILNS1_3genE3ELNS1_11target_archE908ELNS1_3gpuE7ELNS1_3repE0EEENS1_48merge_mergepath_partition_config_static_selectorELNS0_4arch9wavefront6targetE1EEEvSM_,comdat
.Lfunc_end396:
	.size	_ZN7rocprim17ROCPRIM_400000_NS6detail17trampoline_kernelINS0_14default_configENS1_38merge_sort_block_merge_config_selectorIlNS0_10empty_typeEEEZZNS1_27merge_sort_block_merge_implIS3_PlPS5_mZN2at6native12_GLOBAL__N_124unique_dim_cuda_templateIiEESt5tupleIJNSA_6TensorESF_SF_EERKSF_lbbbEUlllE_EE10hipError_tT0_T1_T2_jT3_P12ihipStream_tbPNSt15iterator_traitsISL_E10value_typeEPNSR_ISM_E10value_typeEPSN_NS1_7vsmem_tEENKUlT_SL_SM_SN_E_clIS8_S8_S9_S9_EESK_S10_SL_SM_SN_EUlS10_E_NS1_11comp_targetILNS1_3genE3ELNS1_11target_archE908ELNS1_3gpuE7ELNS1_3repE0EEENS1_48merge_mergepath_partition_config_static_selectorELNS0_4arch9wavefront6targetE1EEEvSM_, .Lfunc_end396-_ZN7rocprim17ROCPRIM_400000_NS6detail17trampoline_kernelINS0_14default_configENS1_38merge_sort_block_merge_config_selectorIlNS0_10empty_typeEEEZZNS1_27merge_sort_block_merge_implIS3_PlPS5_mZN2at6native12_GLOBAL__N_124unique_dim_cuda_templateIiEESt5tupleIJNSA_6TensorESF_SF_EERKSF_lbbbEUlllE_EE10hipError_tT0_T1_T2_jT3_P12ihipStream_tbPNSt15iterator_traitsISL_E10value_typeEPNSR_ISM_E10value_typeEPSN_NS1_7vsmem_tEENKUlT_SL_SM_SN_E_clIS8_S8_S9_S9_EESK_S10_SL_SM_SN_EUlS10_E_NS1_11comp_targetILNS1_3genE3ELNS1_11target_archE908ELNS1_3gpuE7ELNS1_3repE0EEENS1_48merge_mergepath_partition_config_static_selectorELNS0_4arch9wavefront6targetE1EEEvSM_
                                        ; -- End function
	.set _ZN7rocprim17ROCPRIM_400000_NS6detail17trampoline_kernelINS0_14default_configENS1_38merge_sort_block_merge_config_selectorIlNS0_10empty_typeEEEZZNS1_27merge_sort_block_merge_implIS3_PlPS5_mZN2at6native12_GLOBAL__N_124unique_dim_cuda_templateIiEESt5tupleIJNSA_6TensorESF_SF_EERKSF_lbbbEUlllE_EE10hipError_tT0_T1_T2_jT3_P12ihipStream_tbPNSt15iterator_traitsISL_E10value_typeEPNSR_ISM_E10value_typeEPSN_NS1_7vsmem_tEENKUlT_SL_SM_SN_E_clIS8_S8_S9_S9_EESK_S10_SL_SM_SN_EUlS10_E_NS1_11comp_targetILNS1_3genE3ELNS1_11target_archE908ELNS1_3gpuE7ELNS1_3repE0EEENS1_48merge_mergepath_partition_config_static_selectorELNS0_4arch9wavefront6targetE1EEEvSM_.num_vgpr, 0
	.set _ZN7rocprim17ROCPRIM_400000_NS6detail17trampoline_kernelINS0_14default_configENS1_38merge_sort_block_merge_config_selectorIlNS0_10empty_typeEEEZZNS1_27merge_sort_block_merge_implIS3_PlPS5_mZN2at6native12_GLOBAL__N_124unique_dim_cuda_templateIiEESt5tupleIJNSA_6TensorESF_SF_EERKSF_lbbbEUlllE_EE10hipError_tT0_T1_T2_jT3_P12ihipStream_tbPNSt15iterator_traitsISL_E10value_typeEPNSR_ISM_E10value_typeEPSN_NS1_7vsmem_tEENKUlT_SL_SM_SN_E_clIS8_S8_S9_S9_EESK_S10_SL_SM_SN_EUlS10_E_NS1_11comp_targetILNS1_3genE3ELNS1_11target_archE908ELNS1_3gpuE7ELNS1_3repE0EEENS1_48merge_mergepath_partition_config_static_selectorELNS0_4arch9wavefront6targetE1EEEvSM_.num_agpr, 0
	.set _ZN7rocprim17ROCPRIM_400000_NS6detail17trampoline_kernelINS0_14default_configENS1_38merge_sort_block_merge_config_selectorIlNS0_10empty_typeEEEZZNS1_27merge_sort_block_merge_implIS3_PlPS5_mZN2at6native12_GLOBAL__N_124unique_dim_cuda_templateIiEESt5tupleIJNSA_6TensorESF_SF_EERKSF_lbbbEUlllE_EE10hipError_tT0_T1_T2_jT3_P12ihipStream_tbPNSt15iterator_traitsISL_E10value_typeEPNSR_ISM_E10value_typeEPSN_NS1_7vsmem_tEENKUlT_SL_SM_SN_E_clIS8_S8_S9_S9_EESK_S10_SL_SM_SN_EUlS10_E_NS1_11comp_targetILNS1_3genE3ELNS1_11target_archE908ELNS1_3gpuE7ELNS1_3repE0EEENS1_48merge_mergepath_partition_config_static_selectorELNS0_4arch9wavefront6targetE1EEEvSM_.numbered_sgpr, 0
	.set _ZN7rocprim17ROCPRIM_400000_NS6detail17trampoline_kernelINS0_14default_configENS1_38merge_sort_block_merge_config_selectorIlNS0_10empty_typeEEEZZNS1_27merge_sort_block_merge_implIS3_PlPS5_mZN2at6native12_GLOBAL__N_124unique_dim_cuda_templateIiEESt5tupleIJNSA_6TensorESF_SF_EERKSF_lbbbEUlllE_EE10hipError_tT0_T1_T2_jT3_P12ihipStream_tbPNSt15iterator_traitsISL_E10value_typeEPNSR_ISM_E10value_typeEPSN_NS1_7vsmem_tEENKUlT_SL_SM_SN_E_clIS8_S8_S9_S9_EESK_S10_SL_SM_SN_EUlS10_E_NS1_11comp_targetILNS1_3genE3ELNS1_11target_archE908ELNS1_3gpuE7ELNS1_3repE0EEENS1_48merge_mergepath_partition_config_static_selectorELNS0_4arch9wavefront6targetE1EEEvSM_.num_named_barrier, 0
	.set _ZN7rocprim17ROCPRIM_400000_NS6detail17trampoline_kernelINS0_14default_configENS1_38merge_sort_block_merge_config_selectorIlNS0_10empty_typeEEEZZNS1_27merge_sort_block_merge_implIS3_PlPS5_mZN2at6native12_GLOBAL__N_124unique_dim_cuda_templateIiEESt5tupleIJNSA_6TensorESF_SF_EERKSF_lbbbEUlllE_EE10hipError_tT0_T1_T2_jT3_P12ihipStream_tbPNSt15iterator_traitsISL_E10value_typeEPNSR_ISM_E10value_typeEPSN_NS1_7vsmem_tEENKUlT_SL_SM_SN_E_clIS8_S8_S9_S9_EESK_S10_SL_SM_SN_EUlS10_E_NS1_11comp_targetILNS1_3genE3ELNS1_11target_archE908ELNS1_3gpuE7ELNS1_3repE0EEENS1_48merge_mergepath_partition_config_static_selectorELNS0_4arch9wavefront6targetE1EEEvSM_.private_seg_size, 0
	.set _ZN7rocprim17ROCPRIM_400000_NS6detail17trampoline_kernelINS0_14default_configENS1_38merge_sort_block_merge_config_selectorIlNS0_10empty_typeEEEZZNS1_27merge_sort_block_merge_implIS3_PlPS5_mZN2at6native12_GLOBAL__N_124unique_dim_cuda_templateIiEESt5tupleIJNSA_6TensorESF_SF_EERKSF_lbbbEUlllE_EE10hipError_tT0_T1_T2_jT3_P12ihipStream_tbPNSt15iterator_traitsISL_E10value_typeEPNSR_ISM_E10value_typeEPSN_NS1_7vsmem_tEENKUlT_SL_SM_SN_E_clIS8_S8_S9_S9_EESK_S10_SL_SM_SN_EUlS10_E_NS1_11comp_targetILNS1_3genE3ELNS1_11target_archE908ELNS1_3gpuE7ELNS1_3repE0EEENS1_48merge_mergepath_partition_config_static_selectorELNS0_4arch9wavefront6targetE1EEEvSM_.uses_vcc, 0
	.set _ZN7rocprim17ROCPRIM_400000_NS6detail17trampoline_kernelINS0_14default_configENS1_38merge_sort_block_merge_config_selectorIlNS0_10empty_typeEEEZZNS1_27merge_sort_block_merge_implIS3_PlPS5_mZN2at6native12_GLOBAL__N_124unique_dim_cuda_templateIiEESt5tupleIJNSA_6TensorESF_SF_EERKSF_lbbbEUlllE_EE10hipError_tT0_T1_T2_jT3_P12ihipStream_tbPNSt15iterator_traitsISL_E10value_typeEPNSR_ISM_E10value_typeEPSN_NS1_7vsmem_tEENKUlT_SL_SM_SN_E_clIS8_S8_S9_S9_EESK_S10_SL_SM_SN_EUlS10_E_NS1_11comp_targetILNS1_3genE3ELNS1_11target_archE908ELNS1_3gpuE7ELNS1_3repE0EEENS1_48merge_mergepath_partition_config_static_selectorELNS0_4arch9wavefront6targetE1EEEvSM_.uses_flat_scratch, 0
	.set _ZN7rocprim17ROCPRIM_400000_NS6detail17trampoline_kernelINS0_14default_configENS1_38merge_sort_block_merge_config_selectorIlNS0_10empty_typeEEEZZNS1_27merge_sort_block_merge_implIS3_PlPS5_mZN2at6native12_GLOBAL__N_124unique_dim_cuda_templateIiEESt5tupleIJNSA_6TensorESF_SF_EERKSF_lbbbEUlllE_EE10hipError_tT0_T1_T2_jT3_P12ihipStream_tbPNSt15iterator_traitsISL_E10value_typeEPNSR_ISM_E10value_typeEPSN_NS1_7vsmem_tEENKUlT_SL_SM_SN_E_clIS8_S8_S9_S9_EESK_S10_SL_SM_SN_EUlS10_E_NS1_11comp_targetILNS1_3genE3ELNS1_11target_archE908ELNS1_3gpuE7ELNS1_3repE0EEENS1_48merge_mergepath_partition_config_static_selectorELNS0_4arch9wavefront6targetE1EEEvSM_.has_dyn_sized_stack, 0
	.set _ZN7rocprim17ROCPRIM_400000_NS6detail17trampoline_kernelINS0_14default_configENS1_38merge_sort_block_merge_config_selectorIlNS0_10empty_typeEEEZZNS1_27merge_sort_block_merge_implIS3_PlPS5_mZN2at6native12_GLOBAL__N_124unique_dim_cuda_templateIiEESt5tupleIJNSA_6TensorESF_SF_EERKSF_lbbbEUlllE_EE10hipError_tT0_T1_T2_jT3_P12ihipStream_tbPNSt15iterator_traitsISL_E10value_typeEPNSR_ISM_E10value_typeEPSN_NS1_7vsmem_tEENKUlT_SL_SM_SN_E_clIS8_S8_S9_S9_EESK_S10_SL_SM_SN_EUlS10_E_NS1_11comp_targetILNS1_3genE3ELNS1_11target_archE908ELNS1_3gpuE7ELNS1_3repE0EEENS1_48merge_mergepath_partition_config_static_selectorELNS0_4arch9wavefront6targetE1EEEvSM_.has_recursion, 0
	.set _ZN7rocprim17ROCPRIM_400000_NS6detail17trampoline_kernelINS0_14default_configENS1_38merge_sort_block_merge_config_selectorIlNS0_10empty_typeEEEZZNS1_27merge_sort_block_merge_implIS3_PlPS5_mZN2at6native12_GLOBAL__N_124unique_dim_cuda_templateIiEESt5tupleIJNSA_6TensorESF_SF_EERKSF_lbbbEUlllE_EE10hipError_tT0_T1_T2_jT3_P12ihipStream_tbPNSt15iterator_traitsISL_E10value_typeEPNSR_ISM_E10value_typeEPSN_NS1_7vsmem_tEENKUlT_SL_SM_SN_E_clIS8_S8_S9_S9_EESK_S10_SL_SM_SN_EUlS10_E_NS1_11comp_targetILNS1_3genE3ELNS1_11target_archE908ELNS1_3gpuE7ELNS1_3repE0EEENS1_48merge_mergepath_partition_config_static_selectorELNS0_4arch9wavefront6targetE1EEEvSM_.has_indirect_call, 0
	.section	.AMDGPU.csdata,"",@progbits
; Kernel info:
; codeLenInByte = 0
; TotalNumSgprs: 6
; NumVgprs: 0
; NumAgprs: 0
; TotalNumVgprs: 0
; ScratchSize: 0
; MemoryBound: 0
; FloatMode: 240
; IeeeMode: 1
; LDSByteSize: 0 bytes/workgroup (compile time only)
; SGPRBlocks: 0
; VGPRBlocks: 0
; NumSGPRsForWavesPerEU: 6
; NumVGPRsForWavesPerEU: 1
; AccumOffset: 4
; Occupancy: 8
; WaveLimiterHint : 0
; COMPUTE_PGM_RSRC2:SCRATCH_EN: 0
; COMPUTE_PGM_RSRC2:USER_SGPR: 2
; COMPUTE_PGM_RSRC2:TRAP_HANDLER: 0
; COMPUTE_PGM_RSRC2:TGID_X_EN: 1
; COMPUTE_PGM_RSRC2:TGID_Y_EN: 0
; COMPUTE_PGM_RSRC2:TGID_Z_EN: 0
; COMPUTE_PGM_RSRC2:TIDIG_COMP_CNT: 0
; COMPUTE_PGM_RSRC3_GFX90A:ACCUM_OFFSET: 0
; COMPUTE_PGM_RSRC3_GFX90A:TG_SPLIT: 0
	.section	.text._ZN7rocprim17ROCPRIM_400000_NS6detail17trampoline_kernelINS0_14default_configENS1_38merge_sort_block_merge_config_selectorIlNS0_10empty_typeEEEZZNS1_27merge_sort_block_merge_implIS3_PlPS5_mZN2at6native12_GLOBAL__N_124unique_dim_cuda_templateIiEESt5tupleIJNSA_6TensorESF_SF_EERKSF_lbbbEUlllE_EE10hipError_tT0_T1_T2_jT3_P12ihipStream_tbPNSt15iterator_traitsISL_E10value_typeEPNSR_ISM_E10value_typeEPSN_NS1_7vsmem_tEENKUlT_SL_SM_SN_E_clIS8_S8_S9_S9_EESK_S10_SL_SM_SN_EUlS10_E_NS1_11comp_targetILNS1_3genE2ELNS1_11target_archE906ELNS1_3gpuE6ELNS1_3repE0EEENS1_48merge_mergepath_partition_config_static_selectorELNS0_4arch9wavefront6targetE1EEEvSM_,"axG",@progbits,_ZN7rocprim17ROCPRIM_400000_NS6detail17trampoline_kernelINS0_14default_configENS1_38merge_sort_block_merge_config_selectorIlNS0_10empty_typeEEEZZNS1_27merge_sort_block_merge_implIS3_PlPS5_mZN2at6native12_GLOBAL__N_124unique_dim_cuda_templateIiEESt5tupleIJNSA_6TensorESF_SF_EERKSF_lbbbEUlllE_EE10hipError_tT0_T1_T2_jT3_P12ihipStream_tbPNSt15iterator_traitsISL_E10value_typeEPNSR_ISM_E10value_typeEPSN_NS1_7vsmem_tEENKUlT_SL_SM_SN_E_clIS8_S8_S9_S9_EESK_S10_SL_SM_SN_EUlS10_E_NS1_11comp_targetILNS1_3genE2ELNS1_11target_archE906ELNS1_3gpuE6ELNS1_3repE0EEENS1_48merge_mergepath_partition_config_static_selectorELNS0_4arch9wavefront6targetE1EEEvSM_,comdat
	.globl	_ZN7rocprim17ROCPRIM_400000_NS6detail17trampoline_kernelINS0_14default_configENS1_38merge_sort_block_merge_config_selectorIlNS0_10empty_typeEEEZZNS1_27merge_sort_block_merge_implIS3_PlPS5_mZN2at6native12_GLOBAL__N_124unique_dim_cuda_templateIiEESt5tupleIJNSA_6TensorESF_SF_EERKSF_lbbbEUlllE_EE10hipError_tT0_T1_T2_jT3_P12ihipStream_tbPNSt15iterator_traitsISL_E10value_typeEPNSR_ISM_E10value_typeEPSN_NS1_7vsmem_tEENKUlT_SL_SM_SN_E_clIS8_S8_S9_S9_EESK_S10_SL_SM_SN_EUlS10_E_NS1_11comp_targetILNS1_3genE2ELNS1_11target_archE906ELNS1_3gpuE6ELNS1_3repE0EEENS1_48merge_mergepath_partition_config_static_selectorELNS0_4arch9wavefront6targetE1EEEvSM_ ; -- Begin function _ZN7rocprim17ROCPRIM_400000_NS6detail17trampoline_kernelINS0_14default_configENS1_38merge_sort_block_merge_config_selectorIlNS0_10empty_typeEEEZZNS1_27merge_sort_block_merge_implIS3_PlPS5_mZN2at6native12_GLOBAL__N_124unique_dim_cuda_templateIiEESt5tupleIJNSA_6TensorESF_SF_EERKSF_lbbbEUlllE_EE10hipError_tT0_T1_T2_jT3_P12ihipStream_tbPNSt15iterator_traitsISL_E10value_typeEPNSR_ISM_E10value_typeEPSN_NS1_7vsmem_tEENKUlT_SL_SM_SN_E_clIS8_S8_S9_S9_EESK_S10_SL_SM_SN_EUlS10_E_NS1_11comp_targetILNS1_3genE2ELNS1_11target_archE906ELNS1_3gpuE6ELNS1_3repE0EEENS1_48merge_mergepath_partition_config_static_selectorELNS0_4arch9wavefront6targetE1EEEvSM_
	.p2align	8
	.type	_ZN7rocprim17ROCPRIM_400000_NS6detail17trampoline_kernelINS0_14default_configENS1_38merge_sort_block_merge_config_selectorIlNS0_10empty_typeEEEZZNS1_27merge_sort_block_merge_implIS3_PlPS5_mZN2at6native12_GLOBAL__N_124unique_dim_cuda_templateIiEESt5tupleIJNSA_6TensorESF_SF_EERKSF_lbbbEUlllE_EE10hipError_tT0_T1_T2_jT3_P12ihipStream_tbPNSt15iterator_traitsISL_E10value_typeEPNSR_ISM_E10value_typeEPSN_NS1_7vsmem_tEENKUlT_SL_SM_SN_E_clIS8_S8_S9_S9_EESK_S10_SL_SM_SN_EUlS10_E_NS1_11comp_targetILNS1_3genE2ELNS1_11target_archE906ELNS1_3gpuE6ELNS1_3repE0EEENS1_48merge_mergepath_partition_config_static_selectorELNS0_4arch9wavefront6targetE1EEEvSM_,@function
_ZN7rocprim17ROCPRIM_400000_NS6detail17trampoline_kernelINS0_14default_configENS1_38merge_sort_block_merge_config_selectorIlNS0_10empty_typeEEEZZNS1_27merge_sort_block_merge_implIS3_PlPS5_mZN2at6native12_GLOBAL__N_124unique_dim_cuda_templateIiEESt5tupleIJNSA_6TensorESF_SF_EERKSF_lbbbEUlllE_EE10hipError_tT0_T1_T2_jT3_P12ihipStream_tbPNSt15iterator_traitsISL_E10value_typeEPNSR_ISM_E10value_typeEPSN_NS1_7vsmem_tEENKUlT_SL_SM_SN_E_clIS8_S8_S9_S9_EESK_S10_SL_SM_SN_EUlS10_E_NS1_11comp_targetILNS1_3genE2ELNS1_11target_archE906ELNS1_3gpuE6ELNS1_3repE0EEENS1_48merge_mergepath_partition_config_static_selectorELNS0_4arch9wavefront6targetE1EEEvSM_: ; @_ZN7rocprim17ROCPRIM_400000_NS6detail17trampoline_kernelINS0_14default_configENS1_38merge_sort_block_merge_config_selectorIlNS0_10empty_typeEEEZZNS1_27merge_sort_block_merge_implIS3_PlPS5_mZN2at6native12_GLOBAL__N_124unique_dim_cuda_templateIiEESt5tupleIJNSA_6TensorESF_SF_EERKSF_lbbbEUlllE_EE10hipError_tT0_T1_T2_jT3_P12ihipStream_tbPNSt15iterator_traitsISL_E10value_typeEPNSR_ISM_E10value_typeEPSN_NS1_7vsmem_tEENKUlT_SL_SM_SN_E_clIS8_S8_S9_S9_EESK_S10_SL_SM_SN_EUlS10_E_NS1_11comp_targetILNS1_3genE2ELNS1_11target_archE906ELNS1_3gpuE6ELNS1_3repE0EEENS1_48merge_mergepath_partition_config_static_selectorELNS0_4arch9wavefront6targetE1EEEvSM_
; %bb.0:
	.section	.rodata,"a",@progbits
	.p2align	6, 0x0
	.amdhsa_kernel _ZN7rocprim17ROCPRIM_400000_NS6detail17trampoline_kernelINS0_14default_configENS1_38merge_sort_block_merge_config_selectorIlNS0_10empty_typeEEEZZNS1_27merge_sort_block_merge_implIS3_PlPS5_mZN2at6native12_GLOBAL__N_124unique_dim_cuda_templateIiEESt5tupleIJNSA_6TensorESF_SF_EERKSF_lbbbEUlllE_EE10hipError_tT0_T1_T2_jT3_P12ihipStream_tbPNSt15iterator_traitsISL_E10value_typeEPNSR_ISM_E10value_typeEPSN_NS1_7vsmem_tEENKUlT_SL_SM_SN_E_clIS8_S8_S9_S9_EESK_S10_SL_SM_SN_EUlS10_E_NS1_11comp_targetILNS1_3genE2ELNS1_11target_archE906ELNS1_3gpuE6ELNS1_3repE0EEENS1_48merge_mergepath_partition_config_static_selectorELNS0_4arch9wavefront6targetE1EEEvSM_
		.amdhsa_group_segment_fixed_size 0
		.amdhsa_private_segment_fixed_size 0
		.amdhsa_kernarg_size 56
		.amdhsa_user_sgpr_count 2
		.amdhsa_user_sgpr_dispatch_ptr 0
		.amdhsa_user_sgpr_queue_ptr 0
		.amdhsa_user_sgpr_kernarg_segment_ptr 1
		.amdhsa_user_sgpr_dispatch_id 0
		.amdhsa_user_sgpr_kernarg_preload_length 0
		.amdhsa_user_sgpr_kernarg_preload_offset 0
		.amdhsa_user_sgpr_private_segment_size 0
		.amdhsa_uses_dynamic_stack 0
		.amdhsa_enable_private_segment 0
		.amdhsa_system_sgpr_workgroup_id_x 1
		.amdhsa_system_sgpr_workgroup_id_y 0
		.amdhsa_system_sgpr_workgroup_id_z 0
		.amdhsa_system_sgpr_workgroup_info 0
		.amdhsa_system_vgpr_workitem_id 0
		.amdhsa_next_free_vgpr 1
		.amdhsa_next_free_sgpr 0
		.amdhsa_accum_offset 4
		.amdhsa_reserve_vcc 0
		.amdhsa_float_round_mode_32 0
		.amdhsa_float_round_mode_16_64 0
		.amdhsa_float_denorm_mode_32 3
		.amdhsa_float_denorm_mode_16_64 3
		.amdhsa_dx10_clamp 1
		.amdhsa_ieee_mode 1
		.amdhsa_fp16_overflow 0
		.amdhsa_tg_split 0
		.amdhsa_exception_fp_ieee_invalid_op 0
		.amdhsa_exception_fp_denorm_src 0
		.amdhsa_exception_fp_ieee_div_zero 0
		.amdhsa_exception_fp_ieee_overflow 0
		.amdhsa_exception_fp_ieee_underflow 0
		.amdhsa_exception_fp_ieee_inexact 0
		.amdhsa_exception_int_div_zero 0
	.end_amdhsa_kernel
	.section	.text._ZN7rocprim17ROCPRIM_400000_NS6detail17trampoline_kernelINS0_14default_configENS1_38merge_sort_block_merge_config_selectorIlNS0_10empty_typeEEEZZNS1_27merge_sort_block_merge_implIS3_PlPS5_mZN2at6native12_GLOBAL__N_124unique_dim_cuda_templateIiEESt5tupleIJNSA_6TensorESF_SF_EERKSF_lbbbEUlllE_EE10hipError_tT0_T1_T2_jT3_P12ihipStream_tbPNSt15iterator_traitsISL_E10value_typeEPNSR_ISM_E10value_typeEPSN_NS1_7vsmem_tEENKUlT_SL_SM_SN_E_clIS8_S8_S9_S9_EESK_S10_SL_SM_SN_EUlS10_E_NS1_11comp_targetILNS1_3genE2ELNS1_11target_archE906ELNS1_3gpuE6ELNS1_3repE0EEENS1_48merge_mergepath_partition_config_static_selectorELNS0_4arch9wavefront6targetE1EEEvSM_,"axG",@progbits,_ZN7rocprim17ROCPRIM_400000_NS6detail17trampoline_kernelINS0_14default_configENS1_38merge_sort_block_merge_config_selectorIlNS0_10empty_typeEEEZZNS1_27merge_sort_block_merge_implIS3_PlPS5_mZN2at6native12_GLOBAL__N_124unique_dim_cuda_templateIiEESt5tupleIJNSA_6TensorESF_SF_EERKSF_lbbbEUlllE_EE10hipError_tT0_T1_T2_jT3_P12ihipStream_tbPNSt15iterator_traitsISL_E10value_typeEPNSR_ISM_E10value_typeEPSN_NS1_7vsmem_tEENKUlT_SL_SM_SN_E_clIS8_S8_S9_S9_EESK_S10_SL_SM_SN_EUlS10_E_NS1_11comp_targetILNS1_3genE2ELNS1_11target_archE906ELNS1_3gpuE6ELNS1_3repE0EEENS1_48merge_mergepath_partition_config_static_selectorELNS0_4arch9wavefront6targetE1EEEvSM_,comdat
.Lfunc_end397:
	.size	_ZN7rocprim17ROCPRIM_400000_NS6detail17trampoline_kernelINS0_14default_configENS1_38merge_sort_block_merge_config_selectorIlNS0_10empty_typeEEEZZNS1_27merge_sort_block_merge_implIS3_PlPS5_mZN2at6native12_GLOBAL__N_124unique_dim_cuda_templateIiEESt5tupleIJNSA_6TensorESF_SF_EERKSF_lbbbEUlllE_EE10hipError_tT0_T1_T2_jT3_P12ihipStream_tbPNSt15iterator_traitsISL_E10value_typeEPNSR_ISM_E10value_typeEPSN_NS1_7vsmem_tEENKUlT_SL_SM_SN_E_clIS8_S8_S9_S9_EESK_S10_SL_SM_SN_EUlS10_E_NS1_11comp_targetILNS1_3genE2ELNS1_11target_archE906ELNS1_3gpuE6ELNS1_3repE0EEENS1_48merge_mergepath_partition_config_static_selectorELNS0_4arch9wavefront6targetE1EEEvSM_, .Lfunc_end397-_ZN7rocprim17ROCPRIM_400000_NS6detail17trampoline_kernelINS0_14default_configENS1_38merge_sort_block_merge_config_selectorIlNS0_10empty_typeEEEZZNS1_27merge_sort_block_merge_implIS3_PlPS5_mZN2at6native12_GLOBAL__N_124unique_dim_cuda_templateIiEESt5tupleIJNSA_6TensorESF_SF_EERKSF_lbbbEUlllE_EE10hipError_tT0_T1_T2_jT3_P12ihipStream_tbPNSt15iterator_traitsISL_E10value_typeEPNSR_ISM_E10value_typeEPSN_NS1_7vsmem_tEENKUlT_SL_SM_SN_E_clIS8_S8_S9_S9_EESK_S10_SL_SM_SN_EUlS10_E_NS1_11comp_targetILNS1_3genE2ELNS1_11target_archE906ELNS1_3gpuE6ELNS1_3repE0EEENS1_48merge_mergepath_partition_config_static_selectorELNS0_4arch9wavefront6targetE1EEEvSM_
                                        ; -- End function
	.set _ZN7rocprim17ROCPRIM_400000_NS6detail17trampoline_kernelINS0_14default_configENS1_38merge_sort_block_merge_config_selectorIlNS0_10empty_typeEEEZZNS1_27merge_sort_block_merge_implIS3_PlPS5_mZN2at6native12_GLOBAL__N_124unique_dim_cuda_templateIiEESt5tupleIJNSA_6TensorESF_SF_EERKSF_lbbbEUlllE_EE10hipError_tT0_T1_T2_jT3_P12ihipStream_tbPNSt15iterator_traitsISL_E10value_typeEPNSR_ISM_E10value_typeEPSN_NS1_7vsmem_tEENKUlT_SL_SM_SN_E_clIS8_S8_S9_S9_EESK_S10_SL_SM_SN_EUlS10_E_NS1_11comp_targetILNS1_3genE2ELNS1_11target_archE906ELNS1_3gpuE6ELNS1_3repE0EEENS1_48merge_mergepath_partition_config_static_selectorELNS0_4arch9wavefront6targetE1EEEvSM_.num_vgpr, 0
	.set _ZN7rocprim17ROCPRIM_400000_NS6detail17trampoline_kernelINS0_14default_configENS1_38merge_sort_block_merge_config_selectorIlNS0_10empty_typeEEEZZNS1_27merge_sort_block_merge_implIS3_PlPS5_mZN2at6native12_GLOBAL__N_124unique_dim_cuda_templateIiEESt5tupleIJNSA_6TensorESF_SF_EERKSF_lbbbEUlllE_EE10hipError_tT0_T1_T2_jT3_P12ihipStream_tbPNSt15iterator_traitsISL_E10value_typeEPNSR_ISM_E10value_typeEPSN_NS1_7vsmem_tEENKUlT_SL_SM_SN_E_clIS8_S8_S9_S9_EESK_S10_SL_SM_SN_EUlS10_E_NS1_11comp_targetILNS1_3genE2ELNS1_11target_archE906ELNS1_3gpuE6ELNS1_3repE0EEENS1_48merge_mergepath_partition_config_static_selectorELNS0_4arch9wavefront6targetE1EEEvSM_.num_agpr, 0
	.set _ZN7rocprim17ROCPRIM_400000_NS6detail17trampoline_kernelINS0_14default_configENS1_38merge_sort_block_merge_config_selectorIlNS0_10empty_typeEEEZZNS1_27merge_sort_block_merge_implIS3_PlPS5_mZN2at6native12_GLOBAL__N_124unique_dim_cuda_templateIiEESt5tupleIJNSA_6TensorESF_SF_EERKSF_lbbbEUlllE_EE10hipError_tT0_T1_T2_jT3_P12ihipStream_tbPNSt15iterator_traitsISL_E10value_typeEPNSR_ISM_E10value_typeEPSN_NS1_7vsmem_tEENKUlT_SL_SM_SN_E_clIS8_S8_S9_S9_EESK_S10_SL_SM_SN_EUlS10_E_NS1_11comp_targetILNS1_3genE2ELNS1_11target_archE906ELNS1_3gpuE6ELNS1_3repE0EEENS1_48merge_mergepath_partition_config_static_selectorELNS0_4arch9wavefront6targetE1EEEvSM_.numbered_sgpr, 0
	.set _ZN7rocprim17ROCPRIM_400000_NS6detail17trampoline_kernelINS0_14default_configENS1_38merge_sort_block_merge_config_selectorIlNS0_10empty_typeEEEZZNS1_27merge_sort_block_merge_implIS3_PlPS5_mZN2at6native12_GLOBAL__N_124unique_dim_cuda_templateIiEESt5tupleIJNSA_6TensorESF_SF_EERKSF_lbbbEUlllE_EE10hipError_tT0_T1_T2_jT3_P12ihipStream_tbPNSt15iterator_traitsISL_E10value_typeEPNSR_ISM_E10value_typeEPSN_NS1_7vsmem_tEENKUlT_SL_SM_SN_E_clIS8_S8_S9_S9_EESK_S10_SL_SM_SN_EUlS10_E_NS1_11comp_targetILNS1_3genE2ELNS1_11target_archE906ELNS1_3gpuE6ELNS1_3repE0EEENS1_48merge_mergepath_partition_config_static_selectorELNS0_4arch9wavefront6targetE1EEEvSM_.num_named_barrier, 0
	.set _ZN7rocprim17ROCPRIM_400000_NS6detail17trampoline_kernelINS0_14default_configENS1_38merge_sort_block_merge_config_selectorIlNS0_10empty_typeEEEZZNS1_27merge_sort_block_merge_implIS3_PlPS5_mZN2at6native12_GLOBAL__N_124unique_dim_cuda_templateIiEESt5tupleIJNSA_6TensorESF_SF_EERKSF_lbbbEUlllE_EE10hipError_tT0_T1_T2_jT3_P12ihipStream_tbPNSt15iterator_traitsISL_E10value_typeEPNSR_ISM_E10value_typeEPSN_NS1_7vsmem_tEENKUlT_SL_SM_SN_E_clIS8_S8_S9_S9_EESK_S10_SL_SM_SN_EUlS10_E_NS1_11comp_targetILNS1_3genE2ELNS1_11target_archE906ELNS1_3gpuE6ELNS1_3repE0EEENS1_48merge_mergepath_partition_config_static_selectorELNS0_4arch9wavefront6targetE1EEEvSM_.private_seg_size, 0
	.set _ZN7rocprim17ROCPRIM_400000_NS6detail17trampoline_kernelINS0_14default_configENS1_38merge_sort_block_merge_config_selectorIlNS0_10empty_typeEEEZZNS1_27merge_sort_block_merge_implIS3_PlPS5_mZN2at6native12_GLOBAL__N_124unique_dim_cuda_templateIiEESt5tupleIJNSA_6TensorESF_SF_EERKSF_lbbbEUlllE_EE10hipError_tT0_T1_T2_jT3_P12ihipStream_tbPNSt15iterator_traitsISL_E10value_typeEPNSR_ISM_E10value_typeEPSN_NS1_7vsmem_tEENKUlT_SL_SM_SN_E_clIS8_S8_S9_S9_EESK_S10_SL_SM_SN_EUlS10_E_NS1_11comp_targetILNS1_3genE2ELNS1_11target_archE906ELNS1_3gpuE6ELNS1_3repE0EEENS1_48merge_mergepath_partition_config_static_selectorELNS0_4arch9wavefront6targetE1EEEvSM_.uses_vcc, 0
	.set _ZN7rocprim17ROCPRIM_400000_NS6detail17trampoline_kernelINS0_14default_configENS1_38merge_sort_block_merge_config_selectorIlNS0_10empty_typeEEEZZNS1_27merge_sort_block_merge_implIS3_PlPS5_mZN2at6native12_GLOBAL__N_124unique_dim_cuda_templateIiEESt5tupleIJNSA_6TensorESF_SF_EERKSF_lbbbEUlllE_EE10hipError_tT0_T1_T2_jT3_P12ihipStream_tbPNSt15iterator_traitsISL_E10value_typeEPNSR_ISM_E10value_typeEPSN_NS1_7vsmem_tEENKUlT_SL_SM_SN_E_clIS8_S8_S9_S9_EESK_S10_SL_SM_SN_EUlS10_E_NS1_11comp_targetILNS1_3genE2ELNS1_11target_archE906ELNS1_3gpuE6ELNS1_3repE0EEENS1_48merge_mergepath_partition_config_static_selectorELNS0_4arch9wavefront6targetE1EEEvSM_.uses_flat_scratch, 0
	.set _ZN7rocprim17ROCPRIM_400000_NS6detail17trampoline_kernelINS0_14default_configENS1_38merge_sort_block_merge_config_selectorIlNS0_10empty_typeEEEZZNS1_27merge_sort_block_merge_implIS3_PlPS5_mZN2at6native12_GLOBAL__N_124unique_dim_cuda_templateIiEESt5tupleIJNSA_6TensorESF_SF_EERKSF_lbbbEUlllE_EE10hipError_tT0_T1_T2_jT3_P12ihipStream_tbPNSt15iterator_traitsISL_E10value_typeEPNSR_ISM_E10value_typeEPSN_NS1_7vsmem_tEENKUlT_SL_SM_SN_E_clIS8_S8_S9_S9_EESK_S10_SL_SM_SN_EUlS10_E_NS1_11comp_targetILNS1_3genE2ELNS1_11target_archE906ELNS1_3gpuE6ELNS1_3repE0EEENS1_48merge_mergepath_partition_config_static_selectorELNS0_4arch9wavefront6targetE1EEEvSM_.has_dyn_sized_stack, 0
	.set _ZN7rocprim17ROCPRIM_400000_NS6detail17trampoline_kernelINS0_14default_configENS1_38merge_sort_block_merge_config_selectorIlNS0_10empty_typeEEEZZNS1_27merge_sort_block_merge_implIS3_PlPS5_mZN2at6native12_GLOBAL__N_124unique_dim_cuda_templateIiEESt5tupleIJNSA_6TensorESF_SF_EERKSF_lbbbEUlllE_EE10hipError_tT0_T1_T2_jT3_P12ihipStream_tbPNSt15iterator_traitsISL_E10value_typeEPNSR_ISM_E10value_typeEPSN_NS1_7vsmem_tEENKUlT_SL_SM_SN_E_clIS8_S8_S9_S9_EESK_S10_SL_SM_SN_EUlS10_E_NS1_11comp_targetILNS1_3genE2ELNS1_11target_archE906ELNS1_3gpuE6ELNS1_3repE0EEENS1_48merge_mergepath_partition_config_static_selectorELNS0_4arch9wavefront6targetE1EEEvSM_.has_recursion, 0
	.set _ZN7rocprim17ROCPRIM_400000_NS6detail17trampoline_kernelINS0_14default_configENS1_38merge_sort_block_merge_config_selectorIlNS0_10empty_typeEEEZZNS1_27merge_sort_block_merge_implIS3_PlPS5_mZN2at6native12_GLOBAL__N_124unique_dim_cuda_templateIiEESt5tupleIJNSA_6TensorESF_SF_EERKSF_lbbbEUlllE_EE10hipError_tT0_T1_T2_jT3_P12ihipStream_tbPNSt15iterator_traitsISL_E10value_typeEPNSR_ISM_E10value_typeEPSN_NS1_7vsmem_tEENKUlT_SL_SM_SN_E_clIS8_S8_S9_S9_EESK_S10_SL_SM_SN_EUlS10_E_NS1_11comp_targetILNS1_3genE2ELNS1_11target_archE906ELNS1_3gpuE6ELNS1_3repE0EEENS1_48merge_mergepath_partition_config_static_selectorELNS0_4arch9wavefront6targetE1EEEvSM_.has_indirect_call, 0
	.section	.AMDGPU.csdata,"",@progbits
; Kernel info:
; codeLenInByte = 0
; TotalNumSgprs: 6
; NumVgprs: 0
; NumAgprs: 0
; TotalNumVgprs: 0
; ScratchSize: 0
; MemoryBound: 0
; FloatMode: 240
; IeeeMode: 1
; LDSByteSize: 0 bytes/workgroup (compile time only)
; SGPRBlocks: 0
; VGPRBlocks: 0
; NumSGPRsForWavesPerEU: 6
; NumVGPRsForWavesPerEU: 1
; AccumOffset: 4
; Occupancy: 8
; WaveLimiterHint : 0
; COMPUTE_PGM_RSRC2:SCRATCH_EN: 0
; COMPUTE_PGM_RSRC2:USER_SGPR: 2
; COMPUTE_PGM_RSRC2:TRAP_HANDLER: 0
; COMPUTE_PGM_RSRC2:TGID_X_EN: 1
; COMPUTE_PGM_RSRC2:TGID_Y_EN: 0
; COMPUTE_PGM_RSRC2:TGID_Z_EN: 0
; COMPUTE_PGM_RSRC2:TIDIG_COMP_CNT: 0
; COMPUTE_PGM_RSRC3_GFX90A:ACCUM_OFFSET: 0
; COMPUTE_PGM_RSRC3_GFX90A:TG_SPLIT: 0
	.section	.text._ZN7rocprim17ROCPRIM_400000_NS6detail17trampoline_kernelINS0_14default_configENS1_38merge_sort_block_merge_config_selectorIlNS0_10empty_typeEEEZZNS1_27merge_sort_block_merge_implIS3_PlPS5_mZN2at6native12_GLOBAL__N_124unique_dim_cuda_templateIiEESt5tupleIJNSA_6TensorESF_SF_EERKSF_lbbbEUlllE_EE10hipError_tT0_T1_T2_jT3_P12ihipStream_tbPNSt15iterator_traitsISL_E10value_typeEPNSR_ISM_E10value_typeEPSN_NS1_7vsmem_tEENKUlT_SL_SM_SN_E_clIS8_S8_S9_S9_EESK_S10_SL_SM_SN_EUlS10_E_NS1_11comp_targetILNS1_3genE9ELNS1_11target_archE1100ELNS1_3gpuE3ELNS1_3repE0EEENS1_48merge_mergepath_partition_config_static_selectorELNS0_4arch9wavefront6targetE1EEEvSM_,"axG",@progbits,_ZN7rocprim17ROCPRIM_400000_NS6detail17trampoline_kernelINS0_14default_configENS1_38merge_sort_block_merge_config_selectorIlNS0_10empty_typeEEEZZNS1_27merge_sort_block_merge_implIS3_PlPS5_mZN2at6native12_GLOBAL__N_124unique_dim_cuda_templateIiEESt5tupleIJNSA_6TensorESF_SF_EERKSF_lbbbEUlllE_EE10hipError_tT0_T1_T2_jT3_P12ihipStream_tbPNSt15iterator_traitsISL_E10value_typeEPNSR_ISM_E10value_typeEPSN_NS1_7vsmem_tEENKUlT_SL_SM_SN_E_clIS8_S8_S9_S9_EESK_S10_SL_SM_SN_EUlS10_E_NS1_11comp_targetILNS1_3genE9ELNS1_11target_archE1100ELNS1_3gpuE3ELNS1_3repE0EEENS1_48merge_mergepath_partition_config_static_selectorELNS0_4arch9wavefront6targetE1EEEvSM_,comdat
	.globl	_ZN7rocprim17ROCPRIM_400000_NS6detail17trampoline_kernelINS0_14default_configENS1_38merge_sort_block_merge_config_selectorIlNS0_10empty_typeEEEZZNS1_27merge_sort_block_merge_implIS3_PlPS5_mZN2at6native12_GLOBAL__N_124unique_dim_cuda_templateIiEESt5tupleIJNSA_6TensorESF_SF_EERKSF_lbbbEUlllE_EE10hipError_tT0_T1_T2_jT3_P12ihipStream_tbPNSt15iterator_traitsISL_E10value_typeEPNSR_ISM_E10value_typeEPSN_NS1_7vsmem_tEENKUlT_SL_SM_SN_E_clIS8_S8_S9_S9_EESK_S10_SL_SM_SN_EUlS10_E_NS1_11comp_targetILNS1_3genE9ELNS1_11target_archE1100ELNS1_3gpuE3ELNS1_3repE0EEENS1_48merge_mergepath_partition_config_static_selectorELNS0_4arch9wavefront6targetE1EEEvSM_ ; -- Begin function _ZN7rocprim17ROCPRIM_400000_NS6detail17trampoline_kernelINS0_14default_configENS1_38merge_sort_block_merge_config_selectorIlNS0_10empty_typeEEEZZNS1_27merge_sort_block_merge_implIS3_PlPS5_mZN2at6native12_GLOBAL__N_124unique_dim_cuda_templateIiEESt5tupleIJNSA_6TensorESF_SF_EERKSF_lbbbEUlllE_EE10hipError_tT0_T1_T2_jT3_P12ihipStream_tbPNSt15iterator_traitsISL_E10value_typeEPNSR_ISM_E10value_typeEPSN_NS1_7vsmem_tEENKUlT_SL_SM_SN_E_clIS8_S8_S9_S9_EESK_S10_SL_SM_SN_EUlS10_E_NS1_11comp_targetILNS1_3genE9ELNS1_11target_archE1100ELNS1_3gpuE3ELNS1_3repE0EEENS1_48merge_mergepath_partition_config_static_selectorELNS0_4arch9wavefront6targetE1EEEvSM_
	.p2align	8
	.type	_ZN7rocprim17ROCPRIM_400000_NS6detail17trampoline_kernelINS0_14default_configENS1_38merge_sort_block_merge_config_selectorIlNS0_10empty_typeEEEZZNS1_27merge_sort_block_merge_implIS3_PlPS5_mZN2at6native12_GLOBAL__N_124unique_dim_cuda_templateIiEESt5tupleIJNSA_6TensorESF_SF_EERKSF_lbbbEUlllE_EE10hipError_tT0_T1_T2_jT3_P12ihipStream_tbPNSt15iterator_traitsISL_E10value_typeEPNSR_ISM_E10value_typeEPSN_NS1_7vsmem_tEENKUlT_SL_SM_SN_E_clIS8_S8_S9_S9_EESK_S10_SL_SM_SN_EUlS10_E_NS1_11comp_targetILNS1_3genE9ELNS1_11target_archE1100ELNS1_3gpuE3ELNS1_3repE0EEENS1_48merge_mergepath_partition_config_static_selectorELNS0_4arch9wavefront6targetE1EEEvSM_,@function
_ZN7rocprim17ROCPRIM_400000_NS6detail17trampoline_kernelINS0_14default_configENS1_38merge_sort_block_merge_config_selectorIlNS0_10empty_typeEEEZZNS1_27merge_sort_block_merge_implIS3_PlPS5_mZN2at6native12_GLOBAL__N_124unique_dim_cuda_templateIiEESt5tupleIJNSA_6TensorESF_SF_EERKSF_lbbbEUlllE_EE10hipError_tT0_T1_T2_jT3_P12ihipStream_tbPNSt15iterator_traitsISL_E10value_typeEPNSR_ISM_E10value_typeEPSN_NS1_7vsmem_tEENKUlT_SL_SM_SN_E_clIS8_S8_S9_S9_EESK_S10_SL_SM_SN_EUlS10_E_NS1_11comp_targetILNS1_3genE9ELNS1_11target_archE1100ELNS1_3gpuE3ELNS1_3repE0EEENS1_48merge_mergepath_partition_config_static_selectorELNS0_4arch9wavefront6targetE1EEEvSM_: ; @_ZN7rocprim17ROCPRIM_400000_NS6detail17trampoline_kernelINS0_14default_configENS1_38merge_sort_block_merge_config_selectorIlNS0_10empty_typeEEEZZNS1_27merge_sort_block_merge_implIS3_PlPS5_mZN2at6native12_GLOBAL__N_124unique_dim_cuda_templateIiEESt5tupleIJNSA_6TensorESF_SF_EERKSF_lbbbEUlllE_EE10hipError_tT0_T1_T2_jT3_P12ihipStream_tbPNSt15iterator_traitsISL_E10value_typeEPNSR_ISM_E10value_typeEPSN_NS1_7vsmem_tEENKUlT_SL_SM_SN_E_clIS8_S8_S9_S9_EESK_S10_SL_SM_SN_EUlS10_E_NS1_11comp_targetILNS1_3genE9ELNS1_11target_archE1100ELNS1_3gpuE3ELNS1_3repE0EEENS1_48merge_mergepath_partition_config_static_selectorELNS0_4arch9wavefront6targetE1EEEvSM_
; %bb.0:
	.section	.rodata,"a",@progbits
	.p2align	6, 0x0
	.amdhsa_kernel _ZN7rocprim17ROCPRIM_400000_NS6detail17trampoline_kernelINS0_14default_configENS1_38merge_sort_block_merge_config_selectorIlNS0_10empty_typeEEEZZNS1_27merge_sort_block_merge_implIS3_PlPS5_mZN2at6native12_GLOBAL__N_124unique_dim_cuda_templateIiEESt5tupleIJNSA_6TensorESF_SF_EERKSF_lbbbEUlllE_EE10hipError_tT0_T1_T2_jT3_P12ihipStream_tbPNSt15iterator_traitsISL_E10value_typeEPNSR_ISM_E10value_typeEPSN_NS1_7vsmem_tEENKUlT_SL_SM_SN_E_clIS8_S8_S9_S9_EESK_S10_SL_SM_SN_EUlS10_E_NS1_11comp_targetILNS1_3genE9ELNS1_11target_archE1100ELNS1_3gpuE3ELNS1_3repE0EEENS1_48merge_mergepath_partition_config_static_selectorELNS0_4arch9wavefront6targetE1EEEvSM_
		.amdhsa_group_segment_fixed_size 0
		.amdhsa_private_segment_fixed_size 0
		.amdhsa_kernarg_size 56
		.amdhsa_user_sgpr_count 2
		.amdhsa_user_sgpr_dispatch_ptr 0
		.amdhsa_user_sgpr_queue_ptr 0
		.amdhsa_user_sgpr_kernarg_segment_ptr 1
		.amdhsa_user_sgpr_dispatch_id 0
		.amdhsa_user_sgpr_kernarg_preload_length 0
		.amdhsa_user_sgpr_kernarg_preload_offset 0
		.amdhsa_user_sgpr_private_segment_size 0
		.amdhsa_uses_dynamic_stack 0
		.amdhsa_enable_private_segment 0
		.amdhsa_system_sgpr_workgroup_id_x 1
		.amdhsa_system_sgpr_workgroup_id_y 0
		.amdhsa_system_sgpr_workgroup_id_z 0
		.amdhsa_system_sgpr_workgroup_info 0
		.amdhsa_system_vgpr_workitem_id 0
		.amdhsa_next_free_vgpr 1
		.amdhsa_next_free_sgpr 0
		.amdhsa_accum_offset 4
		.amdhsa_reserve_vcc 0
		.amdhsa_float_round_mode_32 0
		.amdhsa_float_round_mode_16_64 0
		.amdhsa_float_denorm_mode_32 3
		.amdhsa_float_denorm_mode_16_64 3
		.amdhsa_dx10_clamp 1
		.amdhsa_ieee_mode 1
		.amdhsa_fp16_overflow 0
		.amdhsa_tg_split 0
		.amdhsa_exception_fp_ieee_invalid_op 0
		.amdhsa_exception_fp_denorm_src 0
		.amdhsa_exception_fp_ieee_div_zero 0
		.amdhsa_exception_fp_ieee_overflow 0
		.amdhsa_exception_fp_ieee_underflow 0
		.amdhsa_exception_fp_ieee_inexact 0
		.amdhsa_exception_int_div_zero 0
	.end_amdhsa_kernel
	.section	.text._ZN7rocprim17ROCPRIM_400000_NS6detail17trampoline_kernelINS0_14default_configENS1_38merge_sort_block_merge_config_selectorIlNS0_10empty_typeEEEZZNS1_27merge_sort_block_merge_implIS3_PlPS5_mZN2at6native12_GLOBAL__N_124unique_dim_cuda_templateIiEESt5tupleIJNSA_6TensorESF_SF_EERKSF_lbbbEUlllE_EE10hipError_tT0_T1_T2_jT3_P12ihipStream_tbPNSt15iterator_traitsISL_E10value_typeEPNSR_ISM_E10value_typeEPSN_NS1_7vsmem_tEENKUlT_SL_SM_SN_E_clIS8_S8_S9_S9_EESK_S10_SL_SM_SN_EUlS10_E_NS1_11comp_targetILNS1_3genE9ELNS1_11target_archE1100ELNS1_3gpuE3ELNS1_3repE0EEENS1_48merge_mergepath_partition_config_static_selectorELNS0_4arch9wavefront6targetE1EEEvSM_,"axG",@progbits,_ZN7rocprim17ROCPRIM_400000_NS6detail17trampoline_kernelINS0_14default_configENS1_38merge_sort_block_merge_config_selectorIlNS0_10empty_typeEEEZZNS1_27merge_sort_block_merge_implIS3_PlPS5_mZN2at6native12_GLOBAL__N_124unique_dim_cuda_templateIiEESt5tupleIJNSA_6TensorESF_SF_EERKSF_lbbbEUlllE_EE10hipError_tT0_T1_T2_jT3_P12ihipStream_tbPNSt15iterator_traitsISL_E10value_typeEPNSR_ISM_E10value_typeEPSN_NS1_7vsmem_tEENKUlT_SL_SM_SN_E_clIS8_S8_S9_S9_EESK_S10_SL_SM_SN_EUlS10_E_NS1_11comp_targetILNS1_3genE9ELNS1_11target_archE1100ELNS1_3gpuE3ELNS1_3repE0EEENS1_48merge_mergepath_partition_config_static_selectorELNS0_4arch9wavefront6targetE1EEEvSM_,comdat
.Lfunc_end398:
	.size	_ZN7rocprim17ROCPRIM_400000_NS6detail17trampoline_kernelINS0_14default_configENS1_38merge_sort_block_merge_config_selectorIlNS0_10empty_typeEEEZZNS1_27merge_sort_block_merge_implIS3_PlPS5_mZN2at6native12_GLOBAL__N_124unique_dim_cuda_templateIiEESt5tupleIJNSA_6TensorESF_SF_EERKSF_lbbbEUlllE_EE10hipError_tT0_T1_T2_jT3_P12ihipStream_tbPNSt15iterator_traitsISL_E10value_typeEPNSR_ISM_E10value_typeEPSN_NS1_7vsmem_tEENKUlT_SL_SM_SN_E_clIS8_S8_S9_S9_EESK_S10_SL_SM_SN_EUlS10_E_NS1_11comp_targetILNS1_3genE9ELNS1_11target_archE1100ELNS1_3gpuE3ELNS1_3repE0EEENS1_48merge_mergepath_partition_config_static_selectorELNS0_4arch9wavefront6targetE1EEEvSM_, .Lfunc_end398-_ZN7rocprim17ROCPRIM_400000_NS6detail17trampoline_kernelINS0_14default_configENS1_38merge_sort_block_merge_config_selectorIlNS0_10empty_typeEEEZZNS1_27merge_sort_block_merge_implIS3_PlPS5_mZN2at6native12_GLOBAL__N_124unique_dim_cuda_templateIiEESt5tupleIJNSA_6TensorESF_SF_EERKSF_lbbbEUlllE_EE10hipError_tT0_T1_T2_jT3_P12ihipStream_tbPNSt15iterator_traitsISL_E10value_typeEPNSR_ISM_E10value_typeEPSN_NS1_7vsmem_tEENKUlT_SL_SM_SN_E_clIS8_S8_S9_S9_EESK_S10_SL_SM_SN_EUlS10_E_NS1_11comp_targetILNS1_3genE9ELNS1_11target_archE1100ELNS1_3gpuE3ELNS1_3repE0EEENS1_48merge_mergepath_partition_config_static_selectorELNS0_4arch9wavefront6targetE1EEEvSM_
                                        ; -- End function
	.set _ZN7rocprim17ROCPRIM_400000_NS6detail17trampoline_kernelINS0_14default_configENS1_38merge_sort_block_merge_config_selectorIlNS0_10empty_typeEEEZZNS1_27merge_sort_block_merge_implIS3_PlPS5_mZN2at6native12_GLOBAL__N_124unique_dim_cuda_templateIiEESt5tupleIJNSA_6TensorESF_SF_EERKSF_lbbbEUlllE_EE10hipError_tT0_T1_T2_jT3_P12ihipStream_tbPNSt15iterator_traitsISL_E10value_typeEPNSR_ISM_E10value_typeEPSN_NS1_7vsmem_tEENKUlT_SL_SM_SN_E_clIS8_S8_S9_S9_EESK_S10_SL_SM_SN_EUlS10_E_NS1_11comp_targetILNS1_3genE9ELNS1_11target_archE1100ELNS1_3gpuE3ELNS1_3repE0EEENS1_48merge_mergepath_partition_config_static_selectorELNS0_4arch9wavefront6targetE1EEEvSM_.num_vgpr, 0
	.set _ZN7rocprim17ROCPRIM_400000_NS6detail17trampoline_kernelINS0_14default_configENS1_38merge_sort_block_merge_config_selectorIlNS0_10empty_typeEEEZZNS1_27merge_sort_block_merge_implIS3_PlPS5_mZN2at6native12_GLOBAL__N_124unique_dim_cuda_templateIiEESt5tupleIJNSA_6TensorESF_SF_EERKSF_lbbbEUlllE_EE10hipError_tT0_T1_T2_jT3_P12ihipStream_tbPNSt15iterator_traitsISL_E10value_typeEPNSR_ISM_E10value_typeEPSN_NS1_7vsmem_tEENKUlT_SL_SM_SN_E_clIS8_S8_S9_S9_EESK_S10_SL_SM_SN_EUlS10_E_NS1_11comp_targetILNS1_3genE9ELNS1_11target_archE1100ELNS1_3gpuE3ELNS1_3repE0EEENS1_48merge_mergepath_partition_config_static_selectorELNS0_4arch9wavefront6targetE1EEEvSM_.num_agpr, 0
	.set _ZN7rocprim17ROCPRIM_400000_NS6detail17trampoline_kernelINS0_14default_configENS1_38merge_sort_block_merge_config_selectorIlNS0_10empty_typeEEEZZNS1_27merge_sort_block_merge_implIS3_PlPS5_mZN2at6native12_GLOBAL__N_124unique_dim_cuda_templateIiEESt5tupleIJNSA_6TensorESF_SF_EERKSF_lbbbEUlllE_EE10hipError_tT0_T1_T2_jT3_P12ihipStream_tbPNSt15iterator_traitsISL_E10value_typeEPNSR_ISM_E10value_typeEPSN_NS1_7vsmem_tEENKUlT_SL_SM_SN_E_clIS8_S8_S9_S9_EESK_S10_SL_SM_SN_EUlS10_E_NS1_11comp_targetILNS1_3genE9ELNS1_11target_archE1100ELNS1_3gpuE3ELNS1_3repE0EEENS1_48merge_mergepath_partition_config_static_selectorELNS0_4arch9wavefront6targetE1EEEvSM_.numbered_sgpr, 0
	.set _ZN7rocprim17ROCPRIM_400000_NS6detail17trampoline_kernelINS0_14default_configENS1_38merge_sort_block_merge_config_selectorIlNS0_10empty_typeEEEZZNS1_27merge_sort_block_merge_implIS3_PlPS5_mZN2at6native12_GLOBAL__N_124unique_dim_cuda_templateIiEESt5tupleIJNSA_6TensorESF_SF_EERKSF_lbbbEUlllE_EE10hipError_tT0_T1_T2_jT3_P12ihipStream_tbPNSt15iterator_traitsISL_E10value_typeEPNSR_ISM_E10value_typeEPSN_NS1_7vsmem_tEENKUlT_SL_SM_SN_E_clIS8_S8_S9_S9_EESK_S10_SL_SM_SN_EUlS10_E_NS1_11comp_targetILNS1_3genE9ELNS1_11target_archE1100ELNS1_3gpuE3ELNS1_3repE0EEENS1_48merge_mergepath_partition_config_static_selectorELNS0_4arch9wavefront6targetE1EEEvSM_.num_named_barrier, 0
	.set _ZN7rocprim17ROCPRIM_400000_NS6detail17trampoline_kernelINS0_14default_configENS1_38merge_sort_block_merge_config_selectorIlNS0_10empty_typeEEEZZNS1_27merge_sort_block_merge_implIS3_PlPS5_mZN2at6native12_GLOBAL__N_124unique_dim_cuda_templateIiEESt5tupleIJNSA_6TensorESF_SF_EERKSF_lbbbEUlllE_EE10hipError_tT0_T1_T2_jT3_P12ihipStream_tbPNSt15iterator_traitsISL_E10value_typeEPNSR_ISM_E10value_typeEPSN_NS1_7vsmem_tEENKUlT_SL_SM_SN_E_clIS8_S8_S9_S9_EESK_S10_SL_SM_SN_EUlS10_E_NS1_11comp_targetILNS1_3genE9ELNS1_11target_archE1100ELNS1_3gpuE3ELNS1_3repE0EEENS1_48merge_mergepath_partition_config_static_selectorELNS0_4arch9wavefront6targetE1EEEvSM_.private_seg_size, 0
	.set _ZN7rocprim17ROCPRIM_400000_NS6detail17trampoline_kernelINS0_14default_configENS1_38merge_sort_block_merge_config_selectorIlNS0_10empty_typeEEEZZNS1_27merge_sort_block_merge_implIS3_PlPS5_mZN2at6native12_GLOBAL__N_124unique_dim_cuda_templateIiEESt5tupleIJNSA_6TensorESF_SF_EERKSF_lbbbEUlllE_EE10hipError_tT0_T1_T2_jT3_P12ihipStream_tbPNSt15iterator_traitsISL_E10value_typeEPNSR_ISM_E10value_typeEPSN_NS1_7vsmem_tEENKUlT_SL_SM_SN_E_clIS8_S8_S9_S9_EESK_S10_SL_SM_SN_EUlS10_E_NS1_11comp_targetILNS1_3genE9ELNS1_11target_archE1100ELNS1_3gpuE3ELNS1_3repE0EEENS1_48merge_mergepath_partition_config_static_selectorELNS0_4arch9wavefront6targetE1EEEvSM_.uses_vcc, 0
	.set _ZN7rocprim17ROCPRIM_400000_NS6detail17trampoline_kernelINS0_14default_configENS1_38merge_sort_block_merge_config_selectorIlNS0_10empty_typeEEEZZNS1_27merge_sort_block_merge_implIS3_PlPS5_mZN2at6native12_GLOBAL__N_124unique_dim_cuda_templateIiEESt5tupleIJNSA_6TensorESF_SF_EERKSF_lbbbEUlllE_EE10hipError_tT0_T1_T2_jT3_P12ihipStream_tbPNSt15iterator_traitsISL_E10value_typeEPNSR_ISM_E10value_typeEPSN_NS1_7vsmem_tEENKUlT_SL_SM_SN_E_clIS8_S8_S9_S9_EESK_S10_SL_SM_SN_EUlS10_E_NS1_11comp_targetILNS1_3genE9ELNS1_11target_archE1100ELNS1_3gpuE3ELNS1_3repE0EEENS1_48merge_mergepath_partition_config_static_selectorELNS0_4arch9wavefront6targetE1EEEvSM_.uses_flat_scratch, 0
	.set _ZN7rocprim17ROCPRIM_400000_NS6detail17trampoline_kernelINS0_14default_configENS1_38merge_sort_block_merge_config_selectorIlNS0_10empty_typeEEEZZNS1_27merge_sort_block_merge_implIS3_PlPS5_mZN2at6native12_GLOBAL__N_124unique_dim_cuda_templateIiEESt5tupleIJNSA_6TensorESF_SF_EERKSF_lbbbEUlllE_EE10hipError_tT0_T1_T2_jT3_P12ihipStream_tbPNSt15iterator_traitsISL_E10value_typeEPNSR_ISM_E10value_typeEPSN_NS1_7vsmem_tEENKUlT_SL_SM_SN_E_clIS8_S8_S9_S9_EESK_S10_SL_SM_SN_EUlS10_E_NS1_11comp_targetILNS1_3genE9ELNS1_11target_archE1100ELNS1_3gpuE3ELNS1_3repE0EEENS1_48merge_mergepath_partition_config_static_selectorELNS0_4arch9wavefront6targetE1EEEvSM_.has_dyn_sized_stack, 0
	.set _ZN7rocprim17ROCPRIM_400000_NS6detail17trampoline_kernelINS0_14default_configENS1_38merge_sort_block_merge_config_selectorIlNS0_10empty_typeEEEZZNS1_27merge_sort_block_merge_implIS3_PlPS5_mZN2at6native12_GLOBAL__N_124unique_dim_cuda_templateIiEESt5tupleIJNSA_6TensorESF_SF_EERKSF_lbbbEUlllE_EE10hipError_tT0_T1_T2_jT3_P12ihipStream_tbPNSt15iterator_traitsISL_E10value_typeEPNSR_ISM_E10value_typeEPSN_NS1_7vsmem_tEENKUlT_SL_SM_SN_E_clIS8_S8_S9_S9_EESK_S10_SL_SM_SN_EUlS10_E_NS1_11comp_targetILNS1_3genE9ELNS1_11target_archE1100ELNS1_3gpuE3ELNS1_3repE0EEENS1_48merge_mergepath_partition_config_static_selectorELNS0_4arch9wavefront6targetE1EEEvSM_.has_recursion, 0
	.set _ZN7rocprim17ROCPRIM_400000_NS6detail17trampoline_kernelINS0_14default_configENS1_38merge_sort_block_merge_config_selectorIlNS0_10empty_typeEEEZZNS1_27merge_sort_block_merge_implIS3_PlPS5_mZN2at6native12_GLOBAL__N_124unique_dim_cuda_templateIiEESt5tupleIJNSA_6TensorESF_SF_EERKSF_lbbbEUlllE_EE10hipError_tT0_T1_T2_jT3_P12ihipStream_tbPNSt15iterator_traitsISL_E10value_typeEPNSR_ISM_E10value_typeEPSN_NS1_7vsmem_tEENKUlT_SL_SM_SN_E_clIS8_S8_S9_S9_EESK_S10_SL_SM_SN_EUlS10_E_NS1_11comp_targetILNS1_3genE9ELNS1_11target_archE1100ELNS1_3gpuE3ELNS1_3repE0EEENS1_48merge_mergepath_partition_config_static_selectorELNS0_4arch9wavefront6targetE1EEEvSM_.has_indirect_call, 0
	.section	.AMDGPU.csdata,"",@progbits
; Kernel info:
; codeLenInByte = 0
; TotalNumSgprs: 6
; NumVgprs: 0
; NumAgprs: 0
; TotalNumVgprs: 0
; ScratchSize: 0
; MemoryBound: 0
; FloatMode: 240
; IeeeMode: 1
; LDSByteSize: 0 bytes/workgroup (compile time only)
; SGPRBlocks: 0
; VGPRBlocks: 0
; NumSGPRsForWavesPerEU: 6
; NumVGPRsForWavesPerEU: 1
; AccumOffset: 4
; Occupancy: 8
; WaveLimiterHint : 0
; COMPUTE_PGM_RSRC2:SCRATCH_EN: 0
; COMPUTE_PGM_RSRC2:USER_SGPR: 2
; COMPUTE_PGM_RSRC2:TRAP_HANDLER: 0
; COMPUTE_PGM_RSRC2:TGID_X_EN: 1
; COMPUTE_PGM_RSRC2:TGID_Y_EN: 0
; COMPUTE_PGM_RSRC2:TGID_Z_EN: 0
; COMPUTE_PGM_RSRC2:TIDIG_COMP_CNT: 0
; COMPUTE_PGM_RSRC3_GFX90A:ACCUM_OFFSET: 0
; COMPUTE_PGM_RSRC3_GFX90A:TG_SPLIT: 0
	.section	.text._ZN7rocprim17ROCPRIM_400000_NS6detail17trampoline_kernelINS0_14default_configENS1_38merge_sort_block_merge_config_selectorIlNS0_10empty_typeEEEZZNS1_27merge_sort_block_merge_implIS3_PlPS5_mZN2at6native12_GLOBAL__N_124unique_dim_cuda_templateIiEESt5tupleIJNSA_6TensorESF_SF_EERKSF_lbbbEUlllE_EE10hipError_tT0_T1_T2_jT3_P12ihipStream_tbPNSt15iterator_traitsISL_E10value_typeEPNSR_ISM_E10value_typeEPSN_NS1_7vsmem_tEENKUlT_SL_SM_SN_E_clIS8_S8_S9_S9_EESK_S10_SL_SM_SN_EUlS10_E_NS1_11comp_targetILNS1_3genE8ELNS1_11target_archE1030ELNS1_3gpuE2ELNS1_3repE0EEENS1_48merge_mergepath_partition_config_static_selectorELNS0_4arch9wavefront6targetE1EEEvSM_,"axG",@progbits,_ZN7rocprim17ROCPRIM_400000_NS6detail17trampoline_kernelINS0_14default_configENS1_38merge_sort_block_merge_config_selectorIlNS0_10empty_typeEEEZZNS1_27merge_sort_block_merge_implIS3_PlPS5_mZN2at6native12_GLOBAL__N_124unique_dim_cuda_templateIiEESt5tupleIJNSA_6TensorESF_SF_EERKSF_lbbbEUlllE_EE10hipError_tT0_T1_T2_jT3_P12ihipStream_tbPNSt15iterator_traitsISL_E10value_typeEPNSR_ISM_E10value_typeEPSN_NS1_7vsmem_tEENKUlT_SL_SM_SN_E_clIS8_S8_S9_S9_EESK_S10_SL_SM_SN_EUlS10_E_NS1_11comp_targetILNS1_3genE8ELNS1_11target_archE1030ELNS1_3gpuE2ELNS1_3repE0EEENS1_48merge_mergepath_partition_config_static_selectorELNS0_4arch9wavefront6targetE1EEEvSM_,comdat
	.globl	_ZN7rocprim17ROCPRIM_400000_NS6detail17trampoline_kernelINS0_14default_configENS1_38merge_sort_block_merge_config_selectorIlNS0_10empty_typeEEEZZNS1_27merge_sort_block_merge_implIS3_PlPS5_mZN2at6native12_GLOBAL__N_124unique_dim_cuda_templateIiEESt5tupleIJNSA_6TensorESF_SF_EERKSF_lbbbEUlllE_EE10hipError_tT0_T1_T2_jT3_P12ihipStream_tbPNSt15iterator_traitsISL_E10value_typeEPNSR_ISM_E10value_typeEPSN_NS1_7vsmem_tEENKUlT_SL_SM_SN_E_clIS8_S8_S9_S9_EESK_S10_SL_SM_SN_EUlS10_E_NS1_11comp_targetILNS1_3genE8ELNS1_11target_archE1030ELNS1_3gpuE2ELNS1_3repE0EEENS1_48merge_mergepath_partition_config_static_selectorELNS0_4arch9wavefront6targetE1EEEvSM_ ; -- Begin function _ZN7rocprim17ROCPRIM_400000_NS6detail17trampoline_kernelINS0_14default_configENS1_38merge_sort_block_merge_config_selectorIlNS0_10empty_typeEEEZZNS1_27merge_sort_block_merge_implIS3_PlPS5_mZN2at6native12_GLOBAL__N_124unique_dim_cuda_templateIiEESt5tupleIJNSA_6TensorESF_SF_EERKSF_lbbbEUlllE_EE10hipError_tT0_T1_T2_jT3_P12ihipStream_tbPNSt15iterator_traitsISL_E10value_typeEPNSR_ISM_E10value_typeEPSN_NS1_7vsmem_tEENKUlT_SL_SM_SN_E_clIS8_S8_S9_S9_EESK_S10_SL_SM_SN_EUlS10_E_NS1_11comp_targetILNS1_3genE8ELNS1_11target_archE1030ELNS1_3gpuE2ELNS1_3repE0EEENS1_48merge_mergepath_partition_config_static_selectorELNS0_4arch9wavefront6targetE1EEEvSM_
	.p2align	8
	.type	_ZN7rocprim17ROCPRIM_400000_NS6detail17trampoline_kernelINS0_14default_configENS1_38merge_sort_block_merge_config_selectorIlNS0_10empty_typeEEEZZNS1_27merge_sort_block_merge_implIS3_PlPS5_mZN2at6native12_GLOBAL__N_124unique_dim_cuda_templateIiEESt5tupleIJNSA_6TensorESF_SF_EERKSF_lbbbEUlllE_EE10hipError_tT0_T1_T2_jT3_P12ihipStream_tbPNSt15iterator_traitsISL_E10value_typeEPNSR_ISM_E10value_typeEPSN_NS1_7vsmem_tEENKUlT_SL_SM_SN_E_clIS8_S8_S9_S9_EESK_S10_SL_SM_SN_EUlS10_E_NS1_11comp_targetILNS1_3genE8ELNS1_11target_archE1030ELNS1_3gpuE2ELNS1_3repE0EEENS1_48merge_mergepath_partition_config_static_selectorELNS0_4arch9wavefront6targetE1EEEvSM_,@function
_ZN7rocprim17ROCPRIM_400000_NS6detail17trampoline_kernelINS0_14default_configENS1_38merge_sort_block_merge_config_selectorIlNS0_10empty_typeEEEZZNS1_27merge_sort_block_merge_implIS3_PlPS5_mZN2at6native12_GLOBAL__N_124unique_dim_cuda_templateIiEESt5tupleIJNSA_6TensorESF_SF_EERKSF_lbbbEUlllE_EE10hipError_tT0_T1_T2_jT3_P12ihipStream_tbPNSt15iterator_traitsISL_E10value_typeEPNSR_ISM_E10value_typeEPSN_NS1_7vsmem_tEENKUlT_SL_SM_SN_E_clIS8_S8_S9_S9_EESK_S10_SL_SM_SN_EUlS10_E_NS1_11comp_targetILNS1_3genE8ELNS1_11target_archE1030ELNS1_3gpuE2ELNS1_3repE0EEENS1_48merge_mergepath_partition_config_static_selectorELNS0_4arch9wavefront6targetE1EEEvSM_: ; @_ZN7rocprim17ROCPRIM_400000_NS6detail17trampoline_kernelINS0_14default_configENS1_38merge_sort_block_merge_config_selectorIlNS0_10empty_typeEEEZZNS1_27merge_sort_block_merge_implIS3_PlPS5_mZN2at6native12_GLOBAL__N_124unique_dim_cuda_templateIiEESt5tupleIJNSA_6TensorESF_SF_EERKSF_lbbbEUlllE_EE10hipError_tT0_T1_T2_jT3_P12ihipStream_tbPNSt15iterator_traitsISL_E10value_typeEPNSR_ISM_E10value_typeEPSN_NS1_7vsmem_tEENKUlT_SL_SM_SN_E_clIS8_S8_S9_S9_EESK_S10_SL_SM_SN_EUlS10_E_NS1_11comp_targetILNS1_3genE8ELNS1_11target_archE1030ELNS1_3gpuE2ELNS1_3repE0EEENS1_48merge_mergepath_partition_config_static_selectorELNS0_4arch9wavefront6targetE1EEEvSM_
; %bb.0:
	.section	.rodata,"a",@progbits
	.p2align	6, 0x0
	.amdhsa_kernel _ZN7rocprim17ROCPRIM_400000_NS6detail17trampoline_kernelINS0_14default_configENS1_38merge_sort_block_merge_config_selectorIlNS0_10empty_typeEEEZZNS1_27merge_sort_block_merge_implIS3_PlPS5_mZN2at6native12_GLOBAL__N_124unique_dim_cuda_templateIiEESt5tupleIJNSA_6TensorESF_SF_EERKSF_lbbbEUlllE_EE10hipError_tT0_T1_T2_jT3_P12ihipStream_tbPNSt15iterator_traitsISL_E10value_typeEPNSR_ISM_E10value_typeEPSN_NS1_7vsmem_tEENKUlT_SL_SM_SN_E_clIS8_S8_S9_S9_EESK_S10_SL_SM_SN_EUlS10_E_NS1_11comp_targetILNS1_3genE8ELNS1_11target_archE1030ELNS1_3gpuE2ELNS1_3repE0EEENS1_48merge_mergepath_partition_config_static_selectorELNS0_4arch9wavefront6targetE1EEEvSM_
		.amdhsa_group_segment_fixed_size 0
		.amdhsa_private_segment_fixed_size 0
		.amdhsa_kernarg_size 56
		.amdhsa_user_sgpr_count 2
		.amdhsa_user_sgpr_dispatch_ptr 0
		.amdhsa_user_sgpr_queue_ptr 0
		.amdhsa_user_sgpr_kernarg_segment_ptr 1
		.amdhsa_user_sgpr_dispatch_id 0
		.amdhsa_user_sgpr_kernarg_preload_length 0
		.amdhsa_user_sgpr_kernarg_preload_offset 0
		.amdhsa_user_sgpr_private_segment_size 0
		.amdhsa_uses_dynamic_stack 0
		.amdhsa_enable_private_segment 0
		.amdhsa_system_sgpr_workgroup_id_x 1
		.amdhsa_system_sgpr_workgroup_id_y 0
		.amdhsa_system_sgpr_workgroup_id_z 0
		.amdhsa_system_sgpr_workgroup_info 0
		.amdhsa_system_vgpr_workitem_id 0
		.amdhsa_next_free_vgpr 1
		.amdhsa_next_free_sgpr 0
		.amdhsa_accum_offset 4
		.amdhsa_reserve_vcc 0
		.amdhsa_float_round_mode_32 0
		.amdhsa_float_round_mode_16_64 0
		.amdhsa_float_denorm_mode_32 3
		.amdhsa_float_denorm_mode_16_64 3
		.amdhsa_dx10_clamp 1
		.amdhsa_ieee_mode 1
		.amdhsa_fp16_overflow 0
		.amdhsa_tg_split 0
		.amdhsa_exception_fp_ieee_invalid_op 0
		.amdhsa_exception_fp_denorm_src 0
		.amdhsa_exception_fp_ieee_div_zero 0
		.amdhsa_exception_fp_ieee_overflow 0
		.amdhsa_exception_fp_ieee_underflow 0
		.amdhsa_exception_fp_ieee_inexact 0
		.amdhsa_exception_int_div_zero 0
	.end_amdhsa_kernel
	.section	.text._ZN7rocprim17ROCPRIM_400000_NS6detail17trampoline_kernelINS0_14default_configENS1_38merge_sort_block_merge_config_selectorIlNS0_10empty_typeEEEZZNS1_27merge_sort_block_merge_implIS3_PlPS5_mZN2at6native12_GLOBAL__N_124unique_dim_cuda_templateIiEESt5tupleIJNSA_6TensorESF_SF_EERKSF_lbbbEUlllE_EE10hipError_tT0_T1_T2_jT3_P12ihipStream_tbPNSt15iterator_traitsISL_E10value_typeEPNSR_ISM_E10value_typeEPSN_NS1_7vsmem_tEENKUlT_SL_SM_SN_E_clIS8_S8_S9_S9_EESK_S10_SL_SM_SN_EUlS10_E_NS1_11comp_targetILNS1_3genE8ELNS1_11target_archE1030ELNS1_3gpuE2ELNS1_3repE0EEENS1_48merge_mergepath_partition_config_static_selectorELNS0_4arch9wavefront6targetE1EEEvSM_,"axG",@progbits,_ZN7rocprim17ROCPRIM_400000_NS6detail17trampoline_kernelINS0_14default_configENS1_38merge_sort_block_merge_config_selectorIlNS0_10empty_typeEEEZZNS1_27merge_sort_block_merge_implIS3_PlPS5_mZN2at6native12_GLOBAL__N_124unique_dim_cuda_templateIiEESt5tupleIJNSA_6TensorESF_SF_EERKSF_lbbbEUlllE_EE10hipError_tT0_T1_T2_jT3_P12ihipStream_tbPNSt15iterator_traitsISL_E10value_typeEPNSR_ISM_E10value_typeEPSN_NS1_7vsmem_tEENKUlT_SL_SM_SN_E_clIS8_S8_S9_S9_EESK_S10_SL_SM_SN_EUlS10_E_NS1_11comp_targetILNS1_3genE8ELNS1_11target_archE1030ELNS1_3gpuE2ELNS1_3repE0EEENS1_48merge_mergepath_partition_config_static_selectorELNS0_4arch9wavefront6targetE1EEEvSM_,comdat
.Lfunc_end399:
	.size	_ZN7rocprim17ROCPRIM_400000_NS6detail17trampoline_kernelINS0_14default_configENS1_38merge_sort_block_merge_config_selectorIlNS0_10empty_typeEEEZZNS1_27merge_sort_block_merge_implIS3_PlPS5_mZN2at6native12_GLOBAL__N_124unique_dim_cuda_templateIiEESt5tupleIJNSA_6TensorESF_SF_EERKSF_lbbbEUlllE_EE10hipError_tT0_T1_T2_jT3_P12ihipStream_tbPNSt15iterator_traitsISL_E10value_typeEPNSR_ISM_E10value_typeEPSN_NS1_7vsmem_tEENKUlT_SL_SM_SN_E_clIS8_S8_S9_S9_EESK_S10_SL_SM_SN_EUlS10_E_NS1_11comp_targetILNS1_3genE8ELNS1_11target_archE1030ELNS1_3gpuE2ELNS1_3repE0EEENS1_48merge_mergepath_partition_config_static_selectorELNS0_4arch9wavefront6targetE1EEEvSM_, .Lfunc_end399-_ZN7rocprim17ROCPRIM_400000_NS6detail17trampoline_kernelINS0_14default_configENS1_38merge_sort_block_merge_config_selectorIlNS0_10empty_typeEEEZZNS1_27merge_sort_block_merge_implIS3_PlPS5_mZN2at6native12_GLOBAL__N_124unique_dim_cuda_templateIiEESt5tupleIJNSA_6TensorESF_SF_EERKSF_lbbbEUlllE_EE10hipError_tT0_T1_T2_jT3_P12ihipStream_tbPNSt15iterator_traitsISL_E10value_typeEPNSR_ISM_E10value_typeEPSN_NS1_7vsmem_tEENKUlT_SL_SM_SN_E_clIS8_S8_S9_S9_EESK_S10_SL_SM_SN_EUlS10_E_NS1_11comp_targetILNS1_3genE8ELNS1_11target_archE1030ELNS1_3gpuE2ELNS1_3repE0EEENS1_48merge_mergepath_partition_config_static_selectorELNS0_4arch9wavefront6targetE1EEEvSM_
                                        ; -- End function
	.set _ZN7rocprim17ROCPRIM_400000_NS6detail17trampoline_kernelINS0_14default_configENS1_38merge_sort_block_merge_config_selectorIlNS0_10empty_typeEEEZZNS1_27merge_sort_block_merge_implIS3_PlPS5_mZN2at6native12_GLOBAL__N_124unique_dim_cuda_templateIiEESt5tupleIJNSA_6TensorESF_SF_EERKSF_lbbbEUlllE_EE10hipError_tT0_T1_T2_jT3_P12ihipStream_tbPNSt15iterator_traitsISL_E10value_typeEPNSR_ISM_E10value_typeEPSN_NS1_7vsmem_tEENKUlT_SL_SM_SN_E_clIS8_S8_S9_S9_EESK_S10_SL_SM_SN_EUlS10_E_NS1_11comp_targetILNS1_3genE8ELNS1_11target_archE1030ELNS1_3gpuE2ELNS1_3repE0EEENS1_48merge_mergepath_partition_config_static_selectorELNS0_4arch9wavefront6targetE1EEEvSM_.num_vgpr, 0
	.set _ZN7rocprim17ROCPRIM_400000_NS6detail17trampoline_kernelINS0_14default_configENS1_38merge_sort_block_merge_config_selectorIlNS0_10empty_typeEEEZZNS1_27merge_sort_block_merge_implIS3_PlPS5_mZN2at6native12_GLOBAL__N_124unique_dim_cuda_templateIiEESt5tupleIJNSA_6TensorESF_SF_EERKSF_lbbbEUlllE_EE10hipError_tT0_T1_T2_jT3_P12ihipStream_tbPNSt15iterator_traitsISL_E10value_typeEPNSR_ISM_E10value_typeEPSN_NS1_7vsmem_tEENKUlT_SL_SM_SN_E_clIS8_S8_S9_S9_EESK_S10_SL_SM_SN_EUlS10_E_NS1_11comp_targetILNS1_3genE8ELNS1_11target_archE1030ELNS1_3gpuE2ELNS1_3repE0EEENS1_48merge_mergepath_partition_config_static_selectorELNS0_4arch9wavefront6targetE1EEEvSM_.num_agpr, 0
	.set _ZN7rocprim17ROCPRIM_400000_NS6detail17trampoline_kernelINS0_14default_configENS1_38merge_sort_block_merge_config_selectorIlNS0_10empty_typeEEEZZNS1_27merge_sort_block_merge_implIS3_PlPS5_mZN2at6native12_GLOBAL__N_124unique_dim_cuda_templateIiEESt5tupleIJNSA_6TensorESF_SF_EERKSF_lbbbEUlllE_EE10hipError_tT0_T1_T2_jT3_P12ihipStream_tbPNSt15iterator_traitsISL_E10value_typeEPNSR_ISM_E10value_typeEPSN_NS1_7vsmem_tEENKUlT_SL_SM_SN_E_clIS8_S8_S9_S9_EESK_S10_SL_SM_SN_EUlS10_E_NS1_11comp_targetILNS1_3genE8ELNS1_11target_archE1030ELNS1_3gpuE2ELNS1_3repE0EEENS1_48merge_mergepath_partition_config_static_selectorELNS0_4arch9wavefront6targetE1EEEvSM_.numbered_sgpr, 0
	.set _ZN7rocprim17ROCPRIM_400000_NS6detail17trampoline_kernelINS0_14default_configENS1_38merge_sort_block_merge_config_selectorIlNS0_10empty_typeEEEZZNS1_27merge_sort_block_merge_implIS3_PlPS5_mZN2at6native12_GLOBAL__N_124unique_dim_cuda_templateIiEESt5tupleIJNSA_6TensorESF_SF_EERKSF_lbbbEUlllE_EE10hipError_tT0_T1_T2_jT3_P12ihipStream_tbPNSt15iterator_traitsISL_E10value_typeEPNSR_ISM_E10value_typeEPSN_NS1_7vsmem_tEENKUlT_SL_SM_SN_E_clIS8_S8_S9_S9_EESK_S10_SL_SM_SN_EUlS10_E_NS1_11comp_targetILNS1_3genE8ELNS1_11target_archE1030ELNS1_3gpuE2ELNS1_3repE0EEENS1_48merge_mergepath_partition_config_static_selectorELNS0_4arch9wavefront6targetE1EEEvSM_.num_named_barrier, 0
	.set _ZN7rocprim17ROCPRIM_400000_NS6detail17trampoline_kernelINS0_14default_configENS1_38merge_sort_block_merge_config_selectorIlNS0_10empty_typeEEEZZNS1_27merge_sort_block_merge_implIS3_PlPS5_mZN2at6native12_GLOBAL__N_124unique_dim_cuda_templateIiEESt5tupleIJNSA_6TensorESF_SF_EERKSF_lbbbEUlllE_EE10hipError_tT0_T1_T2_jT3_P12ihipStream_tbPNSt15iterator_traitsISL_E10value_typeEPNSR_ISM_E10value_typeEPSN_NS1_7vsmem_tEENKUlT_SL_SM_SN_E_clIS8_S8_S9_S9_EESK_S10_SL_SM_SN_EUlS10_E_NS1_11comp_targetILNS1_3genE8ELNS1_11target_archE1030ELNS1_3gpuE2ELNS1_3repE0EEENS1_48merge_mergepath_partition_config_static_selectorELNS0_4arch9wavefront6targetE1EEEvSM_.private_seg_size, 0
	.set _ZN7rocprim17ROCPRIM_400000_NS6detail17trampoline_kernelINS0_14default_configENS1_38merge_sort_block_merge_config_selectorIlNS0_10empty_typeEEEZZNS1_27merge_sort_block_merge_implIS3_PlPS5_mZN2at6native12_GLOBAL__N_124unique_dim_cuda_templateIiEESt5tupleIJNSA_6TensorESF_SF_EERKSF_lbbbEUlllE_EE10hipError_tT0_T1_T2_jT3_P12ihipStream_tbPNSt15iterator_traitsISL_E10value_typeEPNSR_ISM_E10value_typeEPSN_NS1_7vsmem_tEENKUlT_SL_SM_SN_E_clIS8_S8_S9_S9_EESK_S10_SL_SM_SN_EUlS10_E_NS1_11comp_targetILNS1_3genE8ELNS1_11target_archE1030ELNS1_3gpuE2ELNS1_3repE0EEENS1_48merge_mergepath_partition_config_static_selectorELNS0_4arch9wavefront6targetE1EEEvSM_.uses_vcc, 0
	.set _ZN7rocprim17ROCPRIM_400000_NS6detail17trampoline_kernelINS0_14default_configENS1_38merge_sort_block_merge_config_selectorIlNS0_10empty_typeEEEZZNS1_27merge_sort_block_merge_implIS3_PlPS5_mZN2at6native12_GLOBAL__N_124unique_dim_cuda_templateIiEESt5tupleIJNSA_6TensorESF_SF_EERKSF_lbbbEUlllE_EE10hipError_tT0_T1_T2_jT3_P12ihipStream_tbPNSt15iterator_traitsISL_E10value_typeEPNSR_ISM_E10value_typeEPSN_NS1_7vsmem_tEENKUlT_SL_SM_SN_E_clIS8_S8_S9_S9_EESK_S10_SL_SM_SN_EUlS10_E_NS1_11comp_targetILNS1_3genE8ELNS1_11target_archE1030ELNS1_3gpuE2ELNS1_3repE0EEENS1_48merge_mergepath_partition_config_static_selectorELNS0_4arch9wavefront6targetE1EEEvSM_.uses_flat_scratch, 0
	.set _ZN7rocprim17ROCPRIM_400000_NS6detail17trampoline_kernelINS0_14default_configENS1_38merge_sort_block_merge_config_selectorIlNS0_10empty_typeEEEZZNS1_27merge_sort_block_merge_implIS3_PlPS5_mZN2at6native12_GLOBAL__N_124unique_dim_cuda_templateIiEESt5tupleIJNSA_6TensorESF_SF_EERKSF_lbbbEUlllE_EE10hipError_tT0_T1_T2_jT3_P12ihipStream_tbPNSt15iterator_traitsISL_E10value_typeEPNSR_ISM_E10value_typeEPSN_NS1_7vsmem_tEENKUlT_SL_SM_SN_E_clIS8_S8_S9_S9_EESK_S10_SL_SM_SN_EUlS10_E_NS1_11comp_targetILNS1_3genE8ELNS1_11target_archE1030ELNS1_3gpuE2ELNS1_3repE0EEENS1_48merge_mergepath_partition_config_static_selectorELNS0_4arch9wavefront6targetE1EEEvSM_.has_dyn_sized_stack, 0
	.set _ZN7rocprim17ROCPRIM_400000_NS6detail17trampoline_kernelINS0_14default_configENS1_38merge_sort_block_merge_config_selectorIlNS0_10empty_typeEEEZZNS1_27merge_sort_block_merge_implIS3_PlPS5_mZN2at6native12_GLOBAL__N_124unique_dim_cuda_templateIiEESt5tupleIJNSA_6TensorESF_SF_EERKSF_lbbbEUlllE_EE10hipError_tT0_T1_T2_jT3_P12ihipStream_tbPNSt15iterator_traitsISL_E10value_typeEPNSR_ISM_E10value_typeEPSN_NS1_7vsmem_tEENKUlT_SL_SM_SN_E_clIS8_S8_S9_S9_EESK_S10_SL_SM_SN_EUlS10_E_NS1_11comp_targetILNS1_3genE8ELNS1_11target_archE1030ELNS1_3gpuE2ELNS1_3repE0EEENS1_48merge_mergepath_partition_config_static_selectorELNS0_4arch9wavefront6targetE1EEEvSM_.has_recursion, 0
	.set _ZN7rocprim17ROCPRIM_400000_NS6detail17trampoline_kernelINS0_14default_configENS1_38merge_sort_block_merge_config_selectorIlNS0_10empty_typeEEEZZNS1_27merge_sort_block_merge_implIS3_PlPS5_mZN2at6native12_GLOBAL__N_124unique_dim_cuda_templateIiEESt5tupleIJNSA_6TensorESF_SF_EERKSF_lbbbEUlllE_EE10hipError_tT0_T1_T2_jT3_P12ihipStream_tbPNSt15iterator_traitsISL_E10value_typeEPNSR_ISM_E10value_typeEPSN_NS1_7vsmem_tEENKUlT_SL_SM_SN_E_clIS8_S8_S9_S9_EESK_S10_SL_SM_SN_EUlS10_E_NS1_11comp_targetILNS1_3genE8ELNS1_11target_archE1030ELNS1_3gpuE2ELNS1_3repE0EEENS1_48merge_mergepath_partition_config_static_selectorELNS0_4arch9wavefront6targetE1EEEvSM_.has_indirect_call, 0
	.section	.AMDGPU.csdata,"",@progbits
; Kernel info:
; codeLenInByte = 0
; TotalNumSgprs: 6
; NumVgprs: 0
; NumAgprs: 0
; TotalNumVgprs: 0
; ScratchSize: 0
; MemoryBound: 0
; FloatMode: 240
; IeeeMode: 1
; LDSByteSize: 0 bytes/workgroup (compile time only)
; SGPRBlocks: 0
; VGPRBlocks: 0
; NumSGPRsForWavesPerEU: 6
; NumVGPRsForWavesPerEU: 1
; AccumOffset: 4
; Occupancy: 8
; WaveLimiterHint : 0
; COMPUTE_PGM_RSRC2:SCRATCH_EN: 0
; COMPUTE_PGM_RSRC2:USER_SGPR: 2
; COMPUTE_PGM_RSRC2:TRAP_HANDLER: 0
; COMPUTE_PGM_RSRC2:TGID_X_EN: 1
; COMPUTE_PGM_RSRC2:TGID_Y_EN: 0
; COMPUTE_PGM_RSRC2:TGID_Z_EN: 0
; COMPUTE_PGM_RSRC2:TIDIG_COMP_CNT: 0
; COMPUTE_PGM_RSRC3_GFX90A:ACCUM_OFFSET: 0
; COMPUTE_PGM_RSRC3_GFX90A:TG_SPLIT: 0
	.section	.text._ZN7rocprim17ROCPRIM_400000_NS6detail17trampoline_kernelINS0_14default_configENS1_38merge_sort_block_merge_config_selectorIlNS0_10empty_typeEEEZZNS1_27merge_sort_block_merge_implIS3_PlPS5_mZN2at6native12_GLOBAL__N_124unique_dim_cuda_templateIiEESt5tupleIJNSA_6TensorESF_SF_EERKSF_lbbbEUlllE_EE10hipError_tT0_T1_T2_jT3_P12ihipStream_tbPNSt15iterator_traitsISL_E10value_typeEPNSR_ISM_E10value_typeEPSN_NS1_7vsmem_tEENKUlT_SL_SM_SN_E_clIS8_S8_S9_S9_EESK_S10_SL_SM_SN_EUlS10_E0_NS1_11comp_targetILNS1_3genE0ELNS1_11target_archE4294967295ELNS1_3gpuE0ELNS1_3repE0EEENS1_38merge_mergepath_config_static_selectorELNS0_4arch9wavefront6targetE1EEEvSM_,"axG",@progbits,_ZN7rocprim17ROCPRIM_400000_NS6detail17trampoline_kernelINS0_14default_configENS1_38merge_sort_block_merge_config_selectorIlNS0_10empty_typeEEEZZNS1_27merge_sort_block_merge_implIS3_PlPS5_mZN2at6native12_GLOBAL__N_124unique_dim_cuda_templateIiEESt5tupleIJNSA_6TensorESF_SF_EERKSF_lbbbEUlllE_EE10hipError_tT0_T1_T2_jT3_P12ihipStream_tbPNSt15iterator_traitsISL_E10value_typeEPNSR_ISM_E10value_typeEPSN_NS1_7vsmem_tEENKUlT_SL_SM_SN_E_clIS8_S8_S9_S9_EESK_S10_SL_SM_SN_EUlS10_E0_NS1_11comp_targetILNS1_3genE0ELNS1_11target_archE4294967295ELNS1_3gpuE0ELNS1_3repE0EEENS1_38merge_mergepath_config_static_selectorELNS0_4arch9wavefront6targetE1EEEvSM_,comdat
	.globl	_ZN7rocprim17ROCPRIM_400000_NS6detail17trampoline_kernelINS0_14default_configENS1_38merge_sort_block_merge_config_selectorIlNS0_10empty_typeEEEZZNS1_27merge_sort_block_merge_implIS3_PlPS5_mZN2at6native12_GLOBAL__N_124unique_dim_cuda_templateIiEESt5tupleIJNSA_6TensorESF_SF_EERKSF_lbbbEUlllE_EE10hipError_tT0_T1_T2_jT3_P12ihipStream_tbPNSt15iterator_traitsISL_E10value_typeEPNSR_ISM_E10value_typeEPSN_NS1_7vsmem_tEENKUlT_SL_SM_SN_E_clIS8_S8_S9_S9_EESK_S10_SL_SM_SN_EUlS10_E0_NS1_11comp_targetILNS1_3genE0ELNS1_11target_archE4294967295ELNS1_3gpuE0ELNS1_3repE0EEENS1_38merge_mergepath_config_static_selectorELNS0_4arch9wavefront6targetE1EEEvSM_ ; -- Begin function _ZN7rocprim17ROCPRIM_400000_NS6detail17trampoline_kernelINS0_14default_configENS1_38merge_sort_block_merge_config_selectorIlNS0_10empty_typeEEEZZNS1_27merge_sort_block_merge_implIS3_PlPS5_mZN2at6native12_GLOBAL__N_124unique_dim_cuda_templateIiEESt5tupleIJNSA_6TensorESF_SF_EERKSF_lbbbEUlllE_EE10hipError_tT0_T1_T2_jT3_P12ihipStream_tbPNSt15iterator_traitsISL_E10value_typeEPNSR_ISM_E10value_typeEPSN_NS1_7vsmem_tEENKUlT_SL_SM_SN_E_clIS8_S8_S9_S9_EESK_S10_SL_SM_SN_EUlS10_E0_NS1_11comp_targetILNS1_3genE0ELNS1_11target_archE4294967295ELNS1_3gpuE0ELNS1_3repE0EEENS1_38merge_mergepath_config_static_selectorELNS0_4arch9wavefront6targetE1EEEvSM_
	.p2align	8
	.type	_ZN7rocprim17ROCPRIM_400000_NS6detail17trampoline_kernelINS0_14default_configENS1_38merge_sort_block_merge_config_selectorIlNS0_10empty_typeEEEZZNS1_27merge_sort_block_merge_implIS3_PlPS5_mZN2at6native12_GLOBAL__N_124unique_dim_cuda_templateIiEESt5tupleIJNSA_6TensorESF_SF_EERKSF_lbbbEUlllE_EE10hipError_tT0_T1_T2_jT3_P12ihipStream_tbPNSt15iterator_traitsISL_E10value_typeEPNSR_ISM_E10value_typeEPSN_NS1_7vsmem_tEENKUlT_SL_SM_SN_E_clIS8_S8_S9_S9_EESK_S10_SL_SM_SN_EUlS10_E0_NS1_11comp_targetILNS1_3genE0ELNS1_11target_archE4294967295ELNS1_3gpuE0ELNS1_3repE0EEENS1_38merge_mergepath_config_static_selectorELNS0_4arch9wavefront6targetE1EEEvSM_,@function
_ZN7rocprim17ROCPRIM_400000_NS6detail17trampoline_kernelINS0_14default_configENS1_38merge_sort_block_merge_config_selectorIlNS0_10empty_typeEEEZZNS1_27merge_sort_block_merge_implIS3_PlPS5_mZN2at6native12_GLOBAL__N_124unique_dim_cuda_templateIiEESt5tupleIJNSA_6TensorESF_SF_EERKSF_lbbbEUlllE_EE10hipError_tT0_T1_T2_jT3_P12ihipStream_tbPNSt15iterator_traitsISL_E10value_typeEPNSR_ISM_E10value_typeEPSN_NS1_7vsmem_tEENKUlT_SL_SM_SN_E_clIS8_S8_S9_S9_EESK_S10_SL_SM_SN_EUlS10_E0_NS1_11comp_targetILNS1_3genE0ELNS1_11target_archE4294967295ELNS1_3gpuE0ELNS1_3repE0EEENS1_38merge_mergepath_config_static_selectorELNS0_4arch9wavefront6targetE1EEEvSM_: ; @_ZN7rocprim17ROCPRIM_400000_NS6detail17trampoline_kernelINS0_14default_configENS1_38merge_sort_block_merge_config_selectorIlNS0_10empty_typeEEEZZNS1_27merge_sort_block_merge_implIS3_PlPS5_mZN2at6native12_GLOBAL__N_124unique_dim_cuda_templateIiEESt5tupleIJNSA_6TensorESF_SF_EERKSF_lbbbEUlllE_EE10hipError_tT0_T1_T2_jT3_P12ihipStream_tbPNSt15iterator_traitsISL_E10value_typeEPNSR_ISM_E10value_typeEPSN_NS1_7vsmem_tEENKUlT_SL_SM_SN_E_clIS8_S8_S9_S9_EESK_S10_SL_SM_SN_EUlS10_E0_NS1_11comp_targetILNS1_3genE0ELNS1_11target_archE4294967295ELNS1_3gpuE0ELNS1_3repE0EEENS1_38merge_mergepath_config_static_selectorELNS0_4arch9wavefront6targetE1EEEvSM_
; %bb.0:
	s_load_dwordx2 s[22:23], s[0:1], 0x58
	s_load_dword s5, s[0:1], 0x38
	s_add_u32 s18, s0, 0x58
	s_addc_u32 s19, s1, 0
	s_waitcnt lgkmcnt(0)
	s_mul_i32 s4, s23, s4
	s_add_i32 s3, s4, s3
	s_mul_i32 s3, s3, s22
	s_add_i32 s20, s3, s2
	s_cmp_ge_u32 s20, s5
	s_cbranch_scc1 .LBB400_138
; %bb.1:
	s_load_dwordx2 s[12:13], s[0:1], 0x50
	s_load_dwordx4 s[4:7], s[0:1], 0x8
	s_load_dwordx4 s[8:11], s[0:1], 0x28
	s_mov_b32 s21, 0
	s_lshl_b64 s[14:15], s[20:21], 3
	s_waitcnt lgkmcnt(0)
	s_add_u32 s16, s12, s14
	s_addc_u32 s17, s13, s15
	s_load_dwordx4 s[12:15], s[16:17], 0x0
	s_lshr_b64 s[16:17], s[10:11], 9
	s_and_b32 s3, s16, -2
	s_sub_i32 s33, 0, s3
	s_and_b32 s26, s20, s33
	s_mov_b32 s27, s21
	s_lshl_b64 s[24:25], s[26:27], 10
	s_lshl_b64 s[16:17], s[20:21], 10
	s_sub_u32 s3, s16, s24
	s_subb_u32 s23, s17, s25
	s_lshl_b64 s[26:27], s[26:27], 11
	s_add_u32 s26, s26, s10
	s_addc_u32 s27, s27, s11
	s_add_u32 s3, s26, s3
	s_addc_u32 s23, s27, s23
	s_waitcnt lgkmcnt(0)
	s_sub_u32 s28, s3, s14
	s_subb_u32 s15, s23, s15
	s_add_u32 s28, s28, 0x400
	s_addc_u32 s29, s15, 0
	v_mov_b64_e32 v[2:3], s[28:29]
	v_cmp_lt_u64_e32 vcc, s[8:9], v[2:3]
	s_and_b64 s[30:31], vcc, exec
	s_cselect_b32 s15, s8, s28
	s_or_b32 s28, s20, s33
	s_cmp_lg_u32 s28, -1
	s_cbranch_scc1 .LBB400_3
; %bb.2:
	s_sub_u32 s24, s26, s24
	s_subb_u32 s25, s27, s25
	v_mov_b64_e32 v[2:3], s[24:25]
	v_cmp_lt_u64_e32 vcc, s[8:9], v[2:3]
	s_and_b64 s[14:15], vcc, exec
	s_cselect_b32 s14, s8, s24
	s_add_u32 s10, s24, s10
	s_addc_u32 s11, s25, s11
	v_mov_b64_e32 v[2:3], s[10:11]
	v_cmp_lt_u64_e32 vcc, s[8:9], v[2:3]
	s_and_b64 s[24:25], vcc, exec
	s_cselect_b32 s15, s8, s10
.LBB400_3:
	s_lshr_b64 s[24:25], s[8:9], 10
	s_cmp_lg_u64 s[24:25], s[20:21]
	s_cselect_b64 s[10:11], -1, 0
	s_sub_u32 s26, s3, s12
	s_subb_u32 s27, s23, s13
	v_mov_b64_e32 v[2:3], s[26:27]
	v_cmp_lt_u64_e32 vcc, s[8:9], v[2:3]
	s_and_b64 s[28:29], vcc, exec
	s_cselect_b32 s26, s8, s26
	s_cselect_b32 s27, s9, s27
	s_sub_i32 s9, s14, s12
	s_sub_i32 s23, s15, s26
	s_lshl_b64 s[12:13], s[12:13], 3
	s_add_u32 s12, s4, s12
	s_addc_u32 s13, s5, s13
	s_lshl_b64 s[14:15], s[26:27], 3
	s_add_u32 s4, s4, s14
	s_addc_u32 s5, s5, s15
	s_cmp_lt_u32 s2, s22
	v_mov_b32_e32 v19, 0
	s_cselect_b32 s2, 12, 18
	global_load_dword v1, v19, s[18:19] offset:14
	s_add_u32 s2, s18, s2
	s_addc_u32 s3, s19, 0
	global_load_ushort v2, v19, s[2:3]
	s_cmp_eq_u64 s[24:25], s[20:21]
	v_lshlrev_b32_e32 v18, 3, v0
	s_waitcnt vmcnt(1)
	v_lshrrev_b32_e32 v3, 16, v1
	v_and_b32_e32 v1, 0xffff, v1
	v_mul_lo_u32 v1, v1, v3
	s_waitcnt vmcnt(0)
	v_mul_lo_u32 v1, v1, v2
	s_cbranch_scc1 .LBB400_5
; %bb.4:
	v_subrev_co_u32_e32 v4, vcc, s9, v0
	v_mov_b32_e32 v5, v19
	v_lshl_add_u64 v[2:3], s[12:13], 0, v[18:19]
	v_lshl_add_u64 v[4:5], v[4:5], 3, s[4:5]
	v_add_u32_e32 v6, v1, v0
	v_cndmask_b32_e32 v3, v5, v3, vcc
	v_cndmask_b32_e32 v2, v4, v2, vcc
	v_mov_b32_e32 v7, v19
	v_subrev_co_u32_e32 v8, vcc, s9, v6
	v_mov_b32_e32 v9, v19
	v_lshl_add_u64 v[4:5], v[6:7], 3, s[12:13]
	v_lshl_add_u64 v[8:9], v[8:9], 3, s[4:5]
	v_cndmask_b32_e32 v4, v8, v4, vcc
	v_add_u32_e32 v8, v6, v1
	v_cndmask_b32_e32 v5, v9, v5, vcc
	v_mov_b32_e32 v9, v19
	v_subrev_co_u32_e32 v10, vcc, s9, v8
	v_mov_b32_e32 v11, v19
	v_lshl_add_u64 v[6:7], v[8:9], 3, s[12:13]
	v_lshl_add_u64 v[10:11], v[10:11], 3, s[4:5]
	v_cndmask_b32_e32 v6, v10, v6, vcc
	v_add_u32_e32 v10, v8, v1
	;; [unrolled: 8-line block ×5, first 2 shown]
	v_cndmask_b32_e32 v13, v17, v13, vcc
	v_mov_b32_e32 v17, v19
	v_subrev_co_u32_e32 v20, vcc, s9, v16
	v_mov_b32_e32 v21, v19
	v_lshl_add_u64 v[14:15], v[16:17], 3, s[12:13]
	v_lshl_add_u64 v[20:21], v[20:21], 3, s[4:5]
	v_add_u32_e32 v16, v16, v1
	v_cndmask_b32_e32 v15, v21, v15, vcc
	v_cndmask_b32_e32 v14, v20, v14, vcc
	v_lshl_add_u64 v[20:21], v[16:17], 3, s[12:13]
	v_subrev_co_u32_e32 v16, vcc, s9, v16
	v_lshl_add_u64 v[16:17], v[16:17], 3, s[4:5]
	s_nop 0
	v_cndmask_b32_e32 v17, v17, v21, vcc
	v_cndmask_b32_e32 v16, v16, v20, vcc
	global_load_dwordx2 v[2:3], v[2:3], off
	s_add_i32 s33, s9, s23
	global_load_dwordx2 v[4:5], v[4:5], off
	s_nop 0
	global_load_dwordx2 v[6:7], v[6:7], off
	s_nop 0
	;; [unrolled: 2-line block ×6, first 2 shown]
	global_load_dwordx2 v[16:17], v[16:17], off
	s_cbranch_execz .LBB400_6
	s_branch .LBB400_23
.LBB400_5:
                                        ; implicit-def: $vgpr2_vgpr3_vgpr4_vgpr5_vgpr6_vgpr7_vgpr8_vgpr9_vgpr10_vgpr11_vgpr12_vgpr13_vgpr14_vgpr15_vgpr16_vgpr17
                                        ; implicit-def: $sgpr33
.LBB400_6:
	s_add_i32 s33, s9, s23
	s_waitcnt vmcnt(7)
	v_mov_b32_e32 v2, 0
	v_cmp_gt_u32_e32 vcc, s33, v0
	v_mov_b32_e32 v3, v2
	s_waitcnt vmcnt(6)
	v_mov_b32_e32 v4, v2
	v_mov_b32_e32 v5, v2
	s_waitcnt vmcnt(5)
	v_mov_b32_e32 v6, v2
	;; [unrolled: 3-line block ×7, first 2 shown]
	v_mov_b32_e32 v17, v2
	s_and_saveexec_b64 s[2:3], vcc
	s_cbranch_execz .LBB400_8
; %bb.7:
	v_mov_b32_e32 v19, v2
	v_subrev_co_u32_e32 v6, vcc, s9, v0
	v_mov_b32_e32 v7, v2
	v_lshl_add_u64 v[4:5], s[12:13], 0, v[18:19]
	v_lshl_add_u64 v[6:7], v[6:7], 3, s[4:5]
	v_cndmask_b32_e32 v5, v7, v5, vcc
	v_cndmask_b32_e32 v4, v6, v4, vcc
	global_load_dwordx2 v[20:21], v[4:5], off
	v_mov_b32_e32 v22, v2
	v_mov_b32_e32 v23, v2
	;; [unrolled: 1-line block ×14, first 2 shown]
	s_waitcnt vmcnt(0)
	v_mov_b64_e32 v[2:3], v[20:21]
	v_mov_b64_e32 v[4:5], v[22:23]
	;; [unrolled: 1-line block ×8, first 2 shown]
.LBB400_8:
	s_or_b64 exec, exec, s[2:3]
	v_add_u32_e32 v20, v1, v0
	v_cmp_gt_u32_e32 vcc, s33, v20
	s_and_saveexec_b64 s[2:3], vcc
	s_cbranch_execz .LBB400_10
; %bb.9:
	v_mov_b32_e32 v21, 0
	v_subrev_co_u32_e32 v22, vcc, s9, v20
	v_mov_b32_e32 v23, v21
	v_lshl_add_u64 v[4:5], v[20:21], 3, s[12:13]
	v_lshl_add_u64 v[22:23], v[22:23], 3, s[4:5]
	v_cndmask_b32_e32 v5, v23, v5, vcc
	v_cndmask_b32_e32 v4, v22, v4, vcc
	global_load_dwordx2 v[4:5], v[4:5], off
.LBB400_10:
	s_or_b64 exec, exec, s[2:3]
	v_add_u32_e32 v20, v20, v1
	v_cmp_gt_u32_e32 vcc, s33, v20
	s_and_saveexec_b64 s[2:3], vcc
	s_cbranch_execz .LBB400_12
; %bb.11:
	v_mov_b32_e32 v21, 0
	v_subrev_co_u32_e32 v22, vcc, s9, v20
	v_mov_b32_e32 v23, v21
	v_lshl_add_u64 v[6:7], v[20:21], 3, s[12:13]
	v_lshl_add_u64 v[22:23], v[22:23], 3, s[4:5]
	v_cndmask_b32_e32 v7, v23, v7, vcc
	v_cndmask_b32_e32 v6, v22, v6, vcc
	global_load_dwordx2 v[6:7], v[6:7], off
.LBB400_12:
	;; [unrolled: 15-line block ×6, first 2 shown]
	s_or_b64 exec, exec, s[2:3]
	v_add_u32_e32 v20, v20, v1
	v_cmp_gt_u32_e32 vcc, s33, v20
	s_and_saveexec_b64 s[2:3], vcc
	s_cbranch_execz .LBB400_22
; %bb.21:
	v_mov_b32_e32 v21, 0
	v_lshl_add_u64 v[16:17], v[20:21], 3, s[12:13]
	v_subrev_co_u32_e32 v20, vcc, s9, v20
	v_lshl_add_u64 v[20:21], v[20:21], 3, s[4:5]
	s_nop 0
	v_cndmask_b32_e32 v17, v21, v17, vcc
	v_cndmask_b32_e32 v16, v20, v16, vcc
	global_load_dwordx2 v[16:17], v[16:17], off
.LBB400_22:
	s_or_b64 exec, exec, s[2:3]
.LBB400_23:
	s_load_dwordx4 s[12:15], s[0:1], 0x40
	v_min_u32_e32 v1, s33, v18
	v_sub_u32_e64 v24, v1, s23 clamp
	v_min_u32_e32 v19, s9, v1
	v_cmp_lt_u32_e32 vcc, v24, v19
	s_waitcnt vmcnt(0)
	ds_write2st64_b64 v18, v[2:3], v[4:5] offset1:2
	ds_write2st64_b64 v18, v[6:7], v[8:9] offset0:4 offset1:6
	ds_write2st64_b64 v18, v[10:11], v[12:13] offset0:8 offset1:10
	;; [unrolled: 1-line block ×3, first 2 shown]
	s_waitcnt lgkmcnt(0)
	s_barrier
	s_and_saveexec_b64 s[18:19], vcc
	s_cbranch_execz .LBB400_33
; %bb.24:
	v_lshlrev_b32_e32 v20, 3, v1
	v_cmp_gt_i64_e64 s[0:1], s[12:13], 0
	v_lshl_add_u32 v25, s9, 3, v20
	s_mov_b64 s[20:21], 0
	v_cndmask_b32_e64 v20, 0, 1, s[0:1]
	s_lshl_b64 s[22:23], s[12:13], 2
	v_cmp_ne_u32_e64 s[0:1], 1, v20
	s_branch .LBB400_27
.LBB400_25:                             ;   in Loop: Header=BB400_27 Depth=1
	s_or_b64 exec, exec, s[26:27]
.LBB400_26:                             ;   in Loop: Header=BB400_27 Depth=1
	v_add_u32_e32 v20, 1, v26
	v_cndmask_b32_e64 v19, v19, v26, s[24:25]
	v_cndmask_b32_e64 v24, v20, v24, s[24:25]
	v_cmp_ge_u32_e32 vcc, v24, v19
	s_or_b64 s[20:21], vcc, s[20:21]
	s_andn2_b64 exec, exec, s[20:21]
	s_cbranch_execz .LBB400_32
.LBB400_27:                             ; =>This Loop Header: Depth=1
                                        ;     Child Loop BB400_30 Depth 2
	v_add_u32_e32 v20, v19, v24
	v_lshrrev_b32_e32 v26, 1, v20
	s_and_b64 vcc, exec, s[0:1]
	s_mov_b64 s[24:25], 0
	s_cbranch_vccnz .LBB400_26
; %bb.28:                               ;   in Loop: Header=BB400_27 Depth=1
	v_not_b32_e32 v20, v26
	v_lshl_add_u32 v20, v20, 3, v25
	ds_read_b64 v[20:21], v20
	v_lshlrev_b32_e32 v27, 3, v26
	ds_read_b64 v[28:29], v27
	v_mov_b64_e32 v[22:23], s[14:15]
	s_mov_b64 s[26:27], 0
	s_waitcnt lgkmcnt(1)
	v_mul_lo_u32 v27, s22, v21
	v_mul_lo_u32 v30, s23, v20
	v_mad_u64_u32 v[20:21], s[2:3], s22, v20, v[22:23]
	v_add3_u32 v21, v30, v21, v27
	s_waitcnt lgkmcnt(0)
	v_mul_lo_u32 v27, s22, v29
	v_mul_lo_u32 v29, s23, v28
	v_mad_u64_u32 v[22:23], s[2:3], s22, v28, v[22:23]
	v_add3_u32 v23, v29, v23, v27
	s_mov_b64 s[30:31], s[12:13]
                                        ; implicit-def: $sgpr24_sgpr25
                                        ; implicit-def: $sgpr28_sgpr29
                                        ; implicit-def: $sgpr2_sgpr3
                                        ; implicit-def: $sgpr34_sgpr35
	s_branch .LBB400_30
.LBB400_29:                             ;   in Loop: Header=BB400_30 Depth=2
	s_or_b64 exec, exec, s[38:39]
	s_and_b64 s[4:5], exec, s[28:29]
	s_or_b64 s[26:27], s[4:5], s[26:27]
	s_andn2_b64 s[4:5], s[34:35], exec
	s_and_b64 s[34:35], s[36:37], exec
	s_or_b64 s[34:35], s[4:5], s[34:35]
	s_andn2_b64 s[4:5], s[24:25], exec
	s_and_b64 s[24:25], s[2:3], exec
	s_or_b64 s[24:25], s[4:5], s[24:25]
	s_andn2_b64 exec, exec, s[26:27]
	s_cbranch_execz .LBB400_25
.LBB400_30:                             ;   Parent Loop BB400_27 Depth=1
                                        ; =>  This Inner Loop Header: Depth=2
	global_load_dword v27, v[20:21], off
	global_load_dword v28, v[22:23], off
	s_andn2_b64 s[38:39], s[2:3], exec
	s_or_b64 s[28:29], s[28:29], exec
	s_waitcnt vmcnt(0)
	v_cmp_le_i32_e64 s[2:3], v27, v28
	v_cmp_lt_i32_e32 vcc, v27, v28
	s_and_b64 s[2:3], s[2:3], s[34:35]
	s_or_b64 s[36:37], vcc, s[2:3]
	s_and_b64 s[2:3], s[36:37], exec
	v_cmp_eq_u32_e64 s[4:5], v27, v28
	s_or_b64 s[2:3], s[38:39], s[2:3]
	s_and_saveexec_b64 s[38:39], s[4:5]
	s_cbranch_execz .LBB400_29
; %bb.31:                               ;   in Loop: Header=BB400_30 Depth=2
	s_add_u32 s30, s30, -1
	s_addc_u32 s31, s31, -1
	s_cmp_eq_u64 s[30:31], 0
	s_cselect_b64 s[4:5], -1, 0
	s_andn2_b64 s[28:29], s[28:29], exec
	s_and_b64 s[4:5], s[4:5], exec
	v_lshl_add_u64 v[20:21], v[20:21], 0, 4
	v_lshl_add_u64 v[22:23], v[22:23], 0, 4
	s_andn2_b64 s[2:3], s[2:3], exec
	s_or_b64 s[28:29], s[28:29], s[4:5]
                                        ; implicit-def: $sgpr34_sgpr35
	s_branch .LBB400_29
.LBB400_32:
	s_or_b64 exec, exec, s[20:21]
.LBB400_33:
	s_or_b64 exec, exec, s[18:19]
	v_sub_u32_e32 v1, v1, v24
	v_add_u32_e32 v20, s9, v1
	v_cmp_ge_u32_e32 vcc, s9, v24
	v_cmp_ge_u32_e64 s[0:1], s33, v20
	s_or_b64 s[0:1], vcc, s[0:1]
	s_and_saveexec_b64 s[4:5], s[0:1]
	s_cbranch_execz .LBB400_124
; %bb.34:
	v_cmp_le_u32_e32 vcc, s9, v24
	v_cmp_gt_u32_e64 s[0:1], s9, v24
                                        ; implicit-def: $vgpr2_vgpr3
	s_and_saveexec_b64 s[2:3], s[0:1]
; %bb.35:
	v_lshlrev_b32_e32 v1, 3, v24
	ds_read_b64 v[2:3], v1
; %bb.36:
	s_or_b64 exec, exec, s[2:3]
	v_cmp_le_u32_e64 s[20:21], s33, v20
	v_cmp_gt_u32_e64 s[0:1], s33, v20
                                        ; implicit-def: $vgpr14_vgpr15
	s_and_saveexec_b64 s[2:3], s[0:1]
; %bb.37:
	v_lshlrev_b32_e32 v1, 3, v20
	ds_read_b64 v[14:15], v1
; %bb.38:
	s_or_b64 exec, exec, s[2:3]
	v_cmp_gt_i64_e64 s[18:19], s[12:13], 0
	s_nor_b64 s[0:1], vcc, s[20:21]
	s_and_saveexec_b64 s[22:23], s[0:1]
	s_cbranch_execz .LBB400_47
; %bb.39:
	s_andn2_b64 vcc, exec, s[18:19]
	s_cbranch_vccnz .LBB400_45
; %bb.40:
	s_waitcnt lgkmcnt(0)
	v_mul_lo_u32 v1, v15, s12
	v_mul_lo_u32 v6, v14, s13
	v_mad_u64_u32 v[4:5], s[0:1], v14, s12, 0
	v_add3_u32 v5, v5, v6, v1
	v_mul_lo_u32 v1, v3, s12
	v_mul_lo_u32 v8, v2, s13
	v_mad_u64_u32 v[6:7], s[0:1], v2, s12, 0
	v_add3_u32 v7, v7, v8, v1
	v_lshl_add_u64 v[4:5], v[4:5], 2, s[14:15]
	v_lshl_add_u64 v[6:7], v[6:7], 2, s[14:15]
	s_mov_b64 s[24:25], 0
	s_mov_b64 s[30:31], s[12:13]
                                        ; implicit-def: $sgpr26_sgpr27
                                        ; implicit-def: $sgpr28_sgpr29
                                        ; implicit-def: $sgpr0_sgpr1
                                        ; implicit-def: $sgpr34_sgpr35
	s_branch .LBB400_42
.LBB400_41:                             ;   in Loop: Header=BB400_42 Depth=1
	s_or_b64 exec, exec, s[38:39]
	s_and_b64 s[2:3], exec, s[28:29]
	s_or_b64 s[24:25], s[2:3], s[24:25]
	s_andn2_b64 s[2:3], s[34:35], exec
	s_and_b64 s[34:35], s[36:37], exec
	s_or_b64 s[34:35], s[2:3], s[34:35]
	s_andn2_b64 s[2:3], s[26:27], exec
	s_and_b64 s[26:27], s[0:1], exec
	s_or_b64 s[26:27], s[2:3], s[26:27]
	s_andn2_b64 exec, exec, s[24:25]
	s_cbranch_execz .LBB400_44
.LBB400_42:                             ; =>This Inner Loop Header: Depth=1
	global_load_dword v1, v[4:5], off
	global_load_dword v8, v[6:7], off
	s_andn2_b64 s[38:39], s[0:1], exec
	s_or_b64 s[28:29], s[28:29], exec
	s_waitcnt vmcnt(0)
	v_cmp_le_i32_e64 s[0:1], v1, v8
	v_cmp_lt_i32_e32 vcc, v1, v8
	s_and_b64 s[0:1], s[0:1], s[34:35]
	s_or_b64 s[36:37], vcc, s[0:1]
	s_and_b64 s[0:1], s[36:37], exec
	v_cmp_eq_u32_e64 s[2:3], v1, v8
	s_or_b64 s[0:1], s[38:39], s[0:1]
	s_and_saveexec_b64 s[38:39], s[2:3]
	s_cbranch_execz .LBB400_41
; %bb.43:                               ;   in Loop: Header=BB400_42 Depth=1
	s_add_u32 s30, s30, -1
	s_addc_u32 s31, s31, -1
	s_cmp_eq_u64 s[30:31], 0
	s_cselect_b64 s[2:3], -1, 0
	s_andn2_b64 s[28:29], s[28:29], exec
	s_and_b64 s[2:3], s[2:3], exec
	v_lshl_add_u64 v[4:5], v[4:5], 0, 4
	v_lshl_add_u64 v[6:7], v[6:7], 0, 4
	s_andn2_b64 s[0:1], s[0:1], exec
	s_or_b64 s[28:29], s[28:29], s[2:3]
                                        ; implicit-def: $sgpr34_sgpr35
	s_branch .LBB400_41
.LBB400_44:
	s_or_b64 exec, exec, s[24:25]
	s_xor_b64 s[0:1], s[26:27], -1
	s_branch .LBB400_46
.LBB400_45:
	s_mov_b64 s[0:1], -1
.LBB400_46:
	s_andn2_b64 s[2:3], s[20:21], exec
	s_and_b64 s[0:1], s[0:1], exec
	s_or_b64 s[20:21], s[2:3], s[0:1]
.LBB400_47:
	s_or_b64 exec, exec, s[22:23]
	v_mov_b32_e32 v4, s33
	v_mov_b32_e32 v5, s9
	v_cndmask_b32_e64 v1, v20, v24, s[20:21]
	v_cndmask_b32_e64 v4, v4, v5, s[20:21]
	v_add_u32_e32 v6, 1, v1
	v_add_u32_e32 v1, -1, v4
	v_min_u32_e32 v1, v6, v1
	v_lshlrev_b32_e32 v1, 3, v1
	ds_read_b64 v[4:5], v1
	v_cndmask_b32_e64 v8, v6, v20, s[20:21]
	v_cndmask_b32_e64 v9, v24, v6, s[20:21]
	v_cmp_gt_u32_e32 vcc, s33, v8
	s_mov_b64 s[24:25], -1
	s_waitcnt lgkmcnt(0)
	v_cndmask_b32_e64 v1, v5, v15, s[20:21]
	v_cndmask_b32_e64 v16, v4, v14, s[20:21]
	;; [unrolled: 1-line block ×4, first 2 shown]
	s_mov_b64 s[22:23], -1
	s_and_saveexec_b64 s[26:27], vcc
	s_cbranch_execz .LBB400_58
; %bb.48:
	v_cmp_gt_u32_e32 vcc, s9, v9
	s_mov_b64 s[0:1], 0
	s_and_saveexec_b64 s[22:23], vcc
	s_cbranch_execz .LBB400_57
; %bb.49:
	s_andn2_b64 vcc, exec, s[18:19]
	s_cbranch_vccnz .LBB400_55
; %bb.50:
	v_mul_lo_u32 v6, v1, s12
	v_mul_lo_u32 v7, v16, s13
	v_mad_u64_u32 v[4:5], s[0:1], v16, s12, 0
	v_add3_u32 v5, v5, v7, v6
	v_mul_lo_u32 v10, v17, s12
	v_mul_lo_u32 v11, v19, s13
	v_mad_u64_u32 v[6:7], s[0:1], v19, s12, 0
	v_add3_u32 v7, v7, v11, v10
	v_lshl_add_u64 v[4:5], v[4:5], 2, s[14:15]
	v_lshl_add_u64 v[6:7], v[6:7], 2, s[14:15]
	s_mov_b64 s[28:29], 0
	s_mov_b64 s[36:37], s[12:13]
                                        ; implicit-def: $sgpr30_sgpr31
                                        ; implicit-def: $sgpr34_sgpr35
                                        ; implicit-def: $sgpr0_sgpr1
                                        ; implicit-def: $sgpr38_sgpr39
	s_branch .LBB400_52
.LBB400_51:                             ;   in Loop: Header=BB400_52 Depth=1
	s_or_b64 exec, exec, s[42:43]
	s_and_b64 s[2:3], exec, s[34:35]
	s_or_b64 s[28:29], s[2:3], s[28:29]
	s_andn2_b64 s[2:3], s[38:39], exec
	s_and_b64 s[38:39], s[40:41], exec
	s_or_b64 s[38:39], s[2:3], s[38:39]
	s_andn2_b64 s[2:3], s[30:31], exec
	s_and_b64 s[30:31], s[0:1], exec
	s_or_b64 s[30:31], s[2:3], s[30:31]
	s_andn2_b64 exec, exec, s[28:29]
	s_cbranch_execz .LBB400_54
.LBB400_52:                             ; =>This Inner Loop Header: Depth=1
	global_load_dword v10, v[4:5], off
	global_load_dword v11, v[6:7], off
	s_andn2_b64 s[42:43], s[0:1], exec
	s_or_b64 s[34:35], s[34:35], exec
	s_waitcnt vmcnt(0)
	v_cmp_le_i32_e64 s[0:1], v10, v11
	v_cmp_lt_i32_e32 vcc, v10, v11
	s_and_b64 s[0:1], s[0:1], s[38:39]
	s_or_b64 s[40:41], vcc, s[0:1]
	s_and_b64 s[0:1], s[40:41], exec
	v_cmp_eq_u32_e64 s[2:3], v10, v11
	s_or_b64 s[0:1], s[42:43], s[0:1]
	s_and_saveexec_b64 s[42:43], s[2:3]
	s_cbranch_execz .LBB400_51
; %bb.53:                               ;   in Loop: Header=BB400_52 Depth=1
	s_add_u32 s36, s36, -1
	s_addc_u32 s37, s37, -1
	s_cmp_eq_u64 s[36:37], 0
	s_cselect_b64 s[2:3], -1, 0
	s_andn2_b64 s[34:35], s[34:35], exec
	s_and_b64 s[2:3], s[2:3], exec
	v_lshl_add_u64 v[4:5], v[4:5], 0, 4
	v_lshl_add_u64 v[6:7], v[6:7], 0, 4
	s_andn2_b64 s[0:1], s[0:1], exec
	s_or_b64 s[34:35], s[34:35], s[2:3]
                                        ; implicit-def: $sgpr38_sgpr39
	s_branch .LBB400_51
.LBB400_54:
	s_or_b64 exec, exec, s[28:29]
	s_xor_b64 s[0:1], s[30:31], -1
	s_branch .LBB400_56
.LBB400_55:
	s_mov_b64 s[0:1], -1
.LBB400_56:
	s_and_b64 s[0:1], s[0:1], exec
.LBB400_57:
	s_or_b64 exec, exec, s[22:23]
	s_orn2_b64 s[22:23], s[0:1], exec
.LBB400_58:
	s_or_b64 exec, exec, s[26:27]
	v_mov_b32_e32 v5, s33
	v_mov_b32_e32 v6, s9
	v_cndmask_b32_e64 v4, v8, v9, s[22:23]
	v_cndmask_b32_e64 v5, v5, v6, s[22:23]
	v_add_u32_e32 v6, 1, v4
	v_add_u32_e32 v4, -1, v5
	v_min_u32_e32 v4, v6, v4
	v_lshlrev_b32_e32 v4, 3, v4
	ds_read_b64 v[4:5], v4
	v_cndmask_b32_e64 v10, v6, v8, s[22:23]
	v_cndmask_b32_e64 v11, v9, v6, s[22:23]
	v_cmp_gt_u32_e32 vcc, s33, v10
	s_waitcnt lgkmcnt(0)
	v_cndmask_b32_e64 v20, v5, v1, s[22:23]
	v_cndmask_b32_e64 v21, v4, v16, s[22:23]
	;; [unrolled: 1-line block ×4, first 2 shown]
	s_and_saveexec_b64 s[26:27], vcc
	s_cbranch_execz .LBB400_69
; %bb.59:
	v_cmp_gt_u32_e32 vcc, s9, v11
	s_mov_b64 s[0:1], 0
	s_and_saveexec_b64 s[24:25], vcc
	s_cbranch_execz .LBB400_68
; %bb.60:
	s_andn2_b64 vcc, exec, s[18:19]
	s_cbranch_vccnz .LBB400_66
; %bb.61:
	v_mul_lo_u32 v6, v20, s12
	v_mul_lo_u32 v7, v21, s13
	v_mad_u64_u32 v[4:5], s[0:1], v21, s12, 0
	v_add3_u32 v5, v5, v7, v6
	v_mul_lo_u32 v8, v22, s12
	v_mul_lo_u32 v9, v23, s13
	v_mad_u64_u32 v[6:7], s[0:1], v23, s12, 0
	v_add3_u32 v7, v7, v9, v8
	v_lshl_add_u64 v[4:5], v[4:5], 2, s[14:15]
	v_lshl_add_u64 v[6:7], v[6:7], 2, s[14:15]
	s_mov_b64 s[28:29], 0
	s_mov_b64 s[36:37], s[12:13]
                                        ; implicit-def: $sgpr30_sgpr31
                                        ; implicit-def: $sgpr34_sgpr35
                                        ; implicit-def: $sgpr0_sgpr1
                                        ; implicit-def: $sgpr38_sgpr39
	s_branch .LBB400_63
.LBB400_62:                             ;   in Loop: Header=BB400_63 Depth=1
	s_or_b64 exec, exec, s[42:43]
	s_and_b64 s[2:3], exec, s[34:35]
	s_or_b64 s[28:29], s[2:3], s[28:29]
	s_andn2_b64 s[2:3], s[38:39], exec
	s_and_b64 s[38:39], s[40:41], exec
	s_or_b64 s[38:39], s[2:3], s[38:39]
	s_andn2_b64 s[2:3], s[30:31], exec
	s_and_b64 s[30:31], s[0:1], exec
	s_or_b64 s[30:31], s[2:3], s[30:31]
	s_andn2_b64 exec, exec, s[28:29]
	s_cbranch_execz .LBB400_65
.LBB400_63:                             ; =>This Inner Loop Header: Depth=1
	global_load_dword v8, v[4:5], off
	global_load_dword v9, v[6:7], off
	s_andn2_b64 s[42:43], s[0:1], exec
	s_or_b64 s[34:35], s[34:35], exec
	s_waitcnt vmcnt(0)
	v_cmp_le_i32_e64 s[0:1], v8, v9
	v_cmp_lt_i32_e32 vcc, v8, v9
	s_and_b64 s[0:1], s[0:1], s[38:39]
	s_or_b64 s[40:41], vcc, s[0:1]
	s_and_b64 s[0:1], s[40:41], exec
	v_cmp_eq_u32_e64 s[2:3], v8, v9
	s_or_b64 s[0:1], s[42:43], s[0:1]
	s_and_saveexec_b64 s[42:43], s[2:3]
	s_cbranch_execz .LBB400_62
; %bb.64:                               ;   in Loop: Header=BB400_63 Depth=1
	s_add_u32 s36, s36, -1
	s_addc_u32 s37, s37, -1
	s_cmp_eq_u64 s[36:37], 0
	s_cselect_b64 s[2:3], -1, 0
	s_andn2_b64 s[34:35], s[34:35], exec
	s_and_b64 s[2:3], s[2:3], exec
	v_lshl_add_u64 v[4:5], v[4:5], 0, 4
	v_lshl_add_u64 v[6:7], v[6:7], 0, 4
	s_andn2_b64 s[0:1], s[0:1], exec
	s_or_b64 s[34:35], s[34:35], s[2:3]
                                        ; implicit-def: $sgpr38_sgpr39
	s_branch .LBB400_62
.LBB400_65:
	s_or_b64 exec, exec, s[28:29]
	s_xor_b64 s[0:1], s[30:31], -1
	s_branch .LBB400_67
.LBB400_66:
	s_mov_b64 s[0:1], -1
.LBB400_67:
	s_and_b64 s[0:1], s[0:1], exec
.LBB400_68:
	s_or_b64 exec, exec, s[24:25]
	s_orn2_b64 s[24:25], s[0:1], exec
.LBB400_69:
	s_or_b64 exec, exec, s[26:27]
	v_mov_b32_e32 v5, s33
	v_mov_b32_e32 v6, s9
	v_cndmask_b32_e64 v4, v10, v11, s[24:25]
	v_cndmask_b32_e64 v5, v5, v6, s[24:25]
	v_add_u32_e32 v6, 1, v4
	v_add_u32_e32 v4, -1, v5
	v_min_u32_e32 v4, v6, v4
	v_lshlrev_b32_e32 v4, 3, v4
	ds_read_b64 v[4:5], v4
	v_cndmask_b32_e64 v12, v6, v10, s[24:25]
	v_cndmask_b32_e64 v13, v11, v6, s[24:25]
	v_cmp_gt_u32_e32 vcc, s33, v12
	s_mov_b64 s[28:29], -1
	s_waitcnt lgkmcnt(0)
	v_cndmask_b32_e64 v8, v5, v20, s[24:25]
	v_cndmask_b32_e64 v24, v4, v21, s[24:25]
	;; [unrolled: 1-line block ×4, first 2 shown]
	s_mov_b64 s[26:27], -1
	s_and_saveexec_b64 s[30:31], vcc
	s_cbranch_execz .LBB400_80
; %bb.70:
	v_cmp_gt_u32_e32 vcc, s9, v13
	s_mov_b64 s[0:1], 0
	s_and_saveexec_b64 s[26:27], vcc
	s_cbranch_execz .LBB400_79
; %bb.71:
	s_andn2_b64 vcc, exec, s[18:19]
	s_cbranch_vccnz .LBB400_77
; %bb.72:
	v_mul_lo_u32 v6, v8, s12
	v_mul_lo_u32 v7, v24, s13
	v_mad_u64_u32 v[4:5], s[0:1], v24, s12, 0
	v_add3_u32 v5, v5, v7, v6
	v_mul_lo_u32 v10, v9, s12
	v_mul_lo_u32 v11, v25, s13
	v_mad_u64_u32 v[6:7], s[0:1], v25, s12, 0
	v_add3_u32 v7, v7, v11, v10
	v_lshl_add_u64 v[4:5], v[4:5], 2, s[14:15]
	v_lshl_add_u64 v[6:7], v[6:7], 2, s[14:15]
	s_mov_b64 s[34:35], 0
	s_mov_b64 s[40:41], s[12:13]
                                        ; implicit-def: $sgpr36_sgpr37
                                        ; implicit-def: $sgpr38_sgpr39
                                        ; implicit-def: $sgpr0_sgpr1
                                        ; implicit-def: $sgpr42_sgpr43
	s_branch .LBB400_74
.LBB400_73:                             ;   in Loop: Header=BB400_74 Depth=1
	s_or_b64 exec, exec, s[46:47]
	s_and_b64 s[2:3], exec, s[38:39]
	s_or_b64 s[34:35], s[2:3], s[34:35]
	s_andn2_b64 s[2:3], s[42:43], exec
	s_and_b64 s[42:43], s[44:45], exec
	s_or_b64 s[42:43], s[2:3], s[42:43]
	s_andn2_b64 s[2:3], s[36:37], exec
	s_and_b64 s[36:37], s[0:1], exec
	s_or_b64 s[36:37], s[2:3], s[36:37]
	s_andn2_b64 exec, exec, s[34:35]
	s_cbranch_execz .LBB400_76
.LBB400_74:                             ; =>This Inner Loop Header: Depth=1
	global_load_dword v10, v[4:5], off
	global_load_dword v11, v[6:7], off
	s_andn2_b64 s[46:47], s[0:1], exec
	s_or_b64 s[38:39], s[38:39], exec
	s_waitcnt vmcnt(0)
	v_cmp_le_i32_e64 s[0:1], v10, v11
	v_cmp_lt_i32_e32 vcc, v10, v11
	s_and_b64 s[0:1], s[0:1], s[42:43]
	s_or_b64 s[44:45], vcc, s[0:1]
	s_and_b64 s[0:1], s[44:45], exec
	v_cmp_eq_u32_e64 s[2:3], v10, v11
	s_or_b64 s[0:1], s[46:47], s[0:1]
	s_and_saveexec_b64 s[46:47], s[2:3]
	s_cbranch_execz .LBB400_73
; %bb.75:                               ;   in Loop: Header=BB400_74 Depth=1
	s_add_u32 s40, s40, -1
	s_addc_u32 s41, s41, -1
	s_cmp_eq_u64 s[40:41], 0
	s_cselect_b64 s[2:3], -1, 0
	s_andn2_b64 s[38:39], s[38:39], exec
	s_and_b64 s[2:3], s[2:3], exec
	v_lshl_add_u64 v[4:5], v[4:5], 0, 4
	v_lshl_add_u64 v[6:7], v[6:7], 0, 4
	s_andn2_b64 s[0:1], s[0:1], exec
	s_or_b64 s[38:39], s[38:39], s[2:3]
                                        ; implicit-def: $sgpr42_sgpr43
	s_branch .LBB400_73
.LBB400_76:
	s_or_b64 exec, exec, s[34:35]
	s_xor_b64 s[0:1], s[36:37], -1
	s_branch .LBB400_78
.LBB400_77:
	s_mov_b64 s[0:1], -1
.LBB400_78:
	s_and_b64 s[0:1], s[0:1], exec
.LBB400_79:
	s_or_b64 exec, exec, s[26:27]
	s_orn2_b64 s[26:27], s[0:1], exec
.LBB400_80:
	s_or_b64 exec, exec, s[30:31]
	v_mov_b32_e32 v5, s33
	v_mov_b32_e32 v6, s9
	v_cndmask_b32_e64 v4, v12, v13, s[26:27]
	v_cndmask_b32_e64 v5, v5, v6, s[26:27]
	v_add_u32_e32 v6, 1, v4
	v_add_u32_e32 v4, -1, v5
	v_min_u32_e32 v4, v6, v4
	v_lshlrev_b32_e32 v4, 3, v4
	ds_read_b64 v[4:5], v4
	v_cndmask_b32_e64 v30, v6, v12, s[26:27]
	v_cndmask_b32_e64 v31, v13, v6, s[26:27]
	v_cmp_gt_u32_e32 vcc, s33, v30
	s_waitcnt lgkmcnt(0)
	v_cndmask_b32_e64 v10, v5, v8, s[26:27]
	v_cndmask_b32_e64 v26, v4, v24, s[26:27]
	;; [unrolled: 1-line block ×4, first 2 shown]
	s_and_saveexec_b64 s[30:31], vcc
	s_cbranch_execz .LBB400_91
; %bb.81:
	v_cmp_gt_u32_e32 vcc, s9, v31
	s_mov_b64 s[0:1], 0
	s_and_saveexec_b64 s[28:29], vcc
	s_cbranch_execz .LBB400_90
; %bb.82:
	s_andn2_b64 vcc, exec, s[18:19]
	s_cbranch_vccnz .LBB400_88
; %bb.83:
	v_mul_lo_u32 v6, v10, s12
	v_mul_lo_u32 v7, v26, s13
	v_mad_u64_u32 v[4:5], s[0:1], v26, s12, 0
	v_add3_u32 v5, v5, v7, v6
	v_mul_lo_u32 v12, v11, s12
	v_mul_lo_u32 v13, v27, s13
	v_mad_u64_u32 v[6:7], s[0:1], v27, s12, 0
	v_add3_u32 v7, v7, v13, v12
	v_lshl_add_u64 v[4:5], v[4:5], 2, s[14:15]
	v_lshl_add_u64 v[6:7], v[6:7], 2, s[14:15]
	s_mov_b64 s[34:35], 0
	s_mov_b64 s[40:41], s[12:13]
                                        ; implicit-def: $sgpr36_sgpr37
                                        ; implicit-def: $sgpr38_sgpr39
                                        ; implicit-def: $sgpr0_sgpr1
                                        ; implicit-def: $sgpr42_sgpr43
	s_branch .LBB400_85
.LBB400_84:                             ;   in Loop: Header=BB400_85 Depth=1
	s_or_b64 exec, exec, s[46:47]
	s_and_b64 s[2:3], exec, s[38:39]
	s_or_b64 s[34:35], s[2:3], s[34:35]
	s_andn2_b64 s[2:3], s[42:43], exec
	s_and_b64 s[42:43], s[44:45], exec
	s_or_b64 s[42:43], s[2:3], s[42:43]
	s_andn2_b64 s[2:3], s[36:37], exec
	s_and_b64 s[36:37], s[0:1], exec
	s_or_b64 s[36:37], s[2:3], s[36:37]
	s_andn2_b64 exec, exec, s[34:35]
	s_cbranch_execz .LBB400_87
.LBB400_85:                             ; =>This Inner Loop Header: Depth=1
	global_load_dword v12, v[4:5], off
	global_load_dword v13, v[6:7], off
	s_andn2_b64 s[46:47], s[0:1], exec
	s_or_b64 s[38:39], s[38:39], exec
	s_waitcnt vmcnt(0)
	v_cmp_le_i32_e64 s[0:1], v12, v13
	v_cmp_lt_i32_e32 vcc, v12, v13
	s_and_b64 s[0:1], s[0:1], s[42:43]
	s_or_b64 s[44:45], vcc, s[0:1]
	s_and_b64 s[0:1], s[44:45], exec
	v_cmp_eq_u32_e64 s[2:3], v12, v13
	s_or_b64 s[0:1], s[46:47], s[0:1]
	s_and_saveexec_b64 s[46:47], s[2:3]
	s_cbranch_execz .LBB400_84
; %bb.86:                               ;   in Loop: Header=BB400_85 Depth=1
	s_add_u32 s40, s40, -1
	s_addc_u32 s41, s41, -1
	s_cmp_eq_u64 s[40:41], 0
	s_cselect_b64 s[2:3], -1, 0
	s_andn2_b64 s[38:39], s[38:39], exec
	s_and_b64 s[2:3], s[2:3], exec
	v_lshl_add_u64 v[4:5], v[4:5], 0, 4
	v_lshl_add_u64 v[6:7], v[6:7], 0, 4
	s_andn2_b64 s[0:1], s[0:1], exec
	s_or_b64 s[38:39], s[38:39], s[2:3]
                                        ; implicit-def: $sgpr42_sgpr43
	s_branch .LBB400_84
.LBB400_87:
	s_or_b64 exec, exec, s[34:35]
	s_xor_b64 s[0:1], s[36:37], -1
	s_branch .LBB400_89
.LBB400_88:
	s_mov_b64 s[0:1], -1
.LBB400_89:
	s_and_b64 s[0:1], s[0:1], exec
.LBB400_90:
	s_or_b64 exec, exec, s[28:29]
	s_orn2_b64 s[28:29], s[0:1], exec
.LBB400_91:
	s_or_b64 exec, exec, s[30:31]
	v_mov_b32_e32 v5, s33
	v_mov_b32_e32 v6, s9
	v_cndmask_b32_e64 v4, v30, v31, s[28:29]
	v_cndmask_b32_e64 v5, v5, v6, s[28:29]
	v_add_u32_e32 v6, 1, v4
	v_add_u32_e32 v4, -1, v5
	v_min_u32_e32 v4, v6, v4
	v_lshlrev_b32_e32 v4, 3, v4
	ds_read_b64 v[4:5], v4
	v_cndmask_b32_e64 v32, v6, v30, s[28:29]
	v_cndmask_b32_e64 v36, v31, v6, s[28:29]
	v_cmp_gt_u32_e32 vcc, s33, v32
	s_mov_b64 s[30:31], -1
	s_waitcnt lgkmcnt(0)
	v_cndmask_b32_e64 v12, v5, v10, s[28:29]
	v_cndmask_b32_e64 v28, v4, v26, s[28:29]
	;; [unrolled: 1-line block ×4, first 2 shown]
	s_mov_b64 s[34:35], -1
	s_and_saveexec_b64 s[36:37], vcc
	s_cbranch_execz .LBB400_102
; %bb.92:
	v_cmp_gt_u32_e32 vcc, s9, v36
	s_mov_b64 s[0:1], 0
	s_and_saveexec_b64 s[34:35], vcc
	s_cbranch_execz .LBB400_101
; %bb.93:
	s_andn2_b64 vcc, exec, s[18:19]
	s_cbranch_vccnz .LBB400_99
; %bb.94:
	v_mul_lo_u32 v6, v12, s12
	v_mul_lo_u32 v7, v28, s13
	v_mad_u64_u32 v[4:5], s[0:1], v28, s12, 0
	v_add3_u32 v5, v5, v7, v6
	v_mul_lo_u32 v30, v13, s12
	v_mul_lo_u32 v31, v29, s13
	v_mad_u64_u32 v[6:7], s[0:1], v29, s12, 0
	v_add3_u32 v7, v7, v31, v30
	v_lshl_add_u64 v[4:5], v[4:5], 2, s[14:15]
	v_lshl_add_u64 v[6:7], v[6:7], 2, s[14:15]
	s_mov_b64 s[38:39], 0
	s_mov_b64 s[44:45], s[12:13]
                                        ; implicit-def: $sgpr40_sgpr41
                                        ; implicit-def: $sgpr42_sgpr43
                                        ; implicit-def: $sgpr0_sgpr1
                                        ; implicit-def: $sgpr46_sgpr47
	s_branch .LBB400_96
.LBB400_95:                             ;   in Loop: Header=BB400_96 Depth=1
	s_or_b64 exec, exec, s[50:51]
	s_and_b64 s[2:3], exec, s[42:43]
	s_or_b64 s[38:39], s[2:3], s[38:39]
	s_andn2_b64 s[2:3], s[46:47], exec
	s_and_b64 s[46:47], s[48:49], exec
	s_or_b64 s[46:47], s[2:3], s[46:47]
	s_andn2_b64 s[2:3], s[40:41], exec
	s_and_b64 s[40:41], s[0:1], exec
	s_or_b64 s[40:41], s[2:3], s[40:41]
	s_andn2_b64 exec, exec, s[38:39]
	s_cbranch_execz .LBB400_98
.LBB400_96:                             ; =>This Inner Loop Header: Depth=1
	global_load_dword v30, v[4:5], off
	global_load_dword v31, v[6:7], off
	s_andn2_b64 s[50:51], s[0:1], exec
	s_or_b64 s[42:43], s[42:43], exec
	s_waitcnt vmcnt(0)
	v_cmp_le_i32_e64 s[0:1], v30, v31
	v_cmp_lt_i32_e32 vcc, v30, v31
	s_and_b64 s[0:1], s[0:1], s[46:47]
	s_or_b64 s[48:49], vcc, s[0:1]
	s_and_b64 s[0:1], s[48:49], exec
	v_cmp_eq_u32_e64 s[2:3], v30, v31
	s_or_b64 s[0:1], s[50:51], s[0:1]
	s_and_saveexec_b64 s[50:51], s[2:3]
	s_cbranch_execz .LBB400_95
; %bb.97:                               ;   in Loop: Header=BB400_96 Depth=1
	s_add_u32 s44, s44, -1
	s_addc_u32 s45, s45, -1
	s_cmp_eq_u64 s[44:45], 0
	s_cselect_b64 s[2:3], -1, 0
	s_andn2_b64 s[42:43], s[42:43], exec
	s_and_b64 s[2:3], s[2:3], exec
	v_lshl_add_u64 v[4:5], v[4:5], 0, 4
	v_lshl_add_u64 v[6:7], v[6:7], 0, 4
	s_andn2_b64 s[0:1], s[0:1], exec
	s_or_b64 s[42:43], s[42:43], s[2:3]
                                        ; implicit-def: $sgpr46_sgpr47
	s_branch .LBB400_95
.LBB400_98:
	s_or_b64 exec, exec, s[38:39]
	s_xor_b64 s[0:1], s[40:41], -1
	s_branch .LBB400_100
.LBB400_99:
	s_mov_b64 s[0:1], -1
.LBB400_100:
	s_and_b64 s[0:1], s[0:1], exec
.LBB400_101:
	s_or_b64 exec, exec, s[34:35]
	s_orn2_b64 s[34:35], s[0:1], exec
.LBB400_102:
	s_or_b64 exec, exec, s[36:37]
	v_mov_b32_e32 v5, s33
	v_mov_b32_e32 v6, s9
	v_cndmask_b32_e64 v4, v32, v36, s[34:35]
	v_cndmask_b32_e64 v5, v5, v6, s[34:35]
	v_add_u32_e32 v6, 1, v4
	v_add_u32_e32 v4, -1, v5
	v_min_u32_e32 v4, v6, v4
	v_lshlrev_b32_e32 v4, 3, v4
	ds_read_b64 v[4:5], v4
	v_cndmask_b32_e64 v33, v6, v32, s[34:35]
	v_cndmask_b32_e64 v32, v36, v6, s[34:35]
	v_cmp_gt_u32_e32 vcc, s33, v33
	s_waitcnt lgkmcnt(0)
	v_cndmask_b32_e64 v30, v5, v12, s[34:35]
	v_cndmask_b32_e64 v31, v4, v28, s[34:35]
	v_cndmask_b32_e64 v34, v13, v5, s[34:35]
	v_cndmask_b32_e64 v35, v29, v4, s[34:35]
	s_and_saveexec_b64 s[36:37], vcc
	s_cbranch_execz .LBB400_113
; %bb.103:
	v_cmp_gt_u32_e32 vcc, s9, v32
	s_mov_b64 s[0:1], 0
	s_and_saveexec_b64 s[30:31], vcc
	s_cbranch_execz .LBB400_112
; %bb.104:
	s_andn2_b64 vcc, exec, s[18:19]
	s_cbranch_vccnz .LBB400_110
; %bb.105:
	v_mul_lo_u32 v6, v30, s12
	v_mul_lo_u32 v7, v31, s13
	v_mad_u64_u32 v[4:5], s[0:1], v31, s12, 0
	v_add3_u32 v5, v5, v7, v6
	v_mul_lo_u32 v36, v34, s12
	v_mul_lo_u32 v37, v35, s13
	v_mad_u64_u32 v[6:7], s[0:1], v35, s12, 0
	v_add3_u32 v7, v7, v37, v36
	v_lshl_add_u64 v[4:5], v[4:5], 2, s[14:15]
	v_lshl_add_u64 v[6:7], v[6:7], 2, s[14:15]
	s_mov_b64 s[38:39], 0
	s_mov_b64 s[44:45], s[12:13]
                                        ; implicit-def: $sgpr40_sgpr41
                                        ; implicit-def: $sgpr42_sgpr43
                                        ; implicit-def: $sgpr0_sgpr1
                                        ; implicit-def: $sgpr46_sgpr47
	s_branch .LBB400_107
.LBB400_106:                            ;   in Loop: Header=BB400_107 Depth=1
	s_or_b64 exec, exec, s[50:51]
	s_and_b64 s[2:3], exec, s[42:43]
	s_or_b64 s[38:39], s[2:3], s[38:39]
	s_andn2_b64 s[2:3], s[46:47], exec
	s_and_b64 s[46:47], s[48:49], exec
	s_or_b64 s[46:47], s[2:3], s[46:47]
	s_andn2_b64 s[2:3], s[40:41], exec
	s_and_b64 s[40:41], s[0:1], exec
	s_or_b64 s[40:41], s[2:3], s[40:41]
	s_andn2_b64 exec, exec, s[38:39]
	s_cbranch_execz .LBB400_109
.LBB400_107:                            ; =>This Inner Loop Header: Depth=1
	global_load_dword v36, v[4:5], off
	global_load_dword v37, v[6:7], off
	s_andn2_b64 s[50:51], s[0:1], exec
	s_or_b64 s[42:43], s[42:43], exec
	s_waitcnt vmcnt(0)
	v_cmp_le_i32_e64 s[0:1], v36, v37
	v_cmp_lt_i32_e32 vcc, v36, v37
	s_and_b64 s[0:1], s[0:1], s[46:47]
	s_or_b64 s[48:49], vcc, s[0:1]
	s_and_b64 s[0:1], s[48:49], exec
	v_cmp_eq_u32_e64 s[2:3], v36, v37
	s_or_b64 s[0:1], s[50:51], s[0:1]
	s_and_saveexec_b64 s[50:51], s[2:3]
	s_cbranch_execz .LBB400_106
; %bb.108:                              ;   in Loop: Header=BB400_107 Depth=1
	s_add_u32 s44, s44, -1
	s_addc_u32 s45, s45, -1
	s_cmp_eq_u64 s[44:45], 0
	s_cselect_b64 s[2:3], -1, 0
	s_andn2_b64 s[42:43], s[42:43], exec
	s_and_b64 s[2:3], s[2:3], exec
	v_lshl_add_u64 v[4:5], v[4:5], 0, 4
	v_lshl_add_u64 v[6:7], v[6:7], 0, 4
	s_andn2_b64 s[0:1], s[0:1], exec
	s_or_b64 s[42:43], s[42:43], s[2:3]
                                        ; implicit-def: $sgpr46_sgpr47
	s_branch .LBB400_106
.LBB400_109:
	s_or_b64 exec, exec, s[38:39]
	s_xor_b64 s[0:1], s[40:41], -1
	s_branch .LBB400_111
.LBB400_110:
	s_mov_b64 s[0:1], -1
.LBB400_111:
	s_and_b64 s[0:1], s[0:1], exec
.LBB400_112:
	s_or_b64 exec, exec, s[30:31]
	s_orn2_b64 s[30:31], s[0:1], exec
.LBB400_113:
	s_or_b64 exec, exec, s[36:37]
	v_cndmask_b32_e64 v5, v1, v17, s[22:23]
	v_cndmask_b32_e64 v4, v16, v19, s[22:23]
	v_mov_b32_e32 v16, s33
	v_mov_b32_e32 v17, s9
	v_cndmask_b32_e64 v1, v33, v32, s[30:31]
	v_cndmask_b32_e64 v16, v16, v17, s[30:31]
	v_add_u32_e32 v1, 1, v1
	v_add_u32_e32 v16, -1, v16
	v_min_u32_e32 v16, v1, v16
	v_lshlrev_b32_e32 v16, 3, v16
	v_cndmask_b32_e64 v7, v20, v22, s[24:25]
	v_cndmask_b32_e64 v6, v21, v23, s[24:25]
	ds_read_b64 v[20:21], v16
	v_cndmask_b32_e64 v19, v1, v33, s[30:31]
	v_cndmask_b32_e64 v13, v12, v13, s[34:35]
	;; [unrolled: 1-line block ×11, first 2 shown]
	s_waitcnt lgkmcnt(0)
	v_cndmask_b32_e64 v17, v34, v21, s[30:31]
	v_cndmask_b32_e64 v16, v35, v20, s[30:31]
	v_cmp_gt_u32_e32 vcc, s33, v19
	s_and_saveexec_b64 s[20:21], vcc
	s_cbranch_execz .LBB400_123
; %bb.114:
	v_cndmask_b32_e64 v1, v32, v1, s[30:31]
	v_cndmask_b32_e64 v21, v21, v30, s[30:31]
	;; [unrolled: 1-line block ×3, first 2 shown]
	v_cmp_gt_u32_e32 vcc, s9, v1
	s_and_saveexec_b64 s[22:23], vcc
	s_cbranch_execz .LBB400_122
; %bb.115:
	s_andn2_b64 vcc, exec, s[18:19]
	s_cbranch_vccnz .LBB400_121
; %bb.116:
	v_mul_lo_u32 v1, v21, s12
	v_mul_lo_u32 v19, v20, s13
	v_mad_u64_u32 v[22:23], s[0:1], v20, s12, 0
	v_add3_u32 v23, v23, v19, v1
	v_mul_lo_u32 v1, v17, s12
	v_mul_lo_u32 v19, v16, s13
	v_mad_u64_u32 v[24:25], s[0:1], v16, s12, 0
	v_add3_u32 v25, v25, v19, v1
	v_lshl_add_u64 v[22:23], v[22:23], 2, s[14:15]
	v_lshl_add_u64 v[24:25], v[24:25], 2, s[14:15]
	s_mov_b64 s[14:15], 0
                                        ; implicit-def: $sgpr18_sgpr19
                                        ; implicit-def: $sgpr24_sgpr25
                                        ; implicit-def: $sgpr0_sgpr1
                                        ; implicit-def: $sgpr26_sgpr27
	s_branch .LBB400_118
.LBB400_117:                            ;   in Loop: Header=BB400_118 Depth=1
	s_or_b64 exec, exec, s[30:31]
	s_and_b64 s[2:3], exec, s[24:25]
	s_or_b64 s[14:15], s[2:3], s[14:15]
	s_andn2_b64 s[2:3], s[26:27], exec
	s_and_b64 s[26:27], s[28:29], exec
	s_or_b64 s[26:27], s[2:3], s[26:27]
	s_andn2_b64 s[2:3], s[18:19], exec
	s_and_b64 s[18:19], s[0:1], exec
	s_or_b64 s[18:19], s[2:3], s[18:19]
	s_andn2_b64 exec, exec, s[14:15]
	s_cbranch_execz .LBB400_120
.LBB400_118:                            ; =>This Inner Loop Header: Depth=1
	global_load_dword v1, v[22:23], off
	global_load_dword v19, v[24:25], off
	s_andn2_b64 s[30:31], s[0:1], exec
	s_or_b64 s[24:25], s[24:25], exec
	s_waitcnt vmcnt(0)
	v_cmp_le_i32_e64 s[0:1], v1, v19
	v_cmp_lt_i32_e32 vcc, v1, v19
	s_and_b64 s[0:1], s[0:1], s[26:27]
	s_or_b64 s[28:29], vcc, s[0:1]
	s_and_b64 s[0:1], s[28:29], exec
	v_cmp_eq_u32_e64 s[2:3], v1, v19
	s_or_b64 s[0:1], s[30:31], s[0:1]
	s_and_saveexec_b64 s[30:31], s[2:3]
	s_cbranch_execz .LBB400_117
; %bb.119:                              ;   in Loop: Header=BB400_118 Depth=1
	s_add_u32 s12, s12, -1
	s_addc_u32 s13, s13, -1
	s_cmp_eq_u64 s[12:13], 0
	s_cselect_b64 s[2:3], -1, 0
	s_andn2_b64 s[24:25], s[24:25], exec
	s_and_b64 s[2:3], s[2:3], exec
	v_lshl_add_u64 v[22:23], v[22:23], 0, 4
	v_lshl_add_u64 v[24:25], v[24:25], 0, 4
	s_andn2_b64 s[0:1], s[0:1], exec
	s_or_b64 s[24:25], s[24:25], s[2:3]
                                        ; implicit-def: $sgpr26_sgpr27
	s_branch .LBB400_117
.LBB400_120:
	s_or_b64 exec, exec, s[14:15]
	v_cndmask_b32_e64 v17, v17, v21, s[18:19]
	v_cndmask_b32_e64 v16, v16, v20, s[18:19]
.LBB400_121:
	v_mov_b64_e32 v[20:21], v[16:17]
.LBB400_122:
	s_or_b64 exec, exec, s[22:23]
	v_mov_b64_e32 v[16:17], v[20:21]
.LBB400_123:
	s_or_b64 exec, exec, s[20:21]
.LBB400_124:
	s_or_b64 exec, exec, s[4:5]
	v_lshrrev_b32_e32 v1, 2, v0
	v_lshlrev_b32_e32 v19, 3, v18
	v_lshl_add_u32 v19, v1, 3, v19
	v_and_b32_e32 v1, 24, v1
	v_or_b32_e32 v23, 0x80, v0
	v_add_u32_e32 v24, v1, v18
	v_lshrrev_b32_e32 v1, 2, v23
	v_and_b32_e32 v1, 56, v1
	v_or_b32_e32 v22, 0x100, v0
	s_barrier
	s_barrier
	ds_write2_b64 v19, v[2:3], v[4:5] offset1:1
	ds_write2_b64 v19, v[6:7], v[8:9] offset0:2 offset1:3
	ds_write2_b64 v19, v[10:11], v[12:13] offset0:4 offset1:5
	;; [unrolled: 1-line block ×3, first 2 shown]
	v_add_u32_e32 v4, v1, v18
	v_lshrrev_b32_e32 v1, 2, v22
	v_and_b32_e32 v1, 0x58, v1
	v_or_b32_e32 v21, 0x180, v0
	v_add_u32_e32 v5, v1, v18
	v_lshrrev_b32_e32 v1, 2, v21
	v_and_b32_e32 v1, 0x78, v1
	v_or_b32_e32 v20, 0x200, v0
	;; [unrolled: 4-line block ×4, first 2 shown]
	v_add_u32_e32 v25, v1, v18
	v_lshrrev_b32_e32 v1, 2, v16
	v_and_b32_e32 v1, 0xd8, v1
	s_lshl_b64 s[0:1], s[16:17], 3
	v_add_u32_e32 v26, v1, v18
	v_or_b32_e32 v1, 0x380, v0
	s_add_u32 s0, s6, s0
	v_lshrrev_b32_e32 v2, 2, v1
	s_addc_u32 s1, s7, s1
	v_and_b32_e32 v2, 0xf8, v2
	v_mov_b32_e32 v19, 0
	v_add_u32_e32 v27, v2, v18
	v_lshl_add_u64 v[2:3], s[0:1], 0, v[18:19]
	s_and_b64 vcc, exec, s[10:11]
	s_waitcnt lgkmcnt(0)
	s_cbranch_vccz .LBB400_126
; %bb.125:
	s_barrier
	ds_read_b64 v[8:9], v24
	ds_read_b64 v[10:11], v4 offset:1024
	ds_read_b64 v[12:13], v5 offset:2048
	;; [unrolled: 1-line block ×7, first 2 shown]
	s_waitcnt lgkmcnt(7)
	global_store_dwordx2 v[2:3], v[8:9], off
	s_waitcnt lgkmcnt(6)
	global_store_dwordx2 v[2:3], v[10:11], off offset:1024
	s_waitcnt lgkmcnt(5)
	global_store_dwordx2 v[2:3], v[12:13], off offset:2048
	;; [unrolled: 2-line block ×3, first 2 shown]
	v_add_co_u32_e32 v8, vcc, 0x1000, v2
	s_nop 1
	v_addc_co_u32_e32 v9, vcc, 0, v3, vcc
	s_waitcnt lgkmcnt(3)
	global_store_dwordx2 v[8:9], v[28:29], off
	s_waitcnt lgkmcnt(2)
	global_store_dwordx2 v[8:9], v[30:31], off offset:1024
	s_waitcnt lgkmcnt(1)
	global_store_dwordx2 v[8:9], v[32:33], off offset:2048
	s_mov_b64 s[0:1], -1
	s_cbranch_execz .LBB400_127
	s_branch .LBB400_136
.LBB400_126:
	s_mov_b64 s[0:1], 0
                                        ; implicit-def: $vgpr18_vgpr19
.LBB400_127:
	s_barrier
	s_waitcnt lgkmcnt(0)
	ds_read_b64 v[14:15], v4 offset:1024
	ds_read_b64 v[12:13], v5 offset:2048
	;; [unrolled: 1-line block ×7, first 2 shown]
	s_sub_i32 s2, s8, s16
	v_cmp_gt_u32_e32 vcc, s2, v0
	s_and_saveexec_b64 s[0:1], vcc
	s_cbranch_execnz .LBB400_139
; %bb.128:
	s_or_b64 exec, exec, s[0:1]
	v_cmp_gt_u32_e32 vcc, s2, v23
	s_and_saveexec_b64 s[0:1], vcc
	s_cbranch_execnz .LBB400_140
.LBB400_129:
	s_or_b64 exec, exec, s[0:1]
	v_cmp_gt_u32_e32 vcc, s2, v22
	s_and_saveexec_b64 s[0:1], vcc
	s_cbranch_execnz .LBB400_141
.LBB400_130:
	s_or_b64 exec, exec, s[0:1]
	v_cmp_gt_u32_e32 vcc, s2, v21
	s_and_saveexec_b64 s[0:1], vcc
	s_cbranch_execnz .LBB400_142
.LBB400_131:
	s_or_b64 exec, exec, s[0:1]
	v_cmp_gt_u32_e32 vcc, s2, v20
	s_and_saveexec_b64 s[0:1], vcc
	s_cbranch_execnz .LBB400_143
.LBB400_132:
	s_or_b64 exec, exec, s[0:1]
	v_cmp_gt_u32_e32 vcc, s2, v17
	s_and_saveexec_b64 s[0:1], vcc
	s_cbranch_execnz .LBB400_144
.LBB400_133:
	s_or_b64 exec, exec, s[0:1]
	v_cmp_gt_u32_e32 vcc, s2, v16
	s_and_saveexec_b64 s[0:1], vcc
	s_cbranch_execz .LBB400_135
.LBB400_134:
	s_waitcnt lgkmcnt(2)
	v_add_co_u32_e32 v6, vcc, 0x1000, v2
	s_nop 1
	v_addc_co_u32_e32 v7, vcc, 0, v3, vcc
	s_waitcnt lgkmcnt(1)
	global_store_dwordx2 v[6:7], v[4:5], off offset:2048
.LBB400_135:
	s_or_b64 exec, exec, s[0:1]
	v_cmp_gt_u32_e64 s[0:1], s2, v1
.LBB400_136:
	s_and_saveexec_b64 s[2:3], s[0:1]
	s_cbranch_execz .LBB400_138
; %bb.137:
	v_add_co_u32_e32 v0, vcc, 0x1000, v2
	s_nop 1
	v_addc_co_u32_e32 v1, vcc, 0, v3, vcc
	s_waitcnt lgkmcnt(0)
	global_store_dwordx2 v[0:1], v[18:19], off offset:3072
.LBB400_138:
	s_endpgm
.LBB400_139:
	ds_read_b64 v[24:25], v24
	s_waitcnt lgkmcnt(0)
	global_store_dwordx2 v[2:3], v[24:25], off
	s_or_b64 exec, exec, s[0:1]
	v_cmp_gt_u32_e32 vcc, s2, v23
	s_and_saveexec_b64 s[0:1], vcc
	s_cbranch_execz .LBB400_129
.LBB400_140:
	s_waitcnt lgkmcnt(6)
	global_store_dwordx2 v[2:3], v[14:15], off offset:1024
	s_or_b64 exec, exec, s[0:1]
	v_cmp_gt_u32_e32 vcc, s2, v22
	s_and_saveexec_b64 s[0:1], vcc
	s_cbranch_execz .LBB400_130
.LBB400_141:
	s_waitcnt lgkmcnt(5)
	global_store_dwordx2 v[2:3], v[12:13], off offset:2048
	s_or_b64 exec, exec, s[0:1]
	v_cmp_gt_u32_e32 vcc, s2, v21
	s_and_saveexec_b64 s[0:1], vcc
	s_cbranch_execz .LBB400_131
.LBB400_142:
	s_waitcnt lgkmcnt(4)
	global_store_dwordx2 v[2:3], v[10:11], off offset:3072
	s_or_b64 exec, exec, s[0:1]
	v_cmp_gt_u32_e32 vcc, s2, v20
	s_and_saveexec_b64 s[0:1], vcc
	s_cbranch_execz .LBB400_132
.LBB400_143:
	s_waitcnt lgkmcnt(4)
	v_add_co_u32_e32 v10, vcc, 0x1000, v2
	s_nop 1
	v_addc_co_u32_e32 v11, vcc, 0, v3, vcc
	s_waitcnt lgkmcnt(3)
	global_store_dwordx2 v[10:11], v[8:9], off
	s_or_b64 exec, exec, s[0:1]
	v_cmp_gt_u32_e32 vcc, s2, v17
	s_and_saveexec_b64 s[0:1], vcc
	s_cbranch_execz .LBB400_133
.LBB400_144:
	s_waitcnt lgkmcnt(3)
	v_add_co_u32_e32 v8, vcc, 0x1000, v2
	s_nop 1
	v_addc_co_u32_e32 v9, vcc, 0, v3, vcc
	s_waitcnt lgkmcnt(2)
	global_store_dwordx2 v[8:9], v[6:7], off offset:1024
	s_or_b64 exec, exec, s[0:1]
	v_cmp_gt_u32_e32 vcc, s2, v16
	s_and_saveexec_b64 s[0:1], vcc
	s_cbranch_execnz .LBB400_134
	s_branch .LBB400_135
	.section	.rodata,"a",@progbits
	.p2align	6, 0x0
	.amdhsa_kernel _ZN7rocprim17ROCPRIM_400000_NS6detail17trampoline_kernelINS0_14default_configENS1_38merge_sort_block_merge_config_selectorIlNS0_10empty_typeEEEZZNS1_27merge_sort_block_merge_implIS3_PlPS5_mZN2at6native12_GLOBAL__N_124unique_dim_cuda_templateIiEESt5tupleIJNSA_6TensorESF_SF_EERKSF_lbbbEUlllE_EE10hipError_tT0_T1_T2_jT3_P12ihipStream_tbPNSt15iterator_traitsISL_E10value_typeEPNSR_ISM_E10value_typeEPSN_NS1_7vsmem_tEENKUlT_SL_SM_SN_E_clIS8_S8_S9_S9_EESK_S10_SL_SM_SN_EUlS10_E0_NS1_11comp_targetILNS1_3genE0ELNS1_11target_archE4294967295ELNS1_3gpuE0ELNS1_3repE0EEENS1_38merge_mergepath_config_static_selectorELNS0_4arch9wavefront6targetE1EEEvSM_
		.amdhsa_group_segment_fixed_size 8448
		.amdhsa_private_segment_fixed_size 0
		.amdhsa_kernarg_size 344
		.amdhsa_user_sgpr_count 2
		.amdhsa_user_sgpr_dispatch_ptr 0
		.amdhsa_user_sgpr_queue_ptr 0
		.amdhsa_user_sgpr_kernarg_segment_ptr 1
		.amdhsa_user_sgpr_dispatch_id 0
		.amdhsa_user_sgpr_kernarg_preload_length 0
		.amdhsa_user_sgpr_kernarg_preload_offset 0
		.amdhsa_user_sgpr_private_segment_size 0
		.amdhsa_uses_dynamic_stack 0
		.amdhsa_enable_private_segment 0
		.amdhsa_system_sgpr_workgroup_id_x 1
		.amdhsa_system_sgpr_workgroup_id_y 1
		.amdhsa_system_sgpr_workgroup_id_z 1
		.amdhsa_system_sgpr_workgroup_info 0
		.amdhsa_system_vgpr_workitem_id 0
		.amdhsa_next_free_vgpr 38
		.amdhsa_next_free_sgpr 52
		.amdhsa_accum_offset 40
		.amdhsa_reserve_vcc 1
		.amdhsa_float_round_mode_32 0
		.amdhsa_float_round_mode_16_64 0
		.amdhsa_float_denorm_mode_32 3
		.amdhsa_float_denorm_mode_16_64 3
		.amdhsa_dx10_clamp 1
		.amdhsa_ieee_mode 1
		.amdhsa_fp16_overflow 0
		.amdhsa_tg_split 0
		.amdhsa_exception_fp_ieee_invalid_op 0
		.amdhsa_exception_fp_denorm_src 0
		.amdhsa_exception_fp_ieee_div_zero 0
		.amdhsa_exception_fp_ieee_overflow 0
		.amdhsa_exception_fp_ieee_underflow 0
		.amdhsa_exception_fp_ieee_inexact 0
		.amdhsa_exception_int_div_zero 0
	.end_amdhsa_kernel
	.section	.text._ZN7rocprim17ROCPRIM_400000_NS6detail17trampoline_kernelINS0_14default_configENS1_38merge_sort_block_merge_config_selectorIlNS0_10empty_typeEEEZZNS1_27merge_sort_block_merge_implIS3_PlPS5_mZN2at6native12_GLOBAL__N_124unique_dim_cuda_templateIiEESt5tupleIJNSA_6TensorESF_SF_EERKSF_lbbbEUlllE_EE10hipError_tT0_T1_T2_jT3_P12ihipStream_tbPNSt15iterator_traitsISL_E10value_typeEPNSR_ISM_E10value_typeEPSN_NS1_7vsmem_tEENKUlT_SL_SM_SN_E_clIS8_S8_S9_S9_EESK_S10_SL_SM_SN_EUlS10_E0_NS1_11comp_targetILNS1_3genE0ELNS1_11target_archE4294967295ELNS1_3gpuE0ELNS1_3repE0EEENS1_38merge_mergepath_config_static_selectorELNS0_4arch9wavefront6targetE1EEEvSM_,"axG",@progbits,_ZN7rocprim17ROCPRIM_400000_NS6detail17trampoline_kernelINS0_14default_configENS1_38merge_sort_block_merge_config_selectorIlNS0_10empty_typeEEEZZNS1_27merge_sort_block_merge_implIS3_PlPS5_mZN2at6native12_GLOBAL__N_124unique_dim_cuda_templateIiEESt5tupleIJNSA_6TensorESF_SF_EERKSF_lbbbEUlllE_EE10hipError_tT0_T1_T2_jT3_P12ihipStream_tbPNSt15iterator_traitsISL_E10value_typeEPNSR_ISM_E10value_typeEPSN_NS1_7vsmem_tEENKUlT_SL_SM_SN_E_clIS8_S8_S9_S9_EESK_S10_SL_SM_SN_EUlS10_E0_NS1_11comp_targetILNS1_3genE0ELNS1_11target_archE4294967295ELNS1_3gpuE0ELNS1_3repE0EEENS1_38merge_mergepath_config_static_selectorELNS0_4arch9wavefront6targetE1EEEvSM_,comdat
.Lfunc_end400:
	.size	_ZN7rocprim17ROCPRIM_400000_NS6detail17trampoline_kernelINS0_14default_configENS1_38merge_sort_block_merge_config_selectorIlNS0_10empty_typeEEEZZNS1_27merge_sort_block_merge_implIS3_PlPS5_mZN2at6native12_GLOBAL__N_124unique_dim_cuda_templateIiEESt5tupleIJNSA_6TensorESF_SF_EERKSF_lbbbEUlllE_EE10hipError_tT0_T1_T2_jT3_P12ihipStream_tbPNSt15iterator_traitsISL_E10value_typeEPNSR_ISM_E10value_typeEPSN_NS1_7vsmem_tEENKUlT_SL_SM_SN_E_clIS8_S8_S9_S9_EESK_S10_SL_SM_SN_EUlS10_E0_NS1_11comp_targetILNS1_3genE0ELNS1_11target_archE4294967295ELNS1_3gpuE0ELNS1_3repE0EEENS1_38merge_mergepath_config_static_selectorELNS0_4arch9wavefront6targetE1EEEvSM_, .Lfunc_end400-_ZN7rocprim17ROCPRIM_400000_NS6detail17trampoline_kernelINS0_14default_configENS1_38merge_sort_block_merge_config_selectorIlNS0_10empty_typeEEEZZNS1_27merge_sort_block_merge_implIS3_PlPS5_mZN2at6native12_GLOBAL__N_124unique_dim_cuda_templateIiEESt5tupleIJNSA_6TensorESF_SF_EERKSF_lbbbEUlllE_EE10hipError_tT0_T1_T2_jT3_P12ihipStream_tbPNSt15iterator_traitsISL_E10value_typeEPNSR_ISM_E10value_typeEPSN_NS1_7vsmem_tEENKUlT_SL_SM_SN_E_clIS8_S8_S9_S9_EESK_S10_SL_SM_SN_EUlS10_E0_NS1_11comp_targetILNS1_3genE0ELNS1_11target_archE4294967295ELNS1_3gpuE0ELNS1_3repE0EEENS1_38merge_mergepath_config_static_selectorELNS0_4arch9wavefront6targetE1EEEvSM_
                                        ; -- End function
	.set _ZN7rocprim17ROCPRIM_400000_NS6detail17trampoline_kernelINS0_14default_configENS1_38merge_sort_block_merge_config_selectorIlNS0_10empty_typeEEEZZNS1_27merge_sort_block_merge_implIS3_PlPS5_mZN2at6native12_GLOBAL__N_124unique_dim_cuda_templateIiEESt5tupleIJNSA_6TensorESF_SF_EERKSF_lbbbEUlllE_EE10hipError_tT0_T1_T2_jT3_P12ihipStream_tbPNSt15iterator_traitsISL_E10value_typeEPNSR_ISM_E10value_typeEPSN_NS1_7vsmem_tEENKUlT_SL_SM_SN_E_clIS8_S8_S9_S9_EESK_S10_SL_SM_SN_EUlS10_E0_NS1_11comp_targetILNS1_3genE0ELNS1_11target_archE4294967295ELNS1_3gpuE0ELNS1_3repE0EEENS1_38merge_mergepath_config_static_selectorELNS0_4arch9wavefront6targetE1EEEvSM_.num_vgpr, 38
	.set _ZN7rocprim17ROCPRIM_400000_NS6detail17trampoline_kernelINS0_14default_configENS1_38merge_sort_block_merge_config_selectorIlNS0_10empty_typeEEEZZNS1_27merge_sort_block_merge_implIS3_PlPS5_mZN2at6native12_GLOBAL__N_124unique_dim_cuda_templateIiEESt5tupleIJNSA_6TensorESF_SF_EERKSF_lbbbEUlllE_EE10hipError_tT0_T1_T2_jT3_P12ihipStream_tbPNSt15iterator_traitsISL_E10value_typeEPNSR_ISM_E10value_typeEPSN_NS1_7vsmem_tEENKUlT_SL_SM_SN_E_clIS8_S8_S9_S9_EESK_S10_SL_SM_SN_EUlS10_E0_NS1_11comp_targetILNS1_3genE0ELNS1_11target_archE4294967295ELNS1_3gpuE0ELNS1_3repE0EEENS1_38merge_mergepath_config_static_selectorELNS0_4arch9wavefront6targetE1EEEvSM_.num_agpr, 0
	.set _ZN7rocprim17ROCPRIM_400000_NS6detail17trampoline_kernelINS0_14default_configENS1_38merge_sort_block_merge_config_selectorIlNS0_10empty_typeEEEZZNS1_27merge_sort_block_merge_implIS3_PlPS5_mZN2at6native12_GLOBAL__N_124unique_dim_cuda_templateIiEESt5tupleIJNSA_6TensorESF_SF_EERKSF_lbbbEUlllE_EE10hipError_tT0_T1_T2_jT3_P12ihipStream_tbPNSt15iterator_traitsISL_E10value_typeEPNSR_ISM_E10value_typeEPSN_NS1_7vsmem_tEENKUlT_SL_SM_SN_E_clIS8_S8_S9_S9_EESK_S10_SL_SM_SN_EUlS10_E0_NS1_11comp_targetILNS1_3genE0ELNS1_11target_archE4294967295ELNS1_3gpuE0ELNS1_3repE0EEENS1_38merge_mergepath_config_static_selectorELNS0_4arch9wavefront6targetE1EEEvSM_.numbered_sgpr, 52
	.set _ZN7rocprim17ROCPRIM_400000_NS6detail17trampoline_kernelINS0_14default_configENS1_38merge_sort_block_merge_config_selectorIlNS0_10empty_typeEEEZZNS1_27merge_sort_block_merge_implIS3_PlPS5_mZN2at6native12_GLOBAL__N_124unique_dim_cuda_templateIiEESt5tupleIJNSA_6TensorESF_SF_EERKSF_lbbbEUlllE_EE10hipError_tT0_T1_T2_jT3_P12ihipStream_tbPNSt15iterator_traitsISL_E10value_typeEPNSR_ISM_E10value_typeEPSN_NS1_7vsmem_tEENKUlT_SL_SM_SN_E_clIS8_S8_S9_S9_EESK_S10_SL_SM_SN_EUlS10_E0_NS1_11comp_targetILNS1_3genE0ELNS1_11target_archE4294967295ELNS1_3gpuE0ELNS1_3repE0EEENS1_38merge_mergepath_config_static_selectorELNS0_4arch9wavefront6targetE1EEEvSM_.num_named_barrier, 0
	.set _ZN7rocprim17ROCPRIM_400000_NS6detail17trampoline_kernelINS0_14default_configENS1_38merge_sort_block_merge_config_selectorIlNS0_10empty_typeEEEZZNS1_27merge_sort_block_merge_implIS3_PlPS5_mZN2at6native12_GLOBAL__N_124unique_dim_cuda_templateIiEESt5tupleIJNSA_6TensorESF_SF_EERKSF_lbbbEUlllE_EE10hipError_tT0_T1_T2_jT3_P12ihipStream_tbPNSt15iterator_traitsISL_E10value_typeEPNSR_ISM_E10value_typeEPSN_NS1_7vsmem_tEENKUlT_SL_SM_SN_E_clIS8_S8_S9_S9_EESK_S10_SL_SM_SN_EUlS10_E0_NS1_11comp_targetILNS1_3genE0ELNS1_11target_archE4294967295ELNS1_3gpuE0ELNS1_3repE0EEENS1_38merge_mergepath_config_static_selectorELNS0_4arch9wavefront6targetE1EEEvSM_.private_seg_size, 0
	.set _ZN7rocprim17ROCPRIM_400000_NS6detail17trampoline_kernelINS0_14default_configENS1_38merge_sort_block_merge_config_selectorIlNS0_10empty_typeEEEZZNS1_27merge_sort_block_merge_implIS3_PlPS5_mZN2at6native12_GLOBAL__N_124unique_dim_cuda_templateIiEESt5tupleIJNSA_6TensorESF_SF_EERKSF_lbbbEUlllE_EE10hipError_tT0_T1_T2_jT3_P12ihipStream_tbPNSt15iterator_traitsISL_E10value_typeEPNSR_ISM_E10value_typeEPSN_NS1_7vsmem_tEENKUlT_SL_SM_SN_E_clIS8_S8_S9_S9_EESK_S10_SL_SM_SN_EUlS10_E0_NS1_11comp_targetILNS1_3genE0ELNS1_11target_archE4294967295ELNS1_3gpuE0ELNS1_3repE0EEENS1_38merge_mergepath_config_static_selectorELNS0_4arch9wavefront6targetE1EEEvSM_.uses_vcc, 1
	.set _ZN7rocprim17ROCPRIM_400000_NS6detail17trampoline_kernelINS0_14default_configENS1_38merge_sort_block_merge_config_selectorIlNS0_10empty_typeEEEZZNS1_27merge_sort_block_merge_implIS3_PlPS5_mZN2at6native12_GLOBAL__N_124unique_dim_cuda_templateIiEESt5tupleIJNSA_6TensorESF_SF_EERKSF_lbbbEUlllE_EE10hipError_tT0_T1_T2_jT3_P12ihipStream_tbPNSt15iterator_traitsISL_E10value_typeEPNSR_ISM_E10value_typeEPSN_NS1_7vsmem_tEENKUlT_SL_SM_SN_E_clIS8_S8_S9_S9_EESK_S10_SL_SM_SN_EUlS10_E0_NS1_11comp_targetILNS1_3genE0ELNS1_11target_archE4294967295ELNS1_3gpuE0ELNS1_3repE0EEENS1_38merge_mergepath_config_static_selectorELNS0_4arch9wavefront6targetE1EEEvSM_.uses_flat_scratch, 0
	.set _ZN7rocprim17ROCPRIM_400000_NS6detail17trampoline_kernelINS0_14default_configENS1_38merge_sort_block_merge_config_selectorIlNS0_10empty_typeEEEZZNS1_27merge_sort_block_merge_implIS3_PlPS5_mZN2at6native12_GLOBAL__N_124unique_dim_cuda_templateIiEESt5tupleIJNSA_6TensorESF_SF_EERKSF_lbbbEUlllE_EE10hipError_tT0_T1_T2_jT3_P12ihipStream_tbPNSt15iterator_traitsISL_E10value_typeEPNSR_ISM_E10value_typeEPSN_NS1_7vsmem_tEENKUlT_SL_SM_SN_E_clIS8_S8_S9_S9_EESK_S10_SL_SM_SN_EUlS10_E0_NS1_11comp_targetILNS1_3genE0ELNS1_11target_archE4294967295ELNS1_3gpuE0ELNS1_3repE0EEENS1_38merge_mergepath_config_static_selectorELNS0_4arch9wavefront6targetE1EEEvSM_.has_dyn_sized_stack, 0
	.set _ZN7rocprim17ROCPRIM_400000_NS6detail17trampoline_kernelINS0_14default_configENS1_38merge_sort_block_merge_config_selectorIlNS0_10empty_typeEEEZZNS1_27merge_sort_block_merge_implIS3_PlPS5_mZN2at6native12_GLOBAL__N_124unique_dim_cuda_templateIiEESt5tupleIJNSA_6TensorESF_SF_EERKSF_lbbbEUlllE_EE10hipError_tT0_T1_T2_jT3_P12ihipStream_tbPNSt15iterator_traitsISL_E10value_typeEPNSR_ISM_E10value_typeEPSN_NS1_7vsmem_tEENKUlT_SL_SM_SN_E_clIS8_S8_S9_S9_EESK_S10_SL_SM_SN_EUlS10_E0_NS1_11comp_targetILNS1_3genE0ELNS1_11target_archE4294967295ELNS1_3gpuE0ELNS1_3repE0EEENS1_38merge_mergepath_config_static_selectorELNS0_4arch9wavefront6targetE1EEEvSM_.has_recursion, 0
	.set _ZN7rocprim17ROCPRIM_400000_NS6detail17trampoline_kernelINS0_14default_configENS1_38merge_sort_block_merge_config_selectorIlNS0_10empty_typeEEEZZNS1_27merge_sort_block_merge_implIS3_PlPS5_mZN2at6native12_GLOBAL__N_124unique_dim_cuda_templateIiEESt5tupleIJNSA_6TensorESF_SF_EERKSF_lbbbEUlllE_EE10hipError_tT0_T1_T2_jT3_P12ihipStream_tbPNSt15iterator_traitsISL_E10value_typeEPNSR_ISM_E10value_typeEPSN_NS1_7vsmem_tEENKUlT_SL_SM_SN_E_clIS8_S8_S9_S9_EESK_S10_SL_SM_SN_EUlS10_E0_NS1_11comp_targetILNS1_3genE0ELNS1_11target_archE4294967295ELNS1_3gpuE0ELNS1_3repE0EEENS1_38merge_mergepath_config_static_selectorELNS0_4arch9wavefront6targetE1EEEvSM_.has_indirect_call, 0
	.section	.AMDGPU.csdata,"",@progbits
; Kernel info:
; codeLenInByte = 6496
; TotalNumSgprs: 58
; NumVgprs: 38
; NumAgprs: 0
; TotalNumVgprs: 38
; ScratchSize: 0
; MemoryBound: 0
; FloatMode: 240
; IeeeMode: 1
; LDSByteSize: 8448 bytes/workgroup (compile time only)
; SGPRBlocks: 7
; VGPRBlocks: 4
; NumSGPRsForWavesPerEU: 58
; NumVGPRsForWavesPerEU: 38
; AccumOffset: 40
; Occupancy: 8
; WaveLimiterHint : 1
; COMPUTE_PGM_RSRC2:SCRATCH_EN: 0
; COMPUTE_PGM_RSRC2:USER_SGPR: 2
; COMPUTE_PGM_RSRC2:TRAP_HANDLER: 0
; COMPUTE_PGM_RSRC2:TGID_X_EN: 1
; COMPUTE_PGM_RSRC2:TGID_Y_EN: 1
; COMPUTE_PGM_RSRC2:TGID_Z_EN: 1
; COMPUTE_PGM_RSRC2:TIDIG_COMP_CNT: 0
; COMPUTE_PGM_RSRC3_GFX90A:ACCUM_OFFSET: 9
; COMPUTE_PGM_RSRC3_GFX90A:TG_SPLIT: 0
	.section	.text._ZN7rocprim17ROCPRIM_400000_NS6detail17trampoline_kernelINS0_14default_configENS1_38merge_sort_block_merge_config_selectorIlNS0_10empty_typeEEEZZNS1_27merge_sort_block_merge_implIS3_PlPS5_mZN2at6native12_GLOBAL__N_124unique_dim_cuda_templateIiEESt5tupleIJNSA_6TensorESF_SF_EERKSF_lbbbEUlllE_EE10hipError_tT0_T1_T2_jT3_P12ihipStream_tbPNSt15iterator_traitsISL_E10value_typeEPNSR_ISM_E10value_typeEPSN_NS1_7vsmem_tEENKUlT_SL_SM_SN_E_clIS8_S8_S9_S9_EESK_S10_SL_SM_SN_EUlS10_E0_NS1_11comp_targetILNS1_3genE10ELNS1_11target_archE1201ELNS1_3gpuE5ELNS1_3repE0EEENS1_38merge_mergepath_config_static_selectorELNS0_4arch9wavefront6targetE1EEEvSM_,"axG",@progbits,_ZN7rocprim17ROCPRIM_400000_NS6detail17trampoline_kernelINS0_14default_configENS1_38merge_sort_block_merge_config_selectorIlNS0_10empty_typeEEEZZNS1_27merge_sort_block_merge_implIS3_PlPS5_mZN2at6native12_GLOBAL__N_124unique_dim_cuda_templateIiEESt5tupleIJNSA_6TensorESF_SF_EERKSF_lbbbEUlllE_EE10hipError_tT0_T1_T2_jT3_P12ihipStream_tbPNSt15iterator_traitsISL_E10value_typeEPNSR_ISM_E10value_typeEPSN_NS1_7vsmem_tEENKUlT_SL_SM_SN_E_clIS8_S8_S9_S9_EESK_S10_SL_SM_SN_EUlS10_E0_NS1_11comp_targetILNS1_3genE10ELNS1_11target_archE1201ELNS1_3gpuE5ELNS1_3repE0EEENS1_38merge_mergepath_config_static_selectorELNS0_4arch9wavefront6targetE1EEEvSM_,comdat
	.globl	_ZN7rocprim17ROCPRIM_400000_NS6detail17trampoline_kernelINS0_14default_configENS1_38merge_sort_block_merge_config_selectorIlNS0_10empty_typeEEEZZNS1_27merge_sort_block_merge_implIS3_PlPS5_mZN2at6native12_GLOBAL__N_124unique_dim_cuda_templateIiEESt5tupleIJNSA_6TensorESF_SF_EERKSF_lbbbEUlllE_EE10hipError_tT0_T1_T2_jT3_P12ihipStream_tbPNSt15iterator_traitsISL_E10value_typeEPNSR_ISM_E10value_typeEPSN_NS1_7vsmem_tEENKUlT_SL_SM_SN_E_clIS8_S8_S9_S9_EESK_S10_SL_SM_SN_EUlS10_E0_NS1_11comp_targetILNS1_3genE10ELNS1_11target_archE1201ELNS1_3gpuE5ELNS1_3repE0EEENS1_38merge_mergepath_config_static_selectorELNS0_4arch9wavefront6targetE1EEEvSM_ ; -- Begin function _ZN7rocprim17ROCPRIM_400000_NS6detail17trampoline_kernelINS0_14default_configENS1_38merge_sort_block_merge_config_selectorIlNS0_10empty_typeEEEZZNS1_27merge_sort_block_merge_implIS3_PlPS5_mZN2at6native12_GLOBAL__N_124unique_dim_cuda_templateIiEESt5tupleIJNSA_6TensorESF_SF_EERKSF_lbbbEUlllE_EE10hipError_tT0_T1_T2_jT3_P12ihipStream_tbPNSt15iterator_traitsISL_E10value_typeEPNSR_ISM_E10value_typeEPSN_NS1_7vsmem_tEENKUlT_SL_SM_SN_E_clIS8_S8_S9_S9_EESK_S10_SL_SM_SN_EUlS10_E0_NS1_11comp_targetILNS1_3genE10ELNS1_11target_archE1201ELNS1_3gpuE5ELNS1_3repE0EEENS1_38merge_mergepath_config_static_selectorELNS0_4arch9wavefront6targetE1EEEvSM_
	.p2align	8
	.type	_ZN7rocprim17ROCPRIM_400000_NS6detail17trampoline_kernelINS0_14default_configENS1_38merge_sort_block_merge_config_selectorIlNS0_10empty_typeEEEZZNS1_27merge_sort_block_merge_implIS3_PlPS5_mZN2at6native12_GLOBAL__N_124unique_dim_cuda_templateIiEESt5tupleIJNSA_6TensorESF_SF_EERKSF_lbbbEUlllE_EE10hipError_tT0_T1_T2_jT3_P12ihipStream_tbPNSt15iterator_traitsISL_E10value_typeEPNSR_ISM_E10value_typeEPSN_NS1_7vsmem_tEENKUlT_SL_SM_SN_E_clIS8_S8_S9_S9_EESK_S10_SL_SM_SN_EUlS10_E0_NS1_11comp_targetILNS1_3genE10ELNS1_11target_archE1201ELNS1_3gpuE5ELNS1_3repE0EEENS1_38merge_mergepath_config_static_selectorELNS0_4arch9wavefront6targetE1EEEvSM_,@function
_ZN7rocprim17ROCPRIM_400000_NS6detail17trampoline_kernelINS0_14default_configENS1_38merge_sort_block_merge_config_selectorIlNS0_10empty_typeEEEZZNS1_27merge_sort_block_merge_implIS3_PlPS5_mZN2at6native12_GLOBAL__N_124unique_dim_cuda_templateIiEESt5tupleIJNSA_6TensorESF_SF_EERKSF_lbbbEUlllE_EE10hipError_tT0_T1_T2_jT3_P12ihipStream_tbPNSt15iterator_traitsISL_E10value_typeEPNSR_ISM_E10value_typeEPSN_NS1_7vsmem_tEENKUlT_SL_SM_SN_E_clIS8_S8_S9_S9_EESK_S10_SL_SM_SN_EUlS10_E0_NS1_11comp_targetILNS1_3genE10ELNS1_11target_archE1201ELNS1_3gpuE5ELNS1_3repE0EEENS1_38merge_mergepath_config_static_selectorELNS0_4arch9wavefront6targetE1EEEvSM_: ; @_ZN7rocprim17ROCPRIM_400000_NS6detail17trampoline_kernelINS0_14default_configENS1_38merge_sort_block_merge_config_selectorIlNS0_10empty_typeEEEZZNS1_27merge_sort_block_merge_implIS3_PlPS5_mZN2at6native12_GLOBAL__N_124unique_dim_cuda_templateIiEESt5tupleIJNSA_6TensorESF_SF_EERKSF_lbbbEUlllE_EE10hipError_tT0_T1_T2_jT3_P12ihipStream_tbPNSt15iterator_traitsISL_E10value_typeEPNSR_ISM_E10value_typeEPSN_NS1_7vsmem_tEENKUlT_SL_SM_SN_E_clIS8_S8_S9_S9_EESK_S10_SL_SM_SN_EUlS10_E0_NS1_11comp_targetILNS1_3genE10ELNS1_11target_archE1201ELNS1_3gpuE5ELNS1_3repE0EEENS1_38merge_mergepath_config_static_selectorELNS0_4arch9wavefront6targetE1EEEvSM_
; %bb.0:
	.section	.rodata,"a",@progbits
	.p2align	6, 0x0
	.amdhsa_kernel _ZN7rocprim17ROCPRIM_400000_NS6detail17trampoline_kernelINS0_14default_configENS1_38merge_sort_block_merge_config_selectorIlNS0_10empty_typeEEEZZNS1_27merge_sort_block_merge_implIS3_PlPS5_mZN2at6native12_GLOBAL__N_124unique_dim_cuda_templateIiEESt5tupleIJNSA_6TensorESF_SF_EERKSF_lbbbEUlllE_EE10hipError_tT0_T1_T2_jT3_P12ihipStream_tbPNSt15iterator_traitsISL_E10value_typeEPNSR_ISM_E10value_typeEPSN_NS1_7vsmem_tEENKUlT_SL_SM_SN_E_clIS8_S8_S9_S9_EESK_S10_SL_SM_SN_EUlS10_E0_NS1_11comp_targetILNS1_3genE10ELNS1_11target_archE1201ELNS1_3gpuE5ELNS1_3repE0EEENS1_38merge_mergepath_config_static_selectorELNS0_4arch9wavefront6targetE1EEEvSM_
		.amdhsa_group_segment_fixed_size 0
		.amdhsa_private_segment_fixed_size 0
		.amdhsa_kernarg_size 88
		.amdhsa_user_sgpr_count 2
		.amdhsa_user_sgpr_dispatch_ptr 0
		.amdhsa_user_sgpr_queue_ptr 0
		.amdhsa_user_sgpr_kernarg_segment_ptr 1
		.amdhsa_user_sgpr_dispatch_id 0
		.amdhsa_user_sgpr_kernarg_preload_length 0
		.amdhsa_user_sgpr_kernarg_preload_offset 0
		.amdhsa_user_sgpr_private_segment_size 0
		.amdhsa_uses_dynamic_stack 0
		.amdhsa_enable_private_segment 0
		.amdhsa_system_sgpr_workgroup_id_x 1
		.amdhsa_system_sgpr_workgroup_id_y 0
		.amdhsa_system_sgpr_workgroup_id_z 0
		.amdhsa_system_sgpr_workgroup_info 0
		.amdhsa_system_vgpr_workitem_id 0
		.amdhsa_next_free_vgpr 1
		.amdhsa_next_free_sgpr 0
		.amdhsa_accum_offset 4
		.amdhsa_reserve_vcc 0
		.amdhsa_float_round_mode_32 0
		.amdhsa_float_round_mode_16_64 0
		.amdhsa_float_denorm_mode_32 3
		.amdhsa_float_denorm_mode_16_64 3
		.amdhsa_dx10_clamp 1
		.amdhsa_ieee_mode 1
		.amdhsa_fp16_overflow 0
		.amdhsa_tg_split 0
		.amdhsa_exception_fp_ieee_invalid_op 0
		.amdhsa_exception_fp_denorm_src 0
		.amdhsa_exception_fp_ieee_div_zero 0
		.amdhsa_exception_fp_ieee_overflow 0
		.amdhsa_exception_fp_ieee_underflow 0
		.amdhsa_exception_fp_ieee_inexact 0
		.amdhsa_exception_int_div_zero 0
	.end_amdhsa_kernel
	.section	.text._ZN7rocprim17ROCPRIM_400000_NS6detail17trampoline_kernelINS0_14default_configENS1_38merge_sort_block_merge_config_selectorIlNS0_10empty_typeEEEZZNS1_27merge_sort_block_merge_implIS3_PlPS5_mZN2at6native12_GLOBAL__N_124unique_dim_cuda_templateIiEESt5tupleIJNSA_6TensorESF_SF_EERKSF_lbbbEUlllE_EE10hipError_tT0_T1_T2_jT3_P12ihipStream_tbPNSt15iterator_traitsISL_E10value_typeEPNSR_ISM_E10value_typeEPSN_NS1_7vsmem_tEENKUlT_SL_SM_SN_E_clIS8_S8_S9_S9_EESK_S10_SL_SM_SN_EUlS10_E0_NS1_11comp_targetILNS1_3genE10ELNS1_11target_archE1201ELNS1_3gpuE5ELNS1_3repE0EEENS1_38merge_mergepath_config_static_selectorELNS0_4arch9wavefront6targetE1EEEvSM_,"axG",@progbits,_ZN7rocprim17ROCPRIM_400000_NS6detail17trampoline_kernelINS0_14default_configENS1_38merge_sort_block_merge_config_selectorIlNS0_10empty_typeEEEZZNS1_27merge_sort_block_merge_implIS3_PlPS5_mZN2at6native12_GLOBAL__N_124unique_dim_cuda_templateIiEESt5tupleIJNSA_6TensorESF_SF_EERKSF_lbbbEUlllE_EE10hipError_tT0_T1_T2_jT3_P12ihipStream_tbPNSt15iterator_traitsISL_E10value_typeEPNSR_ISM_E10value_typeEPSN_NS1_7vsmem_tEENKUlT_SL_SM_SN_E_clIS8_S8_S9_S9_EESK_S10_SL_SM_SN_EUlS10_E0_NS1_11comp_targetILNS1_3genE10ELNS1_11target_archE1201ELNS1_3gpuE5ELNS1_3repE0EEENS1_38merge_mergepath_config_static_selectorELNS0_4arch9wavefront6targetE1EEEvSM_,comdat
.Lfunc_end401:
	.size	_ZN7rocprim17ROCPRIM_400000_NS6detail17trampoline_kernelINS0_14default_configENS1_38merge_sort_block_merge_config_selectorIlNS0_10empty_typeEEEZZNS1_27merge_sort_block_merge_implIS3_PlPS5_mZN2at6native12_GLOBAL__N_124unique_dim_cuda_templateIiEESt5tupleIJNSA_6TensorESF_SF_EERKSF_lbbbEUlllE_EE10hipError_tT0_T1_T2_jT3_P12ihipStream_tbPNSt15iterator_traitsISL_E10value_typeEPNSR_ISM_E10value_typeEPSN_NS1_7vsmem_tEENKUlT_SL_SM_SN_E_clIS8_S8_S9_S9_EESK_S10_SL_SM_SN_EUlS10_E0_NS1_11comp_targetILNS1_3genE10ELNS1_11target_archE1201ELNS1_3gpuE5ELNS1_3repE0EEENS1_38merge_mergepath_config_static_selectorELNS0_4arch9wavefront6targetE1EEEvSM_, .Lfunc_end401-_ZN7rocprim17ROCPRIM_400000_NS6detail17trampoline_kernelINS0_14default_configENS1_38merge_sort_block_merge_config_selectorIlNS0_10empty_typeEEEZZNS1_27merge_sort_block_merge_implIS3_PlPS5_mZN2at6native12_GLOBAL__N_124unique_dim_cuda_templateIiEESt5tupleIJNSA_6TensorESF_SF_EERKSF_lbbbEUlllE_EE10hipError_tT0_T1_T2_jT3_P12ihipStream_tbPNSt15iterator_traitsISL_E10value_typeEPNSR_ISM_E10value_typeEPSN_NS1_7vsmem_tEENKUlT_SL_SM_SN_E_clIS8_S8_S9_S9_EESK_S10_SL_SM_SN_EUlS10_E0_NS1_11comp_targetILNS1_3genE10ELNS1_11target_archE1201ELNS1_3gpuE5ELNS1_3repE0EEENS1_38merge_mergepath_config_static_selectorELNS0_4arch9wavefront6targetE1EEEvSM_
                                        ; -- End function
	.set _ZN7rocprim17ROCPRIM_400000_NS6detail17trampoline_kernelINS0_14default_configENS1_38merge_sort_block_merge_config_selectorIlNS0_10empty_typeEEEZZNS1_27merge_sort_block_merge_implIS3_PlPS5_mZN2at6native12_GLOBAL__N_124unique_dim_cuda_templateIiEESt5tupleIJNSA_6TensorESF_SF_EERKSF_lbbbEUlllE_EE10hipError_tT0_T1_T2_jT3_P12ihipStream_tbPNSt15iterator_traitsISL_E10value_typeEPNSR_ISM_E10value_typeEPSN_NS1_7vsmem_tEENKUlT_SL_SM_SN_E_clIS8_S8_S9_S9_EESK_S10_SL_SM_SN_EUlS10_E0_NS1_11comp_targetILNS1_3genE10ELNS1_11target_archE1201ELNS1_3gpuE5ELNS1_3repE0EEENS1_38merge_mergepath_config_static_selectorELNS0_4arch9wavefront6targetE1EEEvSM_.num_vgpr, 0
	.set _ZN7rocprim17ROCPRIM_400000_NS6detail17trampoline_kernelINS0_14default_configENS1_38merge_sort_block_merge_config_selectorIlNS0_10empty_typeEEEZZNS1_27merge_sort_block_merge_implIS3_PlPS5_mZN2at6native12_GLOBAL__N_124unique_dim_cuda_templateIiEESt5tupleIJNSA_6TensorESF_SF_EERKSF_lbbbEUlllE_EE10hipError_tT0_T1_T2_jT3_P12ihipStream_tbPNSt15iterator_traitsISL_E10value_typeEPNSR_ISM_E10value_typeEPSN_NS1_7vsmem_tEENKUlT_SL_SM_SN_E_clIS8_S8_S9_S9_EESK_S10_SL_SM_SN_EUlS10_E0_NS1_11comp_targetILNS1_3genE10ELNS1_11target_archE1201ELNS1_3gpuE5ELNS1_3repE0EEENS1_38merge_mergepath_config_static_selectorELNS0_4arch9wavefront6targetE1EEEvSM_.num_agpr, 0
	.set _ZN7rocprim17ROCPRIM_400000_NS6detail17trampoline_kernelINS0_14default_configENS1_38merge_sort_block_merge_config_selectorIlNS0_10empty_typeEEEZZNS1_27merge_sort_block_merge_implIS3_PlPS5_mZN2at6native12_GLOBAL__N_124unique_dim_cuda_templateIiEESt5tupleIJNSA_6TensorESF_SF_EERKSF_lbbbEUlllE_EE10hipError_tT0_T1_T2_jT3_P12ihipStream_tbPNSt15iterator_traitsISL_E10value_typeEPNSR_ISM_E10value_typeEPSN_NS1_7vsmem_tEENKUlT_SL_SM_SN_E_clIS8_S8_S9_S9_EESK_S10_SL_SM_SN_EUlS10_E0_NS1_11comp_targetILNS1_3genE10ELNS1_11target_archE1201ELNS1_3gpuE5ELNS1_3repE0EEENS1_38merge_mergepath_config_static_selectorELNS0_4arch9wavefront6targetE1EEEvSM_.numbered_sgpr, 0
	.set _ZN7rocprim17ROCPRIM_400000_NS6detail17trampoline_kernelINS0_14default_configENS1_38merge_sort_block_merge_config_selectorIlNS0_10empty_typeEEEZZNS1_27merge_sort_block_merge_implIS3_PlPS5_mZN2at6native12_GLOBAL__N_124unique_dim_cuda_templateIiEESt5tupleIJNSA_6TensorESF_SF_EERKSF_lbbbEUlllE_EE10hipError_tT0_T1_T2_jT3_P12ihipStream_tbPNSt15iterator_traitsISL_E10value_typeEPNSR_ISM_E10value_typeEPSN_NS1_7vsmem_tEENKUlT_SL_SM_SN_E_clIS8_S8_S9_S9_EESK_S10_SL_SM_SN_EUlS10_E0_NS1_11comp_targetILNS1_3genE10ELNS1_11target_archE1201ELNS1_3gpuE5ELNS1_3repE0EEENS1_38merge_mergepath_config_static_selectorELNS0_4arch9wavefront6targetE1EEEvSM_.num_named_barrier, 0
	.set _ZN7rocprim17ROCPRIM_400000_NS6detail17trampoline_kernelINS0_14default_configENS1_38merge_sort_block_merge_config_selectorIlNS0_10empty_typeEEEZZNS1_27merge_sort_block_merge_implIS3_PlPS5_mZN2at6native12_GLOBAL__N_124unique_dim_cuda_templateIiEESt5tupleIJNSA_6TensorESF_SF_EERKSF_lbbbEUlllE_EE10hipError_tT0_T1_T2_jT3_P12ihipStream_tbPNSt15iterator_traitsISL_E10value_typeEPNSR_ISM_E10value_typeEPSN_NS1_7vsmem_tEENKUlT_SL_SM_SN_E_clIS8_S8_S9_S9_EESK_S10_SL_SM_SN_EUlS10_E0_NS1_11comp_targetILNS1_3genE10ELNS1_11target_archE1201ELNS1_3gpuE5ELNS1_3repE0EEENS1_38merge_mergepath_config_static_selectorELNS0_4arch9wavefront6targetE1EEEvSM_.private_seg_size, 0
	.set _ZN7rocprim17ROCPRIM_400000_NS6detail17trampoline_kernelINS0_14default_configENS1_38merge_sort_block_merge_config_selectorIlNS0_10empty_typeEEEZZNS1_27merge_sort_block_merge_implIS3_PlPS5_mZN2at6native12_GLOBAL__N_124unique_dim_cuda_templateIiEESt5tupleIJNSA_6TensorESF_SF_EERKSF_lbbbEUlllE_EE10hipError_tT0_T1_T2_jT3_P12ihipStream_tbPNSt15iterator_traitsISL_E10value_typeEPNSR_ISM_E10value_typeEPSN_NS1_7vsmem_tEENKUlT_SL_SM_SN_E_clIS8_S8_S9_S9_EESK_S10_SL_SM_SN_EUlS10_E0_NS1_11comp_targetILNS1_3genE10ELNS1_11target_archE1201ELNS1_3gpuE5ELNS1_3repE0EEENS1_38merge_mergepath_config_static_selectorELNS0_4arch9wavefront6targetE1EEEvSM_.uses_vcc, 0
	.set _ZN7rocprim17ROCPRIM_400000_NS6detail17trampoline_kernelINS0_14default_configENS1_38merge_sort_block_merge_config_selectorIlNS0_10empty_typeEEEZZNS1_27merge_sort_block_merge_implIS3_PlPS5_mZN2at6native12_GLOBAL__N_124unique_dim_cuda_templateIiEESt5tupleIJNSA_6TensorESF_SF_EERKSF_lbbbEUlllE_EE10hipError_tT0_T1_T2_jT3_P12ihipStream_tbPNSt15iterator_traitsISL_E10value_typeEPNSR_ISM_E10value_typeEPSN_NS1_7vsmem_tEENKUlT_SL_SM_SN_E_clIS8_S8_S9_S9_EESK_S10_SL_SM_SN_EUlS10_E0_NS1_11comp_targetILNS1_3genE10ELNS1_11target_archE1201ELNS1_3gpuE5ELNS1_3repE0EEENS1_38merge_mergepath_config_static_selectorELNS0_4arch9wavefront6targetE1EEEvSM_.uses_flat_scratch, 0
	.set _ZN7rocprim17ROCPRIM_400000_NS6detail17trampoline_kernelINS0_14default_configENS1_38merge_sort_block_merge_config_selectorIlNS0_10empty_typeEEEZZNS1_27merge_sort_block_merge_implIS3_PlPS5_mZN2at6native12_GLOBAL__N_124unique_dim_cuda_templateIiEESt5tupleIJNSA_6TensorESF_SF_EERKSF_lbbbEUlllE_EE10hipError_tT0_T1_T2_jT3_P12ihipStream_tbPNSt15iterator_traitsISL_E10value_typeEPNSR_ISM_E10value_typeEPSN_NS1_7vsmem_tEENKUlT_SL_SM_SN_E_clIS8_S8_S9_S9_EESK_S10_SL_SM_SN_EUlS10_E0_NS1_11comp_targetILNS1_3genE10ELNS1_11target_archE1201ELNS1_3gpuE5ELNS1_3repE0EEENS1_38merge_mergepath_config_static_selectorELNS0_4arch9wavefront6targetE1EEEvSM_.has_dyn_sized_stack, 0
	.set _ZN7rocprim17ROCPRIM_400000_NS6detail17trampoline_kernelINS0_14default_configENS1_38merge_sort_block_merge_config_selectorIlNS0_10empty_typeEEEZZNS1_27merge_sort_block_merge_implIS3_PlPS5_mZN2at6native12_GLOBAL__N_124unique_dim_cuda_templateIiEESt5tupleIJNSA_6TensorESF_SF_EERKSF_lbbbEUlllE_EE10hipError_tT0_T1_T2_jT3_P12ihipStream_tbPNSt15iterator_traitsISL_E10value_typeEPNSR_ISM_E10value_typeEPSN_NS1_7vsmem_tEENKUlT_SL_SM_SN_E_clIS8_S8_S9_S9_EESK_S10_SL_SM_SN_EUlS10_E0_NS1_11comp_targetILNS1_3genE10ELNS1_11target_archE1201ELNS1_3gpuE5ELNS1_3repE0EEENS1_38merge_mergepath_config_static_selectorELNS0_4arch9wavefront6targetE1EEEvSM_.has_recursion, 0
	.set _ZN7rocprim17ROCPRIM_400000_NS6detail17trampoline_kernelINS0_14default_configENS1_38merge_sort_block_merge_config_selectorIlNS0_10empty_typeEEEZZNS1_27merge_sort_block_merge_implIS3_PlPS5_mZN2at6native12_GLOBAL__N_124unique_dim_cuda_templateIiEESt5tupleIJNSA_6TensorESF_SF_EERKSF_lbbbEUlllE_EE10hipError_tT0_T1_T2_jT3_P12ihipStream_tbPNSt15iterator_traitsISL_E10value_typeEPNSR_ISM_E10value_typeEPSN_NS1_7vsmem_tEENKUlT_SL_SM_SN_E_clIS8_S8_S9_S9_EESK_S10_SL_SM_SN_EUlS10_E0_NS1_11comp_targetILNS1_3genE10ELNS1_11target_archE1201ELNS1_3gpuE5ELNS1_3repE0EEENS1_38merge_mergepath_config_static_selectorELNS0_4arch9wavefront6targetE1EEEvSM_.has_indirect_call, 0
	.section	.AMDGPU.csdata,"",@progbits
; Kernel info:
; codeLenInByte = 0
; TotalNumSgprs: 6
; NumVgprs: 0
; NumAgprs: 0
; TotalNumVgprs: 0
; ScratchSize: 0
; MemoryBound: 0
; FloatMode: 240
; IeeeMode: 1
; LDSByteSize: 0 bytes/workgroup (compile time only)
; SGPRBlocks: 0
; VGPRBlocks: 0
; NumSGPRsForWavesPerEU: 6
; NumVGPRsForWavesPerEU: 1
; AccumOffset: 4
; Occupancy: 8
; WaveLimiterHint : 0
; COMPUTE_PGM_RSRC2:SCRATCH_EN: 0
; COMPUTE_PGM_RSRC2:USER_SGPR: 2
; COMPUTE_PGM_RSRC2:TRAP_HANDLER: 0
; COMPUTE_PGM_RSRC2:TGID_X_EN: 1
; COMPUTE_PGM_RSRC2:TGID_Y_EN: 0
; COMPUTE_PGM_RSRC2:TGID_Z_EN: 0
; COMPUTE_PGM_RSRC2:TIDIG_COMP_CNT: 0
; COMPUTE_PGM_RSRC3_GFX90A:ACCUM_OFFSET: 0
; COMPUTE_PGM_RSRC3_GFX90A:TG_SPLIT: 0
	.section	.text._ZN7rocprim17ROCPRIM_400000_NS6detail17trampoline_kernelINS0_14default_configENS1_38merge_sort_block_merge_config_selectorIlNS0_10empty_typeEEEZZNS1_27merge_sort_block_merge_implIS3_PlPS5_mZN2at6native12_GLOBAL__N_124unique_dim_cuda_templateIiEESt5tupleIJNSA_6TensorESF_SF_EERKSF_lbbbEUlllE_EE10hipError_tT0_T1_T2_jT3_P12ihipStream_tbPNSt15iterator_traitsISL_E10value_typeEPNSR_ISM_E10value_typeEPSN_NS1_7vsmem_tEENKUlT_SL_SM_SN_E_clIS8_S8_S9_S9_EESK_S10_SL_SM_SN_EUlS10_E0_NS1_11comp_targetILNS1_3genE5ELNS1_11target_archE942ELNS1_3gpuE9ELNS1_3repE0EEENS1_38merge_mergepath_config_static_selectorELNS0_4arch9wavefront6targetE1EEEvSM_,"axG",@progbits,_ZN7rocprim17ROCPRIM_400000_NS6detail17trampoline_kernelINS0_14default_configENS1_38merge_sort_block_merge_config_selectorIlNS0_10empty_typeEEEZZNS1_27merge_sort_block_merge_implIS3_PlPS5_mZN2at6native12_GLOBAL__N_124unique_dim_cuda_templateIiEESt5tupleIJNSA_6TensorESF_SF_EERKSF_lbbbEUlllE_EE10hipError_tT0_T1_T2_jT3_P12ihipStream_tbPNSt15iterator_traitsISL_E10value_typeEPNSR_ISM_E10value_typeEPSN_NS1_7vsmem_tEENKUlT_SL_SM_SN_E_clIS8_S8_S9_S9_EESK_S10_SL_SM_SN_EUlS10_E0_NS1_11comp_targetILNS1_3genE5ELNS1_11target_archE942ELNS1_3gpuE9ELNS1_3repE0EEENS1_38merge_mergepath_config_static_selectorELNS0_4arch9wavefront6targetE1EEEvSM_,comdat
	.globl	_ZN7rocprim17ROCPRIM_400000_NS6detail17trampoline_kernelINS0_14default_configENS1_38merge_sort_block_merge_config_selectorIlNS0_10empty_typeEEEZZNS1_27merge_sort_block_merge_implIS3_PlPS5_mZN2at6native12_GLOBAL__N_124unique_dim_cuda_templateIiEESt5tupleIJNSA_6TensorESF_SF_EERKSF_lbbbEUlllE_EE10hipError_tT0_T1_T2_jT3_P12ihipStream_tbPNSt15iterator_traitsISL_E10value_typeEPNSR_ISM_E10value_typeEPSN_NS1_7vsmem_tEENKUlT_SL_SM_SN_E_clIS8_S8_S9_S9_EESK_S10_SL_SM_SN_EUlS10_E0_NS1_11comp_targetILNS1_3genE5ELNS1_11target_archE942ELNS1_3gpuE9ELNS1_3repE0EEENS1_38merge_mergepath_config_static_selectorELNS0_4arch9wavefront6targetE1EEEvSM_ ; -- Begin function _ZN7rocprim17ROCPRIM_400000_NS6detail17trampoline_kernelINS0_14default_configENS1_38merge_sort_block_merge_config_selectorIlNS0_10empty_typeEEEZZNS1_27merge_sort_block_merge_implIS3_PlPS5_mZN2at6native12_GLOBAL__N_124unique_dim_cuda_templateIiEESt5tupleIJNSA_6TensorESF_SF_EERKSF_lbbbEUlllE_EE10hipError_tT0_T1_T2_jT3_P12ihipStream_tbPNSt15iterator_traitsISL_E10value_typeEPNSR_ISM_E10value_typeEPSN_NS1_7vsmem_tEENKUlT_SL_SM_SN_E_clIS8_S8_S9_S9_EESK_S10_SL_SM_SN_EUlS10_E0_NS1_11comp_targetILNS1_3genE5ELNS1_11target_archE942ELNS1_3gpuE9ELNS1_3repE0EEENS1_38merge_mergepath_config_static_selectorELNS0_4arch9wavefront6targetE1EEEvSM_
	.p2align	8
	.type	_ZN7rocprim17ROCPRIM_400000_NS6detail17trampoline_kernelINS0_14default_configENS1_38merge_sort_block_merge_config_selectorIlNS0_10empty_typeEEEZZNS1_27merge_sort_block_merge_implIS3_PlPS5_mZN2at6native12_GLOBAL__N_124unique_dim_cuda_templateIiEESt5tupleIJNSA_6TensorESF_SF_EERKSF_lbbbEUlllE_EE10hipError_tT0_T1_T2_jT3_P12ihipStream_tbPNSt15iterator_traitsISL_E10value_typeEPNSR_ISM_E10value_typeEPSN_NS1_7vsmem_tEENKUlT_SL_SM_SN_E_clIS8_S8_S9_S9_EESK_S10_SL_SM_SN_EUlS10_E0_NS1_11comp_targetILNS1_3genE5ELNS1_11target_archE942ELNS1_3gpuE9ELNS1_3repE0EEENS1_38merge_mergepath_config_static_selectorELNS0_4arch9wavefront6targetE1EEEvSM_,@function
_ZN7rocprim17ROCPRIM_400000_NS6detail17trampoline_kernelINS0_14default_configENS1_38merge_sort_block_merge_config_selectorIlNS0_10empty_typeEEEZZNS1_27merge_sort_block_merge_implIS3_PlPS5_mZN2at6native12_GLOBAL__N_124unique_dim_cuda_templateIiEESt5tupleIJNSA_6TensorESF_SF_EERKSF_lbbbEUlllE_EE10hipError_tT0_T1_T2_jT3_P12ihipStream_tbPNSt15iterator_traitsISL_E10value_typeEPNSR_ISM_E10value_typeEPSN_NS1_7vsmem_tEENKUlT_SL_SM_SN_E_clIS8_S8_S9_S9_EESK_S10_SL_SM_SN_EUlS10_E0_NS1_11comp_targetILNS1_3genE5ELNS1_11target_archE942ELNS1_3gpuE9ELNS1_3repE0EEENS1_38merge_mergepath_config_static_selectorELNS0_4arch9wavefront6targetE1EEEvSM_: ; @_ZN7rocprim17ROCPRIM_400000_NS6detail17trampoline_kernelINS0_14default_configENS1_38merge_sort_block_merge_config_selectorIlNS0_10empty_typeEEEZZNS1_27merge_sort_block_merge_implIS3_PlPS5_mZN2at6native12_GLOBAL__N_124unique_dim_cuda_templateIiEESt5tupleIJNSA_6TensorESF_SF_EERKSF_lbbbEUlllE_EE10hipError_tT0_T1_T2_jT3_P12ihipStream_tbPNSt15iterator_traitsISL_E10value_typeEPNSR_ISM_E10value_typeEPSN_NS1_7vsmem_tEENKUlT_SL_SM_SN_E_clIS8_S8_S9_S9_EESK_S10_SL_SM_SN_EUlS10_E0_NS1_11comp_targetILNS1_3genE5ELNS1_11target_archE942ELNS1_3gpuE9ELNS1_3repE0EEENS1_38merge_mergepath_config_static_selectorELNS0_4arch9wavefront6targetE1EEEvSM_
; %bb.0:
	.section	.rodata,"a",@progbits
	.p2align	6, 0x0
	.amdhsa_kernel _ZN7rocprim17ROCPRIM_400000_NS6detail17trampoline_kernelINS0_14default_configENS1_38merge_sort_block_merge_config_selectorIlNS0_10empty_typeEEEZZNS1_27merge_sort_block_merge_implIS3_PlPS5_mZN2at6native12_GLOBAL__N_124unique_dim_cuda_templateIiEESt5tupleIJNSA_6TensorESF_SF_EERKSF_lbbbEUlllE_EE10hipError_tT0_T1_T2_jT3_P12ihipStream_tbPNSt15iterator_traitsISL_E10value_typeEPNSR_ISM_E10value_typeEPSN_NS1_7vsmem_tEENKUlT_SL_SM_SN_E_clIS8_S8_S9_S9_EESK_S10_SL_SM_SN_EUlS10_E0_NS1_11comp_targetILNS1_3genE5ELNS1_11target_archE942ELNS1_3gpuE9ELNS1_3repE0EEENS1_38merge_mergepath_config_static_selectorELNS0_4arch9wavefront6targetE1EEEvSM_
		.amdhsa_group_segment_fixed_size 0
		.amdhsa_private_segment_fixed_size 0
		.amdhsa_kernarg_size 88
		.amdhsa_user_sgpr_count 2
		.amdhsa_user_sgpr_dispatch_ptr 0
		.amdhsa_user_sgpr_queue_ptr 0
		.amdhsa_user_sgpr_kernarg_segment_ptr 1
		.amdhsa_user_sgpr_dispatch_id 0
		.amdhsa_user_sgpr_kernarg_preload_length 0
		.amdhsa_user_sgpr_kernarg_preload_offset 0
		.amdhsa_user_sgpr_private_segment_size 0
		.amdhsa_uses_dynamic_stack 0
		.amdhsa_enable_private_segment 0
		.amdhsa_system_sgpr_workgroup_id_x 1
		.amdhsa_system_sgpr_workgroup_id_y 0
		.amdhsa_system_sgpr_workgroup_id_z 0
		.amdhsa_system_sgpr_workgroup_info 0
		.amdhsa_system_vgpr_workitem_id 0
		.amdhsa_next_free_vgpr 1
		.amdhsa_next_free_sgpr 0
		.amdhsa_accum_offset 4
		.amdhsa_reserve_vcc 0
		.amdhsa_float_round_mode_32 0
		.amdhsa_float_round_mode_16_64 0
		.amdhsa_float_denorm_mode_32 3
		.amdhsa_float_denorm_mode_16_64 3
		.amdhsa_dx10_clamp 1
		.amdhsa_ieee_mode 1
		.amdhsa_fp16_overflow 0
		.amdhsa_tg_split 0
		.amdhsa_exception_fp_ieee_invalid_op 0
		.amdhsa_exception_fp_denorm_src 0
		.amdhsa_exception_fp_ieee_div_zero 0
		.amdhsa_exception_fp_ieee_overflow 0
		.amdhsa_exception_fp_ieee_underflow 0
		.amdhsa_exception_fp_ieee_inexact 0
		.amdhsa_exception_int_div_zero 0
	.end_amdhsa_kernel
	.section	.text._ZN7rocprim17ROCPRIM_400000_NS6detail17trampoline_kernelINS0_14default_configENS1_38merge_sort_block_merge_config_selectorIlNS0_10empty_typeEEEZZNS1_27merge_sort_block_merge_implIS3_PlPS5_mZN2at6native12_GLOBAL__N_124unique_dim_cuda_templateIiEESt5tupleIJNSA_6TensorESF_SF_EERKSF_lbbbEUlllE_EE10hipError_tT0_T1_T2_jT3_P12ihipStream_tbPNSt15iterator_traitsISL_E10value_typeEPNSR_ISM_E10value_typeEPSN_NS1_7vsmem_tEENKUlT_SL_SM_SN_E_clIS8_S8_S9_S9_EESK_S10_SL_SM_SN_EUlS10_E0_NS1_11comp_targetILNS1_3genE5ELNS1_11target_archE942ELNS1_3gpuE9ELNS1_3repE0EEENS1_38merge_mergepath_config_static_selectorELNS0_4arch9wavefront6targetE1EEEvSM_,"axG",@progbits,_ZN7rocprim17ROCPRIM_400000_NS6detail17trampoline_kernelINS0_14default_configENS1_38merge_sort_block_merge_config_selectorIlNS0_10empty_typeEEEZZNS1_27merge_sort_block_merge_implIS3_PlPS5_mZN2at6native12_GLOBAL__N_124unique_dim_cuda_templateIiEESt5tupleIJNSA_6TensorESF_SF_EERKSF_lbbbEUlllE_EE10hipError_tT0_T1_T2_jT3_P12ihipStream_tbPNSt15iterator_traitsISL_E10value_typeEPNSR_ISM_E10value_typeEPSN_NS1_7vsmem_tEENKUlT_SL_SM_SN_E_clIS8_S8_S9_S9_EESK_S10_SL_SM_SN_EUlS10_E0_NS1_11comp_targetILNS1_3genE5ELNS1_11target_archE942ELNS1_3gpuE9ELNS1_3repE0EEENS1_38merge_mergepath_config_static_selectorELNS0_4arch9wavefront6targetE1EEEvSM_,comdat
.Lfunc_end402:
	.size	_ZN7rocprim17ROCPRIM_400000_NS6detail17trampoline_kernelINS0_14default_configENS1_38merge_sort_block_merge_config_selectorIlNS0_10empty_typeEEEZZNS1_27merge_sort_block_merge_implIS3_PlPS5_mZN2at6native12_GLOBAL__N_124unique_dim_cuda_templateIiEESt5tupleIJNSA_6TensorESF_SF_EERKSF_lbbbEUlllE_EE10hipError_tT0_T1_T2_jT3_P12ihipStream_tbPNSt15iterator_traitsISL_E10value_typeEPNSR_ISM_E10value_typeEPSN_NS1_7vsmem_tEENKUlT_SL_SM_SN_E_clIS8_S8_S9_S9_EESK_S10_SL_SM_SN_EUlS10_E0_NS1_11comp_targetILNS1_3genE5ELNS1_11target_archE942ELNS1_3gpuE9ELNS1_3repE0EEENS1_38merge_mergepath_config_static_selectorELNS0_4arch9wavefront6targetE1EEEvSM_, .Lfunc_end402-_ZN7rocprim17ROCPRIM_400000_NS6detail17trampoline_kernelINS0_14default_configENS1_38merge_sort_block_merge_config_selectorIlNS0_10empty_typeEEEZZNS1_27merge_sort_block_merge_implIS3_PlPS5_mZN2at6native12_GLOBAL__N_124unique_dim_cuda_templateIiEESt5tupleIJNSA_6TensorESF_SF_EERKSF_lbbbEUlllE_EE10hipError_tT0_T1_T2_jT3_P12ihipStream_tbPNSt15iterator_traitsISL_E10value_typeEPNSR_ISM_E10value_typeEPSN_NS1_7vsmem_tEENKUlT_SL_SM_SN_E_clIS8_S8_S9_S9_EESK_S10_SL_SM_SN_EUlS10_E0_NS1_11comp_targetILNS1_3genE5ELNS1_11target_archE942ELNS1_3gpuE9ELNS1_3repE0EEENS1_38merge_mergepath_config_static_selectorELNS0_4arch9wavefront6targetE1EEEvSM_
                                        ; -- End function
	.set _ZN7rocprim17ROCPRIM_400000_NS6detail17trampoline_kernelINS0_14default_configENS1_38merge_sort_block_merge_config_selectorIlNS0_10empty_typeEEEZZNS1_27merge_sort_block_merge_implIS3_PlPS5_mZN2at6native12_GLOBAL__N_124unique_dim_cuda_templateIiEESt5tupleIJNSA_6TensorESF_SF_EERKSF_lbbbEUlllE_EE10hipError_tT0_T1_T2_jT3_P12ihipStream_tbPNSt15iterator_traitsISL_E10value_typeEPNSR_ISM_E10value_typeEPSN_NS1_7vsmem_tEENKUlT_SL_SM_SN_E_clIS8_S8_S9_S9_EESK_S10_SL_SM_SN_EUlS10_E0_NS1_11comp_targetILNS1_3genE5ELNS1_11target_archE942ELNS1_3gpuE9ELNS1_3repE0EEENS1_38merge_mergepath_config_static_selectorELNS0_4arch9wavefront6targetE1EEEvSM_.num_vgpr, 0
	.set _ZN7rocprim17ROCPRIM_400000_NS6detail17trampoline_kernelINS0_14default_configENS1_38merge_sort_block_merge_config_selectorIlNS0_10empty_typeEEEZZNS1_27merge_sort_block_merge_implIS3_PlPS5_mZN2at6native12_GLOBAL__N_124unique_dim_cuda_templateIiEESt5tupleIJNSA_6TensorESF_SF_EERKSF_lbbbEUlllE_EE10hipError_tT0_T1_T2_jT3_P12ihipStream_tbPNSt15iterator_traitsISL_E10value_typeEPNSR_ISM_E10value_typeEPSN_NS1_7vsmem_tEENKUlT_SL_SM_SN_E_clIS8_S8_S9_S9_EESK_S10_SL_SM_SN_EUlS10_E0_NS1_11comp_targetILNS1_3genE5ELNS1_11target_archE942ELNS1_3gpuE9ELNS1_3repE0EEENS1_38merge_mergepath_config_static_selectorELNS0_4arch9wavefront6targetE1EEEvSM_.num_agpr, 0
	.set _ZN7rocprim17ROCPRIM_400000_NS6detail17trampoline_kernelINS0_14default_configENS1_38merge_sort_block_merge_config_selectorIlNS0_10empty_typeEEEZZNS1_27merge_sort_block_merge_implIS3_PlPS5_mZN2at6native12_GLOBAL__N_124unique_dim_cuda_templateIiEESt5tupleIJNSA_6TensorESF_SF_EERKSF_lbbbEUlllE_EE10hipError_tT0_T1_T2_jT3_P12ihipStream_tbPNSt15iterator_traitsISL_E10value_typeEPNSR_ISM_E10value_typeEPSN_NS1_7vsmem_tEENKUlT_SL_SM_SN_E_clIS8_S8_S9_S9_EESK_S10_SL_SM_SN_EUlS10_E0_NS1_11comp_targetILNS1_3genE5ELNS1_11target_archE942ELNS1_3gpuE9ELNS1_3repE0EEENS1_38merge_mergepath_config_static_selectorELNS0_4arch9wavefront6targetE1EEEvSM_.numbered_sgpr, 0
	.set _ZN7rocprim17ROCPRIM_400000_NS6detail17trampoline_kernelINS0_14default_configENS1_38merge_sort_block_merge_config_selectorIlNS0_10empty_typeEEEZZNS1_27merge_sort_block_merge_implIS3_PlPS5_mZN2at6native12_GLOBAL__N_124unique_dim_cuda_templateIiEESt5tupleIJNSA_6TensorESF_SF_EERKSF_lbbbEUlllE_EE10hipError_tT0_T1_T2_jT3_P12ihipStream_tbPNSt15iterator_traitsISL_E10value_typeEPNSR_ISM_E10value_typeEPSN_NS1_7vsmem_tEENKUlT_SL_SM_SN_E_clIS8_S8_S9_S9_EESK_S10_SL_SM_SN_EUlS10_E0_NS1_11comp_targetILNS1_3genE5ELNS1_11target_archE942ELNS1_3gpuE9ELNS1_3repE0EEENS1_38merge_mergepath_config_static_selectorELNS0_4arch9wavefront6targetE1EEEvSM_.num_named_barrier, 0
	.set _ZN7rocprim17ROCPRIM_400000_NS6detail17trampoline_kernelINS0_14default_configENS1_38merge_sort_block_merge_config_selectorIlNS0_10empty_typeEEEZZNS1_27merge_sort_block_merge_implIS3_PlPS5_mZN2at6native12_GLOBAL__N_124unique_dim_cuda_templateIiEESt5tupleIJNSA_6TensorESF_SF_EERKSF_lbbbEUlllE_EE10hipError_tT0_T1_T2_jT3_P12ihipStream_tbPNSt15iterator_traitsISL_E10value_typeEPNSR_ISM_E10value_typeEPSN_NS1_7vsmem_tEENKUlT_SL_SM_SN_E_clIS8_S8_S9_S9_EESK_S10_SL_SM_SN_EUlS10_E0_NS1_11comp_targetILNS1_3genE5ELNS1_11target_archE942ELNS1_3gpuE9ELNS1_3repE0EEENS1_38merge_mergepath_config_static_selectorELNS0_4arch9wavefront6targetE1EEEvSM_.private_seg_size, 0
	.set _ZN7rocprim17ROCPRIM_400000_NS6detail17trampoline_kernelINS0_14default_configENS1_38merge_sort_block_merge_config_selectorIlNS0_10empty_typeEEEZZNS1_27merge_sort_block_merge_implIS3_PlPS5_mZN2at6native12_GLOBAL__N_124unique_dim_cuda_templateIiEESt5tupleIJNSA_6TensorESF_SF_EERKSF_lbbbEUlllE_EE10hipError_tT0_T1_T2_jT3_P12ihipStream_tbPNSt15iterator_traitsISL_E10value_typeEPNSR_ISM_E10value_typeEPSN_NS1_7vsmem_tEENKUlT_SL_SM_SN_E_clIS8_S8_S9_S9_EESK_S10_SL_SM_SN_EUlS10_E0_NS1_11comp_targetILNS1_3genE5ELNS1_11target_archE942ELNS1_3gpuE9ELNS1_3repE0EEENS1_38merge_mergepath_config_static_selectorELNS0_4arch9wavefront6targetE1EEEvSM_.uses_vcc, 0
	.set _ZN7rocprim17ROCPRIM_400000_NS6detail17trampoline_kernelINS0_14default_configENS1_38merge_sort_block_merge_config_selectorIlNS0_10empty_typeEEEZZNS1_27merge_sort_block_merge_implIS3_PlPS5_mZN2at6native12_GLOBAL__N_124unique_dim_cuda_templateIiEESt5tupleIJNSA_6TensorESF_SF_EERKSF_lbbbEUlllE_EE10hipError_tT0_T1_T2_jT3_P12ihipStream_tbPNSt15iterator_traitsISL_E10value_typeEPNSR_ISM_E10value_typeEPSN_NS1_7vsmem_tEENKUlT_SL_SM_SN_E_clIS8_S8_S9_S9_EESK_S10_SL_SM_SN_EUlS10_E0_NS1_11comp_targetILNS1_3genE5ELNS1_11target_archE942ELNS1_3gpuE9ELNS1_3repE0EEENS1_38merge_mergepath_config_static_selectorELNS0_4arch9wavefront6targetE1EEEvSM_.uses_flat_scratch, 0
	.set _ZN7rocprim17ROCPRIM_400000_NS6detail17trampoline_kernelINS0_14default_configENS1_38merge_sort_block_merge_config_selectorIlNS0_10empty_typeEEEZZNS1_27merge_sort_block_merge_implIS3_PlPS5_mZN2at6native12_GLOBAL__N_124unique_dim_cuda_templateIiEESt5tupleIJNSA_6TensorESF_SF_EERKSF_lbbbEUlllE_EE10hipError_tT0_T1_T2_jT3_P12ihipStream_tbPNSt15iterator_traitsISL_E10value_typeEPNSR_ISM_E10value_typeEPSN_NS1_7vsmem_tEENKUlT_SL_SM_SN_E_clIS8_S8_S9_S9_EESK_S10_SL_SM_SN_EUlS10_E0_NS1_11comp_targetILNS1_3genE5ELNS1_11target_archE942ELNS1_3gpuE9ELNS1_3repE0EEENS1_38merge_mergepath_config_static_selectorELNS0_4arch9wavefront6targetE1EEEvSM_.has_dyn_sized_stack, 0
	.set _ZN7rocprim17ROCPRIM_400000_NS6detail17trampoline_kernelINS0_14default_configENS1_38merge_sort_block_merge_config_selectorIlNS0_10empty_typeEEEZZNS1_27merge_sort_block_merge_implIS3_PlPS5_mZN2at6native12_GLOBAL__N_124unique_dim_cuda_templateIiEESt5tupleIJNSA_6TensorESF_SF_EERKSF_lbbbEUlllE_EE10hipError_tT0_T1_T2_jT3_P12ihipStream_tbPNSt15iterator_traitsISL_E10value_typeEPNSR_ISM_E10value_typeEPSN_NS1_7vsmem_tEENKUlT_SL_SM_SN_E_clIS8_S8_S9_S9_EESK_S10_SL_SM_SN_EUlS10_E0_NS1_11comp_targetILNS1_3genE5ELNS1_11target_archE942ELNS1_3gpuE9ELNS1_3repE0EEENS1_38merge_mergepath_config_static_selectorELNS0_4arch9wavefront6targetE1EEEvSM_.has_recursion, 0
	.set _ZN7rocprim17ROCPRIM_400000_NS6detail17trampoline_kernelINS0_14default_configENS1_38merge_sort_block_merge_config_selectorIlNS0_10empty_typeEEEZZNS1_27merge_sort_block_merge_implIS3_PlPS5_mZN2at6native12_GLOBAL__N_124unique_dim_cuda_templateIiEESt5tupleIJNSA_6TensorESF_SF_EERKSF_lbbbEUlllE_EE10hipError_tT0_T1_T2_jT3_P12ihipStream_tbPNSt15iterator_traitsISL_E10value_typeEPNSR_ISM_E10value_typeEPSN_NS1_7vsmem_tEENKUlT_SL_SM_SN_E_clIS8_S8_S9_S9_EESK_S10_SL_SM_SN_EUlS10_E0_NS1_11comp_targetILNS1_3genE5ELNS1_11target_archE942ELNS1_3gpuE9ELNS1_3repE0EEENS1_38merge_mergepath_config_static_selectorELNS0_4arch9wavefront6targetE1EEEvSM_.has_indirect_call, 0
	.section	.AMDGPU.csdata,"",@progbits
; Kernel info:
; codeLenInByte = 0
; TotalNumSgprs: 6
; NumVgprs: 0
; NumAgprs: 0
; TotalNumVgprs: 0
; ScratchSize: 0
; MemoryBound: 0
; FloatMode: 240
; IeeeMode: 1
; LDSByteSize: 0 bytes/workgroup (compile time only)
; SGPRBlocks: 0
; VGPRBlocks: 0
; NumSGPRsForWavesPerEU: 6
; NumVGPRsForWavesPerEU: 1
; AccumOffset: 4
; Occupancy: 8
; WaveLimiterHint : 0
; COMPUTE_PGM_RSRC2:SCRATCH_EN: 0
; COMPUTE_PGM_RSRC2:USER_SGPR: 2
; COMPUTE_PGM_RSRC2:TRAP_HANDLER: 0
; COMPUTE_PGM_RSRC2:TGID_X_EN: 1
; COMPUTE_PGM_RSRC2:TGID_Y_EN: 0
; COMPUTE_PGM_RSRC2:TGID_Z_EN: 0
; COMPUTE_PGM_RSRC2:TIDIG_COMP_CNT: 0
; COMPUTE_PGM_RSRC3_GFX90A:ACCUM_OFFSET: 0
; COMPUTE_PGM_RSRC3_GFX90A:TG_SPLIT: 0
	.section	.text._ZN7rocprim17ROCPRIM_400000_NS6detail17trampoline_kernelINS0_14default_configENS1_38merge_sort_block_merge_config_selectorIlNS0_10empty_typeEEEZZNS1_27merge_sort_block_merge_implIS3_PlPS5_mZN2at6native12_GLOBAL__N_124unique_dim_cuda_templateIiEESt5tupleIJNSA_6TensorESF_SF_EERKSF_lbbbEUlllE_EE10hipError_tT0_T1_T2_jT3_P12ihipStream_tbPNSt15iterator_traitsISL_E10value_typeEPNSR_ISM_E10value_typeEPSN_NS1_7vsmem_tEENKUlT_SL_SM_SN_E_clIS8_S8_S9_S9_EESK_S10_SL_SM_SN_EUlS10_E0_NS1_11comp_targetILNS1_3genE4ELNS1_11target_archE910ELNS1_3gpuE8ELNS1_3repE0EEENS1_38merge_mergepath_config_static_selectorELNS0_4arch9wavefront6targetE1EEEvSM_,"axG",@progbits,_ZN7rocprim17ROCPRIM_400000_NS6detail17trampoline_kernelINS0_14default_configENS1_38merge_sort_block_merge_config_selectorIlNS0_10empty_typeEEEZZNS1_27merge_sort_block_merge_implIS3_PlPS5_mZN2at6native12_GLOBAL__N_124unique_dim_cuda_templateIiEESt5tupleIJNSA_6TensorESF_SF_EERKSF_lbbbEUlllE_EE10hipError_tT0_T1_T2_jT3_P12ihipStream_tbPNSt15iterator_traitsISL_E10value_typeEPNSR_ISM_E10value_typeEPSN_NS1_7vsmem_tEENKUlT_SL_SM_SN_E_clIS8_S8_S9_S9_EESK_S10_SL_SM_SN_EUlS10_E0_NS1_11comp_targetILNS1_3genE4ELNS1_11target_archE910ELNS1_3gpuE8ELNS1_3repE0EEENS1_38merge_mergepath_config_static_selectorELNS0_4arch9wavefront6targetE1EEEvSM_,comdat
	.globl	_ZN7rocprim17ROCPRIM_400000_NS6detail17trampoline_kernelINS0_14default_configENS1_38merge_sort_block_merge_config_selectorIlNS0_10empty_typeEEEZZNS1_27merge_sort_block_merge_implIS3_PlPS5_mZN2at6native12_GLOBAL__N_124unique_dim_cuda_templateIiEESt5tupleIJNSA_6TensorESF_SF_EERKSF_lbbbEUlllE_EE10hipError_tT0_T1_T2_jT3_P12ihipStream_tbPNSt15iterator_traitsISL_E10value_typeEPNSR_ISM_E10value_typeEPSN_NS1_7vsmem_tEENKUlT_SL_SM_SN_E_clIS8_S8_S9_S9_EESK_S10_SL_SM_SN_EUlS10_E0_NS1_11comp_targetILNS1_3genE4ELNS1_11target_archE910ELNS1_3gpuE8ELNS1_3repE0EEENS1_38merge_mergepath_config_static_selectorELNS0_4arch9wavefront6targetE1EEEvSM_ ; -- Begin function _ZN7rocprim17ROCPRIM_400000_NS6detail17trampoline_kernelINS0_14default_configENS1_38merge_sort_block_merge_config_selectorIlNS0_10empty_typeEEEZZNS1_27merge_sort_block_merge_implIS3_PlPS5_mZN2at6native12_GLOBAL__N_124unique_dim_cuda_templateIiEESt5tupleIJNSA_6TensorESF_SF_EERKSF_lbbbEUlllE_EE10hipError_tT0_T1_T2_jT3_P12ihipStream_tbPNSt15iterator_traitsISL_E10value_typeEPNSR_ISM_E10value_typeEPSN_NS1_7vsmem_tEENKUlT_SL_SM_SN_E_clIS8_S8_S9_S9_EESK_S10_SL_SM_SN_EUlS10_E0_NS1_11comp_targetILNS1_3genE4ELNS1_11target_archE910ELNS1_3gpuE8ELNS1_3repE0EEENS1_38merge_mergepath_config_static_selectorELNS0_4arch9wavefront6targetE1EEEvSM_
	.p2align	8
	.type	_ZN7rocprim17ROCPRIM_400000_NS6detail17trampoline_kernelINS0_14default_configENS1_38merge_sort_block_merge_config_selectorIlNS0_10empty_typeEEEZZNS1_27merge_sort_block_merge_implIS3_PlPS5_mZN2at6native12_GLOBAL__N_124unique_dim_cuda_templateIiEESt5tupleIJNSA_6TensorESF_SF_EERKSF_lbbbEUlllE_EE10hipError_tT0_T1_T2_jT3_P12ihipStream_tbPNSt15iterator_traitsISL_E10value_typeEPNSR_ISM_E10value_typeEPSN_NS1_7vsmem_tEENKUlT_SL_SM_SN_E_clIS8_S8_S9_S9_EESK_S10_SL_SM_SN_EUlS10_E0_NS1_11comp_targetILNS1_3genE4ELNS1_11target_archE910ELNS1_3gpuE8ELNS1_3repE0EEENS1_38merge_mergepath_config_static_selectorELNS0_4arch9wavefront6targetE1EEEvSM_,@function
_ZN7rocprim17ROCPRIM_400000_NS6detail17trampoline_kernelINS0_14default_configENS1_38merge_sort_block_merge_config_selectorIlNS0_10empty_typeEEEZZNS1_27merge_sort_block_merge_implIS3_PlPS5_mZN2at6native12_GLOBAL__N_124unique_dim_cuda_templateIiEESt5tupleIJNSA_6TensorESF_SF_EERKSF_lbbbEUlllE_EE10hipError_tT0_T1_T2_jT3_P12ihipStream_tbPNSt15iterator_traitsISL_E10value_typeEPNSR_ISM_E10value_typeEPSN_NS1_7vsmem_tEENKUlT_SL_SM_SN_E_clIS8_S8_S9_S9_EESK_S10_SL_SM_SN_EUlS10_E0_NS1_11comp_targetILNS1_3genE4ELNS1_11target_archE910ELNS1_3gpuE8ELNS1_3repE0EEENS1_38merge_mergepath_config_static_selectorELNS0_4arch9wavefront6targetE1EEEvSM_: ; @_ZN7rocprim17ROCPRIM_400000_NS6detail17trampoline_kernelINS0_14default_configENS1_38merge_sort_block_merge_config_selectorIlNS0_10empty_typeEEEZZNS1_27merge_sort_block_merge_implIS3_PlPS5_mZN2at6native12_GLOBAL__N_124unique_dim_cuda_templateIiEESt5tupleIJNSA_6TensorESF_SF_EERKSF_lbbbEUlllE_EE10hipError_tT0_T1_T2_jT3_P12ihipStream_tbPNSt15iterator_traitsISL_E10value_typeEPNSR_ISM_E10value_typeEPSN_NS1_7vsmem_tEENKUlT_SL_SM_SN_E_clIS8_S8_S9_S9_EESK_S10_SL_SM_SN_EUlS10_E0_NS1_11comp_targetILNS1_3genE4ELNS1_11target_archE910ELNS1_3gpuE8ELNS1_3repE0EEENS1_38merge_mergepath_config_static_selectorELNS0_4arch9wavefront6targetE1EEEvSM_
; %bb.0:
	.section	.rodata,"a",@progbits
	.p2align	6, 0x0
	.amdhsa_kernel _ZN7rocprim17ROCPRIM_400000_NS6detail17trampoline_kernelINS0_14default_configENS1_38merge_sort_block_merge_config_selectorIlNS0_10empty_typeEEEZZNS1_27merge_sort_block_merge_implIS3_PlPS5_mZN2at6native12_GLOBAL__N_124unique_dim_cuda_templateIiEESt5tupleIJNSA_6TensorESF_SF_EERKSF_lbbbEUlllE_EE10hipError_tT0_T1_T2_jT3_P12ihipStream_tbPNSt15iterator_traitsISL_E10value_typeEPNSR_ISM_E10value_typeEPSN_NS1_7vsmem_tEENKUlT_SL_SM_SN_E_clIS8_S8_S9_S9_EESK_S10_SL_SM_SN_EUlS10_E0_NS1_11comp_targetILNS1_3genE4ELNS1_11target_archE910ELNS1_3gpuE8ELNS1_3repE0EEENS1_38merge_mergepath_config_static_selectorELNS0_4arch9wavefront6targetE1EEEvSM_
		.amdhsa_group_segment_fixed_size 0
		.amdhsa_private_segment_fixed_size 0
		.amdhsa_kernarg_size 88
		.amdhsa_user_sgpr_count 2
		.amdhsa_user_sgpr_dispatch_ptr 0
		.amdhsa_user_sgpr_queue_ptr 0
		.amdhsa_user_sgpr_kernarg_segment_ptr 1
		.amdhsa_user_sgpr_dispatch_id 0
		.amdhsa_user_sgpr_kernarg_preload_length 0
		.amdhsa_user_sgpr_kernarg_preload_offset 0
		.amdhsa_user_sgpr_private_segment_size 0
		.amdhsa_uses_dynamic_stack 0
		.amdhsa_enable_private_segment 0
		.amdhsa_system_sgpr_workgroup_id_x 1
		.amdhsa_system_sgpr_workgroup_id_y 0
		.amdhsa_system_sgpr_workgroup_id_z 0
		.amdhsa_system_sgpr_workgroup_info 0
		.amdhsa_system_vgpr_workitem_id 0
		.amdhsa_next_free_vgpr 1
		.amdhsa_next_free_sgpr 0
		.amdhsa_accum_offset 4
		.amdhsa_reserve_vcc 0
		.amdhsa_float_round_mode_32 0
		.amdhsa_float_round_mode_16_64 0
		.amdhsa_float_denorm_mode_32 3
		.amdhsa_float_denorm_mode_16_64 3
		.amdhsa_dx10_clamp 1
		.amdhsa_ieee_mode 1
		.amdhsa_fp16_overflow 0
		.amdhsa_tg_split 0
		.amdhsa_exception_fp_ieee_invalid_op 0
		.amdhsa_exception_fp_denorm_src 0
		.amdhsa_exception_fp_ieee_div_zero 0
		.amdhsa_exception_fp_ieee_overflow 0
		.amdhsa_exception_fp_ieee_underflow 0
		.amdhsa_exception_fp_ieee_inexact 0
		.amdhsa_exception_int_div_zero 0
	.end_amdhsa_kernel
	.section	.text._ZN7rocprim17ROCPRIM_400000_NS6detail17trampoline_kernelINS0_14default_configENS1_38merge_sort_block_merge_config_selectorIlNS0_10empty_typeEEEZZNS1_27merge_sort_block_merge_implIS3_PlPS5_mZN2at6native12_GLOBAL__N_124unique_dim_cuda_templateIiEESt5tupleIJNSA_6TensorESF_SF_EERKSF_lbbbEUlllE_EE10hipError_tT0_T1_T2_jT3_P12ihipStream_tbPNSt15iterator_traitsISL_E10value_typeEPNSR_ISM_E10value_typeEPSN_NS1_7vsmem_tEENKUlT_SL_SM_SN_E_clIS8_S8_S9_S9_EESK_S10_SL_SM_SN_EUlS10_E0_NS1_11comp_targetILNS1_3genE4ELNS1_11target_archE910ELNS1_3gpuE8ELNS1_3repE0EEENS1_38merge_mergepath_config_static_selectorELNS0_4arch9wavefront6targetE1EEEvSM_,"axG",@progbits,_ZN7rocprim17ROCPRIM_400000_NS6detail17trampoline_kernelINS0_14default_configENS1_38merge_sort_block_merge_config_selectorIlNS0_10empty_typeEEEZZNS1_27merge_sort_block_merge_implIS3_PlPS5_mZN2at6native12_GLOBAL__N_124unique_dim_cuda_templateIiEESt5tupleIJNSA_6TensorESF_SF_EERKSF_lbbbEUlllE_EE10hipError_tT0_T1_T2_jT3_P12ihipStream_tbPNSt15iterator_traitsISL_E10value_typeEPNSR_ISM_E10value_typeEPSN_NS1_7vsmem_tEENKUlT_SL_SM_SN_E_clIS8_S8_S9_S9_EESK_S10_SL_SM_SN_EUlS10_E0_NS1_11comp_targetILNS1_3genE4ELNS1_11target_archE910ELNS1_3gpuE8ELNS1_3repE0EEENS1_38merge_mergepath_config_static_selectorELNS0_4arch9wavefront6targetE1EEEvSM_,comdat
.Lfunc_end403:
	.size	_ZN7rocprim17ROCPRIM_400000_NS6detail17trampoline_kernelINS0_14default_configENS1_38merge_sort_block_merge_config_selectorIlNS0_10empty_typeEEEZZNS1_27merge_sort_block_merge_implIS3_PlPS5_mZN2at6native12_GLOBAL__N_124unique_dim_cuda_templateIiEESt5tupleIJNSA_6TensorESF_SF_EERKSF_lbbbEUlllE_EE10hipError_tT0_T1_T2_jT3_P12ihipStream_tbPNSt15iterator_traitsISL_E10value_typeEPNSR_ISM_E10value_typeEPSN_NS1_7vsmem_tEENKUlT_SL_SM_SN_E_clIS8_S8_S9_S9_EESK_S10_SL_SM_SN_EUlS10_E0_NS1_11comp_targetILNS1_3genE4ELNS1_11target_archE910ELNS1_3gpuE8ELNS1_3repE0EEENS1_38merge_mergepath_config_static_selectorELNS0_4arch9wavefront6targetE1EEEvSM_, .Lfunc_end403-_ZN7rocprim17ROCPRIM_400000_NS6detail17trampoline_kernelINS0_14default_configENS1_38merge_sort_block_merge_config_selectorIlNS0_10empty_typeEEEZZNS1_27merge_sort_block_merge_implIS3_PlPS5_mZN2at6native12_GLOBAL__N_124unique_dim_cuda_templateIiEESt5tupleIJNSA_6TensorESF_SF_EERKSF_lbbbEUlllE_EE10hipError_tT0_T1_T2_jT3_P12ihipStream_tbPNSt15iterator_traitsISL_E10value_typeEPNSR_ISM_E10value_typeEPSN_NS1_7vsmem_tEENKUlT_SL_SM_SN_E_clIS8_S8_S9_S9_EESK_S10_SL_SM_SN_EUlS10_E0_NS1_11comp_targetILNS1_3genE4ELNS1_11target_archE910ELNS1_3gpuE8ELNS1_3repE0EEENS1_38merge_mergepath_config_static_selectorELNS0_4arch9wavefront6targetE1EEEvSM_
                                        ; -- End function
	.set _ZN7rocprim17ROCPRIM_400000_NS6detail17trampoline_kernelINS0_14default_configENS1_38merge_sort_block_merge_config_selectorIlNS0_10empty_typeEEEZZNS1_27merge_sort_block_merge_implIS3_PlPS5_mZN2at6native12_GLOBAL__N_124unique_dim_cuda_templateIiEESt5tupleIJNSA_6TensorESF_SF_EERKSF_lbbbEUlllE_EE10hipError_tT0_T1_T2_jT3_P12ihipStream_tbPNSt15iterator_traitsISL_E10value_typeEPNSR_ISM_E10value_typeEPSN_NS1_7vsmem_tEENKUlT_SL_SM_SN_E_clIS8_S8_S9_S9_EESK_S10_SL_SM_SN_EUlS10_E0_NS1_11comp_targetILNS1_3genE4ELNS1_11target_archE910ELNS1_3gpuE8ELNS1_3repE0EEENS1_38merge_mergepath_config_static_selectorELNS0_4arch9wavefront6targetE1EEEvSM_.num_vgpr, 0
	.set _ZN7rocprim17ROCPRIM_400000_NS6detail17trampoline_kernelINS0_14default_configENS1_38merge_sort_block_merge_config_selectorIlNS0_10empty_typeEEEZZNS1_27merge_sort_block_merge_implIS3_PlPS5_mZN2at6native12_GLOBAL__N_124unique_dim_cuda_templateIiEESt5tupleIJNSA_6TensorESF_SF_EERKSF_lbbbEUlllE_EE10hipError_tT0_T1_T2_jT3_P12ihipStream_tbPNSt15iterator_traitsISL_E10value_typeEPNSR_ISM_E10value_typeEPSN_NS1_7vsmem_tEENKUlT_SL_SM_SN_E_clIS8_S8_S9_S9_EESK_S10_SL_SM_SN_EUlS10_E0_NS1_11comp_targetILNS1_3genE4ELNS1_11target_archE910ELNS1_3gpuE8ELNS1_3repE0EEENS1_38merge_mergepath_config_static_selectorELNS0_4arch9wavefront6targetE1EEEvSM_.num_agpr, 0
	.set _ZN7rocprim17ROCPRIM_400000_NS6detail17trampoline_kernelINS0_14default_configENS1_38merge_sort_block_merge_config_selectorIlNS0_10empty_typeEEEZZNS1_27merge_sort_block_merge_implIS3_PlPS5_mZN2at6native12_GLOBAL__N_124unique_dim_cuda_templateIiEESt5tupleIJNSA_6TensorESF_SF_EERKSF_lbbbEUlllE_EE10hipError_tT0_T1_T2_jT3_P12ihipStream_tbPNSt15iterator_traitsISL_E10value_typeEPNSR_ISM_E10value_typeEPSN_NS1_7vsmem_tEENKUlT_SL_SM_SN_E_clIS8_S8_S9_S9_EESK_S10_SL_SM_SN_EUlS10_E0_NS1_11comp_targetILNS1_3genE4ELNS1_11target_archE910ELNS1_3gpuE8ELNS1_3repE0EEENS1_38merge_mergepath_config_static_selectorELNS0_4arch9wavefront6targetE1EEEvSM_.numbered_sgpr, 0
	.set _ZN7rocprim17ROCPRIM_400000_NS6detail17trampoline_kernelINS0_14default_configENS1_38merge_sort_block_merge_config_selectorIlNS0_10empty_typeEEEZZNS1_27merge_sort_block_merge_implIS3_PlPS5_mZN2at6native12_GLOBAL__N_124unique_dim_cuda_templateIiEESt5tupleIJNSA_6TensorESF_SF_EERKSF_lbbbEUlllE_EE10hipError_tT0_T1_T2_jT3_P12ihipStream_tbPNSt15iterator_traitsISL_E10value_typeEPNSR_ISM_E10value_typeEPSN_NS1_7vsmem_tEENKUlT_SL_SM_SN_E_clIS8_S8_S9_S9_EESK_S10_SL_SM_SN_EUlS10_E0_NS1_11comp_targetILNS1_3genE4ELNS1_11target_archE910ELNS1_3gpuE8ELNS1_3repE0EEENS1_38merge_mergepath_config_static_selectorELNS0_4arch9wavefront6targetE1EEEvSM_.num_named_barrier, 0
	.set _ZN7rocprim17ROCPRIM_400000_NS6detail17trampoline_kernelINS0_14default_configENS1_38merge_sort_block_merge_config_selectorIlNS0_10empty_typeEEEZZNS1_27merge_sort_block_merge_implIS3_PlPS5_mZN2at6native12_GLOBAL__N_124unique_dim_cuda_templateIiEESt5tupleIJNSA_6TensorESF_SF_EERKSF_lbbbEUlllE_EE10hipError_tT0_T1_T2_jT3_P12ihipStream_tbPNSt15iterator_traitsISL_E10value_typeEPNSR_ISM_E10value_typeEPSN_NS1_7vsmem_tEENKUlT_SL_SM_SN_E_clIS8_S8_S9_S9_EESK_S10_SL_SM_SN_EUlS10_E0_NS1_11comp_targetILNS1_3genE4ELNS1_11target_archE910ELNS1_3gpuE8ELNS1_3repE0EEENS1_38merge_mergepath_config_static_selectorELNS0_4arch9wavefront6targetE1EEEvSM_.private_seg_size, 0
	.set _ZN7rocprim17ROCPRIM_400000_NS6detail17trampoline_kernelINS0_14default_configENS1_38merge_sort_block_merge_config_selectorIlNS0_10empty_typeEEEZZNS1_27merge_sort_block_merge_implIS3_PlPS5_mZN2at6native12_GLOBAL__N_124unique_dim_cuda_templateIiEESt5tupleIJNSA_6TensorESF_SF_EERKSF_lbbbEUlllE_EE10hipError_tT0_T1_T2_jT3_P12ihipStream_tbPNSt15iterator_traitsISL_E10value_typeEPNSR_ISM_E10value_typeEPSN_NS1_7vsmem_tEENKUlT_SL_SM_SN_E_clIS8_S8_S9_S9_EESK_S10_SL_SM_SN_EUlS10_E0_NS1_11comp_targetILNS1_3genE4ELNS1_11target_archE910ELNS1_3gpuE8ELNS1_3repE0EEENS1_38merge_mergepath_config_static_selectorELNS0_4arch9wavefront6targetE1EEEvSM_.uses_vcc, 0
	.set _ZN7rocprim17ROCPRIM_400000_NS6detail17trampoline_kernelINS0_14default_configENS1_38merge_sort_block_merge_config_selectorIlNS0_10empty_typeEEEZZNS1_27merge_sort_block_merge_implIS3_PlPS5_mZN2at6native12_GLOBAL__N_124unique_dim_cuda_templateIiEESt5tupleIJNSA_6TensorESF_SF_EERKSF_lbbbEUlllE_EE10hipError_tT0_T1_T2_jT3_P12ihipStream_tbPNSt15iterator_traitsISL_E10value_typeEPNSR_ISM_E10value_typeEPSN_NS1_7vsmem_tEENKUlT_SL_SM_SN_E_clIS8_S8_S9_S9_EESK_S10_SL_SM_SN_EUlS10_E0_NS1_11comp_targetILNS1_3genE4ELNS1_11target_archE910ELNS1_3gpuE8ELNS1_3repE0EEENS1_38merge_mergepath_config_static_selectorELNS0_4arch9wavefront6targetE1EEEvSM_.uses_flat_scratch, 0
	.set _ZN7rocprim17ROCPRIM_400000_NS6detail17trampoline_kernelINS0_14default_configENS1_38merge_sort_block_merge_config_selectorIlNS0_10empty_typeEEEZZNS1_27merge_sort_block_merge_implIS3_PlPS5_mZN2at6native12_GLOBAL__N_124unique_dim_cuda_templateIiEESt5tupleIJNSA_6TensorESF_SF_EERKSF_lbbbEUlllE_EE10hipError_tT0_T1_T2_jT3_P12ihipStream_tbPNSt15iterator_traitsISL_E10value_typeEPNSR_ISM_E10value_typeEPSN_NS1_7vsmem_tEENKUlT_SL_SM_SN_E_clIS8_S8_S9_S9_EESK_S10_SL_SM_SN_EUlS10_E0_NS1_11comp_targetILNS1_3genE4ELNS1_11target_archE910ELNS1_3gpuE8ELNS1_3repE0EEENS1_38merge_mergepath_config_static_selectorELNS0_4arch9wavefront6targetE1EEEvSM_.has_dyn_sized_stack, 0
	.set _ZN7rocprim17ROCPRIM_400000_NS6detail17trampoline_kernelINS0_14default_configENS1_38merge_sort_block_merge_config_selectorIlNS0_10empty_typeEEEZZNS1_27merge_sort_block_merge_implIS3_PlPS5_mZN2at6native12_GLOBAL__N_124unique_dim_cuda_templateIiEESt5tupleIJNSA_6TensorESF_SF_EERKSF_lbbbEUlllE_EE10hipError_tT0_T1_T2_jT3_P12ihipStream_tbPNSt15iterator_traitsISL_E10value_typeEPNSR_ISM_E10value_typeEPSN_NS1_7vsmem_tEENKUlT_SL_SM_SN_E_clIS8_S8_S9_S9_EESK_S10_SL_SM_SN_EUlS10_E0_NS1_11comp_targetILNS1_3genE4ELNS1_11target_archE910ELNS1_3gpuE8ELNS1_3repE0EEENS1_38merge_mergepath_config_static_selectorELNS0_4arch9wavefront6targetE1EEEvSM_.has_recursion, 0
	.set _ZN7rocprim17ROCPRIM_400000_NS6detail17trampoline_kernelINS0_14default_configENS1_38merge_sort_block_merge_config_selectorIlNS0_10empty_typeEEEZZNS1_27merge_sort_block_merge_implIS3_PlPS5_mZN2at6native12_GLOBAL__N_124unique_dim_cuda_templateIiEESt5tupleIJNSA_6TensorESF_SF_EERKSF_lbbbEUlllE_EE10hipError_tT0_T1_T2_jT3_P12ihipStream_tbPNSt15iterator_traitsISL_E10value_typeEPNSR_ISM_E10value_typeEPSN_NS1_7vsmem_tEENKUlT_SL_SM_SN_E_clIS8_S8_S9_S9_EESK_S10_SL_SM_SN_EUlS10_E0_NS1_11comp_targetILNS1_3genE4ELNS1_11target_archE910ELNS1_3gpuE8ELNS1_3repE0EEENS1_38merge_mergepath_config_static_selectorELNS0_4arch9wavefront6targetE1EEEvSM_.has_indirect_call, 0
	.section	.AMDGPU.csdata,"",@progbits
; Kernel info:
; codeLenInByte = 0
; TotalNumSgprs: 6
; NumVgprs: 0
; NumAgprs: 0
; TotalNumVgprs: 0
; ScratchSize: 0
; MemoryBound: 0
; FloatMode: 240
; IeeeMode: 1
; LDSByteSize: 0 bytes/workgroup (compile time only)
; SGPRBlocks: 0
; VGPRBlocks: 0
; NumSGPRsForWavesPerEU: 6
; NumVGPRsForWavesPerEU: 1
; AccumOffset: 4
; Occupancy: 8
; WaveLimiterHint : 0
; COMPUTE_PGM_RSRC2:SCRATCH_EN: 0
; COMPUTE_PGM_RSRC2:USER_SGPR: 2
; COMPUTE_PGM_RSRC2:TRAP_HANDLER: 0
; COMPUTE_PGM_RSRC2:TGID_X_EN: 1
; COMPUTE_PGM_RSRC2:TGID_Y_EN: 0
; COMPUTE_PGM_RSRC2:TGID_Z_EN: 0
; COMPUTE_PGM_RSRC2:TIDIG_COMP_CNT: 0
; COMPUTE_PGM_RSRC3_GFX90A:ACCUM_OFFSET: 0
; COMPUTE_PGM_RSRC3_GFX90A:TG_SPLIT: 0
	.section	.text._ZN7rocprim17ROCPRIM_400000_NS6detail17trampoline_kernelINS0_14default_configENS1_38merge_sort_block_merge_config_selectorIlNS0_10empty_typeEEEZZNS1_27merge_sort_block_merge_implIS3_PlPS5_mZN2at6native12_GLOBAL__N_124unique_dim_cuda_templateIiEESt5tupleIJNSA_6TensorESF_SF_EERKSF_lbbbEUlllE_EE10hipError_tT0_T1_T2_jT3_P12ihipStream_tbPNSt15iterator_traitsISL_E10value_typeEPNSR_ISM_E10value_typeEPSN_NS1_7vsmem_tEENKUlT_SL_SM_SN_E_clIS8_S8_S9_S9_EESK_S10_SL_SM_SN_EUlS10_E0_NS1_11comp_targetILNS1_3genE3ELNS1_11target_archE908ELNS1_3gpuE7ELNS1_3repE0EEENS1_38merge_mergepath_config_static_selectorELNS0_4arch9wavefront6targetE1EEEvSM_,"axG",@progbits,_ZN7rocprim17ROCPRIM_400000_NS6detail17trampoline_kernelINS0_14default_configENS1_38merge_sort_block_merge_config_selectorIlNS0_10empty_typeEEEZZNS1_27merge_sort_block_merge_implIS3_PlPS5_mZN2at6native12_GLOBAL__N_124unique_dim_cuda_templateIiEESt5tupleIJNSA_6TensorESF_SF_EERKSF_lbbbEUlllE_EE10hipError_tT0_T1_T2_jT3_P12ihipStream_tbPNSt15iterator_traitsISL_E10value_typeEPNSR_ISM_E10value_typeEPSN_NS1_7vsmem_tEENKUlT_SL_SM_SN_E_clIS8_S8_S9_S9_EESK_S10_SL_SM_SN_EUlS10_E0_NS1_11comp_targetILNS1_3genE3ELNS1_11target_archE908ELNS1_3gpuE7ELNS1_3repE0EEENS1_38merge_mergepath_config_static_selectorELNS0_4arch9wavefront6targetE1EEEvSM_,comdat
	.globl	_ZN7rocprim17ROCPRIM_400000_NS6detail17trampoline_kernelINS0_14default_configENS1_38merge_sort_block_merge_config_selectorIlNS0_10empty_typeEEEZZNS1_27merge_sort_block_merge_implIS3_PlPS5_mZN2at6native12_GLOBAL__N_124unique_dim_cuda_templateIiEESt5tupleIJNSA_6TensorESF_SF_EERKSF_lbbbEUlllE_EE10hipError_tT0_T1_T2_jT3_P12ihipStream_tbPNSt15iterator_traitsISL_E10value_typeEPNSR_ISM_E10value_typeEPSN_NS1_7vsmem_tEENKUlT_SL_SM_SN_E_clIS8_S8_S9_S9_EESK_S10_SL_SM_SN_EUlS10_E0_NS1_11comp_targetILNS1_3genE3ELNS1_11target_archE908ELNS1_3gpuE7ELNS1_3repE0EEENS1_38merge_mergepath_config_static_selectorELNS0_4arch9wavefront6targetE1EEEvSM_ ; -- Begin function _ZN7rocprim17ROCPRIM_400000_NS6detail17trampoline_kernelINS0_14default_configENS1_38merge_sort_block_merge_config_selectorIlNS0_10empty_typeEEEZZNS1_27merge_sort_block_merge_implIS3_PlPS5_mZN2at6native12_GLOBAL__N_124unique_dim_cuda_templateIiEESt5tupleIJNSA_6TensorESF_SF_EERKSF_lbbbEUlllE_EE10hipError_tT0_T1_T2_jT3_P12ihipStream_tbPNSt15iterator_traitsISL_E10value_typeEPNSR_ISM_E10value_typeEPSN_NS1_7vsmem_tEENKUlT_SL_SM_SN_E_clIS8_S8_S9_S9_EESK_S10_SL_SM_SN_EUlS10_E0_NS1_11comp_targetILNS1_3genE3ELNS1_11target_archE908ELNS1_3gpuE7ELNS1_3repE0EEENS1_38merge_mergepath_config_static_selectorELNS0_4arch9wavefront6targetE1EEEvSM_
	.p2align	8
	.type	_ZN7rocprim17ROCPRIM_400000_NS6detail17trampoline_kernelINS0_14default_configENS1_38merge_sort_block_merge_config_selectorIlNS0_10empty_typeEEEZZNS1_27merge_sort_block_merge_implIS3_PlPS5_mZN2at6native12_GLOBAL__N_124unique_dim_cuda_templateIiEESt5tupleIJNSA_6TensorESF_SF_EERKSF_lbbbEUlllE_EE10hipError_tT0_T1_T2_jT3_P12ihipStream_tbPNSt15iterator_traitsISL_E10value_typeEPNSR_ISM_E10value_typeEPSN_NS1_7vsmem_tEENKUlT_SL_SM_SN_E_clIS8_S8_S9_S9_EESK_S10_SL_SM_SN_EUlS10_E0_NS1_11comp_targetILNS1_3genE3ELNS1_11target_archE908ELNS1_3gpuE7ELNS1_3repE0EEENS1_38merge_mergepath_config_static_selectorELNS0_4arch9wavefront6targetE1EEEvSM_,@function
_ZN7rocprim17ROCPRIM_400000_NS6detail17trampoline_kernelINS0_14default_configENS1_38merge_sort_block_merge_config_selectorIlNS0_10empty_typeEEEZZNS1_27merge_sort_block_merge_implIS3_PlPS5_mZN2at6native12_GLOBAL__N_124unique_dim_cuda_templateIiEESt5tupleIJNSA_6TensorESF_SF_EERKSF_lbbbEUlllE_EE10hipError_tT0_T1_T2_jT3_P12ihipStream_tbPNSt15iterator_traitsISL_E10value_typeEPNSR_ISM_E10value_typeEPSN_NS1_7vsmem_tEENKUlT_SL_SM_SN_E_clIS8_S8_S9_S9_EESK_S10_SL_SM_SN_EUlS10_E0_NS1_11comp_targetILNS1_3genE3ELNS1_11target_archE908ELNS1_3gpuE7ELNS1_3repE0EEENS1_38merge_mergepath_config_static_selectorELNS0_4arch9wavefront6targetE1EEEvSM_: ; @_ZN7rocprim17ROCPRIM_400000_NS6detail17trampoline_kernelINS0_14default_configENS1_38merge_sort_block_merge_config_selectorIlNS0_10empty_typeEEEZZNS1_27merge_sort_block_merge_implIS3_PlPS5_mZN2at6native12_GLOBAL__N_124unique_dim_cuda_templateIiEESt5tupleIJNSA_6TensorESF_SF_EERKSF_lbbbEUlllE_EE10hipError_tT0_T1_T2_jT3_P12ihipStream_tbPNSt15iterator_traitsISL_E10value_typeEPNSR_ISM_E10value_typeEPSN_NS1_7vsmem_tEENKUlT_SL_SM_SN_E_clIS8_S8_S9_S9_EESK_S10_SL_SM_SN_EUlS10_E0_NS1_11comp_targetILNS1_3genE3ELNS1_11target_archE908ELNS1_3gpuE7ELNS1_3repE0EEENS1_38merge_mergepath_config_static_selectorELNS0_4arch9wavefront6targetE1EEEvSM_
; %bb.0:
	.section	.rodata,"a",@progbits
	.p2align	6, 0x0
	.amdhsa_kernel _ZN7rocprim17ROCPRIM_400000_NS6detail17trampoline_kernelINS0_14default_configENS1_38merge_sort_block_merge_config_selectorIlNS0_10empty_typeEEEZZNS1_27merge_sort_block_merge_implIS3_PlPS5_mZN2at6native12_GLOBAL__N_124unique_dim_cuda_templateIiEESt5tupleIJNSA_6TensorESF_SF_EERKSF_lbbbEUlllE_EE10hipError_tT0_T1_T2_jT3_P12ihipStream_tbPNSt15iterator_traitsISL_E10value_typeEPNSR_ISM_E10value_typeEPSN_NS1_7vsmem_tEENKUlT_SL_SM_SN_E_clIS8_S8_S9_S9_EESK_S10_SL_SM_SN_EUlS10_E0_NS1_11comp_targetILNS1_3genE3ELNS1_11target_archE908ELNS1_3gpuE7ELNS1_3repE0EEENS1_38merge_mergepath_config_static_selectorELNS0_4arch9wavefront6targetE1EEEvSM_
		.amdhsa_group_segment_fixed_size 0
		.amdhsa_private_segment_fixed_size 0
		.amdhsa_kernarg_size 88
		.amdhsa_user_sgpr_count 2
		.amdhsa_user_sgpr_dispatch_ptr 0
		.amdhsa_user_sgpr_queue_ptr 0
		.amdhsa_user_sgpr_kernarg_segment_ptr 1
		.amdhsa_user_sgpr_dispatch_id 0
		.amdhsa_user_sgpr_kernarg_preload_length 0
		.amdhsa_user_sgpr_kernarg_preload_offset 0
		.amdhsa_user_sgpr_private_segment_size 0
		.amdhsa_uses_dynamic_stack 0
		.amdhsa_enable_private_segment 0
		.amdhsa_system_sgpr_workgroup_id_x 1
		.amdhsa_system_sgpr_workgroup_id_y 0
		.amdhsa_system_sgpr_workgroup_id_z 0
		.amdhsa_system_sgpr_workgroup_info 0
		.amdhsa_system_vgpr_workitem_id 0
		.amdhsa_next_free_vgpr 1
		.amdhsa_next_free_sgpr 0
		.amdhsa_accum_offset 4
		.amdhsa_reserve_vcc 0
		.amdhsa_float_round_mode_32 0
		.amdhsa_float_round_mode_16_64 0
		.amdhsa_float_denorm_mode_32 3
		.amdhsa_float_denorm_mode_16_64 3
		.amdhsa_dx10_clamp 1
		.amdhsa_ieee_mode 1
		.amdhsa_fp16_overflow 0
		.amdhsa_tg_split 0
		.amdhsa_exception_fp_ieee_invalid_op 0
		.amdhsa_exception_fp_denorm_src 0
		.amdhsa_exception_fp_ieee_div_zero 0
		.amdhsa_exception_fp_ieee_overflow 0
		.amdhsa_exception_fp_ieee_underflow 0
		.amdhsa_exception_fp_ieee_inexact 0
		.amdhsa_exception_int_div_zero 0
	.end_amdhsa_kernel
	.section	.text._ZN7rocprim17ROCPRIM_400000_NS6detail17trampoline_kernelINS0_14default_configENS1_38merge_sort_block_merge_config_selectorIlNS0_10empty_typeEEEZZNS1_27merge_sort_block_merge_implIS3_PlPS5_mZN2at6native12_GLOBAL__N_124unique_dim_cuda_templateIiEESt5tupleIJNSA_6TensorESF_SF_EERKSF_lbbbEUlllE_EE10hipError_tT0_T1_T2_jT3_P12ihipStream_tbPNSt15iterator_traitsISL_E10value_typeEPNSR_ISM_E10value_typeEPSN_NS1_7vsmem_tEENKUlT_SL_SM_SN_E_clIS8_S8_S9_S9_EESK_S10_SL_SM_SN_EUlS10_E0_NS1_11comp_targetILNS1_3genE3ELNS1_11target_archE908ELNS1_3gpuE7ELNS1_3repE0EEENS1_38merge_mergepath_config_static_selectorELNS0_4arch9wavefront6targetE1EEEvSM_,"axG",@progbits,_ZN7rocprim17ROCPRIM_400000_NS6detail17trampoline_kernelINS0_14default_configENS1_38merge_sort_block_merge_config_selectorIlNS0_10empty_typeEEEZZNS1_27merge_sort_block_merge_implIS3_PlPS5_mZN2at6native12_GLOBAL__N_124unique_dim_cuda_templateIiEESt5tupleIJNSA_6TensorESF_SF_EERKSF_lbbbEUlllE_EE10hipError_tT0_T1_T2_jT3_P12ihipStream_tbPNSt15iterator_traitsISL_E10value_typeEPNSR_ISM_E10value_typeEPSN_NS1_7vsmem_tEENKUlT_SL_SM_SN_E_clIS8_S8_S9_S9_EESK_S10_SL_SM_SN_EUlS10_E0_NS1_11comp_targetILNS1_3genE3ELNS1_11target_archE908ELNS1_3gpuE7ELNS1_3repE0EEENS1_38merge_mergepath_config_static_selectorELNS0_4arch9wavefront6targetE1EEEvSM_,comdat
.Lfunc_end404:
	.size	_ZN7rocprim17ROCPRIM_400000_NS6detail17trampoline_kernelINS0_14default_configENS1_38merge_sort_block_merge_config_selectorIlNS0_10empty_typeEEEZZNS1_27merge_sort_block_merge_implIS3_PlPS5_mZN2at6native12_GLOBAL__N_124unique_dim_cuda_templateIiEESt5tupleIJNSA_6TensorESF_SF_EERKSF_lbbbEUlllE_EE10hipError_tT0_T1_T2_jT3_P12ihipStream_tbPNSt15iterator_traitsISL_E10value_typeEPNSR_ISM_E10value_typeEPSN_NS1_7vsmem_tEENKUlT_SL_SM_SN_E_clIS8_S8_S9_S9_EESK_S10_SL_SM_SN_EUlS10_E0_NS1_11comp_targetILNS1_3genE3ELNS1_11target_archE908ELNS1_3gpuE7ELNS1_3repE0EEENS1_38merge_mergepath_config_static_selectorELNS0_4arch9wavefront6targetE1EEEvSM_, .Lfunc_end404-_ZN7rocprim17ROCPRIM_400000_NS6detail17trampoline_kernelINS0_14default_configENS1_38merge_sort_block_merge_config_selectorIlNS0_10empty_typeEEEZZNS1_27merge_sort_block_merge_implIS3_PlPS5_mZN2at6native12_GLOBAL__N_124unique_dim_cuda_templateIiEESt5tupleIJNSA_6TensorESF_SF_EERKSF_lbbbEUlllE_EE10hipError_tT0_T1_T2_jT3_P12ihipStream_tbPNSt15iterator_traitsISL_E10value_typeEPNSR_ISM_E10value_typeEPSN_NS1_7vsmem_tEENKUlT_SL_SM_SN_E_clIS8_S8_S9_S9_EESK_S10_SL_SM_SN_EUlS10_E0_NS1_11comp_targetILNS1_3genE3ELNS1_11target_archE908ELNS1_3gpuE7ELNS1_3repE0EEENS1_38merge_mergepath_config_static_selectorELNS0_4arch9wavefront6targetE1EEEvSM_
                                        ; -- End function
	.set _ZN7rocprim17ROCPRIM_400000_NS6detail17trampoline_kernelINS0_14default_configENS1_38merge_sort_block_merge_config_selectorIlNS0_10empty_typeEEEZZNS1_27merge_sort_block_merge_implIS3_PlPS5_mZN2at6native12_GLOBAL__N_124unique_dim_cuda_templateIiEESt5tupleIJNSA_6TensorESF_SF_EERKSF_lbbbEUlllE_EE10hipError_tT0_T1_T2_jT3_P12ihipStream_tbPNSt15iterator_traitsISL_E10value_typeEPNSR_ISM_E10value_typeEPSN_NS1_7vsmem_tEENKUlT_SL_SM_SN_E_clIS8_S8_S9_S9_EESK_S10_SL_SM_SN_EUlS10_E0_NS1_11comp_targetILNS1_3genE3ELNS1_11target_archE908ELNS1_3gpuE7ELNS1_3repE0EEENS1_38merge_mergepath_config_static_selectorELNS0_4arch9wavefront6targetE1EEEvSM_.num_vgpr, 0
	.set _ZN7rocprim17ROCPRIM_400000_NS6detail17trampoline_kernelINS0_14default_configENS1_38merge_sort_block_merge_config_selectorIlNS0_10empty_typeEEEZZNS1_27merge_sort_block_merge_implIS3_PlPS5_mZN2at6native12_GLOBAL__N_124unique_dim_cuda_templateIiEESt5tupleIJNSA_6TensorESF_SF_EERKSF_lbbbEUlllE_EE10hipError_tT0_T1_T2_jT3_P12ihipStream_tbPNSt15iterator_traitsISL_E10value_typeEPNSR_ISM_E10value_typeEPSN_NS1_7vsmem_tEENKUlT_SL_SM_SN_E_clIS8_S8_S9_S9_EESK_S10_SL_SM_SN_EUlS10_E0_NS1_11comp_targetILNS1_3genE3ELNS1_11target_archE908ELNS1_3gpuE7ELNS1_3repE0EEENS1_38merge_mergepath_config_static_selectorELNS0_4arch9wavefront6targetE1EEEvSM_.num_agpr, 0
	.set _ZN7rocprim17ROCPRIM_400000_NS6detail17trampoline_kernelINS0_14default_configENS1_38merge_sort_block_merge_config_selectorIlNS0_10empty_typeEEEZZNS1_27merge_sort_block_merge_implIS3_PlPS5_mZN2at6native12_GLOBAL__N_124unique_dim_cuda_templateIiEESt5tupleIJNSA_6TensorESF_SF_EERKSF_lbbbEUlllE_EE10hipError_tT0_T1_T2_jT3_P12ihipStream_tbPNSt15iterator_traitsISL_E10value_typeEPNSR_ISM_E10value_typeEPSN_NS1_7vsmem_tEENKUlT_SL_SM_SN_E_clIS8_S8_S9_S9_EESK_S10_SL_SM_SN_EUlS10_E0_NS1_11comp_targetILNS1_3genE3ELNS1_11target_archE908ELNS1_3gpuE7ELNS1_3repE0EEENS1_38merge_mergepath_config_static_selectorELNS0_4arch9wavefront6targetE1EEEvSM_.numbered_sgpr, 0
	.set _ZN7rocprim17ROCPRIM_400000_NS6detail17trampoline_kernelINS0_14default_configENS1_38merge_sort_block_merge_config_selectorIlNS0_10empty_typeEEEZZNS1_27merge_sort_block_merge_implIS3_PlPS5_mZN2at6native12_GLOBAL__N_124unique_dim_cuda_templateIiEESt5tupleIJNSA_6TensorESF_SF_EERKSF_lbbbEUlllE_EE10hipError_tT0_T1_T2_jT3_P12ihipStream_tbPNSt15iterator_traitsISL_E10value_typeEPNSR_ISM_E10value_typeEPSN_NS1_7vsmem_tEENKUlT_SL_SM_SN_E_clIS8_S8_S9_S9_EESK_S10_SL_SM_SN_EUlS10_E0_NS1_11comp_targetILNS1_3genE3ELNS1_11target_archE908ELNS1_3gpuE7ELNS1_3repE0EEENS1_38merge_mergepath_config_static_selectorELNS0_4arch9wavefront6targetE1EEEvSM_.num_named_barrier, 0
	.set _ZN7rocprim17ROCPRIM_400000_NS6detail17trampoline_kernelINS0_14default_configENS1_38merge_sort_block_merge_config_selectorIlNS0_10empty_typeEEEZZNS1_27merge_sort_block_merge_implIS3_PlPS5_mZN2at6native12_GLOBAL__N_124unique_dim_cuda_templateIiEESt5tupleIJNSA_6TensorESF_SF_EERKSF_lbbbEUlllE_EE10hipError_tT0_T1_T2_jT3_P12ihipStream_tbPNSt15iterator_traitsISL_E10value_typeEPNSR_ISM_E10value_typeEPSN_NS1_7vsmem_tEENKUlT_SL_SM_SN_E_clIS8_S8_S9_S9_EESK_S10_SL_SM_SN_EUlS10_E0_NS1_11comp_targetILNS1_3genE3ELNS1_11target_archE908ELNS1_3gpuE7ELNS1_3repE0EEENS1_38merge_mergepath_config_static_selectorELNS0_4arch9wavefront6targetE1EEEvSM_.private_seg_size, 0
	.set _ZN7rocprim17ROCPRIM_400000_NS6detail17trampoline_kernelINS0_14default_configENS1_38merge_sort_block_merge_config_selectorIlNS0_10empty_typeEEEZZNS1_27merge_sort_block_merge_implIS3_PlPS5_mZN2at6native12_GLOBAL__N_124unique_dim_cuda_templateIiEESt5tupleIJNSA_6TensorESF_SF_EERKSF_lbbbEUlllE_EE10hipError_tT0_T1_T2_jT3_P12ihipStream_tbPNSt15iterator_traitsISL_E10value_typeEPNSR_ISM_E10value_typeEPSN_NS1_7vsmem_tEENKUlT_SL_SM_SN_E_clIS8_S8_S9_S9_EESK_S10_SL_SM_SN_EUlS10_E0_NS1_11comp_targetILNS1_3genE3ELNS1_11target_archE908ELNS1_3gpuE7ELNS1_3repE0EEENS1_38merge_mergepath_config_static_selectorELNS0_4arch9wavefront6targetE1EEEvSM_.uses_vcc, 0
	.set _ZN7rocprim17ROCPRIM_400000_NS6detail17trampoline_kernelINS0_14default_configENS1_38merge_sort_block_merge_config_selectorIlNS0_10empty_typeEEEZZNS1_27merge_sort_block_merge_implIS3_PlPS5_mZN2at6native12_GLOBAL__N_124unique_dim_cuda_templateIiEESt5tupleIJNSA_6TensorESF_SF_EERKSF_lbbbEUlllE_EE10hipError_tT0_T1_T2_jT3_P12ihipStream_tbPNSt15iterator_traitsISL_E10value_typeEPNSR_ISM_E10value_typeEPSN_NS1_7vsmem_tEENKUlT_SL_SM_SN_E_clIS8_S8_S9_S9_EESK_S10_SL_SM_SN_EUlS10_E0_NS1_11comp_targetILNS1_3genE3ELNS1_11target_archE908ELNS1_3gpuE7ELNS1_3repE0EEENS1_38merge_mergepath_config_static_selectorELNS0_4arch9wavefront6targetE1EEEvSM_.uses_flat_scratch, 0
	.set _ZN7rocprim17ROCPRIM_400000_NS6detail17trampoline_kernelINS0_14default_configENS1_38merge_sort_block_merge_config_selectorIlNS0_10empty_typeEEEZZNS1_27merge_sort_block_merge_implIS3_PlPS5_mZN2at6native12_GLOBAL__N_124unique_dim_cuda_templateIiEESt5tupleIJNSA_6TensorESF_SF_EERKSF_lbbbEUlllE_EE10hipError_tT0_T1_T2_jT3_P12ihipStream_tbPNSt15iterator_traitsISL_E10value_typeEPNSR_ISM_E10value_typeEPSN_NS1_7vsmem_tEENKUlT_SL_SM_SN_E_clIS8_S8_S9_S9_EESK_S10_SL_SM_SN_EUlS10_E0_NS1_11comp_targetILNS1_3genE3ELNS1_11target_archE908ELNS1_3gpuE7ELNS1_3repE0EEENS1_38merge_mergepath_config_static_selectorELNS0_4arch9wavefront6targetE1EEEvSM_.has_dyn_sized_stack, 0
	.set _ZN7rocprim17ROCPRIM_400000_NS6detail17trampoline_kernelINS0_14default_configENS1_38merge_sort_block_merge_config_selectorIlNS0_10empty_typeEEEZZNS1_27merge_sort_block_merge_implIS3_PlPS5_mZN2at6native12_GLOBAL__N_124unique_dim_cuda_templateIiEESt5tupleIJNSA_6TensorESF_SF_EERKSF_lbbbEUlllE_EE10hipError_tT0_T1_T2_jT3_P12ihipStream_tbPNSt15iterator_traitsISL_E10value_typeEPNSR_ISM_E10value_typeEPSN_NS1_7vsmem_tEENKUlT_SL_SM_SN_E_clIS8_S8_S9_S9_EESK_S10_SL_SM_SN_EUlS10_E0_NS1_11comp_targetILNS1_3genE3ELNS1_11target_archE908ELNS1_3gpuE7ELNS1_3repE0EEENS1_38merge_mergepath_config_static_selectorELNS0_4arch9wavefront6targetE1EEEvSM_.has_recursion, 0
	.set _ZN7rocprim17ROCPRIM_400000_NS6detail17trampoline_kernelINS0_14default_configENS1_38merge_sort_block_merge_config_selectorIlNS0_10empty_typeEEEZZNS1_27merge_sort_block_merge_implIS3_PlPS5_mZN2at6native12_GLOBAL__N_124unique_dim_cuda_templateIiEESt5tupleIJNSA_6TensorESF_SF_EERKSF_lbbbEUlllE_EE10hipError_tT0_T1_T2_jT3_P12ihipStream_tbPNSt15iterator_traitsISL_E10value_typeEPNSR_ISM_E10value_typeEPSN_NS1_7vsmem_tEENKUlT_SL_SM_SN_E_clIS8_S8_S9_S9_EESK_S10_SL_SM_SN_EUlS10_E0_NS1_11comp_targetILNS1_3genE3ELNS1_11target_archE908ELNS1_3gpuE7ELNS1_3repE0EEENS1_38merge_mergepath_config_static_selectorELNS0_4arch9wavefront6targetE1EEEvSM_.has_indirect_call, 0
	.section	.AMDGPU.csdata,"",@progbits
; Kernel info:
; codeLenInByte = 0
; TotalNumSgprs: 6
; NumVgprs: 0
; NumAgprs: 0
; TotalNumVgprs: 0
; ScratchSize: 0
; MemoryBound: 0
; FloatMode: 240
; IeeeMode: 1
; LDSByteSize: 0 bytes/workgroup (compile time only)
; SGPRBlocks: 0
; VGPRBlocks: 0
; NumSGPRsForWavesPerEU: 6
; NumVGPRsForWavesPerEU: 1
; AccumOffset: 4
; Occupancy: 8
; WaveLimiterHint : 0
; COMPUTE_PGM_RSRC2:SCRATCH_EN: 0
; COMPUTE_PGM_RSRC2:USER_SGPR: 2
; COMPUTE_PGM_RSRC2:TRAP_HANDLER: 0
; COMPUTE_PGM_RSRC2:TGID_X_EN: 1
; COMPUTE_PGM_RSRC2:TGID_Y_EN: 0
; COMPUTE_PGM_RSRC2:TGID_Z_EN: 0
; COMPUTE_PGM_RSRC2:TIDIG_COMP_CNT: 0
; COMPUTE_PGM_RSRC3_GFX90A:ACCUM_OFFSET: 0
; COMPUTE_PGM_RSRC3_GFX90A:TG_SPLIT: 0
	.section	.text._ZN7rocprim17ROCPRIM_400000_NS6detail17trampoline_kernelINS0_14default_configENS1_38merge_sort_block_merge_config_selectorIlNS0_10empty_typeEEEZZNS1_27merge_sort_block_merge_implIS3_PlPS5_mZN2at6native12_GLOBAL__N_124unique_dim_cuda_templateIiEESt5tupleIJNSA_6TensorESF_SF_EERKSF_lbbbEUlllE_EE10hipError_tT0_T1_T2_jT3_P12ihipStream_tbPNSt15iterator_traitsISL_E10value_typeEPNSR_ISM_E10value_typeEPSN_NS1_7vsmem_tEENKUlT_SL_SM_SN_E_clIS8_S8_S9_S9_EESK_S10_SL_SM_SN_EUlS10_E0_NS1_11comp_targetILNS1_3genE2ELNS1_11target_archE906ELNS1_3gpuE6ELNS1_3repE0EEENS1_38merge_mergepath_config_static_selectorELNS0_4arch9wavefront6targetE1EEEvSM_,"axG",@progbits,_ZN7rocprim17ROCPRIM_400000_NS6detail17trampoline_kernelINS0_14default_configENS1_38merge_sort_block_merge_config_selectorIlNS0_10empty_typeEEEZZNS1_27merge_sort_block_merge_implIS3_PlPS5_mZN2at6native12_GLOBAL__N_124unique_dim_cuda_templateIiEESt5tupleIJNSA_6TensorESF_SF_EERKSF_lbbbEUlllE_EE10hipError_tT0_T1_T2_jT3_P12ihipStream_tbPNSt15iterator_traitsISL_E10value_typeEPNSR_ISM_E10value_typeEPSN_NS1_7vsmem_tEENKUlT_SL_SM_SN_E_clIS8_S8_S9_S9_EESK_S10_SL_SM_SN_EUlS10_E0_NS1_11comp_targetILNS1_3genE2ELNS1_11target_archE906ELNS1_3gpuE6ELNS1_3repE0EEENS1_38merge_mergepath_config_static_selectorELNS0_4arch9wavefront6targetE1EEEvSM_,comdat
	.globl	_ZN7rocprim17ROCPRIM_400000_NS6detail17trampoline_kernelINS0_14default_configENS1_38merge_sort_block_merge_config_selectorIlNS0_10empty_typeEEEZZNS1_27merge_sort_block_merge_implIS3_PlPS5_mZN2at6native12_GLOBAL__N_124unique_dim_cuda_templateIiEESt5tupleIJNSA_6TensorESF_SF_EERKSF_lbbbEUlllE_EE10hipError_tT0_T1_T2_jT3_P12ihipStream_tbPNSt15iterator_traitsISL_E10value_typeEPNSR_ISM_E10value_typeEPSN_NS1_7vsmem_tEENKUlT_SL_SM_SN_E_clIS8_S8_S9_S9_EESK_S10_SL_SM_SN_EUlS10_E0_NS1_11comp_targetILNS1_3genE2ELNS1_11target_archE906ELNS1_3gpuE6ELNS1_3repE0EEENS1_38merge_mergepath_config_static_selectorELNS0_4arch9wavefront6targetE1EEEvSM_ ; -- Begin function _ZN7rocprim17ROCPRIM_400000_NS6detail17trampoline_kernelINS0_14default_configENS1_38merge_sort_block_merge_config_selectorIlNS0_10empty_typeEEEZZNS1_27merge_sort_block_merge_implIS3_PlPS5_mZN2at6native12_GLOBAL__N_124unique_dim_cuda_templateIiEESt5tupleIJNSA_6TensorESF_SF_EERKSF_lbbbEUlllE_EE10hipError_tT0_T1_T2_jT3_P12ihipStream_tbPNSt15iterator_traitsISL_E10value_typeEPNSR_ISM_E10value_typeEPSN_NS1_7vsmem_tEENKUlT_SL_SM_SN_E_clIS8_S8_S9_S9_EESK_S10_SL_SM_SN_EUlS10_E0_NS1_11comp_targetILNS1_3genE2ELNS1_11target_archE906ELNS1_3gpuE6ELNS1_3repE0EEENS1_38merge_mergepath_config_static_selectorELNS0_4arch9wavefront6targetE1EEEvSM_
	.p2align	8
	.type	_ZN7rocprim17ROCPRIM_400000_NS6detail17trampoline_kernelINS0_14default_configENS1_38merge_sort_block_merge_config_selectorIlNS0_10empty_typeEEEZZNS1_27merge_sort_block_merge_implIS3_PlPS5_mZN2at6native12_GLOBAL__N_124unique_dim_cuda_templateIiEESt5tupleIJNSA_6TensorESF_SF_EERKSF_lbbbEUlllE_EE10hipError_tT0_T1_T2_jT3_P12ihipStream_tbPNSt15iterator_traitsISL_E10value_typeEPNSR_ISM_E10value_typeEPSN_NS1_7vsmem_tEENKUlT_SL_SM_SN_E_clIS8_S8_S9_S9_EESK_S10_SL_SM_SN_EUlS10_E0_NS1_11comp_targetILNS1_3genE2ELNS1_11target_archE906ELNS1_3gpuE6ELNS1_3repE0EEENS1_38merge_mergepath_config_static_selectorELNS0_4arch9wavefront6targetE1EEEvSM_,@function
_ZN7rocprim17ROCPRIM_400000_NS6detail17trampoline_kernelINS0_14default_configENS1_38merge_sort_block_merge_config_selectorIlNS0_10empty_typeEEEZZNS1_27merge_sort_block_merge_implIS3_PlPS5_mZN2at6native12_GLOBAL__N_124unique_dim_cuda_templateIiEESt5tupleIJNSA_6TensorESF_SF_EERKSF_lbbbEUlllE_EE10hipError_tT0_T1_T2_jT3_P12ihipStream_tbPNSt15iterator_traitsISL_E10value_typeEPNSR_ISM_E10value_typeEPSN_NS1_7vsmem_tEENKUlT_SL_SM_SN_E_clIS8_S8_S9_S9_EESK_S10_SL_SM_SN_EUlS10_E0_NS1_11comp_targetILNS1_3genE2ELNS1_11target_archE906ELNS1_3gpuE6ELNS1_3repE0EEENS1_38merge_mergepath_config_static_selectorELNS0_4arch9wavefront6targetE1EEEvSM_: ; @_ZN7rocprim17ROCPRIM_400000_NS6detail17trampoline_kernelINS0_14default_configENS1_38merge_sort_block_merge_config_selectorIlNS0_10empty_typeEEEZZNS1_27merge_sort_block_merge_implIS3_PlPS5_mZN2at6native12_GLOBAL__N_124unique_dim_cuda_templateIiEESt5tupleIJNSA_6TensorESF_SF_EERKSF_lbbbEUlllE_EE10hipError_tT0_T1_T2_jT3_P12ihipStream_tbPNSt15iterator_traitsISL_E10value_typeEPNSR_ISM_E10value_typeEPSN_NS1_7vsmem_tEENKUlT_SL_SM_SN_E_clIS8_S8_S9_S9_EESK_S10_SL_SM_SN_EUlS10_E0_NS1_11comp_targetILNS1_3genE2ELNS1_11target_archE906ELNS1_3gpuE6ELNS1_3repE0EEENS1_38merge_mergepath_config_static_selectorELNS0_4arch9wavefront6targetE1EEEvSM_
; %bb.0:
	.section	.rodata,"a",@progbits
	.p2align	6, 0x0
	.amdhsa_kernel _ZN7rocprim17ROCPRIM_400000_NS6detail17trampoline_kernelINS0_14default_configENS1_38merge_sort_block_merge_config_selectorIlNS0_10empty_typeEEEZZNS1_27merge_sort_block_merge_implIS3_PlPS5_mZN2at6native12_GLOBAL__N_124unique_dim_cuda_templateIiEESt5tupleIJNSA_6TensorESF_SF_EERKSF_lbbbEUlllE_EE10hipError_tT0_T1_T2_jT3_P12ihipStream_tbPNSt15iterator_traitsISL_E10value_typeEPNSR_ISM_E10value_typeEPSN_NS1_7vsmem_tEENKUlT_SL_SM_SN_E_clIS8_S8_S9_S9_EESK_S10_SL_SM_SN_EUlS10_E0_NS1_11comp_targetILNS1_3genE2ELNS1_11target_archE906ELNS1_3gpuE6ELNS1_3repE0EEENS1_38merge_mergepath_config_static_selectorELNS0_4arch9wavefront6targetE1EEEvSM_
		.amdhsa_group_segment_fixed_size 0
		.amdhsa_private_segment_fixed_size 0
		.amdhsa_kernarg_size 88
		.amdhsa_user_sgpr_count 2
		.amdhsa_user_sgpr_dispatch_ptr 0
		.amdhsa_user_sgpr_queue_ptr 0
		.amdhsa_user_sgpr_kernarg_segment_ptr 1
		.amdhsa_user_sgpr_dispatch_id 0
		.amdhsa_user_sgpr_kernarg_preload_length 0
		.amdhsa_user_sgpr_kernarg_preload_offset 0
		.amdhsa_user_sgpr_private_segment_size 0
		.amdhsa_uses_dynamic_stack 0
		.amdhsa_enable_private_segment 0
		.amdhsa_system_sgpr_workgroup_id_x 1
		.amdhsa_system_sgpr_workgroup_id_y 0
		.amdhsa_system_sgpr_workgroup_id_z 0
		.amdhsa_system_sgpr_workgroup_info 0
		.amdhsa_system_vgpr_workitem_id 0
		.amdhsa_next_free_vgpr 1
		.amdhsa_next_free_sgpr 0
		.amdhsa_accum_offset 4
		.amdhsa_reserve_vcc 0
		.amdhsa_float_round_mode_32 0
		.amdhsa_float_round_mode_16_64 0
		.amdhsa_float_denorm_mode_32 3
		.amdhsa_float_denorm_mode_16_64 3
		.amdhsa_dx10_clamp 1
		.amdhsa_ieee_mode 1
		.amdhsa_fp16_overflow 0
		.amdhsa_tg_split 0
		.amdhsa_exception_fp_ieee_invalid_op 0
		.amdhsa_exception_fp_denorm_src 0
		.amdhsa_exception_fp_ieee_div_zero 0
		.amdhsa_exception_fp_ieee_overflow 0
		.amdhsa_exception_fp_ieee_underflow 0
		.amdhsa_exception_fp_ieee_inexact 0
		.amdhsa_exception_int_div_zero 0
	.end_amdhsa_kernel
	.section	.text._ZN7rocprim17ROCPRIM_400000_NS6detail17trampoline_kernelINS0_14default_configENS1_38merge_sort_block_merge_config_selectorIlNS0_10empty_typeEEEZZNS1_27merge_sort_block_merge_implIS3_PlPS5_mZN2at6native12_GLOBAL__N_124unique_dim_cuda_templateIiEESt5tupleIJNSA_6TensorESF_SF_EERKSF_lbbbEUlllE_EE10hipError_tT0_T1_T2_jT3_P12ihipStream_tbPNSt15iterator_traitsISL_E10value_typeEPNSR_ISM_E10value_typeEPSN_NS1_7vsmem_tEENKUlT_SL_SM_SN_E_clIS8_S8_S9_S9_EESK_S10_SL_SM_SN_EUlS10_E0_NS1_11comp_targetILNS1_3genE2ELNS1_11target_archE906ELNS1_3gpuE6ELNS1_3repE0EEENS1_38merge_mergepath_config_static_selectorELNS0_4arch9wavefront6targetE1EEEvSM_,"axG",@progbits,_ZN7rocprim17ROCPRIM_400000_NS6detail17trampoline_kernelINS0_14default_configENS1_38merge_sort_block_merge_config_selectorIlNS0_10empty_typeEEEZZNS1_27merge_sort_block_merge_implIS3_PlPS5_mZN2at6native12_GLOBAL__N_124unique_dim_cuda_templateIiEESt5tupleIJNSA_6TensorESF_SF_EERKSF_lbbbEUlllE_EE10hipError_tT0_T1_T2_jT3_P12ihipStream_tbPNSt15iterator_traitsISL_E10value_typeEPNSR_ISM_E10value_typeEPSN_NS1_7vsmem_tEENKUlT_SL_SM_SN_E_clIS8_S8_S9_S9_EESK_S10_SL_SM_SN_EUlS10_E0_NS1_11comp_targetILNS1_3genE2ELNS1_11target_archE906ELNS1_3gpuE6ELNS1_3repE0EEENS1_38merge_mergepath_config_static_selectorELNS0_4arch9wavefront6targetE1EEEvSM_,comdat
.Lfunc_end405:
	.size	_ZN7rocprim17ROCPRIM_400000_NS6detail17trampoline_kernelINS0_14default_configENS1_38merge_sort_block_merge_config_selectorIlNS0_10empty_typeEEEZZNS1_27merge_sort_block_merge_implIS3_PlPS5_mZN2at6native12_GLOBAL__N_124unique_dim_cuda_templateIiEESt5tupleIJNSA_6TensorESF_SF_EERKSF_lbbbEUlllE_EE10hipError_tT0_T1_T2_jT3_P12ihipStream_tbPNSt15iterator_traitsISL_E10value_typeEPNSR_ISM_E10value_typeEPSN_NS1_7vsmem_tEENKUlT_SL_SM_SN_E_clIS8_S8_S9_S9_EESK_S10_SL_SM_SN_EUlS10_E0_NS1_11comp_targetILNS1_3genE2ELNS1_11target_archE906ELNS1_3gpuE6ELNS1_3repE0EEENS1_38merge_mergepath_config_static_selectorELNS0_4arch9wavefront6targetE1EEEvSM_, .Lfunc_end405-_ZN7rocprim17ROCPRIM_400000_NS6detail17trampoline_kernelINS0_14default_configENS1_38merge_sort_block_merge_config_selectorIlNS0_10empty_typeEEEZZNS1_27merge_sort_block_merge_implIS3_PlPS5_mZN2at6native12_GLOBAL__N_124unique_dim_cuda_templateIiEESt5tupleIJNSA_6TensorESF_SF_EERKSF_lbbbEUlllE_EE10hipError_tT0_T1_T2_jT3_P12ihipStream_tbPNSt15iterator_traitsISL_E10value_typeEPNSR_ISM_E10value_typeEPSN_NS1_7vsmem_tEENKUlT_SL_SM_SN_E_clIS8_S8_S9_S9_EESK_S10_SL_SM_SN_EUlS10_E0_NS1_11comp_targetILNS1_3genE2ELNS1_11target_archE906ELNS1_3gpuE6ELNS1_3repE0EEENS1_38merge_mergepath_config_static_selectorELNS0_4arch9wavefront6targetE1EEEvSM_
                                        ; -- End function
	.set _ZN7rocprim17ROCPRIM_400000_NS6detail17trampoline_kernelINS0_14default_configENS1_38merge_sort_block_merge_config_selectorIlNS0_10empty_typeEEEZZNS1_27merge_sort_block_merge_implIS3_PlPS5_mZN2at6native12_GLOBAL__N_124unique_dim_cuda_templateIiEESt5tupleIJNSA_6TensorESF_SF_EERKSF_lbbbEUlllE_EE10hipError_tT0_T1_T2_jT3_P12ihipStream_tbPNSt15iterator_traitsISL_E10value_typeEPNSR_ISM_E10value_typeEPSN_NS1_7vsmem_tEENKUlT_SL_SM_SN_E_clIS8_S8_S9_S9_EESK_S10_SL_SM_SN_EUlS10_E0_NS1_11comp_targetILNS1_3genE2ELNS1_11target_archE906ELNS1_3gpuE6ELNS1_3repE0EEENS1_38merge_mergepath_config_static_selectorELNS0_4arch9wavefront6targetE1EEEvSM_.num_vgpr, 0
	.set _ZN7rocprim17ROCPRIM_400000_NS6detail17trampoline_kernelINS0_14default_configENS1_38merge_sort_block_merge_config_selectorIlNS0_10empty_typeEEEZZNS1_27merge_sort_block_merge_implIS3_PlPS5_mZN2at6native12_GLOBAL__N_124unique_dim_cuda_templateIiEESt5tupleIJNSA_6TensorESF_SF_EERKSF_lbbbEUlllE_EE10hipError_tT0_T1_T2_jT3_P12ihipStream_tbPNSt15iterator_traitsISL_E10value_typeEPNSR_ISM_E10value_typeEPSN_NS1_7vsmem_tEENKUlT_SL_SM_SN_E_clIS8_S8_S9_S9_EESK_S10_SL_SM_SN_EUlS10_E0_NS1_11comp_targetILNS1_3genE2ELNS1_11target_archE906ELNS1_3gpuE6ELNS1_3repE0EEENS1_38merge_mergepath_config_static_selectorELNS0_4arch9wavefront6targetE1EEEvSM_.num_agpr, 0
	.set _ZN7rocprim17ROCPRIM_400000_NS6detail17trampoline_kernelINS0_14default_configENS1_38merge_sort_block_merge_config_selectorIlNS0_10empty_typeEEEZZNS1_27merge_sort_block_merge_implIS3_PlPS5_mZN2at6native12_GLOBAL__N_124unique_dim_cuda_templateIiEESt5tupleIJNSA_6TensorESF_SF_EERKSF_lbbbEUlllE_EE10hipError_tT0_T1_T2_jT3_P12ihipStream_tbPNSt15iterator_traitsISL_E10value_typeEPNSR_ISM_E10value_typeEPSN_NS1_7vsmem_tEENKUlT_SL_SM_SN_E_clIS8_S8_S9_S9_EESK_S10_SL_SM_SN_EUlS10_E0_NS1_11comp_targetILNS1_3genE2ELNS1_11target_archE906ELNS1_3gpuE6ELNS1_3repE0EEENS1_38merge_mergepath_config_static_selectorELNS0_4arch9wavefront6targetE1EEEvSM_.numbered_sgpr, 0
	.set _ZN7rocprim17ROCPRIM_400000_NS6detail17trampoline_kernelINS0_14default_configENS1_38merge_sort_block_merge_config_selectorIlNS0_10empty_typeEEEZZNS1_27merge_sort_block_merge_implIS3_PlPS5_mZN2at6native12_GLOBAL__N_124unique_dim_cuda_templateIiEESt5tupleIJNSA_6TensorESF_SF_EERKSF_lbbbEUlllE_EE10hipError_tT0_T1_T2_jT3_P12ihipStream_tbPNSt15iterator_traitsISL_E10value_typeEPNSR_ISM_E10value_typeEPSN_NS1_7vsmem_tEENKUlT_SL_SM_SN_E_clIS8_S8_S9_S9_EESK_S10_SL_SM_SN_EUlS10_E0_NS1_11comp_targetILNS1_3genE2ELNS1_11target_archE906ELNS1_3gpuE6ELNS1_3repE0EEENS1_38merge_mergepath_config_static_selectorELNS0_4arch9wavefront6targetE1EEEvSM_.num_named_barrier, 0
	.set _ZN7rocprim17ROCPRIM_400000_NS6detail17trampoline_kernelINS0_14default_configENS1_38merge_sort_block_merge_config_selectorIlNS0_10empty_typeEEEZZNS1_27merge_sort_block_merge_implIS3_PlPS5_mZN2at6native12_GLOBAL__N_124unique_dim_cuda_templateIiEESt5tupleIJNSA_6TensorESF_SF_EERKSF_lbbbEUlllE_EE10hipError_tT0_T1_T2_jT3_P12ihipStream_tbPNSt15iterator_traitsISL_E10value_typeEPNSR_ISM_E10value_typeEPSN_NS1_7vsmem_tEENKUlT_SL_SM_SN_E_clIS8_S8_S9_S9_EESK_S10_SL_SM_SN_EUlS10_E0_NS1_11comp_targetILNS1_3genE2ELNS1_11target_archE906ELNS1_3gpuE6ELNS1_3repE0EEENS1_38merge_mergepath_config_static_selectorELNS0_4arch9wavefront6targetE1EEEvSM_.private_seg_size, 0
	.set _ZN7rocprim17ROCPRIM_400000_NS6detail17trampoline_kernelINS0_14default_configENS1_38merge_sort_block_merge_config_selectorIlNS0_10empty_typeEEEZZNS1_27merge_sort_block_merge_implIS3_PlPS5_mZN2at6native12_GLOBAL__N_124unique_dim_cuda_templateIiEESt5tupleIJNSA_6TensorESF_SF_EERKSF_lbbbEUlllE_EE10hipError_tT0_T1_T2_jT3_P12ihipStream_tbPNSt15iterator_traitsISL_E10value_typeEPNSR_ISM_E10value_typeEPSN_NS1_7vsmem_tEENKUlT_SL_SM_SN_E_clIS8_S8_S9_S9_EESK_S10_SL_SM_SN_EUlS10_E0_NS1_11comp_targetILNS1_3genE2ELNS1_11target_archE906ELNS1_3gpuE6ELNS1_3repE0EEENS1_38merge_mergepath_config_static_selectorELNS0_4arch9wavefront6targetE1EEEvSM_.uses_vcc, 0
	.set _ZN7rocprim17ROCPRIM_400000_NS6detail17trampoline_kernelINS0_14default_configENS1_38merge_sort_block_merge_config_selectorIlNS0_10empty_typeEEEZZNS1_27merge_sort_block_merge_implIS3_PlPS5_mZN2at6native12_GLOBAL__N_124unique_dim_cuda_templateIiEESt5tupleIJNSA_6TensorESF_SF_EERKSF_lbbbEUlllE_EE10hipError_tT0_T1_T2_jT3_P12ihipStream_tbPNSt15iterator_traitsISL_E10value_typeEPNSR_ISM_E10value_typeEPSN_NS1_7vsmem_tEENKUlT_SL_SM_SN_E_clIS8_S8_S9_S9_EESK_S10_SL_SM_SN_EUlS10_E0_NS1_11comp_targetILNS1_3genE2ELNS1_11target_archE906ELNS1_3gpuE6ELNS1_3repE0EEENS1_38merge_mergepath_config_static_selectorELNS0_4arch9wavefront6targetE1EEEvSM_.uses_flat_scratch, 0
	.set _ZN7rocprim17ROCPRIM_400000_NS6detail17trampoline_kernelINS0_14default_configENS1_38merge_sort_block_merge_config_selectorIlNS0_10empty_typeEEEZZNS1_27merge_sort_block_merge_implIS3_PlPS5_mZN2at6native12_GLOBAL__N_124unique_dim_cuda_templateIiEESt5tupleIJNSA_6TensorESF_SF_EERKSF_lbbbEUlllE_EE10hipError_tT0_T1_T2_jT3_P12ihipStream_tbPNSt15iterator_traitsISL_E10value_typeEPNSR_ISM_E10value_typeEPSN_NS1_7vsmem_tEENKUlT_SL_SM_SN_E_clIS8_S8_S9_S9_EESK_S10_SL_SM_SN_EUlS10_E0_NS1_11comp_targetILNS1_3genE2ELNS1_11target_archE906ELNS1_3gpuE6ELNS1_3repE0EEENS1_38merge_mergepath_config_static_selectorELNS0_4arch9wavefront6targetE1EEEvSM_.has_dyn_sized_stack, 0
	.set _ZN7rocprim17ROCPRIM_400000_NS6detail17trampoline_kernelINS0_14default_configENS1_38merge_sort_block_merge_config_selectorIlNS0_10empty_typeEEEZZNS1_27merge_sort_block_merge_implIS3_PlPS5_mZN2at6native12_GLOBAL__N_124unique_dim_cuda_templateIiEESt5tupleIJNSA_6TensorESF_SF_EERKSF_lbbbEUlllE_EE10hipError_tT0_T1_T2_jT3_P12ihipStream_tbPNSt15iterator_traitsISL_E10value_typeEPNSR_ISM_E10value_typeEPSN_NS1_7vsmem_tEENKUlT_SL_SM_SN_E_clIS8_S8_S9_S9_EESK_S10_SL_SM_SN_EUlS10_E0_NS1_11comp_targetILNS1_3genE2ELNS1_11target_archE906ELNS1_3gpuE6ELNS1_3repE0EEENS1_38merge_mergepath_config_static_selectorELNS0_4arch9wavefront6targetE1EEEvSM_.has_recursion, 0
	.set _ZN7rocprim17ROCPRIM_400000_NS6detail17trampoline_kernelINS0_14default_configENS1_38merge_sort_block_merge_config_selectorIlNS0_10empty_typeEEEZZNS1_27merge_sort_block_merge_implIS3_PlPS5_mZN2at6native12_GLOBAL__N_124unique_dim_cuda_templateIiEESt5tupleIJNSA_6TensorESF_SF_EERKSF_lbbbEUlllE_EE10hipError_tT0_T1_T2_jT3_P12ihipStream_tbPNSt15iterator_traitsISL_E10value_typeEPNSR_ISM_E10value_typeEPSN_NS1_7vsmem_tEENKUlT_SL_SM_SN_E_clIS8_S8_S9_S9_EESK_S10_SL_SM_SN_EUlS10_E0_NS1_11comp_targetILNS1_3genE2ELNS1_11target_archE906ELNS1_3gpuE6ELNS1_3repE0EEENS1_38merge_mergepath_config_static_selectorELNS0_4arch9wavefront6targetE1EEEvSM_.has_indirect_call, 0
	.section	.AMDGPU.csdata,"",@progbits
; Kernel info:
; codeLenInByte = 0
; TotalNumSgprs: 6
; NumVgprs: 0
; NumAgprs: 0
; TotalNumVgprs: 0
; ScratchSize: 0
; MemoryBound: 0
; FloatMode: 240
; IeeeMode: 1
; LDSByteSize: 0 bytes/workgroup (compile time only)
; SGPRBlocks: 0
; VGPRBlocks: 0
; NumSGPRsForWavesPerEU: 6
; NumVGPRsForWavesPerEU: 1
; AccumOffset: 4
; Occupancy: 8
; WaveLimiterHint : 0
; COMPUTE_PGM_RSRC2:SCRATCH_EN: 0
; COMPUTE_PGM_RSRC2:USER_SGPR: 2
; COMPUTE_PGM_RSRC2:TRAP_HANDLER: 0
; COMPUTE_PGM_RSRC2:TGID_X_EN: 1
; COMPUTE_PGM_RSRC2:TGID_Y_EN: 0
; COMPUTE_PGM_RSRC2:TGID_Z_EN: 0
; COMPUTE_PGM_RSRC2:TIDIG_COMP_CNT: 0
; COMPUTE_PGM_RSRC3_GFX90A:ACCUM_OFFSET: 0
; COMPUTE_PGM_RSRC3_GFX90A:TG_SPLIT: 0
	.section	.text._ZN7rocprim17ROCPRIM_400000_NS6detail17trampoline_kernelINS0_14default_configENS1_38merge_sort_block_merge_config_selectorIlNS0_10empty_typeEEEZZNS1_27merge_sort_block_merge_implIS3_PlPS5_mZN2at6native12_GLOBAL__N_124unique_dim_cuda_templateIiEESt5tupleIJNSA_6TensorESF_SF_EERKSF_lbbbEUlllE_EE10hipError_tT0_T1_T2_jT3_P12ihipStream_tbPNSt15iterator_traitsISL_E10value_typeEPNSR_ISM_E10value_typeEPSN_NS1_7vsmem_tEENKUlT_SL_SM_SN_E_clIS8_S8_S9_S9_EESK_S10_SL_SM_SN_EUlS10_E0_NS1_11comp_targetILNS1_3genE9ELNS1_11target_archE1100ELNS1_3gpuE3ELNS1_3repE0EEENS1_38merge_mergepath_config_static_selectorELNS0_4arch9wavefront6targetE1EEEvSM_,"axG",@progbits,_ZN7rocprim17ROCPRIM_400000_NS6detail17trampoline_kernelINS0_14default_configENS1_38merge_sort_block_merge_config_selectorIlNS0_10empty_typeEEEZZNS1_27merge_sort_block_merge_implIS3_PlPS5_mZN2at6native12_GLOBAL__N_124unique_dim_cuda_templateIiEESt5tupleIJNSA_6TensorESF_SF_EERKSF_lbbbEUlllE_EE10hipError_tT0_T1_T2_jT3_P12ihipStream_tbPNSt15iterator_traitsISL_E10value_typeEPNSR_ISM_E10value_typeEPSN_NS1_7vsmem_tEENKUlT_SL_SM_SN_E_clIS8_S8_S9_S9_EESK_S10_SL_SM_SN_EUlS10_E0_NS1_11comp_targetILNS1_3genE9ELNS1_11target_archE1100ELNS1_3gpuE3ELNS1_3repE0EEENS1_38merge_mergepath_config_static_selectorELNS0_4arch9wavefront6targetE1EEEvSM_,comdat
	.globl	_ZN7rocprim17ROCPRIM_400000_NS6detail17trampoline_kernelINS0_14default_configENS1_38merge_sort_block_merge_config_selectorIlNS0_10empty_typeEEEZZNS1_27merge_sort_block_merge_implIS3_PlPS5_mZN2at6native12_GLOBAL__N_124unique_dim_cuda_templateIiEESt5tupleIJNSA_6TensorESF_SF_EERKSF_lbbbEUlllE_EE10hipError_tT0_T1_T2_jT3_P12ihipStream_tbPNSt15iterator_traitsISL_E10value_typeEPNSR_ISM_E10value_typeEPSN_NS1_7vsmem_tEENKUlT_SL_SM_SN_E_clIS8_S8_S9_S9_EESK_S10_SL_SM_SN_EUlS10_E0_NS1_11comp_targetILNS1_3genE9ELNS1_11target_archE1100ELNS1_3gpuE3ELNS1_3repE0EEENS1_38merge_mergepath_config_static_selectorELNS0_4arch9wavefront6targetE1EEEvSM_ ; -- Begin function _ZN7rocprim17ROCPRIM_400000_NS6detail17trampoline_kernelINS0_14default_configENS1_38merge_sort_block_merge_config_selectorIlNS0_10empty_typeEEEZZNS1_27merge_sort_block_merge_implIS3_PlPS5_mZN2at6native12_GLOBAL__N_124unique_dim_cuda_templateIiEESt5tupleIJNSA_6TensorESF_SF_EERKSF_lbbbEUlllE_EE10hipError_tT0_T1_T2_jT3_P12ihipStream_tbPNSt15iterator_traitsISL_E10value_typeEPNSR_ISM_E10value_typeEPSN_NS1_7vsmem_tEENKUlT_SL_SM_SN_E_clIS8_S8_S9_S9_EESK_S10_SL_SM_SN_EUlS10_E0_NS1_11comp_targetILNS1_3genE9ELNS1_11target_archE1100ELNS1_3gpuE3ELNS1_3repE0EEENS1_38merge_mergepath_config_static_selectorELNS0_4arch9wavefront6targetE1EEEvSM_
	.p2align	8
	.type	_ZN7rocprim17ROCPRIM_400000_NS6detail17trampoline_kernelINS0_14default_configENS1_38merge_sort_block_merge_config_selectorIlNS0_10empty_typeEEEZZNS1_27merge_sort_block_merge_implIS3_PlPS5_mZN2at6native12_GLOBAL__N_124unique_dim_cuda_templateIiEESt5tupleIJNSA_6TensorESF_SF_EERKSF_lbbbEUlllE_EE10hipError_tT0_T1_T2_jT3_P12ihipStream_tbPNSt15iterator_traitsISL_E10value_typeEPNSR_ISM_E10value_typeEPSN_NS1_7vsmem_tEENKUlT_SL_SM_SN_E_clIS8_S8_S9_S9_EESK_S10_SL_SM_SN_EUlS10_E0_NS1_11comp_targetILNS1_3genE9ELNS1_11target_archE1100ELNS1_3gpuE3ELNS1_3repE0EEENS1_38merge_mergepath_config_static_selectorELNS0_4arch9wavefront6targetE1EEEvSM_,@function
_ZN7rocprim17ROCPRIM_400000_NS6detail17trampoline_kernelINS0_14default_configENS1_38merge_sort_block_merge_config_selectorIlNS0_10empty_typeEEEZZNS1_27merge_sort_block_merge_implIS3_PlPS5_mZN2at6native12_GLOBAL__N_124unique_dim_cuda_templateIiEESt5tupleIJNSA_6TensorESF_SF_EERKSF_lbbbEUlllE_EE10hipError_tT0_T1_T2_jT3_P12ihipStream_tbPNSt15iterator_traitsISL_E10value_typeEPNSR_ISM_E10value_typeEPSN_NS1_7vsmem_tEENKUlT_SL_SM_SN_E_clIS8_S8_S9_S9_EESK_S10_SL_SM_SN_EUlS10_E0_NS1_11comp_targetILNS1_3genE9ELNS1_11target_archE1100ELNS1_3gpuE3ELNS1_3repE0EEENS1_38merge_mergepath_config_static_selectorELNS0_4arch9wavefront6targetE1EEEvSM_: ; @_ZN7rocprim17ROCPRIM_400000_NS6detail17trampoline_kernelINS0_14default_configENS1_38merge_sort_block_merge_config_selectorIlNS0_10empty_typeEEEZZNS1_27merge_sort_block_merge_implIS3_PlPS5_mZN2at6native12_GLOBAL__N_124unique_dim_cuda_templateIiEESt5tupleIJNSA_6TensorESF_SF_EERKSF_lbbbEUlllE_EE10hipError_tT0_T1_T2_jT3_P12ihipStream_tbPNSt15iterator_traitsISL_E10value_typeEPNSR_ISM_E10value_typeEPSN_NS1_7vsmem_tEENKUlT_SL_SM_SN_E_clIS8_S8_S9_S9_EESK_S10_SL_SM_SN_EUlS10_E0_NS1_11comp_targetILNS1_3genE9ELNS1_11target_archE1100ELNS1_3gpuE3ELNS1_3repE0EEENS1_38merge_mergepath_config_static_selectorELNS0_4arch9wavefront6targetE1EEEvSM_
; %bb.0:
	.section	.rodata,"a",@progbits
	.p2align	6, 0x0
	.amdhsa_kernel _ZN7rocprim17ROCPRIM_400000_NS6detail17trampoline_kernelINS0_14default_configENS1_38merge_sort_block_merge_config_selectorIlNS0_10empty_typeEEEZZNS1_27merge_sort_block_merge_implIS3_PlPS5_mZN2at6native12_GLOBAL__N_124unique_dim_cuda_templateIiEESt5tupleIJNSA_6TensorESF_SF_EERKSF_lbbbEUlllE_EE10hipError_tT0_T1_T2_jT3_P12ihipStream_tbPNSt15iterator_traitsISL_E10value_typeEPNSR_ISM_E10value_typeEPSN_NS1_7vsmem_tEENKUlT_SL_SM_SN_E_clIS8_S8_S9_S9_EESK_S10_SL_SM_SN_EUlS10_E0_NS1_11comp_targetILNS1_3genE9ELNS1_11target_archE1100ELNS1_3gpuE3ELNS1_3repE0EEENS1_38merge_mergepath_config_static_selectorELNS0_4arch9wavefront6targetE1EEEvSM_
		.amdhsa_group_segment_fixed_size 0
		.amdhsa_private_segment_fixed_size 0
		.amdhsa_kernarg_size 88
		.amdhsa_user_sgpr_count 2
		.amdhsa_user_sgpr_dispatch_ptr 0
		.amdhsa_user_sgpr_queue_ptr 0
		.amdhsa_user_sgpr_kernarg_segment_ptr 1
		.amdhsa_user_sgpr_dispatch_id 0
		.amdhsa_user_sgpr_kernarg_preload_length 0
		.amdhsa_user_sgpr_kernarg_preload_offset 0
		.amdhsa_user_sgpr_private_segment_size 0
		.amdhsa_uses_dynamic_stack 0
		.amdhsa_enable_private_segment 0
		.amdhsa_system_sgpr_workgroup_id_x 1
		.amdhsa_system_sgpr_workgroup_id_y 0
		.amdhsa_system_sgpr_workgroup_id_z 0
		.amdhsa_system_sgpr_workgroup_info 0
		.amdhsa_system_vgpr_workitem_id 0
		.amdhsa_next_free_vgpr 1
		.amdhsa_next_free_sgpr 0
		.amdhsa_accum_offset 4
		.amdhsa_reserve_vcc 0
		.amdhsa_float_round_mode_32 0
		.amdhsa_float_round_mode_16_64 0
		.amdhsa_float_denorm_mode_32 3
		.amdhsa_float_denorm_mode_16_64 3
		.amdhsa_dx10_clamp 1
		.amdhsa_ieee_mode 1
		.amdhsa_fp16_overflow 0
		.amdhsa_tg_split 0
		.amdhsa_exception_fp_ieee_invalid_op 0
		.amdhsa_exception_fp_denorm_src 0
		.amdhsa_exception_fp_ieee_div_zero 0
		.amdhsa_exception_fp_ieee_overflow 0
		.amdhsa_exception_fp_ieee_underflow 0
		.amdhsa_exception_fp_ieee_inexact 0
		.amdhsa_exception_int_div_zero 0
	.end_amdhsa_kernel
	.section	.text._ZN7rocprim17ROCPRIM_400000_NS6detail17trampoline_kernelINS0_14default_configENS1_38merge_sort_block_merge_config_selectorIlNS0_10empty_typeEEEZZNS1_27merge_sort_block_merge_implIS3_PlPS5_mZN2at6native12_GLOBAL__N_124unique_dim_cuda_templateIiEESt5tupleIJNSA_6TensorESF_SF_EERKSF_lbbbEUlllE_EE10hipError_tT0_T1_T2_jT3_P12ihipStream_tbPNSt15iterator_traitsISL_E10value_typeEPNSR_ISM_E10value_typeEPSN_NS1_7vsmem_tEENKUlT_SL_SM_SN_E_clIS8_S8_S9_S9_EESK_S10_SL_SM_SN_EUlS10_E0_NS1_11comp_targetILNS1_3genE9ELNS1_11target_archE1100ELNS1_3gpuE3ELNS1_3repE0EEENS1_38merge_mergepath_config_static_selectorELNS0_4arch9wavefront6targetE1EEEvSM_,"axG",@progbits,_ZN7rocprim17ROCPRIM_400000_NS6detail17trampoline_kernelINS0_14default_configENS1_38merge_sort_block_merge_config_selectorIlNS0_10empty_typeEEEZZNS1_27merge_sort_block_merge_implIS3_PlPS5_mZN2at6native12_GLOBAL__N_124unique_dim_cuda_templateIiEESt5tupleIJNSA_6TensorESF_SF_EERKSF_lbbbEUlllE_EE10hipError_tT0_T1_T2_jT3_P12ihipStream_tbPNSt15iterator_traitsISL_E10value_typeEPNSR_ISM_E10value_typeEPSN_NS1_7vsmem_tEENKUlT_SL_SM_SN_E_clIS8_S8_S9_S9_EESK_S10_SL_SM_SN_EUlS10_E0_NS1_11comp_targetILNS1_3genE9ELNS1_11target_archE1100ELNS1_3gpuE3ELNS1_3repE0EEENS1_38merge_mergepath_config_static_selectorELNS0_4arch9wavefront6targetE1EEEvSM_,comdat
.Lfunc_end406:
	.size	_ZN7rocprim17ROCPRIM_400000_NS6detail17trampoline_kernelINS0_14default_configENS1_38merge_sort_block_merge_config_selectorIlNS0_10empty_typeEEEZZNS1_27merge_sort_block_merge_implIS3_PlPS5_mZN2at6native12_GLOBAL__N_124unique_dim_cuda_templateIiEESt5tupleIJNSA_6TensorESF_SF_EERKSF_lbbbEUlllE_EE10hipError_tT0_T1_T2_jT3_P12ihipStream_tbPNSt15iterator_traitsISL_E10value_typeEPNSR_ISM_E10value_typeEPSN_NS1_7vsmem_tEENKUlT_SL_SM_SN_E_clIS8_S8_S9_S9_EESK_S10_SL_SM_SN_EUlS10_E0_NS1_11comp_targetILNS1_3genE9ELNS1_11target_archE1100ELNS1_3gpuE3ELNS1_3repE0EEENS1_38merge_mergepath_config_static_selectorELNS0_4arch9wavefront6targetE1EEEvSM_, .Lfunc_end406-_ZN7rocprim17ROCPRIM_400000_NS6detail17trampoline_kernelINS0_14default_configENS1_38merge_sort_block_merge_config_selectorIlNS0_10empty_typeEEEZZNS1_27merge_sort_block_merge_implIS3_PlPS5_mZN2at6native12_GLOBAL__N_124unique_dim_cuda_templateIiEESt5tupleIJNSA_6TensorESF_SF_EERKSF_lbbbEUlllE_EE10hipError_tT0_T1_T2_jT3_P12ihipStream_tbPNSt15iterator_traitsISL_E10value_typeEPNSR_ISM_E10value_typeEPSN_NS1_7vsmem_tEENKUlT_SL_SM_SN_E_clIS8_S8_S9_S9_EESK_S10_SL_SM_SN_EUlS10_E0_NS1_11comp_targetILNS1_3genE9ELNS1_11target_archE1100ELNS1_3gpuE3ELNS1_3repE0EEENS1_38merge_mergepath_config_static_selectorELNS0_4arch9wavefront6targetE1EEEvSM_
                                        ; -- End function
	.set _ZN7rocprim17ROCPRIM_400000_NS6detail17trampoline_kernelINS0_14default_configENS1_38merge_sort_block_merge_config_selectorIlNS0_10empty_typeEEEZZNS1_27merge_sort_block_merge_implIS3_PlPS5_mZN2at6native12_GLOBAL__N_124unique_dim_cuda_templateIiEESt5tupleIJNSA_6TensorESF_SF_EERKSF_lbbbEUlllE_EE10hipError_tT0_T1_T2_jT3_P12ihipStream_tbPNSt15iterator_traitsISL_E10value_typeEPNSR_ISM_E10value_typeEPSN_NS1_7vsmem_tEENKUlT_SL_SM_SN_E_clIS8_S8_S9_S9_EESK_S10_SL_SM_SN_EUlS10_E0_NS1_11comp_targetILNS1_3genE9ELNS1_11target_archE1100ELNS1_3gpuE3ELNS1_3repE0EEENS1_38merge_mergepath_config_static_selectorELNS0_4arch9wavefront6targetE1EEEvSM_.num_vgpr, 0
	.set _ZN7rocprim17ROCPRIM_400000_NS6detail17trampoline_kernelINS0_14default_configENS1_38merge_sort_block_merge_config_selectorIlNS0_10empty_typeEEEZZNS1_27merge_sort_block_merge_implIS3_PlPS5_mZN2at6native12_GLOBAL__N_124unique_dim_cuda_templateIiEESt5tupleIJNSA_6TensorESF_SF_EERKSF_lbbbEUlllE_EE10hipError_tT0_T1_T2_jT3_P12ihipStream_tbPNSt15iterator_traitsISL_E10value_typeEPNSR_ISM_E10value_typeEPSN_NS1_7vsmem_tEENKUlT_SL_SM_SN_E_clIS8_S8_S9_S9_EESK_S10_SL_SM_SN_EUlS10_E0_NS1_11comp_targetILNS1_3genE9ELNS1_11target_archE1100ELNS1_3gpuE3ELNS1_3repE0EEENS1_38merge_mergepath_config_static_selectorELNS0_4arch9wavefront6targetE1EEEvSM_.num_agpr, 0
	.set _ZN7rocprim17ROCPRIM_400000_NS6detail17trampoline_kernelINS0_14default_configENS1_38merge_sort_block_merge_config_selectorIlNS0_10empty_typeEEEZZNS1_27merge_sort_block_merge_implIS3_PlPS5_mZN2at6native12_GLOBAL__N_124unique_dim_cuda_templateIiEESt5tupleIJNSA_6TensorESF_SF_EERKSF_lbbbEUlllE_EE10hipError_tT0_T1_T2_jT3_P12ihipStream_tbPNSt15iterator_traitsISL_E10value_typeEPNSR_ISM_E10value_typeEPSN_NS1_7vsmem_tEENKUlT_SL_SM_SN_E_clIS8_S8_S9_S9_EESK_S10_SL_SM_SN_EUlS10_E0_NS1_11comp_targetILNS1_3genE9ELNS1_11target_archE1100ELNS1_3gpuE3ELNS1_3repE0EEENS1_38merge_mergepath_config_static_selectorELNS0_4arch9wavefront6targetE1EEEvSM_.numbered_sgpr, 0
	.set _ZN7rocprim17ROCPRIM_400000_NS6detail17trampoline_kernelINS0_14default_configENS1_38merge_sort_block_merge_config_selectorIlNS0_10empty_typeEEEZZNS1_27merge_sort_block_merge_implIS3_PlPS5_mZN2at6native12_GLOBAL__N_124unique_dim_cuda_templateIiEESt5tupleIJNSA_6TensorESF_SF_EERKSF_lbbbEUlllE_EE10hipError_tT0_T1_T2_jT3_P12ihipStream_tbPNSt15iterator_traitsISL_E10value_typeEPNSR_ISM_E10value_typeEPSN_NS1_7vsmem_tEENKUlT_SL_SM_SN_E_clIS8_S8_S9_S9_EESK_S10_SL_SM_SN_EUlS10_E0_NS1_11comp_targetILNS1_3genE9ELNS1_11target_archE1100ELNS1_3gpuE3ELNS1_3repE0EEENS1_38merge_mergepath_config_static_selectorELNS0_4arch9wavefront6targetE1EEEvSM_.num_named_barrier, 0
	.set _ZN7rocprim17ROCPRIM_400000_NS6detail17trampoline_kernelINS0_14default_configENS1_38merge_sort_block_merge_config_selectorIlNS0_10empty_typeEEEZZNS1_27merge_sort_block_merge_implIS3_PlPS5_mZN2at6native12_GLOBAL__N_124unique_dim_cuda_templateIiEESt5tupleIJNSA_6TensorESF_SF_EERKSF_lbbbEUlllE_EE10hipError_tT0_T1_T2_jT3_P12ihipStream_tbPNSt15iterator_traitsISL_E10value_typeEPNSR_ISM_E10value_typeEPSN_NS1_7vsmem_tEENKUlT_SL_SM_SN_E_clIS8_S8_S9_S9_EESK_S10_SL_SM_SN_EUlS10_E0_NS1_11comp_targetILNS1_3genE9ELNS1_11target_archE1100ELNS1_3gpuE3ELNS1_3repE0EEENS1_38merge_mergepath_config_static_selectorELNS0_4arch9wavefront6targetE1EEEvSM_.private_seg_size, 0
	.set _ZN7rocprim17ROCPRIM_400000_NS6detail17trampoline_kernelINS0_14default_configENS1_38merge_sort_block_merge_config_selectorIlNS0_10empty_typeEEEZZNS1_27merge_sort_block_merge_implIS3_PlPS5_mZN2at6native12_GLOBAL__N_124unique_dim_cuda_templateIiEESt5tupleIJNSA_6TensorESF_SF_EERKSF_lbbbEUlllE_EE10hipError_tT0_T1_T2_jT3_P12ihipStream_tbPNSt15iterator_traitsISL_E10value_typeEPNSR_ISM_E10value_typeEPSN_NS1_7vsmem_tEENKUlT_SL_SM_SN_E_clIS8_S8_S9_S9_EESK_S10_SL_SM_SN_EUlS10_E0_NS1_11comp_targetILNS1_3genE9ELNS1_11target_archE1100ELNS1_3gpuE3ELNS1_3repE0EEENS1_38merge_mergepath_config_static_selectorELNS0_4arch9wavefront6targetE1EEEvSM_.uses_vcc, 0
	.set _ZN7rocprim17ROCPRIM_400000_NS6detail17trampoline_kernelINS0_14default_configENS1_38merge_sort_block_merge_config_selectorIlNS0_10empty_typeEEEZZNS1_27merge_sort_block_merge_implIS3_PlPS5_mZN2at6native12_GLOBAL__N_124unique_dim_cuda_templateIiEESt5tupleIJNSA_6TensorESF_SF_EERKSF_lbbbEUlllE_EE10hipError_tT0_T1_T2_jT3_P12ihipStream_tbPNSt15iterator_traitsISL_E10value_typeEPNSR_ISM_E10value_typeEPSN_NS1_7vsmem_tEENKUlT_SL_SM_SN_E_clIS8_S8_S9_S9_EESK_S10_SL_SM_SN_EUlS10_E0_NS1_11comp_targetILNS1_3genE9ELNS1_11target_archE1100ELNS1_3gpuE3ELNS1_3repE0EEENS1_38merge_mergepath_config_static_selectorELNS0_4arch9wavefront6targetE1EEEvSM_.uses_flat_scratch, 0
	.set _ZN7rocprim17ROCPRIM_400000_NS6detail17trampoline_kernelINS0_14default_configENS1_38merge_sort_block_merge_config_selectorIlNS0_10empty_typeEEEZZNS1_27merge_sort_block_merge_implIS3_PlPS5_mZN2at6native12_GLOBAL__N_124unique_dim_cuda_templateIiEESt5tupleIJNSA_6TensorESF_SF_EERKSF_lbbbEUlllE_EE10hipError_tT0_T1_T2_jT3_P12ihipStream_tbPNSt15iterator_traitsISL_E10value_typeEPNSR_ISM_E10value_typeEPSN_NS1_7vsmem_tEENKUlT_SL_SM_SN_E_clIS8_S8_S9_S9_EESK_S10_SL_SM_SN_EUlS10_E0_NS1_11comp_targetILNS1_3genE9ELNS1_11target_archE1100ELNS1_3gpuE3ELNS1_3repE0EEENS1_38merge_mergepath_config_static_selectorELNS0_4arch9wavefront6targetE1EEEvSM_.has_dyn_sized_stack, 0
	.set _ZN7rocprim17ROCPRIM_400000_NS6detail17trampoline_kernelINS0_14default_configENS1_38merge_sort_block_merge_config_selectorIlNS0_10empty_typeEEEZZNS1_27merge_sort_block_merge_implIS3_PlPS5_mZN2at6native12_GLOBAL__N_124unique_dim_cuda_templateIiEESt5tupleIJNSA_6TensorESF_SF_EERKSF_lbbbEUlllE_EE10hipError_tT0_T1_T2_jT3_P12ihipStream_tbPNSt15iterator_traitsISL_E10value_typeEPNSR_ISM_E10value_typeEPSN_NS1_7vsmem_tEENKUlT_SL_SM_SN_E_clIS8_S8_S9_S9_EESK_S10_SL_SM_SN_EUlS10_E0_NS1_11comp_targetILNS1_3genE9ELNS1_11target_archE1100ELNS1_3gpuE3ELNS1_3repE0EEENS1_38merge_mergepath_config_static_selectorELNS0_4arch9wavefront6targetE1EEEvSM_.has_recursion, 0
	.set _ZN7rocprim17ROCPRIM_400000_NS6detail17trampoline_kernelINS0_14default_configENS1_38merge_sort_block_merge_config_selectorIlNS0_10empty_typeEEEZZNS1_27merge_sort_block_merge_implIS3_PlPS5_mZN2at6native12_GLOBAL__N_124unique_dim_cuda_templateIiEESt5tupleIJNSA_6TensorESF_SF_EERKSF_lbbbEUlllE_EE10hipError_tT0_T1_T2_jT3_P12ihipStream_tbPNSt15iterator_traitsISL_E10value_typeEPNSR_ISM_E10value_typeEPSN_NS1_7vsmem_tEENKUlT_SL_SM_SN_E_clIS8_S8_S9_S9_EESK_S10_SL_SM_SN_EUlS10_E0_NS1_11comp_targetILNS1_3genE9ELNS1_11target_archE1100ELNS1_3gpuE3ELNS1_3repE0EEENS1_38merge_mergepath_config_static_selectorELNS0_4arch9wavefront6targetE1EEEvSM_.has_indirect_call, 0
	.section	.AMDGPU.csdata,"",@progbits
; Kernel info:
; codeLenInByte = 0
; TotalNumSgprs: 6
; NumVgprs: 0
; NumAgprs: 0
; TotalNumVgprs: 0
; ScratchSize: 0
; MemoryBound: 0
; FloatMode: 240
; IeeeMode: 1
; LDSByteSize: 0 bytes/workgroup (compile time only)
; SGPRBlocks: 0
; VGPRBlocks: 0
; NumSGPRsForWavesPerEU: 6
; NumVGPRsForWavesPerEU: 1
; AccumOffset: 4
; Occupancy: 8
; WaveLimiterHint : 0
; COMPUTE_PGM_RSRC2:SCRATCH_EN: 0
; COMPUTE_PGM_RSRC2:USER_SGPR: 2
; COMPUTE_PGM_RSRC2:TRAP_HANDLER: 0
; COMPUTE_PGM_RSRC2:TGID_X_EN: 1
; COMPUTE_PGM_RSRC2:TGID_Y_EN: 0
; COMPUTE_PGM_RSRC2:TGID_Z_EN: 0
; COMPUTE_PGM_RSRC2:TIDIG_COMP_CNT: 0
; COMPUTE_PGM_RSRC3_GFX90A:ACCUM_OFFSET: 0
; COMPUTE_PGM_RSRC3_GFX90A:TG_SPLIT: 0
	.section	.text._ZN7rocprim17ROCPRIM_400000_NS6detail17trampoline_kernelINS0_14default_configENS1_38merge_sort_block_merge_config_selectorIlNS0_10empty_typeEEEZZNS1_27merge_sort_block_merge_implIS3_PlPS5_mZN2at6native12_GLOBAL__N_124unique_dim_cuda_templateIiEESt5tupleIJNSA_6TensorESF_SF_EERKSF_lbbbEUlllE_EE10hipError_tT0_T1_T2_jT3_P12ihipStream_tbPNSt15iterator_traitsISL_E10value_typeEPNSR_ISM_E10value_typeEPSN_NS1_7vsmem_tEENKUlT_SL_SM_SN_E_clIS8_S8_S9_S9_EESK_S10_SL_SM_SN_EUlS10_E0_NS1_11comp_targetILNS1_3genE8ELNS1_11target_archE1030ELNS1_3gpuE2ELNS1_3repE0EEENS1_38merge_mergepath_config_static_selectorELNS0_4arch9wavefront6targetE1EEEvSM_,"axG",@progbits,_ZN7rocprim17ROCPRIM_400000_NS6detail17trampoline_kernelINS0_14default_configENS1_38merge_sort_block_merge_config_selectorIlNS0_10empty_typeEEEZZNS1_27merge_sort_block_merge_implIS3_PlPS5_mZN2at6native12_GLOBAL__N_124unique_dim_cuda_templateIiEESt5tupleIJNSA_6TensorESF_SF_EERKSF_lbbbEUlllE_EE10hipError_tT0_T1_T2_jT3_P12ihipStream_tbPNSt15iterator_traitsISL_E10value_typeEPNSR_ISM_E10value_typeEPSN_NS1_7vsmem_tEENKUlT_SL_SM_SN_E_clIS8_S8_S9_S9_EESK_S10_SL_SM_SN_EUlS10_E0_NS1_11comp_targetILNS1_3genE8ELNS1_11target_archE1030ELNS1_3gpuE2ELNS1_3repE0EEENS1_38merge_mergepath_config_static_selectorELNS0_4arch9wavefront6targetE1EEEvSM_,comdat
	.globl	_ZN7rocprim17ROCPRIM_400000_NS6detail17trampoline_kernelINS0_14default_configENS1_38merge_sort_block_merge_config_selectorIlNS0_10empty_typeEEEZZNS1_27merge_sort_block_merge_implIS3_PlPS5_mZN2at6native12_GLOBAL__N_124unique_dim_cuda_templateIiEESt5tupleIJNSA_6TensorESF_SF_EERKSF_lbbbEUlllE_EE10hipError_tT0_T1_T2_jT3_P12ihipStream_tbPNSt15iterator_traitsISL_E10value_typeEPNSR_ISM_E10value_typeEPSN_NS1_7vsmem_tEENKUlT_SL_SM_SN_E_clIS8_S8_S9_S9_EESK_S10_SL_SM_SN_EUlS10_E0_NS1_11comp_targetILNS1_3genE8ELNS1_11target_archE1030ELNS1_3gpuE2ELNS1_3repE0EEENS1_38merge_mergepath_config_static_selectorELNS0_4arch9wavefront6targetE1EEEvSM_ ; -- Begin function _ZN7rocprim17ROCPRIM_400000_NS6detail17trampoline_kernelINS0_14default_configENS1_38merge_sort_block_merge_config_selectorIlNS0_10empty_typeEEEZZNS1_27merge_sort_block_merge_implIS3_PlPS5_mZN2at6native12_GLOBAL__N_124unique_dim_cuda_templateIiEESt5tupleIJNSA_6TensorESF_SF_EERKSF_lbbbEUlllE_EE10hipError_tT0_T1_T2_jT3_P12ihipStream_tbPNSt15iterator_traitsISL_E10value_typeEPNSR_ISM_E10value_typeEPSN_NS1_7vsmem_tEENKUlT_SL_SM_SN_E_clIS8_S8_S9_S9_EESK_S10_SL_SM_SN_EUlS10_E0_NS1_11comp_targetILNS1_3genE8ELNS1_11target_archE1030ELNS1_3gpuE2ELNS1_3repE0EEENS1_38merge_mergepath_config_static_selectorELNS0_4arch9wavefront6targetE1EEEvSM_
	.p2align	8
	.type	_ZN7rocprim17ROCPRIM_400000_NS6detail17trampoline_kernelINS0_14default_configENS1_38merge_sort_block_merge_config_selectorIlNS0_10empty_typeEEEZZNS1_27merge_sort_block_merge_implIS3_PlPS5_mZN2at6native12_GLOBAL__N_124unique_dim_cuda_templateIiEESt5tupleIJNSA_6TensorESF_SF_EERKSF_lbbbEUlllE_EE10hipError_tT0_T1_T2_jT3_P12ihipStream_tbPNSt15iterator_traitsISL_E10value_typeEPNSR_ISM_E10value_typeEPSN_NS1_7vsmem_tEENKUlT_SL_SM_SN_E_clIS8_S8_S9_S9_EESK_S10_SL_SM_SN_EUlS10_E0_NS1_11comp_targetILNS1_3genE8ELNS1_11target_archE1030ELNS1_3gpuE2ELNS1_3repE0EEENS1_38merge_mergepath_config_static_selectorELNS0_4arch9wavefront6targetE1EEEvSM_,@function
_ZN7rocprim17ROCPRIM_400000_NS6detail17trampoline_kernelINS0_14default_configENS1_38merge_sort_block_merge_config_selectorIlNS0_10empty_typeEEEZZNS1_27merge_sort_block_merge_implIS3_PlPS5_mZN2at6native12_GLOBAL__N_124unique_dim_cuda_templateIiEESt5tupleIJNSA_6TensorESF_SF_EERKSF_lbbbEUlllE_EE10hipError_tT0_T1_T2_jT3_P12ihipStream_tbPNSt15iterator_traitsISL_E10value_typeEPNSR_ISM_E10value_typeEPSN_NS1_7vsmem_tEENKUlT_SL_SM_SN_E_clIS8_S8_S9_S9_EESK_S10_SL_SM_SN_EUlS10_E0_NS1_11comp_targetILNS1_3genE8ELNS1_11target_archE1030ELNS1_3gpuE2ELNS1_3repE0EEENS1_38merge_mergepath_config_static_selectorELNS0_4arch9wavefront6targetE1EEEvSM_: ; @_ZN7rocprim17ROCPRIM_400000_NS6detail17trampoline_kernelINS0_14default_configENS1_38merge_sort_block_merge_config_selectorIlNS0_10empty_typeEEEZZNS1_27merge_sort_block_merge_implIS3_PlPS5_mZN2at6native12_GLOBAL__N_124unique_dim_cuda_templateIiEESt5tupleIJNSA_6TensorESF_SF_EERKSF_lbbbEUlllE_EE10hipError_tT0_T1_T2_jT3_P12ihipStream_tbPNSt15iterator_traitsISL_E10value_typeEPNSR_ISM_E10value_typeEPSN_NS1_7vsmem_tEENKUlT_SL_SM_SN_E_clIS8_S8_S9_S9_EESK_S10_SL_SM_SN_EUlS10_E0_NS1_11comp_targetILNS1_3genE8ELNS1_11target_archE1030ELNS1_3gpuE2ELNS1_3repE0EEENS1_38merge_mergepath_config_static_selectorELNS0_4arch9wavefront6targetE1EEEvSM_
; %bb.0:
	.section	.rodata,"a",@progbits
	.p2align	6, 0x0
	.amdhsa_kernel _ZN7rocprim17ROCPRIM_400000_NS6detail17trampoline_kernelINS0_14default_configENS1_38merge_sort_block_merge_config_selectorIlNS0_10empty_typeEEEZZNS1_27merge_sort_block_merge_implIS3_PlPS5_mZN2at6native12_GLOBAL__N_124unique_dim_cuda_templateIiEESt5tupleIJNSA_6TensorESF_SF_EERKSF_lbbbEUlllE_EE10hipError_tT0_T1_T2_jT3_P12ihipStream_tbPNSt15iterator_traitsISL_E10value_typeEPNSR_ISM_E10value_typeEPSN_NS1_7vsmem_tEENKUlT_SL_SM_SN_E_clIS8_S8_S9_S9_EESK_S10_SL_SM_SN_EUlS10_E0_NS1_11comp_targetILNS1_3genE8ELNS1_11target_archE1030ELNS1_3gpuE2ELNS1_3repE0EEENS1_38merge_mergepath_config_static_selectorELNS0_4arch9wavefront6targetE1EEEvSM_
		.amdhsa_group_segment_fixed_size 0
		.amdhsa_private_segment_fixed_size 0
		.amdhsa_kernarg_size 88
		.amdhsa_user_sgpr_count 2
		.amdhsa_user_sgpr_dispatch_ptr 0
		.amdhsa_user_sgpr_queue_ptr 0
		.amdhsa_user_sgpr_kernarg_segment_ptr 1
		.amdhsa_user_sgpr_dispatch_id 0
		.amdhsa_user_sgpr_kernarg_preload_length 0
		.amdhsa_user_sgpr_kernarg_preload_offset 0
		.amdhsa_user_sgpr_private_segment_size 0
		.amdhsa_uses_dynamic_stack 0
		.amdhsa_enable_private_segment 0
		.amdhsa_system_sgpr_workgroup_id_x 1
		.amdhsa_system_sgpr_workgroup_id_y 0
		.amdhsa_system_sgpr_workgroup_id_z 0
		.amdhsa_system_sgpr_workgroup_info 0
		.amdhsa_system_vgpr_workitem_id 0
		.amdhsa_next_free_vgpr 1
		.amdhsa_next_free_sgpr 0
		.amdhsa_accum_offset 4
		.amdhsa_reserve_vcc 0
		.amdhsa_float_round_mode_32 0
		.amdhsa_float_round_mode_16_64 0
		.amdhsa_float_denorm_mode_32 3
		.amdhsa_float_denorm_mode_16_64 3
		.amdhsa_dx10_clamp 1
		.amdhsa_ieee_mode 1
		.amdhsa_fp16_overflow 0
		.amdhsa_tg_split 0
		.amdhsa_exception_fp_ieee_invalid_op 0
		.amdhsa_exception_fp_denorm_src 0
		.amdhsa_exception_fp_ieee_div_zero 0
		.amdhsa_exception_fp_ieee_overflow 0
		.amdhsa_exception_fp_ieee_underflow 0
		.amdhsa_exception_fp_ieee_inexact 0
		.amdhsa_exception_int_div_zero 0
	.end_amdhsa_kernel
	.section	.text._ZN7rocprim17ROCPRIM_400000_NS6detail17trampoline_kernelINS0_14default_configENS1_38merge_sort_block_merge_config_selectorIlNS0_10empty_typeEEEZZNS1_27merge_sort_block_merge_implIS3_PlPS5_mZN2at6native12_GLOBAL__N_124unique_dim_cuda_templateIiEESt5tupleIJNSA_6TensorESF_SF_EERKSF_lbbbEUlllE_EE10hipError_tT0_T1_T2_jT3_P12ihipStream_tbPNSt15iterator_traitsISL_E10value_typeEPNSR_ISM_E10value_typeEPSN_NS1_7vsmem_tEENKUlT_SL_SM_SN_E_clIS8_S8_S9_S9_EESK_S10_SL_SM_SN_EUlS10_E0_NS1_11comp_targetILNS1_3genE8ELNS1_11target_archE1030ELNS1_3gpuE2ELNS1_3repE0EEENS1_38merge_mergepath_config_static_selectorELNS0_4arch9wavefront6targetE1EEEvSM_,"axG",@progbits,_ZN7rocprim17ROCPRIM_400000_NS6detail17trampoline_kernelINS0_14default_configENS1_38merge_sort_block_merge_config_selectorIlNS0_10empty_typeEEEZZNS1_27merge_sort_block_merge_implIS3_PlPS5_mZN2at6native12_GLOBAL__N_124unique_dim_cuda_templateIiEESt5tupleIJNSA_6TensorESF_SF_EERKSF_lbbbEUlllE_EE10hipError_tT0_T1_T2_jT3_P12ihipStream_tbPNSt15iterator_traitsISL_E10value_typeEPNSR_ISM_E10value_typeEPSN_NS1_7vsmem_tEENKUlT_SL_SM_SN_E_clIS8_S8_S9_S9_EESK_S10_SL_SM_SN_EUlS10_E0_NS1_11comp_targetILNS1_3genE8ELNS1_11target_archE1030ELNS1_3gpuE2ELNS1_3repE0EEENS1_38merge_mergepath_config_static_selectorELNS0_4arch9wavefront6targetE1EEEvSM_,comdat
.Lfunc_end407:
	.size	_ZN7rocprim17ROCPRIM_400000_NS6detail17trampoline_kernelINS0_14default_configENS1_38merge_sort_block_merge_config_selectorIlNS0_10empty_typeEEEZZNS1_27merge_sort_block_merge_implIS3_PlPS5_mZN2at6native12_GLOBAL__N_124unique_dim_cuda_templateIiEESt5tupleIJNSA_6TensorESF_SF_EERKSF_lbbbEUlllE_EE10hipError_tT0_T1_T2_jT3_P12ihipStream_tbPNSt15iterator_traitsISL_E10value_typeEPNSR_ISM_E10value_typeEPSN_NS1_7vsmem_tEENKUlT_SL_SM_SN_E_clIS8_S8_S9_S9_EESK_S10_SL_SM_SN_EUlS10_E0_NS1_11comp_targetILNS1_3genE8ELNS1_11target_archE1030ELNS1_3gpuE2ELNS1_3repE0EEENS1_38merge_mergepath_config_static_selectorELNS0_4arch9wavefront6targetE1EEEvSM_, .Lfunc_end407-_ZN7rocprim17ROCPRIM_400000_NS6detail17trampoline_kernelINS0_14default_configENS1_38merge_sort_block_merge_config_selectorIlNS0_10empty_typeEEEZZNS1_27merge_sort_block_merge_implIS3_PlPS5_mZN2at6native12_GLOBAL__N_124unique_dim_cuda_templateIiEESt5tupleIJNSA_6TensorESF_SF_EERKSF_lbbbEUlllE_EE10hipError_tT0_T1_T2_jT3_P12ihipStream_tbPNSt15iterator_traitsISL_E10value_typeEPNSR_ISM_E10value_typeEPSN_NS1_7vsmem_tEENKUlT_SL_SM_SN_E_clIS8_S8_S9_S9_EESK_S10_SL_SM_SN_EUlS10_E0_NS1_11comp_targetILNS1_3genE8ELNS1_11target_archE1030ELNS1_3gpuE2ELNS1_3repE0EEENS1_38merge_mergepath_config_static_selectorELNS0_4arch9wavefront6targetE1EEEvSM_
                                        ; -- End function
	.set _ZN7rocprim17ROCPRIM_400000_NS6detail17trampoline_kernelINS0_14default_configENS1_38merge_sort_block_merge_config_selectorIlNS0_10empty_typeEEEZZNS1_27merge_sort_block_merge_implIS3_PlPS5_mZN2at6native12_GLOBAL__N_124unique_dim_cuda_templateIiEESt5tupleIJNSA_6TensorESF_SF_EERKSF_lbbbEUlllE_EE10hipError_tT0_T1_T2_jT3_P12ihipStream_tbPNSt15iterator_traitsISL_E10value_typeEPNSR_ISM_E10value_typeEPSN_NS1_7vsmem_tEENKUlT_SL_SM_SN_E_clIS8_S8_S9_S9_EESK_S10_SL_SM_SN_EUlS10_E0_NS1_11comp_targetILNS1_3genE8ELNS1_11target_archE1030ELNS1_3gpuE2ELNS1_3repE0EEENS1_38merge_mergepath_config_static_selectorELNS0_4arch9wavefront6targetE1EEEvSM_.num_vgpr, 0
	.set _ZN7rocprim17ROCPRIM_400000_NS6detail17trampoline_kernelINS0_14default_configENS1_38merge_sort_block_merge_config_selectorIlNS0_10empty_typeEEEZZNS1_27merge_sort_block_merge_implIS3_PlPS5_mZN2at6native12_GLOBAL__N_124unique_dim_cuda_templateIiEESt5tupleIJNSA_6TensorESF_SF_EERKSF_lbbbEUlllE_EE10hipError_tT0_T1_T2_jT3_P12ihipStream_tbPNSt15iterator_traitsISL_E10value_typeEPNSR_ISM_E10value_typeEPSN_NS1_7vsmem_tEENKUlT_SL_SM_SN_E_clIS8_S8_S9_S9_EESK_S10_SL_SM_SN_EUlS10_E0_NS1_11comp_targetILNS1_3genE8ELNS1_11target_archE1030ELNS1_3gpuE2ELNS1_3repE0EEENS1_38merge_mergepath_config_static_selectorELNS0_4arch9wavefront6targetE1EEEvSM_.num_agpr, 0
	.set _ZN7rocprim17ROCPRIM_400000_NS6detail17trampoline_kernelINS0_14default_configENS1_38merge_sort_block_merge_config_selectorIlNS0_10empty_typeEEEZZNS1_27merge_sort_block_merge_implIS3_PlPS5_mZN2at6native12_GLOBAL__N_124unique_dim_cuda_templateIiEESt5tupleIJNSA_6TensorESF_SF_EERKSF_lbbbEUlllE_EE10hipError_tT0_T1_T2_jT3_P12ihipStream_tbPNSt15iterator_traitsISL_E10value_typeEPNSR_ISM_E10value_typeEPSN_NS1_7vsmem_tEENKUlT_SL_SM_SN_E_clIS8_S8_S9_S9_EESK_S10_SL_SM_SN_EUlS10_E0_NS1_11comp_targetILNS1_3genE8ELNS1_11target_archE1030ELNS1_3gpuE2ELNS1_3repE0EEENS1_38merge_mergepath_config_static_selectorELNS0_4arch9wavefront6targetE1EEEvSM_.numbered_sgpr, 0
	.set _ZN7rocprim17ROCPRIM_400000_NS6detail17trampoline_kernelINS0_14default_configENS1_38merge_sort_block_merge_config_selectorIlNS0_10empty_typeEEEZZNS1_27merge_sort_block_merge_implIS3_PlPS5_mZN2at6native12_GLOBAL__N_124unique_dim_cuda_templateIiEESt5tupleIJNSA_6TensorESF_SF_EERKSF_lbbbEUlllE_EE10hipError_tT0_T1_T2_jT3_P12ihipStream_tbPNSt15iterator_traitsISL_E10value_typeEPNSR_ISM_E10value_typeEPSN_NS1_7vsmem_tEENKUlT_SL_SM_SN_E_clIS8_S8_S9_S9_EESK_S10_SL_SM_SN_EUlS10_E0_NS1_11comp_targetILNS1_3genE8ELNS1_11target_archE1030ELNS1_3gpuE2ELNS1_3repE0EEENS1_38merge_mergepath_config_static_selectorELNS0_4arch9wavefront6targetE1EEEvSM_.num_named_barrier, 0
	.set _ZN7rocprim17ROCPRIM_400000_NS6detail17trampoline_kernelINS0_14default_configENS1_38merge_sort_block_merge_config_selectorIlNS0_10empty_typeEEEZZNS1_27merge_sort_block_merge_implIS3_PlPS5_mZN2at6native12_GLOBAL__N_124unique_dim_cuda_templateIiEESt5tupleIJNSA_6TensorESF_SF_EERKSF_lbbbEUlllE_EE10hipError_tT0_T1_T2_jT3_P12ihipStream_tbPNSt15iterator_traitsISL_E10value_typeEPNSR_ISM_E10value_typeEPSN_NS1_7vsmem_tEENKUlT_SL_SM_SN_E_clIS8_S8_S9_S9_EESK_S10_SL_SM_SN_EUlS10_E0_NS1_11comp_targetILNS1_3genE8ELNS1_11target_archE1030ELNS1_3gpuE2ELNS1_3repE0EEENS1_38merge_mergepath_config_static_selectorELNS0_4arch9wavefront6targetE1EEEvSM_.private_seg_size, 0
	.set _ZN7rocprim17ROCPRIM_400000_NS6detail17trampoline_kernelINS0_14default_configENS1_38merge_sort_block_merge_config_selectorIlNS0_10empty_typeEEEZZNS1_27merge_sort_block_merge_implIS3_PlPS5_mZN2at6native12_GLOBAL__N_124unique_dim_cuda_templateIiEESt5tupleIJNSA_6TensorESF_SF_EERKSF_lbbbEUlllE_EE10hipError_tT0_T1_T2_jT3_P12ihipStream_tbPNSt15iterator_traitsISL_E10value_typeEPNSR_ISM_E10value_typeEPSN_NS1_7vsmem_tEENKUlT_SL_SM_SN_E_clIS8_S8_S9_S9_EESK_S10_SL_SM_SN_EUlS10_E0_NS1_11comp_targetILNS1_3genE8ELNS1_11target_archE1030ELNS1_3gpuE2ELNS1_3repE0EEENS1_38merge_mergepath_config_static_selectorELNS0_4arch9wavefront6targetE1EEEvSM_.uses_vcc, 0
	.set _ZN7rocprim17ROCPRIM_400000_NS6detail17trampoline_kernelINS0_14default_configENS1_38merge_sort_block_merge_config_selectorIlNS0_10empty_typeEEEZZNS1_27merge_sort_block_merge_implIS3_PlPS5_mZN2at6native12_GLOBAL__N_124unique_dim_cuda_templateIiEESt5tupleIJNSA_6TensorESF_SF_EERKSF_lbbbEUlllE_EE10hipError_tT0_T1_T2_jT3_P12ihipStream_tbPNSt15iterator_traitsISL_E10value_typeEPNSR_ISM_E10value_typeEPSN_NS1_7vsmem_tEENKUlT_SL_SM_SN_E_clIS8_S8_S9_S9_EESK_S10_SL_SM_SN_EUlS10_E0_NS1_11comp_targetILNS1_3genE8ELNS1_11target_archE1030ELNS1_3gpuE2ELNS1_3repE0EEENS1_38merge_mergepath_config_static_selectorELNS0_4arch9wavefront6targetE1EEEvSM_.uses_flat_scratch, 0
	.set _ZN7rocprim17ROCPRIM_400000_NS6detail17trampoline_kernelINS0_14default_configENS1_38merge_sort_block_merge_config_selectorIlNS0_10empty_typeEEEZZNS1_27merge_sort_block_merge_implIS3_PlPS5_mZN2at6native12_GLOBAL__N_124unique_dim_cuda_templateIiEESt5tupleIJNSA_6TensorESF_SF_EERKSF_lbbbEUlllE_EE10hipError_tT0_T1_T2_jT3_P12ihipStream_tbPNSt15iterator_traitsISL_E10value_typeEPNSR_ISM_E10value_typeEPSN_NS1_7vsmem_tEENKUlT_SL_SM_SN_E_clIS8_S8_S9_S9_EESK_S10_SL_SM_SN_EUlS10_E0_NS1_11comp_targetILNS1_3genE8ELNS1_11target_archE1030ELNS1_3gpuE2ELNS1_3repE0EEENS1_38merge_mergepath_config_static_selectorELNS0_4arch9wavefront6targetE1EEEvSM_.has_dyn_sized_stack, 0
	.set _ZN7rocprim17ROCPRIM_400000_NS6detail17trampoline_kernelINS0_14default_configENS1_38merge_sort_block_merge_config_selectorIlNS0_10empty_typeEEEZZNS1_27merge_sort_block_merge_implIS3_PlPS5_mZN2at6native12_GLOBAL__N_124unique_dim_cuda_templateIiEESt5tupleIJNSA_6TensorESF_SF_EERKSF_lbbbEUlllE_EE10hipError_tT0_T1_T2_jT3_P12ihipStream_tbPNSt15iterator_traitsISL_E10value_typeEPNSR_ISM_E10value_typeEPSN_NS1_7vsmem_tEENKUlT_SL_SM_SN_E_clIS8_S8_S9_S9_EESK_S10_SL_SM_SN_EUlS10_E0_NS1_11comp_targetILNS1_3genE8ELNS1_11target_archE1030ELNS1_3gpuE2ELNS1_3repE0EEENS1_38merge_mergepath_config_static_selectorELNS0_4arch9wavefront6targetE1EEEvSM_.has_recursion, 0
	.set _ZN7rocprim17ROCPRIM_400000_NS6detail17trampoline_kernelINS0_14default_configENS1_38merge_sort_block_merge_config_selectorIlNS0_10empty_typeEEEZZNS1_27merge_sort_block_merge_implIS3_PlPS5_mZN2at6native12_GLOBAL__N_124unique_dim_cuda_templateIiEESt5tupleIJNSA_6TensorESF_SF_EERKSF_lbbbEUlllE_EE10hipError_tT0_T1_T2_jT3_P12ihipStream_tbPNSt15iterator_traitsISL_E10value_typeEPNSR_ISM_E10value_typeEPSN_NS1_7vsmem_tEENKUlT_SL_SM_SN_E_clIS8_S8_S9_S9_EESK_S10_SL_SM_SN_EUlS10_E0_NS1_11comp_targetILNS1_3genE8ELNS1_11target_archE1030ELNS1_3gpuE2ELNS1_3repE0EEENS1_38merge_mergepath_config_static_selectorELNS0_4arch9wavefront6targetE1EEEvSM_.has_indirect_call, 0
	.section	.AMDGPU.csdata,"",@progbits
; Kernel info:
; codeLenInByte = 0
; TotalNumSgprs: 6
; NumVgprs: 0
; NumAgprs: 0
; TotalNumVgprs: 0
; ScratchSize: 0
; MemoryBound: 0
; FloatMode: 240
; IeeeMode: 1
; LDSByteSize: 0 bytes/workgroup (compile time only)
; SGPRBlocks: 0
; VGPRBlocks: 0
; NumSGPRsForWavesPerEU: 6
; NumVGPRsForWavesPerEU: 1
; AccumOffset: 4
; Occupancy: 8
; WaveLimiterHint : 0
; COMPUTE_PGM_RSRC2:SCRATCH_EN: 0
; COMPUTE_PGM_RSRC2:USER_SGPR: 2
; COMPUTE_PGM_RSRC2:TRAP_HANDLER: 0
; COMPUTE_PGM_RSRC2:TGID_X_EN: 1
; COMPUTE_PGM_RSRC2:TGID_Y_EN: 0
; COMPUTE_PGM_RSRC2:TGID_Z_EN: 0
; COMPUTE_PGM_RSRC2:TIDIG_COMP_CNT: 0
; COMPUTE_PGM_RSRC3_GFX90A:ACCUM_OFFSET: 0
; COMPUTE_PGM_RSRC3_GFX90A:TG_SPLIT: 0
	.section	.text._ZN7rocprim17ROCPRIM_400000_NS6detail17trampoline_kernelINS0_14default_configENS1_38merge_sort_block_merge_config_selectorIlNS0_10empty_typeEEEZZNS1_27merge_sort_block_merge_implIS3_PlPS5_mZN2at6native12_GLOBAL__N_124unique_dim_cuda_templateIiEESt5tupleIJNSA_6TensorESF_SF_EERKSF_lbbbEUlllE_EE10hipError_tT0_T1_T2_jT3_P12ihipStream_tbPNSt15iterator_traitsISL_E10value_typeEPNSR_ISM_E10value_typeEPSN_NS1_7vsmem_tEENKUlT_SL_SM_SN_E_clIS8_S8_S9_S9_EESK_S10_SL_SM_SN_EUlS10_E1_NS1_11comp_targetILNS1_3genE0ELNS1_11target_archE4294967295ELNS1_3gpuE0ELNS1_3repE0EEENS1_36merge_oddeven_config_static_selectorELNS0_4arch9wavefront6targetE1EEEvSM_,"axG",@progbits,_ZN7rocprim17ROCPRIM_400000_NS6detail17trampoline_kernelINS0_14default_configENS1_38merge_sort_block_merge_config_selectorIlNS0_10empty_typeEEEZZNS1_27merge_sort_block_merge_implIS3_PlPS5_mZN2at6native12_GLOBAL__N_124unique_dim_cuda_templateIiEESt5tupleIJNSA_6TensorESF_SF_EERKSF_lbbbEUlllE_EE10hipError_tT0_T1_T2_jT3_P12ihipStream_tbPNSt15iterator_traitsISL_E10value_typeEPNSR_ISM_E10value_typeEPSN_NS1_7vsmem_tEENKUlT_SL_SM_SN_E_clIS8_S8_S9_S9_EESK_S10_SL_SM_SN_EUlS10_E1_NS1_11comp_targetILNS1_3genE0ELNS1_11target_archE4294967295ELNS1_3gpuE0ELNS1_3repE0EEENS1_36merge_oddeven_config_static_selectorELNS0_4arch9wavefront6targetE1EEEvSM_,comdat
	.globl	_ZN7rocprim17ROCPRIM_400000_NS6detail17trampoline_kernelINS0_14default_configENS1_38merge_sort_block_merge_config_selectorIlNS0_10empty_typeEEEZZNS1_27merge_sort_block_merge_implIS3_PlPS5_mZN2at6native12_GLOBAL__N_124unique_dim_cuda_templateIiEESt5tupleIJNSA_6TensorESF_SF_EERKSF_lbbbEUlllE_EE10hipError_tT0_T1_T2_jT3_P12ihipStream_tbPNSt15iterator_traitsISL_E10value_typeEPNSR_ISM_E10value_typeEPSN_NS1_7vsmem_tEENKUlT_SL_SM_SN_E_clIS8_S8_S9_S9_EESK_S10_SL_SM_SN_EUlS10_E1_NS1_11comp_targetILNS1_3genE0ELNS1_11target_archE4294967295ELNS1_3gpuE0ELNS1_3repE0EEENS1_36merge_oddeven_config_static_selectorELNS0_4arch9wavefront6targetE1EEEvSM_ ; -- Begin function _ZN7rocprim17ROCPRIM_400000_NS6detail17trampoline_kernelINS0_14default_configENS1_38merge_sort_block_merge_config_selectorIlNS0_10empty_typeEEEZZNS1_27merge_sort_block_merge_implIS3_PlPS5_mZN2at6native12_GLOBAL__N_124unique_dim_cuda_templateIiEESt5tupleIJNSA_6TensorESF_SF_EERKSF_lbbbEUlllE_EE10hipError_tT0_T1_T2_jT3_P12ihipStream_tbPNSt15iterator_traitsISL_E10value_typeEPNSR_ISM_E10value_typeEPSN_NS1_7vsmem_tEENKUlT_SL_SM_SN_E_clIS8_S8_S9_S9_EESK_S10_SL_SM_SN_EUlS10_E1_NS1_11comp_targetILNS1_3genE0ELNS1_11target_archE4294967295ELNS1_3gpuE0ELNS1_3repE0EEENS1_36merge_oddeven_config_static_selectorELNS0_4arch9wavefront6targetE1EEEvSM_
	.p2align	8
	.type	_ZN7rocprim17ROCPRIM_400000_NS6detail17trampoline_kernelINS0_14default_configENS1_38merge_sort_block_merge_config_selectorIlNS0_10empty_typeEEEZZNS1_27merge_sort_block_merge_implIS3_PlPS5_mZN2at6native12_GLOBAL__N_124unique_dim_cuda_templateIiEESt5tupleIJNSA_6TensorESF_SF_EERKSF_lbbbEUlllE_EE10hipError_tT0_T1_T2_jT3_P12ihipStream_tbPNSt15iterator_traitsISL_E10value_typeEPNSR_ISM_E10value_typeEPSN_NS1_7vsmem_tEENKUlT_SL_SM_SN_E_clIS8_S8_S9_S9_EESK_S10_SL_SM_SN_EUlS10_E1_NS1_11comp_targetILNS1_3genE0ELNS1_11target_archE4294967295ELNS1_3gpuE0ELNS1_3repE0EEENS1_36merge_oddeven_config_static_selectorELNS0_4arch9wavefront6targetE1EEEvSM_,@function
_ZN7rocprim17ROCPRIM_400000_NS6detail17trampoline_kernelINS0_14default_configENS1_38merge_sort_block_merge_config_selectorIlNS0_10empty_typeEEEZZNS1_27merge_sort_block_merge_implIS3_PlPS5_mZN2at6native12_GLOBAL__N_124unique_dim_cuda_templateIiEESt5tupleIJNSA_6TensorESF_SF_EERKSF_lbbbEUlllE_EE10hipError_tT0_T1_T2_jT3_P12ihipStream_tbPNSt15iterator_traitsISL_E10value_typeEPNSR_ISM_E10value_typeEPSN_NS1_7vsmem_tEENKUlT_SL_SM_SN_E_clIS8_S8_S9_S9_EESK_S10_SL_SM_SN_EUlS10_E1_NS1_11comp_targetILNS1_3genE0ELNS1_11target_archE4294967295ELNS1_3gpuE0ELNS1_3repE0EEENS1_36merge_oddeven_config_static_selectorELNS0_4arch9wavefront6targetE1EEEvSM_: ; @_ZN7rocprim17ROCPRIM_400000_NS6detail17trampoline_kernelINS0_14default_configENS1_38merge_sort_block_merge_config_selectorIlNS0_10empty_typeEEEZZNS1_27merge_sort_block_merge_implIS3_PlPS5_mZN2at6native12_GLOBAL__N_124unique_dim_cuda_templateIiEESt5tupleIJNSA_6TensorESF_SF_EERKSF_lbbbEUlllE_EE10hipError_tT0_T1_T2_jT3_P12ihipStream_tbPNSt15iterator_traitsISL_E10value_typeEPNSR_ISM_E10value_typeEPSN_NS1_7vsmem_tEENKUlT_SL_SM_SN_E_clIS8_S8_S9_S9_EESK_S10_SL_SM_SN_EUlS10_E1_NS1_11comp_targetILNS1_3genE0ELNS1_11target_archE4294967295ELNS1_3gpuE0ELNS1_3repE0EEENS1_36merge_oddeven_config_static_selectorELNS0_4arch9wavefront6targetE1EEEvSM_
; %bb.0:
	s_load_dword s22, s[0:1], 0x20
	s_waitcnt lgkmcnt(0)
	s_lshr_b32 s3, s22, 8
	s_cmp_lg_u32 s2, s3
	s_cselect_b64 s[12:13], -1, 0
	s_cmp_eq_u32 s2, s3
	s_cselect_b64 s[6:7], -1, 0
	s_lshl_b32 s20, s2, 8
	s_sub_i32 s3, s22, s20
	v_cmp_gt_u32_e64 s[4:5], s3, v0
	s_or_b64 s[8:9], s[12:13], s[4:5]
	s_and_saveexec_b64 s[10:11], s[8:9]
	s_cbranch_execz .LBB408_54
; %bb.1:
	s_load_dwordx4 s[8:11], s[0:1], 0x0
	s_load_dword s23, s[0:1], 0x28
	s_mov_b32 s21, 0
	s_lshl_b64 s[14:15], s[20:21], 3
	v_lshlrev_b32_e32 v1, 3, v0
	s_waitcnt lgkmcnt(0)
	s_add_u32 s14, s8, s14
	s_addc_u32 s15, s9, s15
	global_load_dwordx2 v[2:3], v1, s[14:15]
	s_lshr_b32 s3, s23, 8
	s_sub_i32 s14, 0, s3
	s_and_b32 s2, s2, s14
	s_and_b32 s3, s2, s3
	s_cmp_lg_u32 s3, 0
	s_cselect_b64 s[16:17], -1, 0
	s_lshl_b32 s21, s2, 8
	s_sub_i32 s2, 0, s23
	s_cmp_eq_u32 s3, 0
	s_cselect_b32 s33, s23, s2
	s_add_i32 s33, s33, s21
	s_cmp_lt_u32 s33, s22
	s_cbranch_scc1 .LBB408_3
; %bb.2:
	v_add_u32_e32 v4, s20, v0
	v_cmp_gt_u32_e32 vcc, s22, v4
	s_or_b64 s[12:13], vcc, s[12:13]
	s_and_b64 s[18:19], s[12:13], exec
	s_cbranch_execz .LBB408_4
	s_branch .LBB408_52
.LBB408_3:
	s_mov_b64 s[18:19], 0
                                        ; implicit-def: $vgpr4
.LBB408_4:
	s_load_dwordx4 s[12:15], s[0:1], 0x30
	s_min_u32 s44, s33, s22
	s_add_i32 s0, s44, s23
	s_min_u32 s45, s0, s22
	s_min_u32 s0, s21, s44
	v_add_u32_e32 v0, s20, v0
	s_add_i32 s21, s21, s44
	v_subrev_u32_e32 v0, s21, v0
	v_add_u32_e32 v14, s0, v0
	s_waitcnt lgkmcnt(0)
	v_cmp_gt_i64_e64 s[20:21], s[12:13], 0
	s_and_b64 vcc, exec, s[6:7]
	s_cbranch_vccz .LBB408_26
; %bb.5:
                                        ; implicit-def: $vgpr4
	s_and_saveexec_b64 s[22:23], s[4:5]
	s_cbranch_execz .LBB408_29
; %bb.6:
	s_cmp_ge_u32 s33, s45
	v_mov_b32_e32 v15, s44
	s_cbranch_scc1 .LBB408_28
; %bb.7:
	s_waitcnt vmcnt(0)
	v_mul_lo_u32 v0, v3, s12
	v_mul_lo_u32 v1, v2, s13
	v_mad_u64_u32 v[4:5], s[0:1], v2, s12, 0
	v_cndmask_b32_e64 v6, 0, 1, s[16:17]
	v_add3_u32 v5, v5, v1, v0
	v_cmp_ne_u32_e64 s[0:1], 1, v6
	v_cndmask_b32_e64 v6, 0, 1, s[20:21]
	v_mov_b64_e32 v[0:1], s[14:15]
	v_lshl_add_u64 v[4:5], v[4:5], 2, s[14:15]
	s_lshl_b64 s[26:27], s[12:13], 2
	s_mov_b64 s[24:25], 0
	v_mov_b32_e32 v16, s45
	v_mov_b32_e32 v15, s44
	;; [unrolled: 1-line block ×3, first 2 shown]
	v_cmp_ne_u32_e64 s[2:3], 1, v6
	s_branch .LBB408_10
.LBB408_8:                              ;   in Loop: Header=BB408_10 Depth=1
	s_or_b64 exec, exec, s[30:31]
.LBB408_9:                              ;   in Loop: Header=BB408_10 Depth=1
	s_waitcnt vmcnt(0)
	v_add_u32_e32 v8, 1, v6
	v_cndmask_b32_e64 v16, v6, v16, s[28:29]
	v_cndmask_b32_e64 v15, v15, v8, s[28:29]
	v_cmp_ge_u32_e32 vcc, v15, v16
	s_or_b64 s[24:25], vcc, s[24:25]
	s_andn2_b64 exec, exec, s[24:25]
	s_cbranch_execz .LBB408_27
.LBB408_10:                             ; =>This Loop Header: Depth=1
                                        ;     Child Loop BB408_14 Depth 2
                                        ;     Child Loop BB408_23 Depth 2
	v_add_u32_e32 v6, v15, v16
	v_lshrrev_b32_e32 v6, 1, v6
	v_lshl_add_u64 v[8:9], v[6:7], 3, s[8:9]
	global_load_dwordx2 v[8:9], v[8:9], off
	s_and_b64 vcc, exec, s[0:1]
	s_mov_b64 s[4:5], -1
                                        ; implicit-def: $sgpr28_sgpr29
	s_cbranch_vccnz .LBB408_19
; %bb.11:                               ;   in Loop: Header=BB408_10 Depth=1
	s_and_b64 vcc, exec, s[2:3]
	s_cbranch_vccnz .LBB408_17
; %bb.12:                               ;   in Loop: Header=BB408_10 Depth=1
	s_waitcnt vmcnt(0)
	v_mad_u64_u32 v[10:11], s[4:5], s26, v8, v[0:1]
	v_mul_lo_u32 v12, s26, v9
	v_mul_lo_u32 v13, s27, v8
	v_add3_u32 v11, v13, v11, v12
	s_mov_b64 s[28:29], 0
	s_mov_b64 s[36:37], s[12:13]
	v_mov_b64_e32 v[12:13], v[4:5]
                                        ; implicit-def: $sgpr30_sgpr31
                                        ; implicit-def: $sgpr34_sgpr35
                                        ; implicit-def: $sgpr4_sgpr5
                                        ; implicit-def: $sgpr38_sgpr39
	s_branch .LBB408_14
.LBB408_13:                             ;   in Loop: Header=BB408_14 Depth=2
	s_or_b64 exec, exec, s[42:43]
	s_and_b64 s[6:7], exec, s[34:35]
	s_or_b64 s[28:29], s[6:7], s[28:29]
	s_andn2_b64 s[6:7], s[38:39], exec
	s_and_b64 s[38:39], s[40:41], exec
	s_or_b64 s[38:39], s[6:7], s[38:39]
	s_andn2_b64 s[6:7], s[30:31], exec
	s_and_b64 s[30:31], s[4:5], exec
	s_or_b64 s[30:31], s[6:7], s[30:31]
	s_andn2_b64 exec, exec, s[28:29]
	s_cbranch_execz .LBB408_16
.LBB408_14:                             ;   Parent Loop BB408_10 Depth=1
                                        ; =>  This Inner Loop Header: Depth=2
	global_load_dword v17, v[12:13], off
	global_load_dword v18, v[10:11], off
	s_andn2_b64 s[42:43], s[4:5], exec
	s_or_b64 s[34:35], s[34:35], exec
	s_waitcnt vmcnt(0)
	v_cmp_le_i32_e64 s[4:5], v17, v18
	v_cmp_lt_i32_e32 vcc, v17, v18
	s_and_b64 s[4:5], s[4:5], s[38:39]
	s_or_b64 s[40:41], vcc, s[4:5]
	s_and_b64 s[4:5], s[40:41], exec
	v_cmp_eq_u32_e64 s[6:7], v17, v18
	s_or_b64 s[4:5], s[42:43], s[4:5]
	s_and_saveexec_b64 s[42:43], s[6:7]
	s_cbranch_execz .LBB408_13
; %bb.15:                               ;   in Loop: Header=BB408_14 Depth=2
	s_add_u32 s36, s36, -1
	s_addc_u32 s37, s37, -1
	s_cmp_eq_u64 s[36:37], 0
	s_cselect_b64 s[6:7], -1, 0
	s_andn2_b64 s[34:35], s[34:35], exec
	s_and_b64 s[6:7], s[6:7], exec
	v_lshl_add_u64 v[12:13], v[12:13], 0, 4
	v_lshl_add_u64 v[10:11], v[10:11], 0, 4
	s_andn2_b64 s[4:5], s[4:5], exec
	s_or_b64 s[34:35], s[34:35], s[6:7]
                                        ; implicit-def: $sgpr38_sgpr39
	s_branch .LBB408_13
.LBB408_16:                             ;   in Loop: Header=BB408_10 Depth=1
	s_or_b64 exec, exec, s[28:29]
	s_xor_b64 s[28:29], s[30:31], -1
	s_branch .LBB408_18
.LBB408_17:                             ;   in Loop: Header=BB408_10 Depth=1
	s_mov_b64 s[28:29], -1
.LBB408_18:                             ;   in Loop: Header=BB408_10 Depth=1
	s_mov_b64 s[4:5], 0
.LBB408_19:                             ;   in Loop: Header=BB408_10 Depth=1
	s_andn2_b64 vcc, exec, s[4:5]
	s_cbranch_vccnz .LBB408_9
; %bb.20:                               ;   in Loop: Header=BB408_10 Depth=1
	s_and_b64 vcc, exec, s[2:3]
	s_cbranch_vccnz .LBB408_25
; %bb.21:                               ;   in Loop: Header=BB408_10 Depth=1
	s_waitcnt vmcnt(0)
	v_mad_u64_u32 v[10:11], s[4:5], s26, v8, v[0:1]
	v_mul_lo_u32 v9, s26, v9
	v_mul_lo_u32 v8, s27, v8
	v_add3_u32 v11, v8, v11, v9
	s_mov_b64 s[30:31], 0
	s_mov_b64 s[36:37], s[12:13]
	v_mov_b64_e32 v[8:9], v[4:5]
                                        ; implicit-def: $sgpr28_sgpr29
                                        ; implicit-def: $sgpr34_sgpr35
                                        ; implicit-def: $sgpr4_sgpr5
                                        ; implicit-def: $sgpr38_sgpr39
	s_branch .LBB408_23
.LBB408_22:                             ;   in Loop: Header=BB408_23 Depth=2
	s_or_b64 exec, exec, s[42:43]
	s_and_b64 s[6:7], exec, s[34:35]
	s_or_b64 s[30:31], s[6:7], s[30:31]
	s_andn2_b64 s[6:7], s[38:39], exec
	s_and_b64 s[38:39], s[40:41], exec
	s_or_b64 s[38:39], s[6:7], s[38:39]
	s_andn2_b64 s[6:7], s[28:29], exec
	s_and_b64 s[28:29], s[4:5], exec
	s_or_b64 s[28:29], s[6:7], s[28:29]
	s_andn2_b64 exec, exec, s[30:31]
	s_cbranch_execz .LBB408_8
.LBB408_23:                             ;   Parent Loop BB408_10 Depth=1
                                        ; =>  This Inner Loop Header: Depth=2
	global_load_dword v12, v[10:11], off
	global_load_dword v13, v[8:9], off
	s_andn2_b64 s[42:43], s[4:5], exec
	s_or_b64 s[34:35], s[34:35], exec
	s_waitcnt vmcnt(0)
	v_cmp_le_i32_e64 s[4:5], v12, v13
	v_cmp_lt_i32_e32 vcc, v12, v13
	s_and_b64 s[4:5], s[4:5], s[38:39]
	s_or_b64 s[40:41], vcc, s[4:5]
	s_and_b64 s[4:5], s[40:41], exec
	v_cmp_eq_u32_e64 s[6:7], v12, v13
	s_or_b64 s[4:5], s[42:43], s[4:5]
	s_and_saveexec_b64 s[42:43], s[6:7]
	s_cbranch_execz .LBB408_22
; %bb.24:                               ;   in Loop: Header=BB408_23 Depth=2
	s_add_u32 s36, s36, -1
	s_addc_u32 s37, s37, -1
	s_cmp_eq_u64 s[36:37], 0
	s_cselect_b64 s[6:7], -1, 0
	s_andn2_b64 s[34:35], s[34:35], exec
	s_and_b64 s[6:7], s[6:7], exec
	v_lshl_add_u64 v[10:11], v[10:11], 0, 4
	v_lshl_add_u64 v[8:9], v[8:9], 0, 4
	s_andn2_b64 s[4:5], s[4:5], exec
	s_or_b64 s[34:35], s[34:35], s[6:7]
                                        ; implicit-def: $sgpr38_sgpr39
	s_branch .LBB408_22
.LBB408_25:                             ;   in Loop: Header=BB408_10 Depth=1
	s_mov_b64 s[28:29], 0
	s_branch .LBB408_9
.LBB408_26:
                                        ; implicit-def: $vgpr4
	s_cbranch_execnz .LBB408_30
	s_branch .LBB408_52
.LBB408_27:
	s_or_b64 exec, exec, s[24:25]
.LBB408_28:
	v_add_u32_e32 v4, v15, v14
	s_or_b64 s[18:19], s[18:19], exec
.LBB408_29:
	s_or_b64 exec, exec, s[22:23]
	s_branch .LBB408_52
.LBB408_30:
	s_cmp_ge_u32 s33, s45
	v_mov_b32_e32 v15, s44
	s_cbranch_scc1 .LBB408_51
; %bb.31:
	s_waitcnt vmcnt(0)
	v_mul_lo_u32 v0, v3, s12
	v_mul_lo_u32 v1, v2, s13
	v_mad_u64_u32 v[4:5], s[0:1], v2, s12, 0
	v_cndmask_b32_e64 v6, 0, 1, s[16:17]
	v_add3_u32 v5, v5, v1, v0
	v_cmp_ne_u32_e64 s[0:1], 1, v6
	v_cndmask_b32_e64 v6, 0, 1, s[20:21]
	v_mov_b64_e32 v[0:1], s[14:15]
	v_lshl_add_u64 v[4:5], v[4:5], 2, s[14:15]
	s_lshl_b64 s[18:19], s[12:13], 2
	s_mov_b64 s[14:15], 0
	v_mov_b32_e32 v16, s45
	v_mov_b32_e32 v15, s44
	;; [unrolled: 1-line block ×3, first 2 shown]
	v_cmp_ne_u32_e64 s[2:3], 1, v6
	s_branch .LBB408_34
.LBB408_32:                             ;   in Loop: Header=BB408_34 Depth=1
	s_or_b64 exec, exec, s[20:21]
.LBB408_33:                             ;   in Loop: Header=BB408_34 Depth=1
	s_waitcnt vmcnt(0)
	v_add_u32_e32 v8, 1, v6
	v_cndmask_b32_e64 v16, v6, v16, s[16:17]
	v_cndmask_b32_e64 v15, v15, v8, s[16:17]
	v_cmp_ge_u32_e32 vcc, v15, v16
	s_or_b64 s[14:15], vcc, s[14:15]
	s_andn2_b64 exec, exec, s[14:15]
	s_cbranch_execz .LBB408_50
.LBB408_34:                             ; =>This Loop Header: Depth=1
                                        ;     Child Loop BB408_38 Depth 2
                                        ;     Child Loop BB408_47 Depth 2
	v_add_u32_e32 v6, v15, v16
	v_lshrrev_b32_e32 v6, 1, v6
	v_lshl_add_u64 v[8:9], v[6:7], 3, s[8:9]
	global_load_dwordx2 v[8:9], v[8:9], off
	s_and_b64 vcc, exec, s[0:1]
	s_mov_b64 s[4:5], -1
                                        ; implicit-def: $sgpr16_sgpr17
	s_cbranch_vccnz .LBB408_43
; %bb.35:                               ;   in Loop: Header=BB408_34 Depth=1
	s_and_b64 vcc, exec, s[2:3]
	s_cbranch_vccnz .LBB408_41
; %bb.36:                               ;   in Loop: Header=BB408_34 Depth=1
	s_waitcnt vmcnt(0)
	v_mad_u64_u32 v[10:11], s[4:5], s18, v8, v[0:1]
	v_mul_lo_u32 v12, s18, v9
	v_mul_lo_u32 v13, s19, v8
	v_add3_u32 v11, v13, v11, v12
	s_mov_b64 s[16:17], 0
	s_mov_b64 s[24:25], s[12:13]
	v_mov_b64_e32 v[12:13], v[4:5]
                                        ; implicit-def: $sgpr20_sgpr21
                                        ; implicit-def: $sgpr22_sgpr23
                                        ; implicit-def: $sgpr4_sgpr5
                                        ; implicit-def: $sgpr26_sgpr27
	s_branch .LBB408_38
.LBB408_37:                             ;   in Loop: Header=BB408_38 Depth=2
	s_or_b64 exec, exec, s[30:31]
	s_and_b64 s[6:7], exec, s[22:23]
	s_or_b64 s[16:17], s[6:7], s[16:17]
	s_andn2_b64 s[6:7], s[26:27], exec
	s_and_b64 s[26:27], s[28:29], exec
	s_or_b64 s[26:27], s[6:7], s[26:27]
	s_andn2_b64 s[6:7], s[20:21], exec
	s_and_b64 s[20:21], s[4:5], exec
	s_or_b64 s[20:21], s[6:7], s[20:21]
	s_andn2_b64 exec, exec, s[16:17]
	s_cbranch_execz .LBB408_40
.LBB408_38:                             ;   Parent Loop BB408_34 Depth=1
                                        ; =>  This Inner Loop Header: Depth=2
	global_load_dword v17, v[12:13], off
	global_load_dword v18, v[10:11], off
	s_andn2_b64 s[30:31], s[4:5], exec
	s_or_b64 s[22:23], s[22:23], exec
	s_waitcnt vmcnt(0)
	v_cmp_le_i32_e64 s[4:5], v17, v18
	v_cmp_lt_i32_e32 vcc, v17, v18
	s_and_b64 s[4:5], s[4:5], s[26:27]
	s_or_b64 s[28:29], vcc, s[4:5]
	s_and_b64 s[4:5], s[28:29], exec
	v_cmp_eq_u32_e64 s[6:7], v17, v18
	s_or_b64 s[4:5], s[30:31], s[4:5]
	s_and_saveexec_b64 s[30:31], s[6:7]
	s_cbranch_execz .LBB408_37
; %bb.39:                               ;   in Loop: Header=BB408_38 Depth=2
	s_add_u32 s24, s24, -1
	s_addc_u32 s25, s25, -1
	s_cmp_eq_u64 s[24:25], 0
	s_cselect_b64 s[6:7], -1, 0
	s_andn2_b64 s[22:23], s[22:23], exec
	s_and_b64 s[6:7], s[6:7], exec
	v_lshl_add_u64 v[12:13], v[12:13], 0, 4
	v_lshl_add_u64 v[10:11], v[10:11], 0, 4
	s_andn2_b64 s[4:5], s[4:5], exec
	s_or_b64 s[22:23], s[22:23], s[6:7]
                                        ; implicit-def: $sgpr26_sgpr27
	s_branch .LBB408_37
.LBB408_40:                             ;   in Loop: Header=BB408_34 Depth=1
	s_or_b64 exec, exec, s[16:17]
	s_xor_b64 s[16:17], s[20:21], -1
	s_branch .LBB408_42
.LBB408_41:                             ;   in Loop: Header=BB408_34 Depth=1
	s_mov_b64 s[16:17], -1
.LBB408_42:                             ;   in Loop: Header=BB408_34 Depth=1
	s_mov_b64 s[4:5], 0
.LBB408_43:                             ;   in Loop: Header=BB408_34 Depth=1
	s_andn2_b64 vcc, exec, s[4:5]
	s_cbranch_vccnz .LBB408_33
; %bb.44:                               ;   in Loop: Header=BB408_34 Depth=1
	s_and_b64 vcc, exec, s[2:3]
	s_cbranch_vccnz .LBB408_49
; %bb.45:                               ;   in Loop: Header=BB408_34 Depth=1
	s_waitcnt vmcnt(0)
	v_mad_u64_u32 v[10:11], s[4:5], s18, v8, v[0:1]
	v_mul_lo_u32 v9, s18, v9
	v_mul_lo_u32 v8, s19, v8
	v_add3_u32 v11, v8, v11, v9
	s_mov_b64 s[20:21], 0
	s_mov_b64 s[24:25], s[12:13]
	v_mov_b64_e32 v[8:9], v[4:5]
                                        ; implicit-def: $sgpr16_sgpr17
                                        ; implicit-def: $sgpr22_sgpr23
                                        ; implicit-def: $sgpr4_sgpr5
                                        ; implicit-def: $sgpr26_sgpr27
	s_branch .LBB408_47
.LBB408_46:                             ;   in Loop: Header=BB408_47 Depth=2
	s_or_b64 exec, exec, s[30:31]
	s_and_b64 s[6:7], exec, s[22:23]
	s_or_b64 s[20:21], s[6:7], s[20:21]
	s_andn2_b64 s[6:7], s[26:27], exec
	s_and_b64 s[26:27], s[28:29], exec
	s_or_b64 s[26:27], s[6:7], s[26:27]
	s_andn2_b64 s[6:7], s[16:17], exec
	s_and_b64 s[16:17], s[4:5], exec
	s_or_b64 s[16:17], s[6:7], s[16:17]
	s_andn2_b64 exec, exec, s[20:21]
	s_cbranch_execz .LBB408_32
.LBB408_47:                             ;   Parent Loop BB408_34 Depth=1
                                        ; =>  This Inner Loop Header: Depth=2
	global_load_dword v12, v[10:11], off
	global_load_dword v13, v[8:9], off
	s_andn2_b64 s[30:31], s[4:5], exec
	s_or_b64 s[22:23], s[22:23], exec
	s_waitcnt vmcnt(0)
	v_cmp_le_i32_e64 s[4:5], v12, v13
	v_cmp_lt_i32_e32 vcc, v12, v13
	s_and_b64 s[4:5], s[4:5], s[26:27]
	s_or_b64 s[28:29], vcc, s[4:5]
	s_and_b64 s[4:5], s[28:29], exec
	v_cmp_eq_u32_e64 s[6:7], v12, v13
	s_or_b64 s[4:5], s[30:31], s[4:5]
	s_and_saveexec_b64 s[30:31], s[6:7]
	s_cbranch_execz .LBB408_46
; %bb.48:                               ;   in Loop: Header=BB408_47 Depth=2
	s_add_u32 s24, s24, -1
	s_addc_u32 s25, s25, -1
	s_cmp_eq_u64 s[24:25], 0
	s_cselect_b64 s[6:7], -1, 0
	s_andn2_b64 s[22:23], s[22:23], exec
	s_and_b64 s[6:7], s[6:7], exec
	v_lshl_add_u64 v[10:11], v[10:11], 0, 4
	v_lshl_add_u64 v[8:9], v[8:9], 0, 4
	s_andn2_b64 s[4:5], s[4:5], exec
	s_or_b64 s[22:23], s[22:23], s[6:7]
                                        ; implicit-def: $sgpr26_sgpr27
	s_branch .LBB408_46
.LBB408_49:                             ;   in Loop: Header=BB408_34 Depth=1
	s_mov_b64 s[16:17], 0
	s_branch .LBB408_33
.LBB408_50:
	s_or_b64 exec, exec, s[14:15]
.LBB408_51:
	v_add_u32_e32 v4, v15, v14
	s_mov_b64 s[18:19], -1
.LBB408_52:
	s_and_b64 exec, exec, s[18:19]
	s_cbranch_execz .LBB408_54
; %bb.53:
	v_mov_b32_e32 v0, s10
	v_mov_b32_e32 v1, s11
	;; [unrolled: 1-line block ×3, first 2 shown]
	v_lshl_add_u64 v[0:1], v[4:5], 3, v[0:1]
	s_waitcnt vmcnt(0)
	global_store_dwordx2 v[0:1], v[2:3], off
.LBB408_54:
	s_endpgm
	.section	.rodata,"a",@progbits
	.p2align	6, 0x0
	.amdhsa_kernel _ZN7rocprim17ROCPRIM_400000_NS6detail17trampoline_kernelINS0_14default_configENS1_38merge_sort_block_merge_config_selectorIlNS0_10empty_typeEEEZZNS1_27merge_sort_block_merge_implIS3_PlPS5_mZN2at6native12_GLOBAL__N_124unique_dim_cuda_templateIiEESt5tupleIJNSA_6TensorESF_SF_EERKSF_lbbbEUlllE_EE10hipError_tT0_T1_T2_jT3_P12ihipStream_tbPNSt15iterator_traitsISL_E10value_typeEPNSR_ISM_E10value_typeEPSN_NS1_7vsmem_tEENKUlT_SL_SM_SN_E_clIS8_S8_S9_S9_EESK_S10_SL_SM_SN_EUlS10_E1_NS1_11comp_targetILNS1_3genE0ELNS1_11target_archE4294967295ELNS1_3gpuE0ELNS1_3repE0EEENS1_36merge_oddeven_config_static_selectorELNS0_4arch9wavefront6targetE1EEEvSM_
		.amdhsa_group_segment_fixed_size 0
		.amdhsa_private_segment_fixed_size 0
		.amdhsa_kernarg_size 64
		.amdhsa_user_sgpr_count 2
		.amdhsa_user_sgpr_dispatch_ptr 0
		.amdhsa_user_sgpr_queue_ptr 0
		.amdhsa_user_sgpr_kernarg_segment_ptr 1
		.amdhsa_user_sgpr_dispatch_id 0
		.amdhsa_user_sgpr_kernarg_preload_length 0
		.amdhsa_user_sgpr_kernarg_preload_offset 0
		.amdhsa_user_sgpr_private_segment_size 0
		.amdhsa_uses_dynamic_stack 0
		.amdhsa_enable_private_segment 0
		.amdhsa_system_sgpr_workgroup_id_x 1
		.amdhsa_system_sgpr_workgroup_id_y 0
		.amdhsa_system_sgpr_workgroup_id_z 0
		.amdhsa_system_sgpr_workgroup_info 0
		.amdhsa_system_vgpr_workitem_id 0
		.amdhsa_next_free_vgpr 19
		.amdhsa_next_free_sgpr 46
		.amdhsa_accum_offset 20
		.amdhsa_reserve_vcc 1
		.amdhsa_float_round_mode_32 0
		.amdhsa_float_round_mode_16_64 0
		.amdhsa_float_denorm_mode_32 3
		.amdhsa_float_denorm_mode_16_64 3
		.amdhsa_dx10_clamp 1
		.amdhsa_ieee_mode 1
		.amdhsa_fp16_overflow 0
		.amdhsa_tg_split 0
		.amdhsa_exception_fp_ieee_invalid_op 0
		.amdhsa_exception_fp_denorm_src 0
		.amdhsa_exception_fp_ieee_div_zero 0
		.amdhsa_exception_fp_ieee_overflow 0
		.amdhsa_exception_fp_ieee_underflow 0
		.amdhsa_exception_fp_ieee_inexact 0
		.amdhsa_exception_int_div_zero 0
	.end_amdhsa_kernel
	.section	.text._ZN7rocprim17ROCPRIM_400000_NS6detail17trampoline_kernelINS0_14default_configENS1_38merge_sort_block_merge_config_selectorIlNS0_10empty_typeEEEZZNS1_27merge_sort_block_merge_implIS3_PlPS5_mZN2at6native12_GLOBAL__N_124unique_dim_cuda_templateIiEESt5tupleIJNSA_6TensorESF_SF_EERKSF_lbbbEUlllE_EE10hipError_tT0_T1_T2_jT3_P12ihipStream_tbPNSt15iterator_traitsISL_E10value_typeEPNSR_ISM_E10value_typeEPSN_NS1_7vsmem_tEENKUlT_SL_SM_SN_E_clIS8_S8_S9_S9_EESK_S10_SL_SM_SN_EUlS10_E1_NS1_11comp_targetILNS1_3genE0ELNS1_11target_archE4294967295ELNS1_3gpuE0ELNS1_3repE0EEENS1_36merge_oddeven_config_static_selectorELNS0_4arch9wavefront6targetE1EEEvSM_,"axG",@progbits,_ZN7rocprim17ROCPRIM_400000_NS6detail17trampoline_kernelINS0_14default_configENS1_38merge_sort_block_merge_config_selectorIlNS0_10empty_typeEEEZZNS1_27merge_sort_block_merge_implIS3_PlPS5_mZN2at6native12_GLOBAL__N_124unique_dim_cuda_templateIiEESt5tupleIJNSA_6TensorESF_SF_EERKSF_lbbbEUlllE_EE10hipError_tT0_T1_T2_jT3_P12ihipStream_tbPNSt15iterator_traitsISL_E10value_typeEPNSR_ISM_E10value_typeEPSN_NS1_7vsmem_tEENKUlT_SL_SM_SN_E_clIS8_S8_S9_S9_EESK_S10_SL_SM_SN_EUlS10_E1_NS1_11comp_targetILNS1_3genE0ELNS1_11target_archE4294967295ELNS1_3gpuE0ELNS1_3repE0EEENS1_36merge_oddeven_config_static_selectorELNS0_4arch9wavefront6targetE1EEEvSM_,comdat
.Lfunc_end408:
	.size	_ZN7rocprim17ROCPRIM_400000_NS6detail17trampoline_kernelINS0_14default_configENS1_38merge_sort_block_merge_config_selectorIlNS0_10empty_typeEEEZZNS1_27merge_sort_block_merge_implIS3_PlPS5_mZN2at6native12_GLOBAL__N_124unique_dim_cuda_templateIiEESt5tupleIJNSA_6TensorESF_SF_EERKSF_lbbbEUlllE_EE10hipError_tT0_T1_T2_jT3_P12ihipStream_tbPNSt15iterator_traitsISL_E10value_typeEPNSR_ISM_E10value_typeEPSN_NS1_7vsmem_tEENKUlT_SL_SM_SN_E_clIS8_S8_S9_S9_EESK_S10_SL_SM_SN_EUlS10_E1_NS1_11comp_targetILNS1_3genE0ELNS1_11target_archE4294967295ELNS1_3gpuE0ELNS1_3repE0EEENS1_36merge_oddeven_config_static_selectorELNS0_4arch9wavefront6targetE1EEEvSM_, .Lfunc_end408-_ZN7rocprim17ROCPRIM_400000_NS6detail17trampoline_kernelINS0_14default_configENS1_38merge_sort_block_merge_config_selectorIlNS0_10empty_typeEEEZZNS1_27merge_sort_block_merge_implIS3_PlPS5_mZN2at6native12_GLOBAL__N_124unique_dim_cuda_templateIiEESt5tupleIJNSA_6TensorESF_SF_EERKSF_lbbbEUlllE_EE10hipError_tT0_T1_T2_jT3_P12ihipStream_tbPNSt15iterator_traitsISL_E10value_typeEPNSR_ISM_E10value_typeEPSN_NS1_7vsmem_tEENKUlT_SL_SM_SN_E_clIS8_S8_S9_S9_EESK_S10_SL_SM_SN_EUlS10_E1_NS1_11comp_targetILNS1_3genE0ELNS1_11target_archE4294967295ELNS1_3gpuE0ELNS1_3repE0EEENS1_36merge_oddeven_config_static_selectorELNS0_4arch9wavefront6targetE1EEEvSM_
                                        ; -- End function
	.set _ZN7rocprim17ROCPRIM_400000_NS6detail17trampoline_kernelINS0_14default_configENS1_38merge_sort_block_merge_config_selectorIlNS0_10empty_typeEEEZZNS1_27merge_sort_block_merge_implIS3_PlPS5_mZN2at6native12_GLOBAL__N_124unique_dim_cuda_templateIiEESt5tupleIJNSA_6TensorESF_SF_EERKSF_lbbbEUlllE_EE10hipError_tT0_T1_T2_jT3_P12ihipStream_tbPNSt15iterator_traitsISL_E10value_typeEPNSR_ISM_E10value_typeEPSN_NS1_7vsmem_tEENKUlT_SL_SM_SN_E_clIS8_S8_S9_S9_EESK_S10_SL_SM_SN_EUlS10_E1_NS1_11comp_targetILNS1_3genE0ELNS1_11target_archE4294967295ELNS1_3gpuE0ELNS1_3repE0EEENS1_36merge_oddeven_config_static_selectorELNS0_4arch9wavefront6targetE1EEEvSM_.num_vgpr, 19
	.set _ZN7rocprim17ROCPRIM_400000_NS6detail17trampoline_kernelINS0_14default_configENS1_38merge_sort_block_merge_config_selectorIlNS0_10empty_typeEEEZZNS1_27merge_sort_block_merge_implIS3_PlPS5_mZN2at6native12_GLOBAL__N_124unique_dim_cuda_templateIiEESt5tupleIJNSA_6TensorESF_SF_EERKSF_lbbbEUlllE_EE10hipError_tT0_T1_T2_jT3_P12ihipStream_tbPNSt15iterator_traitsISL_E10value_typeEPNSR_ISM_E10value_typeEPSN_NS1_7vsmem_tEENKUlT_SL_SM_SN_E_clIS8_S8_S9_S9_EESK_S10_SL_SM_SN_EUlS10_E1_NS1_11comp_targetILNS1_3genE0ELNS1_11target_archE4294967295ELNS1_3gpuE0ELNS1_3repE0EEENS1_36merge_oddeven_config_static_selectorELNS0_4arch9wavefront6targetE1EEEvSM_.num_agpr, 0
	.set _ZN7rocprim17ROCPRIM_400000_NS6detail17trampoline_kernelINS0_14default_configENS1_38merge_sort_block_merge_config_selectorIlNS0_10empty_typeEEEZZNS1_27merge_sort_block_merge_implIS3_PlPS5_mZN2at6native12_GLOBAL__N_124unique_dim_cuda_templateIiEESt5tupleIJNSA_6TensorESF_SF_EERKSF_lbbbEUlllE_EE10hipError_tT0_T1_T2_jT3_P12ihipStream_tbPNSt15iterator_traitsISL_E10value_typeEPNSR_ISM_E10value_typeEPSN_NS1_7vsmem_tEENKUlT_SL_SM_SN_E_clIS8_S8_S9_S9_EESK_S10_SL_SM_SN_EUlS10_E1_NS1_11comp_targetILNS1_3genE0ELNS1_11target_archE4294967295ELNS1_3gpuE0ELNS1_3repE0EEENS1_36merge_oddeven_config_static_selectorELNS0_4arch9wavefront6targetE1EEEvSM_.numbered_sgpr, 46
	.set _ZN7rocprim17ROCPRIM_400000_NS6detail17trampoline_kernelINS0_14default_configENS1_38merge_sort_block_merge_config_selectorIlNS0_10empty_typeEEEZZNS1_27merge_sort_block_merge_implIS3_PlPS5_mZN2at6native12_GLOBAL__N_124unique_dim_cuda_templateIiEESt5tupleIJNSA_6TensorESF_SF_EERKSF_lbbbEUlllE_EE10hipError_tT0_T1_T2_jT3_P12ihipStream_tbPNSt15iterator_traitsISL_E10value_typeEPNSR_ISM_E10value_typeEPSN_NS1_7vsmem_tEENKUlT_SL_SM_SN_E_clIS8_S8_S9_S9_EESK_S10_SL_SM_SN_EUlS10_E1_NS1_11comp_targetILNS1_3genE0ELNS1_11target_archE4294967295ELNS1_3gpuE0ELNS1_3repE0EEENS1_36merge_oddeven_config_static_selectorELNS0_4arch9wavefront6targetE1EEEvSM_.num_named_barrier, 0
	.set _ZN7rocprim17ROCPRIM_400000_NS6detail17trampoline_kernelINS0_14default_configENS1_38merge_sort_block_merge_config_selectorIlNS0_10empty_typeEEEZZNS1_27merge_sort_block_merge_implIS3_PlPS5_mZN2at6native12_GLOBAL__N_124unique_dim_cuda_templateIiEESt5tupleIJNSA_6TensorESF_SF_EERKSF_lbbbEUlllE_EE10hipError_tT0_T1_T2_jT3_P12ihipStream_tbPNSt15iterator_traitsISL_E10value_typeEPNSR_ISM_E10value_typeEPSN_NS1_7vsmem_tEENKUlT_SL_SM_SN_E_clIS8_S8_S9_S9_EESK_S10_SL_SM_SN_EUlS10_E1_NS1_11comp_targetILNS1_3genE0ELNS1_11target_archE4294967295ELNS1_3gpuE0ELNS1_3repE0EEENS1_36merge_oddeven_config_static_selectorELNS0_4arch9wavefront6targetE1EEEvSM_.private_seg_size, 0
	.set _ZN7rocprim17ROCPRIM_400000_NS6detail17trampoline_kernelINS0_14default_configENS1_38merge_sort_block_merge_config_selectorIlNS0_10empty_typeEEEZZNS1_27merge_sort_block_merge_implIS3_PlPS5_mZN2at6native12_GLOBAL__N_124unique_dim_cuda_templateIiEESt5tupleIJNSA_6TensorESF_SF_EERKSF_lbbbEUlllE_EE10hipError_tT0_T1_T2_jT3_P12ihipStream_tbPNSt15iterator_traitsISL_E10value_typeEPNSR_ISM_E10value_typeEPSN_NS1_7vsmem_tEENKUlT_SL_SM_SN_E_clIS8_S8_S9_S9_EESK_S10_SL_SM_SN_EUlS10_E1_NS1_11comp_targetILNS1_3genE0ELNS1_11target_archE4294967295ELNS1_3gpuE0ELNS1_3repE0EEENS1_36merge_oddeven_config_static_selectorELNS0_4arch9wavefront6targetE1EEEvSM_.uses_vcc, 1
	.set _ZN7rocprim17ROCPRIM_400000_NS6detail17trampoline_kernelINS0_14default_configENS1_38merge_sort_block_merge_config_selectorIlNS0_10empty_typeEEEZZNS1_27merge_sort_block_merge_implIS3_PlPS5_mZN2at6native12_GLOBAL__N_124unique_dim_cuda_templateIiEESt5tupleIJNSA_6TensorESF_SF_EERKSF_lbbbEUlllE_EE10hipError_tT0_T1_T2_jT3_P12ihipStream_tbPNSt15iterator_traitsISL_E10value_typeEPNSR_ISM_E10value_typeEPSN_NS1_7vsmem_tEENKUlT_SL_SM_SN_E_clIS8_S8_S9_S9_EESK_S10_SL_SM_SN_EUlS10_E1_NS1_11comp_targetILNS1_3genE0ELNS1_11target_archE4294967295ELNS1_3gpuE0ELNS1_3repE0EEENS1_36merge_oddeven_config_static_selectorELNS0_4arch9wavefront6targetE1EEEvSM_.uses_flat_scratch, 0
	.set _ZN7rocprim17ROCPRIM_400000_NS6detail17trampoline_kernelINS0_14default_configENS1_38merge_sort_block_merge_config_selectorIlNS0_10empty_typeEEEZZNS1_27merge_sort_block_merge_implIS3_PlPS5_mZN2at6native12_GLOBAL__N_124unique_dim_cuda_templateIiEESt5tupleIJNSA_6TensorESF_SF_EERKSF_lbbbEUlllE_EE10hipError_tT0_T1_T2_jT3_P12ihipStream_tbPNSt15iterator_traitsISL_E10value_typeEPNSR_ISM_E10value_typeEPSN_NS1_7vsmem_tEENKUlT_SL_SM_SN_E_clIS8_S8_S9_S9_EESK_S10_SL_SM_SN_EUlS10_E1_NS1_11comp_targetILNS1_3genE0ELNS1_11target_archE4294967295ELNS1_3gpuE0ELNS1_3repE0EEENS1_36merge_oddeven_config_static_selectorELNS0_4arch9wavefront6targetE1EEEvSM_.has_dyn_sized_stack, 0
	.set _ZN7rocprim17ROCPRIM_400000_NS6detail17trampoline_kernelINS0_14default_configENS1_38merge_sort_block_merge_config_selectorIlNS0_10empty_typeEEEZZNS1_27merge_sort_block_merge_implIS3_PlPS5_mZN2at6native12_GLOBAL__N_124unique_dim_cuda_templateIiEESt5tupleIJNSA_6TensorESF_SF_EERKSF_lbbbEUlllE_EE10hipError_tT0_T1_T2_jT3_P12ihipStream_tbPNSt15iterator_traitsISL_E10value_typeEPNSR_ISM_E10value_typeEPSN_NS1_7vsmem_tEENKUlT_SL_SM_SN_E_clIS8_S8_S9_S9_EESK_S10_SL_SM_SN_EUlS10_E1_NS1_11comp_targetILNS1_3genE0ELNS1_11target_archE4294967295ELNS1_3gpuE0ELNS1_3repE0EEENS1_36merge_oddeven_config_static_selectorELNS0_4arch9wavefront6targetE1EEEvSM_.has_recursion, 0
	.set _ZN7rocprim17ROCPRIM_400000_NS6detail17trampoline_kernelINS0_14default_configENS1_38merge_sort_block_merge_config_selectorIlNS0_10empty_typeEEEZZNS1_27merge_sort_block_merge_implIS3_PlPS5_mZN2at6native12_GLOBAL__N_124unique_dim_cuda_templateIiEESt5tupleIJNSA_6TensorESF_SF_EERKSF_lbbbEUlllE_EE10hipError_tT0_T1_T2_jT3_P12ihipStream_tbPNSt15iterator_traitsISL_E10value_typeEPNSR_ISM_E10value_typeEPSN_NS1_7vsmem_tEENKUlT_SL_SM_SN_E_clIS8_S8_S9_S9_EESK_S10_SL_SM_SN_EUlS10_E1_NS1_11comp_targetILNS1_3genE0ELNS1_11target_archE4294967295ELNS1_3gpuE0ELNS1_3repE0EEENS1_36merge_oddeven_config_static_selectorELNS0_4arch9wavefront6targetE1EEEvSM_.has_indirect_call, 0
	.section	.AMDGPU.csdata,"",@progbits
; Kernel info:
; codeLenInByte = 1716
; TotalNumSgprs: 52
; NumVgprs: 19
; NumAgprs: 0
; TotalNumVgprs: 19
; ScratchSize: 0
; MemoryBound: 0
; FloatMode: 240
; IeeeMode: 1
; LDSByteSize: 0 bytes/workgroup (compile time only)
; SGPRBlocks: 6
; VGPRBlocks: 2
; NumSGPRsForWavesPerEU: 52
; NumVGPRsForWavesPerEU: 19
; AccumOffset: 20
; Occupancy: 8
; WaveLimiterHint : 0
; COMPUTE_PGM_RSRC2:SCRATCH_EN: 0
; COMPUTE_PGM_RSRC2:USER_SGPR: 2
; COMPUTE_PGM_RSRC2:TRAP_HANDLER: 0
; COMPUTE_PGM_RSRC2:TGID_X_EN: 1
; COMPUTE_PGM_RSRC2:TGID_Y_EN: 0
; COMPUTE_PGM_RSRC2:TGID_Z_EN: 0
; COMPUTE_PGM_RSRC2:TIDIG_COMP_CNT: 0
; COMPUTE_PGM_RSRC3_GFX90A:ACCUM_OFFSET: 4
; COMPUTE_PGM_RSRC3_GFX90A:TG_SPLIT: 0
	.section	.text._ZN7rocprim17ROCPRIM_400000_NS6detail17trampoline_kernelINS0_14default_configENS1_38merge_sort_block_merge_config_selectorIlNS0_10empty_typeEEEZZNS1_27merge_sort_block_merge_implIS3_PlPS5_mZN2at6native12_GLOBAL__N_124unique_dim_cuda_templateIiEESt5tupleIJNSA_6TensorESF_SF_EERKSF_lbbbEUlllE_EE10hipError_tT0_T1_T2_jT3_P12ihipStream_tbPNSt15iterator_traitsISL_E10value_typeEPNSR_ISM_E10value_typeEPSN_NS1_7vsmem_tEENKUlT_SL_SM_SN_E_clIS8_S8_S9_S9_EESK_S10_SL_SM_SN_EUlS10_E1_NS1_11comp_targetILNS1_3genE10ELNS1_11target_archE1201ELNS1_3gpuE5ELNS1_3repE0EEENS1_36merge_oddeven_config_static_selectorELNS0_4arch9wavefront6targetE1EEEvSM_,"axG",@progbits,_ZN7rocprim17ROCPRIM_400000_NS6detail17trampoline_kernelINS0_14default_configENS1_38merge_sort_block_merge_config_selectorIlNS0_10empty_typeEEEZZNS1_27merge_sort_block_merge_implIS3_PlPS5_mZN2at6native12_GLOBAL__N_124unique_dim_cuda_templateIiEESt5tupleIJNSA_6TensorESF_SF_EERKSF_lbbbEUlllE_EE10hipError_tT0_T1_T2_jT3_P12ihipStream_tbPNSt15iterator_traitsISL_E10value_typeEPNSR_ISM_E10value_typeEPSN_NS1_7vsmem_tEENKUlT_SL_SM_SN_E_clIS8_S8_S9_S9_EESK_S10_SL_SM_SN_EUlS10_E1_NS1_11comp_targetILNS1_3genE10ELNS1_11target_archE1201ELNS1_3gpuE5ELNS1_3repE0EEENS1_36merge_oddeven_config_static_selectorELNS0_4arch9wavefront6targetE1EEEvSM_,comdat
	.globl	_ZN7rocprim17ROCPRIM_400000_NS6detail17trampoline_kernelINS0_14default_configENS1_38merge_sort_block_merge_config_selectorIlNS0_10empty_typeEEEZZNS1_27merge_sort_block_merge_implIS3_PlPS5_mZN2at6native12_GLOBAL__N_124unique_dim_cuda_templateIiEESt5tupleIJNSA_6TensorESF_SF_EERKSF_lbbbEUlllE_EE10hipError_tT0_T1_T2_jT3_P12ihipStream_tbPNSt15iterator_traitsISL_E10value_typeEPNSR_ISM_E10value_typeEPSN_NS1_7vsmem_tEENKUlT_SL_SM_SN_E_clIS8_S8_S9_S9_EESK_S10_SL_SM_SN_EUlS10_E1_NS1_11comp_targetILNS1_3genE10ELNS1_11target_archE1201ELNS1_3gpuE5ELNS1_3repE0EEENS1_36merge_oddeven_config_static_selectorELNS0_4arch9wavefront6targetE1EEEvSM_ ; -- Begin function _ZN7rocprim17ROCPRIM_400000_NS6detail17trampoline_kernelINS0_14default_configENS1_38merge_sort_block_merge_config_selectorIlNS0_10empty_typeEEEZZNS1_27merge_sort_block_merge_implIS3_PlPS5_mZN2at6native12_GLOBAL__N_124unique_dim_cuda_templateIiEESt5tupleIJNSA_6TensorESF_SF_EERKSF_lbbbEUlllE_EE10hipError_tT0_T1_T2_jT3_P12ihipStream_tbPNSt15iterator_traitsISL_E10value_typeEPNSR_ISM_E10value_typeEPSN_NS1_7vsmem_tEENKUlT_SL_SM_SN_E_clIS8_S8_S9_S9_EESK_S10_SL_SM_SN_EUlS10_E1_NS1_11comp_targetILNS1_3genE10ELNS1_11target_archE1201ELNS1_3gpuE5ELNS1_3repE0EEENS1_36merge_oddeven_config_static_selectorELNS0_4arch9wavefront6targetE1EEEvSM_
	.p2align	8
	.type	_ZN7rocprim17ROCPRIM_400000_NS6detail17trampoline_kernelINS0_14default_configENS1_38merge_sort_block_merge_config_selectorIlNS0_10empty_typeEEEZZNS1_27merge_sort_block_merge_implIS3_PlPS5_mZN2at6native12_GLOBAL__N_124unique_dim_cuda_templateIiEESt5tupleIJNSA_6TensorESF_SF_EERKSF_lbbbEUlllE_EE10hipError_tT0_T1_T2_jT3_P12ihipStream_tbPNSt15iterator_traitsISL_E10value_typeEPNSR_ISM_E10value_typeEPSN_NS1_7vsmem_tEENKUlT_SL_SM_SN_E_clIS8_S8_S9_S9_EESK_S10_SL_SM_SN_EUlS10_E1_NS1_11comp_targetILNS1_3genE10ELNS1_11target_archE1201ELNS1_3gpuE5ELNS1_3repE0EEENS1_36merge_oddeven_config_static_selectorELNS0_4arch9wavefront6targetE1EEEvSM_,@function
_ZN7rocprim17ROCPRIM_400000_NS6detail17trampoline_kernelINS0_14default_configENS1_38merge_sort_block_merge_config_selectorIlNS0_10empty_typeEEEZZNS1_27merge_sort_block_merge_implIS3_PlPS5_mZN2at6native12_GLOBAL__N_124unique_dim_cuda_templateIiEESt5tupleIJNSA_6TensorESF_SF_EERKSF_lbbbEUlllE_EE10hipError_tT0_T1_T2_jT3_P12ihipStream_tbPNSt15iterator_traitsISL_E10value_typeEPNSR_ISM_E10value_typeEPSN_NS1_7vsmem_tEENKUlT_SL_SM_SN_E_clIS8_S8_S9_S9_EESK_S10_SL_SM_SN_EUlS10_E1_NS1_11comp_targetILNS1_3genE10ELNS1_11target_archE1201ELNS1_3gpuE5ELNS1_3repE0EEENS1_36merge_oddeven_config_static_selectorELNS0_4arch9wavefront6targetE1EEEvSM_: ; @_ZN7rocprim17ROCPRIM_400000_NS6detail17trampoline_kernelINS0_14default_configENS1_38merge_sort_block_merge_config_selectorIlNS0_10empty_typeEEEZZNS1_27merge_sort_block_merge_implIS3_PlPS5_mZN2at6native12_GLOBAL__N_124unique_dim_cuda_templateIiEESt5tupleIJNSA_6TensorESF_SF_EERKSF_lbbbEUlllE_EE10hipError_tT0_T1_T2_jT3_P12ihipStream_tbPNSt15iterator_traitsISL_E10value_typeEPNSR_ISM_E10value_typeEPSN_NS1_7vsmem_tEENKUlT_SL_SM_SN_E_clIS8_S8_S9_S9_EESK_S10_SL_SM_SN_EUlS10_E1_NS1_11comp_targetILNS1_3genE10ELNS1_11target_archE1201ELNS1_3gpuE5ELNS1_3repE0EEENS1_36merge_oddeven_config_static_selectorELNS0_4arch9wavefront6targetE1EEEvSM_
; %bb.0:
	.section	.rodata,"a",@progbits
	.p2align	6, 0x0
	.amdhsa_kernel _ZN7rocprim17ROCPRIM_400000_NS6detail17trampoline_kernelINS0_14default_configENS1_38merge_sort_block_merge_config_selectorIlNS0_10empty_typeEEEZZNS1_27merge_sort_block_merge_implIS3_PlPS5_mZN2at6native12_GLOBAL__N_124unique_dim_cuda_templateIiEESt5tupleIJNSA_6TensorESF_SF_EERKSF_lbbbEUlllE_EE10hipError_tT0_T1_T2_jT3_P12ihipStream_tbPNSt15iterator_traitsISL_E10value_typeEPNSR_ISM_E10value_typeEPSN_NS1_7vsmem_tEENKUlT_SL_SM_SN_E_clIS8_S8_S9_S9_EESK_S10_SL_SM_SN_EUlS10_E1_NS1_11comp_targetILNS1_3genE10ELNS1_11target_archE1201ELNS1_3gpuE5ELNS1_3repE0EEENS1_36merge_oddeven_config_static_selectorELNS0_4arch9wavefront6targetE1EEEvSM_
		.amdhsa_group_segment_fixed_size 0
		.amdhsa_private_segment_fixed_size 0
		.amdhsa_kernarg_size 64
		.amdhsa_user_sgpr_count 2
		.amdhsa_user_sgpr_dispatch_ptr 0
		.amdhsa_user_sgpr_queue_ptr 0
		.amdhsa_user_sgpr_kernarg_segment_ptr 1
		.amdhsa_user_sgpr_dispatch_id 0
		.amdhsa_user_sgpr_kernarg_preload_length 0
		.amdhsa_user_sgpr_kernarg_preload_offset 0
		.amdhsa_user_sgpr_private_segment_size 0
		.amdhsa_uses_dynamic_stack 0
		.amdhsa_enable_private_segment 0
		.amdhsa_system_sgpr_workgroup_id_x 1
		.amdhsa_system_sgpr_workgroup_id_y 0
		.amdhsa_system_sgpr_workgroup_id_z 0
		.amdhsa_system_sgpr_workgroup_info 0
		.amdhsa_system_vgpr_workitem_id 0
		.amdhsa_next_free_vgpr 1
		.amdhsa_next_free_sgpr 0
		.amdhsa_accum_offset 4
		.amdhsa_reserve_vcc 0
		.amdhsa_float_round_mode_32 0
		.amdhsa_float_round_mode_16_64 0
		.amdhsa_float_denorm_mode_32 3
		.amdhsa_float_denorm_mode_16_64 3
		.amdhsa_dx10_clamp 1
		.amdhsa_ieee_mode 1
		.amdhsa_fp16_overflow 0
		.amdhsa_tg_split 0
		.amdhsa_exception_fp_ieee_invalid_op 0
		.amdhsa_exception_fp_denorm_src 0
		.amdhsa_exception_fp_ieee_div_zero 0
		.amdhsa_exception_fp_ieee_overflow 0
		.amdhsa_exception_fp_ieee_underflow 0
		.amdhsa_exception_fp_ieee_inexact 0
		.amdhsa_exception_int_div_zero 0
	.end_amdhsa_kernel
	.section	.text._ZN7rocprim17ROCPRIM_400000_NS6detail17trampoline_kernelINS0_14default_configENS1_38merge_sort_block_merge_config_selectorIlNS0_10empty_typeEEEZZNS1_27merge_sort_block_merge_implIS3_PlPS5_mZN2at6native12_GLOBAL__N_124unique_dim_cuda_templateIiEESt5tupleIJNSA_6TensorESF_SF_EERKSF_lbbbEUlllE_EE10hipError_tT0_T1_T2_jT3_P12ihipStream_tbPNSt15iterator_traitsISL_E10value_typeEPNSR_ISM_E10value_typeEPSN_NS1_7vsmem_tEENKUlT_SL_SM_SN_E_clIS8_S8_S9_S9_EESK_S10_SL_SM_SN_EUlS10_E1_NS1_11comp_targetILNS1_3genE10ELNS1_11target_archE1201ELNS1_3gpuE5ELNS1_3repE0EEENS1_36merge_oddeven_config_static_selectorELNS0_4arch9wavefront6targetE1EEEvSM_,"axG",@progbits,_ZN7rocprim17ROCPRIM_400000_NS6detail17trampoline_kernelINS0_14default_configENS1_38merge_sort_block_merge_config_selectorIlNS0_10empty_typeEEEZZNS1_27merge_sort_block_merge_implIS3_PlPS5_mZN2at6native12_GLOBAL__N_124unique_dim_cuda_templateIiEESt5tupleIJNSA_6TensorESF_SF_EERKSF_lbbbEUlllE_EE10hipError_tT0_T1_T2_jT3_P12ihipStream_tbPNSt15iterator_traitsISL_E10value_typeEPNSR_ISM_E10value_typeEPSN_NS1_7vsmem_tEENKUlT_SL_SM_SN_E_clIS8_S8_S9_S9_EESK_S10_SL_SM_SN_EUlS10_E1_NS1_11comp_targetILNS1_3genE10ELNS1_11target_archE1201ELNS1_3gpuE5ELNS1_3repE0EEENS1_36merge_oddeven_config_static_selectorELNS0_4arch9wavefront6targetE1EEEvSM_,comdat
.Lfunc_end409:
	.size	_ZN7rocprim17ROCPRIM_400000_NS6detail17trampoline_kernelINS0_14default_configENS1_38merge_sort_block_merge_config_selectorIlNS0_10empty_typeEEEZZNS1_27merge_sort_block_merge_implIS3_PlPS5_mZN2at6native12_GLOBAL__N_124unique_dim_cuda_templateIiEESt5tupleIJNSA_6TensorESF_SF_EERKSF_lbbbEUlllE_EE10hipError_tT0_T1_T2_jT3_P12ihipStream_tbPNSt15iterator_traitsISL_E10value_typeEPNSR_ISM_E10value_typeEPSN_NS1_7vsmem_tEENKUlT_SL_SM_SN_E_clIS8_S8_S9_S9_EESK_S10_SL_SM_SN_EUlS10_E1_NS1_11comp_targetILNS1_3genE10ELNS1_11target_archE1201ELNS1_3gpuE5ELNS1_3repE0EEENS1_36merge_oddeven_config_static_selectorELNS0_4arch9wavefront6targetE1EEEvSM_, .Lfunc_end409-_ZN7rocprim17ROCPRIM_400000_NS6detail17trampoline_kernelINS0_14default_configENS1_38merge_sort_block_merge_config_selectorIlNS0_10empty_typeEEEZZNS1_27merge_sort_block_merge_implIS3_PlPS5_mZN2at6native12_GLOBAL__N_124unique_dim_cuda_templateIiEESt5tupleIJNSA_6TensorESF_SF_EERKSF_lbbbEUlllE_EE10hipError_tT0_T1_T2_jT3_P12ihipStream_tbPNSt15iterator_traitsISL_E10value_typeEPNSR_ISM_E10value_typeEPSN_NS1_7vsmem_tEENKUlT_SL_SM_SN_E_clIS8_S8_S9_S9_EESK_S10_SL_SM_SN_EUlS10_E1_NS1_11comp_targetILNS1_3genE10ELNS1_11target_archE1201ELNS1_3gpuE5ELNS1_3repE0EEENS1_36merge_oddeven_config_static_selectorELNS0_4arch9wavefront6targetE1EEEvSM_
                                        ; -- End function
	.set _ZN7rocprim17ROCPRIM_400000_NS6detail17trampoline_kernelINS0_14default_configENS1_38merge_sort_block_merge_config_selectorIlNS0_10empty_typeEEEZZNS1_27merge_sort_block_merge_implIS3_PlPS5_mZN2at6native12_GLOBAL__N_124unique_dim_cuda_templateIiEESt5tupleIJNSA_6TensorESF_SF_EERKSF_lbbbEUlllE_EE10hipError_tT0_T1_T2_jT3_P12ihipStream_tbPNSt15iterator_traitsISL_E10value_typeEPNSR_ISM_E10value_typeEPSN_NS1_7vsmem_tEENKUlT_SL_SM_SN_E_clIS8_S8_S9_S9_EESK_S10_SL_SM_SN_EUlS10_E1_NS1_11comp_targetILNS1_3genE10ELNS1_11target_archE1201ELNS1_3gpuE5ELNS1_3repE0EEENS1_36merge_oddeven_config_static_selectorELNS0_4arch9wavefront6targetE1EEEvSM_.num_vgpr, 0
	.set _ZN7rocprim17ROCPRIM_400000_NS6detail17trampoline_kernelINS0_14default_configENS1_38merge_sort_block_merge_config_selectorIlNS0_10empty_typeEEEZZNS1_27merge_sort_block_merge_implIS3_PlPS5_mZN2at6native12_GLOBAL__N_124unique_dim_cuda_templateIiEESt5tupleIJNSA_6TensorESF_SF_EERKSF_lbbbEUlllE_EE10hipError_tT0_T1_T2_jT3_P12ihipStream_tbPNSt15iterator_traitsISL_E10value_typeEPNSR_ISM_E10value_typeEPSN_NS1_7vsmem_tEENKUlT_SL_SM_SN_E_clIS8_S8_S9_S9_EESK_S10_SL_SM_SN_EUlS10_E1_NS1_11comp_targetILNS1_3genE10ELNS1_11target_archE1201ELNS1_3gpuE5ELNS1_3repE0EEENS1_36merge_oddeven_config_static_selectorELNS0_4arch9wavefront6targetE1EEEvSM_.num_agpr, 0
	.set _ZN7rocprim17ROCPRIM_400000_NS6detail17trampoline_kernelINS0_14default_configENS1_38merge_sort_block_merge_config_selectorIlNS0_10empty_typeEEEZZNS1_27merge_sort_block_merge_implIS3_PlPS5_mZN2at6native12_GLOBAL__N_124unique_dim_cuda_templateIiEESt5tupleIJNSA_6TensorESF_SF_EERKSF_lbbbEUlllE_EE10hipError_tT0_T1_T2_jT3_P12ihipStream_tbPNSt15iterator_traitsISL_E10value_typeEPNSR_ISM_E10value_typeEPSN_NS1_7vsmem_tEENKUlT_SL_SM_SN_E_clIS8_S8_S9_S9_EESK_S10_SL_SM_SN_EUlS10_E1_NS1_11comp_targetILNS1_3genE10ELNS1_11target_archE1201ELNS1_3gpuE5ELNS1_3repE0EEENS1_36merge_oddeven_config_static_selectorELNS0_4arch9wavefront6targetE1EEEvSM_.numbered_sgpr, 0
	.set _ZN7rocprim17ROCPRIM_400000_NS6detail17trampoline_kernelINS0_14default_configENS1_38merge_sort_block_merge_config_selectorIlNS0_10empty_typeEEEZZNS1_27merge_sort_block_merge_implIS3_PlPS5_mZN2at6native12_GLOBAL__N_124unique_dim_cuda_templateIiEESt5tupleIJNSA_6TensorESF_SF_EERKSF_lbbbEUlllE_EE10hipError_tT0_T1_T2_jT3_P12ihipStream_tbPNSt15iterator_traitsISL_E10value_typeEPNSR_ISM_E10value_typeEPSN_NS1_7vsmem_tEENKUlT_SL_SM_SN_E_clIS8_S8_S9_S9_EESK_S10_SL_SM_SN_EUlS10_E1_NS1_11comp_targetILNS1_3genE10ELNS1_11target_archE1201ELNS1_3gpuE5ELNS1_3repE0EEENS1_36merge_oddeven_config_static_selectorELNS0_4arch9wavefront6targetE1EEEvSM_.num_named_barrier, 0
	.set _ZN7rocprim17ROCPRIM_400000_NS6detail17trampoline_kernelINS0_14default_configENS1_38merge_sort_block_merge_config_selectorIlNS0_10empty_typeEEEZZNS1_27merge_sort_block_merge_implIS3_PlPS5_mZN2at6native12_GLOBAL__N_124unique_dim_cuda_templateIiEESt5tupleIJNSA_6TensorESF_SF_EERKSF_lbbbEUlllE_EE10hipError_tT0_T1_T2_jT3_P12ihipStream_tbPNSt15iterator_traitsISL_E10value_typeEPNSR_ISM_E10value_typeEPSN_NS1_7vsmem_tEENKUlT_SL_SM_SN_E_clIS8_S8_S9_S9_EESK_S10_SL_SM_SN_EUlS10_E1_NS1_11comp_targetILNS1_3genE10ELNS1_11target_archE1201ELNS1_3gpuE5ELNS1_3repE0EEENS1_36merge_oddeven_config_static_selectorELNS0_4arch9wavefront6targetE1EEEvSM_.private_seg_size, 0
	.set _ZN7rocprim17ROCPRIM_400000_NS6detail17trampoline_kernelINS0_14default_configENS1_38merge_sort_block_merge_config_selectorIlNS0_10empty_typeEEEZZNS1_27merge_sort_block_merge_implIS3_PlPS5_mZN2at6native12_GLOBAL__N_124unique_dim_cuda_templateIiEESt5tupleIJNSA_6TensorESF_SF_EERKSF_lbbbEUlllE_EE10hipError_tT0_T1_T2_jT3_P12ihipStream_tbPNSt15iterator_traitsISL_E10value_typeEPNSR_ISM_E10value_typeEPSN_NS1_7vsmem_tEENKUlT_SL_SM_SN_E_clIS8_S8_S9_S9_EESK_S10_SL_SM_SN_EUlS10_E1_NS1_11comp_targetILNS1_3genE10ELNS1_11target_archE1201ELNS1_3gpuE5ELNS1_3repE0EEENS1_36merge_oddeven_config_static_selectorELNS0_4arch9wavefront6targetE1EEEvSM_.uses_vcc, 0
	.set _ZN7rocprim17ROCPRIM_400000_NS6detail17trampoline_kernelINS0_14default_configENS1_38merge_sort_block_merge_config_selectorIlNS0_10empty_typeEEEZZNS1_27merge_sort_block_merge_implIS3_PlPS5_mZN2at6native12_GLOBAL__N_124unique_dim_cuda_templateIiEESt5tupleIJNSA_6TensorESF_SF_EERKSF_lbbbEUlllE_EE10hipError_tT0_T1_T2_jT3_P12ihipStream_tbPNSt15iterator_traitsISL_E10value_typeEPNSR_ISM_E10value_typeEPSN_NS1_7vsmem_tEENKUlT_SL_SM_SN_E_clIS8_S8_S9_S9_EESK_S10_SL_SM_SN_EUlS10_E1_NS1_11comp_targetILNS1_3genE10ELNS1_11target_archE1201ELNS1_3gpuE5ELNS1_3repE0EEENS1_36merge_oddeven_config_static_selectorELNS0_4arch9wavefront6targetE1EEEvSM_.uses_flat_scratch, 0
	.set _ZN7rocprim17ROCPRIM_400000_NS6detail17trampoline_kernelINS0_14default_configENS1_38merge_sort_block_merge_config_selectorIlNS0_10empty_typeEEEZZNS1_27merge_sort_block_merge_implIS3_PlPS5_mZN2at6native12_GLOBAL__N_124unique_dim_cuda_templateIiEESt5tupleIJNSA_6TensorESF_SF_EERKSF_lbbbEUlllE_EE10hipError_tT0_T1_T2_jT3_P12ihipStream_tbPNSt15iterator_traitsISL_E10value_typeEPNSR_ISM_E10value_typeEPSN_NS1_7vsmem_tEENKUlT_SL_SM_SN_E_clIS8_S8_S9_S9_EESK_S10_SL_SM_SN_EUlS10_E1_NS1_11comp_targetILNS1_3genE10ELNS1_11target_archE1201ELNS1_3gpuE5ELNS1_3repE0EEENS1_36merge_oddeven_config_static_selectorELNS0_4arch9wavefront6targetE1EEEvSM_.has_dyn_sized_stack, 0
	.set _ZN7rocprim17ROCPRIM_400000_NS6detail17trampoline_kernelINS0_14default_configENS1_38merge_sort_block_merge_config_selectorIlNS0_10empty_typeEEEZZNS1_27merge_sort_block_merge_implIS3_PlPS5_mZN2at6native12_GLOBAL__N_124unique_dim_cuda_templateIiEESt5tupleIJNSA_6TensorESF_SF_EERKSF_lbbbEUlllE_EE10hipError_tT0_T1_T2_jT3_P12ihipStream_tbPNSt15iterator_traitsISL_E10value_typeEPNSR_ISM_E10value_typeEPSN_NS1_7vsmem_tEENKUlT_SL_SM_SN_E_clIS8_S8_S9_S9_EESK_S10_SL_SM_SN_EUlS10_E1_NS1_11comp_targetILNS1_3genE10ELNS1_11target_archE1201ELNS1_3gpuE5ELNS1_3repE0EEENS1_36merge_oddeven_config_static_selectorELNS0_4arch9wavefront6targetE1EEEvSM_.has_recursion, 0
	.set _ZN7rocprim17ROCPRIM_400000_NS6detail17trampoline_kernelINS0_14default_configENS1_38merge_sort_block_merge_config_selectorIlNS0_10empty_typeEEEZZNS1_27merge_sort_block_merge_implIS3_PlPS5_mZN2at6native12_GLOBAL__N_124unique_dim_cuda_templateIiEESt5tupleIJNSA_6TensorESF_SF_EERKSF_lbbbEUlllE_EE10hipError_tT0_T1_T2_jT3_P12ihipStream_tbPNSt15iterator_traitsISL_E10value_typeEPNSR_ISM_E10value_typeEPSN_NS1_7vsmem_tEENKUlT_SL_SM_SN_E_clIS8_S8_S9_S9_EESK_S10_SL_SM_SN_EUlS10_E1_NS1_11comp_targetILNS1_3genE10ELNS1_11target_archE1201ELNS1_3gpuE5ELNS1_3repE0EEENS1_36merge_oddeven_config_static_selectorELNS0_4arch9wavefront6targetE1EEEvSM_.has_indirect_call, 0
	.section	.AMDGPU.csdata,"",@progbits
; Kernel info:
; codeLenInByte = 0
; TotalNumSgprs: 6
; NumVgprs: 0
; NumAgprs: 0
; TotalNumVgprs: 0
; ScratchSize: 0
; MemoryBound: 0
; FloatMode: 240
; IeeeMode: 1
; LDSByteSize: 0 bytes/workgroup (compile time only)
; SGPRBlocks: 0
; VGPRBlocks: 0
; NumSGPRsForWavesPerEU: 6
; NumVGPRsForWavesPerEU: 1
; AccumOffset: 4
; Occupancy: 8
; WaveLimiterHint : 0
; COMPUTE_PGM_RSRC2:SCRATCH_EN: 0
; COMPUTE_PGM_RSRC2:USER_SGPR: 2
; COMPUTE_PGM_RSRC2:TRAP_HANDLER: 0
; COMPUTE_PGM_RSRC2:TGID_X_EN: 1
; COMPUTE_PGM_RSRC2:TGID_Y_EN: 0
; COMPUTE_PGM_RSRC2:TGID_Z_EN: 0
; COMPUTE_PGM_RSRC2:TIDIG_COMP_CNT: 0
; COMPUTE_PGM_RSRC3_GFX90A:ACCUM_OFFSET: 0
; COMPUTE_PGM_RSRC3_GFX90A:TG_SPLIT: 0
	.section	.text._ZN7rocprim17ROCPRIM_400000_NS6detail17trampoline_kernelINS0_14default_configENS1_38merge_sort_block_merge_config_selectorIlNS0_10empty_typeEEEZZNS1_27merge_sort_block_merge_implIS3_PlPS5_mZN2at6native12_GLOBAL__N_124unique_dim_cuda_templateIiEESt5tupleIJNSA_6TensorESF_SF_EERKSF_lbbbEUlllE_EE10hipError_tT0_T1_T2_jT3_P12ihipStream_tbPNSt15iterator_traitsISL_E10value_typeEPNSR_ISM_E10value_typeEPSN_NS1_7vsmem_tEENKUlT_SL_SM_SN_E_clIS8_S8_S9_S9_EESK_S10_SL_SM_SN_EUlS10_E1_NS1_11comp_targetILNS1_3genE5ELNS1_11target_archE942ELNS1_3gpuE9ELNS1_3repE0EEENS1_36merge_oddeven_config_static_selectorELNS0_4arch9wavefront6targetE1EEEvSM_,"axG",@progbits,_ZN7rocprim17ROCPRIM_400000_NS6detail17trampoline_kernelINS0_14default_configENS1_38merge_sort_block_merge_config_selectorIlNS0_10empty_typeEEEZZNS1_27merge_sort_block_merge_implIS3_PlPS5_mZN2at6native12_GLOBAL__N_124unique_dim_cuda_templateIiEESt5tupleIJNSA_6TensorESF_SF_EERKSF_lbbbEUlllE_EE10hipError_tT0_T1_T2_jT3_P12ihipStream_tbPNSt15iterator_traitsISL_E10value_typeEPNSR_ISM_E10value_typeEPSN_NS1_7vsmem_tEENKUlT_SL_SM_SN_E_clIS8_S8_S9_S9_EESK_S10_SL_SM_SN_EUlS10_E1_NS1_11comp_targetILNS1_3genE5ELNS1_11target_archE942ELNS1_3gpuE9ELNS1_3repE0EEENS1_36merge_oddeven_config_static_selectorELNS0_4arch9wavefront6targetE1EEEvSM_,comdat
	.globl	_ZN7rocprim17ROCPRIM_400000_NS6detail17trampoline_kernelINS0_14default_configENS1_38merge_sort_block_merge_config_selectorIlNS0_10empty_typeEEEZZNS1_27merge_sort_block_merge_implIS3_PlPS5_mZN2at6native12_GLOBAL__N_124unique_dim_cuda_templateIiEESt5tupleIJNSA_6TensorESF_SF_EERKSF_lbbbEUlllE_EE10hipError_tT0_T1_T2_jT3_P12ihipStream_tbPNSt15iterator_traitsISL_E10value_typeEPNSR_ISM_E10value_typeEPSN_NS1_7vsmem_tEENKUlT_SL_SM_SN_E_clIS8_S8_S9_S9_EESK_S10_SL_SM_SN_EUlS10_E1_NS1_11comp_targetILNS1_3genE5ELNS1_11target_archE942ELNS1_3gpuE9ELNS1_3repE0EEENS1_36merge_oddeven_config_static_selectorELNS0_4arch9wavefront6targetE1EEEvSM_ ; -- Begin function _ZN7rocprim17ROCPRIM_400000_NS6detail17trampoline_kernelINS0_14default_configENS1_38merge_sort_block_merge_config_selectorIlNS0_10empty_typeEEEZZNS1_27merge_sort_block_merge_implIS3_PlPS5_mZN2at6native12_GLOBAL__N_124unique_dim_cuda_templateIiEESt5tupleIJNSA_6TensorESF_SF_EERKSF_lbbbEUlllE_EE10hipError_tT0_T1_T2_jT3_P12ihipStream_tbPNSt15iterator_traitsISL_E10value_typeEPNSR_ISM_E10value_typeEPSN_NS1_7vsmem_tEENKUlT_SL_SM_SN_E_clIS8_S8_S9_S9_EESK_S10_SL_SM_SN_EUlS10_E1_NS1_11comp_targetILNS1_3genE5ELNS1_11target_archE942ELNS1_3gpuE9ELNS1_3repE0EEENS1_36merge_oddeven_config_static_selectorELNS0_4arch9wavefront6targetE1EEEvSM_
	.p2align	8
	.type	_ZN7rocprim17ROCPRIM_400000_NS6detail17trampoline_kernelINS0_14default_configENS1_38merge_sort_block_merge_config_selectorIlNS0_10empty_typeEEEZZNS1_27merge_sort_block_merge_implIS3_PlPS5_mZN2at6native12_GLOBAL__N_124unique_dim_cuda_templateIiEESt5tupleIJNSA_6TensorESF_SF_EERKSF_lbbbEUlllE_EE10hipError_tT0_T1_T2_jT3_P12ihipStream_tbPNSt15iterator_traitsISL_E10value_typeEPNSR_ISM_E10value_typeEPSN_NS1_7vsmem_tEENKUlT_SL_SM_SN_E_clIS8_S8_S9_S9_EESK_S10_SL_SM_SN_EUlS10_E1_NS1_11comp_targetILNS1_3genE5ELNS1_11target_archE942ELNS1_3gpuE9ELNS1_3repE0EEENS1_36merge_oddeven_config_static_selectorELNS0_4arch9wavefront6targetE1EEEvSM_,@function
_ZN7rocprim17ROCPRIM_400000_NS6detail17trampoline_kernelINS0_14default_configENS1_38merge_sort_block_merge_config_selectorIlNS0_10empty_typeEEEZZNS1_27merge_sort_block_merge_implIS3_PlPS5_mZN2at6native12_GLOBAL__N_124unique_dim_cuda_templateIiEESt5tupleIJNSA_6TensorESF_SF_EERKSF_lbbbEUlllE_EE10hipError_tT0_T1_T2_jT3_P12ihipStream_tbPNSt15iterator_traitsISL_E10value_typeEPNSR_ISM_E10value_typeEPSN_NS1_7vsmem_tEENKUlT_SL_SM_SN_E_clIS8_S8_S9_S9_EESK_S10_SL_SM_SN_EUlS10_E1_NS1_11comp_targetILNS1_3genE5ELNS1_11target_archE942ELNS1_3gpuE9ELNS1_3repE0EEENS1_36merge_oddeven_config_static_selectorELNS0_4arch9wavefront6targetE1EEEvSM_: ; @_ZN7rocprim17ROCPRIM_400000_NS6detail17trampoline_kernelINS0_14default_configENS1_38merge_sort_block_merge_config_selectorIlNS0_10empty_typeEEEZZNS1_27merge_sort_block_merge_implIS3_PlPS5_mZN2at6native12_GLOBAL__N_124unique_dim_cuda_templateIiEESt5tupleIJNSA_6TensorESF_SF_EERKSF_lbbbEUlllE_EE10hipError_tT0_T1_T2_jT3_P12ihipStream_tbPNSt15iterator_traitsISL_E10value_typeEPNSR_ISM_E10value_typeEPSN_NS1_7vsmem_tEENKUlT_SL_SM_SN_E_clIS8_S8_S9_S9_EESK_S10_SL_SM_SN_EUlS10_E1_NS1_11comp_targetILNS1_3genE5ELNS1_11target_archE942ELNS1_3gpuE9ELNS1_3repE0EEENS1_36merge_oddeven_config_static_selectorELNS0_4arch9wavefront6targetE1EEEvSM_
; %bb.0:
	.section	.rodata,"a",@progbits
	.p2align	6, 0x0
	.amdhsa_kernel _ZN7rocprim17ROCPRIM_400000_NS6detail17trampoline_kernelINS0_14default_configENS1_38merge_sort_block_merge_config_selectorIlNS0_10empty_typeEEEZZNS1_27merge_sort_block_merge_implIS3_PlPS5_mZN2at6native12_GLOBAL__N_124unique_dim_cuda_templateIiEESt5tupleIJNSA_6TensorESF_SF_EERKSF_lbbbEUlllE_EE10hipError_tT0_T1_T2_jT3_P12ihipStream_tbPNSt15iterator_traitsISL_E10value_typeEPNSR_ISM_E10value_typeEPSN_NS1_7vsmem_tEENKUlT_SL_SM_SN_E_clIS8_S8_S9_S9_EESK_S10_SL_SM_SN_EUlS10_E1_NS1_11comp_targetILNS1_3genE5ELNS1_11target_archE942ELNS1_3gpuE9ELNS1_3repE0EEENS1_36merge_oddeven_config_static_selectorELNS0_4arch9wavefront6targetE1EEEvSM_
		.amdhsa_group_segment_fixed_size 0
		.amdhsa_private_segment_fixed_size 0
		.amdhsa_kernarg_size 64
		.amdhsa_user_sgpr_count 2
		.amdhsa_user_sgpr_dispatch_ptr 0
		.amdhsa_user_sgpr_queue_ptr 0
		.amdhsa_user_sgpr_kernarg_segment_ptr 1
		.amdhsa_user_sgpr_dispatch_id 0
		.amdhsa_user_sgpr_kernarg_preload_length 0
		.amdhsa_user_sgpr_kernarg_preload_offset 0
		.amdhsa_user_sgpr_private_segment_size 0
		.amdhsa_uses_dynamic_stack 0
		.amdhsa_enable_private_segment 0
		.amdhsa_system_sgpr_workgroup_id_x 1
		.amdhsa_system_sgpr_workgroup_id_y 0
		.amdhsa_system_sgpr_workgroup_id_z 0
		.amdhsa_system_sgpr_workgroup_info 0
		.amdhsa_system_vgpr_workitem_id 0
		.amdhsa_next_free_vgpr 1
		.amdhsa_next_free_sgpr 0
		.amdhsa_accum_offset 4
		.amdhsa_reserve_vcc 0
		.amdhsa_float_round_mode_32 0
		.amdhsa_float_round_mode_16_64 0
		.amdhsa_float_denorm_mode_32 3
		.amdhsa_float_denorm_mode_16_64 3
		.amdhsa_dx10_clamp 1
		.amdhsa_ieee_mode 1
		.amdhsa_fp16_overflow 0
		.amdhsa_tg_split 0
		.amdhsa_exception_fp_ieee_invalid_op 0
		.amdhsa_exception_fp_denorm_src 0
		.amdhsa_exception_fp_ieee_div_zero 0
		.amdhsa_exception_fp_ieee_overflow 0
		.amdhsa_exception_fp_ieee_underflow 0
		.amdhsa_exception_fp_ieee_inexact 0
		.amdhsa_exception_int_div_zero 0
	.end_amdhsa_kernel
	.section	.text._ZN7rocprim17ROCPRIM_400000_NS6detail17trampoline_kernelINS0_14default_configENS1_38merge_sort_block_merge_config_selectorIlNS0_10empty_typeEEEZZNS1_27merge_sort_block_merge_implIS3_PlPS5_mZN2at6native12_GLOBAL__N_124unique_dim_cuda_templateIiEESt5tupleIJNSA_6TensorESF_SF_EERKSF_lbbbEUlllE_EE10hipError_tT0_T1_T2_jT3_P12ihipStream_tbPNSt15iterator_traitsISL_E10value_typeEPNSR_ISM_E10value_typeEPSN_NS1_7vsmem_tEENKUlT_SL_SM_SN_E_clIS8_S8_S9_S9_EESK_S10_SL_SM_SN_EUlS10_E1_NS1_11comp_targetILNS1_3genE5ELNS1_11target_archE942ELNS1_3gpuE9ELNS1_3repE0EEENS1_36merge_oddeven_config_static_selectorELNS0_4arch9wavefront6targetE1EEEvSM_,"axG",@progbits,_ZN7rocprim17ROCPRIM_400000_NS6detail17trampoline_kernelINS0_14default_configENS1_38merge_sort_block_merge_config_selectorIlNS0_10empty_typeEEEZZNS1_27merge_sort_block_merge_implIS3_PlPS5_mZN2at6native12_GLOBAL__N_124unique_dim_cuda_templateIiEESt5tupleIJNSA_6TensorESF_SF_EERKSF_lbbbEUlllE_EE10hipError_tT0_T1_T2_jT3_P12ihipStream_tbPNSt15iterator_traitsISL_E10value_typeEPNSR_ISM_E10value_typeEPSN_NS1_7vsmem_tEENKUlT_SL_SM_SN_E_clIS8_S8_S9_S9_EESK_S10_SL_SM_SN_EUlS10_E1_NS1_11comp_targetILNS1_3genE5ELNS1_11target_archE942ELNS1_3gpuE9ELNS1_3repE0EEENS1_36merge_oddeven_config_static_selectorELNS0_4arch9wavefront6targetE1EEEvSM_,comdat
.Lfunc_end410:
	.size	_ZN7rocprim17ROCPRIM_400000_NS6detail17trampoline_kernelINS0_14default_configENS1_38merge_sort_block_merge_config_selectorIlNS0_10empty_typeEEEZZNS1_27merge_sort_block_merge_implIS3_PlPS5_mZN2at6native12_GLOBAL__N_124unique_dim_cuda_templateIiEESt5tupleIJNSA_6TensorESF_SF_EERKSF_lbbbEUlllE_EE10hipError_tT0_T1_T2_jT3_P12ihipStream_tbPNSt15iterator_traitsISL_E10value_typeEPNSR_ISM_E10value_typeEPSN_NS1_7vsmem_tEENKUlT_SL_SM_SN_E_clIS8_S8_S9_S9_EESK_S10_SL_SM_SN_EUlS10_E1_NS1_11comp_targetILNS1_3genE5ELNS1_11target_archE942ELNS1_3gpuE9ELNS1_3repE0EEENS1_36merge_oddeven_config_static_selectorELNS0_4arch9wavefront6targetE1EEEvSM_, .Lfunc_end410-_ZN7rocprim17ROCPRIM_400000_NS6detail17trampoline_kernelINS0_14default_configENS1_38merge_sort_block_merge_config_selectorIlNS0_10empty_typeEEEZZNS1_27merge_sort_block_merge_implIS3_PlPS5_mZN2at6native12_GLOBAL__N_124unique_dim_cuda_templateIiEESt5tupleIJNSA_6TensorESF_SF_EERKSF_lbbbEUlllE_EE10hipError_tT0_T1_T2_jT3_P12ihipStream_tbPNSt15iterator_traitsISL_E10value_typeEPNSR_ISM_E10value_typeEPSN_NS1_7vsmem_tEENKUlT_SL_SM_SN_E_clIS8_S8_S9_S9_EESK_S10_SL_SM_SN_EUlS10_E1_NS1_11comp_targetILNS1_3genE5ELNS1_11target_archE942ELNS1_3gpuE9ELNS1_3repE0EEENS1_36merge_oddeven_config_static_selectorELNS0_4arch9wavefront6targetE1EEEvSM_
                                        ; -- End function
	.set _ZN7rocprim17ROCPRIM_400000_NS6detail17trampoline_kernelINS0_14default_configENS1_38merge_sort_block_merge_config_selectorIlNS0_10empty_typeEEEZZNS1_27merge_sort_block_merge_implIS3_PlPS5_mZN2at6native12_GLOBAL__N_124unique_dim_cuda_templateIiEESt5tupleIJNSA_6TensorESF_SF_EERKSF_lbbbEUlllE_EE10hipError_tT0_T1_T2_jT3_P12ihipStream_tbPNSt15iterator_traitsISL_E10value_typeEPNSR_ISM_E10value_typeEPSN_NS1_7vsmem_tEENKUlT_SL_SM_SN_E_clIS8_S8_S9_S9_EESK_S10_SL_SM_SN_EUlS10_E1_NS1_11comp_targetILNS1_3genE5ELNS1_11target_archE942ELNS1_3gpuE9ELNS1_3repE0EEENS1_36merge_oddeven_config_static_selectorELNS0_4arch9wavefront6targetE1EEEvSM_.num_vgpr, 0
	.set _ZN7rocprim17ROCPRIM_400000_NS6detail17trampoline_kernelINS0_14default_configENS1_38merge_sort_block_merge_config_selectorIlNS0_10empty_typeEEEZZNS1_27merge_sort_block_merge_implIS3_PlPS5_mZN2at6native12_GLOBAL__N_124unique_dim_cuda_templateIiEESt5tupleIJNSA_6TensorESF_SF_EERKSF_lbbbEUlllE_EE10hipError_tT0_T1_T2_jT3_P12ihipStream_tbPNSt15iterator_traitsISL_E10value_typeEPNSR_ISM_E10value_typeEPSN_NS1_7vsmem_tEENKUlT_SL_SM_SN_E_clIS8_S8_S9_S9_EESK_S10_SL_SM_SN_EUlS10_E1_NS1_11comp_targetILNS1_3genE5ELNS1_11target_archE942ELNS1_3gpuE9ELNS1_3repE0EEENS1_36merge_oddeven_config_static_selectorELNS0_4arch9wavefront6targetE1EEEvSM_.num_agpr, 0
	.set _ZN7rocprim17ROCPRIM_400000_NS6detail17trampoline_kernelINS0_14default_configENS1_38merge_sort_block_merge_config_selectorIlNS0_10empty_typeEEEZZNS1_27merge_sort_block_merge_implIS3_PlPS5_mZN2at6native12_GLOBAL__N_124unique_dim_cuda_templateIiEESt5tupleIJNSA_6TensorESF_SF_EERKSF_lbbbEUlllE_EE10hipError_tT0_T1_T2_jT3_P12ihipStream_tbPNSt15iterator_traitsISL_E10value_typeEPNSR_ISM_E10value_typeEPSN_NS1_7vsmem_tEENKUlT_SL_SM_SN_E_clIS8_S8_S9_S9_EESK_S10_SL_SM_SN_EUlS10_E1_NS1_11comp_targetILNS1_3genE5ELNS1_11target_archE942ELNS1_3gpuE9ELNS1_3repE0EEENS1_36merge_oddeven_config_static_selectorELNS0_4arch9wavefront6targetE1EEEvSM_.numbered_sgpr, 0
	.set _ZN7rocprim17ROCPRIM_400000_NS6detail17trampoline_kernelINS0_14default_configENS1_38merge_sort_block_merge_config_selectorIlNS0_10empty_typeEEEZZNS1_27merge_sort_block_merge_implIS3_PlPS5_mZN2at6native12_GLOBAL__N_124unique_dim_cuda_templateIiEESt5tupleIJNSA_6TensorESF_SF_EERKSF_lbbbEUlllE_EE10hipError_tT0_T1_T2_jT3_P12ihipStream_tbPNSt15iterator_traitsISL_E10value_typeEPNSR_ISM_E10value_typeEPSN_NS1_7vsmem_tEENKUlT_SL_SM_SN_E_clIS8_S8_S9_S9_EESK_S10_SL_SM_SN_EUlS10_E1_NS1_11comp_targetILNS1_3genE5ELNS1_11target_archE942ELNS1_3gpuE9ELNS1_3repE0EEENS1_36merge_oddeven_config_static_selectorELNS0_4arch9wavefront6targetE1EEEvSM_.num_named_barrier, 0
	.set _ZN7rocprim17ROCPRIM_400000_NS6detail17trampoline_kernelINS0_14default_configENS1_38merge_sort_block_merge_config_selectorIlNS0_10empty_typeEEEZZNS1_27merge_sort_block_merge_implIS3_PlPS5_mZN2at6native12_GLOBAL__N_124unique_dim_cuda_templateIiEESt5tupleIJNSA_6TensorESF_SF_EERKSF_lbbbEUlllE_EE10hipError_tT0_T1_T2_jT3_P12ihipStream_tbPNSt15iterator_traitsISL_E10value_typeEPNSR_ISM_E10value_typeEPSN_NS1_7vsmem_tEENKUlT_SL_SM_SN_E_clIS8_S8_S9_S9_EESK_S10_SL_SM_SN_EUlS10_E1_NS1_11comp_targetILNS1_3genE5ELNS1_11target_archE942ELNS1_3gpuE9ELNS1_3repE0EEENS1_36merge_oddeven_config_static_selectorELNS0_4arch9wavefront6targetE1EEEvSM_.private_seg_size, 0
	.set _ZN7rocprim17ROCPRIM_400000_NS6detail17trampoline_kernelINS0_14default_configENS1_38merge_sort_block_merge_config_selectorIlNS0_10empty_typeEEEZZNS1_27merge_sort_block_merge_implIS3_PlPS5_mZN2at6native12_GLOBAL__N_124unique_dim_cuda_templateIiEESt5tupleIJNSA_6TensorESF_SF_EERKSF_lbbbEUlllE_EE10hipError_tT0_T1_T2_jT3_P12ihipStream_tbPNSt15iterator_traitsISL_E10value_typeEPNSR_ISM_E10value_typeEPSN_NS1_7vsmem_tEENKUlT_SL_SM_SN_E_clIS8_S8_S9_S9_EESK_S10_SL_SM_SN_EUlS10_E1_NS1_11comp_targetILNS1_3genE5ELNS1_11target_archE942ELNS1_3gpuE9ELNS1_3repE0EEENS1_36merge_oddeven_config_static_selectorELNS0_4arch9wavefront6targetE1EEEvSM_.uses_vcc, 0
	.set _ZN7rocprim17ROCPRIM_400000_NS6detail17trampoline_kernelINS0_14default_configENS1_38merge_sort_block_merge_config_selectorIlNS0_10empty_typeEEEZZNS1_27merge_sort_block_merge_implIS3_PlPS5_mZN2at6native12_GLOBAL__N_124unique_dim_cuda_templateIiEESt5tupleIJNSA_6TensorESF_SF_EERKSF_lbbbEUlllE_EE10hipError_tT0_T1_T2_jT3_P12ihipStream_tbPNSt15iterator_traitsISL_E10value_typeEPNSR_ISM_E10value_typeEPSN_NS1_7vsmem_tEENKUlT_SL_SM_SN_E_clIS8_S8_S9_S9_EESK_S10_SL_SM_SN_EUlS10_E1_NS1_11comp_targetILNS1_3genE5ELNS1_11target_archE942ELNS1_3gpuE9ELNS1_3repE0EEENS1_36merge_oddeven_config_static_selectorELNS0_4arch9wavefront6targetE1EEEvSM_.uses_flat_scratch, 0
	.set _ZN7rocprim17ROCPRIM_400000_NS6detail17trampoline_kernelINS0_14default_configENS1_38merge_sort_block_merge_config_selectorIlNS0_10empty_typeEEEZZNS1_27merge_sort_block_merge_implIS3_PlPS5_mZN2at6native12_GLOBAL__N_124unique_dim_cuda_templateIiEESt5tupleIJNSA_6TensorESF_SF_EERKSF_lbbbEUlllE_EE10hipError_tT0_T1_T2_jT3_P12ihipStream_tbPNSt15iterator_traitsISL_E10value_typeEPNSR_ISM_E10value_typeEPSN_NS1_7vsmem_tEENKUlT_SL_SM_SN_E_clIS8_S8_S9_S9_EESK_S10_SL_SM_SN_EUlS10_E1_NS1_11comp_targetILNS1_3genE5ELNS1_11target_archE942ELNS1_3gpuE9ELNS1_3repE0EEENS1_36merge_oddeven_config_static_selectorELNS0_4arch9wavefront6targetE1EEEvSM_.has_dyn_sized_stack, 0
	.set _ZN7rocprim17ROCPRIM_400000_NS6detail17trampoline_kernelINS0_14default_configENS1_38merge_sort_block_merge_config_selectorIlNS0_10empty_typeEEEZZNS1_27merge_sort_block_merge_implIS3_PlPS5_mZN2at6native12_GLOBAL__N_124unique_dim_cuda_templateIiEESt5tupleIJNSA_6TensorESF_SF_EERKSF_lbbbEUlllE_EE10hipError_tT0_T1_T2_jT3_P12ihipStream_tbPNSt15iterator_traitsISL_E10value_typeEPNSR_ISM_E10value_typeEPSN_NS1_7vsmem_tEENKUlT_SL_SM_SN_E_clIS8_S8_S9_S9_EESK_S10_SL_SM_SN_EUlS10_E1_NS1_11comp_targetILNS1_3genE5ELNS1_11target_archE942ELNS1_3gpuE9ELNS1_3repE0EEENS1_36merge_oddeven_config_static_selectorELNS0_4arch9wavefront6targetE1EEEvSM_.has_recursion, 0
	.set _ZN7rocprim17ROCPRIM_400000_NS6detail17trampoline_kernelINS0_14default_configENS1_38merge_sort_block_merge_config_selectorIlNS0_10empty_typeEEEZZNS1_27merge_sort_block_merge_implIS3_PlPS5_mZN2at6native12_GLOBAL__N_124unique_dim_cuda_templateIiEESt5tupleIJNSA_6TensorESF_SF_EERKSF_lbbbEUlllE_EE10hipError_tT0_T1_T2_jT3_P12ihipStream_tbPNSt15iterator_traitsISL_E10value_typeEPNSR_ISM_E10value_typeEPSN_NS1_7vsmem_tEENKUlT_SL_SM_SN_E_clIS8_S8_S9_S9_EESK_S10_SL_SM_SN_EUlS10_E1_NS1_11comp_targetILNS1_3genE5ELNS1_11target_archE942ELNS1_3gpuE9ELNS1_3repE0EEENS1_36merge_oddeven_config_static_selectorELNS0_4arch9wavefront6targetE1EEEvSM_.has_indirect_call, 0
	.section	.AMDGPU.csdata,"",@progbits
; Kernel info:
; codeLenInByte = 0
; TotalNumSgprs: 6
; NumVgprs: 0
; NumAgprs: 0
; TotalNumVgprs: 0
; ScratchSize: 0
; MemoryBound: 0
; FloatMode: 240
; IeeeMode: 1
; LDSByteSize: 0 bytes/workgroup (compile time only)
; SGPRBlocks: 0
; VGPRBlocks: 0
; NumSGPRsForWavesPerEU: 6
; NumVGPRsForWavesPerEU: 1
; AccumOffset: 4
; Occupancy: 8
; WaveLimiterHint : 0
; COMPUTE_PGM_RSRC2:SCRATCH_EN: 0
; COMPUTE_PGM_RSRC2:USER_SGPR: 2
; COMPUTE_PGM_RSRC2:TRAP_HANDLER: 0
; COMPUTE_PGM_RSRC2:TGID_X_EN: 1
; COMPUTE_PGM_RSRC2:TGID_Y_EN: 0
; COMPUTE_PGM_RSRC2:TGID_Z_EN: 0
; COMPUTE_PGM_RSRC2:TIDIG_COMP_CNT: 0
; COMPUTE_PGM_RSRC3_GFX90A:ACCUM_OFFSET: 0
; COMPUTE_PGM_RSRC3_GFX90A:TG_SPLIT: 0
	.section	.text._ZN7rocprim17ROCPRIM_400000_NS6detail17trampoline_kernelINS0_14default_configENS1_38merge_sort_block_merge_config_selectorIlNS0_10empty_typeEEEZZNS1_27merge_sort_block_merge_implIS3_PlPS5_mZN2at6native12_GLOBAL__N_124unique_dim_cuda_templateIiEESt5tupleIJNSA_6TensorESF_SF_EERKSF_lbbbEUlllE_EE10hipError_tT0_T1_T2_jT3_P12ihipStream_tbPNSt15iterator_traitsISL_E10value_typeEPNSR_ISM_E10value_typeEPSN_NS1_7vsmem_tEENKUlT_SL_SM_SN_E_clIS8_S8_S9_S9_EESK_S10_SL_SM_SN_EUlS10_E1_NS1_11comp_targetILNS1_3genE4ELNS1_11target_archE910ELNS1_3gpuE8ELNS1_3repE0EEENS1_36merge_oddeven_config_static_selectorELNS0_4arch9wavefront6targetE1EEEvSM_,"axG",@progbits,_ZN7rocprim17ROCPRIM_400000_NS6detail17trampoline_kernelINS0_14default_configENS1_38merge_sort_block_merge_config_selectorIlNS0_10empty_typeEEEZZNS1_27merge_sort_block_merge_implIS3_PlPS5_mZN2at6native12_GLOBAL__N_124unique_dim_cuda_templateIiEESt5tupleIJNSA_6TensorESF_SF_EERKSF_lbbbEUlllE_EE10hipError_tT0_T1_T2_jT3_P12ihipStream_tbPNSt15iterator_traitsISL_E10value_typeEPNSR_ISM_E10value_typeEPSN_NS1_7vsmem_tEENKUlT_SL_SM_SN_E_clIS8_S8_S9_S9_EESK_S10_SL_SM_SN_EUlS10_E1_NS1_11comp_targetILNS1_3genE4ELNS1_11target_archE910ELNS1_3gpuE8ELNS1_3repE0EEENS1_36merge_oddeven_config_static_selectorELNS0_4arch9wavefront6targetE1EEEvSM_,comdat
	.globl	_ZN7rocprim17ROCPRIM_400000_NS6detail17trampoline_kernelINS0_14default_configENS1_38merge_sort_block_merge_config_selectorIlNS0_10empty_typeEEEZZNS1_27merge_sort_block_merge_implIS3_PlPS5_mZN2at6native12_GLOBAL__N_124unique_dim_cuda_templateIiEESt5tupleIJNSA_6TensorESF_SF_EERKSF_lbbbEUlllE_EE10hipError_tT0_T1_T2_jT3_P12ihipStream_tbPNSt15iterator_traitsISL_E10value_typeEPNSR_ISM_E10value_typeEPSN_NS1_7vsmem_tEENKUlT_SL_SM_SN_E_clIS8_S8_S9_S9_EESK_S10_SL_SM_SN_EUlS10_E1_NS1_11comp_targetILNS1_3genE4ELNS1_11target_archE910ELNS1_3gpuE8ELNS1_3repE0EEENS1_36merge_oddeven_config_static_selectorELNS0_4arch9wavefront6targetE1EEEvSM_ ; -- Begin function _ZN7rocprim17ROCPRIM_400000_NS6detail17trampoline_kernelINS0_14default_configENS1_38merge_sort_block_merge_config_selectorIlNS0_10empty_typeEEEZZNS1_27merge_sort_block_merge_implIS3_PlPS5_mZN2at6native12_GLOBAL__N_124unique_dim_cuda_templateIiEESt5tupleIJNSA_6TensorESF_SF_EERKSF_lbbbEUlllE_EE10hipError_tT0_T1_T2_jT3_P12ihipStream_tbPNSt15iterator_traitsISL_E10value_typeEPNSR_ISM_E10value_typeEPSN_NS1_7vsmem_tEENKUlT_SL_SM_SN_E_clIS8_S8_S9_S9_EESK_S10_SL_SM_SN_EUlS10_E1_NS1_11comp_targetILNS1_3genE4ELNS1_11target_archE910ELNS1_3gpuE8ELNS1_3repE0EEENS1_36merge_oddeven_config_static_selectorELNS0_4arch9wavefront6targetE1EEEvSM_
	.p2align	8
	.type	_ZN7rocprim17ROCPRIM_400000_NS6detail17trampoline_kernelINS0_14default_configENS1_38merge_sort_block_merge_config_selectorIlNS0_10empty_typeEEEZZNS1_27merge_sort_block_merge_implIS3_PlPS5_mZN2at6native12_GLOBAL__N_124unique_dim_cuda_templateIiEESt5tupleIJNSA_6TensorESF_SF_EERKSF_lbbbEUlllE_EE10hipError_tT0_T1_T2_jT3_P12ihipStream_tbPNSt15iterator_traitsISL_E10value_typeEPNSR_ISM_E10value_typeEPSN_NS1_7vsmem_tEENKUlT_SL_SM_SN_E_clIS8_S8_S9_S9_EESK_S10_SL_SM_SN_EUlS10_E1_NS1_11comp_targetILNS1_3genE4ELNS1_11target_archE910ELNS1_3gpuE8ELNS1_3repE0EEENS1_36merge_oddeven_config_static_selectorELNS0_4arch9wavefront6targetE1EEEvSM_,@function
_ZN7rocprim17ROCPRIM_400000_NS6detail17trampoline_kernelINS0_14default_configENS1_38merge_sort_block_merge_config_selectorIlNS0_10empty_typeEEEZZNS1_27merge_sort_block_merge_implIS3_PlPS5_mZN2at6native12_GLOBAL__N_124unique_dim_cuda_templateIiEESt5tupleIJNSA_6TensorESF_SF_EERKSF_lbbbEUlllE_EE10hipError_tT0_T1_T2_jT3_P12ihipStream_tbPNSt15iterator_traitsISL_E10value_typeEPNSR_ISM_E10value_typeEPSN_NS1_7vsmem_tEENKUlT_SL_SM_SN_E_clIS8_S8_S9_S9_EESK_S10_SL_SM_SN_EUlS10_E1_NS1_11comp_targetILNS1_3genE4ELNS1_11target_archE910ELNS1_3gpuE8ELNS1_3repE0EEENS1_36merge_oddeven_config_static_selectorELNS0_4arch9wavefront6targetE1EEEvSM_: ; @_ZN7rocprim17ROCPRIM_400000_NS6detail17trampoline_kernelINS0_14default_configENS1_38merge_sort_block_merge_config_selectorIlNS0_10empty_typeEEEZZNS1_27merge_sort_block_merge_implIS3_PlPS5_mZN2at6native12_GLOBAL__N_124unique_dim_cuda_templateIiEESt5tupleIJNSA_6TensorESF_SF_EERKSF_lbbbEUlllE_EE10hipError_tT0_T1_T2_jT3_P12ihipStream_tbPNSt15iterator_traitsISL_E10value_typeEPNSR_ISM_E10value_typeEPSN_NS1_7vsmem_tEENKUlT_SL_SM_SN_E_clIS8_S8_S9_S9_EESK_S10_SL_SM_SN_EUlS10_E1_NS1_11comp_targetILNS1_3genE4ELNS1_11target_archE910ELNS1_3gpuE8ELNS1_3repE0EEENS1_36merge_oddeven_config_static_selectorELNS0_4arch9wavefront6targetE1EEEvSM_
; %bb.0:
	.section	.rodata,"a",@progbits
	.p2align	6, 0x0
	.amdhsa_kernel _ZN7rocprim17ROCPRIM_400000_NS6detail17trampoline_kernelINS0_14default_configENS1_38merge_sort_block_merge_config_selectorIlNS0_10empty_typeEEEZZNS1_27merge_sort_block_merge_implIS3_PlPS5_mZN2at6native12_GLOBAL__N_124unique_dim_cuda_templateIiEESt5tupleIJNSA_6TensorESF_SF_EERKSF_lbbbEUlllE_EE10hipError_tT0_T1_T2_jT3_P12ihipStream_tbPNSt15iterator_traitsISL_E10value_typeEPNSR_ISM_E10value_typeEPSN_NS1_7vsmem_tEENKUlT_SL_SM_SN_E_clIS8_S8_S9_S9_EESK_S10_SL_SM_SN_EUlS10_E1_NS1_11comp_targetILNS1_3genE4ELNS1_11target_archE910ELNS1_3gpuE8ELNS1_3repE0EEENS1_36merge_oddeven_config_static_selectorELNS0_4arch9wavefront6targetE1EEEvSM_
		.amdhsa_group_segment_fixed_size 0
		.amdhsa_private_segment_fixed_size 0
		.amdhsa_kernarg_size 64
		.amdhsa_user_sgpr_count 2
		.amdhsa_user_sgpr_dispatch_ptr 0
		.amdhsa_user_sgpr_queue_ptr 0
		.amdhsa_user_sgpr_kernarg_segment_ptr 1
		.amdhsa_user_sgpr_dispatch_id 0
		.amdhsa_user_sgpr_kernarg_preload_length 0
		.amdhsa_user_sgpr_kernarg_preload_offset 0
		.amdhsa_user_sgpr_private_segment_size 0
		.amdhsa_uses_dynamic_stack 0
		.amdhsa_enable_private_segment 0
		.amdhsa_system_sgpr_workgroup_id_x 1
		.amdhsa_system_sgpr_workgroup_id_y 0
		.amdhsa_system_sgpr_workgroup_id_z 0
		.amdhsa_system_sgpr_workgroup_info 0
		.amdhsa_system_vgpr_workitem_id 0
		.amdhsa_next_free_vgpr 1
		.amdhsa_next_free_sgpr 0
		.amdhsa_accum_offset 4
		.amdhsa_reserve_vcc 0
		.amdhsa_float_round_mode_32 0
		.amdhsa_float_round_mode_16_64 0
		.amdhsa_float_denorm_mode_32 3
		.amdhsa_float_denorm_mode_16_64 3
		.amdhsa_dx10_clamp 1
		.amdhsa_ieee_mode 1
		.amdhsa_fp16_overflow 0
		.amdhsa_tg_split 0
		.amdhsa_exception_fp_ieee_invalid_op 0
		.amdhsa_exception_fp_denorm_src 0
		.amdhsa_exception_fp_ieee_div_zero 0
		.amdhsa_exception_fp_ieee_overflow 0
		.amdhsa_exception_fp_ieee_underflow 0
		.amdhsa_exception_fp_ieee_inexact 0
		.amdhsa_exception_int_div_zero 0
	.end_amdhsa_kernel
	.section	.text._ZN7rocprim17ROCPRIM_400000_NS6detail17trampoline_kernelINS0_14default_configENS1_38merge_sort_block_merge_config_selectorIlNS0_10empty_typeEEEZZNS1_27merge_sort_block_merge_implIS3_PlPS5_mZN2at6native12_GLOBAL__N_124unique_dim_cuda_templateIiEESt5tupleIJNSA_6TensorESF_SF_EERKSF_lbbbEUlllE_EE10hipError_tT0_T1_T2_jT3_P12ihipStream_tbPNSt15iterator_traitsISL_E10value_typeEPNSR_ISM_E10value_typeEPSN_NS1_7vsmem_tEENKUlT_SL_SM_SN_E_clIS8_S8_S9_S9_EESK_S10_SL_SM_SN_EUlS10_E1_NS1_11comp_targetILNS1_3genE4ELNS1_11target_archE910ELNS1_3gpuE8ELNS1_3repE0EEENS1_36merge_oddeven_config_static_selectorELNS0_4arch9wavefront6targetE1EEEvSM_,"axG",@progbits,_ZN7rocprim17ROCPRIM_400000_NS6detail17trampoline_kernelINS0_14default_configENS1_38merge_sort_block_merge_config_selectorIlNS0_10empty_typeEEEZZNS1_27merge_sort_block_merge_implIS3_PlPS5_mZN2at6native12_GLOBAL__N_124unique_dim_cuda_templateIiEESt5tupleIJNSA_6TensorESF_SF_EERKSF_lbbbEUlllE_EE10hipError_tT0_T1_T2_jT3_P12ihipStream_tbPNSt15iterator_traitsISL_E10value_typeEPNSR_ISM_E10value_typeEPSN_NS1_7vsmem_tEENKUlT_SL_SM_SN_E_clIS8_S8_S9_S9_EESK_S10_SL_SM_SN_EUlS10_E1_NS1_11comp_targetILNS1_3genE4ELNS1_11target_archE910ELNS1_3gpuE8ELNS1_3repE0EEENS1_36merge_oddeven_config_static_selectorELNS0_4arch9wavefront6targetE1EEEvSM_,comdat
.Lfunc_end411:
	.size	_ZN7rocprim17ROCPRIM_400000_NS6detail17trampoline_kernelINS0_14default_configENS1_38merge_sort_block_merge_config_selectorIlNS0_10empty_typeEEEZZNS1_27merge_sort_block_merge_implIS3_PlPS5_mZN2at6native12_GLOBAL__N_124unique_dim_cuda_templateIiEESt5tupleIJNSA_6TensorESF_SF_EERKSF_lbbbEUlllE_EE10hipError_tT0_T1_T2_jT3_P12ihipStream_tbPNSt15iterator_traitsISL_E10value_typeEPNSR_ISM_E10value_typeEPSN_NS1_7vsmem_tEENKUlT_SL_SM_SN_E_clIS8_S8_S9_S9_EESK_S10_SL_SM_SN_EUlS10_E1_NS1_11comp_targetILNS1_3genE4ELNS1_11target_archE910ELNS1_3gpuE8ELNS1_3repE0EEENS1_36merge_oddeven_config_static_selectorELNS0_4arch9wavefront6targetE1EEEvSM_, .Lfunc_end411-_ZN7rocprim17ROCPRIM_400000_NS6detail17trampoline_kernelINS0_14default_configENS1_38merge_sort_block_merge_config_selectorIlNS0_10empty_typeEEEZZNS1_27merge_sort_block_merge_implIS3_PlPS5_mZN2at6native12_GLOBAL__N_124unique_dim_cuda_templateIiEESt5tupleIJNSA_6TensorESF_SF_EERKSF_lbbbEUlllE_EE10hipError_tT0_T1_T2_jT3_P12ihipStream_tbPNSt15iterator_traitsISL_E10value_typeEPNSR_ISM_E10value_typeEPSN_NS1_7vsmem_tEENKUlT_SL_SM_SN_E_clIS8_S8_S9_S9_EESK_S10_SL_SM_SN_EUlS10_E1_NS1_11comp_targetILNS1_3genE4ELNS1_11target_archE910ELNS1_3gpuE8ELNS1_3repE0EEENS1_36merge_oddeven_config_static_selectorELNS0_4arch9wavefront6targetE1EEEvSM_
                                        ; -- End function
	.set _ZN7rocprim17ROCPRIM_400000_NS6detail17trampoline_kernelINS0_14default_configENS1_38merge_sort_block_merge_config_selectorIlNS0_10empty_typeEEEZZNS1_27merge_sort_block_merge_implIS3_PlPS5_mZN2at6native12_GLOBAL__N_124unique_dim_cuda_templateIiEESt5tupleIJNSA_6TensorESF_SF_EERKSF_lbbbEUlllE_EE10hipError_tT0_T1_T2_jT3_P12ihipStream_tbPNSt15iterator_traitsISL_E10value_typeEPNSR_ISM_E10value_typeEPSN_NS1_7vsmem_tEENKUlT_SL_SM_SN_E_clIS8_S8_S9_S9_EESK_S10_SL_SM_SN_EUlS10_E1_NS1_11comp_targetILNS1_3genE4ELNS1_11target_archE910ELNS1_3gpuE8ELNS1_3repE0EEENS1_36merge_oddeven_config_static_selectorELNS0_4arch9wavefront6targetE1EEEvSM_.num_vgpr, 0
	.set _ZN7rocprim17ROCPRIM_400000_NS6detail17trampoline_kernelINS0_14default_configENS1_38merge_sort_block_merge_config_selectorIlNS0_10empty_typeEEEZZNS1_27merge_sort_block_merge_implIS3_PlPS5_mZN2at6native12_GLOBAL__N_124unique_dim_cuda_templateIiEESt5tupleIJNSA_6TensorESF_SF_EERKSF_lbbbEUlllE_EE10hipError_tT0_T1_T2_jT3_P12ihipStream_tbPNSt15iterator_traitsISL_E10value_typeEPNSR_ISM_E10value_typeEPSN_NS1_7vsmem_tEENKUlT_SL_SM_SN_E_clIS8_S8_S9_S9_EESK_S10_SL_SM_SN_EUlS10_E1_NS1_11comp_targetILNS1_3genE4ELNS1_11target_archE910ELNS1_3gpuE8ELNS1_3repE0EEENS1_36merge_oddeven_config_static_selectorELNS0_4arch9wavefront6targetE1EEEvSM_.num_agpr, 0
	.set _ZN7rocprim17ROCPRIM_400000_NS6detail17trampoline_kernelINS0_14default_configENS1_38merge_sort_block_merge_config_selectorIlNS0_10empty_typeEEEZZNS1_27merge_sort_block_merge_implIS3_PlPS5_mZN2at6native12_GLOBAL__N_124unique_dim_cuda_templateIiEESt5tupleIJNSA_6TensorESF_SF_EERKSF_lbbbEUlllE_EE10hipError_tT0_T1_T2_jT3_P12ihipStream_tbPNSt15iterator_traitsISL_E10value_typeEPNSR_ISM_E10value_typeEPSN_NS1_7vsmem_tEENKUlT_SL_SM_SN_E_clIS8_S8_S9_S9_EESK_S10_SL_SM_SN_EUlS10_E1_NS1_11comp_targetILNS1_3genE4ELNS1_11target_archE910ELNS1_3gpuE8ELNS1_3repE0EEENS1_36merge_oddeven_config_static_selectorELNS0_4arch9wavefront6targetE1EEEvSM_.numbered_sgpr, 0
	.set _ZN7rocprim17ROCPRIM_400000_NS6detail17trampoline_kernelINS0_14default_configENS1_38merge_sort_block_merge_config_selectorIlNS0_10empty_typeEEEZZNS1_27merge_sort_block_merge_implIS3_PlPS5_mZN2at6native12_GLOBAL__N_124unique_dim_cuda_templateIiEESt5tupleIJNSA_6TensorESF_SF_EERKSF_lbbbEUlllE_EE10hipError_tT0_T1_T2_jT3_P12ihipStream_tbPNSt15iterator_traitsISL_E10value_typeEPNSR_ISM_E10value_typeEPSN_NS1_7vsmem_tEENKUlT_SL_SM_SN_E_clIS8_S8_S9_S9_EESK_S10_SL_SM_SN_EUlS10_E1_NS1_11comp_targetILNS1_3genE4ELNS1_11target_archE910ELNS1_3gpuE8ELNS1_3repE0EEENS1_36merge_oddeven_config_static_selectorELNS0_4arch9wavefront6targetE1EEEvSM_.num_named_barrier, 0
	.set _ZN7rocprim17ROCPRIM_400000_NS6detail17trampoline_kernelINS0_14default_configENS1_38merge_sort_block_merge_config_selectorIlNS0_10empty_typeEEEZZNS1_27merge_sort_block_merge_implIS3_PlPS5_mZN2at6native12_GLOBAL__N_124unique_dim_cuda_templateIiEESt5tupleIJNSA_6TensorESF_SF_EERKSF_lbbbEUlllE_EE10hipError_tT0_T1_T2_jT3_P12ihipStream_tbPNSt15iterator_traitsISL_E10value_typeEPNSR_ISM_E10value_typeEPSN_NS1_7vsmem_tEENKUlT_SL_SM_SN_E_clIS8_S8_S9_S9_EESK_S10_SL_SM_SN_EUlS10_E1_NS1_11comp_targetILNS1_3genE4ELNS1_11target_archE910ELNS1_3gpuE8ELNS1_3repE0EEENS1_36merge_oddeven_config_static_selectorELNS0_4arch9wavefront6targetE1EEEvSM_.private_seg_size, 0
	.set _ZN7rocprim17ROCPRIM_400000_NS6detail17trampoline_kernelINS0_14default_configENS1_38merge_sort_block_merge_config_selectorIlNS0_10empty_typeEEEZZNS1_27merge_sort_block_merge_implIS3_PlPS5_mZN2at6native12_GLOBAL__N_124unique_dim_cuda_templateIiEESt5tupleIJNSA_6TensorESF_SF_EERKSF_lbbbEUlllE_EE10hipError_tT0_T1_T2_jT3_P12ihipStream_tbPNSt15iterator_traitsISL_E10value_typeEPNSR_ISM_E10value_typeEPSN_NS1_7vsmem_tEENKUlT_SL_SM_SN_E_clIS8_S8_S9_S9_EESK_S10_SL_SM_SN_EUlS10_E1_NS1_11comp_targetILNS1_3genE4ELNS1_11target_archE910ELNS1_3gpuE8ELNS1_3repE0EEENS1_36merge_oddeven_config_static_selectorELNS0_4arch9wavefront6targetE1EEEvSM_.uses_vcc, 0
	.set _ZN7rocprim17ROCPRIM_400000_NS6detail17trampoline_kernelINS0_14default_configENS1_38merge_sort_block_merge_config_selectorIlNS0_10empty_typeEEEZZNS1_27merge_sort_block_merge_implIS3_PlPS5_mZN2at6native12_GLOBAL__N_124unique_dim_cuda_templateIiEESt5tupleIJNSA_6TensorESF_SF_EERKSF_lbbbEUlllE_EE10hipError_tT0_T1_T2_jT3_P12ihipStream_tbPNSt15iterator_traitsISL_E10value_typeEPNSR_ISM_E10value_typeEPSN_NS1_7vsmem_tEENKUlT_SL_SM_SN_E_clIS8_S8_S9_S9_EESK_S10_SL_SM_SN_EUlS10_E1_NS1_11comp_targetILNS1_3genE4ELNS1_11target_archE910ELNS1_3gpuE8ELNS1_3repE0EEENS1_36merge_oddeven_config_static_selectorELNS0_4arch9wavefront6targetE1EEEvSM_.uses_flat_scratch, 0
	.set _ZN7rocprim17ROCPRIM_400000_NS6detail17trampoline_kernelINS0_14default_configENS1_38merge_sort_block_merge_config_selectorIlNS0_10empty_typeEEEZZNS1_27merge_sort_block_merge_implIS3_PlPS5_mZN2at6native12_GLOBAL__N_124unique_dim_cuda_templateIiEESt5tupleIJNSA_6TensorESF_SF_EERKSF_lbbbEUlllE_EE10hipError_tT0_T1_T2_jT3_P12ihipStream_tbPNSt15iterator_traitsISL_E10value_typeEPNSR_ISM_E10value_typeEPSN_NS1_7vsmem_tEENKUlT_SL_SM_SN_E_clIS8_S8_S9_S9_EESK_S10_SL_SM_SN_EUlS10_E1_NS1_11comp_targetILNS1_3genE4ELNS1_11target_archE910ELNS1_3gpuE8ELNS1_3repE0EEENS1_36merge_oddeven_config_static_selectorELNS0_4arch9wavefront6targetE1EEEvSM_.has_dyn_sized_stack, 0
	.set _ZN7rocprim17ROCPRIM_400000_NS6detail17trampoline_kernelINS0_14default_configENS1_38merge_sort_block_merge_config_selectorIlNS0_10empty_typeEEEZZNS1_27merge_sort_block_merge_implIS3_PlPS5_mZN2at6native12_GLOBAL__N_124unique_dim_cuda_templateIiEESt5tupleIJNSA_6TensorESF_SF_EERKSF_lbbbEUlllE_EE10hipError_tT0_T1_T2_jT3_P12ihipStream_tbPNSt15iterator_traitsISL_E10value_typeEPNSR_ISM_E10value_typeEPSN_NS1_7vsmem_tEENKUlT_SL_SM_SN_E_clIS8_S8_S9_S9_EESK_S10_SL_SM_SN_EUlS10_E1_NS1_11comp_targetILNS1_3genE4ELNS1_11target_archE910ELNS1_3gpuE8ELNS1_3repE0EEENS1_36merge_oddeven_config_static_selectorELNS0_4arch9wavefront6targetE1EEEvSM_.has_recursion, 0
	.set _ZN7rocprim17ROCPRIM_400000_NS6detail17trampoline_kernelINS0_14default_configENS1_38merge_sort_block_merge_config_selectorIlNS0_10empty_typeEEEZZNS1_27merge_sort_block_merge_implIS3_PlPS5_mZN2at6native12_GLOBAL__N_124unique_dim_cuda_templateIiEESt5tupleIJNSA_6TensorESF_SF_EERKSF_lbbbEUlllE_EE10hipError_tT0_T1_T2_jT3_P12ihipStream_tbPNSt15iterator_traitsISL_E10value_typeEPNSR_ISM_E10value_typeEPSN_NS1_7vsmem_tEENKUlT_SL_SM_SN_E_clIS8_S8_S9_S9_EESK_S10_SL_SM_SN_EUlS10_E1_NS1_11comp_targetILNS1_3genE4ELNS1_11target_archE910ELNS1_3gpuE8ELNS1_3repE0EEENS1_36merge_oddeven_config_static_selectorELNS0_4arch9wavefront6targetE1EEEvSM_.has_indirect_call, 0
	.section	.AMDGPU.csdata,"",@progbits
; Kernel info:
; codeLenInByte = 0
; TotalNumSgprs: 6
; NumVgprs: 0
; NumAgprs: 0
; TotalNumVgprs: 0
; ScratchSize: 0
; MemoryBound: 0
; FloatMode: 240
; IeeeMode: 1
; LDSByteSize: 0 bytes/workgroup (compile time only)
; SGPRBlocks: 0
; VGPRBlocks: 0
; NumSGPRsForWavesPerEU: 6
; NumVGPRsForWavesPerEU: 1
; AccumOffset: 4
; Occupancy: 8
; WaveLimiterHint : 0
; COMPUTE_PGM_RSRC2:SCRATCH_EN: 0
; COMPUTE_PGM_RSRC2:USER_SGPR: 2
; COMPUTE_PGM_RSRC2:TRAP_HANDLER: 0
; COMPUTE_PGM_RSRC2:TGID_X_EN: 1
; COMPUTE_PGM_RSRC2:TGID_Y_EN: 0
; COMPUTE_PGM_RSRC2:TGID_Z_EN: 0
; COMPUTE_PGM_RSRC2:TIDIG_COMP_CNT: 0
; COMPUTE_PGM_RSRC3_GFX90A:ACCUM_OFFSET: 0
; COMPUTE_PGM_RSRC3_GFX90A:TG_SPLIT: 0
	.section	.text._ZN7rocprim17ROCPRIM_400000_NS6detail17trampoline_kernelINS0_14default_configENS1_38merge_sort_block_merge_config_selectorIlNS0_10empty_typeEEEZZNS1_27merge_sort_block_merge_implIS3_PlPS5_mZN2at6native12_GLOBAL__N_124unique_dim_cuda_templateIiEESt5tupleIJNSA_6TensorESF_SF_EERKSF_lbbbEUlllE_EE10hipError_tT0_T1_T2_jT3_P12ihipStream_tbPNSt15iterator_traitsISL_E10value_typeEPNSR_ISM_E10value_typeEPSN_NS1_7vsmem_tEENKUlT_SL_SM_SN_E_clIS8_S8_S9_S9_EESK_S10_SL_SM_SN_EUlS10_E1_NS1_11comp_targetILNS1_3genE3ELNS1_11target_archE908ELNS1_3gpuE7ELNS1_3repE0EEENS1_36merge_oddeven_config_static_selectorELNS0_4arch9wavefront6targetE1EEEvSM_,"axG",@progbits,_ZN7rocprim17ROCPRIM_400000_NS6detail17trampoline_kernelINS0_14default_configENS1_38merge_sort_block_merge_config_selectorIlNS0_10empty_typeEEEZZNS1_27merge_sort_block_merge_implIS3_PlPS5_mZN2at6native12_GLOBAL__N_124unique_dim_cuda_templateIiEESt5tupleIJNSA_6TensorESF_SF_EERKSF_lbbbEUlllE_EE10hipError_tT0_T1_T2_jT3_P12ihipStream_tbPNSt15iterator_traitsISL_E10value_typeEPNSR_ISM_E10value_typeEPSN_NS1_7vsmem_tEENKUlT_SL_SM_SN_E_clIS8_S8_S9_S9_EESK_S10_SL_SM_SN_EUlS10_E1_NS1_11comp_targetILNS1_3genE3ELNS1_11target_archE908ELNS1_3gpuE7ELNS1_3repE0EEENS1_36merge_oddeven_config_static_selectorELNS0_4arch9wavefront6targetE1EEEvSM_,comdat
	.globl	_ZN7rocprim17ROCPRIM_400000_NS6detail17trampoline_kernelINS0_14default_configENS1_38merge_sort_block_merge_config_selectorIlNS0_10empty_typeEEEZZNS1_27merge_sort_block_merge_implIS3_PlPS5_mZN2at6native12_GLOBAL__N_124unique_dim_cuda_templateIiEESt5tupleIJNSA_6TensorESF_SF_EERKSF_lbbbEUlllE_EE10hipError_tT0_T1_T2_jT3_P12ihipStream_tbPNSt15iterator_traitsISL_E10value_typeEPNSR_ISM_E10value_typeEPSN_NS1_7vsmem_tEENKUlT_SL_SM_SN_E_clIS8_S8_S9_S9_EESK_S10_SL_SM_SN_EUlS10_E1_NS1_11comp_targetILNS1_3genE3ELNS1_11target_archE908ELNS1_3gpuE7ELNS1_3repE0EEENS1_36merge_oddeven_config_static_selectorELNS0_4arch9wavefront6targetE1EEEvSM_ ; -- Begin function _ZN7rocprim17ROCPRIM_400000_NS6detail17trampoline_kernelINS0_14default_configENS1_38merge_sort_block_merge_config_selectorIlNS0_10empty_typeEEEZZNS1_27merge_sort_block_merge_implIS3_PlPS5_mZN2at6native12_GLOBAL__N_124unique_dim_cuda_templateIiEESt5tupleIJNSA_6TensorESF_SF_EERKSF_lbbbEUlllE_EE10hipError_tT0_T1_T2_jT3_P12ihipStream_tbPNSt15iterator_traitsISL_E10value_typeEPNSR_ISM_E10value_typeEPSN_NS1_7vsmem_tEENKUlT_SL_SM_SN_E_clIS8_S8_S9_S9_EESK_S10_SL_SM_SN_EUlS10_E1_NS1_11comp_targetILNS1_3genE3ELNS1_11target_archE908ELNS1_3gpuE7ELNS1_3repE0EEENS1_36merge_oddeven_config_static_selectorELNS0_4arch9wavefront6targetE1EEEvSM_
	.p2align	8
	.type	_ZN7rocprim17ROCPRIM_400000_NS6detail17trampoline_kernelINS0_14default_configENS1_38merge_sort_block_merge_config_selectorIlNS0_10empty_typeEEEZZNS1_27merge_sort_block_merge_implIS3_PlPS5_mZN2at6native12_GLOBAL__N_124unique_dim_cuda_templateIiEESt5tupleIJNSA_6TensorESF_SF_EERKSF_lbbbEUlllE_EE10hipError_tT0_T1_T2_jT3_P12ihipStream_tbPNSt15iterator_traitsISL_E10value_typeEPNSR_ISM_E10value_typeEPSN_NS1_7vsmem_tEENKUlT_SL_SM_SN_E_clIS8_S8_S9_S9_EESK_S10_SL_SM_SN_EUlS10_E1_NS1_11comp_targetILNS1_3genE3ELNS1_11target_archE908ELNS1_3gpuE7ELNS1_3repE0EEENS1_36merge_oddeven_config_static_selectorELNS0_4arch9wavefront6targetE1EEEvSM_,@function
_ZN7rocprim17ROCPRIM_400000_NS6detail17trampoline_kernelINS0_14default_configENS1_38merge_sort_block_merge_config_selectorIlNS0_10empty_typeEEEZZNS1_27merge_sort_block_merge_implIS3_PlPS5_mZN2at6native12_GLOBAL__N_124unique_dim_cuda_templateIiEESt5tupleIJNSA_6TensorESF_SF_EERKSF_lbbbEUlllE_EE10hipError_tT0_T1_T2_jT3_P12ihipStream_tbPNSt15iterator_traitsISL_E10value_typeEPNSR_ISM_E10value_typeEPSN_NS1_7vsmem_tEENKUlT_SL_SM_SN_E_clIS8_S8_S9_S9_EESK_S10_SL_SM_SN_EUlS10_E1_NS1_11comp_targetILNS1_3genE3ELNS1_11target_archE908ELNS1_3gpuE7ELNS1_3repE0EEENS1_36merge_oddeven_config_static_selectorELNS0_4arch9wavefront6targetE1EEEvSM_: ; @_ZN7rocprim17ROCPRIM_400000_NS6detail17trampoline_kernelINS0_14default_configENS1_38merge_sort_block_merge_config_selectorIlNS0_10empty_typeEEEZZNS1_27merge_sort_block_merge_implIS3_PlPS5_mZN2at6native12_GLOBAL__N_124unique_dim_cuda_templateIiEESt5tupleIJNSA_6TensorESF_SF_EERKSF_lbbbEUlllE_EE10hipError_tT0_T1_T2_jT3_P12ihipStream_tbPNSt15iterator_traitsISL_E10value_typeEPNSR_ISM_E10value_typeEPSN_NS1_7vsmem_tEENKUlT_SL_SM_SN_E_clIS8_S8_S9_S9_EESK_S10_SL_SM_SN_EUlS10_E1_NS1_11comp_targetILNS1_3genE3ELNS1_11target_archE908ELNS1_3gpuE7ELNS1_3repE0EEENS1_36merge_oddeven_config_static_selectorELNS0_4arch9wavefront6targetE1EEEvSM_
; %bb.0:
	.section	.rodata,"a",@progbits
	.p2align	6, 0x0
	.amdhsa_kernel _ZN7rocprim17ROCPRIM_400000_NS6detail17trampoline_kernelINS0_14default_configENS1_38merge_sort_block_merge_config_selectorIlNS0_10empty_typeEEEZZNS1_27merge_sort_block_merge_implIS3_PlPS5_mZN2at6native12_GLOBAL__N_124unique_dim_cuda_templateIiEESt5tupleIJNSA_6TensorESF_SF_EERKSF_lbbbEUlllE_EE10hipError_tT0_T1_T2_jT3_P12ihipStream_tbPNSt15iterator_traitsISL_E10value_typeEPNSR_ISM_E10value_typeEPSN_NS1_7vsmem_tEENKUlT_SL_SM_SN_E_clIS8_S8_S9_S9_EESK_S10_SL_SM_SN_EUlS10_E1_NS1_11comp_targetILNS1_3genE3ELNS1_11target_archE908ELNS1_3gpuE7ELNS1_3repE0EEENS1_36merge_oddeven_config_static_selectorELNS0_4arch9wavefront6targetE1EEEvSM_
		.amdhsa_group_segment_fixed_size 0
		.amdhsa_private_segment_fixed_size 0
		.amdhsa_kernarg_size 64
		.amdhsa_user_sgpr_count 2
		.amdhsa_user_sgpr_dispatch_ptr 0
		.amdhsa_user_sgpr_queue_ptr 0
		.amdhsa_user_sgpr_kernarg_segment_ptr 1
		.amdhsa_user_sgpr_dispatch_id 0
		.amdhsa_user_sgpr_kernarg_preload_length 0
		.amdhsa_user_sgpr_kernarg_preload_offset 0
		.amdhsa_user_sgpr_private_segment_size 0
		.amdhsa_uses_dynamic_stack 0
		.amdhsa_enable_private_segment 0
		.amdhsa_system_sgpr_workgroup_id_x 1
		.amdhsa_system_sgpr_workgroup_id_y 0
		.amdhsa_system_sgpr_workgroup_id_z 0
		.amdhsa_system_sgpr_workgroup_info 0
		.amdhsa_system_vgpr_workitem_id 0
		.amdhsa_next_free_vgpr 1
		.amdhsa_next_free_sgpr 0
		.amdhsa_accum_offset 4
		.amdhsa_reserve_vcc 0
		.amdhsa_float_round_mode_32 0
		.amdhsa_float_round_mode_16_64 0
		.amdhsa_float_denorm_mode_32 3
		.amdhsa_float_denorm_mode_16_64 3
		.amdhsa_dx10_clamp 1
		.amdhsa_ieee_mode 1
		.amdhsa_fp16_overflow 0
		.amdhsa_tg_split 0
		.amdhsa_exception_fp_ieee_invalid_op 0
		.amdhsa_exception_fp_denorm_src 0
		.amdhsa_exception_fp_ieee_div_zero 0
		.amdhsa_exception_fp_ieee_overflow 0
		.amdhsa_exception_fp_ieee_underflow 0
		.amdhsa_exception_fp_ieee_inexact 0
		.amdhsa_exception_int_div_zero 0
	.end_amdhsa_kernel
	.section	.text._ZN7rocprim17ROCPRIM_400000_NS6detail17trampoline_kernelINS0_14default_configENS1_38merge_sort_block_merge_config_selectorIlNS0_10empty_typeEEEZZNS1_27merge_sort_block_merge_implIS3_PlPS5_mZN2at6native12_GLOBAL__N_124unique_dim_cuda_templateIiEESt5tupleIJNSA_6TensorESF_SF_EERKSF_lbbbEUlllE_EE10hipError_tT0_T1_T2_jT3_P12ihipStream_tbPNSt15iterator_traitsISL_E10value_typeEPNSR_ISM_E10value_typeEPSN_NS1_7vsmem_tEENKUlT_SL_SM_SN_E_clIS8_S8_S9_S9_EESK_S10_SL_SM_SN_EUlS10_E1_NS1_11comp_targetILNS1_3genE3ELNS1_11target_archE908ELNS1_3gpuE7ELNS1_3repE0EEENS1_36merge_oddeven_config_static_selectorELNS0_4arch9wavefront6targetE1EEEvSM_,"axG",@progbits,_ZN7rocprim17ROCPRIM_400000_NS6detail17trampoline_kernelINS0_14default_configENS1_38merge_sort_block_merge_config_selectorIlNS0_10empty_typeEEEZZNS1_27merge_sort_block_merge_implIS3_PlPS5_mZN2at6native12_GLOBAL__N_124unique_dim_cuda_templateIiEESt5tupleIJNSA_6TensorESF_SF_EERKSF_lbbbEUlllE_EE10hipError_tT0_T1_T2_jT3_P12ihipStream_tbPNSt15iterator_traitsISL_E10value_typeEPNSR_ISM_E10value_typeEPSN_NS1_7vsmem_tEENKUlT_SL_SM_SN_E_clIS8_S8_S9_S9_EESK_S10_SL_SM_SN_EUlS10_E1_NS1_11comp_targetILNS1_3genE3ELNS1_11target_archE908ELNS1_3gpuE7ELNS1_3repE0EEENS1_36merge_oddeven_config_static_selectorELNS0_4arch9wavefront6targetE1EEEvSM_,comdat
.Lfunc_end412:
	.size	_ZN7rocprim17ROCPRIM_400000_NS6detail17trampoline_kernelINS0_14default_configENS1_38merge_sort_block_merge_config_selectorIlNS0_10empty_typeEEEZZNS1_27merge_sort_block_merge_implIS3_PlPS5_mZN2at6native12_GLOBAL__N_124unique_dim_cuda_templateIiEESt5tupleIJNSA_6TensorESF_SF_EERKSF_lbbbEUlllE_EE10hipError_tT0_T1_T2_jT3_P12ihipStream_tbPNSt15iterator_traitsISL_E10value_typeEPNSR_ISM_E10value_typeEPSN_NS1_7vsmem_tEENKUlT_SL_SM_SN_E_clIS8_S8_S9_S9_EESK_S10_SL_SM_SN_EUlS10_E1_NS1_11comp_targetILNS1_3genE3ELNS1_11target_archE908ELNS1_3gpuE7ELNS1_3repE0EEENS1_36merge_oddeven_config_static_selectorELNS0_4arch9wavefront6targetE1EEEvSM_, .Lfunc_end412-_ZN7rocprim17ROCPRIM_400000_NS6detail17trampoline_kernelINS0_14default_configENS1_38merge_sort_block_merge_config_selectorIlNS0_10empty_typeEEEZZNS1_27merge_sort_block_merge_implIS3_PlPS5_mZN2at6native12_GLOBAL__N_124unique_dim_cuda_templateIiEESt5tupleIJNSA_6TensorESF_SF_EERKSF_lbbbEUlllE_EE10hipError_tT0_T1_T2_jT3_P12ihipStream_tbPNSt15iterator_traitsISL_E10value_typeEPNSR_ISM_E10value_typeEPSN_NS1_7vsmem_tEENKUlT_SL_SM_SN_E_clIS8_S8_S9_S9_EESK_S10_SL_SM_SN_EUlS10_E1_NS1_11comp_targetILNS1_3genE3ELNS1_11target_archE908ELNS1_3gpuE7ELNS1_3repE0EEENS1_36merge_oddeven_config_static_selectorELNS0_4arch9wavefront6targetE1EEEvSM_
                                        ; -- End function
	.set _ZN7rocprim17ROCPRIM_400000_NS6detail17trampoline_kernelINS0_14default_configENS1_38merge_sort_block_merge_config_selectorIlNS0_10empty_typeEEEZZNS1_27merge_sort_block_merge_implIS3_PlPS5_mZN2at6native12_GLOBAL__N_124unique_dim_cuda_templateIiEESt5tupleIJNSA_6TensorESF_SF_EERKSF_lbbbEUlllE_EE10hipError_tT0_T1_T2_jT3_P12ihipStream_tbPNSt15iterator_traitsISL_E10value_typeEPNSR_ISM_E10value_typeEPSN_NS1_7vsmem_tEENKUlT_SL_SM_SN_E_clIS8_S8_S9_S9_EESK_S10_SL_SM_SN_EUlS10_E1_NS1_11comp_targetILNS1_3genE3ELNS1_11target_archE908ELNS1_3gpuE7ELNS1_3repE0EEENS1_36merge_oddeven_config_static_selectorELNS0_4arch9wavefront6targetE1EEEvSM_.num_vgpr, 0
	.set _ZN7rocprim17ROCPRIM_400000_NS6detail17trampoline_kernelINS0_14default_configENS1_38merge_sort_block_merge_config_selectorIlNS0_10empty_typeEEEZZNS1_27merge_sort_block_merge_implIS3_PlPS5_mZN2at6native12_GLOBAL__N_124unique_dim_cuda_templateIiEESt5tupleIJNSA_6TensorESF_SF_EERKSF_lbbbEUlllE_EE10hipError_tT0_T1_T2_jT3_P12ihipStream_tbPNSt15iterator_traitsISL_E10value_typeEPNSR_ISM_E10value_typeEPSN_NS1_7vsmem_tEENKUlT_SL_SM_SN_E_clIS8_S8_S9_S9_EESK_S10_SL_SM_SN_EUlS10_E1_NS1_11comp_targetILNS1_3genE3ELNS1_11target_archE908ELNS1_3gpuE7ELNS1_3repE0EEENS1_36merge_oddeven_config_static_selectorELNS0_4arch9wavefront6targetE1EEEvSM_.num_agpr, 0
	.set _ZN7rocprim17ROCPRIM_400000_NS6detail17trampoline_kernelINS0_14default_configENS1_38merge_sort_block_merge_config_selectorIlNS0_10empty_typeEEEZZNS1_27merge_sort_block_merge_implIS3_PlPS5_mZN2at6native12_GLOBAL__N_124unique_dim_cuda_templateIiEESt5tupleIJNSA_6TensorESF_SF_EERKSF_lbbbEUlllE_EE10hipError_tT0_T1_T2_jT3_P12ihipStream_tbPNSt15iterator_traitsISL_E10value_typeEPNSR_ISM_E10value_typeEPSN_NS1_7vsmem_tEENKUlT_SL_SM_SN_E_clIS8_S8_S9_S9_EESK_S10_SL_SM_SN_EUlS10_E1_NS1_11comp_targetILNS1_3genE3ELNS1_11target_archE908ELNS1_3gpuE7ELNS1_3repE0EEENS1_36merge_oddeven_config_static_selectorELNS0_4arch9wavefront6targetE1EEEvSM_.numbered_sgpr, 0
	.set _ZN7rocprim17ROCPRIM_400000_NS6detail17trampoline_kernelINS0_14default_configENS1_38merge_sort_block_merge_config_selectorIlNS0_10empty_typeEEEZZNS1_27merge_sort_block_merge_implIS3_PlPS5_mZN2at6native12_GLOBAL__N_124unique_dim_cuda_templateIiEESt5tupleIJNSA_6TensorESF_SF_EERKSF_lbbbEUlllE_EE10hipError_tT0_T1_T2_jT3_P12ihipStream_tbPNSt15iterator_traitsISL_E10value_typeEPNSR_ISM_E10value_typeEPSN_NS1_7vsmem_tEENKUlT_SL_SM_SN_E_clIS8_S8_S9_S9_EESK_S10_SL_SM_SN_EUlS10_E1_NS1_11comp_targetILNS1_3genE3ELNS1_11target_archE908ELNS1_3gpuE7ELNS1_3repE0EEENS1_36merge_oddeven_config_static_selectorELNS0_4arch9wavefront6targetE1EEEvSM_.num_named_barrier, 0
	.set _ZN7rocprim17ROCPRIM_400000_NS6detail17trampoline_kernelINS0_14default_configENS1_38merge_sort_block_merge_config_selectorIlNS0_10empty_typeEEEZZNS1_27merge_sort_block_merge_implIS3_PlPS5_mZN2at6native12_GLOBAL__N_124unique_dim_cuda_templateIiEESt5tupleIJNSA_6TensorESF_SF_EERKSF_lbbbEUlllE_EE10hipError_tT0_T1_T2_jT3_P12ihipStream_tbPNSt15iterator_traitsISL_E10value_typeEPNSR_ISM_E10value_typeEPSN_NS1_7vsmem_tEENKUlT_SL_SM_SN_E_clIS8_S8_S9_S9_EESK_S10_SL_SM_SN_EUlS10_E1_NS1_11comp_targetILNS1_3genE3ELNS1_11target_archE908ELNS1_3gpuE7ELNS1_3repE0EEENS1_36merge_oddeven_config_static_selectorELNS0_4arch9wavefront6targetE1EEEvSM_.private_seg_size, 0
	.set _ZN7rocprim17ROCPRIM_400000_NS6detail17trampoline_kernelINS0_14default_configENS1_38merge_sort_block_merge_config_selectorIlNS0_10empty_typeEEEZZNS1_27merge_sort_block_merge_implIS3_PlPS5_mZN2at6native12_GLOBAL__N_124unique_dim_cuda_templateIiEESt5tupleIJNSA_6TensorESF_SF_EERKSF_lbbbEUlllE_EE10hipError_tT0_T1_T2_jT3_P12ihipStream_tbPNSt15iterator_traitsISL_E10value_typeEPNSR_ISM_E10value_typeEPSN_NS1_7vsmem_tEENKUlT_SL_SM_SN_E_clIS8_S8_S9_S9_EESK_S10_SL_SM_SN_EUlS10_E1_NS1_11comp_targetILNS1_3genE3ELNS1_11target_archE908ELNS1_3gpuE7ELNS1_3repE0EEENS1_36merge_oddeven_config_static_selectorELNS0_4arch9wavefront6targetE1EEEvSM_.uses_vcc, 0
	.set _ZN7rocprim17ROCPRIM_400000_NS6detail17trampoline_kernelINS0_14default_configENS1_38merge_sort_block_merge_config_selectorIlNS0_10empty_typeEEEZZNS1_27merge_sort_block_merge_implIS3_PlPS5_mZN2at6native12_GLOBAL__N_124unique_dim_cuda_templateIiEESt5tupleIJNSA_6TensorESF_SF_EERKSF_lbbbEUlllE_EE10hipError_tT0_T1_T2_jT3_P12ihipStream_tbPNSt15iterator_traitsISL_E10value_typeEPNSR_ISM_E10value_typeEPSN_NS1_7vsmem_tEENKUlT_SL_SM_SN_E_clIS8_S8_S9_S9_EESK_S10_SL_SM_SN_EUlS10_E1_NS1_11comp_targetILNS1_3genE3ELNS1_11target_archE908ELNS1_3gpuE7ELNS1_3repE0EEENS1_36merge_oddeven_config_static_selectorELNS0_4arch9wavefront6targetE1EEEvSM_.uses_flat_scratch, 0
	.set _ZN7rocprim17ROCPRIM_400000_NS6detail17trampoline_kernelINS0_14default_configENS1_38merge_sort_block_merge_config_selectorIlNS0_10empty_typeEEEZZNS1_27merge_sort_block_merge_implIS3_PlPS5_mZN2at6native12_GLOBAL__N_124unique_dim_cuda_templateIiEESt5tupleIJNSA_6TensorESF_SF_EERKSF_lbbbEUlllE_EE10hipError_tT0_T1_T2_jT3_P12ihipStream_tbPNSt15iterator_traitsISL_E10value_typeEPNSR_ISM_E10value_typeEPSN_NS1_7vsmem_tEENKUlT_SL_SM_SN_E_clIS8_S8_S9_S9_EESK_S10_SL_SM_SN_EUlS10_E1_NS1_11comp_targetILNS1_3genE3ELNS1_11target_archE908ELNS1_3gpuE7ELNS1_3repE0EEENS1_36merge_oddeven_config_static_selectorELNS0_4arch9wavefront6targetE1EEEvSM_.has_dyn_sized_stack, 0
	.set _ZN7rocprim17ROCPRIM_400000_NS6detail17trampoline_kernelINS0_14default_configENS1_38merge_sort_block_merge_config_selectorIlNS0_10empty_typeEEEZZNS1_27merge_sort_block_merge_implIS3_PlPS5_mZN2at6native12_GLOBAL__N_124unique_dim_cuda_templateIiEESt5tupleIJNSA_6TensorESF_SF_EERKSF_lbbbEUlllE_EE10hipError_tT0_T1_T2_jT3_P12ihipStream_tbPNSt15iterator_traitsISL_E10value_typeEPNSR_ISM_E10value_typeEPSN_NS1_7vsmem_tEENKUlT_SL_SM_SN_E_clIS8_S8_S9_S9_EESK_S10_SL_SM_SN_EUlS10_E1_NS1_11comp_targetILNS1_3genE3ELNS1_11target_archE908ELNS1_3gpuE7ELNS1_3repE0EEENS1_36merge_oddeven_config_static_selectorELNS0_4arch9wavefront6targetE1EEEvSM_.has_recursion, 0
	.set _ZN7rocprim17ROCPRIM_400000_NS6detail17trampoline_kernelINS0_14default_configENS1_38merge_sort_block_merge_config_selectorIlNS0_10empty_typeEEEZZNS1_27merge_sort_block_merge_implIS3_PlPS5_mZN2at6native12_GLOBAL__N_124unique_dim_cuda_templateIiEESt5tupleIJNSA_6TensorESF_SF_EERKSF_lbbbEUlllE_EE10hipError_tT0_T1_T2_jT3_P12ihipStream_tbPNSt15iterator_traitsISL_E10value_typeEPNSR_ISM_E10value_typeEPSN_NS1_7vsmem_tEENKUlT_SL_SM_SN_E_clIS8_S8_S9_S9_EESK_S10_SL_SM_SN_EUlS10_E1_NS1_11comp_targetILNS1_3genE3ELNS1_11target_archE908ELNS1_3gpuE7ELNS1_3repE0EEENS1_36merge_oddeven_config_static_selectorELNS0_4arch9wavefront6targetE1EEEvSM_.has_indirect_call, 0
	.section	.AMDGPU.csdata,"",@progbits
; Kernel info:
; codeLenInByte = 0
; TotalNumSgprs: 6
; NumVgprs: 0
; NumAgprs: 0
; TotalNumVgprs: 0
; ScratchSize: 0
; MemoryBound: 0
; FloatMode: 240
; IeeeMode: 1
; LDSByteSize: 0 bytes/workgroup (compile time only)
; SGPRBlocks: 0
; VGPRBlocks: 0
; NumSGPRsForWavesPerEU: 6
; NumVGPRsForWavesPerEU: 1
; AccumOffset: 4
; Occupancy: 8
; WaveLimiterHint : 0
; COMPUTE_PGM_RSRC2:SCRATCH_EN: 0
; COMPUTE_PGM_RSRC2:USER_SGPR: 2
; COMPUTE_PGM_RSRC2:TRAP_HANDLER: 0
; COMPUTE_PGM_RSRC2:TGID_X_EN: 1
; COMPUTE_PGM_RSRC2:TGID_Y_EN: 0
; COMPUTE_PGM_RSRC2:TGID_Z_EN: 0
; COMPUTE_PGM_RSRC2:TIDIG_COMP_CNT: 0
; COMPUTE_PGM_RSRC3_GFX90A:ACCUM_OFFSET: 0
; COMPUTE_PGM_RSRC3_GFX90A:TG_SPLIT: 0
	.section	.text._ZN7rocprim17ROCPRIM_400000_NS6detail17trampoline_kernelINS0_14default_configENS1_38merge_sort_block_merge_config_selectorIlNS0_10empty_typeEEEZZNS1_27merge_sort_block_merge_implIS3_PlPS5_mZN2at6native12_GLOBAL__N_124unique_dim_cuda_templateIiEESt5tupleIJNSA_6TensorESF_SF_EERKSF_lbbbEUlllE_EE10hipError_tT0_T1_T2_jT3_P12ihipStream_tbPNSt15iterator_traitsISL_E10value_typeEPNSR_ISM_E10value_typeEPSN_NS1_7vsmem_tEENKUlT_SL_SM_SN_E_clIS8_S8_S9_S9_EESK_S10_SL_SM_SN_EUlS10_E1_NS1_11comp_targetILNS1_3genE2ELNS1_11target_archE906ELNS1_3gpuE6ELNS1_3repE0EEENS1_36merge_oddeven_config_static_selectorELNS0_4arch9wavefront6targetE1EEEvSM_,"axG",@progbits,_ZN7rocprim17ROCPRIM_400000_NS6detail17trampoline_kernelINS0_14default_configENS1_38merge_sort_block_merge_config_selectorIlNS0_10empty_typeEEEZZNS1_27merge_sort_block_merge_implIS3_PlPS5_mZN2at6native12_GLOBAL__N_124unique_dim_cuda_templateIiEESt5tupleIJNSA_6TensorESF_SF_EERKSF_lbbbEUlllE_EE10hipError_tT0_T1_T2_jT3_P12ihipStream_tbPNSt15iterator_traitsISL_E10value_typeEPNSR_ISM_E10value_typeEPSN_NS1_7vsmem_tEENKUlT_SL_SM_SN_E_clIS8_S8_S9_S9_EESK_S10_SL_SM_SN_EUlS10_E1_NS1_11comp_targetILNS1_3genE2ELNS1_11target_archE906ELNS1_3gpuE6ELNS1_3repE0EEENS1_36merge_oddeven_config_static_selectorELNS0_4arch9wavefront6targetE1EEEvSM_,comdat
	.globl	_ZN7rocprim17ROCPRIM_400000_NS6detail17trampoline_kernelINS0_14default_configENS1_38merge_sort_block_merge_config_selectorIlNS0_10empty_typeEEEZZNS1_27merge_sort_block_merge_implIS3_PlPS5_mZN2at6native12_GLOBAL__N_124unique_dim_cuda_templateIiEESt5tupleIJNSA_6TensorESF_SF_EERKSF_lbbbEUlllE_EE10hipError_tT0_T1_T2_jT3_P12ihipStream_tbPNSt15iterator_traitsISL_E10value_typeEPNSR_ISM_E10value_typeEPSN_NS1_7vsmem_tEENKUlT_SL_SM_SN_E_clIS8_S8_S9_S9_EESK_S10_SL_SM_SN_EUlS10_E1_NS1_11comp_targetILNS1_3genE2ELNS1_11target_archE906ELNS1_3gpuE6ELNS1_3repE0EEENS1_36merge_oddeven_config_static_selectorELNS0_4arch9wavefront6targetE1EEEvSM_ ; -- Begin function _ZN7rocprim17ROCPRIM_400000_NS6detail17trampoline_kernelINS0_14default_configENS1_38merge_sort_block_merge_config_selectorIlNS0_10empty_typeEEEZZNS1_27merge_sort_block_merge_implIS3_PlPS5_mZN2at6native12_GLOBAL__N_124unique_dim_cuda_templateIiEESt5tupleIJNSA_6TensorESF_SF_EERKSF_lbbbEUlllE_EE10hipError_tT0_T1_T2_jT3_P12ihipStream_tbPNSt15iterator_traitsISL_E10value_typeEPNSR_ISM_E10value_typeEPSN_NS1_7vsmem_tEENKUlT_SL_SM_SN_E_clIS8_S8_S9_S9_EESK_S10_SL_SM_SN_EUlS10_E1_NS1_11comp_targetILNS1_3genE2ELNS1_11target_archE906ELNS1_3gpuE6ELNS1_3repE0EEENS1_36merge_oddeven_config_static_selectorELNS0_4arch9wavefront6targetE1EEEvSM_
	.p2align	8
	.type	_ZN7rocprim17ROCPRIM_400000_NS6detail17trampoline_kernelINS0_14default_configENS1_38merge_sort_block_merge_config_selectorIlNS0_10empty_typeEEEZZNS1_27merge_sort_block_merge_implIS3_PlPS5_mZN2at6native12_GLOBAL__N_124unique_dim_cuda_templateIiEESt5tupleIJNSA_6TensorESF_SF_EERKSF_lbbbEUlllE_EE10hipError_tT0_T1_T2_jT3_P12ihipStream_tbPNSt15iterator_traitsISL_E10value_typeEPNSR_ISM_E10value_typeEPSN_NS1_7vsmem_tEENKUlT_SL_SM_SN_E_clIS8_S8_S9_S9_EESK_S10_SL_SM_SN_EUlS10_E1_NS1_11comp_targetILNS1_3genE2ELNS1_11target_archE906ELNS1_3gpuE6ELNS1_3repE0EEENS1_36merge_oddeven_config_static_selectorELNS0_4arch9wavefront6targetE1EEEvSM_,@function
_ZN7rocprim17ROCPRIM_400000_NS6detail17trampoline_kernelINS0_14default_configENS1_38merge_sort_block_merge_config_selectorIlNS0_10empty_typeEEEZZNS1_27merge_sort_block_merge_implIS3_PlPS5_mZN2at6native12_GLOBAL__N_124unique_dim_cuda_templateIiEESt5tupleIJNSA_6TensorESF_SF_EERKSF_lbbbEUlllE_EE10hipError_tT0_T1_T2_jT3_P12ihipStream_tbPNSt15iterator_traitsISL_E10value_typeEPNSR_ISM_E10value_typeEPSN_NS1_7vsmem_tEENKUlT_SL_SM_SN_E_clIS8_S8_S9_S9_EESK_S10_SL_SM_SN_EUlS10_E1_NS1_11comp_targetILNS1_3genE2ELNS1_11target_archE906ELNS1_3gpuE6ELNS1_3repE0EEENS1_36merge_oddeven_config_static_selectorELNS0_4arch9wavefront6targetE1EEEvSM_: ; @_ZN7rocprim17ROCPRIM_400000_NS6detail17trampoline_kernelINS0_14default_configENS1_38merge_sort_block_merge_config_selectorIlNS0_10empty_typeEEEZZNS1_27merge_sort_block_merge_implIS3_PlPS5_mZN2at6native12_GLOBAL__N_124unique_dim_cuda_templateIiEESt5tupleIJNSA_6TensorESF_SF_EERKSF_lbbbEUlllE_EE10hipError_tT0_T1_T2_jT3_P12ihipStream_tbPNSt15iterator_traitsISL_E10value_typeEPNSR_ISM_E10value_typeEPSN_NS1_7vsmem_tEENKUlT_SL_SM_SN_E_clIS8_S8_S9_S9_EESK_S10_SL_SM_SN_EUlS10_E1_NS1_11comp_targetILNS1_3genE2ELNS1_11target_archE906ELNS1_3gpuE6ELNS1_3repE0EEENS1_36merge_oddeven_config_static_selectorELNS0_4arch9wavefront6targetE1EEEvSM_
; %bb.0:
	.section	.rodata,"a",@progbits
	.p2align	6, 0x0
	.amdhsa_kernel _ZN7rocprim17ROCPRIM_400000_NS6detail17trampoline_kernelINS0_14default_configENS1_38merge_sort_block_merge_config_selectorIlNS0_10empty_typeEEEZZNS1_27merge_sort_block_merge_implIS3_PlPS5_mZN2at6native12_GLOBAL__N_124unique_dim_cuda_templateIiEESt5tupleIJNSA_6TensorESF_SF_EERKSF_lbbbEUlllE_EE10hipError_tT0_T1_T2_jT3_P12ihipStream_tbPNSt15iterator_traitsISL_E10value_typeEPNSR_ISM_E10value_typeEPSN_NS1_7vsmem_tEENKUlT_SL_SM_SN_E_clIS8_S8_S9_S9_EESK_S10_SL_SM_SN_EUlS10_E1_NS1_11comp_targetILNS1_3genE2ELNS1_11target_archE906ELNS1_3gpuE6ELNS1_3repE0EEENS1_36merge_oddeven_config_static_selectorELNS0_4arch9wavefront6targetE1EEEvSM_
		.amdhsa_group_segment_fixed_size 0
		.amdhsa_private_segment_fixed_size 0
		.amdhsa_kernarg_size 64
		.amdhsa_user_sgpr_count 2
		.amdhsa_user_sgpr_dispatch_ptr 0
		.amdhsa_user_sgpr_queue_ptr 0
		.amdhsa_user_sgpr_kernarg_segment_ptr 1
		.amdhsa_user_sgpr_dispatch_id 0
		.amdhsa_user_sgpr_kernarg_preload_length 0
		.amdhsa_user_sgpr_kernarg_preload_offset 0
		.amdhsa_user_sgpr_private_segment_size 0
		.amdhsa_uses_dynamic_stack 0
		.amdhsa_enable_private_segment 0
		.amdhsa_system_sgpr_workgroup_id_x 1
		.amdhsa_system_sgpr_workgroup_id_y 0
		.amdhsa_system_sgpr_workgroup_id_z 0
		.amdhsa_system_sgpr_workgroup_info 0
		.amdhsa_system_vgpr_workitem_id 0
		.amdhsa_next_free_vgpr 1
		.amdhsa_next_free_sgpr 0
		.amdhsa_accum_offset 4
		.amdhsa_reserve_vcc 0
		.amdhsa_float_round_mode_32 0
		.amdhsa_float_round_mode_16_64 0
		.amdhsa_float_denorm_mode_32 3
		.amdhsa_float_denorm_mode_16_64 3
		.amdhsa_dx10_clamp 1
		.amdhsa_ieee_mode 1
		.amdhsa_fp16_overflow 0
		.amdhsa_tg_split 0
		.amdhsa_exception_fp_ieee_invalid_op 0
		.amdhsa_exception_fp_denorm_src 0
		.amdhsa_exception_fp_ieee_div_zero 0
		.amdhsa_exception_fp_ieee_overflow 0
		.amdhsa_exception_fp_ieee_underflow 0
		.amdhsa_exception_fp_ieee_inexact 0
		.amdhsa_exception_int_div_zero 0
	.end_amdhsa_kernel
	.section	.text._ZN7rocprim17ROCPRIM_400000_NS6detail17trampoline_kernelINS0_14default_configENS1_38merge_sort_block_merge_config_selectorIlNS0_10empty_typeEEEZZNS1_27merge_sort_block_merge_implIS3_PlPS5_mZN2at6native12_GLOBAL__N_124unique_dim_cuda_templateIiEESt5tupleIJNSA_6TensorESF_SF_EERKSF_lbbbEUlllE_EE10hipError_tT0_T1_T2_jT3_P12ihipStream_tbPNSt15iterator_traitsISL_E10value_typeEPNSR_ISM_E10value_typeEPSN_NS1_7vsmem_tEENKUlT_SL_SM_SN_E_clIS8_S8_S9_S9_EESK_S10_SL_SM_SN_EUlS10_E1_NS1_11comp_targetILNS1_3genE2ELNS1_11target_archE906ELNS1_3gpuE6ELNS1_3repE0EEENS1_36merge_oddeven_config_static_selectorELNS0_4arch9wavefront6targetE1EEEvSM_,"axG",@progbits,_ZN7rocprim17ROCPRIM_400000_NS6detail17trampoline_kernelINS0_14default_configENS1_38merge_sort_block_merge_config_selectorIlNS0_10empty_typeEEEZZNS1_27merge_sort_block_merge_implIS3_PlPS5_mZN2at6native12_GLOBAL__N_124unique_dim_cuda_templateIiEESt5tupleIJNSA_6TensorESF_SF_EERKSF_lbbbEUlllE_EE10hipError_tT0_T1_T2_jT3_P12ihipStream_tbPNSt15iterator_traitsISL_E10value_typeEPNSR_ISM_E10value_typeEPSN_NS1_7vsmem_tEENKUlT_SL_SM_SN_E_clIS8_S8_S9_S9_EESK_S10_SL_SM_SN_EUlS10_E1_NS1_11comp_targetILNS1_3genE2ELNS1_11target_archE906ELNS1_3gpuE6ELNS1_3repE0EEENS1_36merge_oddeven_config_static_selectorELNS0_4arch9wavefront6targetE1EEEvSM_,comdat
.Lfunc_end413:
	.size	_ZN7rocprim17ROCPRIM_400000_NS6detail17trampoline_kernelINS0_14default_configENS1_38merge_sort_block_merge_config_selectorIlNS0_10empty_typeEEEZZNS1_27merge_sort_block_merge_implIS3_PlPS5_mZN2at6native12_GLOBAL__N_124unique_dim_cuda_templateIiEESt5tupleIJNSA_6TensorESF_SF_EERKSF_lbbbEUlllE_EE10hipError_tT0_T1_T2_jT3_P12ihipStream_tbPNSt15iterator_traitsISL_E10value_typeEPNSR_ISM_E10value_typeEPSN_NS1_7vsmem_tEENKUlT_SL_SM_SN_E_clIS8_S8_S9_S9_EESK_S10_SL_SM_SN_EUlS10_E1_NS1_11comp_targetILNS1_3genE2ELNS1_11target_archE906ELNS1_3gpuE6ELNS1_3repE0EEENS1_36merge_oddeven_config_static_selectorELNS0_4arch9wavefront6targetE1EEEvSM_, .Lfunc_end413-_ZN7rocprim17ROCPRIM_400000_NS6detail17trampoline_kernelINS0_14default_configENS1_38merge_sort_block_merge_config_selectorIlNS0_10empty_typeEEEZZNS1_27merge_sort_block_merge_implIS3_PlPS5_mZN2at6native12_GLOBAL__N_124unique_dim_cuda_templateIiEESt5tupleIJNSA_6TensorESF_SF_EERKSF_lbbbEUlllE_EE10hipError_tT0_T1_T2_jT3_P12ihipStream_tbPNSt15iterator_traitsISL_E10value_typeEPNSR_ISM_E10value_typeEPSN_NS1_7vsmem_tEENKUlT_SL_SM_SN_E_clIS8_S8_S9_S9_EESK_S10_SL_SM_SN_EUlS10_E1_NS1_11comp_targetILNS1_3genE2ELNS1_11target_archE906ELNS1_3gpuE6ELNS1_3repE0EEENS1_36merge_oddeven_config_static_selectorELNS0_4arch9wavefront6targetE1EEEvSM_
                                        ; -- End function
	.set _ZN7rocprim17ROCPRIM_400000_NS6detail17trampoline_kernelINS0_14default_configENS1_38merge_sort_block_merge_config_selectorIlNS0_10empty_typeEEEZZNS1_27merge_sort_block_merge_implIS3_PlPS5_mZN2at6native12_GLOBAL__N_124unique_dim_cuda_templateIiEESt5tupleIJNSA_6TensorESF_SF_EERKSF_lbbbEUlllE_EE10hipError_tT0_T1_T2_jT3_P12ihipStream_tbPNSt15iterator_traitsISL_E10value_typeEPNSR_ISM_E10value_typeEPSN_NS1_7vsmem_tEENKUlT_SL_SM_SN_E_clIS8_S8_S9_S9_EESK_S10_SL_SM_SN_EUlS10_E1_NS1_11comp_targetILNS1_3genE2ELNS1_11target_archE906ELNS1_3gpuE6ELNS1_3repE0EEENS1_36merge_oddeven_config_static_selectorELNS0_4arch9wavefront6targetE1EEEvSM_.num_vgpr, 0
	.set _ZN7rocprim17ROCPRIM_400000_NS6detail17trampoline_kernelINS0_14default_configENS1_38merge_sort_block_merge_config_selectorIlNS0_10empty_typeEEEZZNS1_27merge_sort_block_merge_implIS3_PlPS5_mZN2at6native12_GLOBAL__N_124unique_dim_cuda_templateIiEESt5tupleIJNSA_6TensorESF_SF_EERKSF_lbbbEUlllE_EE10hipError_tT0_T1_T2_jT3_P12ihipStream_tbPNSt15iterator_traitsISL_E10value_typeEPNSR_ISM_E10value_typeEPSN_NS1_7vsmem_tEENKUlT_SL_SM_SN_E_clIS8_S8_S9_S9_EESK_S10_SL_SM_SN_EUlS10_E1_NS1_11comp_targetILNS1_3genE2ELNS1_11target_archE906ELNS1_3gpuE6ELNS1_3repE0EEENS1_36merge_oddeven_config_static_selectorELNS0_4arch9wavefront6targetE1EEEvSM_.num_agpr, 0
	.set _ZN7rocprim17ROCPRIM_400000_NS6detail17trampoline_kernelINS0_14default_configENS1_38merge_sort_block_merge_config_selectorIlNS0_10empty_typeEEEZZNS1_27merge_sort_block_merge_implIS3_PlPS5_mZN2at6native12_GLOBAL__N_124unique_dim_cuda_templateIiEESt5tupleIJNSA_6TensorESF_SF_EERKSF_lbbbEUlllE_EE10hipError_tT0_T1_T2_jT3_P12ihipStream_tbPNSt15iterator_traitsISL_E10value_typeEPNSR_ISM_E10value_typeEPSN_NS1_7vsmem_tEENKUlT_SL_SM_SN_E_clIS8_S8_S9_S9_EESK_S10_SL_SM_SN_EUlS10_E1_NS1_11comp_targetILNS1_3genE2ELNS1_11target_archE906ELNS1_3gpuE6ELNS1_3repE0EEENS1_36merge_oddeven_config_static_selectorELNS0_4arch9wavefront6targetE1EEEvSM_.numbered_sgpr, 0
	.set _ZN7rocprim17ROCPRIM_400000_NS6detail17trampoline_kernelINS0_14default_configENS1_38merge_sort_block_merge_config_selectorIlNS0_10empty_typeEEEZZNS1_27merge_sort_block_merge_implIS3_PlPS5_mZN2at6native12_GLOBAL__N_124unique_dim_cuda_templateIiEESt5tupleIJNSA_6TensorESF_SF_EERKSF_lbbbEUlllE_EE10hipError_tT0_T1_T2_jT3_P12ihipStream_tbPNSt15iterator_traitsISL_E10value_typeEPNSR_ISM_E10value_typeEPSN_NS1_7vsmem_tEENKUlT_SL_SM_SN_E_clIS8_S8_S9_S9_EESK_S10_SL_SM_SN_EUlS10_E1_NS1_11comp_targetILNS1_3genE2ELNS1_11target_archE906ELNS1_3gpuE6ELNS1_3repE0EEENS1_36merge_oddeven_config_static_selectorELNS0_4arch9wavefront6targetE1EEEvSM_.num_named_barrier, 0
	.set _ZN7rocprim17ROCPRIM_400000_NS6detail17trampoline_kernelINS0_14default_configENS1_38merge_sort_block_merge_config_selectorIlNS0_10empty_typeEEEZZNS1_27merge_sort_block_merge_implIS3_PlPS5_mZN2at6native12_GLOBAL__N_124unique_dim_cuda_templateIiEESt5tupleIJNSA_6TensorESF_SF_EERKSF_lbbbEUlllE_EE10hipError_tT0_T1_T2_jT3_P12ihipStream_tbPNSt15iterator_traitsISL_E10value_typeEPNSR_ISM_E10value_typeEPSN_NS1_7vsmem_tEENKUlT_SL_SM_SN_E_clIS8_S8_S9_S9_EESK_S10_SL_SM_SN_EUlS10_E1_NS1_11comp_targetILNS1_3genE2ELNS1_11target_archE906ELNS1_3gpuE6ELNS1_3repE0EEENS1_36merge_oddeven_config_static_selectorELNS0_4arch9wavefront6targetE1EEEvSM_.private_seg_size, 0
	.set _ZN7rocprim17ROCPRIM_400000_NS6detail17trampoline_kernelINS0_14default_configENS1_38merge_sort_block_merge_config_selectorIlNS0_10empty_typeEEEZZNS1_27merge_sort_block_merge_implIS3_PlPS5_mZN2at6native12_GLOBAL__N_124unique_dim_cuda_templateIiEESt5tupleIJNSA_6TensorESF_SF_EERKSF_lbbbEUlllE_EE10hipError_tT0_T1_T2_jT3_P12ihipStream_tbPNSt15iterator_traitsISL_E10value_typeEPNSR_ISM_E10value_typeEPSN_NS1_7vsmem_tEENKUlT_SL_SM_SN_E_clIS8_S8_S9_S9_EESK_S10_SL_SM_SN_EUlS10_E1_NS1_11comp_targetILNS1_3genE2ELNS1_11target_archE906ELNS1_3gpuE6ELNS1_3repE0EEENS1_36merge_oddeven_config_static_selectorELNS0_4arch9wavefront6targetE1EEEvSM_.uses_vcc, 0
	.set _ZN7rocprim17ROCPRIM_400000_NS6detail17trampoline_kernelINS0_14default_configENS1_38merge_sort_block_merge_config_selectorIlNS0_10empty_typeEEEZZNS1_27merge_sort_block_merge_implIS3_PlPS5_mZN2at6native12_GLOBAL__N_124unique_dim_cuda_templateIiEESt5tupleIJNSA_6TensorESF_SF_EERKSF_lbbbEUlllE_EE10hipError_tT0_T1_T2_jT3_P12ihipStream_tbPNSt15iterator_traitsISL_E10value_typeEPNSR_ISM_E10value_typeEPSN_NS1_7vsmem_tEENKUlT_SL_SM_SN_E_clIS8_S8_S9_S9_EESK_S10_SL_SM_SN_EUlS10_E1_NS1_11comp_targetILNS1_3genE2ELNS1_11target_archE906ELNS1_3gpuE6ELNS1_3repE0EEENS1_36merge_oddeven_config_static_selectorELNS0_4arch9wavefront6targetE1EEEvSM_.uses_flat_scratch, 0
	.set _ZN7rocprim17ROCPRIM_400000_NS6detail17trampoline_kernelINS0_14default_configENS1_38merge_sort_block_merge_config_selectorIlNS0_10empty_typeEEEZZNS1_27merge_sort_block_merge_implIS3_PlPS5_mZN2at6native12_GLOBAL__N_124unique_dim_cuda_templateIiEESt5tupleIJNSA_6TensorESF_SF_EERKSF_lbbbEUlllE_EE10hipError_tT0_T1_T2_jT3_P12ihipStream_tbPNSt15iterator_traitsISL_E10value_typeEPNSR_ISM_E10value_typeEPSN_NS1_7vsmem_tEENKUlT_SL_SM_SN_E_clIS8_S8_S9_S9_EESK_S10_SL_SM_SN_EUlS10_E1_NS1_11comp_targetILNS1_3genE2ELNS1_11target_archE906ELNS1_3gpuE6ELNS1_3repE0EEENS1_36merge_oddeven_config_static_selectorELNS0_4arch9wavefront6targetE1EEEvSM_.has_dyn_sized_stack, 0
	.set _ZN7rocprim17ROCPRIM_400000_NS6detail17trampoline_kernelINS0_14default_configENS1_38merge_sort_block_merge_config_selectorIlNS0_10empty_typeEEEZZNS1_27merge_sort_block_merge_implIS3_PlPS5_mZN2at6native12_GLOBAL__N_124unique_dim_cuda_templateIiEESt5tupleIJNSA_6TensorESF_SF_EERKSF_lbbbEUlllE_EE10hipError_tT0_T1_T2_jT3_P12ihipStream_tbPNSt15iterator_traitsISL_E10value_typeEPNSR_ISM_E10value_typeEPSN_NS1_7vsmem_tEENKUlT_SL_SM_SN_E_clIS8_S8_S9_S9_EESK_S10_SL_SM_SN_EUlS10_E1_NS1_11comp_targetILNS1_3genE2ELNS1_11target_archE906ELNS1_3gpuE6ELNS1_3repE0EEENS1_36merge_oddeven_config_static_selectorELNS0_4arch9wavefront6targetE1EEEvSM_.has_recursion, 0
	.set _ZN7rocprim17ROCPRIM_400000_NS6detail17trampoline_kernelINS0_14default_configENS1_38merge_sort_block_merge_config_selectorIlNS0_10empty_typeEEEZZNS1_27merge_sort_block_merge_implIS3_PlPS5_mZN2at6native12_GLOBAL__N_124unique_dim_cuda_templateIiEESt5tupleIJNSA_6TensorESF_SF_EERKSF_lbbbEUlllE_EE10hipError_tT0_T1_T2_jT3_P12ihipStream_tbPNSt15iterator_traitsISL_E10value_typeEPNSR_ISM_E10value_typeEPSN_NS1_7vsmem_tEENKUlT_SL_SM_SN_E_clIS8_S8_S9_S9_EESK_S10_SL_SM_SN_EUlS10_E1_NS1_11comp_targetILNS1_3genE2ELNS1_11target_archE906ELNS1_3gpuE6ELNS1_3repE0EEENS1_36merge_oddeven_config_static_selectorELNS0_4arch9wavefront6targetE1EEEvSM_.has_indirect_call, 0
	.section	.AMDGPU.csdata,"",@progbits
; Kernel info:
; codeLenInByte = 0
; TotalNumSgprs: 6
; NumVgprs: 0
; NumAgprs: 0
; TotalNumVgprs: 0
; ScratchSize: 0
; MemoryBound: 0
; FloatMode: 240
; IeeeMode: 1
; LDSByteSize: 0 bytes/workgroup (compile time only)
; SGPRBlocks: 0
; VGPRBlocks: 0
; NumSGPRsForWavesPerEU: 6
; NumVGPRsForWavesPerEU: 1
; AccumOffset: 4
; Occupancy: 8
; WaveLimiterHint : 0
; COMPUTE_PGM_RSRC2:SCRATCH_EN: 0
; COMPUTE_PGM_RSRC2:USER_SGPR: 2
; COMPUTE_PGM_RSRC2:TRAP_HANDLER: 0
; COMPUTE_PGM_RSRC2:TGID_X_EN: 1
; COMPUTE_PGM_RSRC2:TGID_Y_EN: 0
; COMPUTE_PGM_RSRC2:TGID_Z_EN: 0
; COMPUTE_PGM_RSRC2:TIDIG_COMP_CNT: 0
; COMPUTE_PGM_RSRC3_GFX90A:ACCUM_OFFSET: 0
; COMPUTE_PGM_RSRC3_GFX90A:TG_SPLIT: 0
	.section	.text._ZN7rocprim17ROCPRIM_400000_NS6detail17trampoline_kernelINS0_14default_configENS1_38merge_sort_block_merge_config_selectorIlNS0_10empty_typeEEEZZNS1_27merge_sort_block_merge_implIS3_PlPS5_mZN2at6native12_GLOBAL__N_124unique_dim_cuda_templateIiEESt5tupleIJNSA_6TensorESF_SF_EERKSF_lbbbEUlllE_EE10hipError_tT0_T1_T2_jT3_P12ihipStream_tbPNSt15iterator_traitsISL_E10value_typeEPNSR_ISM_E10value_typeEPSN_NS1_7vsmem_tEENKUlT_SL_SM_SN_E_clIS8_S8_S9_S9_EESK_S10_SL_SM_SN_EUlS10_E1_NS1_11comp_targetILNS1_3genE9ELNS1_11target_archE1100ELNS1_3gpuE3ELNS1_3repE0EEENS1_36merge_oddeven_config_static_selectorELNS0_4arch9wavefront6targetE1EEEvSM_,"axG",@progbits,_ZN7rocprim17ROCPRIM_400000_NS6detail17trampoline_kernelINS0_14default_configENS1_38merge_sort_block_merge_config_selectorIlNS0_10empty_typeEEEZZNS1_27merge_sort_block_merge_implIS3_PlPS5_mZN2at6native12_GLOBAL__N_124unique_dim_cuda_templateIiEESt5tupleIJNSA_6TensorESF_SF_EERKSF_lbbbEUlllE_EE10hipError_tT0_T1_T2_jT3_P12ihipStream_tbPNSt15iterator_traitsISL_E10value_typeEPNSR_ISM_E10value_typeEPSN_NS1_7vsmem_tEENKUlT_SL_SM_SN_E_clIS8_S8_S9_S9_EESK_S10_SL_SM_SN_EUlS10_E1_NS1_11comp_targetILNS1_3genE9ELNS1_11target_archE1100ELNS1_3gpuE3ELNS1_3repE0EEENS1_36merge_oddeven_config_static_selectorELNS0_4arch9wavefront6targetE1EEEvSM_,comdat
	.globl	_ZN7rocprim17ROCPRIM_400000_NS6detail17trampoline_kernelINS0_14default_configENS1_38merge_sort_block_merge_config_selectorIlNS0_10empty_typeEEEZZNS1_27merge_sort_block_merge_implIS3_PlPS5_mZN2at6native12_GLOBAL__N_124unique_dim_cuda_templateIiEESt5tupleIJNSA_6TensorESF_SF_EERKSF_lbbbEUlllE_EE10hipError_tT0_T1_T2_jT3_P12ihipStream_tbPNSt15iterator_traitsISL_E10value_typeEPNSR_ISM_E10value_typeEPSN_NS1_7vsmem_tEENKUlT_SL_SM_SN_E_clIS8_S8_S9_S9_EESK_S10_SL_SM_SN_EUlS10_E1_NS1_11comp_targetILNS1_3genE9ELNS1_11target_archE1100ELNS1_3gpuE3ELNS1_3repE0EEENS1_36merge_oddeven_config_static_selectorELNS0_4arch9wavefront6targetE1EEEvSM_ ; -- Begin function _ZN7rocprim17ROCPRIM_400000_NS6detail17trampoline_kernelINS0_14default_configENS1_38merge_sort_block_merge_config_selectorIlNS0_10empty_typeEEEZZNS1_27merge_sort_block_merge_implIS3_PlPS5_mZN2at6native12_GLOBAL__N_124unique_dim_cuda_templateIiEESt5tupleIJNSA_6TensorESF_SF_EERKSF_lbbbEUlllE_EE10hipError_tT0_T1_T2_jT3_P12ihipStream_tbPNSt15iterator_traitsISL_E10value_typeEPNSR_ISM_E10value_typeEPSN_NS1_7vsmem_tEENKUlT_SL_SM_SN_E_clIS8_S8_S9_S9_EESK_S10_SL_SM_SN_EUlS10_E1_NS1_11comp_targetILNS1_3genE9ELNS1_11target_archE1100ELNS1_3gpuE3ELNS1_3repE0EEENS1_36merge_oddeven_config_static_selectorELNS0_4arch9wavefront6targetE1EEEvSM_
	.p2align	8
	.type	_ZN7rocprim17ROCPRIM_400000_NS6detail17trampoline_kernelINS0_14default_configENS1_38merge_sort_block_merge_config_selectorIlNS0_10empty_typeEEEZZNS1_27merge_sort_block_merge_implIS3_PlPS5_mZN2at6native12_GLOBAL__N_124unique_dim_cuda_templateIiEESt5tupleIJNSA_6TensorESF_SF_EERKSF_lbbbEUlllE_EE10hipError_tT0_T1_T2_jT3_P12ihipStream_tbPNSt15iterator_traitsISL_E10value_typeEPNSR_ISM_E10value_typeEPSN_NS1_7vsmem_tEENKUlT_SL_SM_SN_E_clIS8_S8_S9_S9_EESK_S10_SL_SM_SN_EUlS10_E1_NS1_11comp_targetILNS1_3genE9ELNS1_11target_archE1100ELNS1_3gpuE3ELNS1_3repE0EEENS1_36merge_oddeven_config_static_selectorELNS0_4arch9wavefront6targetE1EEEvSM_,@function
_ZN7rocprim17ROCPRIM_400000_NS6detail17trampoline_kernelINS0_14default_configENS1_38merge_sort_block_merge_config_selectorIlNS0_10empty_typeEEEZZNS1_27merge_sort_block_merge_implIS3_PlPS5_mZN2at6native12_GLOBAL__N_124unique_dim_cuda_templateIiEESt5tupleIJNSA_6TensorESF_SF_EERKSF_lbbbEUlllE_EE10hipError_tT0_T1_T2_jT3_P12ihipStream_tbPNSt15iterator_traitsISL_E10value_typeEPNSR_ISM_E10value_typeEPSN_NS1_7vsmem_tEENKUlT_SL_SM_SN_E_clIS8_S8_S9_S9_EESK_S10_SL_SM_SN_EUlS10_E1_NS1_11comp_targetILNS1_3genE9ELNS1_11target_archE1100ELNS1_3gpuE3ELNS1_3repE0EEENS1_36merge_oddeven_config_static_selectorELNS0_4arch9wavefront6targetE1EEEvSM_: ; @_ZN7rocprim17ROCPRIM_400000_NS6detail17trampoline_kernelINS0_14default_configENS1_38merge_sort_block_merge_config_selectorIlNS0_10empty_typeEEEZZNS1_27merge_sort_block_merge_implIS3_PlPS5_mZN2at6native12_GLOBAL__N_124unique_dim_cuda_templateIiEESt5tupleIJNSA_6TensorESF_SF_EERKSF_lbbbEUlllE_EE10hipError_tT0_T1_T2_jT3_P12ihipStream_tbPNSt15iterator_traitsISL_E10value_typeEPNSR_ISM_E10value_typeEPSN_NS1_7vsmem_tEENKUlT_SL_SM_SN_E_clIS8_S8_S9_S9_EESK_S10_SL_SM_SN_EUlS10_E1_NS1_11comp_targetILNS1_3genE9ELNS1_11target_archE1100ELNS1_3gpuE3ELNS1_3repE0EEENS1_36merge_oddeven_config_static_selectorELNS0_4arch9wavefront6targetE1EEEvSM_
; %bb.0:
	.section	.rodata,"a",@progbits
	.p2align	6, 0x0
	.amdhsa_kernel _ZN7rocprim17ROCPRIM_400000_NS6detail17trampoline_kernelINS0_14default_configENS1_38merge_sort_block_merge_config_selectorIlNS0_10empty_typeEEEZZNS1_27merge_sort_block_merge_implIS3_PlPS5_mZN2at6native12_GLOBAL__N_124unique_dim_cuda_templateIiEESt5tupleIJNSA_6TensorESF_SF_EERKSF_lbbbEUlllE_EE10hipError_tT0_T1_T2_jT3_P12ihipStream_tbPNSt15iterator_traitsISL_E10value_typeEPNSR_ISM_E10value_typeEPSN_NS1_7vsmem_tEENKUlT_SL_SM_SN_E_clIS8_S8_S9_S9_EESK_S10_SL_SM_SN_EUlS10_E1_NS1_11comp_targetILNS1_3genE9ELNS1_11target_archE1100ELNS1_3gpuE3ELNS1_3repE0EEENS1_36merge_oddeven_config_static_selectorELNS0_4arch9wavefront6targetE1EEEvSM_
		.amdhsa_group_segment_fixed_size 0
		.amdhsa_private_segment_fixed_size 0
		.amdhsa_kernarg_size 64
		.amdhsa_user_sgpr_count 2
		.amdhsa_user_sgpr_dispatch_ptr 0
		.amdhsa_user_sgpr_queue_ptr 0
		.amdhsa_user_sgpr_kernarg_segment_ptr 1
		.amdhsa_user_sgpr_dispatch_id 0
		.amdhsa_user_sgpr_kernarg_preload_length 0
		.amdhsa_user_sgpr_kernarg_preload_offset 0
		.amdhsa_user_sgpr_private_segment_size 0
		.amdhsa_uses_dynamic_stack 0
		.amdhsa_enable_private_segment 0
		.amdhsa_system_sgpr_workgroup_id_x 1
		.amdhsa_system_sgpr_workgroup_id_y 0
		.amdhsa_system_sgpr_workgroup_id_z 0
		.amdhsa_system_sgpr_workgroup_info 0
		.amdhsa_system_vgpr_workitem_id 0
		.amdhsa_next_free_vgpr 1
		.amdhsa_next_free_sgpr 0
		.amdhsa_accum_offset 4
		.amdhsa_reserve_vcc 0
		.amdhsa_float_round_mode_32 0
		.amdhsa_float_round_mode_16_64 0
		.amdhsa_float_denorm_mode_32 3
		.amdhsa_float_denorm_mode_16_64 3
		.amdhsa_dx10_clamp 1
		.amdhsa_ieee_mode 1
		.amdhsa_fp16_overflow 0
		.amdhsa_tg_split 0
		.amdhsa_exception_fp_ieee_invalid_op 0
		.amdhsa_exception_fp_denorm_src 0
		.amdhsa_exception_fp_ieee_div_zero 0
		.amdhsa_exception_fp_ieee_overflow 0
		.amdhsa_exception_fp_ieee_underflow 0
		.amdhsa_exception_fp_ieee_inexact 0
		.amdhsa_exception_int_div_zero 0
	.end_amdhsa_kernel
	.section	.text._ZN7rocprim17ROCPRIM_400000_NS6detail17trampoline_kernelINS0_14default_configENS1_38merge_sort_block_merge_config_selectorIlNS0_10empty_typeEEEZZNS1_27merge_sort_block_merge_implIS3_PlPS5_mZN2at6native12_GLOBAL__N_124unique_dim_cuda_templateIiEESt5tupleIJNSA_6TensorESF_SF_EERKSF_lbbbEUlllE_EE10hipError_tT0_T1_T2_jT3_P12ihipStream_tbPNSt15iterator_traitsISL_E10value_typeEPNSR_ISM_E10value_typeEPSN_NS1_7vsmem_tEENKUlT_SL_SM_SN_E_clIS8_S8_S9_S9_EESK_S10_SL_SM_SN_EUlS10_E1_NS1_11comp_targetILNS1_3genE9ELNS1_11target_archE1100ELNS1_3gpuE3ELNS1_3repE0EEENS1_36merge_oddeven_config_static_selectorELNS0_4arch9wavefront6targetE1EEEvSM_,"axG",@progbits,_ZN7rocprim17ROCPRIM_400000_NS6detail17trampoline_kernelINS0_14default_configENS1_38merge_sort_block_merge_config_selectorIlNS0_10empty_typeEEEZZNS1_27merge_sort_block_merge_implIS3_PlPS5_mZN2at6native12_GLOBAL__N_124unique_dim_cuda_templateIiEESt5tupleIJNSA_6TensorESF_SF_EERKSF_lbbbEUlllE_EE10hipError_tT0_T1_T2_jT3_P12ihipStream_tbPNSt15iterator_traitsISL_E10value_typeEPNSR_ISM_E10value_typeEPSN_NS1_7vsmem_tEENKUlT_SL_SM_SN_E_clIS8_S8_S9_S9_EESK_S10_SL_SM_SN_EUlS10_E1_NS1_11comp_targetILNS1_3genE9ELNS1_11target_archE1100ELNS1_3gpuE3ELNS1_3repE0EEENS1_36merge_oddeven_config_static_selectorELNS0_4arch9wavefront6targetE1EEEvSM_,comdat
.Lfunc_end414:
	.size	_ZN7rocprim17ROCPRIM_400000_NS6detail17trampoline_kernelINS0_14default_configENS1_38merge_sort_block_merge_config_selectorIlNS0_10empty_typeEEEZZNS1_27merge_sort_block_merge_implIS3_PlPS5_mZN2at6native12_GLOBAL__N_124unique_dim_cuda_templateIiEESt5tupleIJNSA_6TensorESF_SF_EERKSF_lbbbEUlllE_EE10hipError_tT0_T1_T2_jT3_P12ihipStream_tbPNSt15iterator_traitsISL_E10value_typeEPNSR_ISM_E10value_typeEPSN_NS1_7vsmem_tEENKUlT_SL_SM_SN_E_clIS8_S8_S9_S9_EESK_S10_SL_SM_SN_EUlS10_E1_NS1_11comp_targetILNS1_3genE9ELNS1_11target_archE1100ELNS1_3gpuE3ELNS1_3repE0EEENS1_36merge_oddeven_config_static_selectorELNS0_4arch9wavefront6targetE1EEEvSM_, .Lfunc_end414-_ZN7rocprim17ROCPRIM_400000_NS6detail17trampoline_kernelINS0_14default_configENS1_38merge_sort_block_merge_config_selectorIlNS0_10empty_typeEEEZZNS1_27merge_sort_block_merge_implIS3_PlPS5_mZN2at6native12_GLOBAL__N_124unique_dim_cuda_templateIiEESt5tupleIJNSA_6TensorESF_SF_EERKSF_lbbbEUlllE_EE10hipError_tT0_T1_T2_jT3_P12ihipStream_tbPNSt15iterator_traitsISL_E10value_typeEPNSR_ISM_E10value_typeEPSN_NS1_7vsmem_tEENKUlT_SL_SM_SN_E_clIS8_S8_S9_S9_EESK_S10_SL_SM_SN_EUlS10_E1_NS1_11comp_targetILNS1_3genE9ELNS1_11target_archE1100ELNS1_3gpuE3ELNS1_3repE0EEENS1_36merge_oddeven_config_static_selectorELNS0_4arch9wavefront6targetE1EEEvSM_
                                        ; -- End function
	.set _ZN7rocprim17ROCPRIM_400000_NS6detail17trampoline_kernelINS0_14default_configENS1_38merge_sort_block_merge_config_selectorIlNS0_10empty_typeEEEZZNS1_27merge_sort_block_merge_implIS3_PlPS5_mZN2at6native12_GLOBAL__N_124unique_dim_cuda_templateIiEESt5tupleIJNSA_6TensorESF_SF_EERKSF_lbbbEUlllE_EE10hipError_tT0_T1_T2_jT3_P12ihipStream_tbPNSt15iterator_traitsISL_E10value_typeEPNSR_ISM_E10value_typeEPSN_NS1_7vsmem_tEENKUlT_SL_SM_SN_E_clIS8_S8_S9_S9_EESK_S10_SL_SM_SN_EUlS10_E1_NS1_11comp_targetILNS1_3genE9ELNS1_11target_archE1100ELNS1_3gpuE3ELNS1_3repE0EEENS1_36merge_oddeven_config_static_selectorELNS0_4arch9wavefront6targetE1EEEvSM_.num_vgpr, 0
	.set _ZN7rocprim17ROCPRIM_400000_NS6detail17trampoline_kernelINS0_14default_configENS1_38merge_sort_block_merge_config_selectorIlNS0_10empty_typeEEEZZNS1_27merge_sort_block_merge_implIS3_PlPS5_mZN2at6native12_GLOBAL__N_124unique_dim_cuda_templateIiEESt5tupleIJNSA_6TensorESF_SF_EERKSF_lbbbEUlllE_EE10hipError_tT0_T1_T2_jT3_P12ihipStream_tbPNSt15iterator_traitsISL_E10value_typeEPNSR_ISM_E10value_typeEPSN_NS1_7vsmem_tEENKUlT_SL_SM_SN_E_clIS8_S8_S9_S9_EESK_S10_SL_SM_SN_EUlS10_E1_NS1_11comp_targetILNS1_3genE9ELNS1_11target_archE1100ELNS1_3gpuE3ELNS1_3repE0EEENS1_36merge_oddeven_config_static_selectorELNS0_4arch9wavefront6targetE1EEEvSM_.num_agpr, 0
	.set _ZN7rocprim17ROCPRIM_400000_NS6detail17trampoline_kernelINS0_14default_configENS1_38merge_sort_block_merge_config_selectorIlNS0_10empty_typeEEEZZNS1_27merge_sort_block_merge_implIS3_PlPS5_mZN2at6native12_GLOBAL__N_124unique_dim_cuda_templateIiEESt5tupleIJNSA_6TensorESF_SF_EERKSF_lbbbEUlllE_EE10hipError_tT0_T1_T2_jT3_P12ihipStream_tbPNSt15iterator_traitsISL_E10value_typeEPNSR_ISM_E10value_typeEPSN_NS1_7vsmem_tEENKUlT_SL_SM_SN_E_clIS8_S8_S9_S9_EESK_S10_SL_SM_SN_EUlS10_E1_NS1_11comp_targetILNS1_3genE9ELNS1_11target_archE1100ELNS1_3gpuE3ELNS1_3repE0EEENS1_36merge_oddeven_config_static_selectorELNS0_4arch9wavefront6targetE1EEEvSM_.numbered_sgpr, 0
	.set _ZN7rocprim17ROCPRIM_400000_NS6detail17trampoline_kernelINS0_14default_configENS1_38merge_sort_block_merge_config_selectorIlNS0_10empty_typeEEEZZNS1_27merge_sort_block_merge_implIS3_PlPS5_mZN2at6native12_GLOBAL__N_124unique_dim_cuda_templateIiEESt5tupleIJNSA_6TensorESF_SF_EERKSF_lbbbEUlllE_EE10hipError_tT0_T1_T2_jT3_P12ihipStream_tbPNSt15iterator_traitsISL_E10value_typeEPNSR_ISM_E10value_typeEPSN_NS1_7vsmem_tEENKUlT_SL_SM_SN_E_clIS8_S8_S9_S9_EESK_S10_SL_SM_SN_EUlS10_E1_NS1_11comp_targetILNS1_3genE9ELNS1_11target_archE1100ELNS1_3gpuE3ELNS1_3repE0EEENS1_36merge_oddeven_config_static_selectorELNS0_4arch9wavefront6targetE1EEEvSM_.num_named_barrier, 0
	.set _ZN7rocprim17ROCPRIM_400000_NS6detail17trampoline_kernelINS0_14default_configENS1_38merge_sort_block_merge_config_selectorIlNS0_10empty_typeEEEZZNS1_27merge_sort_block_merge_implIS3_PlPS5_mZN2at6native12_GLOBAL__N_124unique_dim_cuda_templateIiEESt5tupleIJNSA_6TensorESF_SF_EERKSF_lbbbEUlllE_EE10hipError_tT0_T1_T2_jT3_P12ihipStream_tbPNSt15iterator_traitsISL_E10value_typeEPNSR_ISM_E10value_typeEPSN_NS1_7vsmem_tEENKUlT_SL_SM_SN_E_clIS8_S8_S9_S9_EESK_S10_SL_SM_SN_EUlS10_E1_NS1_11comp_targetILNS1_3genE9ELNS1_11target_archE1100ELNS1_3gpuE3ELNS1_3repE0EEENS1_36merge_oddeven_config_static_selectorELNS0_4arch9wavefront6targetE1EEEvSM_.private_seg_size, 0
	.set _ZN7rocprim17ROCPRIM_400000_NS6detail17trampoline_kernelINS0_14default_configENS1_38merge_sort_block_merge_config_selectorIlNS0_10empty_typeEEEZZNS1_27merge_sort_block_merge_implIS3_PlPS5_mZN2at6native12_GLOBAL__N_124unique_dim_cuda_templateIiEESt5tupleIJNSA_6TensorESF_SF_EERKSF_lbbbEUlllE_EE10hipError_tT0_T1_T2_jT3_P12ihipStream_tbPNSt15iterator_traitsISL_E10value_typeEPNSR_ISM_E10value_typeEPSN_NS1_7vsmem_tEENKUlT_SL_SM_SN_E_clIS8_S8_S9_S9_EESK_S10_SL_SM_SN_EUlS10_E1_NS1_11comp_targetILNS1_3genE9ELNS1_11target_archE1100ELNS1_3gpuE3ELNS1_3repE0EEENS1_36merge_oddeven_config_static_selectorELNS0_4arch9wavefront6targetE1EEEvSM_.uses_vcc, 0
	.set _ZN7rocprim17ROCPRIM_400000_NS6detail17trampoline_kernelINS0_14default_configENS1_38merge_sort_block_merge_config_selectorIlNS0_10empty_typeEEEZZNS1_27merge_sort_block_merge_implIS3_PlPS5_mZN2at6native12_GLOBAL__N_124unique_dim_cuda_templateIiEESt5tupleIJNSA_6TensorESF_SF_EERKSF_lbbbEUlllE_EE10hipError_tT0_T1_T2_jT3_P12ihipStream_tbPNSt15iterator_traitsISL_E10value_typeEPNSR_ISM_E10value_typeEPSN_NS1_7vsmem_tEENKUlT_SL_SM_SN_E_clIS8_S8_S9_S9_EESK_S10_SL_SM_SN_EUlS10_E1_NS1_11comp_targetILNS1_3genE9ELNS1_11target_archE1100ELNS1_3gpuE3ELNS1_3repE0EEENS1_36merge_oddeven_config_static_selectorELNS0_4arch9wavefront6targetE1EEEvSM_.uses_flat_scratch, 0
	.set _ZN7rocprim17ROCPRIM_400000_NS6detail17trampoline_kernelINS0_14default_configENS1_38merge_sort_block_merge_config_selectorIlNS0_10empty_typeEEEZZNS1_27merge_sort_block_merge_implIS3_PlPS5_mZN2at6native12_GLOBAL__N_124unique_dim_cuda_templateIiEESt5tupleIJNSA_6TensorESF_SF_EERKSF_lbbbEUlllE_EE10hipError_tT0_T1_T2_jT3_P12ihipStream_tbPNSt15iterator_traitsISL_E10value_typeEPNSR_ISM_E10value_typeEPSN_NS1_7vsmem_tEENKUlT_SL_SM_SN_E_clIS8_S8_S9_S9_EESK_S10_SL_SM_SN_EUlS10_E1_NS1_11comp_targetILNS1_3genE9ELNS1_11target_archE1100ELNS1_3gpuE3ELNS1_3repE0EEENS1_36merge_oddeven_config_static_selectorELNS0_4arch9wavefront6targetE1EEEvSM_.has_dyn_sized_stack, 0
	.set _ZN7rocprim17ROCPRIM_400000_NS6detail17trampoline_kernelINS0_14default_configENS1_38merge_sort_block_merge_config_selectorIlNS0_10empty_typeEEEZZNS1_27merge_sort_block_merge_implIS3_PlPS5_mZN2at6native12_GLOBAL__N_124unique_dim_cuda_templateIiEESt5tupleIJNSA_6TensorESF_SF_EERKSF_lbbbEUlllE_EE10hipError_tT0_T1_T2_jT3_P12ihipStream_tbPNSt15iterator_traitsISL_E10value_typeEPNSR_ISM_E10value_typeEPSN_NS1_7vsmem_tEENKUlT_SL_SM_SN_E_clIS8_S8_S9_S9_EESK_S10_SL_SM_SN_EUlS10_E1_NS1_11comp_targetILNS1_3genE9ELNS1_11target_archE1100ELNS1_3gpuE3ELNS1_3repE0EEENS1_36merge_oddeven_config_static_selectorELNS0_4arch9wavefront6targetE1EEEvSM_.has_recursion, 0
	.set _ZN7rocprim17ROCPRIM_400000_NS6detail17trampoline_kernelINS0_14default_configENS1_38merge_sort_block_merge_config_selectorIlNS0_10empty_typeEEEZZNS1_27merge_sort_block_merge_implIS3_PlPS5_mZN2at6native12_GLOBAL__N_124unique_dim_cuda_templateIiEESt5tupleIJNSA_6TensorESF_SF_EERKSF_lbbbEUlllE_EE10hipError_tT0_T1_T2_jT3_P12ihipStream_tbPNSt15iterator_traitsISL_E10value_typeEPNSR_ISM_E10value_typeEPSN_NS1_7vsmem_tEENKUlT_SL_SM_SN_E_clIS8_S8_S9_S9_EESK_S10_SL_SM_SN_EUlS10_E1_NS1_11comp_targetILNS1_3genE9ELNS1_11target_archE1100ELNS1_3gpuE3ELNS1_3repE0EEENS1_36merge_oddeven_config_static_selectorELNS0_4arch9wavefront6targetE1EEEvSM_.has_indirect_call, 0
	.section	.AMDGPU.csdata,"",@progbits
; Kernel info:
; codeLenInByte = 0
; TotalNumSgprs: 6
; NumVgprs: 0
; NumAgprs: 0
; TotalNumVgprs: 0
; ScratchSize: 0
; MemoryBound: 0
; FloatMode: 240
; IeeeMode: 1
; LDSByteSize: 0 bytes/workgroup (compile time only)
; SGPRBlocks: 0
; VGPRBlocks: 0
; NumSGPRsForWavesPerEU: 6
; NumVGPRsForWavesPerEU: 1
; AccumOffset: 4
; Occupancy: 8
; WaveLimiterHint : 0
; COMPUTE_PGM_RSRC2:SCRATCH_EN: 0
; COMPUTE_PGM_RSRC2:USER_SGPR: 2
; COMPUTE_PGM_RSRC2:TRAP_HANDLER: 0
; COMPUTE_PGM_RSRC2:TGID_X_EN: 1
; COMPUTE_PGM_RSRC2:TGID_Y_EN: 0
; COMPUTE_PGM_RSRC2:TGID_Z_EN: 0
; COMPUTE_PGM_RSRC2:TIDIG_COMP_CNT: 0
; COMPUTE_PGM_RSRC3_GFX90A:ACCUM_OFFSET: 0
; COMPUTE_PGM_RSRC3_GFX90A:TG_SPLIT: 0
	.section	.text._ZN7rocprim17ROCPRIM_400000_NS6detail17trampoline_kernelINS0_14default_configENS1_38merge_sort_block_merge_config_selectorIlNS0_10empty_typeEEEZZNS1_27merge_sort_block_merge_implIS3_PlPS5_mZN2at6native12_GLOBAL__N_124unique_dim_cuda_templateIiEESt5tupleIJNSA_6TensorESF_SF_EERKSF_lbbbEUlllE_EE10hipError_tT0_T1_T2_jT3_P12ihipStream_tbPNSt15iterator_traitsISL_E10value_typeEPNSR_ISM_E10value_typeEPSN_NS1_7vsmem_tEENKUlT_SL_SM_SN_E_clIS8_S8_S9_S9_EESK_S10_SL_SM_SN_EUlS10_E1_NS1_11comp_targetILNS1_3genE8ELNS1_11target_archE1030ELNS1_3gpuE2ELNS1_3repE0EEENS1_36merge_oddeven_config_static_selectorELNS0_4arch9wavefront6targetE1EEEvSM_,"axG",@progbits,_ZN7rocprim17ROCPRIM_400000_NS6detail17trampoline_kernelINS0_14default_configENS1_38merge_sort_block_merge_config_selectorIlNS0_10empty_typeEEEZZNS1_27merge_sort_block_merge_implIS3_PlPS5_mZN2at6native12_GLOBAL__N_124unique_dim_cuda_templateIiEESt5tupleIJNSA_6TensorESF_SF_EERKSF_lbbbEUlllE_EE10hipError_tT0_T1_T2_jT3_P12ihipStream_tbPNSt15iterator_traitsISL_E10value_typeEPNSR_ISM_E10value_typeEPSN_NS1_7vsmem_tEENKUlT_SL_SM_SN_E_clIS8_S8_S9_S9_EESK_S10_SL_SM_SN_EUlS10_E1_NS1_11comp_targetILNS1_3genE8ELNS1_11target_archE1030ELNS1_3gpuE2ELNS1_3repE0EEENS1_36merge_oddeven_config_static_selectorELNS0_4arch9wavefront6targetE1EEEvSM_,comdat
	.globl	_ZN7rocprim17ROCPRIM_400000_NS6detail17trampoline_kernelINS0_14default_configENS1_38merge_sort_block_merge_config_selectorIlNS0_10empty_typeEEEZZNS1_27merge_sort_block_merge_implIS3_PlPS5_mZN2at6native12_GLOBAL__N_124unique_dim_cuda_templateIiEESt5tupleIJNSA_6TensorESF_SF_EERKSF_lbbbEUlllE_EE10hipError_tT0_T1_T2_jT3_P12ihipStream_tbPNSt15iterator_traitsISL_E10value_typeEPNSR_ISM_E10value_typeEPSN_NS1_7vsmem_tEENKUlT_SL_SM_SN_E_clIS8_S8_S9_S9_EESK_S10_SL_SM_SN_EUlS10_E1_NS1_11comp_targetILNS1_3genE8ELNS1_11target_archE1030ELNS1_3gpuE2ELNS1_3repE0EEENS1_36merge_oddeven_config_static_selectorELNS0_4arch9wavefront6targetE1EEEvSM_ ; -- Begin function _ZN7rocprim17ROCPRIM_400000_NS6detail17trampoline_kernelINS0_14default_configENS1_38merge_sort_block_merge_config_selectorIlNS0_10empty_typeEEEZZNS1_27merge_sort_block_merge_implIS3_PlPS5_mZN2at6native12_GLOBAL__N_124unique_dim_cuda_templateIiEESt5tupleIJNSA_6TensorESF_SF_EERKSF_lbbbEUlllE_EE10hipError_tT0_T1_T2_jT3_P12ihipStream_tbPNSt15iterator_traitsISL_E10value_typeEPNSR_ISM_E10value_typeEPSN_NS1_7vsmem_tEENKUlT_SL_SM_SN_E_clIS8_S8_S9_S9_EESK_S10_SL_SM_SN_EUlS10_E1_NS1_11comp_targetILNS1_3genE8ELNS1_11target_archE1030ELNS1_3gpuE2ELNS1_3repE0EEENS1_36merge_oddeven_config_static_selectorELNS0_4arch9wavefront6targetE1EEEvSM_
	.p2align	8
	.type	_ZN7rocprim17ROCPRIM_400000_NS6detail17trampoline_kernelINS0_14default_configENS1_38merge_sort_block_merge_config_selectorIlNS0_10empty_typeEEEZZNS1_27merge_sort_block_merge_implIS3_PlPS5_mZN2at6native12_GLOBAL__N_124unique_dim_cuda_templateIiEESt5tupleIJNSA_6TensorESF_SF_EERKSF_lbbbEUlllE_EE10hipError_tT0_T1_T2_jT3_P12ihipStream_tbPNSt15iterator_traitsISL_E10value_typeEPNSR_ISM_E10value_typeEPSN_NS1_7vsmem_tEENKUlT_SL_SM_SN_E_clIS8_S8_S9_S9_EESK_S10_SL_SM_SN_EUlS10_E1_NS1_11comp_targetILNS1_3genE8ELNS1_11target_archE1030ELNS1_3gpuE2ELNS1_3repE0EEENS1_36merge_oddeven_config_static_selectorELNS0_4arch9wavefront6targetE1EEEvSM_,@function
_ZN7rocprim17ROCPRIM_400000_NS6detail17trampoline_kernelINS0_14default_configENS1_38merge_sort_block_merge_config_selectorIlNS0_10empty_typeEEEZZNS1_27merge_sort_block_merge_implIS3_PlPS5_mZN2at6native12_GLOBAL__N_124unique_dim_cuda_templateIiEESt5tupleIJNSA_6TensorESF_SF_EERKSF_lbbbEUlllE_EE10hipError_tT0_T1_T2_jT3_P12ihipStream_tbPNSt15iterator_traitsISL_E10value_typeEPNSR_ISM_E10value_typeEPSN_NS1_7vsmem_tEENKUlT_SL_SM_SN_E_clIS8_S8_S9_S9_EESK_S10_SL_SM_SN_EUlS10_E1_NS1_11comp_targetILNS1_3genE8ELNS1_11target_archE1030ELNS1_3gpuE2ELNS1_3repE0EEENS1_36merge_oddeven_config_static_selectorELNS0_4arch9wavefront6targetE1EEEvSM_: ; @_ZN7rocprim17ROCPRIM_400000_NS6detail17trampoline_kernelINS0_14default_configENS1_38merge_sort_block_merge_config_selectorIlNS0_10empty_typeEEEZZNS1_27merge_sort_block_merge_implIS3_PlPS5_mZN2at6native12_GLOBAL__N_124unique_dim_cuda_templateIiEESt5tupleIJNSA_6TensorESF_SF_EERKSF_lbbbEUlllE_EE10hipError_tT0_T1_T2_jT3_P12ihipStream_tbPNSt15iterator_traitsISL_E10value_typeEPNSR_ISM_E10value_typeEPSN_NS1_7vsmem_tEENKUlT_SL_SM_SN_E_clIS8_S8_S9_S9_EESK_S10_SL_SM_SN_EUlS10_E1_NS1_11comp_targetILNS1_3genE8ELNS1_11target_archE1030ELNS1_3gpuE2ELNS1_3repE0EEENS1_36merge_oddeven_config_static_selectorELNS0_4arch9wavefront6targetE1EEEvSM_
; %bb.0:
	.section	.rodata,"a",@progbits
	.p2align	6, 0x0
	.amdhsa_kernel _ZN7rocprim17ROCPRIM_400000_NS6detail17trampoline_kernelINS0_14default_configENS1_38merge_sort_block_merge_config_selectorIlNS0_10empty_typeEEEZZNS1_27merge_sort_block_merge_implIS3_PlPS5_mZN2at6native12_GLOBAL__N_124unique_dim_cuda_templateIiEESt5tupleIJNSA_6TensorESF_SF_EERKSF_lbbbEUlllE_EE10hipError_tT0_T1_T2_jT3_P12ihipStream_tbPNSt15iterator_traitsISL_E10value_typeEPNSR_ISM_E10value_typeEPSN_NS1_7vsmem_tEENKUlT_SL_SM_SN_E_clIS8_S8_S9_S9_EESK_S10_SL_SM_SN_EUlS10_E1_NS1_11comp_targetILNS1_3genE8ELNS1_11target_archE1030ELNS1_3gpuE2ELNS1_3repE0EEENS1_36merge_oddeven_config_static_selectorELNS0_4arch9wavefront6targetE1EEEvSM_
		.amdhsa_group_segment_fixed_size 0
		.amdhsa_private_segment_fixed_size 0
		.amdhsa_kernarg_size 64
		.amdhsa_user_sgpr_count 2
		.amdhsa_user_sgpr_dispatch_ptr 0
		.amdhsa_user_sgpr_queue_ptr 0
		.amdhsa_user_sgpr_kernarg_segment_ptr 1
		.amdhsa_user_sgpr_dispatch_id 0
		.amdhsa_user_sgpr_kernarg_preload_length 0
		.amdhsa_user_sgpr_kernarg_preload_offset 0
		.amdhsa_user_sgpr_private_segment_size 0
		.amdhsa_uses_dynamic_stack 0
		.amdhsa_enable_private_segment 0
		.amdhsa_system_sgpr_workgroup_id_x 1
		.amdhsa_system_sgpr_workgroup_id_y 0
		.amdhsa_system_sgpr_workgroup_id_z 0
		.amdhsa_system_sgpr_workgroup_info 0
		.amdhsa_system_vgpr_workitem_id 0
		.amdhsa_next_free_vgpr 1
		.amdhsa_next_free_sgpr 0
		.amdhsa_accum_offset 4
		.amdhsa_reserve_vcc 0
		.amdhsa_float_round_mode_32 0
		.amdhsa_float_round_mode_16_64 0
		.amdhsa_float_denorm_mode_32 3
		.amdhsa_float_denorm_mode_16_64 3
		.amdhsa_dx10_clamp 1
		.amdhsa_ieee_mode 1
		.amdhsa_fp16_overflow 0
		.amdhsa_tg_split 0
		.amdhsa_exception_fp_ieee_invalid_op 0
		.amdhsa_exception_fp_denorm_src 0
		.amdhsa_exception_fp_ieee_div_zero 0
		.amdhsa_exception_fp_ieee_overflow 0
		.amdhsa_exception_fp_ieee_underflow 0
		.amdhsa_exception_fp_ieee_inexact 0
		.amdhsa_exception_int_div_zero 0
	.end_amdhsa_kernel
	.section	.text._ZN7rocprim17ROCPRIM_400000_NS6detail17trampoline_kernelINS0_14default_configENS1_38merge_sort_block_merge_config_selectorIlNS0_10empty_typeEEEZZNS1_27merge_sort_block_merge_implIS3_PlPS5_mZN2at6native12_GLOBAL__N_124unique_dim_cuda_templateIiEESt5tupleIJNSA_6TensorESF_SF_EERKSF_lbbbEUlllE_EE10hipError_tT0_T1_T2_jT3_P12ihipStream_tbPNSt15iterator_traitsISL_E10value_typeEPNSR_ISM_E10value_typeEPSN_NS1_7vsmem_tEENKUlT_SL_SM_SN_E_clIS8_S8_S9_S9_EESK_S10_SL_SM_SN_EUlS10_E1_NS1_11comp_targetILNS1_3genE8ELNS1_11target_archE1030ELNS1_3gpuE2ELNS1_3repE0EEENS1_36merge_oddeven_config_static_selectorELNS0_4arch9wavefront6targetE1EEEvSM_,"axG",@progbits,_ZN7rocprim17ROCPRIM_400000_NS6detail17trampoline_kernelINS0_14default_configENS1_38merge_sort_block_merge_config_selectorIlNS0_10empty_typeEEEZZNS1_27merge_sort_block_merge_implIS3_PlPS5_mZN2at6native12_GLOBAL__N_124unique_dim_cuda_templateIiEESt5tupleIJNSA_6TensorESF_SF_EERKSF_lbbbEUlllE_EE10hipError_tT0_T1_T2_jT3_P12ihipStream_tbPNSt15iterator_traitsISL_E10value_typeEPNSR_ISM_E10value_typeEPSN_NS1_7vsmem_tEENKUlT_SL_SM_SN_E_clIS8_S8_S9_S9_EESK_S10_SL_SM_SN_EUlS10_E1_NS1_11comp_targetILNS1_3genE8ELNS1_11target_archE1030ELNS1_3gpuE2ELNS1_3repE0EEENS1_36merge_oddeven_config_static_selectorELNS0_4arch9wavefront6targetE1EEEvSM_,comdat
.Lfunc_end415:
	.size	_ZN7rocprim17ROCPRIM_400000_NS6detail17trampoline_kernelINS0_14default_configENS1_38merge_sort_block_merge_config_selectorIlNS0_10empty_typeEEEZZNS1_27merge_sort_block_merge_implIS3_PlPS5_mZN2at6native12_GLOBAL__N_124unique_dim_cuda_templateIiEESt5tupleIJNSA_6TensorESF_SF_EERKSF_lbbbEUlllE_EE10hipError_tT0_T1_T2_jT3_P12ihipStream_tbPNSt15iterator_traitsISL_E10value_typeEPNSR_ISM_E10value_typeEPSN_NS1_7vsmem_tEENKUlT_SL_SM_SN_E_clIS8_S8_S9_S9_EESK_S10_SL_SM_SN_EUlS10_E1_NS1_11comp_targetILNS1_3genE8ELNS1_11target_archE1030ELNS1_3gpuE2ELNS1_3repE0EEENS1_36merge_oddeven_config_static_selectorELNS0_4arch9wavefront6targetE1EEEvSM_, .Lfunc_end415-_ZN7rocprim17ROCPRIM_400000_NS6detail17trampoline_kernelINS0_14default_configENS1_38merge_sort_block_merge_config_selectorIlNS0_10empty_typeEEEZZNS1_27merge_sort_block_merge_implIS3_PlPS5_mZN2at6native12_GLOBAL__N_124unique_dim_cuda_templateIiEESt5tupleIJNSA_6TensorESF_SF_EERKSF_lbbbEUlllE_EE10hipError_tT0_T1_T2_jT3_P12ihipStream_tbPNSt15iterator_traitsISL_E10value_typeEPNSR_ISM_E10value_typeEPSN_NS1_7vsmem_tEENKUlT_SL_SM_SN_E_clIS8_S8_S9_S9_EESK_S10_SL_SM_SN_EUlS10_E1_NS1_11comp_targetILNS1_3genE8ELNS1_11target_archE1030ELNS1_3gpuE2ELNS1_3repE0EEENS1_36merge_oddeven_config_static_selectorELNS0_4arch9wavefront6targetE1EEEvSM_
                                        ; -- End function
	.set _ZN7rocprim17ROCPRIM_400000_NS6detail17trampoline_kernelINS0_14default_configENS1_38merge_sort_block_merge_config_selectorIlNS0_10empty_typeEEEZZNS1_27merge_sort_block_merge_implIS3_PlPS5_mZN2at6native12_GLOBAL__N_124unique_dim_cuda_templateIiEESt5tupleIJNSA_6TensorESF_SF_EERKSF_lbbbEUlllE_EE10hipError_tT0_T1_T2_jT3_P12ihipStream_tbPNSt15iterator_traitsISL_E10value_typeEPNSR_ISM_E10value_typeEPSN_NS1_7vsmem_tEENKUlT_SL_SM_SN_E_clIS8_S8_S9_S9_EESK_S10_SL_SM_SN_EUlS10_E1_NS1_11comp_targetILNS1_3genE8ELNS1_11target_archE1030ELNS1_3gpuE2ELNS1_3repE0EEENS1_36merge_oddeven_config_static_selectorELNS0_4arch9wavefront6targetE1EEEvSM_.num_vgpr, 0
	.set _ZN7rocprim17ROCPRIM_400000_NS6detail17trampoline_kernelINS0_14default_configENS1_38merge_sort_block_merge_config_selectorIlNS0_10empty_typeEEEZZNS1_27merge_sort_block_merge_implIS3_PlPS5_mZN2at6native12_GLOBAL__N_124unique_dim_cuda_templateIiEESt5tupleIJNSA_6TensorESF_SF_EERKSF_lbbbEUlllE_EE10hipError_tT0_T1_T2_jT3_P12ihipStream_tbPNSt15iterator_traitsISL_E10value_typeEPNSR_ISM_E10value_typeEPSN_NS1_7vsmem_tEENKUlT_SL_SM_SN_E_clIS8_S8_S9_S9_EESK_S10_SL_SM_SN_EUlS10_E1_NS1_11comp_targetILNS1_3genE8ELNS1_11target_archE1030ELNS1_3gpuE2ELNS1_3repE0EEENS1_36merge_oddeven_config_static_selectorELNS0_4arch9wavefront6targetE1EEEvSM_.num_agpr, 0
	.set _ZN7rocprim17ROCPRIM_400000_NS6detail17trampoline_kernelINS0_14default_configENS1_38merge_sort_block_merge_config_selectorIlNS0_10empty_typeEEEZZNS1_27merge_sort_block_merge_implIS3_PlPS5_mZN2at6native12_GLOBAL__N_124unique_dim_cuda_templateIiEESt5tupleIJNSA_6TensorESF_SF_EERKSF_lbbbEUlllE_EE10hipError_tT0_T1_T2_jT3_P12ihipStream_tbPNSt15iterator_traitsISL_E10value_typeEPNSR_ISM_E10value_typeEPSN_NS1_7vsmem_tEENKUlT_SL_SM_SN_E_clIS8_S8_S9_S9_EESK_S10_SL_SM_SN_EUlS10_E1_NS1_11comp_targetILNS1_3genE8ELNS1_11target_archE1030ELNS1_3gpuE2ELNS1_3repE0EEENS1_36merge_oddeven_config_static_selectorELNS0_4arch9wavefront6targetE1EEEvSM_.numbered_sgpr, 0
	.set _ZN7rocprim17ROCPRIM_400000_NS6detail17trampoline_kernelINS0_14default_configENS1_38merge_sort_block_merge_config_selectorIlNS0_10empty_typeEEEZZNS1_27merge_sort_block_merge_implIS3_PlPS5_mZN2at6native12_GLOBAL__N_124unique_dim_cuda_templateIiEESt5tupleIJNSA_6TensorESF_SF_EERKSF_lbbbEUlllE_EE10hipError_tT0_T1_T2_jT3_P12ihipStream_tbPNSt15iterator_traitsISL_E10value_typeEPNSR_ISM_E10value_typeEPSN_NS1_7vsmem_tEENKUlT_SL_SM_SN_E_clIS8_S8_S9_S9_EESK_S10_SL_SM_SN_EUlS10_E1_NS1_11comp_targetILNS1_3genE8ELNS1_11target_archE1030ELNS1_3gpuE2ELNS1_3repE0EEENS1_36merge_oddeven_config_static_selectorELNS0_4arch9wavefront6targetE1EEEvSM_.num_named_barrier, 0
	.set _ZN7rocprim17ROCPRIM_400000_NS6detail17trampoline_kernelINS0_14default_configENS1_38merge_sort_block_merge_config_selectorIlNS0_10empty_typeEEEZZNS1_27merge_sort_block_merge_implIS3_PlPS5_mZN2at6native12_GLOBAL__N_124unique_dim_cuda_templateIiEESt5tupleIJNSA_6TensorESF_SF_EERKSF_lbbbEUlllE_EE10hipError_tT0_T1_T2_jT3_P12ihipStream_tbPNSt15iterator_traitsISL_E10value_typeEPNSR_ISM_E10value_typeEPSN_NS1_7vsmem_tEENKUlT_SL_SM_SN_E_clIS8_S8_S9_S9_EESK_S10_SL_SM_SN_EUlS10_E1_NS1_11comp_targetILNS1_3genE8ELNS1_11target_archE1030ELNS1_3gpuE2ELNS1_3repE0EEENS1_36merge_oddeven_config_static_selectorELNS0_4arch9wavefront6targetE1EEEvSM_.private_seg_size, 0
	.set _ZN7rocprim17ROCPRIM_400000_NS6detail17trampoline_kernelINS0_14default_configENS1_38merge_sort_block_merge_config_selectorIlNS0_10empty_typeEEEZZNS1_27merge_sort_block_merge_implIS3_PlPS5_mZN2at6native12_GLOBAL__N_124unique_dim_cuda_templateIiEESt5tupleIJNSA_6TensorESF_SF_EERKSF_lbbbEUlllE_EE10hipError_tT0_T1_T2_jT3_P12ihipStream_tbPNSt15iterator_traitsISL_E10value_typeEPNSR_ISM_E10value_typeEPSN_NS1_7vsmem_tEENKUlT_SL_SM_SN_E_clIS8_S8_S9_S9_EESK_S10_SL_SM_SN_EUlS10_E1_NS1_11comp_targetILNS1_3genE8ELNS1_11target_archE1030ELNS1_3gpuE2ELNS1_3repE0EEENS1_36merge_oddeven_config_static_selectorELNS0_4arch9wavefront6targetE1EEEvSM_.uses_vcc, 0
	.set _ZN7rocprim17ROCPRIM_400000_NS6detail17trampoline_kernelINS0_14default_configENS1_38merge_sort_block_merge_config_selectorIlNS0_10empty_typeEEEZZNS1_27merge_sort_block_merge_implIS3_PlPS5_mZN2at6native12_GLOBAL__N_124unique_dim_cuda_templateIiEESt5tupleIJNSA_6TensorESF_SF_EERKSF_lbbbEUlllE_EE10hipError_tT0_T1_T2_jT3_P12ihipStream_tbPNSt15iterator_traitsISL_E10value_typeEPNSR_ISM_E10value_typeEPSN_NS1_7vsmem_tEENKUlT_SL_SM_SN_E_clIS8_S8_S9_S9_EESK_S10_SL_SM_SN_EUlS10_E1_NS1_11comp_targetILNS1_3genE8ELNS1_11target_archE1030ELNS1_3gpuE2ELNS1_3repE0EEENS1_36merge_oddeven_config_static_selectorELNS0_4arch9wavefront6targetE1EEEvSM_.uses_flat_scratch, 0
	.set _ZN7rocprim17ROCPRIM_400000_NS6detail17trampoline_kernelINS0_14default_configENS1_38merge_sort_block_merge_config_selectorIlNS0_10empty_typeEEEZZNS1_27merge_sort_block_merge_implIS3_PlPS5_mZN2at6native12_GLOBAL__N_124unique_dim_cuda_templateIiEESt5tupleIJNSA_6TensorESF_SF_EERKSF_lbbbEUlllE_EE10hipError_tT0_T1_T2_jT3_P12ihipStream_tbPNSt15iterator_traitsISL_E10value_typeEPNSR_ISM_E10value_typeEPSN_NS1_7vsmem_tEENKUlT_SL_SM_SN_E_clIS8_S8_S9_S9_EESK_S10_SL_SM_SN_EUlS10_E1_NS1_11comp_targetILNS1_3genE8ELNS1_11target_archE1030ELNS1_3gpuE2ELNS1_3repE0EEENS1_36merge_oddeven_config_static_selectorELNS0_4arch9wavefront6targetE1EEEvSM_.has_dyn_sized_stack, 0
	.set _ZN7rocprim17ROCPRIM_400000_NS6detail17trampoline_kernelINS0_14default_configENS1_38merge_sort_block_merge_config_selectorIlNS0_10empty_typeEEEZZNS1_27merge_sort_block_merge_implIS3_PlPS5_mZN2at6native12_GLOBAL__N_124unique_dim_cuda_templateIiEESt5tupleIJNSA_6TensorESF_SF_EERKSF_lbbbEUlllE_EE10hipError_tT0_T1_T2_jT3_P12ihipStream_tbPNSt15iterator_traitsISL_E10value_typeEPNSR_ISM_E10value_typeEPSN_NS1_7vsmem_tEENKUlT_SL_SM_SN_E_clIS8_S8_S9_S9_EESK_S10_SL_SM_SN_EUlS10_E1_NS1_11comp_targetILNS1_3genE8ELNS1_11target_archE1030ELNS1_3gpuE2ELNS1_3repE0EEENS1_36merge_oddeven_config_static_selectorELNS0_4arch9wavefront6targetE1EEEvSM_.has_recursion, 0
	.set _ZN7rocprim17ROCPRIM_400000_NS6detail17trampoline_kernelINS0_14default_configENS1_38merge_sort_block_merge_config_selectorIlNS0_10empty_typeEEEZZNS1_27merge_sort_block_merge_implIS3_PlPS5_mZN2at6native12_GLOBAL__N_124unique_dim_cuda_templateIiEESt5tupleIJNSA_6TensorESF_SF_EERKSF_lbbbEUlllE_EE10hipError_tT0_T1_T2_jT3_P12ihipStream_tbPNSt15iterator_traitsISL_E10value_typeEPNSR_ISM_E10value_typeEPSN_NS1_7vsmem_tEENKUlT_SL_SM_SN_E_clIS8_S8_S9_S9_EESK_S10_SL_SM_SN_EUlS10_E1_NS1_11comp_targetILNS1_3genE8ELNS1_11target_archE1030ELNS1_3gpuE2ELNS1_3repE0EEENS1_36merge_oddeven_config_static_selectorELNS0_4arch9wavefront6targetE1EEEvSM_.has_indirect_call, 0
	.section	.AMDGPU.csdata,"",@progbits
; Kernel info:
; codeLenInByte = 0
; TotalNumSgprs: 6
; NumVgprs: 0
; NumAgprs: 0
; TotalNumVgprs: 0
; ScratchSize: 0
; MemoryBound: 0
; FloatMode: 240
; IeeeMode: 1
; LDSByteSize: 0 bytes/workgroup (compile time only)
; SGPRBlocks: 0
; VGPRBlocks: 0
; NumSGPRsForWavesPerEU: 6
; NumVGPRsForWavesPerEU: 1
; AccumOffset: 4
; Occupancy: 8
; WaveLimiterHint : 0
; COMPUTE_PGM_RSRC2:SCRATCH_EN: 0
; COMPUTE_PGM_RSRC2:USER_SGPR: 2
; COMPUTE_PGM_RSRC2:TRAP_HANDLER: 0
; COMPUTE_PGM_RSRC2:TGID_X_EN: 1
; COMPUTE_PGM_RSRC2:TGID_Y_EN: 0
; COMPUTE_PGM_RSRC2:TGID_Z_EN: 0
; COMPUTE_PGM_RSRC2:TIDIG_COMP_CNT: 0
; COMPUTE_PGM_RSRC3_GFX90A:ACCUM_OFFSET: 0
; COMPUTE_PGM_RSRC3_GFX90A:TG_SPLIT: 0
	.section	.text._ZN7rocprim17ROCPRIM_400000_NS6detail17trampoline_kernelINS0_14default_configENS1_35adjacent_difference_config_selectorILb0ElEEZNS1_24adjacent_difference_implIS3_Lb0ELb0EPlS7_ZN2at6native12_GLOBAL__N_124unique_dim_cuda_templateIiEESt5tupleIJNS8_6TensorESD_SD_EERKSD_lbbbEUlllE1_EE10hipError_tPvRmT2_T3_mT4_P12ihipStream_tbEUlT_E_NS1_11comp_targetILNS1_3genE0ELNS1_11target_archE4294967295ELNS1_3gpuE0ELNS1_3repE0EEENS1_30default_config_static_selectorELNS0_4arch9wavefront6targetE1EEEvT1_,"axG",@progbits,_ZN7rocprim17ROCPRIM_400000_NS6detail17trampoline_kernelINS0_14default_configENS1_35adjacent_difference_config_selectorILb0ElEEZNS1_24adjacent_difference_implIS3_Lb0ELb0EPlS7_ZN2at6native12_GLOBAL__N_124unique_dim_cuda_templateIiEESt5tupleIJNS8_6TensorESD_SD_EERKSD_lbbbEUlllE1_EE10hipError_tPvRmT2_T3_mT4_P12ihipStream_tbEUlT_E_NS1_11comp_targetILNS1_3genE0ELNS1_11target_archE4294967295ELNS1_3gpuE0ELNS1_3repE0EEENS1_30default_config_static_selectorELNS0_4arch9wavefront6targetE1EEEvT1_,comdat
	.globl	_ZN7rocprim17ROCPRIM_400000_NS6detail17trampoline_kernelINS0_14default_configENS1_35adjacent_difference_config_selectorILb0ElEEZNS1_24adjacent_difference_implIS3_Lb0ELb0EPlS7_ZN2at6native12_GLOBAL__N_124unique_dim_cuda_templateIiEESt5tupleIJNS8_6TensorESD_SD_EERKSD_lbbbEUlllE1_EE10hipError_tPvRmT2_T3_mT4_P12ihipStream_tbEUlT_E_NS1_11comp_targetILNS1_3genE0ELNS1_11target_archE4294967295ELNS1_3gpuE0ELNS1_3repE0EEENS1_30default_config_static_selectorELNS0_4arch9wavefront6targetE1EEEvT1_ ; -- Begin function _ZN7rocprim17ROCPRIM_400000_NS6detail17trampoline_kernelINS0_14default_configENS1_35adjacent_difference_config_selectorILb0ElEEZNS1_24adjacent_difference_implIS3_Lb0ELb0EPlS7_ZN2at6native12_GLOBAL__N_124unique_dim_cuda_templateIiEESt5tupleIJNS8_6TensorESD_SD_EERKSD_lbbbEUlllE1_EE10hipError_tPvRmT2_T3_mT4_P12ihipStream_tbEUlT_E_NS1_11comp_targetILNS1_3genE0ELNS1_11target_archE4294967295ELNS1_3gpuE0ELNS1_3repE0EEENS1_30default_config_static_selectorELNS0_4arch9wavefront6targetE1EEEvT1_
	.p2align	8
	.type	_ZN7rocprim17ROCPRIM_400000_NS6detail17trampoline_kernelINS0_14default_configENS1_35adjacent_difference_config_selectorILb0ElEEZNS1_24adjacent_difference_implIS3_Lb0ELb0EPlS7_ZN2at6native12_GLOBAL__N_124unique_dim_cuda_templateIiEESt5tupleIJNS8_6TensorESD_SD_EERKSD_lbbbEUlllE1_EE10hipError_tPvRmT2_T3_mT4_P12ihipStream_tbEUlT_E_NS1_11comp_targetILNS1_3genE0ELNS1_11target_archE4294967295ELNS1_3gpuE0ELNS1_3repE0EEENS1_30default_config_static_selectorELNS0_4arch9wavefront6targetE1EEEvT1_,@function
_ZN7rocprim17ROCPRIM_400000_NS6detail17trampoline_kernelINS0_14default_configENS1_35adjacent_difference_config_selectorILb0ElEEZNS1_24adjacent_difference_implIS3_Lb0ELb0EPlS7_ZN2at6native12_GLOBAL__N_124unique_dim_cuda_templateIiEESt5tupleIJNS8_6TensorESD_SD_EERKSD_lbbbEUlllE1_EE10hipError_tPvRmT2_T3_mT4_P12ihipStream_tbEUlT_E_NS1_11comp_targetILNS1_3genE0ELNS1_11target_archE4294967295ELNS1_3gpuE0ELNS1_3repE0EEENS1_30default_config_static_selectorELNS0_4arch9wavefront6targetE1EEEvT1_: ; @_ZN7rocprim17ROCPRIM_400000_NS6detail17trampoline_kernelINS0_14default_configENS1_35adjacent_difference_config_selectorILb0ElEEZNS1_24adjacent_difference_implIS3_Lb0ELb0EPlS7_ZN2at6native12_GLOBAL__N_124unique_dim_cuda_templateIiEESt5tupleIJNS8_6TensorESD_SD_EERKSD_lbbbEUlllE1_EE10hipError_tPvRmT2_T3_mT4_P12ihipStream_tbEUlT_E_NS1_11comp_targetILNS1_3genE0ELNS1_11target_archE4294967295ELNS1_3gpuE0ELNS1_3repE0EEENS1_30default_config_static_selectorELNS0_4arch9wavefront6targetE1EEEvT1_
; %bb.0:
	s_load_dwordx8 s[4:11], s[0:1], 0x0
	s_load_dwordx4 s[12:15], s[0:1], 0x20
	s_load_dwordx2 s[16:17], s[0:1], 0x38
	s_mov_b32 s19, 0
	s_mov_b64 s[20:21], -1
	s_waitcnt lgkmcnt(0)
	s_lshl_b64 s[6:7], s[6:7], 3
	s_add_u32 s22, s4, s6
	s_addc_u32 s23, s5, s7
	s_lshl_b32 s4, s2, 7
	s_lshr_b64 s[0:1], s[10:11], 7
	s_and_b32 s18, s10, 0x7f
	s_cmp_lg_u64 s[18:19], 0
	s_cselect_b64 s[18:19], -1, 0
	v_cndmask_b32_e64 v1, 0, 1, s[18:19]
	s_nop 0
	v_readfirstlane_b32 s3, v1
	s_add_u32 s18, s0, s3
	s_addc_u32 s19, s1, 0
	s_add_u32 s2, s16, s2
	s_addc_u32 s3, s17, 0
	s_add_u32 s16, s18, -1
	s_addc_u32 s17, s19, -1
	v_mov_b64_e32 v[2:3], s[16:17]
	v_cmp_ge_u64_e64 s[0:1], s[2:3], v[2:3]
	s_and_b64 vcc, exec, s[0:1]
                                        ; implicit-def: $vgpr1
	s_cbranch_vccz .LBB416_4
; %bb.1:
	s_lshl_b32 s5, s16, 7
	s_sub_i32 s5, s10, s5
	v_cmp_gt_u32_e32 vcc, s5, v0
                                        ; implicit-def: $vgpr2_vgpr3
	s_and_saveexec_b64 s[20:21], vcc
	s_cbranch_execz .LBB416_3
; %bb.2:
	s_mov_b32 s5, 0
	s_lshl_b64 s[24:25], s[4:5], 3
	s_add_u32 s24, s22, s24
	s_addc_u32 s25, s23, s25
	v_lshlrev_b32_e32 v1, 3, v0
	global_load_dwordx2 v[2:3], v1, s[24:25]
.LBB416_3:
	s_or_b64 exec, exec, s[20:21]
	v_lshlrev_b32_e32 v1, 3, v0
	s_mov_b64 s[20:21], 0
	s_waitcnt vmcnt(0)
	ds_write_b64 v1, v[2:3]
	s_waitcnt lgkmcnt(0)
	s_barrier
.LBB416_4:
	s_and_b64 vcc, exec, s[20:21]
	s_cbranch_vccz .LBB416_6
; %bb.5:
	s_mov_b32 s5, 0
	s_lshl_b64 s[20:21], s[4:5], 3
	s_add_u32 s20, s22, s20
	s_addc_u32 s21, s23, s21
	v_lshlrev_b32_e32 v1, 3, v0
	global_load_dwordx2 v[2:3], v1, s[20:21]
	s_waitcnt vmcnt(0)
	ds_write_b64 v1, v[2:3]
	s_waitcnt lgkmcnt(0)
	s_barrier
.LBB416_6:
	ds_read_b64 v[2:3], v1
	s_cmp_eq_u64 s[2:3], 0
	s_waitcnt lgkmcnt(0)
	s_barrier
	s_cbranch_scc1 .LBB416_15
; %bb.7:
	s_mov_b32 s5, 0
	s_lshl_b64 s[20:21], s[4:5], 3
	s_add_u32 s5, s22, s20
	s_addc_u32 s11, s23, s21
	s_add_u32 s20, s5, -8
	s_addc_u32 s21, s11, -1
	s_load_dwordx2 s[20:21], s[20:21], 0x0
	s_cmp_eq_u64 s[2:3], s[16:17]
	s_cbranch_scc1 .LBB416_16
; %bb.8:
	v_lshlrev_b32_e32 v1, 3, v0
	v_cmp_ne_u32_e32 vcc, 0, v0
	s_waitcnt lgkmcnt(0)
	v_mov_b64_e32 v[6:7], s[20:21]
	ds_write_b64 v1, v[2:3]
	s_waitcnt lgkmcnt(0)
	s_barrier
	s_and_saveexec_b64 s[22:23], vcc
; %bb.9:
	v_add_u32_e32 v1, -8, v1
	ds_read_b64 v[6:7], v1
; %bb.10:
	s_or_b64 exec, exec, s[22:23]
	v_cmp_lt_i64_e64 s[22:23], s[12:13], 1
	s_and_b64 vcc, exec, s[22:23]
	s_cbranch_vccnz .LBB416_18
; %bb.11:
	v_mul_lo_u32 v1, v3, s12
	v_mul_lo_u32 v8, v2, s13
	v_mad_u64_u32 v[4:5], s[22:23], v2, s12, 0
	v_add3_u32 v5, v5, v8, v1
	s_waitcnt lgkmcnt(0)
	v_mul_lo_u32 v1, v7, s12
	v_mul_lo_u32 v8, v6, s13
	v_mad_u64_u32 v[6:7], s[22:23], v6, s12, 0
	v_add3_u32 v7, v7, v8, v1
	v_lshl_add_u64 v[4:5], v[4:5], 2, s[14:15]
	v_lshl_add_u64 v[6:7], v[6:7], 2, s[14:15]
	s_mov_b64 s[22:23], 0
	s_mov_b64 s[24:25], s[12:13]
                                        ; implicit-def: $sgpr26_sgpr27
	s_branch .LBB416_13
.LBB416_12:                             ;   in Loop: Header=BB416_13 Depth=1
	s_or_b64 exec, exec, s[28:29]
	s_and_b64 s[28:29], exec, s[26:27]
	s_or_b64 s[22:23], s[28:29], s[22:23]
	s_andn2_b64 exec, exec, s[22:23]
	s_cbranch_execz .LBB416_17
.LBB416_13:                             ; =>This Inner Loop Header: Depth=1
	global_load_dword v1, v[4:5], off
	global_load_dword v10, v[6:7], off
	v_mov_b64_e32 v[8:9], 1
	s_or_b64 s[26:27], s[26:27], exec
	s_waitcnt vmcnt(0)
	v_cmp_eq_u32_e32 vcc, v1, v10
	s_and_saveexec_b64 s[28:29], vcc
	s_cbranch_execz .LBB416_12
; %bb.14:                               ;   in Loop: Header=BB416_13 Depth=1
	s_add_u32 s24, s24, -1
	s_addc_u32 s25, s25, -1
	s_cmp_eq_u64 s[24:25], 0
	s_cselect_b64 s[30:31], -1, 0
	s_andn2_b64 s[26:27], s[26:27], exec
	s_and_b64 s[30:31], s[30:31], exec
	v_lshl_add_u64 v[4:5], v[4:5], 0, 4
	v_lshl_add_u64 v[6:7], v[6:7], 0, 4
	v_mov_b64_e32 v[8:9], 0
	s_or_b64 s[26:27], s[26:27], s[30:31]
	s_branch .LBB416_12
.LBB416_15:
                                        ; implicit-def: $vgpr8_vgpr9
	s_branch .LBB416_31
.LBB416_16:
                                        ; implicit-def: $vgpr8_vgpr9
	s_cbranch_execnz .LBB416_19
	s_branch .LBB416_30
.LBB416_17:
	s_or_b64 exec, exec, s[22:23]
	s_branch .LBB416_30
.LBB416_18:
	v_mov_b64_e32 v[8:9], 0
	s_branch .LBB416_30
.LBB416_19:
	v_lshlrev_b32_e32 v1, 3, v0
	v_cmp_ne_u32_e32 vcc, 0, v0
	s_waitcnt lgkmcnt(0)
	v_mov_b64_e32 v[6:7], s[20:21]
	ds_write_b64 v1, v[2:3]
	s_waitcnt lgkmcnt(0)
	s_barrier
	s_and_saveexec_b64 s[20:21], vcc
; %bb.20:
	v_add_u32_e32 v1, -8, v1
	ds_read_b64 v[6:7], v1
; %bb.21:
	s_or_b64 exec, exec, s[20:21]
	s_lshl_b32 s2, s2, 7
	s_sub_i32 s2, s10, s2
	v_cmp_gt_u32_e32 vcc, s2, v0
	v_mov_b64_e32 v[8:9], v[2:3]
	s_and_saveexec_b64 s[2:3], vcc
	s_cbranch_execz .LBB416_29
; %bb.22:
	v_cmp_lt_i64_e64 s[20:21], s[12:13], 1
	s_and_b64 vcc, exec, s[20:21]
	s_cbranch_vccnz .LBB416_28
; %bb.23:
	v_mul_lo_u32 v1, v3, s12
	v_mul_lo_u32 v8, v2, s13
	v_mad_u64_u32 v[4:5], s[20:21], v2, s12, 0
	v_add3_u32 v5, v5, v8, v1
	s_waitcnt lgkmcnt(0)
	v_mul_lo_u32 v1, v7, s12
	v_mul_lo_u32 v8, v6, s13
	v_mad_u64_u32 v[6:7], s[20:21], v6, s12, 0
	v_add3_u32 v7, v7, v8, v1
	v_lshl_add_u64 v[4:5], v[4:5], 2, s[14:15]
	v_lshl_add_u64 v[6:7], v[6:7], 2, s[14:15]
	s_mov_b64 s[20:21], 0
	s_mov_b64 s[22:23], s[12:13]
                                        ; implicit-def: $sgpr24_sgpr25
	s_branch .LBB416_25
.LBB416_24:                             ;   in Loop: Header=BB416_25 Depth=1
	s_or_b64 exec, exec, s[26:27]
	s_and_b64 s[26:27], exec, s[24:25]
	s_or_b64 s[20:21], s[26:27], s[20:21]
	s_andn2_b64 exec, exec, s[20:21]
	s_cbranch_execz .LBB416_27
.LBB416_25:                             ; =>This Inner Loop Header: Depth=1
	global_load_dword v1, v[4:5], off
	global_load_dword v10, v[6:7], off
	v_mov_b64_e32 v[8:9], 1
	s_or_b64 s[24:25], s[24:25], exec
	s_waitcnt vmcnt(0)
	v_cmp_eq_u32_e32 vcc, v1, v10
	s_and_saveexec_b64 s[26:27], vcc
	s_cbranch_execz .LBB416_24
; %bb.26:                               ;   in Loop: Header=BB416_25 Depth=1
	s_add_u32 s22, s22, -1
	s_addc_u32 s23, s23, -1
	s_cmp_eq_u64 s[22:23], 0
	s_cselect_b64 s[28:29], -1, 0
	s_andn2_b64 s[24:25], s[24:25], exec
	s_and_b64 s[28:29], s[28:29], exec
	v_lshl_add_u64 v[4:5], v[4:5], 0, 4
	v_lshl_add_u64 v[6:7], v[6:7], 0, 4
	v_mov_b64_e32 v[8:9], 0
	s_or_b64 s[24:25], s[24:25], s[28:29]
	s_branch .LBB416_24
.LBB416_27:
	s_or_b64 exec, exec, s[20:21]
	s_branch .LBB416_29
.LBB416_28:
	v_mov_b64_e32 v[8:9], 0
.LBB416_29:
	s_or_b64 exec, exec, s[2:3]
.LBB416_30:
	s_cbranch_execnz .LBB416_51
.LBB416_31:
	s_cmp_eq_u64 s[18:19], 1
	v_cmp_ne_u32_e32 vcc, 0, v0
	s_cbranch_scc1 .LBB416_38
; %bb.32:
	v_lshlrev_b32_e32 v1, 3, v0
	v_mov_b64_e32 v[8:9], v[2:3]
	ds_write_b64 v1, v[2:3]
	s_waitcnt lgkmcnt(0)
	s_barrier
	s_and_saveexec_b64 s[2:3], vcc
	s_cbranch_execz .LBB416_41
; %bb.33:
	v_cmp_lt_i64_e64 s[18:19], s[12:13], 1
	s_and_b64 vcc, exec, s[18:19]
	s_cbranch_vccnz .LBB416_40
; %bb.34:
	v_add_u32_e32 v1, -8, v1
	ds_read_b64 v[6:7], v1
	v_mul_lo_u32 v1, v3, s12
	v_mul_lo_u32 v8, v2, s13
	v_mad_u64_u32 v[4:5], s[18:19], v2, s12, 0
	v_add3_u32 v5, v5, v8, v1
	s_waitcnt lgkmcnt(0)
	v_mul_lo_u32 v1, s13, v6
	v_mul_lo_u32 v8, s12, v7
	v_mad_u64_u32 v[6:7], s[18:19], s12, v6, 0
	v_add3_u32 v7, v7, v8, v1
	v_lshl_add_u64 v[4:5], v[4:5], 2, s[14:15]
	v_lshl_add_u64 v[6:7], v[6:7], 2, s[14:15]
	s_mov_b64 s[18:19], 0
	s_mov_b64 s[20:21], s[12:13]
                                        ; implicit-def: $sgpr22_sgpr23
	s_branch .LBB416_36
.LBB416_35:                             ;   in Loop: Header=BB416_36 Depth=1
	s_or_b64 exec, exec, s[24:25]
	s_and_b64 s[24:25], exec, s[22:23]
	s_or_b64 s[18:19], s[24:25], s[18:19]
	s_andn2_b64 exec, exec, s[18:19]
	s_cbranch_execz .LBB416_39
.LBB416_36:                             ; =>This Inner Loop Header: Depth=1
	global_load_dword v1, v[4:5], off
	global_load_dword v10, v[6:7], off
	v_mov_b64_e32 v[8:9], 1
	s_or_b64 s[22:23], s[22:23], exec
	s_waitcnt vmcnt(0)
	v_cmp_eq_u32_e32 vcc, v1, v10
	s_and_saveexec_b64 s[24:25], vcc
	s_cbranch_execz .LBB416_35
; %bb.37:                               ;   in Loop: Header=BB416_36 Depth=1
	s_add_u32 s20, s20, -1
	s_addc_u32 s21, s21, -1
	s_cmp_eq_u64 s[20:21], 0
	s_cselect_b64 s[26:27], -1, 0
	s_andn2_b64 s[22:23], s[22:23], exec
	s_and_b64 s[26:27], s[26:27], exec
	v_lshl_add_u64 v[4:5], v[4:5], 0, 4
	v_lshl_add_u64 v[6:7], v[6:7], 0, 4
	v_mov_b64_e32 v[8:9], 0
	s_or_b64 s[22:23], s[22:23], s[26:27]
	s_branch .LBB416_35
.LBB416_38:
                                        ; implicit-def: $vgpr8_vgpr9
	s_branch .LBB416_42
.LBB416_39:
	s_or_b64 exec, exec, s[18:19]
	s_branch .LBB416_41
.LBB416_40:
	v_mov_b64_e32 v[8:9], 0
.LBB416_41:
	s_or_b64 exec, exec, s[2:3]
	s_cbranch_execnz .LBB416_51
.LBB416_42:
	v_cmp_ne_u32_e32 vcc, 0, v0
	v_cmp_gt_u32_e64 s[2:3], s10, v0
	v_lshlrev_b32_e32 v1, 3, v0
	s_and_b64 s[18:19], vcc, s[2:3]
	ds_write_b64 v1, v[2:3]
	s_waitcnt lgkmcnt(0)
	s_barrier
	s_and_saveexec_b64 s[2:3], s[18:19]
	s_cbranch_execz .LBB416_50
; %bb.43:
	v_cmp_lt_i64_e64 s[18:19], s[12:13], 1
	s_and_b64 vcc, exec, s[18:19]
	s_cbranch_vccnz .LBB416_49
; %bb.44:
	v_add_u32_e32 v1, -8, v1
	ds_read_b64 v[6:7], v1
	v_mul_lo_u32 v1, v3, s12
	v_mul_lo_u32 v4, v2, s13
	v_mad_u64_u32 v[2:3], s[18:19], v2, s12, 0
	v_add3_u32 v3, v3, v4, v1
	v_lshl_add_u64 v[4:5], v[2:3], 2, s[14:15]
	s_waitcnt lgkmcnt(0)
	v_mul_lo_u32 v1, s13, v6
	v_mul_lo_u32 v7, s12, v7
	v_mad_u64_u32 v[2:3], s[18:19], s12, v6, 0
	v_add3_u32 v3, v3, v7, v1
	v_lshl_add_u64 v[6:7], v[2:3], 2, s[14:15]
	s_mov_b64 s[14:15], 0
                                        ; implicit-def: $sgpr18_sgpr19
	s_branch .LBB416_46
.LBB416_45:                             ;   in Loop: Header=BB416_46 Depth=1
	s_or_b64 exec, exec, s[20:21]
	s_and_b64 s[20:21], exec, s[18:19]
	s_or_b64 s[14:15], s[20:21], s[14:15]
	s_andn2_b64 exec, exec, s[14:15]
	s_cbranch_execz .LBB416_48
.LBB416_46:                             ; =>This Inner Loop Header: Depth=1
	global_load_dword v1, v[4:5], off
	global_load_dword v8, v[6:7], off
	v_mov_b64_e32 v[2:3], 1
	s_or_b64 s[18:19], s[18:19], exec
	s_waitcnt vmcnt(0)
	v_cmp_eq_u32_e32 vcc, v1, v8
	s_and_saveexec_b64 s[20:21], vcc
	s_cbranch_execz .LBB416_45
; %bb.47:                               ;   in Loop: Header=BB416_46 Depth=1
	s_add_u32 s12, s12, -1
	s_addc_u32 s13, s13, -1
	s_cmp_eq_u64 s[12:13], 0
	s_cselect_b64 s[22:23], -1, 0
	s_andn2_b64 s[18:19], s[18:19], exec
	s_and_b64 s[22:23], s[22:23], exec
	v_lshl_add_u64 v[4:5], v[4:5], 0, 4
	v_lshl_add_u64 v[6:7], v[6:7], 0, 4
	v_mov_b64_e32 v[2:3], 0
	s_or_b64 s[18:19], s[18:19], s[22:23]
	s_branch .LBB416_45
.LBB416_48:
	s_or_b64 exec, exec, s[14:15]
	s_branch .LBB416_50
.LBB416_49:
	v_mov_b64_e32 v[2:3], 0
.LBB416_50:
	s_or_b64 exec, exec, s[2:3]
	v_mov_b64_e32 v[8:9], v[2:3]
.LBB416_51:
	s_add_u32 s6, s8, s6
	s_addc_u32 s7, s9, s7
	s_mov_b64 s[2:3], -1
	s_and_b64 vcc, exec, s[0:1]
	s_waitcnt lgkmcnt(0)
	s_barrier
	s_cbranch_vccnz .LBB416_54
; %bb.52:
	s_andn2_b64 vcc, exec, s[2:3]
	s_cbranch_vccz .LBB416_57
.LBB416_53:
	s_endpgm
.LBB416_54:
	s_lshl_b32 s0, s16, 7
	s_sub_i32 s0, s10, s0
	v_lshlrev_b32_e32 v1, 3, v0
	v_cmp_gt_u32_e32 vcc, s0, v0
	ds_write_b64 v1, v[8:9]
	s_waitcnt lgkmcnt(0)
	s_barrier
	s_and_saveexec_b64 s[0:1], vcc
	s_cbranch_execz .LBB416_56
; %bb.55:
	ds_read_b64 v[2:3], v1
	s_mov_b32 s5, 0
	s_lshl_b64 s[2:3], s[4:5], 3
	s_add_u32 s2, s6, s2
	s_addc_u32 s3, s7, s3
	s_waitcnt lgkmcnt(0)
	global_store_dwordx2 v1, v[2:3], s[2:3]
.LBB416_56:
	s_or_b64 exec, exec, s[0:1]
	s_cbranch_execnz .LBB416_53
.LBB416_57:
	v_lshlrev_b32_e32 v2, 3, v0
	ds_write_b64 v2, v[8:9]
	s_waitcnt lgkmcnt(0)
	s_barrier
	ds_read_b64 v[0:1], v2
	s_mov_b32 s5, 0
	s_lshl_b64 s[0:1], s[4:5], 3
	s_add_u32 s0, s6, s0
	s_addc_u32 s1, s7, s1
	s_waitcnt lgkmcnt(0)
	global_store_dwordx2 v2, v[0:1], s[0:1]
	s_endpgm
	.section	.rodata,"a",@progbits
	.p2align	6, 0x0
	.amdhsa_kernel _ZN7rocprim17ROCPRIM_400000_NS6detail17trampoline_kernelINS0_14default_configENS1_35adjacent_difference_config_selectorILb0ElEEZNS1_24adjacent_difference_implIS3_Lb0ELb0EPlS7_ZN2at6native12_GLOBAL__N_124unique_dim_cuda_templateIiEESt5tupleIJNS8_6TensorESD_SD_EERKSD_lbbbEUlllE1_EE10hipError_tPvRmT2_T3_mT4_P12ihipStream_tbEUlT_E_NS1_11comp_targetILNS1_3genE0ELNS1_11target_archE4294967295ELNS1_3gpuE0ELNS1_3repE0EEENS1_30default_config_static_selectorELNS0_4arch9wavefront6targetE1EEEvT1_
		.amdhsa_group_segment_fixed_size 2048
		.amdhsa_private_segment_fixed_size 0
		.amdhsa_kernarg_size 64
		.amdhsa_user_sgpr_count 2
		.amdhsa_user_sgpr_dispatch_ptr 0
		.amdhsa_user_sgpr_queue_ptr 0
		.amdhsa_user_sgpr_kernarg_segment_ptr 1
		.amdhsa_user_sgpr_dispatch_id 0
		.amdhsa_user_sgpr_kernarg_preload_length 0
		.amdhsa_user_sgpr_kernarg_preload_offset 0
		.amdhsa_user_sgpr_private_segment_size 0
		.amdhsa_uses_dynamic_stack 0
		.amdhsa_enable_private_segment 0
		.amdhsa_system_sgpr_workgroup_id_x 1
		.amdhsa_system_sgpr_workgroup_id_y 0
		.amdhsa_system_sgpr_workgroup_id_z 0
		.amdhsa_system_sgpr_workgroup_info 0
		.amdhsa_system_vgpr_workitem_id 0
		.amdhsa_next_free_vgpr 11
		.amdhsa_next_free_sgpr 32
		.amdhsa_accum_offset 12
		.amdhsa_reserve_vcc 1
		.amdhsa_float_round_mode_32 0
		.amdhsa_float_round_mode_16_64 0
		.amdhsa_float_denorm_mode_32 3
		.amdhsa_float_denorm_mode_16_64 3
		.amdhsa_dx10_clamp 1
		.amdhsa_ieee_mode 1
		.amdhsa_fp16_overflow 0
		.amdhsa_tg_split 0
		.amdhsa_exception_fp_ieee_invalid_op 0
		.amdhsa_exception_fp_denorm_src 0
		.amdhsa_exception_fp_ieee_div_zero 0
		.amdhsa_exception_fp_ieee_overflow 0
		.amdhsa_exception_fp_ieee_underflow 0
		.amdhsa_exception_fp_ieee_inexact 0
		.amdhsa_exception_int_div_zero 0
	.end_amdhsa_kernel
	.section	.text._ZN7rocprim17ROCPRIM_400000_NS6detail17trampoline_kernelINS0_14default_configENS1_35adjacent_difference_config_selectorILb0ElEEZNS1_24adjacent_difference_implIS3_Lb0ELb0EPlS7_ZN2at6native12_GLOBAL__N_124unique_dim_cuda_templateIiEESt5tupleIJNS8_6TensorESD_SD_EERKSD_lbbbEUlllE1_EE10hipError_tPvRmT2_T3_mT4_P12ihipStream_tbEUlT_E_NS1_11comp_targetILNS1_3genE0ELNS1_11target_archE4294967295ELNS1_3gpuE0ELNS1_3repE0EEENS1_30default_config_static_selectorELNS0_4arch9wavefront6targetE1EEEvT1_,"axG",@progbits,_ZN7rocprim17ROCPRIM_400000_NS6detail17trampoline_kernelINS0_14default_configENS1_35adjacent_difference_config_selectorILb0ElEEZNS1_24adjacent_difference_implIS3_Lb0ELb0EPlS7_ZN2at6native12_GLOBAL__N_124unique_dim_cuda_templateIiEESt5tupleIJNS8_6TensorESD_SD_EERKSD_lbbbEUlllE1_EE10hipError_tPvRmT2_T3_mT4_P12ihipStream_tbEUlT_E_NS1_11comp_targetILNS1_3genE0ELNS1_11target_archE4294967295ELNS1_3gpuE0ELNS1_3repE0EEENS1_30default_config_static_selectorELNS0_4arch9wavefront6targetE1EEEvT1_,comdat
.Lfunc_end416:
	.size	_ZN7rocprim17ROCPRIM_400000_NS6detail17trampoline_kernelINS0_14default_configENS1_35adjacent_difference_config_selectorILb0ElEEZNS1_24adjacent_difference_implIS3_Lb0ELb0EPlS7_ZN2at6native12_GLOBAL__N_124unique_dim_cuda_templateIiEESt5tupleIJNS8_6TensorESD_SD_EERKSD_lbbbEUlllE1_EE10hipError_tPvRmT2_T3_mT4_P12ihipStream_tbEUlT_E_NS1_11comp_targetILNS1_3genE0ELNS1_11target_archE4294967295ELNS1_3gpuE0ELNS1_3repE0EEENS1_30default_config_static_selectorELNS0_4arch9wavefront6targetE1EEEvT1_, .Lfunc_end416-_ZN7rocprim17ROCPRIM_400000_NS6detail17trampoline_kernelINS0_14default_configENS1_35adjacent_difference_config_selectorILb0ElEEZNS1_24adjacent_difference_implIS3_Lb0ELb0EPlS7_ZN2at6native12_GLOBAL__N_124unique_dim_cuda_templateIiEESt5tupleIJNS8_6TensorESD_SD_EERKSD_lbbbEUlllE1_EE10hipError_tPvRmT2_T3_mT4_P12ihipStream_tbEUlT_E_NS1_11comp_targetILNS1_3genE0ELNS1_11target_archE4294967295ELNS1_3gpuE0ELNS1_3repE0EEENS1_30default_config_static_selectorELNS0_4arch9wavefront6targetE1EEEvT1_
                                        ; -- End function
	.set _ZN7rocprim17ROCPRIM_400000_NS6detail17trampoline_kernelINS0_14default_configENS1_35adjacent_difference_config_selectorILb0ElEEZNS1_24adjacent_difference_implIS3_Lb0ELb0EPlS7_ZN2at6native12_GLOBAL__N_124unique_dim_cuda_templateIiEESt5tupleIJNS8_6TensorESD_SD_EERKSD_lbbbEUlllE1_EE10hipError_tPvRmT2_T3_mT4_P12ihipStream_tbEUlT_E_NS1_11comp_targetILNS1_3genE0ELNS1_11target_archE4294967295ELNS1_3gpuE0ELNS1_3repE0EEENS1_30default_config_static_selectorELNS0_4arch9wavefront6targetE1EEEvT1_.num_vgpr, 11
	.set _ZN7rocprim17ROCPRIM_400000_NS6detail17trampoline_kernelINS0_14default_configENS1_35adjacent_difference_config_selectorILb0ElEEZNS1_24adjacent_difference_implIS3_Lb0ELb0EPlS7_ZN2at6native12_GLOBAL__N_124unique_dim_cuda_templateIiEESt5tupleIJNS8_6TensorESD_SD_EERKSD_lbbbEUlllE1_EE10hipError_tPvRmT2_T3_mT4_P12ihipStream_tbEUlT_E_NS1_11comp_targetILNS1_3genE0ELNS1_11target_archE4294967295ELNS1_3gpuE0ELNS1_3repE0EEENS1_30default_config_static_selectorELNS0_4arch9wavefront6targetE1EEEvT1_.num_agpr, 0
	.set _ZN7rocprim17ROCPRIM_400000_NS6detail17trampoline_kernelINS0_14default_configENS1_35adjacent_difference_config_selectorILb0ElEEZNS1_24adjacent_difference_implIS3_Lb0ELb0EPlS7_ZN2at6native12_GLOBAL__N_124unique_dim_cuda_templateIiEESt5tupleIJNS8_6TensorESD_SD_EERKSD_lbbbEUlllE1_EE10hipError_tPvRmT2_T3_mT4_P12ihipStream_tbEUlT_E_NS1_11comp_targetILNS1_3genE0ELNS1_11target_archE4294967295ELNS1_3gpuE0ELNS1_3repE0EEENS1_30default_config_static_selectorELNS0_4arch9wavefront6targetE1EEEvT1_.numbered_sgpr, 32
	.set _ZN7rocprim17ROCPRIM_400000_NS6detail17trampoline_kernelINS0_14default_configENS1_35adjacent_difference_config_selectorILb0ElEEZNS1_24adjacent_difference_implIS3_Lb0ELb0EPlS7_ZN2at6native12_GLOBAL__N_124unique_dim_cuda_templateIiEESt5tupleIJNS8_6TensorESD_SD_EERKSD_lbbbEUlllE1_EE10hipError_tPvRmT2_T3_mT4_P12ihipStream_tbEUlT_E_NS1_11comp_targetILNS1_3genE0ELNS1_11target_archE4294967295ELNS1_3gpuE0ELNS1_3repE0EEENS1_30default_config_static_selectorELNS0_4arch9wavefront6targetE1EEEvT1_.num_named_barrier, 0
	.set _ZN7rocprim17ROCPRIM_400000_NS6detail17trampoline_kernelINS0_14default_configENS1_35adjacent_difference_config_selectorILb0ElEEZNS1_24adjacent_difference_implIS3_Lb0ELb0EPlS7_ZN2at6native12_GLOBAL__N_124unique_dim_cuda_templateIiEESt5tupleIJNS8_6TensorESD_SD_EERKSD_lbbbEUlllE1_EE10hipError_tPvRmT2_T3_mT4_P12ihipStream_tbEUlT_E_NS1_11comp_targetILNS1_3genE0ELNS1_11target_archE4294967295ELNS1_3gpuE0ELNS1_3repE0EEENS1_30default_config_static_selectorELNS0_4arch9wavefront6targetE1EEEvT1_.private_seg_size, 0
	.set _ZN7rocprim17ROCPRIM_400000_NS6detail17trampoline_kernelINS0_14default_configENS1_35adjacent_difference_config_selectorILb0ElEEZNS1_24adjacent_difference_implIS3_Lb0ELb0EPlS7_ZN2at6native12_GLOBAL__N_124unique_dim_cuda_templateIiEESt5tupleIJNS8_6TensorESD_SD_EERKSD_lbbbEUlllE1_EE10hipError_tPvRmT2_T3_mT4_P12ihipStream_tbEUlT_E_NS1_11comp_targetILNS1_3genE0ELNS1_11target_archE4294967295ELNS1_3gpuE0ELNS1_3repE0EEENS1_30default_config_static_selectorELNS0_4arch9wavefront6targetE1EEEvT1_.uses_vcc, 1
	.set _ZN7rocprim17ROCPRIM_400000_NS6detail17trampoline_kernelINS0_14default_configENS1_35adjacent_difference_config_selectorILb0ElEEZNS1_24adjacent_difference_implIS3_Lb0ELb0EPlS7_ZN2at6native12_GLOBAL__N_124unique_dim_cuda_templateIiEESt5tupleIJNS8_6TensorESD_SD_EERKSD_lbbbEUlllE1_EE10hipError_tPvRmT2_T3_mT4_P12ihipStream_tbEUlT_E_NS1_11comp_targetILNS1_3genE0ELNS1_11target_archE4294967295ELNS1_3gpuE0ELNS1_3repE0EEENS1_30default_config_static_selectorELNS0_4arch9wavefront6targetE1EEEvT1_.uses_flat_scratch, 0
	.set _ZN7rocprim17ROCPRIM_400000_NS6detail17trampoline_kernelINS0_14default_configENS1_35adjacent_difference_config_selectorILb0ElEEZNS1_24adjacent_difference_implIS3_Lb0ELb0EPlS7_ZN2at6native12_GLOBAL__N_124unique_dim_cuda_templateIiEESt5tupleIJNS8_6TensorESD_SD_EERKSD_lbbbEUlllE1_EE10hipError_tPvRmT2_T3_mT4_P12ihipStream_tbEUlT_E_NS1_11comp_targetILNS1_3genE0ELNS1_11target_archE4294967295ELNS1_3gpuE0ELNS1_3repE0EEENS1_30default_config_static_selectorELNS0_4arch9wavefront6targetE1EEEvT1_.has_dyn_sized_stack, 0
	.set _ZN7rocprim17ROCPRIM_400000_NS6detail17trampoline_kernelINS0_14default_configENS1_35adjacent_difference_config_selectorILb0ElEEZNS1_24adjacent_difference_implIS3_Lb0ELb0EPlS7_ZN2at6native12_GLOBAL__N_124unique_dim_cuda_templateIiEESt5tupleIJNS8_6TensorESD_SD_EERKSD_lbbbEUlllE1_EE10hipError_tPvRmT2_T3_mT4_P12ihipStream_tbEUlT_E_NS1_11comp_targetILNS1_3genE0ELNS1_11target_archE4294967295ELNS1_3gpuE0ELNS1_3repE0EEENS1_30default_config_static_selectorELNS0_4arch9wavefront6targetE1EEEvT1_.has_recursion, 0
	.set _ZN7rocprim17ROCPRIM_400000_NS6detail17trampoline_kernelINS0_14default_configENS1_35adjacent_difference_config_selectorILb0ElEEZNS1_24adjacent_difference_implIS3_Lb0ELb0EPlS7_ZN2at6native12_GLOBAL__N_124unique_dim_cuda_templateIiEESt5tupleIJNS8_6TensorESD_SD_EERKSD_lbbbEUlllE1_EE10hipError_tPvRmT2_T3_mT4_P12ihipStream_tbEUlT_E_NS1_11comp_targetILNS1_3genE0ELNS1_11target_archE4294967295ELNS1_3gpuE0ELNS1_3repE0EEENS1_30default_config_static_selectorELNS0_4arch9wavefront6targetE1EEEvT1_.has_indirect_call, 0
	.section	.AMDGPU.csdata,"",@progbits
; Kernel info:
; codeLenInByte = 1740
; TotalNumSgprs: 38
; NumVgprs: 11
; NumAgprs: 0
; TotalNumVgprs: 11
; ScratchSize: 0
; MemoryBound: 0
; FloatMode: 240
; IeeeMode: 1
; LDSByteSize: 2048 bytes/workgroup (compile time only)
; SGPRBlocks: 4
; VGPRBlocks: 1
; NumSGPRsForWavesPerEU: 38
; NumVGPRsForWavesPerEU: 11
; AccumOffset: 12
; Occupancy: 8
; WaveLimiterHint : 0
; COMPUTE_PGM_RSRC2:SCRATCH_EN: 0
; COMPUTE_PGM_RSRC2:USER_SGPR: 2
; COMPUTE_PGM_RSRC2:TRAP_HANDLER: 0
; COMPUTE_PGM_RSRC2:TGID_X_EN: 1
; COMPUTE_PGM_RSRC2:TGID_Y_EN: 0
; COMPUTE_PGM_RSRC2:TGID_Z_EN: 0
; COMPUTE_PGM_RSRC2:TIDIG_COMP_CNT: 0
; COMPUTE_PGM_RSRC3_GFX90A:ACCUM_OFFSET: 2
; COMPUTE_PGM_RSRC3_GFX90A:TG_SPLIT: 0
	.section	.text._ZN7rocprim17ROCPRIM_400000_NS6detail17trampoline_kernelINS0_14default_configENS1_35adjacent_difference_config_selectorILb0ElEEZNS1_24adjacent_difference_implIS3_Lb0ELb0EPlS7_ZN2at6native12_GLOBAL__N_124unique_dim_cuda_templateIiEESt5tupleIJNS8_6TensorESD_SD_EERKSD_lbbbEUlllE1_EE10hipError_tPvRmT2_T3_mT4_P12ihipStream_tbEUlT_E_NS1_11comp_targetILNS1_3genE10ELNS1_11target_archE1201ELNS1_3gpuE5ELNS1_3repE0EEENS1_30default_config_static_selectorELNS0_4arch9wavefront6targetE1EEEvT1_,"axG",@progbits,_ZN7rocprim17ROCPRIM_400000_NS6detail17trampoline_kernelINS0_14default_configENS1_35adjacent_difference_config_selectorILb0ElEEZNS1_24adjacent_difference_implIS3_Lb0ELb0EPlS7_ZN2at6native12_GLOBAL__N_124unique_dim_cuda_templateIiEESt5tupleIJNS8_6TensorESD_SD_EERKSD_lbbbEUlllE1_EE10hipError_tPvRmT2_T3_mT4_P12ihipStream_tbEUlT_E_NS1_11comp_targetILNS1_3genE10ELNS1_11target_archE1201ELNS1_3gpuE5ELNS1_3repE0EEENS1_30default_config_static_selectorELNS0_4arch9wavefront6targetE1EEEvT1_,comdat
	.globl	_ZN7rocprim17ROCPRIM_400000_NS6detail17trampoline_kernelINS0_14default_configENS1_35adjacent_difference_config_selectorILb0ElEEZNS1_24adjacent_difference_implIS3_Lb0ELb0EPlS7_ZN2at6native12_GLOBAL__N_124unique_dim_cuda_templateIiEESt5tupleIJNS8_6TensorESD_SD_EERKSD_lbbbEUlllE1_EE10hipError_tPvRmT2_T3_mT4_P12ihipStream_tbEUlT_E_NS1_11comp_targetILNS1_3genE10ELNS1_11target_archE1201ELNS1_3gpuE5ELNS1_3repE0EEENS1_30default_config_static_selectorELNS0_4arch9wavefront6targetE1EEEvT1_ ; -- Begin function _ZN7rocprim17ROCPRIM_400000_NS6detail17trampoline_kernelINS0_14default_configENS1_35adjacent_difference_config_selectorILb0ElEEZNS1_24adjacent_difference_implIS3_Lb0ELb0EPlS7_ZN2at6native12_GLOBAL__N_124unique_dim_cuda_templateIiEESt5tupleIJNS8_6TensorESD_SD_EERKSD_lbbbEUlllE1_EE10hipError_tPvRmT2_T3_mT4_P12ihipStream_tbEUlT_E_NS1_11comp_targetILNS1_3genE10ELNS1_11target_archE1201ELNS1_3gpuE5ELNS1_3repE0EEENS1_30default_config_static_selectorELNS0_4arch9wavefront6targetE1EEEvT1_
	.p2align	8
	.type	_ZN7rocprim17ROCPRIM_400000_NS6detail17trampoline_kernelINS0_14default_configENS1_35adjacent_difference_config_selectorILb0ElEEZNS1_24adjacent_difference_implIS3_Lb0ELb0EPlS7_ZN2at6native12_GLOBAL__N_124unique_dim_cuda_templateIiEESt5tupleIJNS8_6TensorESD_SD_EERKSD_lbbbEUlllE1_EE10hipError_tPvRmT2_T3_mT4_P12ihipStream_tbEUlT_E_NS1_11comp_targetILNS1_3genE10ELNS1_11target_archE1201ELNS1_3gpuE5ELNS1_3repE0EEENS1_30default_config_static_selectorELNS0_4arch9wavefront6targetE1EEEvT1_,@function
_ZN7rocprim17ROCPRIM_400000_NS6detail17trampoline_kernelINS0_14default_configENS1_35adjacent_difference_config_selectorILb0ElEEZNS1_24adjacent_difference_implIS3_Lb0ELb0EPlS7_ZN2at6native12_GLOBAL__N_124unique_dim_cuda_templateIiEESt5tupleIJNS8_6TensorESD_SD_EERKSD_lbbbEUlllE1_EE10hipError_tPvRmT2_T3_mT4_P12ihipStream_tbEUlT_E_NS1_11comp_targetILNS1_3genE10ELNS1_11target_archE1201ELNS1_3gpuE5ELNS1_3repE0EEENS1_30default_config_static_selectorELNS0_4arch9wavefront6targetE1EEEvT1_: ; @_ZN7rocprim17ROCPRIM_400000_NS6detail17trampoline_kernelINS0_14default_configENS1_35adjacent_difference_config_selectorILb0ElEEZNS1_24adjacent_difference_implIS3_Lb0ELb0EPlS7_ZN2at6native12_GLOBAL__N_124unique_dim_cuda_templateIiEESt5tupleIJNS8_6TensorESD_SD_EERKSD_lbbbEUlllE1_EE10hipError_tPvRmT2_T3_mT4_P12ihipStream_tbEUlT_E_NS1_11comp_targetILNS1_3genE10ELNS1_11target_archE1201ELNS1_3gpuE5ELNS1_3repE0EEENS1_30default_config_static_selectorELNS0_4arch9wavefront6targetE1EEEvT1_
; %bb.0:
	.section	.rodata,"a",@progbits
	.p2align	6, 0x0
	.amdhsa_kernel _ZN7rocprim17ROCPRIM_400000_NS6detail17trampoline_kernelINS0_14default_configENS1_35adjacent_difference_config_selectorILb0ElEEZNS1_24adjacent_difference_implIS3_Lb0ELb0EPlS7_ZN2at6native12_GLOBAL__N_124unique_dim_cuda_templateIiEESt5tupleIJNS8_6TensorESD_SD_EERKSD_lbbbEUlllE1_EE10hipError_tPvRmT2_T3_mT4_P12ihipStream_tbEUlT_E_NS1_11comp_targetILNS1_3genE10ELNS1_11target_archE1201ELNS1_3gpuE5ELNS1_3repE0EEENS1_30default_config_static_selectorELNS0_4arch9wavefront6targetE1EEEvT1_
		.amdhsa_group_segment_fixed_size 0
		.amdhsa_private_segment_fixed_size 0
		.amdhsa_kernarg_size 64
		.amdhsa_user_sgpr_count 2
		.amdhsa_user_sgpr_dispatch_ptr 0
		.amdhsa_user_sgpr_queue_ptr 0
		.amdhsa_user_sgpr_kernarg_segment_ptr 1
		.amdhsa_user_sgpr_dispatch_id 0
		.amdhsa_user_sgpr_kernarg_preload_length 0
		.amdhsa_user_sgpr_kernarg_preload_offset 0
		.amdhsa_user_sgpr_private_segment_size 0
		.amdhsa_uses_dynamic_stack 0
		.amdhsa_enable_private_segment 0
		.amdhsa_system_sgpr_workgroup_id_x 1
		.amdhsa_system_sgpr_workgroup_id_y 0
		.amdhsa_system_sgpr_workgroup_id_z 0
		.amdhsa_system_sgpr_workgroup_info 0
		.amdhsa_system_vgpr_workitem_id 0
		.amdhsa_next_free_vgpr 1
		.amdhsa_next_free_sgpr 0
		.amdhsa_accum_offset 4
		.amdhsa_reserve_vcc 0
		.amdhsa_float_round_mode_32 0
		.amdhsa_float_round_mode_16_64 0
		.amdhsa_float_denorm_mode_32 3
		.amdhsa_float_denorm_mode_16_64 3
		.amdhsa_dx10_clamp 1
		.amdhsa_ieee_mode 1
		.amdhsa_fp16_overflow 0
		.amdhsa_tg_split 0
		.amdhsa_exception_fp_ieee_invalid_op 0
		.amdhsa_exception_fp_denorm_src 0
		.amdhsa_exception_fp_ieee_div_zero 0
		.amdhsa_exception_fp_ieee_overflow 0
		.amdhsa_exception_fp_ieee_underflow 0
		.amdhsa_exception_fp_ieee_inexact 0
		.amdhsa_exception_int_div_zero 0
	.end_amdhsa_kernel
	.section	.text._ZN7rocprim17ROCPRIM_400000_NS6detail17trampoline_kernelINS0_14default_configENS1_35adjacent_difference_config_selectorILb0ElEEZNS1_24adjacent_difference_implIS3_Lb0ELb0EPlS7_ZN2at6native12_GLOBAL__N_124unique_dim_cuda_templateIiEESt5tupleIJNS8_6TensorESD_SD_EERKSD_lbbbEUlllE1_EE10hipError_tPvRmT2_T3_mT4_P12ihipStream_tbEUlT_E_NS1_11comp_targetILNS1_3genE10ELNS1_11target_archE1201ELNS1_3gpuE5ELNS1_3repE0EEENS1_30default_config_static_selectorELNS0_4arch9wavefront6targetE1EEEvT1_,"axG",@progbits,_ZN7rocprim17ROCPRIM_400000_NS6detail17trampoline_kernelINS0_14default_configENS1_35adjacent_difference_config_selectorILb0ElEEZNS1_24adjacent_difference_implIS3_Lb0ELb0EPlS7_ZN2at6native12_GLOBAL__N_124unique_dim_cuda_templateIiEESt5tupleIJNS8_6TensorESD_SD_EERKSD_lbbbEUlllE1_EE10hipError_tPvRmT2_T3_mT4_P12ihipStream_tbEUlT_E_NS1_11comp_targetILNS1_3genE10ELNS1_11target_archE1201ELNS1_3gpuE5ELNS1_3repE0EEENS1_30default_config_static_selectorELNS0_4arch9wavefront6targetE1EEEvT1_,comdat
.Lfunc_end417:
	.size	_ZN7rocprim17ROCPRIM_400000_NS6detail17trampoline_kernelINS0_14default_configENS1_35adjacent_difference_config_selectorILb0ElEEZNS1_24adjacent_difference_implIS3_Lb0ELb0EPlS7_ZN2at6native12_GLOBAL__N_124unique_dim_cuda_templateIiEESt5tupleIJNS8_6TensorESD_SD_EERKSD_lbbbEUlllE1_EE10hipError_tPvRmT2_T3_mT4_P12ihipStream_tbEUlT_E_NS1_11comp_targetILNS1_3genE10ELNS1_11target_archE1201ELNS1_3gpuE5ELNS1_3repE0EEENS1_30default_config_static_selectorELNS0_4arch9wavefront6targetE1EEEvT1_, .Lfunc_end417-_ZN7rocprim17ROCPRIM_400000_NS6detail17trampoline_kernelINS0_14default_configENS1_35adjacent_difference_config_selectorILb0ElEEZNS1_24adjacent_difference_implIS3_Lb0ELb0EPlS7_ZN2at6native12_GLOBAL__N_124unique_dim_cuda_templateIiEESt5tupleIJNS8_6TensorESD_SD_EERKSD_lbbbEUlllE1_EE10hipError_tPvRmT2_T3_mT4_P12ihipStream_tbEUlT_E_NS1_11comp_targetILNS1_3genE10ELNS1_11target_archE1201ELNS1_3gpuE5ELNS1_3repE0EEENS1_30default_config_static_selectorELNS0_4arch9wavefront6targetE1EEEvT1_
                                        ; -- End function
	.set _ZN7rocprim17ROCPRIM_400000_NS6detail17trampoline_kernelINS0_14default_configENS1_35adjacent_difference_config_selectorILb0ElEEZNS1_24adjacent_difference_implIS3_Lb0ELb0EPlS7_ZN2at6native12_GLOBAL__N_124unique_dim_cuda_templateIiEESt5tupleIJNS8_6TensorESD_SD_EERKSD_lbbbEUlllE1_EE10hipError_tPvRmT2_T3_mT4_P12ihipStream_tbEUlT_E_NS1_11comp_targetILNS1_3genE10ELNS1_11target_archE1201ELNS1_3gpuE5ELNS1_3repE0EEENS1_30default_config_static_selectorELNS0_4arch9wavefront6targetE1EEEvT1_.num_vgpr, 0
	.set _ZN7rocprim17ROCPRIM_400000_NS6detail17trampoline_kernelINS0_14default_configENS1_35adjacent_difference_config_selectorILb0ElEEZNS1_24adjacent_difference_implIS3_Lb0ELb0EPlS7_ZN2at6native12_GLOBAL__N_124unique_dim_cuda_templateIiEESt5tupleIJNS8_6TensorESD_SD_EERKSD_lbbbEUlllE1_EE10hipError_tPvRmT2_T3_mT4_P12ihipStream_tbEUlT_E_NS1_11comp_targetILNS1_3genE10ELNS1_11target_archE1201ELNS1_3gpuE5ELNS1_3repE0EEENS1_30default_config_static_selectorELNS0_4arch9wavefront6targetE1EEEvT1_.num_agpr, 0
	.set _ZN7rocprim17ROCPRIM_400000_NS6detail17trampoline_kernelINS0_14default_configENS1_35adjacent_difference_config_selectorILb0ElEEZNS1_24adjacent_difference_implIS3_Lb0ELb0EPlS7_ZN2at6native12_GLOBAL__N_124unique_dim_cuda_templateIiEESt5tupleIJNS8_6TensorESD_SD_EERKSD_lbbbEUlllE1_EE10hipError_tPvRmT2_T3_mT4_P12ihipStream_tbEUlT_E_NS1_11comp_targetILNS1_3genE10ELNS1_11target_archE1201ELNS1_3gpuE5ELNS1_3repE0EEENS1_30default_config_static_selectorELNS0_4arch9wavefront6targetE1EEEvT1_.numbered_sgpr, 0
	.set _ZN7rocprim17ROCPRIM_400000_NS6detail17trampoline_kernelINS0_14default_configENS1_35adjacent_difference_config_selectorILb0ElEEZNS1_24adjacent_difference_implIS3_Lb0ELb0EPlS7_ZN2at6native12_GLOBAL__N_124unique_dim_cuda_templateIiEESt5tupleIJNS8_6TensorESD_SD_EERKSD_lbbbEUlllE1_EE10hipError_tPvRmT2_T3_mT4_P12ihipStream_tbEUlT_E_NS1_11comp_targetILNS1_3genE10ELNS1_11target_archE1201ELNS1_3gpuE5ELNS1_3repE0EEENS1_30default_config_static_selectorELNS0_4arch9wavefront6targetE1EEEvT1_.num_named_barrier, 0
	.set _ZN7rocprim17ROCPRIM_400000_NS6detail17trampoline_kernelINS0_14default_configENS1_35adjacent_difference_config_selectorILb0ElEEZNS1_24adjacent_difference_implIS3_Lb0ELb0EPlS7_ZN2at6native12_GLOBAL__N_124unique_dim_cuda_templateIiEESt5tupleIJNS8_6TensorESD_SD_EERKSD_lbbbEUlllE1_EE10hipError_tPvRmT2_T3_mT4_P12ihipStream_tbEUlT_E_NS1_11comp_targetILNS1_3genE10ELNS1_11target_archE1201ELNS1_3gpuE5ELNS1_3repE0EEENS1_30default_config_static_selectorELNS0_4arch9wavefront6targetE1EEEvT1_.private_seg_size, 0
	.set _ZN7rocprim17ROCPRIM_400000_NS6detail17trampoline_kernelINS0_14default_configENS1_35adjacent_difference_config_selectorILb0ElEEZNS1_24adjacent_difference_implIS3_Lb0ELb0EPlS7_ZN2at6native12_GLOBAL__N_124unique_dim_cuda_templateIiEESt5tupleIJNS8_6TensorESD_SD_EERKSD_lbbbEUlllE1_EE10hipError_tPvRmT2_T3_mT4_P12ihipStream_tbEUlT_E_NS1_11comp_targetILNS1_3genE10ELNS1_11target_archE1201ELNS1_3gpuE5ELNS1_3repE0EEENS1_30default_config_static_selectorELNS0_4arch9wavefront6targetE1EEEvT1_.uses_vcc, 0
	.set _ZN7rocprim17ROCPRIM_400000_NS6detail17trampoline_kernelINS0_14default_configENS1_35adjacent_difference_config_selectorILb0ElEEZNS1_24adjacent_difference_implIS3_Lb0ELb0EPlS7_ZN2at6native12_GLOBAL__N_124unique_dim_cuda_templateIiEESt5tupleIJNS8_6TensorESD_SD_EERKSD_lbbbEUlllE1_EE10hipError_tPvRmT2_T3_mT4_P12ihipStream_tbEUlT_E_NS1_11comp_targetILNS1_3genE10ELNS1_11target_archE1201ELNS1_3gpuE5ELNS1_3repE0EEENS1_30default_config_static_selectorELNS0_4arch9wavefront6targetE1EEEvT1_.uses_flat_scratch, 0
	.set _ZN7rocprim17ROCPRIM_400000_NS6detail17trampoline_kernelINS0_14default_configENS1_35adjacent_difference_config_selectorILb0ElEEZNS1_24adjacent_difference_implIS3_Lb0ELb0EPlS7_ZN2at6native12_GLOBAL__N_124unique_dim_cuda_templateIiEESt5tupleIJNS8_6TensorESD_SD_EERKSD_lbbbEUlllE1_EE10hipError_tPvRmT2_T3_mT4_P12ihipStream_tbEUlT_E_NS1_11comp_targetILNS1_3genE10ELNS1_11target_archE1201ELNS1_3gpuE5ELNS1_3repE0EEENS1_30default_config_static_selectorELNS0_4arch9wavefront6targetE1EEEvT1_.has_dyn_sized_stack, 0
	.set _ZN7rocprim17ROCPRIM_400000_NS6detail17trampoline_kernelINS0_14default_configENS1_35adjacent_difference_config_selectorILb0ElEEZNS1_24adjacent_difference_implIS3_Lb0ELb0EPlS7_ZN2at6native12_GLOBAL__N_124unique_dim_cuda_templateIiEESt5tupleIJNS8_6TensorESD_SD_EERKSD_lbbbEUlllE1_EE10hipError_tPvRmT2_T3_mT4_P12ihipStream_tbEUlT_E_NS1_11comp_targetILNS1_3genE10ELNS1_11target_archE1201ELNS1_3gpuE5ELNS1_3repE0EEENS1_30default_config_static_selectorELNS0_4arch9wavefront6targetE1EEEvT1_.has_recursion, 0
	.set _ZN7rocprim17ROCPRIM_400000_NS6detail17trampoline_kernelINS0_14default_configENS1_35adjacent_difference_config_selectorILb0ElEEZNS1_24adjacent_difference_implIS3_Lb0ELb0EPlS7_ZN2at6native12_GLOBAL__N_124unique_dim_cuda_templateIiEESt5tupleIJNS8_6TensorESD_SD_EERKSD_lbbbEUlllE1_EE10hipError_tPvRmT2_T3_mT4_P12ihipStream_tbEUlT_E_NS1_11comp_targetILNS1_3genE10ELNS1_11target_archE1201ELNS1_3gpuE5ELNS1_3repE0EEENS1_30default_config_static_selectorELNS0_4arch9wavefront6targetE1EEEvT1_.has_indirect_call, 0
	.section	.AMDGPU.csdata,"",@progbits
; Kernel info:
; codeLenInByte = 0
; TotalNumSgprs: 6
; NumVgprs: 0
; NumAgprs: 0
; TotalNumVgprs: 0
; ScratchSize: 0
; MemoryBound: 0
; FloatMode: 240
; IeeeMode: 1
; LDSByteSize: 0 bytes/workgroup (compile time only)
; SGPRBlocks: 0
; VGPRBlocks: 0
; NumSGPRsForWavesPerEU: 6
; NumVGPRsForWavesPerEU: 1
; AccumOffset: 4
; Occupancy: 8
; WaveLimiterHint : 0
; COMPUTE_PGM_RSRC2:SCRATCH_EN: 0
; COMPUTE_PGM_RSRC2:USER_SGPR: 2
; COMPUTE_PGM_RSRC2:TRAP_HANDLER: 0
; COMPUTE_PGM_RSRC2:TGID_X_EN: 1
; COMPUTE_PGM_RSRC2:TGID_Y_EN: 0
; COMPUTE_PGM_RSRC2:TGID_Z_EN: 0
; COMPUTE_PGM_RSRC2:TIDIG_COMP_CNT: 0
; COMPUTE_PGM_RSRC3_GFX90A:ACCUM_OFFSET: 0
; COMPUTE_PGM_RSRC3_GFX90A:TG_SPLIT: 0
	.section	.text._ZN7rocprim17ROCPRIM_400000_NS6detail17trampoline_kernelINS0_14default_configENS1_35adjacent_difference_config_selectorILb0ElEEZNS1_24adjacent_difference_implIS3_Lb0ELb0EPlS7_ZN2at6native12_GLOBAL__N_124unique_dim_cuda_templateIiEESt5tupleIJNS8_6TensorESD_SD_EERKSD_lbbbEUlllE1_EE10hipError_tPvRmT2_T3_mT4_P12ihipStream_tbEUlT_E_NS1_11comp_targetILNS1_3genE5ELNS1_11target_archE942ELNS1_3gpuE9ELNS1_3repE0EEENS1_30default_config_static_selectorELNS0_4arch9wavefront6targetE1EEEvT1_,"axG",@progbits,_ZN7rocprim17ROCPRIM_400000_NS6detail17trampoline_kernelINS0_14default_configENS1_35adjacent_difference_config_selectorILb0ElEEZNS1_24adjacent_difference_implIS3_Lb0ELb0EPlS7_ZN2at6native12_GLOBAL__N_124unique_dim_cuda_templateIiEESt5tupleIJNS8_6TensorESD_SD_EERKSD_lbbbEUlllE1_EE10hipError_tPvRmT2_T3_mT4_P12ihipStream_tbEUlT_E_NS1_11comp_targetILNS1_3genE5ELNS1_11target_archE942ELNS1_3gpuE9ELNS1_3repE0EEENS1_30default_config_static_selectorELNS0_4arch9wavefront6targetE1EEEvT1_,comdat
	.globl	_ZN7rocprim17ROCPRIM_400000_NS6detail17trampoline_kernelINS0_14default_configENS1_35adjacent_difference_config_selectorILb0ElEEZNS1_24adjacent_difference_implIS3_Lb0ELb0EPlS7_ZN2at6native12_GLOBAL__N_124unique_dim_cuda_templateIiEESt5tupleIJNS8_6TensorESD_SD_EERKSD_lbbbEUlllE1_EE10hipError_tPvRmT2_T3_mT4_P12ihipStream_tbEUlT_E_NS1_11comp_targetILNS1_3genE5ELNS1_11target_archE942ELNS1_3gpuE9ELNS1_3repE0EEENS1_30default_config_static_selectorELNS0_4arch9wavefront6targetE1EEEvT1_ ; -- Begin function _ZN7rocprim17ROCPRIM_400000_NS6detail17trampoline_kernelINS0_14default_configENS1_35adjacent_difference_config_selectorILb0ElEEZNS1_24adjacent_difference_implIS3_Lb0ELb0EPlS7_ZN2at6native12_GLOBAL__N_124unique_dim_cuda_templateIiEESt5tupleIJNS8_6TensorESD_SD_EERKSD_lbbbEUlllE1_EE10hipError_tPvRmT2_T3_mT4_P12ihipStream_tbEUlT_E_NS1_11comp_targetILNS1_3genE5ELNS1_11target_archE942ELNS1_3gpuE9ELNS1_3repE0EEENS1_30default_config_static_selectorELNS0_4arch9wavefront6targetE1EEEvT1_
	.p2align	8
	.type	_ZN7rocprim17ROCPRIM_400000_NS6detail17trampoline_kernelINS0_14default_configENS1_35adjacent_difference_config_selectorILb0ElEEZNS1_24adjacent_difference_implIS3_Lb0ELb0EPlS7_ZN2at6native12_GLOBAL__N_124unique_dim_cuda_templateIiEESt5tupleIJNS8_6TensorESD_SD_EERKSD_lbbbEUlllE1_EE10hipError_tPvRmT2_T3_mT4_P12ihipStream_tbEUlT_E_NS1_11comp_targetILNS1_3genE5ELNS1_11target_archE942ELNS1_3gpuE9ELNS1_3repE0EEENS1_30default_config_static_selectorELNS0_4arch9wavefront6targetE1EEEvT1_,@function
_ZN7rocprim17ROCPRIM_400000_NS6detail17trampoline_kernelINS0_14default_configENS1_35adjacent_difference_config_selectorILb0ElEEZNS1_24adjacent_difference_implIS3_Lb0ELb0EPlS7_ZN2at6native12_GLOBAL__N_124unique_dim_cuda_templateIiEESt5tupleIJNS8_6TensorESD_SD_EERKSD_lbbbEUlllE1_EE10hipError_tPvRmT2_T3_mT4_P12ihipStream_tbEUlT_E_NS1_11comp_targetILNS1_3genE5ELNS1_11target_archE942ELNS1_3gpuE9ELNS1_3repE0EEENS1_30default_config_static_selectorELNS0_4arch9wavefront6targetE1EEEvT1_: ; @_ZN7rocprim17ROCPRIM_400000_NS6detail17trampoline_kernelINS0_14default_configENS1_35adjacent_difference_config_selectorILb0ElEEZNS1_24adjacent_difference_implIS3_Lb0ELb0EPlS7_ZN2at6native12_GLOBAL__N_124unique_dim_cuda_templateIiEESt5tupleIJNS8_6TensorESD_SD_EERKSD_lbbbEUlllE1_EE10hipError_tPvRmT2_T3_mT4_P12ihipStream_tbEUlT_E_NS1_11comp_targetILNS1_3genE5ELNS1_11target_archE942ELNS1_3gpuE9ELNS1_3repE0EEENS1_30default_config_static_selectorELNS0_4arch9wavefront6targetE1EEEvT1_
; %bb.0:
	.section	.rodata,"a",@progbits
	.p2align	6, 0x0
	.amdhsa_kernel _ZN7rocprim17ROCPRIM_400000_NS6detail17trampoline_kernelINS0_14default_configENS1_35adjacent_difference_config_selectorILb0ElEEZNS1_24adjacent_difference_implIS3_Lb0ELb0EPlS7_ZN2at6native12_GLOBAL__N_124unique_dim_cuda_templateIiEESt5tupleIJNS8_6TensorESD_SD_EERKSD_lbbbEUlllE1_EE10hipError_tPvRmT2_T3_mT4_P12ihipStream_tbEUlT_E_NS1_11comp_targetILNS1_3genE5ELNS1_11target_archE942ELNS1_3gpuE9ELNS1_3repE0EEENS1_30default_config_static_selectorELNS0_4arch9wavefront6targetE1EEEvT1_
		.amdhsa_group_segment_fixed_size 0
		.amdhsa_private_segment_fixed_size 0
		.amdhsa_kernarg_size 64
		.amdhsa_user_sgpr_count 2
		.amdhsa_user_sgpr_dispatch_ptr 0
		.amdhsa_user_sgpr_queue_ptr 0
		.amdhsa_user_sgpr_kernarg_segment_ptr 1
		.amdhsa_user_sgpr_dispatch_id 0
		.amdhsa_user_sgpr_kernarg_preload_length 0
		.amdhsa_user_sgpr_kernarg_preload_offset 0
		.amdhsa_user_sgpr_private_segment_size 0
		.amdhsa_uses_dynamic_stack 0
		.amdhsa_enable_private_segment 0
		.amdhsa_system_sgpr_workgroup_id_x 1
		.amdhsa_system_sgpr_workgroup_id_y 0
		.amdhsa_system_sgpr_workgroup_id_z 0
		.amdhsa_system_sgpr_workgroup_info 0
		.amdhsa_system_vgpr_workitem_id 0
		.amdhsa_next_free_vgpr 1
		.amdhsa_next_free_sgpr 0
		.amdhsa_accum_offset 4
		.amdhsa_reserve_vcc 0
		.amdhsa_float_round_mode_32 0
		.amdhsa_float_round_mode_16_64 0
		.amdhsa_float_denorm_mode_32 3
		.amdhsa_float_denorm_mode_16_64 3
		.amdhsa_dx10_clamp 1
		.amdhsa_ieee_mode 1
		.amdhsa_fp16_overflow 0
		.amdhsa_tg_split 0
		.amdhsa_exception_fp_ieee_invalid_op 0
		.amdhsa_exception_fp_denorm_src 0
		.amdhsa_exception_fp_ieee_div_zero 0
		.amdhsa_exception_fp_ieee_overflow 0
		.amdhsa_exception_fp_ieee_underflow 0
		.amdhsa_exception_fp_ieee_inexact 0
		.amdhsa_exception_int_div_zero 0
	.end_amdhsa_kernel
	.section	.text._ZN7rocprim17ROCPRIM_400000_NS6detail17trampoline_kernelINS0_14default_configENS1_35adjacent_difference_config_selectorILb0ElEEZNS1_24adjacent_difference_implIS3_Lb0ELb0EPlS7_ZN2at6native12_GLOBAL__N_124unique_dim_cuda_templateIiEESt5tupleIJNS8_6TensorESD_SD_EERKSD_lbbbEUlllE1_EE10hipError_tPvRmT2_T3_mT4_P12ihipStream_tbEUlT_E_NS1_11comp_targetILNS1_3genE5ELNS1_11target_archE942ELNS1_3gpuE9ELNS1_3repE0EEENS1_30default_config_static_selectorELNS0_4arch9wavefront6targetE1EEEvT1_,"axG",@progbits,_ZN7rocprim17ROCPRIM_400000_NS6detail17trampoline_kernelINS0_14default_configENS1_35adjacent_difference_config_selectorILb0ElEEZNS1_24adjacent_difference_implIS3_Lb0ELb0EPlS7_ZN2at6native12_GLOBAL__N_124unique_dim_cuda_templateIiEESt5tupleIJNS8_6TensorESD_SD_EERKSD_lbbbEUlllE1_EE10hipError_tPvRmT2_T3_mT4_P12ihipStream_tbEUlT_E_NS1_11comp_targetILNS1_3genE5ELNS1_11target_archE942ELNS1_3gpuE9ELNS1_3repE0EEENS1_30default_config_static_selectorELNS0_4arch9wavefront6targetE1EEEvT1_,comdat
.Lfunc_end418:
	.size	_ZN7rocprim17ROCPRIM_400000_NS6detail17trampoline_kernelINS0_14default_configENS1_35adjacent_difference_config_selectorILb0ElEEZNS1_24adjacent_difference_implIS3_Lb0ELb0EPlS7_ZN2at6native12_GLOBAL__N_124unique_dim_cuda_templateIiEESt5tupleIJNS8_6TensorESD_SD_EERKSD_lbbbEUlllE1_EE10hipError_tPvRmT2_T3_mT4_P12ihipStream_tbEUlT_E_NS1_11comp_targetILNS1_3genE5ELNS1_11target_archE942ELNS1_3gpuE9ELNS1_3repE0EEENS1_30default_config_static_selectorELNS0_4arch9wavefront6targetE1EEEvT1_, .Lfunc_end418-_ZN7rocprim17ROCPRIM_400000_NS6detail17trampoline_kernelINS0_14default_configENS1_35adjacent_difference_config_selectorILb0ElEEZNS1_24adjacent_difference_implIS3_Lb0ELb0EPlS7_ZN2at6native12_GLOBAL__N_124unique_dim_cuda_templateIiEESt5tupleIJNS8_6TensorESD_SD_EERKSD_lbbbEUlllE1_EE10hipError_tPvRmT2_T3_mT4_P12ihipStream_tbEUlT_E_NS1_11comp_targetILNS1_3genE5ELNS1_11target_archE942ELNS1_3gpuE9ELNS1_3repE0EEENS1_30default_config_static_selectorELNS0_4arch9wavefront6targetE1EEEvT1_
                                        ; -- End function
	.set _ZN7rocprim17ROCPRIM_400000_NS6detail17trampoline_kernelINS0_14default_configENS1_35adjacent_difference_config_selectorILb0ElEEZNS1_24adjacent_difference_implIS3_Lb0ELb0EPlS7_ZN2at6native12_GLOBAL__N_124unique_dim_cuda_templateIiEESt5tupleIJNS8_6TensorESD_SD_EERKSD_lbbbEUlllE1_EE10hipError_tPvRmT2_T3_mT4_P12ihipStream_tbEUlT_E_NS1_11comp_targetILNS1_3genE5ELNS1_11target_archE942ELNS1_3gpuE9ELNS1_3repE0EEENS1_30default_config_static_selectorELNS0_4arch9wavefront6targetE1EEEvT1_.num_vgpr, 0
	.set _ZN7rocprim17ROCPRIM_400000_NS6detail17trampoline_kernelINS0_14default_configENS1_35adjacent_difference_config_selectorILb0ElEEZNS1_24adjacent_difference_implIS3_Lb0ELb0EPlS7_ZN2at6native12_GLOBAL__N_124unique_dim_cuda_templateIiEESt5tupleIJNS8_6TensorESD_SD_EERKSD_lbbbEUlllE1_EE10hipError_tPvRmT2_T3_mT4_P12ihipStream_tbEUlT_E_NS1_11comp_targetILNS1_3genE5ELNS1_11target_archE942ELNS1_3gpuE9ELNS1_3repE0EEENS1_30default_config_static_selectorELNS0_4arch9wavefront6targetE1EEEvT1_.num_agpr, 0
	.set _ZN7rocprim17ROCPRIM_400000_NS6detail17trampoline_kernelINS0_14default_configENS1_35adjacent_difference_config_selectorILb0ElEEZNS1_24adjacent_difference_implIS3_Lb0ELb0EPlS7_ZN2at6native12_GLOBAL__N_124unique_dim_cuda_templateIiEESt5tupleIJNS8_6TensorESD_SD_EERKSD_lbbbEUlllE1_EE10hipError_tPvRmT2_T3_mT4_P12ihipStream_tbEUlT_E_NS1_11comp_targetILNS1_3genE5ELNS1_11target_archE942ELNS1_3gpuE9ELNS1_3repE0EEENS1_30default_config_static_selectorELNS0_4arch9wavefront6targetE1EEEvT1_.numbered_sgpr, 0
	.set _ZN7rocprim17ROCPRIM_400000_NS6detail17trampoline_kernelINS0_14default_configENS1_35adjacent_difference_config_selectorILb0ElEEZNS1_24adjacent_difference_implIS3_Lb0ELb0EPlS7_ZN2at6native12_GLOBAL__N_124unique_dim_cuda_templateIiEESt5tupleIJNS8_6TensorESD_SD_EERKSD_lbbbEUlllE1_EE10hipError_tPvRmT2_T3_mT4_P12ihipStream_tbEUlT_E_NS1_11comp_targetILNS1_3genE5ELNS1_11target_archE942ELNS1_3gpuE9ELNS1_3repE0EEENS1_30default_config_static_selectorELNS0_4arch9wavefront6targetE1EEEvT1_.num_named_barrier, 0
	.set _ZN7rocprim17ROCPRIM_400000_NS6detail17trampoline_kernelINS0_14default_configENS1_35adjacent_difference_config_selectorILb0ElEEZNS1_24adjacent_difference_implIS3_Lb0ELb0EPlS7_ZN2at6native12_GLOBAL__N_124unique_dim_cuda_templateIiEESt5tupleIJNS8_6TensorESD_SD_EERKSD_lbbbEUlllE1_EE10hipError_tPvRmT2_T3_mT4_P12ihipStream_tbEUlT_E_NS1_11comp_targetILNS1_3genE5ELNS1_11target_archE942ELNS1_3gpuE9ELNS1_3repE0EEENS1_30default_config_static_selectorELNS0_4arch9wavefront6targetE1EEEvT1_.private_seg_size, 0
	.set _ZN7rocprim17ROCPRIM_400000_NS6detail17trampoline_kernelINS0_14default_configENS1_35adjacent_difference_config_selectorILb0ElEEZNS1_24adjacent_difference_implIS3_Lb0ELb0EPlS7_ZN2at6native12_GLOBAL__N_124unique_dim_cuda_templateIiEESt5tupleIJNS8_6TensorESD_SD_EERKSD_lbbbEUlllE1_EE10hipError_tPvRmT2_T3_mT4_P12ihipStream_tbEUlT_E_NS1_11comp_targetILNS1_3genE5ELNS1_11target_archE942ELNS1_3gpuE9ELNS1_3repE0EEENS1_30default_config_static_selectorELNS0_4arch9wavefront6targetE1EEEvT1_.uses_vcc, 0
	.set _ZN7rocprim17ROCPRIM_400000_NS6detail17trampoline_kernelINS0_14default_configENS1_35adjacent_difference_config_selectorILb0ElEEZNS1_24adjacent_difference_implIS3_Lb0ELb0EPlS7_ZN2at6native12_GLOBAL__N_124unique_dim_cuda_templateIiEESt5tupleIJNS8_6TensorESD_SD_EERKSD_lbbbEUlllE1_EE10hipError_tPvRmT2_T3_mT4_P12ihipStream_tbEUlT_E_NS1_11comp_targetILNS1_3genE5ELNS1_11target_archE942ELNS1_3gpuE9ELNS1_3repE0EEENS1_30default_config_static_selectorELNS0_4arch9wavefront6targetE1EEEvT1_.uses_flat_scratch, 0
	.set _ZN7rocprim17ROCPRIM_400000_NS6detail17trampoline_kernelINS0_14default_configENS1_35adjacent_difference_config_selectorILb0ElEEZNS1_24adjacent_difference_implIS3_Lb0ELb0EPlS7_ZN2at6native12_GLOBAL__N_124unique_dim_cuda_templateIiEESt5tupleIJNS8_6TensorESD_SD_EERKSD_lbbbEUlllE1_EE10hipError_tPvRmT2_T3_mT4_P12ihipStream_tbEUlT_E_NS1_11comp_targetILNS1_3genE5ELNS1_11target_archE942ELNS1_3gpuE9ELNS1_3repE0EEENS1_30default_config_static_selectorELNS0_4arch9wavefront6targetE1EEEvT1_.has_dyn_sized_stack, 0
	.set _ZN7rocprim17ROCPRIM_400000_NS6detail17trampoline_kernelINS0_14default_configENS1_35adjacent_difference_config_selectorILb0ElEEZNS1_24adjacent_difference_implIS3_Lb0ELb0EPlS7_ZN2at6native12_GLOBAL__N_124unique_dim_cuda_templateIiEESt5tupleIJNS8_6TensorESD_SD_EERKSD_lbbbEUlllE1_EE10hipError_tPvRmT2_T3_mT4_P12ihipStream_tbEUlT_E_NS1_11comp_targetILNS1_3genE5ELNS1_11target_archE942ELNS1_3gpuE9ELNS1_3repE0EEENS1_30default_config_static_selectorELNS0_4arch9wavefront6targetE1EEEvT1_.has_recursion, 0
	.set _ZN7rocprim17ROCPRIM_400000_NS6detail17trampoline_kernelINS0_14default_configENS1_35adjacent_difference_config_selectorILb0ElEEZNS1_24adjacent_difference_implIS3_Lb0ELb0EPlS7_ZN2at6native12_GLOBAL__N_124unique_dim_cuda_templateIiEESt5tupleIJNS8_6TensorESD_SD_EERKSD_lbbbEUlllE1_EE10hipError_tPvRmT2_T3_mT4_P12ihipStream_tbEUlT_E_NS1_11comp_targetILNS1_3genE5ELNS1_11target_archE942ELNS1_3gpuE9ELNS1_3repE0EEENS1_30default_config_static_selectorELNS0_4arch9wavefront6targetE1EEEvT1_.has_indirect_call, 0
	.section	.AMDGPU.csdata,"",@progbits
; Kernel info:
; codeLenInByte = 0
; TotalNumSgprs: 6
; NumVgprs: 0
; NumAgprs: 0
; TotalNumVgprs: 0
; ScratchSize: 0
; MemoryBound: 0
; FloatMode: 240
; IeeeMode: 1
; LDSByteSize: 0 bytes/workgroup (compile time only)
; SGPRBlocks: 0
; VGPRBlocks: 0
; NumSGPRsForWavesPerEU: 6
; NumVGPRsForWavesPerEU: 1
; AccumOffset: 4
; Occupancy: 8
; WaveLimiterHint : 0
; COMPUTE_PGM_RSRC2:SCRATCH_EN: 0
; COMPUTE_PGM_RSRC2:USER_SGPR: 2
; COMPUTE_PGM_RSRC2:TRAP_HANDLER: 0
; COMPUTE_PGM_RSRC2:TGID_X_EN: 1
; COMPUTE_PGM_RSRC2:TGID_Y_EN: 0
; COMPUTE_PGM_RSRC2:TGID_Z_EN: 0
; COMPUTE_PGM_RSRC2:TIDIG_COMP_CNT: 0
; COMPUTE_PGM_RSRC3_GFX90A:ACCUM_OFFSET: 0
; COMPUTE_PGM_RSRC3_GFX90A:TG_SPLIT: 0
	.section	.text._ZN7rocprim17ROCPRIM_400000_NS6detail17trampoline_kernelINS0_14default_configENS1_35adjacent_difference_config_selectorILb0ElEEZNS1_24adjacent_difference_implIS3_Lb0ELb0EPlS7_ZN2at6native12_GLOBAL__N_124unique_dim_cuda_templateIiEESt5tupleIJNS8_6TensorESD_SD_EERKSD_lbbbEUlllE1_EE10hipError_tPvRmT2_T3_mT4_P12ihipStream_tbEUlT_E_NS1_11comp_targetILNS1_3genE4ELNS1_11target_archE910ELNS1_3gpuE8ELNS1_3repE0EEENS1_30default_config_static_selectorELNS0_4arch9wavefront6targetE1EEEvT1_,"axG",@progbits,_ZN7rocprim17ROCPRIM_400000_NS6detail17trampoline_kernelINS0_14default_configENS1_35adjacent_difference_config_selectorILb0ElEEZNS1_24adjacent_difference_implIS3_Lb0ELb0EPlS7_ZN2at6native12_GLOBAL__N_124unique_dim_cuda_templateIiEESt5tupleIJNS8_6TensorESD_SD_EERKSD_lbbbEUlllE1_EE10hipError_tPvRmT2_T3_mT4_P12ihipStream_tbEUlT_E_NS1_11comp_targetILNS1_3genE4ELNS1_11target_archE910ELNS1_3gpuE8ELNS1_3repE0EEENS1_30default_config_static_selectorELNS0_4arch9wavefront6targetE1EEEvT1_,comdat
	.globl	_ZN7rocprim17ROCPRIM_400000_NS6detail17trampoline_kernelINS0_14default_configENS1_35adjacent_difference_config_selectorILb0ElEEZNS1_24adjacent_difference_implIS3_Lb0ELb0EPlS7_ZN2at6native12_GLOBAL__N_124unique_dim_cuda_templateIiEESt5tupleIJNS8_6TensorESD_SD_EERKSD_lbbbEUlllE1_EE10hipError_tPvRmT2_T3_mT4_P12ihipStream_tbEUlT_E_NS1_11comp_targetILNS1_3genE4ELNS1_11target_archE910ELNS1_3gpuE8ELNS1_3repE0EEENS1_30default_config_static_selectorELNS0_4arch9wavefront6targetE1EEEvT1_ ; -- Begin function _ZN7rocprim17ROCPRIM_400000_NS6detail17trampoline_kernelINS0_14default_configENS1_35adjacent_difference_config_selectorILb0ElEEZNS1_24adjacent_difference_implIS3_Lb0ELb0EPlS7_ZN2at6native12_GLOBAL__N_124unique_dim_cuda_templateIiEESt5tupleIJNS8_6TensorESD_SD_EERKSD_lbbbEUlllE1_EE10hipError_tPvRmT2_T3_mT4_P12ihipStream_tbEUlT_E_NS1_11comp_targetILNS1_3genE4ELNS1_11target_archE910ELNS1_3gpuE8ELNS1_3repE0EEENS1_30default_config_static_selectorELNS0_4arch9wavefront6targetE1EEEvT1_
	.p2align	8
	.type	_ZN7rocprim17ROCPRIM_400000_NS6detail17trampoline_kernelINS0_14default_configENS1_35adjacent_difference_config_selectorILb0ElEEZNS1_24adjacent_difference_implIS3_Lb0ELb0EPlS7_ZN2at6native12_GLOBAL__N_124unique_dim_cuda_templateIiEESt5tupleIJNS8_6TensorESD_SD_EERKSD_lbbbEUlllE1_EE10hipError_tPvRmT2_T3_mT4_P12ihipStream_tbEUlT_E_NS1_11comp_targetILNS1_3genE4ELNS1_11target_archE910ELNS1_3gpuE8ELNS1_3repE0EEENS1_30default_config_static_selectorELNS0_4arch9wavefront6targetE1EEEvT1_,@function
_ZN7rocprim17ROCPRIM_400000_NS6detail17trampoline_kernelINS0_14default_configENS1_35adjacent_difference_config_selectorILb0ElEEZNS1_24adjacent_difference_implIS3_Lb0ELb0EPlS7_ZN2at6native12_GLOBAL__N_124unique_dim_cuda_templateIiEESt5tupleIJNS8_6TensorESD_SD_EERKSD_lbbbEUlllE1_EE10hipError_tPvRmT2_T3_mT4_P12ihipStream_tbEUlT_E_NS1_11comp_targetILNS1_3genE4ELNS1_11target_archE910ELNS1_3gpuE8ELNS1_3repE0EEENS1_30default_config_static_selectorELNS0_4arch9wavefront6targetE1EEEvT1_: ; @_ZN7rocprim17ROCPRIM_400000_NS6detail17trampoline_kernelINS0_14default_configENS1_35adjacent_difference_config_selectorILb0ElEEZNS1_24adjacent_difference_implIS3_Lb0ELb0EPlS7_ZN2at6native12_GLOBAL__N_124unique_dim_cuda_templateIiEESt5tupleIJNS8_6TensorESD_SD_EERKSD_lbbbEUlllE1_EE10hipError_tPvRmT2_T3_mT4_P12ihipStream_tbEUlT_E_NS1_11comp_targetILNS1_3genE4ELNS1_11target_archE910ELNS1_3gpuE8ELNS1_3repE0EEENS1_30default_config_static_selectorELNS0_4arch9wavefront6targetE1EEEvT1_
; %bb.0:
	.section	.rodata,"a",@progbits
	.p2align	6, 0x0
	.amdhsa_kernel _ZN7rocprim17ROCPRIM_400000_NS6detail17trampoline_kernelINS0_14default_configENS1_35adjacent_difference_config_selectorILb0ElEEZNS1_24adjacent_difference_implIS3_Lb0ELb0EPlS7_ZN2at6native12_GLOBAL__N_124unique_dim_cuda_templateIiEESt5tupleIJNS8_6TensorESD_SD_EERKSD_lbbbEUlllE1_EE10hipError_tPvRmT2_T3_mT4_P12ihipStream_tbEUlT_E_NS1_11comp_targetILNS1_3genE4ELNS1_11target_archE910ELNS1_3gpuE8ELNS1_3repE0EEENS1_30default_config_static_selectorELNS0_4arch9wavefront6targetE1EEEvT1_
		.amdhsa_group_segment_fixed_size 0
		.amdhsa_private_segment_fixed_size 0
		.amdhsa_kernarg_size 64
		.amdhsa_user_sgpr_count 2
		.amdhsa_user_sgpr_dispatch_ptr 0
		.amdhsa_user_sgpr_queue_ptr 0
		.amdhsa_user_sgpr_kernarg_segment_ptr 1
		.amdhsa_user_sgpr_dispatch_id 0
		.amdhsa_user_sgpr_kernarg_preload_length 0
		.amdhsa_user_sgpr_kernarg_preload_offset 0
		.amdhsa_user_sgpr_private_segment_size 0
		.amdhsa_uses_dynamic_stack 0
		.amdhsa_enable_private_segment 0
		.amdhsa_system_sgpr_workgroup_id_x 1
		.amdhsa_system_sgpr_workgroup_id_y 0
		.amdhsa_system_sgpr_workgroup_id_z 0
		.amdhsa_system_sgpr_workgroup_info 0
		.amdhsa_system_vgpr_workitem_id 0
		.amdhsa_next_free_vgpr 1
		.amdhsa_next_free_sgpr 0
		.amdhsa_accum_offset 4
		.amdhsa_reserve_vcc 0
		.amdhsa_float_round_mode_32 0
		.amdhsa_float_round_mode_16_64 0
		.amdhsa_float_denorm_mode_32 3
		.amdhsa_float_denorm_mode_16_64 3
		.amdhsa_dx10_clamp 1
		.amdhsa_ieee_mode 1
		.amdhsa_fp16_overflow 0
		.amdhsa_tg_split 0
		.amdhsa_exception_fp_ieee_invalid_op 0
		.amdhsa_exception_fp_denorm_src 0
		.amdhsa_exception_fp_ieee_div_zero 0
		.amdhsa_exception_fp_ieee_overflow 0
		.amdhsa_exception_fp_ieee_underflow 0
		.amdhsa_exception_fp_ieee_inexact 0
		.amdhsa_exception_int_div_zero 0
	.end_amdhsa_kernel
	.section	.text._ZN7rocprim17ROCPRIM_400000_NS6detail17trampoline_kernelINS0_14default_configENS1_35adjacent_difference_config_selectorILb0ElEEZNS1_24adjacent_difference_implIS3_Lb0ELb0EPlS7_ZN2at6native12_GLOBAL__N_124unique_dim_cuda_templateIiEESt5tupleIJNS8_6TensorESD_SD_EERKSD_lbbbEUlllE1_EE10hipError_tPvRmT2_T3_mT4_P12ihipStream_tbEUlT_E_NS1_11comp_targetILNS1_3genE4ELNS1_11target_archE910ELNS1_3gpuE8ELNS1_3repE0EEENS1_30default_config_static_selectorELNS0_4arch9wavefront6targetE1EEEvT1_,"axG",@progbits,_ZN7rocprim17ROCPRIM_400000_NS6detail17trampoline_kernelINS0_14default_configENS1_35adjacent_difference_config_selectorILb0ElEEZNS1_24adjacent_difference_implIS3_Lb0ELb0EPlS7_ZN2at6native12_GLOBAL__N_124unique_dim_cuda_templateIiEESt5tupleIJNS8_6TensorESD_SD_EERKSD_lbbbEUlllE1_EE10hipError_tPvRmT2_T3_mT4_P12ihipStream_tbEUlT_E_NS1_11comp_targetILNS1_3genE4ELNS1_11target_archE910ELNS1_3gpuE8ELNS1_3repE0EEENS1_30default_config_static_selectorELNS0_4arch9wavefront6targetE1EEEvT1_,comdat
.Lfunc_end419:
	.size	_ZN7rocprim17ROCPRIM_400000_NS6detail17trampoline_kernelINS0_14default_configENS1_35adjacent_difference_config_selectorILb0ElEEZNS1_24adjacent_difference_implIS3_Lb0ELb0EPlS7_ZN2at6native12_GLOBAL__N_124unique_dim_cuda_templateIiEESt5tupleIJNS8_6TensorESD_SD_EERKSD_lbbbEUlllE1_EE10hipError_tPvRmT2_T3_mT4_P12ihipStream_tbEUlT_E_NS1_11comp_targetILNS1_3genE4ELNS1_11target_archE910ELNS1_3gpuE8ELNS1_3repE0EEENS1_30default_config_static_selectorELNS0_4arch9wavefront6targetE1EEEvT1_, .Lfunc_end419-_ZN7rocprim17ROCPRIM_400000_NS6detail17trampoline_kernelINS0_14default_configENS1_35adjacent_difference_config_selectorILb0ElEEZNS1_24adjacent_difference_implIS3_Lb0ELb0EPlS7_ZN2at6native12_GLOBAL__N_124unique_dim_cuda_templateIiEESt5tupleIJNS8_6TensorESD_SD_EERKSD_lbbbEUlllE1_EE10hipError_tPvRmT2_T3_mT4_P12ihipStream_tbEUlT_E_NS1_11comp_targetILNS1_3genE4ELNS1_11target_archE910ELNS1_3gpuE8ELNS1_3repE0EEENS1_30default_config_static_selectorELNS0_4arch9wavefront6targetE1EEEvT1_
                                        ; -- End function
	.set _ZN7rocprim17ROCPRIM_400000_NS6detail17trampoline_kernelINS0_14default_configENS1_35adjacent_difference_config_selectorILb0ElEEZNS1_24adjacent_difference_implIS3_Lb0ELb0EPlS7_ZN2at6native12_GLOBAL__N_124unique_dim_cuda_templateIiEESt5tupleIJNS8_6TensorESD_SD_EERKSD_lbbbEUlllE1_EE10hipError_tPvRmT2_T3_mT4_P12ihipStream_tbEUlT_E_NS1_11comp_targetILNS1_3genE4ELNS1_11target_archE910ELNS1_3gpuE8ELNS1_3repE0EEENS1_30default_config_static_selectorELNS0_4arch9wavefront6targetE1EEEvT1_.num_vgpr, 0
	.set _ZN7rocprim17ROCPRIM_400000_NS6detail17trampoline_kernelINS0_14default_configENS1_35adjacent_difference_config_selectorILb0ElEEZNS1_24adjacent_difference_implIS3_Lb0ELb0EPlS7_ZN2at6native12_GLOBAL__N_124unique_dim_cuda_templateIiEESt5tupleIJNS8_6TensorESD_SD_EERKSD_lbbbEUlllE1_EE10hipError_tPvRmT2_T3_mT4_P12ihipStream_tbEUlT_E_NS1_11comp_targetILNS1_3genE4ELNS1_11target_archE910ELNS1_3gpuE8ELNS1_3repE0EEENS1_30default_config_static_selectorELNS0_4arch9wavefront6targetE1EEEvT1_.num_agpr, 0
	.set _ZN7rocprim17ROCPRIM_400000_NS6detail17trampoline_kernelINS0_14default_configENS1_35adjacent_difference_config_selectorILb0ElEEZNS1_24adjacent_difference_implIS3_Lb0ELb0EPlS7_ZN2at6native12_GLOBAL__N_124unique_dim_cuda_templateIiEESt5tupleIJNS8_6TensorESD_SD_EERKSD_lbbbEUlllE1_EE10hipError_tPvRmT2_T3_mT4_P12ihipStream_tbEUlT_E_NS1_11comp_targetILNS1_3genE4ELNS1_11target_archE910ELNS1_3gpuE8ELNS1_3repE0EEENS1_30default_config_static_selectorELNS0_4arch9wavefront6targetE1EEEvT1_.numbered_sgpr, 0
	.set _ZN7rocprim17ROCPRIM_400000_NS6detail17trampoline_kernelINS0_14default_configENS1_35adjacent_difference_config_selectorILb0ElEEZNS1_24adjacent_difference_implIS3_Lb0ELb0EPlS7_ZN2at6native12_GLOBAL__N_124unique_dim_cuda_templateIiEESt5tupleIJNS8_6TensorESD_SD_EERKSD_lbbbEUlllE1_EE10hipError_tPvRmT2_T3_mT4_P12ihipStream_tbEUlT_E_NS1_11comp_targetILNS1_3genE4ELNS1_11target_archE910ELNS1_3gpuE8ELNS1_3repE0EEENS1_30default_config_static_selectorELNS0_4arch9wavefront6targetE1EEEvT1_.num_named_barrier, 0
	.set _ZN7rocprim17ROCPRIM_400000_NS6detail17trampoline_kernelINS0_14default_configENS1_35adjacent_difference_config_selectorILb0ElEEZNS1_24adjacent_difference_implIS3_Lb0ELb0EPlS7_ZN2at6native12_GLOBAL__N_124unique_dim_cuda_templateIiEESt5tupleIJNS8_6TensorESD_SD_EERKSD_lbbbEUlllE1_EE10hipError_tPvRmT2_T3_mT4_P12ihipStream_tbEUlT_E_NS1_11comp_targetILNS1_3genE4ELNS1_11target_archE910ELNS1_3gpuE8ELNS1_3repE0EEENS1_30default_config_static_selectorELNS0_4arch9wavefront6targetE1EEEvT1_.private_seg_size, 0
	.set _ZN7rocprim17ROCPRIM_400000_NS6detail17trampoline_kernelINS0_14default_configENS1_35adjacent_difference_config_selectorILb0ElEEZNS1_24adjacent_difference_implIS3_Lb0ELb0EPlS7_ZN2at6native12_GLOBAL__N_124unique_dim_cuda_templateIiEESt5tupleIJNS8_6TensorESD_SD_EERKSD_lbbbEUlllE1_EE10hipError_tPvRmT2_T3_mT4_P12ihipStream_tbEUlT_E_NS1_11comp_targetILNS1_3genE4ELNS1_11target_archE910ELNS1_3gpuE8ELNS1_3repE0EEENS1_30default_config_static_selectorELNS0_4arch9wavefront6targetE1EEEvT1_.uses_vcc, 0
	.set _ZN7rocprim17ROCPRIM_400000_NS6detail17trampoline_kernelINS0_14default_configENS1_35adjacent_difference_config_selectorILb0ElEEZNS1_24adjacent_difference_implIS3_Lb0ELb0EPlS7_ZN2at6native12_GLOBAL__N_124unique_dim_cuda_templateIiEESt5tupleIJNS8_6TensorESD_SD_EERKSD_lbbbEUlllE1_EE10hipError_tPvRmT2_T3_mT4_P12ihipStream_tbEUlT_E_NS1_11comp_targetILNS1_3genE4ELNS1_11target_archE910ELNS1_3gpuE8ELNS1_3repE0EEENS1_30default_config_static_selectorELNS0_4arch9wavefront6targetE1EEEvT1_.uses_flat_scratch, 0
	.set _ZN7rocprim17ROCPRIM_400000_NS6detail17trampoline_kernelINS0_14default_configENS1_35adjacent_difference_config_selectorILb0ElEEZNS1_24adjacent_difference_implIS3_Lb0ELb0EPlS7_ZN2at6native12_GLOBAL__N_124unique_dim_cuda_templateIiEESt5tupleIJNS8_6TensorESD_SD_EERKSD_lbbbEUlllE1_EE10hipError_tPvRmT2_T3_mT4_P12ihipStream_tbEUlT_E_NS1_11comp_targetILNS1_3genE4ELNS1_11target_archE910ELNS1_3gpuE8ELNS1_3repE0EEENS1_30default_config_static_selectorELNS0_4arch9wavefront6targetE1EEEvT1_.has_dyn_sized_stack, 0
	.set _ZN7rocprim17ROCPRIM_400000_NS6detail17trampoline_kernelINS0_14default_configENS1_35adjacent_difference_config_selectorILb0ElEEZNS1_24adjacent_difference_implIS3_Lb0ELb0EPlS7_ZN2at6native12_GLOBAL__N_124unique_dim_cuda_templateIiEESt5tupleIJNS8_6TensorESD_SD_EERKSD_lbbbEUlllE1_EE10hipError_tPvRmT2_T3_mT4_P12ihipStream_tbEUlT_E_NS1_11comp_targetILNS1_3genE4ELNS1_11target_archE910ELNS1_3gpuE8ELNS1_3repE0EEENS1_30default_config_static_selectorELNS0_4arch9wavefront6targetE1EEEvT1_.has_recursion, 0
	.set _ZN7rocprim17ROCPRIM_400000_NS6detail17trampoline_kernelINS0_14default_configENS1_35adjacent_difference_config_selectorILb0ElEEZNS1_24adjacent_difference_implIS3_Lb0ELb0EPlS7_ZN2at6native12_GLOBAL__N_124unique_dim_cuda_templateIiEESt5tupleIJNS8_6TensorESD_SD_EERKSD_lbbbEUlllE1_EE10hipError_tPvRmT2_T3_mT4_P12ihipStream_tbEUlT_E_NS1_11comp_targetILNS1_3genE4ELNS1_11target_archE910ELNS1_3gpuE8ELNS1_3repE0EEENS1_30default_config_static_selectorELNS0_4arch9wavefront6targetE1EEEvT1_.has_indirect_call, 0
	.section	.AMDGPU.csdata,"",@progbits
; Kernel info:
; codeLenInByte = 0
; TotalNumSgprs: 6
; NumVgprs: 0
; NumAgprs: 0
; TotalNumVgprs: 0
; ScratchSize: 0
; MemoryBound: 0
; FloatMode: 240
; IeeeMode: 1
; LDSByteSize: 0 bytes/workgroup (compile time only)
; SGPRBlocks: 0
; VGPRBlocks: 0
; NumSGPRsForWavesPerEU: 6
; NumVGPRsForWavesPerEU: 1
; AccumOffset: 4
; Occupancy: 8
; WaveLimiterHint : 0
; COMPUTE_PGM_RSRC2:SCRATCH_EN: 0
; COMPUTE_PGM_RSRC2:USER_SGPR: 2
; COMPUTE_PGM_RSRC2:TRAP_HANDLER: 0
; COMPUTE_PGM_RSRC2:TGID_X_EN: 1
; COMPUTE_PGM_RSRC2:TGID_Y_EN: 0
; COMPUTE_PGM_RSRC2:TGID_Z_EN: 0
; COMPUTE_PGM_RSRC2:TIDIG_COMP_CNT: 0
; COMPUTE_PGM_RSRC3_GFX90A:ACCUM_OFFSET: 0
; COMPUTE_PGM_RSRC3_GFX90A:TG_SPLIT: 0
	.section	.text._ZN7rocprim17ROCPRIM_400000_NS6detail17trampoline_kernelINS0_14default_configENS1_35adjacent_difference_config_selectorILb0ElEEZNS1_24adjacent_difference_implIS3_Lb0ELb0EPlS7_ZN2at6native12_GLOBAL__N_124unique_dim_cuda_templateIiEESt5tupleIJNS8_6TensorESD_SD_EERKSD_lbbbEUlllE1_EE10hipError_tPvRmT2_T3_mT4_P12ihipStream_tbEUlT_E_NS1_11comp_targetILNS1_3genE3ELNS1_11target_archE908ELNS1_3gpuE7ELNS1_3repE0EEENS1_30default_config_static_selectorELNS0_4arch9wavefront6targetE1EEEvT1_,"axG",@progbits,_ZN7rocprim17ROCPRIM_400000_NS6detail17trampoline_kernelINS0_14default_configENS1_35adjacent_difference_config_selectorILb0ElEEZNS1_24adjacent_difference_implIS3_Lb0ELb0EPlS7_ZN2at6native12_GLOBAL__N_124unique_dim_cuda_templateIiEESt5tupleIJNS8_6TensorESD_SD_EERKSD_lbbbEUlllE1_EE10hipError_tPvRmT2_T3_mT4_P12ihipStream_tbEUlT_E_NS1_11comp_targetILNS1_3genE3ELNS1_11target_archE908ELNS1_3gpuE7ELNS1_3repE0EEENS1_30default_config_static_selectorELNS0_4arch9wavefront6targetE1EEEvT1_,comdat
	.globl	_ZN7rocprim17ROCPRIM_400000_NS6detail17trampoline_kernelINS0_14default_configENS1_35adjacent_difference_config_selectorILb0ElEEZNS1_24adjacent_difference_implIS3_Lb0ELb0EPlS7_ZN2at6native12_GLOBAL__N_124unique_dim_cuda_templateIiEESt5tupleIJNS8_6TensorESD_SD_EERKSD_lbbbEUlllE1_EE10hipError_tPvRmT2_T3_mT4_P12ihipStream_tbEUlT_E_NS1_11comp_targetILNS1_3genE3ELNS1_11target_archE908ELNS1_3gpuE7ELNS1_3repE0EEENS1_30default_config_static_selectorELNS0_4arch9wavefront6targetE1EEEvT1_ ; -- Begin function _ZN7rocprim17ROCPRIM_400000_NS6detail17trampoline_kernelINS0_14default_configENS1_35adjacent_difference_config_selectorILb0ElEEZNS1_24adjacent_difference_implIS3_Lb0ELb0EPlS7_ZN2at6native12_GLOBAL__N_124unique_dim_cuda_templateIiEESt5tupleIJNS8_6TensorESD_SD_EERKSD_lbbbEUlllE1_EE10hipError_tPvRmT2_T3_mT4_P12ihipStream_tbEUlT_E_NS1_11comp_targetILNS1_3genE3ELNS1_11target_archE908ELNS1_3gpuE7ELNS1_3repE0EEENS1_30default_config_static_selectorELNS0_4arch9wavefront6targetE1EEEvT1_
	.p2align	8
	.type	_ZN7rocprim17ROCPRIM_400000_NS6detail17trampoline_kernelINS0_14default_configENS1_35adjacent_difference_config_selectorILb0ElEEZNS1_24adjacent_difference_implIS3_Lb0ELb0EPlS7_ZN2at6native12_GLOBAL__N_124unique_dim_cuda_templateIiEESt5tupleIJNS8_6TensorESD_SD_EERKSD_lbbbEUlllE1_EE10hipError_tPvRmT2_T3_mT4_P12ihipStream_tbEUlT_E_NS1_11comp_targetILNS1_3genE3ELNS1_11target_archE908ELNS1_3gpuE7ELNS1_3repE0EEENS1_30default_config_static_selectorELNS0_4arch9wavefront6targetE1EEEvT1_,@function
_ZN7rocprim17ROCPRIM_400000_NS6detail17trampoline_kernelINS0_14default_configENS1_35adjacent_difference_config_selectorILb0ElEEZNS1_24adjacent_difference_implIS3_Lb0ELb0EPlS7_ZN2at6native12_GLOBAL__N_124unique_dim_cuda_templateIiEESt5tupleIJNS8_6TensorESD_SD_EERKSD_lbbbEUlllE1_EE10hipError_tPvRmT2_T3_mT4_P12ihipStream_tbEUlT_E_NS1_11comp_targetILNS1_3genE3ELNS1_11target_archE908ELNS1_3gpuE7ELNS1_3repE0EEENS1_30default_config_static_selectorELNS0_4arch9wavefront6targetE1EEEvT1_: ; @_ZN7rocprim17ROCPRIM_400000_NS6detail17trampoline_kernelINS0_14default_configENS1_35adjacent_difference_config_selectorILb0ElEEZNS1_24adjacent_difference_implIS3_Lb0ELb0EPlS7_ZN2at6native12_GLOBAL__N_124unique_dim_cuda_templateIiEESt5tupleIJNS8_6TensorESD_SD_EERKSD_lbbbEUlllE1_EE10hipError_tPvRmT2_T3_mT4_P12ihipStream_tbEUlT_E_NS1_11comp_targetILNS1_3genE3ELNS1_11target_archE908ELNS1_3gpuE7ELNS1_3repE0EEENS1_30default_config_static_selectorELNS0_4arch9wavefront6targetE1EEEvT1_
; %bb.0:
	.section	.rodata,"a",@progbits
	.p2align	6, 0x0
	.amdhsa_kernel _ZN7rocprim17ROCPRIM_400000_NS6detail17trampoline_kernelINS0_14default_configENS1_35adjacent_difference_config_selectorILb0ElEEZNS1_24adjacent_difference_implIS3_Lb0ELb0EPlS7_ZN2at6native12_GLOBAL__N_124unique_dim_cuda_templateIiEESt5tupleIJNS8_6TensorESD_SD_EERKSD_lbbbEUlllE1_EE10hipError_tPvRmT2_T3_mT4_P12ihipStream_tbEUlT_E_NS1_11comp_targetILNS1_3genE3ELNS1_11target_archE908ELNS1_3gpuE7ELNS1_3repE0EEENS1_30default_config_static_selectorELNS0_4arch9wavefront6targetE1EEEvT1_
		.amdhsa_group_segment_fixed_size 0
		.amdhsa_private_segment_fixed_size 0
		.amdhsa_kernarg_size 64
		.amdhsa_user_sgpr_count 2
		.amdhsa_user_sgpr_dispatch_ptr 0
		.amdhsa_user_sgpr_queue_ptr 0
		.amdhsa_user_sgpr_kernarg_segment_ptr 1
		.amdhsa_user_sgpr_dispatch_id 0
		.amdhsa_user_sgpr_kernarg_preload_length 0
		.amdhsa_user_sgpr_kernarg_preload_offset 0
		.amdhsa_user_sgpr_private_segment_size 0
		.amdhsa_uses_dynamic_stack 0
		.amdhsa_enable_private_segment 0
		.amdhsa_system_sgpr_workgroup_id_x 1
		.amdhsa_system_sgpr_workgroup_id_y 0
		.amdhsa_system_sgpr_workgroup_id_z 0
		.amdhsa_system_sgpr_workgroup_info 0
		.amdhsa_system_vgpr_workitem_id 0
		.amdhsa_next_free_vgpr 1
		.amdhsa_next_free_sgpr 0
		.amdhsa_accum_offset 4
		.amdhsa_reserve_vcc 0
		.amdhsa_float_round_mode_32 0
		.amdhsa_float_round_mode_16_64 0
		.amdhsa_float_denorm_mode_32 3
		.amdhsa_float_denorm_mode_16_64 3
		.amdhsa_dx10_clamp 1
		.amdhsa_ieee_mode 1
		.amdhsa_fp16_overflow 0
		.amdhsa_tg_split 0
		.amdhsa_exception_fp_ieee_invalid_op 0
		.amdhsa_exception_fp_denorm_src 0
		.amdhsa_exception_fp_ieee_div_zero 0
		.amdhsa_exception_fp_ieee_overflow 0
		.amdhsa_exception_fp_ieee_underflow 0
		.amdhsa_exception_fp_ieee_inexact 0
		.amdhsa_exception_int_div_zero 0
	.end_amdhsa_kernel
	.section	.text._ZN7rocprim17ROCPRIM_400000_NS6detail17trampoline_kernelINS0_14default_configENS1_35adjacent_difference_config_selectorILb0ElEEZNS1_24adjacent_difference_implIS3_Lb0ELb0EPlS7_ZN2at6native12_GLOBAL__N_124unique_dim_cuda_templateIiEESt5tupleIJNS8_6TensorESD_SD_EERKSD_lbbbEUlllE1_EE10hipError_tPvRmT2_T3_mT4_P12ihipStream_tbEUlT_E_NS1_11comp_targetILNS1_3genE3ELNS1_11target_archE908ELNS1_3gpuE7ELNS1_3repE0EEENS1_30default_config_static_selectorELNS0_4arch9wavefront6targetE1EEEvT1_,"axG",@progbits,_ZN7rocprim17ROCPRIM_400000_NS6detail17trampoline_kernelINS0_14default_configENS1_35adjacent_difference_config_selectorILb0ElEEZNS1_24adjacent_difference_implIS3_Lb0ELb0EPlS7_ZN2at6native12_GLOBAL__N_124unique_dim_cuda_templateIiEESt5tupleIJNS8_6TensorESD_SD_EERKSD_lbbbEUlllE1_EE10hipError_tPvRmT2_T3_mT4_P12ihipStream_tbEUlT_E_NS1_11comp_targetILNS1_3genE3ELNS1_11target_archE908ELNS1_3gpuE7ELNS1_3repE0EEENS1_30default_config_static_selectorELNS0_4arch9wavefront6targetE1EEEvT1_,comdat
.Lfunc_end420:
	.size	_ZN7rocprim17ROCPRIM_400000_NS6detail17trampoline_kernelINS0_14default_configENS1_35adjacent_difference_config_selectorILb0ElEEZNS1_24adjacent_difference_implIS3_Lb0ELb0EPlS7_ZN2at6native12_GLOBAL__N_124unique_dim_cuda_templateIiEESt5tupleIJNS8_6TensorESD_SD_EERKSD_lbbbEUlllE1_EE10hipError_tPvRmT2_T3_mT4_P12ihipStream_tbEUlT_E_NS1_11comp_targetILNS1_3genE3ELNS1_11target_archE908ELNS1_3gpuE7ELNS1_3repE0EEENS1_30default_config_static_selectorELNS0_4arch9wavefront6targetE1EEEvT1_, .Lfunc_end420-_ZN7rocprim17ROCPRIM_400000_NS6detail17trampoline_kernelINS0_14default_configENS1_35adjacent_difference_config_selectorILb0ElEEZNS1_24adjacent_difference_implIS3_Lb0ELb0EPlS7_ZN2at6native12_GLOBAL__N_124unique_dim_cuda_templateIiEESt5tupleIJNS8_6TensorESD_SD_EERKSD_lbbbEUlllE1_EE10hipError_tPvRmT2_T3_mT4_P12ihipStream_tbEUlT_E_NS1_11comp_targetILNS1_3genE3ELNS1_11target_archE908ELNS1_3gpuE7ELNS1_3repE0EEENS1_30default_config_static_selectorELNS0_4arch9wavefront6targetE1EEEvT1_
                                        ; -- End function
	.set _ZN7rocprim17ROCPRIM_400000_NS6detail17trampoline_kernelINS0_14default_configENS1_35adjacent_difference_config_selectorILb0ElEEZNS1_24adjacent_difference_implIS3_Lb0ELb0EPlS7_ZN2at6native12_GLOBAL__N_124unique_dim_cuda_templateIiEESt5tupleIJNS8_6TensorESD_SD_EERKSD_lbbbEUlllE1_EE10hipError_tPvRmT2_T3_mT4_P12ihipStream_tbEUlT_E_NS1_11comp_targetILNS1_3genE3ELNS1_11target_archE908ELNS1_3gpuE7ELNS1_3repE0EEENS1_30default_config_static_selectorELNS0_4arch9wavefront6targetE1EEEvT1_.num_vgpr, 0
	.set _ZN7rocprim17ROCPRIM_400000_NS6detail17trampoline_kernelINS0_14default_configENS1_35adjacent_difference_config_selectorILb0ElEEZNS1_24adjacent_difference_implIS3_Lb0ELb0EPlS7_ZN2at6native12_GLOBAL__N_124unique_dim_cuda_templateIiEESt5tupleIJNS8_6TensorESD_SD_EERKSD_lbbbEUlllE1_EE10hipError_tPvRmT2_T3_mT4_P12ihipStream_tbEUlT_E_NS1_11comp_targetILNS1_3genE3ELNS1_11target_archE908ELNS1_3gpuE7ELNS1_3repE0EEENS1_30default_config_static_selectorELNS0_4arch9wavefront6targetE1EEEvT1_.num_agpr, 0
	.set _ZN7rocprim17ROCPRIM_400000_NS6detail17trampoline_kernelINS0_14default_configENS1_35adjacent_difference_config_selectorILb0ElEEZNS1_24adjacent_difference_implIS3_Lb0ELb0EPlS7_ZN2at6native12_GLOBAL__N_124unique_dim_cuda_templateIiEESt5tupleIJNS8_6TensorESD_SD_EERKSD_lbbbEUlllE1_EE10hipError_tPvRmT2_T3_mT4_P12ihipStream_tbEUlT_E_NS1_11comp_targetILNS1_3genE3ELNS1_11target_archE908ELNS1_3gpuE7ELNS1_3repE0EEENS1_30default_config_static_selectorELNS0_4arch9wavefront6targetE1EEEvT1_.numbered_sgpr, 0
	.set _ZN7rocprim17ROCPRIM_400000_NS6detail17trampoline_kernelINS0_14default_configENS1_35adjacent_difference_config_selectorILb0ElEEZNS1_24adjacent_difference_implIS3_Lb0ELb0EPlS7_ZN2at6native12_GLOBAL__N_124unique_dim_cuda_templateIiEESt5tupleIJNS8_6TensorESD_SD_EERKSD_lbbbEUlllE1_EE10hipError_tPvRmT2_T3_mT4_P12ihipStream_tbEUlT_E_NS1_11comp_targetILNS1_3genE3ELNS1_11target_archE908ELNS1_3gpuE7ELNS1_3repE0EEENS1_30default_config_static_selectorELNS0_4arch9wavefront6targetE1EEEvT1_.num_named_barrier, 0
	.set _ZN7rocprim17ROCPRIM_400000_NS6detail17trampoline_kernelINS0_14default_configENS1_35adjacent_difference_config_selectorILb0ElEEZNS1_24adjacent_difference_implIS3_Lb0ELb0EPlS7_ZN2at6native12_GLOBAL__N_124unique_dim_cuda_templateIiEESt5tupleIJNS8_6TensorESD_SD_EERKSD_lbbbEUlllE1_EE10hipError_tPvRmT2_T3_mT4_P12ihipStream_tbEUlT_E_NS1_11comp_targetILNS1_3genE3ELNS1_11target_archE908ELNS1_3gpuE7ELNS1_3repE0EEENS1_30default_config_static_selectorELNS0_4arch9wavefront6targetE1EEEvT1_.private_seg_size, 0
	.set _ZN7rocprim17ROCPRIM_400000_NS6detail17trampoline_kernelINS0_14default_configENS1_35adjacent_difference_config_selectorILb0ElEEZNS1_24adjacent_difference_implIS3_Lb0ELb0EPlS7_ZN2at6native12_GLOBAL__N_124unique_dim_cuda_templateIiEESt5tupleIJNS8_6TensorESD_SD_EERKSD_lbbbEUlllE1_EE10hipError_tPvRmT2_T3_mT4_P12ihipStream_tbEUlT_E_NS1_11comp_targetILNS1_3genE3ELNS1_11target_archE908ELNS1_3gpuE7ELNS1_3repE0EEENS1_30default_config_static_selectorELNS0_4arch9wavefront6targetE1EEEvT1_.uses_vcc, 0
	.set _ZN7rocprim17ROCPRIM_400000_NS6detail17trampoline_kernelINS0_14default_configENS1_35adjacent_difference_config_selectorILb0ElEEZNS1_24adjacent_difference_implIS3_Lb0ELb0EPlS7_ZN2at6native12_GLOBAL__N_124unique_dim_cuda_templateIiEESt5tupleIJNS8_6TensorESD_SD_EERKSD_lbbbEUlllE1_EE10hipError_tPvRmT2_T3_mT4_P12ihipStream_tbEUlT_E_NS1_11comp_targetILNS1_3genE3ELNS1_11target_archE908ELNS1_3gpuE7ELNS1_3repE0EEENS1_30default_config_static_selectorELNS0_4arch9wavefront6targetE1EEEvT1_.uses_flat_scratch, 0
	.set _ZN7rocprim17ROCPRIM_400000_NS6detail17trampoline_kernelINS0_14default_configENS1_35adjacent_difference_config_selectorILb0ElEEZNS1_24adjacent_difference_implIS3_Lb0ELb0EPlS7_ZN2at6native12_GLOBAL__N_124unique_dim_cuda_templateIiEESt5tupleIJNS8_6TensorESD_SD_EERKSD_lbbbEUlllE1_EE10hipError_tPvRmT2_T3_mT4_P12ihipStream_tbEUlT_E_NS1_11comp_targetILNS1_3genE3ELNS1_11target_archE908ELNS1_3gpuE7ELNS1_3repE0EEENS1_30default_config_static_selectorELNS0_4arch9wavefront6targetE1EEEvT1_.has_dyn_sized_stack, 0
	.set _ZN7rocprim17ROCPRIM_400000_NS6detail17trampoline_kernelINS0_14default_configENS1_35adjacent_difference_config_selectorILb0ElEEZNS1_24adjacent_difference_implIS3_Lb0ELb0EPlS7_ZN2at6native12_GLOBAL__N_124unique_dim_cuda_templateIiEESt5tupleIJNS8_6TensorESD_SD_EERKSD_lbbbEUlllE1_EE10hipError_tPvRmT2_T3_mT4_P12ihipStream_tbEUlT_E_NS1_11comp_targetILNS1_3genE3ELNS1_11target_archE908ELNS1_3gpuE7ELNS1_3repE0EEENS1_30default_config_static_selectorELNS0_4arch9wavefront6targetE1EEEvT1_.has_recursion, 0
	.set _ZN7rocprim17ROCPRIM_400000_NS6detail17trampoline_kernelINS0_14default_configENS1_35adjacent_difference_config_selectorILb0ElEEZNS1_24adjacent_difference_implIS3_Lb0ELb0EPlS7_ZN2at6native12_GLOBAL__N_124unique_dim_cuda_templateIiEESt5tupleIJNS8_6TensorESD_SD_EERKSD_lbbbEUlllE1_EE10hipError_tPvRmT2_T3_mT4_P12ihipStream_tbEUlT_E_NS1_11comp_targetILNS1_3genE3ELNS1_11target_archE908ELNS1_3gpuE7ELNS1_3repE0EEENS1_30default_config_static_selectorELNS0_4arch9wavefront6targetE1EEEvT1_.has_indirect_call, 0
	.section	.AMDGPU.csdata,"",@progbits
; Kernel info:
; codeLenInByte = 0
; TotalNumSgprs: 6
; NumVgprs: 0
; NumAgprs: 0
; TotalNumVgprs: 0
; ScratchSize: 0
; MemoryBound: 0
; FloatMode: 240
; IeeeMode: 1
; LDSByteSize: 0 bytes/workgroup (compile time only)
; SGPRBlocks: 0
; VGPRBlocks: 0
; NumSGPRsForWavesPerEU: 6
; NumVGPRsForWavesPerEU: 1
; AccumOffset: 4
; Occupancy: 8
; WaveLimiterHint : 0
; COMPUTE_PGM_RSRC2:SCRATCH_EN: 0
; COMPUTE_PGM_RSRC2:USER_SGPR: 2
; COMPUTE_PGM_RSRC2:TRAP_HANDLER: 0
; COMPUTE_PGM_RSRC2:TGID_X_EN: 1
; COMPUTE_PGM_RSRC2:TGID_Y_EN: 0
; COMPUTE_PGM_RSRC2:TGID_Z_EN: 0
; COMPUTE_PGM_RSRC2:TIDIG_COMP_CNT: 0
; COMPUTE_PGM_RSRC3_GFX90A:ACCUM_OFFSET: 0
; COMPUTE_PGM_RSRC3_GFX90A:TG_SPLIT: 0
	.section	.text._ZN7rocprim17ROCPRIM_400000_NS6detail17trampoline_kernelINS0_14default_configENS1_35adjacent_difference_config_selectorILb0ElEEZNS1_24adjacent_difference_implIS3_Lb0ELb0EPlS7_ZN2at6native12_GLOBAL__N_124unique_dim_cuda_templateIiEESt5tupleIJNS8_6TensorESD_SD_EERKSD_lbbbEUlllE1_EE10hipError_tPvRmT2_T3_mT4_P12ihipStream_tbEUlT_E_NS1_11comp_targetILNS1_3genE2ELNS1_11target_archE906ELNS1_3gpuE6ELNS1_3repE0EEENS1_30default_config_static_selectorELNS0_4arch9wavefront6targetE1EEEvT1_,"axG",@progbits,_ZN7rocprim17ROCPRIM_400000_NS6detail17trampoline_kernelINS0_14default_configENS1_35adjacent_difference_config_selectorILb0ElEEZNS1_24adjacent_difference_implIS3_Lb0ELb0EPlS7_ZN2at6native12_GLOBAL__N_124unique_dim_cuda_templateIiEESt5tupleIJNS8_6TensorESD_SD_EERKSD_lbbbEUlllE1_EE10hipError_tPvRmT2_T3_mT4_P12ihipStream_tbEUlT_E_NS1_11comp_targetILNS1_3genE2ELNS1_11target_archE906ELNS1_3gpuE6ELNS1_3repE0EEENS1_30default_config_static_selectorELNS0_4arch9wavefront6targetE1EEEvT1_,comdat
	.globl	_ZN7rocprim17ROCPRIM_400000_NS6detail17trampoline_kernelINS0_14default_configENS1_35adjacent_difference_config_selectorILb0ElEEZNS1_24adjacent_difference_implIS3_Lb0ELb0EPlS7_ZN2at6native12_GLOBAL__N_124unique_dim_cuda_templateIiEESt5tupleIJNS8_6TensorESD_SD_EERKSD_lbbbEUlllE1_EE10hipError_tPvRmT2_T3_mT4_P12ihipStream_tbEUlT_E_NS1_11comp_targetILNS1_3genE2ELNS1_11target_archE906ELNS1_3gpuE6ELNS1_3repE0EEENS1_30default_config_static_selectorELNS0_4arch9wavefront6targetE1EEEvT1_ ; -- Begin function _ZN7rocprim17ROCPRIM_400000_NS6detail17trampoline_kernelINS0_14default_configENS1_35adjacent_difference_config_selectorILb0ElEEZNS1_24adjacent_difference_implIS3_Lb0ELb0EPlS7_ZN2at6native12_GLOBAL__N_124unique_dim_cuda_templateIiEESt5tupleIJNS8_6TensorESD_SD_EERKSD_lbbbEUlllE1_EE10hipError_tPvRmT2_T3_mT4_P12ihipStream_tbEUlT_E_NS1_11comp_targetILNS1_3genE2ELNS1_11target_archE906ELNS1_3gpuE6ELNS1_3repE0EEENS1_30default_config_static_selectorELNS0_4arch9wavefront6targetE1EEEvT1_
	.p2align	8
	.type	_ZN7rocprim17ROCPRIM_400000_NS6detail17trampoline_kernelINS0_14default_configENS1_35adjacent_difference_config_selectorILb0ElEEZNS1_24adjacent_difference_implIS3_Lb0ELb0EPlS7_ZN2at6native12_GLOBAL__N_124unique_dim_cuda_templateIiEESt5tupleIJNS8_6TensorESD_SD_EERKSD_lbbbEUlllE1_EE10hipError_tPvRmT2_T3_mT4_P12ihipStream_tbEUlT_E_NS1_11comp_targetILNS1_3genE2ELNS1_11target_archE906ELNS1_3gpuE6ELNS1_3repE0EEENS1_30default_config_static_selectorELNS0_4arch9wavefront6targetE1EEEvT1_,@function
_ZN7rocprim17ROCPRIM_400000_NS6detail17trampoline_kernelINS0_14default_configENS1_35adjacent_difference_config_selectorILb0ElEEZNS1_24adjacent_difference_implIS3_Lb0ELb0EPlS7_ZN2at6native12_GLOBAL__N_124unique_dim_cuda_templateIiEESt5tupleIJNS8_6TensorESD_SD_EERKSD_lbbbEUlllE1_EE10hipError_tPvRmT2_T3_mT4_P12ihipStream_tbEUlT_E_NS1_11comp_targetILNS1_3genE2ELNS1_11target_archE906ELNS1_3gpuE6ELNS1_3repE0EEENS1_30default_config_static_selectorELNS0_4arch9wavefront6targetE1EEEvT1_: ; @_ZN7rocprim17ROCPRIM_400000_NS6detail17trampoline_kernelINS0_14default_configENS1_35adjacent_difference_config_selectorILb0ElEEZNS1_24adjacent_difference_implIS3_Lb0ELb0EPlS7_ZN2at6native12_GLOBAL__N_124unique_dim_cuda_templateIiEESt5tupleIJNS8_6TensorESD_SD_EERKSD_lbbbEUlllE1_EE10hipError_tPvRmT2_T3_mT4_P12ihipStream_tbEUlT_E_NS1_11comp_targetILNS1_3genE2ELNS1_11target_archE906ELNS1_3gpuE6ELNS1_3repE0EEENS1_30default_config_static_selectorELNS0_4arch9wavefront6targetE1EEEvT1_
; %bb.0:
	.section	.rodata,"a",@progbits
	.p2align	6, 0x0
	.amdhsa_kernel _ZN7rocprim17ROCPRIM_400000_NS6detail17trampoline_kernelINS0_14default_configENS1_35adjacent_difference_config_selectorILb0ElEEZNS1_24adjacent_difference_implIS3_Lb0ELb0EPlS7_ZN2at6native12_GLOBAL__N_124unique_dim_cuda_templateIiEESt5tupleIJNS8_6TensorESD_SD_EERKSD_lbbbEUlllE1_EE10hipError_tPvRmT2_T3_mT4_P12ihipStream_tbEUlT_E_NS1_11comp_targetILNS1_3genE2ELNS1_11target_archE906ELNS1_3gpuE6ELNS1_3repE0EEENS1_30default_config_static_selectorELNS0_4arch9wavefront6targetE1EEEvT1_
		.amdhsa_group_segment_fixed_size 0
		.amdhsa_private_segment_fixed_size 0
		.amdhsa_kernarg_size 64
		.amdhsa_user_sgpr_count 2
		.amdhsa_user_sgpr_dispatch_ptr 0
		.amdhsa_user_sgpr_queue_ptr 0
		.amdhsa_user_sgpr_kernarg_segment_ptr 1
		.amdhsa_user_sgpr_dispatch_id 0
		.amdhsa_user_sgpr_kernarg_preload_length 0
		.amdhsa_user_sgpr_kernarg_preload_offset 0
		.amdhsa_user_sgpr_private_segment_size 0
		.amdhsa_uses_dynamic_stack 0
		.amdhsa_enable_private_segment 0
		.amdhsa_system_sgpr_workgroup_id_x 1
		.amdhsa_system_sgpr_workgroup_id_y 0
		.amdhsa_system_sgpr_workgroup_id_z 0
		.amdhsa_system_sgpr_workgroup_info 0
		.amdhsa_system_vgpr_workitem_id 0
		.amdhsa_next_free_vgpr 1
		.amdhsa_next_free_sgpr 0
		.amdhsa_accum_offset 4
		.amdhsa_reserve_vcc 0
		.amdhsa_float_round_mode_32 0
		.amdhsa_float_round_mode_16_64 0
		.amdhsa_float_denorm_mode_32 3
		.amdhsa_float_denorm_mode_16_64 3
		.amdhsa_dx10_clamp 1
		.amdhsa_ieee_mode 1
		.amdhsa_fp16_overflow 0
		.amdhsa_tg_split 0
		.amdhsa_exception_fp_ieee_invalid_op 0
		.amdhsa_exception_fp_denorm_src 0
		.amdhsa_exception_fp_ieee_div_zero 0
		.amdhsa_exception_fp_ieee_overflow 0
		.amdhsa_exception_fp_ieee_underflow 0
		.amdhsa_exception_fp_ieee_inexact 0
		.amdhsa_exception_int_div_zero 0
	.end_amdhsa_kernel
	.section	.text._ZN7rocprim17ROCPRIM_400000_NS6detail17trampoline_kernelINS0_14default_configENS1_35adjacent_difference_config_selectorILb0ElEEZNS1_24adjacent_difference_implIS3_Lb0ELb0EPlS7_ZN2at6native12_GLOBAL__N_124unique_dim_cuda_templateIiEESt5tupleIJNS8_6TensorESD_SD_EERKSD_lbbbEUlllE1_EE10hipError_tPvRmT2_T3_mT4_P12ihipStream_tbEUlT_E_NS1_11comp_targetILNS1_3genE2ELNS1_11target_archE906ELNS1_3gpuE6ELNS1_3repE0EEENS1_30default_config_static_selectorELNS0_4arch9wavefront6targetE1EEEvT1_,"axG",@progbits,_ZN7rocprim17ROCPRIM_400000_NS6detail17trampoline_kernelINS0_14default_configENS1_35adjacent_difference_config_selectorILb0ElEEZNS1_24adjacent_difference_implIS3_Lb0ELb0EPlS7_ZN2at6native12_GLOBAL__N_124unique_dim_cuda_templateIiEESt5tupleIJNS8_6TensorESD_SD_EERKSD_lbbbEUlllE1_EE10hipError_tPvRmT2_T3_mT4_P12ihipStream_tbEUlT_E_NS1_11comp_targetILNS1_3genE2ELNS1_11target_archE906ELNS1_3gpuE6ELNS1_3repE0EEENS1_30default_config_static_selectorELNS0_4arch9wavefront6targetE1EEEvT1_,comdat
.Lfunc_end421:
	.size	_ZN7rocprim17ROCPRIM_400000_NS6detail17trampoline_kernelINS0_14default_configENS1_35adjacent_difference_config_selectorILb0ElEEZNS1_24adjacent_difference_implIS3_Lb0ELb0EPlS7_ZN2at6native12_GLOBAL__N_124unique_dim_cuda_templateIiEESt5tupleIJNS8_6TensorESD_SD_EERKSD_lbbbEUlllE1_EE10hipError_tPvRmT2_T3_mT4_P12ihipStream_tbEUlT_E_NS1_11comp_targetILNS1_3genE2ELNS1_11target_archE906ELNS1_3gpuE6ELNS1_3repE0EEENS1_30default_config_static_selectorELNS0_4arch9wavefront6targetE1EEEvT1_, .Lfunc_end421-_ZN7rocprim17ROCPRIM_400000_NS6detail17trampoline_kernelINS0_14default_configENS1_35adjacent_difference_config_selectorILb0ElEEZNS1_24adjacent_difference_implIS3_Lb0ELb0EPlS7_ZN2at6native12_GLOBAL__N_124unique_dim_cuda_templateIiEESt5tupleIJNS8_6TensorESD_SD_EERKSD_lbbbEUlllE1_EE10hipError_tPvRmT2_T3_mT4_P12ihipStream_tbEUlT_E_NS1_11comp_targetILNS1_3genE2ELNS1_11target_archE906ELNS1_3gpuE6ELNS1_3repE0EEENS1_30default_config_static_selectorELNS0_4arch9wavefront6targetE1EEEvT1_
                                        ; -- End function
	.set _ZN7rocprim17ROCPRIM_400000_NS6detail17trampoline_kernelINS0_14default_configENS1_35adjacent_difference_config_selectorILb0ElEEZNS1_24adjacent_difference_implIS3_Lb0ELb0EPlS7_ZN2at6native12_GLOBAL__N_124unique_dim_cuda_templateIiEESt5tupleIJNS8_6TensorESD_SD_EERKSD_lbbbEUlllE1_EE10hipError_tPvRmT2_T3_mT4_P12ihipStream_tbEUlT_E_NS1_11comp_targetILNS1_3genE2ELNS1_11target_archE906ELNS1_3gpuE6ELNS1_3repE0EEENS1_30default_config_static_selectorELNS0_4arch9wavefront6targetE1EEEvT1_.num_vgpr, 0
	.set _ZN7rocprim17ROCPRIM_400000_NS6detail17trampoline_kernelINS0_14default_configENS1_35adjacent_difference_config_selectorILb0ElEEZNS1_24adjacent_difference_implIS3_Lb0ELb0EPlS7_ZN2at6native12_GLOBAL__N_124unique_dim_cuda_templateIiEESt5tupleIJNS8_6TensorESD_SD_EERKSD_lbbbEUlllE1_EE10hipError_tPvRmT2_T3_mT4_P12ihipStream_tbEUlT_E_NS1_11comp_targetILNS1_3genE2ELNS1_11target_archE906ELNS1_3gpuE6ELNS1_3repE0EEENS1_30default_config_static_selectorELNS0_4arch9wavefront6targetE1EEEvT1_.num_agpr, 0
	.set _ZN7rocprim17ROCPRIM_400000_NS6detail17trampoline_kernelINS0_14default_configENS1_35adjacent_difference_config_selectorILb0ElEEZNS1_24adjacent_difference_implIS3_Lb0ELb0EPlS7_ZN2at6native12_GLOBAL__N_124unique_dim_cuda_templateIiEESt5tupleIJNS8_6TensorESD_SD_EERKSD_lbbbEUlllE1_EE10hipError_tPvRmT2_T3_mT4_P12ihipStream_tbEUlT_E_NS1_11comp_targetILNS1_3genE2ELNS1_11target_archE906ELNS1_3gpuE6ELNS1_3repE0EEENS1_30default_config_static_selectorELNS0_4arch9wavefront6targetE1EEEvT1_.numbered_sgpr, 0
	.set _ZN7rocprim17ROCPRIM_400000_NS6detail17trampoline_kernelINS0_14default_configENS1_35adjacent_difference_config_selectorILb0ElEEZNS1_24adjacent_difference_implIS3_Lb0ELb0EPlS7_ZN2at6native12_GLOBAL__N_124unique_dim_cuda_templateIiEESt5tupleIJNS8_6TensorESD_SD_EERKSD_lbbbEUlllE1_EE10hipError_tPvRmT2_T3_mT4_P12ihipStream_tbEUlT_E_NS1_11comp_targetILNS1_3genE2ELNS1_11target_archE906ELNS1_3gpuE6ELNS1_3repE0EEENS1_30default_config_static_selectorELNS0_4arch9wavefront6targetE1EEEvT1_.num_named_barrier, 0
	.set _ZN7rocprim17ROCPRIM_400000_NS6detail17trampoline_kernelINS0_14default_configENS1_35adjacent_difference_config_selectorILb0ElEEZNS1_24adjacent_difference_implIS3_Lb0ELb0EPlS7_ZN2at6native12_GLOBAL__N_124unique_dim_cuda_templateIiEESt5tupleIJNS8_6TensorESD_SD_EERKSD_lbbbEUlllE1_EE10hipError_tPvRmT2_T3_mT4_P12ihipStream_tbEUlT_E_NS1_11comp_targetILNS1_3genE2ELNS1_11target_archE906ELNS1_3gpuE6ELNS1_3repE0EEENS1_30default_config_static_selectorELNS0_4arch9wavefront6targetE1EEEvT1_.private_seg_size, 0
	.set _ZN7rocprim17ROCPRIM_400000_NS6detail17trampoline_kernelINS0_14default_configENS1_35adjacent_difference_config_selectorILb0ElEEZNS1_24adjacent_difference_implIS3_Lb0ELb0EPlS7_ZN2at6native12_GLOBAL__N_124unique_dim_cuda_templateIiEESt5tupleIJNS8_6TensorESD_SD_EERKSD_lbbbEUlllE1_EE10hipError_tPvRmT2_T3_mT4_P12ihipStream_tbEUlT_E_NS1_11comp_targetILNS1_3genE2ELNS1_11target_archE906ELNS1_3gpuE6ELNS1_3repE0EEENS1_30default_config_static_selectorELNS0_4arch9wavefront6targetE1EEEvT1_.uses_vcc, 0
	.set _ZN7rocprim17ROCPRIM_400000_NS6detail17trampoline_kernelINS0_14default_configENS1_35adjacent_difference_config_selectorILb0ElEEZNS1_24adjacent_difference_implIS3_Lb0ELb0EPlS7_ZN2at6native12_GLOBAL__N_124unique_dim_cuda_templateIiEESt5tupleIJNS8_6TensorESD_SD_EERKSD_lbbbEUlllE1_EE10hipError_tPvRmT2_T3_mT4_P12ihipStream_tbEUlT_E_NS1_11comp_targetILNS1_3genE2ELNS1_11target_archE906ELNS1_3gpuE6ELNS1_3repE0EEENS1_30default_config_static_selectorELNS0_4arch9wavefront6targetE1EEEvT1_.uses_flat_scratch, 0
	.set _ZN7rocprim17ROCPRIM_400000_NS6detail17trampoline_kernelINS0_14default_configENS1_35adjacent_difference_config_selectorILb0ElEEZNS1_24adjacent_difference_implIS3_Lb0ELb0EPlS7_ZN2at6native12_GLOBAL__N_124unique_dim_cuda_templateIiEESt5tupleIJNS8_6TensorESD_SD_EERKSD_lbbbEUlllE1_EE10hipError_tPvRmT2_T3_mT4_P12ihipStream_tbEUlT_E_NS1_11comp_targetILNS1_3genE2ELNS1_11target_archE906ELNS1_3gpuE6ELNS1_3repE0EEENS1_30default_config_static_selectorELNS0_4arch9wavefront6targetE1EEEvT1_.has_dyn_sized_stack, 0
	.set _ZN7rocprim17ROCPRIM_400000_NS6detail17trampoline_kernelINS0_14default_configENS1_35adjacent_difference_config_selectorILb0ElEEZNS1_24adjacent_difference_implIS3_Lb0ELb0EPlS7_ZN2at6native12_GLOBAL__N_124unique_dim_cuda_templateIiEESt5tupleIJNS8_6TensorESD_SD_EERKSD_lbbbEUlllE1_EE10hipError_tPvRmT2_T3_mT4_P12ihipStream_tbEUlT_E_NS1_11comp_targetILNS1_3genE2ELNS1_11target_archE906ELNS1_3gpuE6ELNS1_3repE0EEENS1_30default_config_static_selectorELNS0_4arch9wavefront6targetE1EEEvT1_.has_recursion, 0
	.set _ZN7rocprim17ROCPRIM_400000_NS6detail17trampoline_kernelINS0_14default_configENS1_35adjacent_difference_config_selectorILb0ElEEZNS1_24adjacent_difference_implIS3_Lb0ELb0EPlS7_ZN2at6native12_GLOBAL__N_124unique_dim_cuda_templateIiEESt5tupleIJNS8_6TensorESD_SD_EERKSD_lbbbEUlllE1_EE10hipError_tPvRmT2_T3_mT4_P12ihipStream_tbEUlT_E_NS1_11comp_targetILNS1_3genE2ELNS1_11target_archE906ELNS1_3gpuE6ELNS1_3repE0EEENS1_30default_config_static_selectorELNS0_4arch9wavefront6targetE1EEEvT1_.has_indirect_call, 0
	.section	.AMDGPU.csdata,"",@progbits
; Kernel info:
; codeLenInByte = 0
; TotalNumSgprs: 6
; NumVgprs: 0
; NumAgprs: 0
; TotalNumVgprs: 0
; ScratchSize: 0
; MemoryBound: 0
; FloatMode: 240
; IeeeMode: 1
; LDSByteSize: 0 bytes/workgroup (compile time only)
; SGPRBlocks: 0
; VGPRBlocks: 0
; NumSGPRsForWavesPerEU: 6
; NumVGPRsForWavesPerEU: 1
; AccumOffset: 4
; Occupancy: 8
; WaveLimiterHint : 0
; COMPUTE_PGM_RSRC2:SCRATCH_EN: 0
; COMPUTE_PGM_RSRC2:USER_SGPR: 2
; COMPUTE_PGM_RSRC2:TRAP_HANDLER: 0
; COMPUTE_PGM_RSRC2:TGID_X_EN: 1
; COMPUTE_PGM_RSRC2:TGID_Y_EN: 0
; COMPUTE_PGM_RSRC2:TGID_Z_EN: 0
; COMPUTE_PGM_RSRC2:TIDIG_COMP_CNT: 0
; COMPUTE_PGM_RSRC3_GFX90A:ACCUM_OFFSET: 0
; COMPUTE_PGM_RSRC3_GFX90A:TG_SPLIT: 0
	.section	.text._ZN7rocprim17ROCPRIM_400000_NS6detail17trampoline_kernelINS0_14default_configENS1_35adjacent_difference_config_selectorILb0ElEEZNS1_24adjacent_difference_implIS3_Lb0ELb0EPlS7_ZN2at6native12_GLOBAL__N_124unique_dim_cuda_templateIiEESt5tupleIJNS8_6TensorESD_SD_EERKSD_lbbbEUlllE1_EE10hipError_tPvRmT2_T3_mT4_P12ihipStream_tbEUlT_E_NS1_11comp_targetILNS1_3genE9ELNS1_11target_archE1100ELNS1_3gpuE3ELNS1_3repE0EEENS1_30default_config_static_selectorELNS0_4arch9wavefront6targetE1EEEvT1_,"axG",@progbits,_ZN7rocprim17ROCPRIM_400000_NS6detail17trampoline_kernelINS0_14default_configENS1_35adjacent_difference_config_selectorILb0ElEEZNS1_24adjacent_difference_implIS3_Lb0ELb0EPlS7_ZN2at6native12_GLOBAL__N_124unique_dim_cuda_templateIiEESt5tupleIJNS8_6TensorESD_SD_EERKSD_lbbbEUlllE1_EE10hipError_tPvRmT2_T3_mT4_P12ihipStream_tbEUlT_E_NS1_11comp_targetILNS1_3genE9ELNS1_11target_archE1100ELNS1_3gpuE3ELNS1_3repE0EEENS1_30default_config_static_selectorELNS0_4arch9wavefront6targetE1EEEvT1_,comdat
	.globl	_ZN7rocprim17ROCPRIM_400000_NS6detail17trampoline_kernelINS0_14default_configENS1_35adjacent_difference_config_selectorILb0ElEEZNS1_24adjacent_difference_implIS3_Lb0ELb0EPlS7_ZN2at6native12_GLOBAL__N_124unique_dim_cuda_templateIiEESt5tupleIJNS8_6TensorESD_SD_EERKSD_lbbbEUlllE1_EE10hipError_tPvRmT2_T3_mT4_P12ihipStream_tbEUlT_E_NS1_11comp_targetILNS1_3genE9ELNS1_11target_archE1100ELNS1_3gpuE3ELNS1_3repE0EEENS1_30default_config_static_selectorELNS0_4arch9wavefront6targetE1EEEvT1_ ; -- Begin function _ZN7rocprim17ROCPRIM_400000_NS6detail17trampoline_kernelINS0_14default_configENS1_35adjacent_difference_config_selectorILb0ElEEZNS1_24adjacent_difference_implIS3_Lb0ELb0EPlS7_ZN2at6native12_GLOBAL__N_124unique_dim_cuda_templateIiEESt5tupleIJNS8_6TensorESD_SD_EERKSD_lbbbEUlllE1_EE10hipError_tPvRmT2_T3_mT4_P12ihipStream_tbEUlT_E_NS1_11comp_targetILNS1_3genE9ELNS1_11target_archE1100ELNS1_3gpuE3ELNS1_3repE0EEENS1_30default_config_static_selectorELNS0_4arch9wavefront6targetE1EEEvT1_
	.p2align	8
	.type	_ZN7rocprim17ROCPRIM_400000_NS6detail17trampoline_kernelINS0_14default_configENS1_35adjacent_difference_config_selectorILb0ElEEZNS1_24adjacent_difference_implIS3_Lb0ELb0EPlS7_ZN2at6native12_GLOBAL__N_124unique_dim_cuda_templateIiEESt5tupleIJNS8_6TensorESD_SD_EERKSD_lbbbEUlllE1_EE10hipError_tPvRmT2_T3_mT4_P12ihipStream_tbEUlT_E_NS1_11comp_targetILNS1_3genE9ELNS1_11target_archE1100ELNS1_3gpuE3ELNS1_3repE0EEENS1_30default_config_static_selectorELNS0_4arch9wavefront6targetE1EEEvT1_,@function
_ZN7rocprim17ROCPRIM_400000_NS6detail17trampoline_kernelINS0_14default_configENS1_35adjacent_difference_config_selectorILb0ElEEZNS1_24adjacent_difference_implIS3_Lb0ELb0EPlS7_ZN2at6native12_GLOBAL__N_124unique_dim_cuda_templateIiEESt5tupleIJNS8_6TensorESD_SD_EERKSD_lbbbEUlllE1_EE10hipError_tPvRmT2_T3_mT4_P12ihipStream_tbEUlT_E_NS1_11comp_targetILNS1_3genE9ELNS1_11target_archE1100ELNS1_3gpuE3ELNS1_3repE0EEENS1_30default_config_static_selectorELNS0_4arch9wavefront6targetE1EEEvT1_: ; @_ZN7rocprim17ROCPRIM_400000_NS6detail17trampoline_kernelINS0_14default_configENS1_35adjacent_difference_config_selectorILb0ElEEZNS1_24adjacent_difference_implIS3_Lb0ELb0EPlS7_ZN2at6native12_GLOBAL__N_124unique_dim_cuda_templateIiEESt5tupleIJNS8_6TensorESD_SD_EERKSD_lbbbEUlllE1_EE10hipError_tPvRmT2_T3_mT4_P12ihipStream_tbEUlT_E_NS1_11comp_targetILNS1_3genE9ELNS1_11target_archE1100ELNS1_3gpuE3ELNS1_3repE0EEENS1_30default_config_static_selectorELNS0_4arch9wavefront6targetE1EEEvT1_
; %bb.0:
	.section	.rodata,"a",@progbits
	.p2align	6, 0x0
	.amdhsa_kernel _ZN7rocprim17ROCPRIM_400000_NS6detail17trampoline_kernelINS0_14default_configENS1_35adjacent_difference_config_selectorILb0ElEEZNS1_24adjacent_difference_implIS3_Lb0ELb0EPlS7_ZN2at6native12_GLOBAL__N_124unique_dim_cuda_templateIiEESt5tupleIJNS8_6TensorESD_SD_EERKSD_lbbbEUlllE1_EE10hipError_tPvRmT2_T3_mT4_P12ihipStream_tbEUlT_E_NS1_11comp_targetILNS1_3genE9ELNS1_11target_archE1100ELNS1_3gpuE3ELNS1_3repE0EEENS1_30default_config_static_selectorELNS0_4arch9wavefront6targetE1EEEvT1_
		.amdhsa_group_segment_fixed_size 0
		.amdhsa_private_segment_fixed_size 0
		.amdhsa_kernarg_size 64
		.amdhsa_user_sgpr_count 2
		.amdhsa_user_sgpr_dispatch_ptr 0
		.amdhsa_user_sgpr_queue_ptr 0
		.amdhsa_user_sgpr_kernarg_segment_ptr 1
		.amdhsa_user_sgpr_dispatch_id 0
		.amdhsa_user_sgpr_kernarg_preload_length 0
		.amdhsa_user_sgpr_kernarg_preload_offset 0
		.amdhsa_user_sgpr_private_segment_size 0
		.amdhsa_uses_dynamic_stack 0
		.amdhsa_enable_private_segment 0
		.amdhsa_system_sgpr_workgroup_id_x 1
		.amdhsa_system_sgpr_workgroup_id_y 0
		.amdhsa_system_sgpr_workgroup_id_z 0
		.amdhsa_system_sgpr_workgroup_info 0
		.amdhsa_system_vgpr_workitem_id 0
		.amdhsa_next_free_vgpr 1
		.amdhsa_next_free_sgpr 0
		.amdhsa_accum_offset 4
		.amdhsa_reserve_vcc 0
		.amdhsa_float_round_mode_32 0
		.amdhsa_float_round_mode_16_64 0
		.amdhsa_float_denorm_mode_32 3
		.amdhsa_float_denorm_mode_16_64 3
		.amdhsa_dx10_clamp 1
		.amdhsa_ieee_mode 1
		.amdhsa_fp16_overflow 0
		.amdhsa_tg_split 0
		.amdhsa_exception_fp_ieee_invalid_op 0
		.amdhsa_exception_fp_denorm_src 0
		.amdhsa_exception_fp_ieee_div_zero 0
		.amdhsa_exception_fp_ieee_overflow 0
		.amdhsa_exception_fp_ieee_underflow 0
		.amdhsa_exception_fp_ieee_inexact 0
		.amdhsa_exception_int_div_zero 0
	.end_amdhsa_kernel
	.section	.text._ZN7rocprim17ROCPRIM_400000_NS6detail17trampoline_kernelINS0_14default_configENS1_35adjacent_difference_config_selectorILb0ElEEZNS1_24adjacent_difference_implIS3_Lb0ELb0EPlS7_ZN2at6native12_GLOBAL__N_124unique_dim_cuda_templateIiEESt5tupleIJNS8_6TensorESD_SD_EERKSD_lbbbEUlllE1_EE10hipError_tPvRmT2_T3_mT4_P12ihipStream_tbEUlT_E_NS1_11comp_targetILNS1_3genE9ELNS1_11target_archE1100ELNS1_3gpuE3ELNS1_3repE0EEENS1_30default_config_static_selectorELNS0_4arch9wavefront6targetE1EEEvT1_,"axG",@progbits,_ZN7rocprim17ROCPRIM_400000_NS6detail17trampoline_kernelINS0_14default_configENS1_35adjacent_difference_config_selectorILb0ElEEZNS1_24adjacent_difference_implIS3_Lb0ELb0EPlS7_ZN2at6native12_GLOBAL__N_124unique_dim_cuda_templateIiEESt5tupleIJNS8_6TensorESD_SD_EERKSD_lbbbEUlllE1_EE10hipError_tPvRmT2_T3_mT4_P12ihipStream_tbEUlT_E_NS1_11comp_targetILNS1_3genE9ELNS1_11target_archE1100ELNS1_3gpuE3ELNS1_3repE0EEENS1_30default_config_static_selectorELNS0_4arch9wavefront6targetE1EEEvT1_,comdat
.Lfunc_end422:
	.size	_ZN7rocprim17ROCPRIM_400000_NS6detail17trampoline_kernelINS0_14default_configENS1_35adjacent_difference_config_selectorILb0ElEEZNS1_24adjacent_difference_implIS3_Lb0ELb0EPlS7_ZN2at6native12_GLOBAL__N_124unique_dim_cuda_templateIiEESt5tupleIJNS8_6TensorESD_SD_EERKSD_lbbbEUlllE1_EE10hipError_tPvRmT2_T3_mT4_P12ihipStream_tbEUlT_E_NS1_11comp_targetILNS1_3genE9ELNS1_11target_archE1100ELNS1_3gpuE3ELNS1_3repE0EEENS1_30default_config_static_selectorELNS0_4arch9wavefront6targetE1EEEvT1_, .Lfunc_end422-_ZN7rocprim17ROCPRIM_400000_NS6detail17trampoline_kernelINS0_14default_configENS1_35adjacent_difference_config_selectorILb0ElEEZNS1_24adjacent_difference_implIS3_Lb0ELb0EPlS7_ZN2at6native12_GLOBAL__N_124unique_dim_cuda_templateIiEESt5tupleIJNS8_6TensorESD_SD_EERKSD_lbbbEUlllE1_EE10hipError_tPvRmT2_T3_mT4_P12ihipStream_tbEUlT_E_NS1_11comp_targetILNS1_3genE9ELNS1_11target_archE1100ELNS1_3gpuE3ELNS1_3repE0EEENS1_30default_config_static_selectorELNS0_4arch9wavefront6targetE1EEEvT1_
                                        ; -- End function
	.set _ZN7rocprim17ROCPRIM_400000_NS6detail17trampoline_kernelINS0_14default_configENS1_35adjacent_difference_config_selectorILb0ElEEZNS1_24adjacent_difference_implIS3_Lb0ELb0EPlS7_ZN2at6native12_GLOBAL__N_124unique_dim_cuda_templateIiEESt5tupleIJNS8_6TensorESD_SD_EERKSD_lbbbEUlllE1_EE10hipError_tPvRmT2_T3_mT4_P12ihipStream_tbEUlT_E_NS1_11comp_targetILNS1_3genE9ELNS1_11target_archE1100ELNS1_3gpuE3ELNS1_3repE0EEENS1_30default_config_static_selectorELNS0_4arch9wavefront6targetE1EEEvT1_.num_vgpr, 0
	.set _ZN7rocprim17ROCPRIM_400000_NS6detail17trampoline_kernelINS0_14default_configENS1_35adjacent_difference_config_selectorILb0ElEEZNS1_24adjacent_difference_implIS3_Lb0ELb0EPlS7_ZN2at6native12_GLOBAL__N_124unique_dim_cuda_templateIiEESt5tupleIJNS8_6TensorESD_SD_EERKSD_lbbbEUlllE1_EE10hipError_tPvRmT2_T3_mT4_P12ihipStream_tbEUlT_E_NS1_11comp_targetILNS1_3genE9ELNS1_11target_archE1100ELNS1_3gpuE3ELNS1_3repE0EEENS1_30default_config_static_selectorELNS0_4arch9wavefront6targetE1EEEvT1_.num_agpr, 0
	.set _ZN7rocprim17ROCPRIM_400000_NS6detail17trampoline_kernelINS0_14default_configENS1_35adjacent_difference_config_selectorILb0ElEEZNS1_24adjacent_difference_implIS3_Lb0ELb0EPlS7_ZN2at6native12_GLOBAL__N_124unique_dim_cuda_templateIiEESt5tupleIJNS8_6TensorESD_SD_EERKSD_lbbbEUlllE1_EE10hipError_tPvRmT2_T3_mT4_P12ihipStream_tbEUlT_E_NS1_11comp_targetILNS1_3genE9ELNS1_11target_archE1100ELNS1_3gpuE3ELNS1_3repE0EEENS1_30default_config_static_selectorELNS0_4arch9wavefront6targetE1EEEvT1_.numbered_sgpr, 0
	.set _ZN7rocprim17ROCPRIM_400000_NS6detail17trampoline_kernelINS0_14default_configENS1_35adjacent_difference_config_selectorILb0ElEEZNS1_24adjacent_difference_implIS3_Lb0ELb0EPlS7_ZN2at6native12_GLOBAL__N_124unique_dim_cuda_templateIiEESt5tupleIJNS8_6TensorESD_SD_EERKSD_lbbbEUlllE1_EE10hipError_tPvRmT2_T3_mT4_P12ihipStream_tbEUlT_E_NS1_11comp_targetILNS1_3genE9ELNS1_11target_archE1100ELNS1_3gpuE3ELNS1_3repE0EEENS1_30default_config_static_selectorELNS0_4arch9wavefront6targetE1EEEvT1_.num_named_barrier, 0
	.set _ZN7rocprim17ROCPRIM_400000_NS6detail17trampoline_kernelINS0_14default_configENS1_35adjacent_difference_config_selectorILb0ElEEZNS1_24adjacent_difference_implIS3_Lb0ELb0EPlS7_ZN2at6native12_GLOBAL__N_124unique_dim_cuda_templateIiEESt5tupleIJNS8_6TensorESD_SD_EERKSD_lbbbEUlllE1_EE10hipError_tPvRmT2_T3_mT4_P12ihipStream_tbEUlT_E_NS1_11comp_targetILNS1_3genE9ELNS1_11target_archE1100ELNS1_3gpuE3ELNS1_3repE0EEENS1_30default_config_static_selectorELNS0_4arch9wavefront6targetE1EEEvT1_.private_seg_size, 0
	.set _ZN7rocprim17ROCPRIM_400000_NS6detail17trampoline_kernelINS0_14default_configENS1_35adjacent_difference_config_selectorILb0ElEEZNS1_24adjacent_difference_implIS3_Lb0ELb0EPlS7_ZN2at6native12_GLOBAL__N_124unique_dim_cuda_templateIiEESt5tupleIJNS8_6TensorESD_SD_EERKSD_lbbbEUlllE1_EE10hipError_tPvRmT2_T3_mT4_P12ihipStream_tbEUlT_E_NS1_11comp_targetILNS1_3genE9ELNS1_11target_archE1100ELNS1_3gpuE3ELNS1_3repE0EEENS1_30default_config_static_selectorELNS0_4arch9wavefront6targetE1EEEvT1_.uses_vcc, 0
	.set _ZN7rocprim17ROCPRIM_400000_NS6detail17trampoline_kernelINS0_14default_configENS1_35adjacent_difference_config_selectorILb0ElEEZNS1_24adjacent_difference_implIS3_Lb0ELb0EPlS7_ZN2at6native12_GLOBAL__N_124unique_dim_cuda_templateIiEESt5tupleIJNS8_6TensorESD_SD_EERKSD_lbbbEUlllE1_EE10hipError_tPvRmT2_T3_mT4_P12ihipStream_tbEUlT_E_NS1_11comp_targetILNS1_3genE9ELNS1_11target_archE1100ELNS1_3gpuE3ELNS1_3repE0EEENS1_30default_config_static_selectorELNS0_4arch9wavefront6targetE1EEEvT1_.uses_flat_scratch, 0
	.set _ZN7rocprim17ROCPRIM_400000_NS6detail17trampoline_kernelINS0_14default_configENS1_35adjacent_difference_config_selectorILb0ElEEZNS1_24adjacent_difference_implIS3_Lb0ELb0EPlS7_ZN2at6native12_GLOBAL__N_124unique_dim_cuda_templateIiEESt5tupleIJNS8_6TensorESD_SD_EERKSD_lbbbEUlllE1_EE10hipError_tPvRmT2_T3_mT4_P12ihipStream_tbEUlT_E_NS1_11comp_targetILNS1_3genE9ELNS1_11target_archE1100ELNS1_3gpuE3ELNS1_3repE0EEENS1_30default_config_static_selectorELNS0_4arch9wavefront6targetE1EEEvT1_.has_dyn_sized_stack, 0
	.set _ZN7rocprim17ROCPRIM_400000_NS6detail17trampoline_kernelINS0_14default_configENS1_35adjacent_difference_config_selectorILb0ElEEZNS1_24adjacent_difference_implIS3_Lb0ELb0EPlS7_ZN2at6native12_GLOBAL__N_124unique_dim_cuda_templateIiEESt5tupleIJNS8_6TensorESD_SD_EERKSD_lbbbEUlllE1_EE10hipError_tPvRmT2_T3_mT4_P12ihipStream_tbEUlT_E_NS1_11comp_targetILNS1_3genE9ELNS1_11target_archE1100ELNS1_3gpuE3ELNS1_3repE0EEENS1_30default_config_static_selectorELNS0_4arch9wavefront6targetE1EEEvT1_.has_recursion, 0
	.set _ZN7rocprim17ROCPRIM_400000_NS6detail17trampoline_kernelINS0_14default_configENS1_35adjacent_difference_config_selectorILb0ElEEZNS1_24adjacent_difference_implIS3_Lb0ELb0EPlS7_ZN2at6native12_GLOBAL__N_124unique_dim_cuda_templateIiEESt5tupleIJNS8_6TensorESD_SD_EERKSD_lbbbEUlllE1_EE10hipError_tPvRmT2_T3_mT4_P12ihipStream_tbEUlT_E_NS1_11comp_targetILNS1_3genE9ELNS1_11target_archE1100ELNS1_3gpuE3ELNS1_3repE0EEENS1_30default_config_static_selectorELNS0_4arch9wavefront6targetE1EEEvT1_.has_indirect_call, 0
	.section	.AMDGPU.csdata,"",@progbits
; Kernel info:
; codeLenInByte = 0
; TotalNumSgprs: 6
; NumVgprs: 0
; NumAgprs: 0
; TotalNumVgprs: 0
; ScratchSize: 0
; MemoryBound: 0
; FloatMode: 240
; IeeeMode: 1
; LDSByteSize: 0 bytes/workgroup (compile time only)
; SGPRBlocks: 0
; VGPRBlocks: 0
; NumSGPRsForWavesPerEU: 6
; NumVGPRsForWavesPerEU: 1
; AccumOffset: 4
; Occupancy: 8
; WaveLimiterHint : 0
; COMPUTE_PGM_RSRC2:SCRATCH_EN: 0
; COMPUTE_PGM_RSRC2:USER_SGPR: 2
; COMPUTE_PGM_RSRC2:TRAP_HANDLER: 0
; COMPUTE_PGM_RSRC2:TGID_X_EN: 1
; COMPUTE_PGM_RSRC2:TGID_Y_EN: 0
; COMPUTE_PGM_RSRC2:TGID_Z_EN: 0
; COMPUTE_PGM_RSRC2:TIDIG_COMP_CNT: 0
; COMPUTE_PGM_RSRC3_GFX90A:ACCUM_OFFSET: 0
; COMPUTE_PGM_RSRC3_GFX90A:TG_SPLIT: 0
	.section	.text._ZN7rocprim17ROCPRIM_400000_NS6detail17trampoline_kernelINS0_14default_configENS1_35adjacent_difference_config_selectorILb0ElEEZNS1_24adjacent_difference_implIS3_Lb0ELb0EPlS7_ZN2at6native12_GLOBAL__N_124unique_dim_cuda_templateIiEESt5tupleIJNS8_6TensorESD_SD_EERKSD_lbbbEUlllE1_EE10hipError_tPvRmT2_T3_mT4_P12ihipStream_tbEUlT_E_NS1_11comp_targetILNS1_3genE8ELNS1_11target_archE1030ELNS1_3gpuE2ELNS1_3repE0EEENS1_30default_config_static_selectorELNS0_4arch9wavefront6targetE1EEEvT1_,"axG",@progbits,_ZN7rocprim17ROCPRIM_400000_NS6detail17trampoline_kernelINS0_14default_configENS1_35adjacent_difference_config_selectorILb0ElEEZNS1_24adjacent_difference_implIS3_Lb0ELb0EPlS7_ZN2at6native12_GLOBAL__N_124unique_dim_cuda_templateIiEESt5tupleIJNS8_6TensorESD_SD_EERKSD_lbbbEUlllE1_EE10hipError_tPvRmT2_T3_mT4_P12ihipStream_tbEUlT_E_NS1_11comp_targetILNS1_3genE8ELNS1_11target_archE1030ELNS1_3gpuE2ELNS1_3repE0EEENS1_30default_config_static_selectorELNS0_4arch9wavefront6targetE1EEEvT1_,comdat
	.globl	_ZN7rocprim17ROCPRIM_400000_NS6detail17trampoline_kernelINS0_14default_configENS1_35adjacent_difference_config_selectorILb0ElEEZNS1_24adjacent_difference_implIS3_Lb0ELb0EPlS7_ZN2at6native12_GLOBAL__N_124unique_dim_cuda_templateIiEESt5tupleIJNS8_6TensorESD_SD_EERKSD_lbbbEUlllE1_EE10hipError_tPvRmT2_T3_mT4_P12ihipStream_tbEUlT_E_NS1_11comp_targetILNS1_3genE8ELNS1_11target_archE1030ELNS1_3gpuE2ELNS1_3repE0EEENS1_30default_config_static_selectorELNS0_4arch9wavefront6targetE1EEEvT1_ ; -- Begin function _ZN7rocprim17ROCPRIM_400000_NS6detail17trampoline_kernelINS0_14default_configENS1_35adjacent_difference_config_selectorILb0ElEEZNS1_24adjacent_difference_implIS3_Lb0ELb0EPlS7_ZN2at6native12_GLOBAL__N_124unique_dim_cuda_templateIiEESt5tupleIJNS8_6TensorESD_SD_EERKSD_lbbbEUlllE1_EE10hipError_tPvRmT2_T3_mT4_P12ihipStream_tbEUlT_E_NS1_11comp_targetILNS1_3genE8ELNS1_11target_archE1030ELNS1_3gpuE2ELNS1_3repE0EEENS1_30default_config_static_selectorELNS0_4arch9wavefront6targetE1EEEvT1_
	.p2align	8
	.type	_ZN7rocprim17ROCPRIM_400000_NS6detail17trampoline_kernelINS0_14default_configENS1_35adjacent_difference_config_selectorILb0ElEEZNS1_24adjacent_difference_implIS3_Lb0ELb0EPlS7_ZN2at6native12_GLOBAL__N_124unique_dim_cuda_templateIiEESt5tupleIJNS8_6TensorESD_SD_EERKSD_lbbbEUlllE1_EE10hipError_tPvRmT2_T3_mT4_P12ihipStream_tbEUlT_E_NS1_11comp_targetILNS1_3genE8ELNS1_11target_archE1030ELNS1_3gpuE2ELNS1_3repE0EEENS1_30default_config_static_selectorELNS0_4arch9wavefront6targetE1EEEvT1_,@function
_ZN7rocprim17ROCPRIM_400000_NS6detail17trampoline_kernelINS0_14default_configENS1_35adjacent_difference_config_selectorILb0ElEEZNS1_24adjacent_difference_implIS3_Lb0ELb0EPlS7_ZN2at6native12_GLOBAL__N_124unique_dim_cuda_templateIiEESt5tupleIJNS8_6TensorESD_SD_EERKSD_lbbbEUlllE1_EE10hipError_tPvRmT2_T3_mT4_P12ihipStream_tbEUlT_E_NS1_11comp_targetILNS1_3genE8ELNS1_11target_archE1030ELNS1_3gpuE2ELNS1_3repE0EEENS1_30default_config_static_selectorELNS0_4arch9wavefront6targetE1EEEvT1_: ; @_ZN7rocprim17ROCPRIM_400000_NS6detail17trampoline_kernelINS0_14default_configENS1_35adjacent_difference_config_selectorILb0ElEEZNS1_24adjacent_difference_implIS3_Lb0ELb0EPlS7_ZN2at6native12_GLOBAL__N_124unique_dim_cuda_templateIiEESt5tupleIJNS8_6TensorESD_SD_EERKSD_lbbbEUlllE1_EE10hipError_tPvRmT2_T3_mT4_P12ihipStream_tbEUlT_E_NS1_11comp_targetILNS1_3genE8ELNS1_11target_archE1030ELNS1_3gpuE2ELNS1_3repE0EEENS1_30default_config_static_selectorELNS0_4arch9wavefront6targetE1EEEvT1_
; %bb.0:
	.section	.rodata,"a",@progbits
	.p2align	6, 0x0
	.amdhsa_kernel _ZN7rocprim17ROCPRIM_400000_NS6detail17trampoline_kernelINS0_14default_configENS1_35adjacent_difference_config_selectorILb0ElEEZNS1_24adjacent_difference_implIS3_Lb0ELb0EPlS7_ZN2at6native12_GLOBAL__N_124unique_dim_cuda_templateIiEESt5tupleIJNS8_6TensorESD_SD_EERKSD_lbbbEUlllE1_EE10hipError_tPvRmT2_T3_mT4_P12ihipStream_tbEUlT_E_NS1_11comp_targetILNS1_3genE8ELNS1_11target_archE1030ELNS1_3gpuE2ELNS1_3repE0EEENS1_30default_config_static_selectorELNS0_4arch9wavefront6targetE1EEEvT1_
		.amdhsa_group_segment_fixed_size 0
		.amdhsa_private_segment_fixed_size 0
		.amdhsa_kernarg_size 64
		.amdhsa_user_sgpr_count 2
		.amdhsa_user_sgpr_dispatch_ptr 0
		.amdhsa_user_sgpr_queue_ptr 0
		.amdhsa_user_sgpr_kernarg_segment_ptr 1
		.amdhsa_user_sgpr_dispatch_id 0
		.amdhsa_user_sgpr_kernarg_preload_length 0
		.amdhsa_user_sgpr_kernarg_preload_offset 0
		.amdhsa_user_sgpr_private_segment_size 0
		.amdhsa_uses_dynamic_stack 0
		.amdhsa_enable_private_segment 0
		.amdhsa_system_sgpr_workgroup_id_x 1
		.amdhsa_system_sgpr_workgroup_id_y 0
		.amdhsa_system_sgpr_workgroup_id_z 0
		.amdhsa_system_sgpr_workgroup_info 0
		.amdhsa_system_vgpr_workitem_id 0
		.amdhsa_next_free_vgpr 1
		.amdhsa_next_free_sgpr 0
		.amdhsa_accum_offset 4
		.amdhsa_reserve_vcc 0
		.amdhsa_float_round_mode_32 0
		.amdhsa_float_round_mode_16_64 0
		.amdhsa_float_denorm_mode_32 3
		.amdhsa_float_denorm_mode_16_64 3
		.amdhsa_dx10_clamp 1
		.amdhsa_ieee_mode 1
		.amdhsa_fp16_overflow 0
		.amdhsa_tg_split 0
		.amdhsa_exception_fp_ieee_invalid_op 0
		.amdhsa_exception_fp_denorm_src 0
		.amdhsa_exception_fp_ieee_div_zero 0
		.amdhsa_exception_fp_ieee_overflow 0
		.amdhsa_exception_fp_ieee_underflow 0
		.amdhsa_exception_fp_ieee_inexact 0
		.amdhsa_exception_int_div_zero 0
	.end_amdhsa_kernel
	.section	.text._ZN7rocprim17ROCPRIM_400000_NS6detail17trampoline_kernelINS0_14default_configENS1_35adjacent_difference_config_selectorILb0ElEEZNS1_24adjacent_difference_implIS3_Lb0ELb0EPlS7_ZN2at6native12_GLOBAL__N_124unique_dim_cuda_templateIiEESt5tupleIJNS8_6TensorESD_SD_EERKSD_lbbbEUlllE1_EE10hipError_tPvRmT2_T3_mT4_P12ihipStream_tbEUlT_E_NS1_11comp_targetILNS1_3genE8ELNS1_11target_archE1030ELNS1_3gpuE2ELNS1_3repE0EEENS1_30default_config_static_selectorELNS0_4arch9wavefront6targetE1EEEvT1_,"axG",@progbits,_ZN7rocprim17ROCPRIM_400000_NS6detail17trampoline_kernelINS0_14default_configENS1_35adjacent_difference_config_selectorILb0ElEEZNS1_24adjacent_difference_implIS3_Lb0ELb0EPlS7_ZN2at6native12_GLOBAL__N_124unique_dim_cuda_templateIiEESt5tupleIJNS8_6TensorESD_SD_EERKSD_lbbbEUlllE1_EE10hipError_tPvRmT2_T3_mT4_P12ihipStream_tbEUlT_E_NS1_11comp_targetILNS1_3genE8ELNS1_11target_archE1030ELNS1_3gpuE2ELNS1_3repE0EEENS1_30default_config_static_selectorELNS0_4arch9wavefront6targetE1EEEvT1_,comdat
.Lfunc_end423:
	.size	_ZN7rocprim17ROCPRIM_400000_NS6detail17trampoline_kernelINS0_14default_configENS1_35adjacent_difference_config_selectorILb0ElEEZNS1_24adjacent_difference_implIS3_Lb0ELb0EPlS7_ZN2at6native12_GLOBAL__N_124unique_dim_cuda_templateIiEESt5tupleIJNS8_6TensorESD_SD_EERKSD_lbbbEUlllE1_EE10hipError_tPvRmT2_T3_mT4_P12ihipStream_tbEUlT_E_NS1_11comp_targetILNS1_3genE8ELNS1_11target_archE1030ELNS1_3gpuE2ELNS1_3repE0EEENS1_30default_config_static_selectorELNS0_4arch9wavefront6targetE1EEEvT1_, .Lfunc_end423-_ZN7rocprim17ROCPRIM_400000_NS6detail17trampoline_kernelINS0_14default_configENS1_35adjacent_difference_config_selectorILb0ElEEZNS1_24adjacent_difference_implIS3_Lb0ELb0EPlS7_ZN2at6native12_GLOBAL__N_124unique_dim_cuda_templateIiEESt5tupleIJNS8_6TensorESD_SD_EERKSD_lbbbEUlllE1_EE10hipError_tPvRmT2_T3_mT4_P12ihipStream_tbEUlT_E_NS1_11comp_targetILNS1_3genE8ELNS1_11target_archE1030ELNS1_3gpuE2ELNS1_3repE0EEENS1_30default_config_static_selectorELNS0_4arch9wavefront6targetE1EEEvT1_
                                        ; -- End function
	.set _ZN7rocprim17ROCPRIM_400000_NS6detail17trampoline_kernelINS0_14default_configENS1_35adjacent_difference_config_selectorILb0ElEEZNS1_24adjacent_difference_implIS3_Lb0ELb0EPlS7_ZN2at6native12_GLOBAL__N_124unique_dim_cuda_templateIiEESt5tupleIJNS8_6TensorESD_SD_EERKSD_lbbbEUlllE1_EE10hipError_tPvRmT2_T3_mT4_P12ihipStream_tbEUlT_E_NS1_11comp_targetILNS1_3genE8ELNS1_11target_archE1030ELNS1_3gpuE2ELNS1_3repE0EEENS1_30default_config_static_selectorELNS0_4arch9wavefront6targetE1EEEvT1_.num_vgpr, 0
	.set _ZN7rocprim17ROCPRIM_400000_NS6detail17trampoline_kernelINS0_14default_configENS1_35adjacent_difference_config_selectorILb0ElEEZNS1_24adjacent_difference_implIS3_Lb0ELb0EPlS7_ZN2at6native12_GLOBAL__N_124unique_dim_cuda_templateIiEESt5tupleIJNS8_6TensorESD_SD_EERKSD_lbbbEUlllE1_EE10hipError_tPvRmT2_T3_mT4_P12ihipStream_tbEUlT_E_NS1_11comp_targetILNS1_3genE8ELNS1_11target_archE1030ELNS1_3gpuE2ELNS1_3repE0EEENS1_30default_config_static_selectorELNS0_4arch9wavefront6targetE1EEEvT1_.num_agpr, 0
	.set _ZN7rocprim17ROCPRIM_400000_NS6detail17trampoline_kernelINS0_14default_configENS1_35adjacent_difference_config_selectorILb0ElEEZNS1_24adjacent_difference_implIS3_Lb0ELb0EPlS7_ZN2at6native12_GLOBAL__N_124unique_dim_cuda_templateIiEESt5tupleIJNS8_6TensorESD_SD_EERKSD_lbbbEUlllE1_EE10hipError_tPvRmT2_T3_mT4_P12ihipStream_tbEUlT_E_NS1_11comp_targetILNS1_3genE8ELNS1_11target_archE1030ELNS1_3gpuE2ELNS1_3repE0EEENS1_30default_config_static_selectorELNS0_4arch9wavefront6targetE1EEEvT1_.numbered_sgpr, 0
	.set _ZN7rocprim17ROCPRIM_400000_NS6detail17trampoline_kernelINS0_14default_configENS1_35adjacent_difference_config_selectorILb0ElEEZNS1_24adjacent_difference_implIS3_Lb0ELb0EPlS7_ZN2at6native12_GLOBAL__N_124unique_dim_cuda_templateIiEESt5tupleIJNS8_6TensorESD_SD_EERKSD_lbbbEUlllE1_EE10hipError_tPvRmT2_T3_mT4_P12ihipStream_tbEUlT_E_NS1_11comp_targetILNS1_3genE8ELNS1_11target_archE1030ELNS1_3gpuE2ELNS1_3repE0EEENS1_30default_config_static_selectorELNS0_4arch9wavefront6targetE1EEEvT1_.num_named_barrier, 0
	.set _ZN7rocprim17ROCPRIM_400000_NS6detail17trampoline_kernelINS0_14default_configENS1_35adjacent_difference_config_selectorILb0ElEEZNS1_24adjacent_difference_implIS3_Lb0ELb0EPlS7_ZN2at6native12_GLOBAL__N_124unique_dim_cuda_templateIiEESt5tupleIJNS8_6TensorESD_SD_EERKSD_lbbbEUlllE1_EE10hipError_tPvRmT2_T3_mT4_P12ihipStream_tbEUlT_E_NS1_11comp_targetILNS1_3genE8ELNS1_11target_archE1030ELNS1_3gpuE2ELNS1_3repE0EEENS1_30default_config_static_selectorELNS0_4arch9wavefront6targetE1EEEvT1_.private_seg_size, 0
	.set _ZN7rocprim17ROCPRIM_400000_NS6detail17trampoline_kernelINS0_14default_configENS1_35adjacent_difference_config_selectorILb0ElEEZNS1_24adjacent_difference_implIS3_Lb0ELb0EPlS7_ZN2at6native12_GLOBAL__N_124unique_dim_cuda_templateIiEESt5tupleIJNS8_6TensorESD_SD_EERKSD_lbbbEUlllE1_EE10hipError_tPvRmT2_T3_mT4_P12ihipStream_tbEUlT_E_NS1_11comp_targetILNS1_3genE8ELNS1_11target_archE1030ELNS1_3gpuE2ELNS1_3repE0EEENS1_30default_config_static_selectorELNS0_4arch9wavefront6targetE1EEEvT1_.uses_vcc, 0
	.set _ZN7rocprim17ROCPRIM_400000_NS6detail17trampoline_kernelINS0_14default_configENS1_35adjacent_difference_config_selectorILb0ElEEZNS1_24adjacent_difference_implIS3_Lb0ELb0EPlS7_ZN2at6native12_GLOBAL__N_124unique_dim_cuda_templateIiEESt5tupleIJNS8_6TensorESD_SD_EERKSD_lbbbEUlllE1_EE10hipError_tPvRmT2_T3_mT4_P12ihipStream_tbEUlT_E_NS1_11comp_targetILNS1_3genE8ELNS1_11target_archE1030ELNS1_3gpuE2ELNS1_3repE0EEENS1_30default_config_static_selectorELNS0_4arch9wavefront6targetE1EEEvT1_.uses_flat_scratch, 0
	.set _ZN7rocprim17ROCPRIM_400000_NS6detail17trampoline_kernelINS0_14default_configENS1_35adjacent_difference_config_selectorILb0ElEEZNS1_24adjacent_difference_implIS3_Lb0ELb0EPlS7_ZN2at6native12_GLOBAL__N_124unique_dim_cuda_templateIiEESt5tupleIJNS8_6TensorESD_SD_EERKSD_lbbbEUlllE1_EE10hipError_tPvRmT2_T3_mT4_P12ihipStream_tbEUlT_E_NS1_11comp_targetILNS1_3genE8ELNS1_11target_archE1030ELNS1_3gpuE2ELNS1_3repE0EEENS1_30default_config_static_selectorELNS0_4arch9wavefront6targetE1EEEvT1_.has_dyn_sized_stack, 0
	.set _ZN7rocprim17ROCPRIM_400000_NS6detail17trampoline_kernelINS0_14default_configENS1_35adjacent_difference_config_selectorILb0ElEEZNS1_24adjacent_difference_implIS3_Lb0ELb0EPlS7_ZN2at6native12_GLOBAL__N_124unique_dim_cuda_templateIiEESt5tupleIJNS8_6TensorESD_SD_EERKSD_lbbbEUlllE1_EE10hipError_tPvRmT2_T3_mT4_P12ihipStream_tbEUlT_E_NS1_11comp_targetILNS1_3genE8ELNS1_11target_archE1030ELNS1_3gpuE2ELNS1_3repE0EEENS1_30default_config_static_selectorELNS0_4arch9wavefront6targetE1EEEvT1_.has_recursion, 0
	.set _ZN7rocprim17ROCPRIM_400000_NS6detail17trampoline_kernelINS0_14default_configENS1_35adjacent_difference_config_selectorILb0ElEEZNS1_24adjacent_difference_implIS3_Lb0ELb0EPlS7_ZN2at6native12_GLOBAL__N_124unique_dim_cuda_templateIiEESt5tupleIJNS8_6TensorESD_SD_EERKSD_lbbbEUlllE1_EE10hipError_tPvRmT2_T3_mT4_P12ihipStream_tbEUlT_E_NS1_11comp_targetILNS1_3genE8ELNS1_11target_archE1030ELNS1_3gpuE2ELNS1_3repE0EEENS1_30default_config_static_selectorELNS0_4arch9wavefront6targetE1EEEvT1_.has_indirect_call, 0
	.section	.AMDGPU.csdata,"",@progbits
; Kernel info:
; codeLenInByte = 0
; TotalNumSgprs: 6
; NumVgprs: 0
; NumAgprs: 0
; TotalNumVgprs: 0
; ScratchSize: 0
; MemoryBound: 0
; FloatMode: 240
; IeeeMode: 1
; LDSByteSize: 0 bytes/workgroup (compile time only)
; SGPRBlocks: 0
; VGPRBlocks: 0
; NumSGPRsForWavesPerEU: 6
; NumVGPRsForWavesPerEU: 1
; AccumOffset: 4
; Occupancy: 8
; WaveLimiterHint : 0
; COMPUTE_PGM_RSRC2:SCRATCH_EN: 0
; COMPUTE_PGM_RSRC2:USER_SGPR: 2
; COMPUTE_PGM_RSRC2:TRAP_HANDLER: 0
; COMPUTE_PGM_RSRC2:TGID_X_EN: 1
; COMPUTE_PGM_RSRC2:TGID_Y_EN: 0
; COMPUTE_PGM_RSRC2:TGID_Z_EN: 0
; COMPUTE_PGM_RSRC2:TIDIG_COMP_CNT: 0
; COMPUTE_PGM_RSRC3_GFX90A:ACCUM_OFFSET: 0
; COMPUTE_PGM_RSRC3_GFX90A:TG_SPLIT: 0
	.section	.text._ZN7rocprim17ROCPRIM_400000_NS6detail17trampoline_kernelINS0_14default_configENS1_25transform_config_selectorIlLb0EEEZNS1_14transform_implILb0ES3_S5_NS0_18transform_iteratorINS0_17counting_iteratorImlEEZNS1_24adjacent_difference_implIS3_Lb1ELb0EPlSB_ZN2at6native12_GLOBAL__N_124unique_dim_cuda_templateIiEESt5tupleIJNSC_6TensorESH_SH_EERKSH_lbbbEUlllE1_EE10hipError_tPvRmT2_T3_mT4_P12ihipStream_tbEUlmE_lEESB_NS0_8identityIvEEEESM_SP_SQ_mSR_ST_bEUlT_E_NS1_11comp_targetILNS1_3genE0ELNS1_11target_archE4294967295ELNS1_3gpuE0ELNS1_3repE0EEENS1_30default_config_static_selectorELNS0_4arch9wavefront6targetE1EEEvT1_,"axG",@progbits,_ZN7rocprim17ROCPRIM_400000_NS6detail17trampoline_kernelINS0_14default_configENS1_25transform_config_selectorIlLb0EEEZNS1_14transform_implILb0ES3_S5_NS0_18transform_iteratorINS0_17counting_iteratorImlEEZNS1_24adjacent_difference_implIS3_Lb1ELb0EPlSB_ZN2at6native12_GLOBAL__N_124unique_dim_cuda_templateIiEESt5tupleIJNSC_6TensorESH_SH_EERKSH_lbbbEUlllE1_EE10hipError_tPvRmT2_T3_mT4_P12ihipStream_tbEUlmE_lEESB_NS0_8identityIvEEEESM_SP_SQ_mSR_ST_bEUlT_E_NS1_11comp_targetILNS1_3genE0ELNS1_11target_archE4294967295ELNS1_3gpuE0ELNS1_3repE0EEENS1_30default_config_static_selectorELNS0_4arch9wavefront6targetE1EEEvT1_,comdat
	.globl	_ZN7rocprim17ROCPRIM_400000_NS6detail17trampoline_kernelINS0_14default_configENS1_25transform_config_selectorIlLb0EEEZNS1_14transform_implILb0ES3_S5_NS0_18transform_iteratorINS0_17counting_iteratorImlEEZNS1_24adjacent_difference_implIS3_Lb1ELb0EPlSB_ZN2at6native12_GLOBAL__N_124unique_dim_cuda_templateIiEESt5tupleIJNSC_6TensorESH_SH_EERKSH_lbbbEUlllE1_EE10hipError_tPvRmT2_T3_mT4_P12ihipStream_tbEUlmE_lEESB_NS0_8identityIvEEEESM_SP_SQ_mSR_ST_bEUlT_E_NS1_11comp_targetILNS1_3genE0ELNS1_11target_archE4294967295ELNS1_3gpuE0ELNS1_3repE0EEENS1_30default_config_static_selectorELNS0_4arch9wavefront6targetE1EEEvT1_ ; -- Begin function _ZN7rocprim17ROCPRIM_400000_NS6detail17trampoline_kernelINS0_14default_configENS1_25transform_config_selectorIlLb0EEEZNS1_14transform_implILb0ES3_S5_NS0_18transform_iteratorINS0_17counting_iteratorImlEEZNS1_24adjacent_difference_implIS3_Lb1ELb0EPlSB_ZN2at6native12_GLOBAL__N_124unique_dim_cuda_templateIiEESt5tupleIJNSC_6TensorESH_SH_EERKSH_lbbbEUlllE1_EE10hipError_tPvRmT2_T3_mT4_P12ihipStream_tbEUlmE_lEESB_NS0_8identityIvEEEESM_SP_SQ_mSR_ST_bEUlT_E_NS1_11comp_targetILNS1_3genE0ELNS1_11target_archE4294967295ELNS1_3gpuE0ELNS1_3repE0EEENS1_30default_config_static_selectorELNS0_4arch9wavefront6targetE1EEEvT1_
	.p2align	8
	.type	_ZN7rocprim17ROCPRIM_400000_NS6detail17trampoline_kernelINS0_14default_configENS1_25transform_config_selectorIlLb0EEEZNS1_14transform_implILb0ES3_S5_NS0_18transform_iteratorINS0_17counting_iteratorImlEEZNS1_24adjacent_difference_implIS3_Lb1ELb0EPlSB_ZN2at6native12_GLOBAL__N_124unique_dim_cuda_templateIiEESt5tupleIJNSC_6TensorESH_SH_EERKSH_lbbbEUlllE1_EE10hipError_tPvRmT2_T3_mT4_P12ihipStream_tbEUlmE_lEESB_NS0_8identityIvEEEESM_SP_SQ_mSR_ST_bEUlT_E_NS1_11comp_targetILNS1_3genE0ELNS1_11target_archE4294967295ELNS1_3gpuE0ELNS1_3repE0EEENS1_30default_config_static_selectorELNS0_4arch9wavefront6targetE1EEEvT1_,@function
_ZN7rocprim17ROCPRIM_400000_NS6detail17trampoline_kernelINS0_14default_configENS1_25transform_config_selectorIlLb0EEEZNS1_14transform_implILb0ES3_S5_NS0_18transform_iteratorINS0_17counting_iteratorImlEEZNS1_24adjacent_difference_implIS3_Lb1ELb0EPlSB_ZN2at6native12_GLOBAL__N_124unique_dim_cuda_templateIiEESt5tupleIJNSC_6TensorESH_SH_EERKSH_lbbbEUlllE1_EE10hipError_tPvRmT2_T3_mT4_P12ihipStream_tbEUlmE_lEESB_NS0_8identityIvEEEESM_SP_SQ_mSR_ST_bEUlT_E_NS1_11comp_targetILNS1_3genE0ELNS1_11target_archE4294967295ELNS1_3gpuE0ELNS1_3repE0EEENS1_30default_config_static_selectorELNS0_4arch9wavefront6targetE1EEEvT1_: ; @_ZN7rocprim17ROCPRIM_400000_NS6detail17trampoline_kernelINS0_14default_configENS1_25transform_config_selectorIlLb0EEEZNS1_14transform_implILb0ES3_S5_NS0_18transform_iteratorINS0_17counting_iteratorImlEEZNS1_24adjacent_difference_implIS3_Lb1ELb0EPlSB_ZN2at6native12_GLOBAL__N_124unique_dim_cuda_templateIiEESt5tupleIJNSC_6TensorESH_SH_EERKSH_lbbbEUlllE1_EE10hipError_tPvRmT2_T3_mT4_P12ihipStream_tbEUlmE_lEESB_NS0_8identityIvEEEESM_SP_SQ_mSR_ST_bEUlT_E_NS1_11comp_targetILNS1_3genE0ELNS1_11target_archE4294967295ELNS1_3gpuE0ELNS1_3repE0EEENS1_30default_config_static_selectorELNS0_4arch9wavefront6targetE1EEEvT1_
; %bb.0:
	s_load_dword s3, s[0:1], 0x38
	s_load_dword s5, s[0:1], 0x20
	s_lshl_b32 s4, s2, 7
	s_waitcnt lgkmcnt(0)
	s_add_i32 s3, s3, -1
	s_cmp_lg_u32 s2, s3
	s_cselect_b64 s[2:3], -1, 0
	s_sub_i32 s5, s5, s4
	v_cmp_gt_u32_e32 vcc, s5, v0
	s_or_b64 s[2:3], s[2:3], vcc
	s_and_saveexec_b64 s[6:7], s[2:3]
	s_cbranch_execz .LBB424_2
; %bb.1:
	s_load_dwordx2 s[2:3], s[0:1], 0x18
	s_load_dwordx4 s[8:11], s[0:1], 0x0
	s_load_dwordx2 s[6:7], s[0:1], 0x28
	s_load_dword s5, s[0:1], 0x10
	v_mov_b32_e32 v1, 0
	s_waitcnt lgkmcnt(0)
	s_lshl_b64 s[0:1], s[2:3], 3
	v_mov_b32_e32 v2, s10
	s_add_u32 s6, s6, s0
	s_addc_u32 s7, s7, s1
	s_add_u32 s0, s8, s2
	s_addc_u32 s1, s9, s3
	;; [unrolled: 2-line block ×3, first 2 shown]
	v_lshl_add_u64 v[4:5], s[0:1], 0, v[0:1]
	v_mad_u64_u32 v[6:7], s[0:1], v4, s5, 0
	v_mov_b32_e32 v4, v7
	v_mad_u64_u32 v[4:5], s[0:1], v5, s5, v[4:5]
	v_mov_b32_e32 v3, s11
	v_mov_b32_e32 v7, v4
	v_lshl_add_u64 v[2:3], v[6:7], 3, v[2:3]
	global_load_dwordx2 v[2:3], v[2:3], off
	s_mov_b32 s5, 0
	s_lshl_b64 s[0:1], s[4:5], 3
	s_add_u32 s0, s6, s0
	s_addc_u32 s1, s7, s1
	v_lshl_add_u64 v[0:1], v[0:1], 3, s[0:1]
	s_waitcnt vmcnt(0)
	global_store_dwordx2 v[0:1], v[2:3], off
.LBB424_2:
	s_endpgm
	.section	.rodata,"a",@progbits
	.p2align	6, 0x0
	.amdhsa_kernel _ZN7rocprim17ROCPRIM_400000_NS6detail17trampoline_kernelINS0_14default_configENS1_25transform_config_selectorIlLb0EEEZNS1_14transform_implILb0ES3_S5_NS0_18transform_iteratorINS0_17counting_iteratorImlEEZNS1_24adjacent_difference_implIS3_Lb1ELb0EPlSB_ZN2at6native12_GLOBAL__N_124unique_dim_cuda_templateIiEESt5tupleIJNSC_6TensorESH_SH_EERKSH_lbbbEUlllE1_EE10hipError_tPvRmT2_T3_mT4_P12ihipStream_tbEUlmE_lEESB_NS0_8identityIvEEEESM_SP_SQ_mSR_ST_bEUlT_E_NS1_11comp_targetILNS1_3genE0ELNS1_11target_archE4294967295ELNS1_3gpuE0ELNS1_3repE0EEENS1_30default_config_static_selectorELNS0_4arch9wavefront6targetE1EEEvT1_
		.amdhsa_group_segment_fixed_size 0
		.amdhsa_private_segment_fixed_size 0
		.amdhsa_kernarg_size 312
		.amdhsa_user_sgpr_count 2
		.amdhsa_user_sgpr_dispatch_ptr 0
		.amdhsa_user_sgpr_queue_ptr 0
		.amdhsa_user_sgpr_kernarg_segment_ptr 1
		.amdhsa_user_sgpr_dispatch_id 0
		.amdhsa_user_sgpr_kernarg_preload_length 0
		.amdhsa_user_sgpr_kernarg_preload_offset 0
		.amdhsa_user_sgpr_private_segment_size 0
		.amdhsa_uses_dynamic_stack 0
		.amdhsa_enable_private_segment 0
		.amdhsa_system_sgpr_workgroup_id_x 1
		.amdhsa_system_sgpr_workgroup_id_y 0
		.amdhsa_system_sgpr_workgroup_id_z 0
		.amdhsa_system_sgpr_workgroup_info 0
		.amdhsa_system_vgpr_workitem_id 0
		.amdhsa_next_free_vgpr 8
		.amdhsa_next_free_sgpr 12
		.amdhsa_accum_offset 8
		.amdhsa_reserve_vcc 1
		.amdhsa_float_round_mode_32 0
		.amdhsa_float_round_mode_16_64 0
		.amdhsa_float_denorm_mode_32 3
		.amdhsa_float_denorm_mode_16_64 3
		.amdhsa_dx10_clamp 1
		.amdhsa_ieee_mode 1
		.amdhsa_fp16_overflow 0
		.amdhsa_tg_split 0
		.amdhsa_exception_fp_ieee_invalid_op 0
		.amdhsa_exception_fp_denorm_src 0
		.amdhsa_exception_fp_ieee_div_zero 0
		.amdhsa_exception_fp_ieee_overflow 0
		.amdhsa_exception_fp_ieee_underflow 0
		.amdhsa_exception_fp_ieee_inexact 0
		.amdhsa_exception_int_div_zero 0
	.end_amdhsa_kernel
	.section	.text._ZN7rocprim17ROCPRIM_400000_NS6detail17trampoline_kernelINS0_14default_configENS1_25transform_config_selectorIlLb0EEEZNS1_14transform_implILb0ES3_S5_NS0_18transform_iteratorINS0_17counting_iteratorImlEEZNS1_24adjacent_difference_implIS3_Lb1ELb0EPlSB_ZN2at6native12_GLOBAL__N_124unique_dim_cuda_templateIiEESt5tupleIJNSC_6TensorESH_SH_EERKSH_lbbbEUlllE1_EE10hipError_tPvRmT2_T3_mT4_P12ihipStream_tbEUlmE_lEESB_NS0_8identityIvEEEESM_SP_SQ_mSR_ST_bEUlT_E_NS1_11comp_targetILNS1_3genE0ELNS1_11target_archE4294967295ELNS1_3gpuE0ELNS1_3repE0EEENS1_30default_config_static_selectorELNS0_4arch9wavefront6targetE1EEEvT1_,"axG",@progbits,_ZN7rocprim17ROCPRIM_400000_NS6detail17trampoline_kernelINS0_14default_configENS1_25transform_config_selectorIlLb0EEEZNS1_14transform_implILb0ES3_S5_NS0_18transform_iteratorINS0_17counting_iteratorImlEEZNS1_24adjacent_difference_implIS3_Lb1ELb0EPlSB_ZN2at6native12_GLOBAL__N_124unique_dim_cuda_templateIiEESt5tupleIJNSC_6TensorESH_SH_EERKSH_lbbbEUlllE1_EE10hipError_tPvRmT2_T3_mT4_P12ihipStream_tbEUlmE_lEESB_NS0_8identityIvEEEESM_SP_SQ_mSR_ST_bEUlT_E_NS1_11comp_targetILNS1_3genE0ELNS1_11target_archE4294967295ELNS1_3gpuE0ELNS1_3repE0EEENS1_30default_config_static_selectorELNS0_4arch9wavefront6targetE1EEEvT1_,comdat
.Lfunc_end424:
	.size	_ZN7rocprim17ROCPRIM_400000_NS6detail17trampoline_kernelINS0_14default_configENS1_25transform_config_selectorIlLb0EEEZNS1_14transform_implILb0ES3_S5_NS0_18transform_iteratorINS0_17counting_iteratorImlEEZNS1_24adjacent_difference_implIS3_Lb1ELb0EPlSB_ZN2at6native12_GLOBAL__N_124unique_dim_cuda_templateIiEESt5tupleIJNSC_6TensorESH_SH_EERKSH_lbbbEUlllE1_EE10hipError_tPvRmT2_T3_mT4_P12ihipStream_tbEUlmE_lEESB_NS0_8identityIvEEEESM_SP_SQ_mSR_ST_bEUlT_E_NS1_11comp_targetILNS1_3genE0ELNS1_11target_archE4294967295ELNS1_3gpuE0ELNS1_3repE0EEENS1_30default_config_static_selectorELNS0_4arch9wavefront6targetE1EEEvT1_, .Lfunc_end424-_ZN7rocprim17ROCPRIM_400000_NS6detail17trampoline_kernelINS0_14default_configENS1_25transform_config_selectorIlLb0EEEZNS1_14transform_implILb0ES3_S5_NS0_18transform_iteratorINS0_17counting_iteratorImlEEZNS1_24adjacent_difference_implIS3_Lb1ELb0EPlSB_ZN2at6native12_GLOBAL__N_124unique_dim_cuda_templateIiEESt5tupleIJNSC_6TensorESH_SH_EERKSH_lbbbEUlllE1_EE10hipError_tPvRmT2_T3_mT4_P12ihipStream_tbEUlmE_lEESB_NS0_8identityIvEEEESM_SP_SQ_mSR_ST_bEUlT_E_NS1_11comp_targetILNS1_3genE0ELNS1_11target_archE4294967295ELNS1_3gpuE0ELNS1_3repE0EEENS1_30default_config_static_selectorELNS0_4arch9wavefront6targetE1EEEvT1_
                                        ; -- End function
	.set _ZN7rocprim17ROCPRIM_400000_NS6detail17trampoline_kernelINS0_14default_configENS1_25transform_config_selectorIlLb0EEEZNS1_14transform_implILb0ES3_S5_NS0_18transform_iteratorINS0_17counting_iteratorImlEEZNS1_24adjacent_difference_implIS3_Lb1ELb0EPlSB_ZN2at6native12_GLOBAL__N_124unique_dim_cuda_templateIiEESt5tupleIJNSC_6TensorESH_SH_EERKSH_lbbbEUlllE1_EE10hipError_tPvRmT2_T3_mT4_P12ihipStream_tbEUlmE_lEESB_NS0_8identityIvEEEESM_SP_SQ_mSR_ST_bEUlT_E_NS1_11comp_targetILNS1_3genE0ELNS1_11target_archE4294967295ELNS1_3gpuE0ELNS1_3repE0EEENS1_30default_config_static_selectorELNS0_4arch9wavefront6targetE1EEEvT1_.num_vgpr, 8
	.set _ZN7rocprim17ROCPRIM_400000_NS6detail17trampoline_kernelINS0_14default_configENS1_25transform_config_selectorIlLb0EEEZNS1_14transform_implILb0ES3_S5_NS0_18transform_iteratorINS0_17counting_iteratorImlEEZNS1_24adjacent_difference_implIS3_Lb1ELb0EPlSB_ZN2at6native12_GLOBAL__N_124unique_dim_cuda_templateIiEESt5tupleIJNSC_6TensorESH_SH_EERKSH_lbbbEUlllE1_EE10hipError_tPvRmT2_T3_mT4_P12ihipStream_tbEUlmE_lEESB_NS0_8identityIvEEEESM_SP_SQ_mSR_ST_bEUlT_E_NS1_11comp_targetILNS1_3genE0ELNS1_11target_archE4294967295ELNS1_3gpuE0ELNS1_3repE0EEENS1_30default_config_static_selectorELNS0_4arch9wavefront6targetE1EEEvT1_.num_agpr, 0
	.set _ZN7rocprim17ROCPRIM_400000_NS6detail17trampoline_kernelINS0_14default_configENS1_25transform_config_selectorIlLb0EEEZNS1_14transform_implILb0ES3_S5_NS0_18transform_iteratorINS0_17counting_iteratorImlEEZNS1_24adjacent_difference_implIS3_Lb1ELb0EPlSB_ZN2at6native12_GLOBAL__N_124unique_dim_cuda_templateIiEESt5tupleIJNSC_6TensorESH_SH_EERKSH_lbbbEUlllE1_EE10hipError_tPvRmT2_T3_mT4_P12ihipStream_tbEUlmE_lEESB_NS0_8identityIvEEEESM_SP_SQ_mSR_ST_bEUlT_E_NS1_11comp_targetILNS1_3genE0ELNS1_11target_archE4294967295ELNS1_3gpuE0ELNS1_3repE0EEENS1_30default_config_static_selectorELNS0_4arch9wavefront6targetE1EEEvT1_.numbered_sgpr, 12
	.set _ZN7rocprim17ROCPRIM_400000_NS6detail17trampoline_kernelINS0_14default_configENS1_25transform_config_selectorIlLb0EEEZNS1_14transform_implILb0ES3_S5_NS0_18transform_iteratorINS0_17counting_iteratorImlEEZNS1_24adjacent_difference_implIS3_Lb1ELb0EPlSB_ZN2at6native12_GLOBAL__N_124unique_dim_cuda_templateIiEESt5tupleIJNSC_6TensorESH_SH_EERKSH_lbbbEUlllE1_EE10hipError_tPvRmT2_T3_mT4_P12ihipStream_tbEUlmE_lEESB_NS0_8identityIvEEEESM_SP_SQ_mSR_ST_bEUlT_E_NS1_11comp_targetILNS1_3genE0ELNS1_11target_archE4294967295ELNS1_3gpuE0ELNS1_3repE0EEENS1_30default_config_static_selectorELNS0_4arch9wavefront6targetE1EEEvT1_.num_named_barrier, 0
	.set _ZN7rocprim17ROCPRIM_400000_NS6detail17trampoline_kernelINS0_14default_configENS1_25transform_config_selectorIlLb0EEEZNS1_14transform_implILb0ES3_S5_NS0_18transform_iteratorINS0_17counting_iteratorImlEEZNS1_24adjacent_difference_implIS3_Lb1ELb0EPlSB_ZN2at6native12_GLOBAL__N_124unique_dim_cuda_templateIiEESt5tupleIJNSC_6TensorESH_SH_EERKSH_lbbbEUlllE1_EE10hipError_tPvRmT2_T3_mT4_P12ihipStream_tbEUlmE_lEESB_NS0_8identityIvEEEESM_SP_SQ_mSR_ST_bEUlT_E_NS1_11comp_targetILNS1_3genE0ELNS1_11target_archE4294967295ELNS1_3gpuE0ELNS1_3repE0EEENS1_30default_config_static_selectorELNS0_4arch9wavefront6targetE1EEEvT1_.private_seg_size, 0
	.set _ZN7rocprim17ROCPRIM_400000_NS6detail17trampoline_kernelINS0_14default_configENS1_25transform_config_selectorIlLb0EEEZNS1_14transform_implILb0ES3_S5_NS0_18transform_iteratorINS0_17counting_iteratorImlEEZNS1_24adjacent_difference_implIS3_Lb1ELb0EPlSB_ZN2at6native12_GLOBAL__N_124unique_dim_cuda_templateIiEESt5tupleIJNSC_6TensorESH_SH_EERKSH_lbbbEUlllE1_EE10hipError_tPvRmT2_T3_mT4_P12ihipStream_tbEUlmE_lEESB_NS0_8identityIvEEEESM_SP_SQ_mSR_ST_bEUlT_E_NS1_11comp_targetILNS1_3genE0ELNS1_11target_archE4294967295ELNS1_3gpuE0ELNS1_3repE0EEENS1_30default_config_static_selectorELNS0_4arch9wavefront6targetE1EEEvT1_.uses_vcc, 1
	.set _ZN7rocprim17ROCPRIM_400000_NS6detail17trampoline_kernelINS0_14default_configENS1_25transform_config_selectorIlLb0EEEZNS1_14transform_implILb0ES3_S5_NS0_18transform_iteratorINS0_17counting_iteratorImlEEZNS1_24adjacent_difference_implIS3_Lb1ELb0EPlSB_ZN2at6native12_GLOBAL__N_124unique_dim_cuda_templateIiEESt5tupleIJNSC_6TensorESH_SH_EERKSH_lbbbEUlllE1_EE10hipError_tPvRmT2_T3_mT4_P12ihipStream_tbEUlmE_lEESB_NS0_8identityIvEEEESM_SP_SQ_mSR_ST_bEUlT_E_NS1_11comp_targetILNS1_3genE0ELNS1_11target_archE4294967295ELNS1_3gpuE0ELNS1_3repE0EEENS1_30default_config_static_selectorELNS0_4arch9wavefront6targetE1EEEvT1_.uses_flat_scratch, 0
	.set _ZN7rocprim17ROCPRIM_400000_NS6detail17trampoline_kernelINS0_14default_configENS1_25transform_config_selectorIlLb0EEEZNS1_14transform_implILb0ES3_S5_NS0_18transform_iteratorINS0_17counting_iteratorImlEEZNS1_24adjacent_difference_implIS3_Lb1ELb0EPlSB_ZN2at6native12_GLOBAL__N_124unique_dim_cuda_templateIiEESt5tupleIJNSC_6TensorESH_SH_EERKSH_lbbbEUlllE1_EE10hipError_tPvRmT2_T3_mT4_P12ihipStream_tbEUlmE_lEESB_NS0_8identityIvEEEESM_SP_SQ_mSR_ST_bEUlT_E_NS1_11comp_targetILNS1_3genE0ELNS1_11target_archE4294967295ELNS1_3gpuE0ELNS1_3repE0EEENS1_30default_config_static_selectorELNS0_4arch9wavefront6targetE1EEEvT1_.has_dyn_sized_stack, 0
	.set _ZN7rocprim17ROCPRIM_400000_NS6detail17trampoline_kernelINS0_14default_configENS1_25transform_config_selectorIlLb0EEEZNS1_14transform_implILb0ES3_S5_NS0_18transform_iteratorINS0_17counting_iteratorImlEEZNS1_24adjacent_difference_implIS3_Lb1ELb0EPlSB_ZN2at6native12_GLOBAL__N_124unique_dim_cuda_templateIiEESt5tupleIJNSC_6TensorESH_SH_EERKSH_lbbbEUlllE1_EE10hipError_tPvRmT2_T3_mT4_P12ihipStream_tbEUlmE_lEESB_NS0_8identityIvEEEESM_SP_SQ_mSR_ST_bEUlT_E_NS1_11comp_targetILNS1_3genE0ELNS1_11target_archE4294967295ELNS1_3gpuE0ELNS1_3repE0EEENS1_30default_config_static_selectorELNS0_4arch9wavefront6targetE1EEEvT1_.has_recursion, 0
	.set _ZN7rocprim17ROCPRIM_400000_NS6detail17trampoline_kernelINS0_14default_configENS1_25transform_config_selectorIlLb0EEEZNS1_14transform_implILb0ES3_S5_NS0_18transform_iteratorINS0_17counting_iteratorImlEEZNS1_24adjacent_difference_implIS3_Lb1ELb0EPlSB_ZN2at6native12_GLOBAL__N_124unique_dim_cuda_templateIiEESt5tupleIJNSC_6TensorESH_SH_EERKSH_lbbbEUlllE1_EE10hipError_tPvRmT2_T3_mT4_P12ihipStream_tbEUlmE_lEESB_NS0_8identityIvEEEESM_SP_SQ_mSR_ST_bEUlT_E_NS1_11comp_targetILNS1_3genE0ELNS1_11target_archE4294967295ELNS1_3gpuE0ELNS1_3repE0EEENS1_30default_config_static_selectorELNS0_4arch9wavefront6targetE1EEEvT1_.has_indirect_call, 0
	.section	.AMDGPU.csdata,"",@progbits
; Kernel info:
; codeLenInByte = 220
; TotalNumSgprs: 18
; NumVgprs: 8
; NumAgprs: 0
; TotalNumVgprs: 8
; ScratchSize: 0
; MemoryBound: 0
; FloatMode: 240
; IeeeMode: 1
; LDSByteSize: 0 bytes/workgroup (compile time only)
; SGPRBlocks: 2
; VGPRBlocks: 0
; NumSGPRsForWavesPerEU: 18
; NumVGPRsForWavesPerEU: 8
; AccumOffset: 8
; Occupancy: 8
; WaveLimiterHint : 0
; COMPUTE_PGM_RSRC2:SCRATCH_EN: 0
; COMPUTE_PGM_RSRC2:USER_SGPR: 2
; COMPUTE_PGM_RSRC2:TRAP_HANDLER: 0
; COMPUTE_PGM_RSRC2:TGID_X_EN: 1
; COMPUTE_PGM_RSRC2:TGID_Y_EN: 0
; COMPUTE_PGM_RSRC2:TGID_Z_EN: 0
; COMPUTE_PGM_RSRC2:TIDIG_COMP_CNT: 0
; COMPUTE_PGM_RSRC3_GFX90A:ACCUM_OFFSET: 1
; COMPUTE_PGM_RSRC3_GFX90A:TG_SPLIT: 0
	.section	.text._ZN7rocprim17ROCPRIM_400000_NS6detail17trampoline_kernelINS0_14default_configENS1_25transform_config_selectorIlLb0EEEZNS1_14transform_implILb0ES3_S5_NS0_18transform_iteratorINS0_17counting_iteratorImlEEZNS1_24adjacent_difference_implIS3_Lb1ELb0EPlSB_ZN2at6native12_GLOBAL__N_124unique_dim_cuda_templateIiEESt5tupleIJNSC_6TensorESH_SH_EERKSH_lbbbEUlllE1_EE10hipError_tPvRmT2_T3_mT4_P12ihipStream_tbEUlmE_lEESB_NS0_8identityIvEEEESM_SP_SQ_mSR_ST_bEUlT_E_NS1_11comp_targetILNS1_3genE5ELNS1_11target_archE942ELNS1_3gpuE9ELNS1_3repE0EEENS1_30default_config_static_selectorELNS0_4arch9wavefront6targetE1EEEvT1_,"axG",@progbits,_ZN7rocprim17ROCPRIM_400000_NS6detail17trampoline_kernelINS0_14default_configENS1_25transform_config_selectorIlLb0EEEZNS1_14transform_implILb0ES3_S5_NS0_18transform_iteratorINS0_17counting_iteratorImlEEZNS1_24adjacent_difference_implIS3_Lb1ELb0EPlSB_ZN2at6native12_GLOBAL__N_124unique_dim_cuda_templateIiEESt5tupleIJNSC_6TensorESH_SH_EERKSH_lbbbEUlllE1_EE10hipError_tPvRmT2_T3_mT4_P12ihipStream_tbEUlmE_lEESB_NS0_8identityIvEEEESM_SP_SQ_mSR_ST_bEUlT_E_NS1_11comp_targetILNS1_3genE5ELNS1_11target_archE942ELNS1_3gpuE9ELNS1_3repE0EEENS1_30default_config_static_selectorELNS0_4arch9wavefront6targetE1EEEvT1_,comdat
	.globl	_ZN7rocprim17ROCPRIM_400000_NS6detail17trampoline_kernelINS0_14default_configENS1_25transform_config_selectorIlLb0EEEZNS1_14transform_implILb0ES3_S5_NS0_18transform_iteratorINS0_17counting_iteratorImlEEZNS1_24adjacent_difference_implIS3_Lb1ELb0EPlSB_ZN2at6native12_GLOBAL__N_124unique_dim_cuda_templateIiEESt5tupleIJNSC_6TensorESH_SH_EERKSH_lbbbEUlllE1_EE10hipError_tPvRmT2_T3_mT4_P12ihipStream_tbEUlmE_lEESB_NS0_8identityIvEEEESM_SP_SQ_mSR_ST_bEUlT_E_NS1_11comp_targetILNS1_3genE5ELNS1_11target_archE942ELNS1_3gpuE9ELNS1_3repE0EEENS1_30default_config_static_selectorELNS0_4arch9wavefront6targetE1EEEvT1_ ; -- Begin function _ZN7rocprim17ROCPRIM_400000_NS6detail17trampoline_kernelINS0_14default_configENS1_25transform_config_selectorIlLb0EEEZNS1_14transform_implILb0ES3_S5_NS0_18transform_iteratorINS0_17counting_iteratorImlEEZNS1_24adjacent_difference_implIS3_Lb1ELb0EPlSB_ZN2at6native12_GLOBAL__N_124unique_dim_cuda_templateIiEESt5tupleIJNSC_6TensorESH_SH_EERKSH_lbbbEUlllE1_EE10hipError_tPvRmT2_T3_mT4_P12ihipStream_tbEUlmE_lEESB_NS0_8identityIvEEEESM_SP_SQ_mSR_ST_bEUlT_E_NS1_11comp_targetILNS1_3genE5ELNS1_11target_archE942ELNS1_3gpuE9ELNS1_3repE0EEENS1_30default_config_static_selectorELNS0_4arch9wavefront6targetE1EEEvT1_
	.p2align	8
	.type	_ZN7rocprim17ROCPRIM_400000_NS6detail17trampoline_kernelINS0_14default_configENS1_25transform_config_selectorIlLb0EEEZNS1_14transform_implILb0ES3_S5_NS0_18transform_iteratorINS0_17counting_iteratorImlEEZNS1_24adjacent_difference_implIS3_Lb1ELb0EPlSB_ZN2at6native12_GLOBAL__N_124unique_dim_cuda_templateIiEESt5tupleIJNSC_6TensorESH_SH_EERKSH_lbbbEUlllE1_EE10hipError_tPvRmT2_T3_mT4_P12ihipStream_tbEUlmE_lEESB_NS0_8identityIvEEEESM_SP_SQ_mSR_ST_bEUlT_E_NS1_11comp_targetILNS1_3genE5ELNS1_11target_archE942ELNS1_3gpuE9ELNS1_3repE0EEENS1_30default_config_static_selectorELNS0_4arch9wavefront6targetE1EEEvT1_,@function
_ZN7rocprim17ROCPRIM_400000_NS6detail17trampoline_kernelINS0_14default_configENS1_25transform_config_selectorIlLb0EEEZNS1_14transform_implILb0ES3_S5_NS0_18transform_iteratorINS0_17counting_iteratorImlEEZNS1_24adjacent_difference_implIS3_Lb1ELb0EPlSB_ZN2at6native12_GLOBAL__N_124unique_dim_cuda_templateIiEESt5tupleIJNSC_6TensorESH_SH_EERKSH_lbbbEUlllE1_EE10hipError_tPvRmT2_T3_mT4_P12ihipStream_tbEUlmE_lEESB_NS0_8identityIvEEEESM_SP_SQ_mSR_ST_bEUlT_E_NS1_11comp_targetILNS1_3genE5ELNS1_11target_archE942ELNS1_3gpuE9ELNS1_3repE0EEENS1_30default_config_static_selectorELNS0_4arch9wavefront6targetE1EEEvT1_: ; @_ZN7rocprim17ROCPRIM_400000_NS6detail17trampoline_kernelINS0_14default_configENS1_25transform_config_selectorIlLb0EEEZNS1_14transform_implILb0ES3_S5_NS0_18transform_iteratorINS0_17counting_iteratorImlEEZNS1_24adjacent_difference_implIS3_Lb1ELb0EPlSB_ZN2at6native12_GLOBAL__N_124unique_dim_cuda_templateIiEESt5tupleIJNSC_6TensorESH_SH_EERKSH_lbbbEUlllE1_EE10hipError_tPvRmT2_T3_mT4_P12ihipStream_tbEUlmE_lEESB_NS0_8identityIvEEEESM_SP_SQ_mSR_ST_bEUlT_E_NS1_11comp_targetILNS1_3genE5ELNS1_11target_archE942ELNS1_3gpuE9ELNS1_3repE0EEENS1_30default_config_static_selectorELNS0_4arch9wavefront6targetE1EEEvT1_
; %bb.0:
	.section	.rodata,"a",@progbits
	.p2align	6, 0x0
	.amdhsa_kernel _ZN7rocprim17ROCPRIM_400000_NS6detail17trampoline_kernelINS0_14default_configENS1_25transform_config_selectorIlLb0EEEZNS1_14transform_implILb0ES3_S5_NS0_18transform_iteratorINS0_17counting_iteratorImlEEZNS1_24adjacent_difference_implIS3_Lb1ELb0EPlSB_ZN2at6native12_GLOBAL__N_124unique_dim_cuda_templateIiEESt5tupleIJNSC_6TensorESH_SH_EERKSH_lbbbEUlllE1_EE10hipError_tPvRmT2_T3_mT4_P12ihipStream_tbEUlmE_lEESB_NS0_8identityIvEEEESM_SP_SQ_mSR_ST_bEUlT_E_NS1_11comp_targetILNS1_3genE5ELNS1_11target_archE942ELNS1_3gpuE9ELNS1_3repE0EEENS1_30default_config_static_selectorELNS0_4arch9wavefront6targetE1EEEvT1_
		.amdhsa_group_segment_fixed_size 0
		.amdhsa_private_segment_fixed_size 0
		.amdhsa_kernarg_size 56
		.amdhsa_user_sgpr_count 2
		.amdhsa_user_sgpr_dispatch_ptr 0
		.amdhsa_user_sgpr_queue_ptr 0
		.amdhsa_user_sgpr_kernarg_segment_ptr 1
		.amdhsa_user_sgpr_dispatch_id 0
		.amdhsa_user_sgpr_kernarg_preload_length 0
		.amdhsa_user_sgpr_kernarg_preload_offset 0
		.amdhsa_user_sgpr_private_segment_size 0
		.amdhsa_uses_dynamic_stack 0
		.amdhsa_enable_private_segment 0
		.amdhsa_system_sgpr_workgroup_id_x 1
		.amdhsa_system_sgpr_workgroup_id_y 0
		.amdhsa_system_sgpr_workgroup_id_z 0
		.amdhsa_system_sgpr_workgroup_info 0
		.amdhsa_system_vgpr_workitem_id 0
		.amdhsa_next_free_vgpr 1
		.amdhsa_next_free_sgpr 0
		.amdhsa_accum_offset 4
		.amdhsa_reserve_vcc 0
		.amdhsa_float_round_mode_32 0
		.amdhsa_float_round_mode_16_64 0
		.amdhsa_float_denorm_mode_32 3
		.amdhsa_float_denorm_mode_16_64 3
		.amdhsa_dx10_clamp 1
		.amdhsa_ieee_mode 1
		.amdhsa_fp16_overflow 0
		.amdhsa_tg_split 0
		.amdhsa_exception_fp_ieee_invalid_op 0
		.amdhsa_exception_fp_denorm_src 0
		.amdhsa_exception_fp_ieee_div_zero 0
		.amdhsa_exception_fp_ieee_overflow 0
		.amdhsa_exception_fp_ieee_underflow 0
		.amdhsa_exception_fp_ieee_inexact 0
		.amdhsa_exception_int_div_zero 0
	.end_amdhsa_kernel
	.section	.text._ZN7rocprim17ROCPRIM_400000_NS6detail17trampoline_kernelINS0_14default_configENS1_25transform_config_selectorIlLb0EEEZNS1_14transform_implILb0ES3_S5_NS0_18transform_iteratorINS0_17counting_iteratorImlEEZNS1_24adjacent_difference_implIS3_Lb1ELb0EPlSB_ZN2at6native12_GLOBAL__N_124unique_dim_cuda_templateIiEESt5tupleIJNSC_6TensorESH_SH_EERKSH_lbbbEUlllE1_EE10hipError_tPvRmT2_T3_mT4_P12ihipStream_tbEUlmE_lEESB_NS0_8identityIvEEEESM_SP_SQ_mSR_ST_bEUlT_E_NS1_11comp_targetILNS1_3genE5ELNS1_11target_archE942ELNS1_3gpuE9ELNS1_3repE0EEENS1_30default_config_static_selectorELNS0_4arch9wavefront6targetE1EEEvT1_,"axG",@progbits,_ZN7rocprim17ROCPRIM_400000_NS6detail17trampoline_kernelINS0_14default_configENS1_25transform_config_selectorIlLb0EEEZNS1_14transform_implILb0ES3_S5_NS0_18transform_iteratorINS0_17counting_iteratorImlEEZNS1_24adjacent_difference_implIS3_Lb1ELb0EPlSB_ZN2at6native12_GLOBAL__N_124unique_dim_cuda_templateIiEESt5tupleIJNSC_6TensorESH_SH_EERKSH_lbbbEUlllE1_EE10hipError_tPvRmT2_T3_mT4_P12ihipStream_tbEUlmE_lEESB_NS0_8identityIvEEEESM_SP_SQ_mSR_ST_bEUlT_E_NS1_11comp_targetILNS1_3genE5ELNS1_11target_archE942ELNS1_3gpuE9ELNS1_3repE0EEENS1_30default_config_static_selectorELNS0_4arch9wavefront6targetE1EEEvT1_,comdat
.Lfunc_end425:
	.size	_ZN7rocprim17ROCPRIM_400000_NS6detail17trampoline_kernelINS0_14default_configENS1_25transform_config_selectorIlLb0EEEZNS1_14transform_implILb0ES3_S5_NS0_18transform_iteratorINS0_17counting_iteratorImlEEZNS1_24adjacent_difference_implIS3_Lb1ELb0EPlSB_ZN2at6native12_GLOBAL__N_124unique_dim_cuda_templateIiEESt5tupleIJNSC_6TensorESH_SH_EERKSH_lbbbEUlllE1_EE10hipError_tPvRmT2_T3_mT4_P12ihipStream_tbEUlmE_lEESB_NS0_8identityIvEEEESM_SP_SQ_mSR_ST_bEUlT_E_NS1_11comp_targetILNS1_3genE5ELNS1_11target_archE942ELNS1_3gpuE9ELNS1_3repE0EEENS1_30default_config_static_selectorELNS0_4arch9wavefront6targetE1EEEvT1_, .Lfunc_end425-_ZN7rocprim17ROCPRIM_400000_NS6detail17trampoline_kernelINS0_14default_configENS1_25transform_config_selectorIlLb0EEEZNS1_14transform_implILb0ES3_S5_NS0_18transform_iteratorINS0_17counting_iteratorImlEEZNS1_24adjacent_difference_implIS3_Lb1ELb0EPlSB_ZN2at6native12_GLOBAL__N_124unique_dim_cuda_templateIiEESt5tupleIJNSC_6TensorESH_SH_EERKSH_lbbbEUlllE1_EE10hipError_tPvRmT2_T3_mT4_P12ihipStream_tbEUlmE_lEESB_NS0_8identityIvEEEESM_SP_SQ_mSR_ST_bEUlT_E_NS1_11comp_targetILNS1_3genE5ELNS1_11target_archE942ELNS1_3gpuE9ELNS1_3repE0EEENS1_30default_config_static_selectorELNS0_4arch9wavefront6targetE1EEEvT1_
                                        ; -- End function
	.set _ZN7rocprim17ROCPRIM_400000_NS6detail17trampoline_kernelINS0_14default_configENS1_25transform_config_selectorIlLb0EEEZNS1_14transform_implILb0ES3_S5_NS0_18transform_iteratorINS0_17counting_iteratorImlEEZNS1_24adjacent_difference_implIS3_Lb1ELb0EPlSB_ZN2at6native12_GLOBAL__N_124unique_dim_cuda_templateIiEESt5tupleIJNSC_6TensorESH_SH_EERKSH_lbbbEUlllE1_EE10hipError_tPvRmT2_T3_mT4_P12ihipStream_tbEUlmE_lEESB_NS0_8identityIvEEEESM_SP_SQ_mSR_ST_bEUlT_E_NS1_11comp_targetILNS1_3genE5ELNS1_11target_archE942ELNS1_3gpuE9ELNS1_3repE0EEENS1_30default_config_static_selectorELNS0_4arch9wavefront6targetE1EEEvT1_.num_vgpr, 0
	.set _ZN7rocprim17ROCPRIM_400000_NS6detail17trampoline_kernelINS0_14default_configENS1_25transform_config_selectorIlLb0EEEZNS1_14transform_implILb0ES3_S5_NS0_18transform_iteratorINS0_17counting_iteratorImlEEZNS1_24adjacent_difference_implIS3_Lb1ELb0EPlSB_ZN2at6native12_GLOBAL__N_124unique_dim_cuda_templateIiEESt5tupleIJNSC_6TensorESH_SH_EERKSH_lbbbEUlllE1_EE10hipError_tPvRmT2_T3_mT4_P12ihipStream_tbEUlmE_lEESB_NS0_8identityIvEEEESM_SP_SQ_mSR_ST_bEUlT_E_NS1_11comp_targetILNS1_3genE5ELNS1_11target_archE942ELNS1_3gpuE9ELNS1_3repE0EEENS1_30default_config_static_selectorELNS0_4arch9wavefront6targetE1EEEvT1_.num_agpr, 0
	.set _ZN7rocprim17ROCPRIM_400000_NS6detail17trampoline_kernelINS0_14default_configENS1_25transform_config_selectorIlLb0EEEZNS1_14transform_implILb0ES3_S5_NS0_18transform_iteratorINS0_17counting_iteratorImlEEZNS1_24adjacent_difference_implIS3_Lb1ELb0EPlSB_ZN2at6native12_GLOBAL__N_124unique_dim_cuda_templateIiEESt5tupleIJNSC_6TensorESH_SH_EERKSH_lbbbEUlllE1_EE10hipError_tPvRmT2_T3_mT4_P12ihipStream_tbEUlmE_lEESB_NS0_8identityIvEEEESM_SP_SQ_mSR_ST_bEUlT_E_NS1_11comp_targetILNS1_3genE5ELNS1_11target_archE942ELNS1_3gpuE9ELNS1_3repE0EEENS1_30default_config_static_selectorELNS0_4arch9wavefront6targetE1EEEvT1_.numbered_sgpr, 0
	.set _ZN7rocprim17ROCPRIM_400000_NS6detail17trampoline_kernelINS0_14default_configENS1_25transform_config_selectorIlLb0EEEZNS1_14transform_implILb0ES3_S5_NS0_18transform_iteratorINS0_17counting_iteratorImlEEZNS1_24adjacent_difference_implIS3_Lb1ELb0EPlSB_ZN2at6native12_GLOBAL__N_124unique_dim_cuda_templateIiEESt5tupleIJNSC_6TensorESH_SH_EERKSH_lbbbEUlllE1_EE10hipError_tPvRmT2_T3_mT4_P12ihipStream_tbEUlmE_lEESB_NS0_8identityIvEEEESM_SP_SQ_mSR_ST_bEUlT_E_NS1_11comp_targetILNS1_3genE5ELNS1_11target_archE942ELNS1_3gpuE9ELNS1_3repE0EEENS1_30default_config_static_selectorELNS0_4arch9wavefront6targetE1EEEvT1_.num_named_barrier, 0
	.set _ZN7rocprim17ROCPRIM_400000_NS6detail17trampoline_kernelINS0_14default_configENS1_25transform_config_selectorIlLb0EEEZNS1_14transform_implILb0ES3_S5_NS0_18transform_iteratorINS0_17counting_iteratorImlEEZNS1_24adjacent_difference_implIS3_Lb1ELb0EPlSB_ZN2at6native12_GLOBAL__N_124unique_dim_cuda_templateIiEESt5tupleIJNSC_6TensorESH_SH_EERKSH_lbbbEUlllE1_EE10hipError_tPvRmT2_T3_mT4_P12ihipStream_tbEUlmE_lEESB_NS0_8identityIvEEEESM_SP_SQ_mSR_ST_bEUlT_E_NS1_11comp_targetILNS1_3genE5ELNS1_11target_archE942ELNS1_3gpuE9ELNS1_3repE0EEENS1_30default_config_static_selectorELNS0_4arch9wavefront6targetE1EEEvT1_.private_seg_size, 0
	.set _ZN7rocprim17ROCPRIM_400000_NS6detail17trampoline_kernelINS0_14default_configENS1_25transform_config_selectorIlLb0EEEZNS1_14transform_implILb0ES3_S5_NS0_18transform_iteratorINS0_17counting_iteratorImlEEZNS1_24adjacent_difference_implIS3_Lb1ELb0EPlSB_ZN2at6native12_GLOBAL__N_124unique_dim_cuda_templateIiEESt5tupleIJNSC_6TensorESH_SH_EERKSH_lbbbEUlllE1_EE10hipError_tPvRmT2_T3_mT4_P12ihipStream_tbEUlmE_lEESB_NS0_8identityIvEEEESM_SP_SQ_mSR_ST_bEUlT_E_NS1_11comp_targetILNS1_3genE5ELNS1_11target_archE942ELNS1_3gpuE9ELNS1_3repE0EEENS1_30default_config_static_selectorELNS0_4arch9wavefront6targetE1EEEvT1_.uses_vcc, 0
	.set _ZN7rocprim17ROCPRIM_400000_NS6detail17trampoline_kernelINS0_14default_configENS1_25transform_config_selectorIlLb0EEEZNS1_14transform_implILb0ES3_S5_NS0_18transform_iteratorINS0_17counting_iteratorImlEEZNS1_24adjacent_difference_implIS3_Lb1ELb0EPlSB_ZN2at6native12_GLOBAL__N_124unique_dim_cuda_templateIiEESt5tupleIJNSC_6TensorESH_SH_EERKSH_lbbbEUlllE1_EE10hipError_tPvRmT2_T3_mT4_P12ihipStream_tbEUlmE_lEESB_NS0_8identityIvEEEESM_SP_SQ_mSR_ST_bEUlT_E_NS1_11comp_targetILNS1_3genE5ELNS1_11target_archE942ELNS1_3gpuE9ELNS1_3repE0EEENS1_30default_config_static_selectorELNS0_4arch9wavefront6targetE1EEEvT1_.uses_flat_scratch, 0
	.set _ZN7rocprim17ROCPRIM_400000_NS6detail17trampoline_kernelINS0_14default_configENS1_25transform_config_selectorIlLb0EEEZNS1_14transform_implILb0ES3_S5_NS0_18transform_iteratorINS0_17counting_iteratorImlEEZNS1_24adjacent_difference_implIS3_Lb1ELb0EPlSB_ZN2at6native12_GLOBAL__N_124unique_dim_cuda_templateIiEESt5tupleIJNSC_6TensorESH_SH_EERKSH_lbbbEUlllE1_EE10hipError_tPvRmT2_T3_mT4_P12ihipStream_tbEUlmE_lEESB_NS0_8identityIvEEEESM_SP_SQ_mSR_ST_bEUlT_E_NS1_11comp_targetILNS1_3genE5ELNS1_11target_archE942ELNS1_3gpuE9ELNS1_3repE0EEENS1_30default_config_static_selectorELNS0_4arch9wavefront6targetE1EEEvT1_.has_dyn_sized_stack, 0
	.set _ZN7rocprim17ROCPRIM_400000_NS6detail17trampoline_kernelINS0_14default_configENS1_25transform_config_selectorIlLb0EEEZNS1_14transform_implILb0ES3_S5_NS0_18transform_iteratorINS0_17counting_iteratorImlEEZNS1_24adjacent_difference_implIS3_Lb1ELb0EPlSB_ZN2at6native12_GLOBAL__N_124unique_dim_cuda_templateIiEESt5tupleIJNSC_6TensorESH_SH_EERKSH_lbbbEUlllE1_EE10hipError_tPvRmT2_T3_mT4_P12ihipStream_tbEUlmE_lEESB_NS0_8identityIvEEEESM_SP_SQ_mSR_ST_bEUlT_E_NS1_11comp_targetILNS1_3genE5ELNS1_11target_archE942ELNS1_3gpuE9ELNS1_3repE0EEENS1_30default_config_static_selectorELNS0_4arch9wavefront6targetE1EEEvT1_.has_recursion, 0
	.set _ZN7rocprim17ROCPRIM_400000_NS6detail17trampoline_kernelINS0_14default_configENS1_25transform_config_selectorIlLb0EEEZNS1_14transform_implILb0ES3_S5_NS0_18transform_iteratorINS0_17counting_iteratorImlEEZNS1_24adjacent_difference_implIS3_Lb1ELb0EPlSB_ZN2at6native12_GLOBAL__N_124unique_dim_cuda_templateIiEESt5tupleIJNSC_6TensorESH_SH_EERKSH_lbbbEUlllE1_EE10hipError_tPvRmT2_T3_mT4_P12ihipStream_tbEUlmE_lEESB_NS0_8identityIvEEEESM_SP_SQ_mSR_ST_bEUlT_E_NS1_11comp_targetILNS1_3genE5ELNS1_11target_archE942ELNS1_3gpuE9ELNS1_3repE0EEENS1_30default_config_static_selectorELNS0_4arch9wavefront6targetE1EEEvT1_.has_indirect_call, 0
	.section	.AMDGPU.csdata,"",@progbits
; Kernel info:
; codeLenInByte = 0
; TotalNumSgprs: 6
; NumVgprs: 0
; NumAgprs: 0
; TotalNumVgprs: 0
; ScratchSize: 0
; MemoryBound: 0
; FloatMode: 240
; IeeeMode: 1
; LDSByteSize: 0 bytes/workgroup (compile time only)
; SGPRBlocks: 0
; VGPRBlocks: 0
; NumSGPRsForWavesPerEU: 6
; NumVGPRsForWavesPerEU: 1
; AccumOffset: 4
; Occupancy: 8
; WaveLimiterHint : 0
; COMPUTE_PGM_RSRC2:SCRATCH_EN: 0
; COMPUTE_PGM_RSRC2:USER_SGPR: 2
; COMPUTE_PGM_RSRC2:TRAP_HANDLER: 0
; COMPUTE_PGM_RSRC2:TGID_X_EN: 1
; COMPUTE_PGM_RSRC2:TGID_Y_EN: 0
; COMPUTE_PGM_RSRC2:TGID_Z_EN: 0
; COMPUTE_PGM_RSRC2:TIDIG_COMP_CNT: 0
; COMPUTE_PGM_RSRC3_GFX90A:ACCUM_OFFSET: 0
; COMPUTE_PGM_RSRC3_GFX90A:TG_SPLIT: 0
	.section	.text._ZN7rocprim17ROCPRIM_400000_NS6detail17trampoline_kernelINS0_14default_configENS1_25transform_config_selectorIlLb0EEEZNS1_14transform_implILb0ES3_S5_NS0_18transform_iteratorINS0_17counting_iteratorImlEEZNS1_24adjacent_difference_implIS3_Lb1ELb0EPlSB_ZN2at6native12_GLOBAL__N_124unique_dim_cuda_templateIiEESt5tupleIJNSC_6TensorESH_SH_EERKSH_lbbbEUlllE1_EE10hipError_tPvRmT2_T3_mT4_P12ihipStream_tbEUlmE_lEESB_NS0_8identityIvEEEESM_SP_SQ_mSR_ST_bEUlT_E_NS1_11comp_targetILNS1_3genE4ELNS1_11target_archE910ELNS1_3gpuE8ELNS1_3repE0EEENS1_30default_config_static_selectorELNS0_4arch9wavefront6targetE1EEEvT1_,"axG",@progbits,_ZN7rocprim17ROCPRIM_400000_NS6detail17trampoline_kernelINS0_14default_configENS1_25transform_config_selectorIlLb0EEEZNS1_14transform_implILb0ES3_S5_NS0_18transform_iteratorINS0_17counting_iteratorImlEEZNS1_24adjacent_difference_implIS3_Lb1ELb0EPlSB_ZN2at6native12_GLOBAL__N_124unique_dim_cuda_templateIiEESt5tupleIJNSC_6TensorESH_SH_EERKSH_lbbbEUlllE1_EE10hipError_tPvRmT2_T3_mT4_P12ihipStream_tbEUlmE_lEESB_NS0_8identityIvEEEESM_SP_SQ_mSR_ST_bEUlT_E_NS1_11comp_targetILNS1_3genE4ELNS1_11target_archE910ELNS1_3gpuE8ELNS1_3repE0EEENS1_30default_config_static_selectorELNS0_4arch9wavefront6targetE1EEEvT1_,comdat
	.globl	_ZN7rocprim17ROCPRIM_400000_NS6detail17trampoline_kernelINS0_14default_configENS1_25transform_config_selectorIlLb0EEEZNS1_14transform_implILb0ES3_S5_NS0_18transform_iteratorINS0_17counting_iteratorImlEEZNS1_24adjacent_difference_implIS3_Lb1ELb0EPlSB_ZN2at6native12_GLOBAL__N_124unique_dim_cuda_templateIiEESt5tupleIJNSC_6TensorESH_SH_EERKSH_lbbbEUlllE1_EE10hipError_tPvRmT2_T3_mT4_P12ihipStream_tbEUlmE_lEESB_NS0_8identityIvEEEESM_SP_SQ_mSR_ST_bEUlT_E_NS1_11comp_targetILNS1_3genE4ELNS1_11target_archE910ELNS1_3gpuE8ELNS1_3repE0EEENS1_30default_config_static_selectorELNS0_4arch9wavefront6targetE1EEEvT1_ ; -- Begin function _ZN7rocprim17ROCPRIM_400000_NS6detail17trampoline_kernelINS0_14default_configENS1_25transform_config_selectorIlLb0EEEZNS1_14transform_implILb0ES3_S5_NS0_18transform_iteratorINS0_17counting_iteratorImlEEZNS1_24adjacent_difference_implIS3_Lb1ELb0EPlSB_ZN2at6native12_GLOBAL__N_124unique_dim_cuda_templateIiEESt5tupleIJNSC_6TensorESH_SH_EERKSH_lbbbEUlllE1_EE10hipError_tPvRmT2_T3_mT4_P12ihipStream_tbEUlmE_lEESB_NS0_8identityIvEEEESM_SP_SQ_mSR_ST_bEUlT_E_NS1_11comp_targetILNS1_3genE4ELNS1_11target_archE910ELNS1_3gpuE8ELNS1_3repE0EEENS1_30default_config_static_selectorELNS0_4arch9wavefront6targetE1EEEvT1_
	.p2align	8
	.type	_ZN7rocprim17ROCPRIM_400000_NS6detail17trampoline_kernelINS0_14default_configENS1_25transform_config_selectorIlLb0EEEZNS1_14transform_implILb0ES3_S5_NS0_18transform_iteratorINS0_17counting_iteratorImlEEZNS1_24adjacent_difference_implIS3_Lb1ELb0EPlSB_ZN2at6native12_GLOBAL__N_124unique_dim_cuda_templateIiEESt5tupleIJNSC_6TensorESH_SH_EERKSH_lbbbEUlllE1_EE10hipError_tPvRmT2_T3_mT4_P12ihipStream_tbEUlmE_lEESB_NS0_8identityIvEEEESM_SP_SQ_mSR_ST_bEUlT_E_NS1_11comp_targetILNS1_3genE4ELNS1_11target_archE910ELNS1_3gpuE8ELNS1_3repE0EEENS1_30default_config_static_selectorELNS0_4arch9wavefront6targetE1EEEvT1_,@function
_ZN7rocprim17ROCPRIM_400000_NS6detail17trampoline_kernelINS0_14default_configENS1_25transform_config_selectorIlLb0EEEZNS1_14transform_implILb0ES3_S5_NS0_18transform_iteratorINS0_17counting_iteratorImlEEZNS1_24adjacent_difference_implIS3_Lb1ELb0EPlSB_ZN2at6native12_GLOBAL__N_124unique_dim_cuda_templateIiEESt5tupleIJNSC_6TensorESH_SH_EERKSH_lbbbEUlllE1_EE10hipError_tPvRmT2_T3_mT4_P12ihipStream_tbEUlmE_lEESB_NS0_8identityIvEEEESM_SP_SQ_mSR_ST_bEUlT_E_NS1_11comp_targetILNS1_3genE4ELNS1_11target_archE910ELNS1_3gpuE8ELNS1_3repE0EEENS1_30default_config_static_selectorELNS0_4arch9wavefront6targetE1EEEvT1_: ; @_ZN7rocprim17ROCPRIM_400000_NS6detail17trampoline_kernelINS0_14default_configENS1_25transform_config_selectorIlLb0EEEZNS1_14transform_implILb0ES3_S5_NS0_18transform_iteratorINS0_17counting_iteratorImlEEZNS1_24adjacent_difference_implIS3_Lb1ELb0EPlSB_ZN2at6native12_GLOBAL__N_124unique_dim_cuda_templateIiEESt5tupleIJNSC_6TensorESH_SH_EERKSH_lbbbEUlllE1_EE10hipError_tPvRmT2_T3_mT4_P12ihipStream_tbEUlmE_lEESB_NS0_8identityIvEEEESM_SP_SQ_mSR_ST_bEUlT_E_NS1_11comp_targetILNS1_3genE4ELNS1_11target_archE910ELNS1_3gpuE8ELNS1_3repE0EEENS1_30default_config_static_selectorELNS0_4arch9wavefront6targetE1EEEvT1_
; %bb.0:
	.section	.rodata,"a",@progbits
	.p2align	6, 0x0
	.amdhsa_kernel _ZN7rocprim17ROCPRIM_400000_NS6detail17trampoline_kernelINS0_14default_configENS1_25transform_config_selectorIlLb0EEEZNS1_14transform_implILb0ES3_S5_NS0_18transform_iteratorINS0_17counting_iteratorImlEEZNS1_24adjacent_difference_implIS3_Lb1ELb0EPlSB_ZN2at6native12_GLOBAL__N_124unique_dim_cuda_templateIiEESt5tupleIJNSC_6TensorESH_SH_EERKSH_lbbbEUlllE1_EE10hipError_tPvRmT2_T3_mT4_P12ihipStream_tbEUlmE_lEESB_NS0_8identityIvEEEESM_SP_SQ_mSR_ST_bEUlT_E_NS1_11comp_targetILNS1_3genE4ELNS1_11target_archE910ELNS1_3gpuE8ELNS1_3repE0EEENS1_30default_config_static_selectorELNS0_4arch9wavefront6targetE1EEEvT1_
		.amdhsa_group_segment_fixed_size 0
		.amdhsa_private_segment_fixed_size 0
		.amdhsa_kernarg_size 56
		.amdhsa_user_sgpr_count 2
		.amdhsa_user_sgpr_dispatch_ptr 0
		.amdhsa_user_sgpr_queue_ptr 0
		.amdhsa_user_sgpr_kernarg_segment_ptr 1
		.amdhsa_user_sgpr_dispatch_id 0
		.amdhsa_user_sgpr_kernarg_preload_length 0
		.amdhsa_user_sgpr_kernarg_preload_offset 0
		.amdhsa_user_sgpr_private_segment_size 0
		.amdhsa_uses_dynamic_stack 0
		.amdhsa_enable_private_segment 0
		.amdhsa_system_sgpr_workgroup_id_x 1
		.amdhsa_system_sgpr_workgroup_id_y 0
		.amdhsa_system_sgpr_workgroup_id_z 0
		.amdhsa_system_sgpr_workgroup_info 0
		.amdhsa_system_vgpr_workitem_id 0
		.amdhsa_next_free_vgpr 1
		.amdhsa_next_free_sgpr 0
		.amdhsa_accum_offset 4
		.amdhsa_reserve_vcc 0
		.amdhsa_float_round_mode_32 0
		.amdhsa_float_round_mode_16_64 0
		.amdhsa_float_denorm_mode_32 3
		.amdhsa_float_denorm_mode_16_64 3
		.amdhsa_dx10_clamp 1
		.amdhsa_ieee_mode 1
		.amdhsa_fp16_overflow 0
		.amdhsa_tg_split 0
		.amdhsa_exception_fp_ieee_invalid_op 0
		.amdhsa_exception_fp_denorm_src 0
		.amdhsa_exception_fp_ieee_div_zero 0
		.amdhsa_exception_fp_ieee_overflow 0
		.amdhsa_exception_fp_ieee_underflow 0
		.amdhsa_exception_fp_ieee_inexact 0
		.amdhsa_exception_int_div_zero 0
	.end_amdhsa_kernel
	.section	.text._ZN7rocprim17ROCPRIM_400000_NS6detail17trampoline_kernelINS0_14default_configENS1_25transform_config_selectorIlLb0EEEZNS1_14transform_implILb0ES3_S5_NS0_18transform_iteratorINS0_17counting_iteratorImlEEZNS1_24adjacent_difference_implIS3_Lb1ELb0EPlSB_ZN2at6native12_GLOBAL__N_124unique_dim_cuda_templateIiEESt5tupleIJNSC_6TensorESH_SH_EERKSH_lbbbEUlllE1_EE10hipError_tPvRmT2_T3_mT4_P12ihipStream_tbEUlmE_lEESB_NS0_8identityIvEEEESM_SP_SQ_mSR_ST_bEUlT_E_NS1_11comp_targetILNS1_3genE4ELNS1_11target_archE910ELNS1_3gpuE8ELNS1_3repE0EEENS1_30default_config_static_selectorELNS0_4arch9wavefront6targetE1EEEvT1_,"axG",@progbits,_ZN7rocprim17ROCPRIM_400000_NS6detail17trampoline_kernelINS0_14default_configENS1_25transform_config_selectorIlLb0EEEZNS1_14transform_implILb0ES3_S5_NS0_18transform_iteratorINS0_17counting_iteratorImlEEZNS1_24adjacent_difference_implIS3_Lb1ELb0EPlSB_ZN2at6native12_GLOBAL__N_124unique_dim_cuda_templateIiEESt5tupleIJNSC_6TensorESH_SH_EERKSH_lbbbEUlllE1_EE10hipError_tPvRmT2_T3_mT4_P12ihipStream_tbEUlmE_lEESB_NS0_8identityIvEEEESM_SP_SQ_mSR_ST_bEUlT_E_NS1_11comp_targetILNS1_3genE4ELNS1_11target_archE910ELNS1_3gpuE8ELNS1_3repE0EEENS1_30default_config_static_selectorELNS0_4arch9wavefront6targetE1EEEvT1_,comdat
.Lfunc_end426:
	.size	_ZN7rocprim17ROCPRIM_400000_NS6detail17trampoline_kernelINS0_14default_configENS1_25transform_config_selectorIlLb0EEEZNS1_14transform_implILb0ES3_S5_NS0_18transform_iteratorINS0_17counting_iteratorImlEEZNS1_24adjacent_difference_implIS3_Lb1ELb0EPlSB_ZN2at6native12_GLOBAL__N_124unique_dim_cuda_templateIiEESt5tupleIJNSC_6TensorESH_SH_EERKSH_lbbbEUlllE1_EE10hipError_tPvRmT2_T3_mT4_P12ihipStream_tbEUlmE_lEESB_NS0_8identityIvEEEESM_SP_SQ_mSR_ST_bEUlT_E_NS1_11comp_targetILNS1_3genE4ELNS1_11target_archE910ELNS1_3gpuE8ELNS1_3repE0EEENS1_30default_config_static_selectorELNS0_4arch9wavefront6targetE1EEEvT1_, .Lfunc_end426-_ZN7rocprim17ROCPRIM_400000_NS6detail17trampoline_kernelINS0_14default_configENS1_25transform_config_selectorIlLb0EEEZNS1_14transform_implILb0ES3_S5_NS0_18transform_iteratorINS0_17counting_iteratorImlEEZNS1_24adjacent_difference_implIS3_Lb1ELb0EPlSB_ZN2at6native12_GLOBAL__N_124unique_dim_cuda_templateIiEESt5tupleIJNSC_6TensorESH_SH_EERKSH_lbbbEUlllE1_EE10hipError_tPvRmT2_T3_mT4_P12ihipStream_tbEUlmE_lEESB_NS0_8identityIvEEEESM_SP_SQ_mSR_ST_bEUlT_E_NS1_11comp_targetILNS1_3genE4ELNS1_11target_archE910ELNS1_3gpuE8ELNS1_3repE0EEENS1_30default_config_static_selectorELNS0_4arch9wavefront6targetE1EEEvT1_
                                        ; -- End function
	.set _ZN7rocprim17ROCPRIM_400000_NS6detail17trampoline_kernelINS0_14default_configENS1_25transform_config_selectorIlLb0EEEZNS1_14transform_implILb0ES3_S5_NS0_18transform_iteratorINS0_17counting_iteratorImlEEZNS1_24adjacent_difference_implIS3_Lb1ELb0EPlSB_ZN2at6native12_GLOBAL__N_124unique_dim_cuda_templateIiEESt5tupleIJNSC_6TensorESH_SH_EERKSH_lbbbEUlllE1_EE10hipError_tPvRmT2_T3_mT4_P12ihipStream_tbEUlmE_lEESB_NS0_8identityIvEEEESM_SP_SQ_mSR_ST_bEUlT_E_NS1_11comp_targetILNS1_3genE4ELNS1_11target_archE910ELNS1_3gpuE8ELNS1_3repE0EEENS1_30default_config_static_selectorELNS0_4arch9wavefront6targetE1EEEvT1_.num_vgpr, 0
	.set _ZN7rocprim17ROCPRIM_400000_NS6detail17trampoline_kernelINS0_14default_configENS1_25transform_config_selectorIlLb0EEEZNS1_14transform_implILb0ES3_S5_NS0_18transform_iteratorINS0_17counting_iteratorImlEEZNS1_24adjacent_difference_implIS3_Lb1ELb0EPlSB_ZN2at6native12_GLOBAL__N_124unique_dim_cuda_templateIiEESt5tupleIJNSC_6TensorESH_SH_EERKSH_lbbbEUlllE1_EE10hipError_tPvRmT2_T3_mT4_P12ihipStream_tbEUlmE_lEESB_NS0_8identityIvEEEESM_SP_SQ_mSR_ST_bEUlT_E_NS1_11comp_targetILNS1_3genE4ELNS1_11target_archE910ELNS1_3gpuE8ELNS1_3repE0EEENS1_30default_config_static_selectorELNS0_4arch9wavefront6targetE1EEEvT1_.num_agpr, 0
	.set _ZN7rocprim17ROCPRIM_400000_NS6detail17trampoline_kernelINS0_14default_configENS1_25transform_config_selectorIlLb0EEEZNS1_14transform_implILb0ES3_S5_NS0_18transform_iteratorINS0_17counting_iteratorImlEEZNS1_24adjacent_difference_implIS3_Lb1ELb0EPlSB_ZN2at6native12_GLOBAL__N_124unique_dim_cuda_templateIiEESt5tupleIJNSC_6TensorESH_SH_EERKSH_lbbbEUlllE1_EE10hipError_tPvRmT2_T3_mT4_P12ihipStream_tbEUlmE_lEESB_NS0_8identityIvEEEESM_SP_SQ_mSR_ST_bEUlT_E_NS1_11comp_targetILNS1_3genE4ELNS1_11target_archE910ELNS1_3gpuE8ELNS1_3repE0EEENS1_30default_config_static_selectorELNS0_4arch9wavefront6targetE1EEEvT1_.numbered_sgpr, 0
	.set _ZN7rocprim17ROCPRIM_400000_NS6detail17trampoline_kernelINS0_14default_configENS1_25transform_config_selectorIlLb0EEEZNS1_14transform_implILb0ES3_S5_NS0_18transform_iteratorINS0_17counting_iteratorImlEEZNS1_24adjacent_difference_implIS3_Lb1ELb0EPlSB_ZN2at6native12_GLOBAL__N_124unique_dim_cuda_templateIiEESt5tupleIJNSC_6TensorESH_SH_EERKSH_lbbbEUlllE1_EE10hipError_tPvRmT2_T3_mT4_P12ihipStream_tbEUlmE_lEESB_NS0_8identityIvEEEESM_SP_SQ_mSR_ST_bEUlT_E_NS1_11comp_targetILNS1_3genE4ELNS1_11target_archE910ELNS1_3gpuE8ELNS1_3repE0EEENS1_30default_config_static_selectorELNS0_4arch9wavefront6targetE1EEEvT1_.num_named_barrier, 0
	.set _ZN7rocprim17ROCPRIM_400000_NS6detail17trampoline_kernelINS0_14default_configENS1_25transform_config_selectorIlLb0EEEZNS1_14transform_implILb0ES3_S5_NS0_18transform_iteratorINS0_17counting_iteratorImlEEZNS1_24adjacent_difference_implIS3_Lb1ELb0EPlSB_ZN2at6native12_GLOBAL__N_124unique_dim_cuda_templateIiEESt5tupleIJNSC_6TensorESH_SH_EERKSH_lbbbEUlllE1_EE10hipError_tPvRmT2_T3_mT4_P12ihipStream_tbEUlmE_lEESB_NS0_8identityIvEEEESM_SP_SQ_mSR_ST_bEUlT_E_NS1_11comp_targetILNS1_3genE4ELNS1_11target_archE910ELNS1_3gpuE8ELNS1_3repE0EEENS1_30default_config_static_selectorELNS0_4arch9wavefront6targetE1EEEvT1_.private_seg_size, 0
	.set _ZN7rocprim17ROCPRIM_400000_NS6detail17trampoline_kernelINS0_14default_configENS1_25transform_config_selectorIlLb0EEEZNS1_14transform_implILb0ES3_S5_NS0_18transform_iteratorINS0_17counting_iteratorImlEEZNS1_24adjacent_difference_implIS3_Lb1ELb0EPlSB_ZN2at6native12_GLOBAL__N_124unique_dim_cuda_templateIiEESt5tupleIJNSC_6TensorESH_SH_EERKSH_lbbbEUlllE1_EE10hipError_tPvRmT2_T3_mT4_P12ihipStream_tbEUlmE_lEESB_NS0_8identityIvEEEESM_SP_SQ_mSR_ST_bEUlT_E_NS1_11comp_targetILNS1_3genE4ELNS1_11target_archE910ELNS1_3gpuE8ELNS1_3repE0EEENS1_30default_config_static_selectorELNS0_4arch9wavefront6targetE1EEEvT1_.uses_vcc, 0
	.set _ZN7rocprim17ROCPRIM_400000_NS6detail17trampoline_kernelINS0_14default_configENS1_25transform_config_selectorIlLb0EEEZNS1_14transform_implILb0ES3_S5_NS0_18transform_iteratorINS0_17counting_iteratorImlEEZNS1_24adjacent_difference_implIS3_Lb1ELb0EPlSB_ZN2at6native12_GLOBAL__N_124unique_dim_cuda_templateIiEESt5tupleIJNSC_6TensorESH_SH_EERKSH_lbbbEUlllE1_EE10hipError_tPvRmT2_T3_mT4_P12ihipStream_tbEUlmE_lEESB_NS0_8identityIvEEEESM_SP_SQ_mSR_ST_bEUlT_E_NS1_11comp_targetILNS1_3genE4ELNS1_11target_archE910ELNS1_3gpuE8ELNS1_3repE0EEENS1_30default_config_static_selectorELNS0_4arch9wavefront6targetE1EEEvT1_.uses_flat_scratch, 0
	.set _ZN7rocprim17ROCPRIM_400000_NS6detail17trampoline_kernelINS0_14default_configENS1_25transform_config_selectorIlLb0EEEZNS1_14transform_implILb0ES3_S5_NS0_18transform_iteratorINS0_17counting_iteratorImlEEZNS1_24adjacent_difference_implIS3_Lb1ELb0EPlSB_ZN2at6native12_GLOBAL__N_124unique_dim_cuda_templateIiEESt5tupleIJNSC_6TensorESH_SH_EERKSH_lbbbEUlllE1_EE10hipError_tPvRmT2_T3_mT4_P12ihipStream_tbEUlmE_lEESB_NS0_8identityIvEEEESM_SP_SQ_mSR_ST_bEUlT_E_NS1_11comp_targetILNS1_3genE4ELNS1_11target_archE910ELNS1_3gpuE8ELNS1_3repE0EEENS1_30default_config_static_selectorELNS0_4arch9wavefront6targetE1EEEvT1_.has_dyn_sized_stack, 0
	.set _ZN7rocprim17ROCPRIM_400000_NS6detail17trampoline_kernelINS0_14default_configENS1_25transform_config_selectorIlLb0EEEZNS1_14transform_implILb0ES3_S5_NS0_18transform_iteratorINS0_17counting_iteratorImlEEZNS1_24adjacent_difference_implIS3_Lb1ELb0EPlSB_ZN2at6native12_GLOBAL__N_124unique_dim_cuda_templateIiEESt5tupleIJNSC_6TensorESH_SH_EERKSH_lbbbEUlllE1_EE10hipError_tPvRmT2_T3_mT4_P12ihipStream_tbEUlmE_lEESB_NS0_8identityIvEEEESM_SP_SQ_mSR_ST_bEUlT_E_NS1_11comp_targetILNS1_3genE4ELNS1_11target_archE910ELNS1_3gpuE8ELNS1_3repE0EEENS1_30default_config_static_selectorELNS0_4arch9wavefront6targetE1EEEvT1_.has_recursion, 0
	.set _ZN7rocprim17ROCPRIM_400000_NS6detail17trampoline_kernelINS0_14default_configENS1_25transform_config_selectorIlLb0EEEZNS1_14transform_implILb0ES3_S5_NS0_18transform_iteratorINS0_17counting_iteratorImlEEZNS1_24adjacent_difference_implIS3_Lb1ELb0EPlSB_ZN2at6native12_GLOBAL__N_124unique_dim_cuda_templateIiEESt5tupleIJNSC_6TensorESH_SH_EERKSH_lbbbEUlllE1_EE10hipError_tPvRmT2_T3_mT4_P12ihipStream_tbEUlmE_lEESB_NS0_8identityIvEEEESM_SP_SQ_mSR_ST_bEUlT_E_NS1_11comp_targetILNS1_3genE4ELNS1_11target_archE910ELNS1_3gpuE8ELNS1_3repE0EEENS1_30default_config_static_selectorELNS0_4arch9wavefront6targetE1EEEvT1_.has_indirect_call, 0
	.section	.AMDGPU.csdata,"",@progbits
; Kernel info:
; codeLenInByte = 0
; TotalNumSgprs: 6
; NumVgprs: 0
; NumAgprs: 0
; TotalNumVgprs: 0
; ScratchSize: 0
; MemoryBound: 0
; FloatMode: 240
; IeeeMode: 1
; LDSByteSize: 0 bytes/workgroup (compile time only)
; SGPRBlocks: 0
; VGPRBlocks: 0
; NumSGPRsForWavesPerEU: 6
; NumVGPRsForWavesPerEU: 1
; AccumOffset: 4
; Occupancy: 8
; WaveLimiterHint : 0
; COMPUTE_PGM_RSRC2:SCRATCH_EN: 0
; COMPUTE_PGM_RSRC2:USER_SGPR: 2
; COMPUTE_PGM_RSRC2:TRAP_HANDLER: 0
; COMPUTE_PGM_RSRC2:TGID_X_EN: 1
; COMPUTE_PGM_RSRC2:TGID_Y_EN: 0
; COMPUTE_PGM_RSRC2:TGID_Z_EN: 0
; COMPUTE_PGM_RSRC2:TIDIG_COMP_CNT: 0
; COMPUTE_PGM_RSRC3_GFX90A:ACCUM_OFFSET: 0
; COMPUTE_PGM_RSRC3_GFX90A:TG_SPLIT: 0
	.section	.text._ZN7rocprim17ROCPRIM_400000_NS6detail17trampoline_kernelINS0_14default_configENS1_25transform_config_selectorIlLb0EEEZNS1_14transform_implILb0ES3_S5_NS0_18transform_iteratorINS0_17counting_iteratorImlEEZNS1_24adjacent_difference_implIS3_Lb1ELb0EPlSB_ZN2at6native12_GLOBAL__N_124unique_dim_cuda_templateIiEESt5tupleIJNSC_6TensorESH_SH_EERKSH_lbbbEUlllE1_EE10hipError_tPvRmT2_T3_mT4_P12ihipStream_tbEUlmE_lEESB_NS0_8identityIvEEEESM_SP_SQ_mSR_ST_bEUlT_E_NS1_11comp_targetILNS1_3genE3ELNS1_11target_archE908ELNS1_3gpuE7ELNS1_3repE0EEENS1_30default_config_static_selectorELNS0_4arch9wavefront6targetE1EEEvT1_,"axG",@progbits,_ZN7rocprim17ROCPRIM_400000_NS6detail17trampoline_kernelINS0_14default_configENS1_25transform_config_selectorIlLb0EEEZNS1_14transform_implILb0ES3_S5_NS0_18transform_iteratorINS0_17counting_iteratorImlEEZNS1_24adjacent_difference_implIS3_Lb1ELb0EPlSB_ZN2at6native12_GLOBAL__N_124unique_dim_cuda_templateIiEESt5tupleIJNSC_6TensorESH_SH_EERKSH_lbbbEUlllE1_EE10hipError_tPvRmT2_T3_mT4_P12ihipStream_tbEUlmE_lEESB_NS0_8identityIvEEEESM_SP_SQ_mSR_ST_bEUlT_E_NS1_11comp_targetILNS1_3genE3ELNS1_11target_archE908ELNS1_3gpuE7ELNS1_3repE0EEENS1_30default_config_static_selectorELNS0_4arch9wavefront6targetE1EEEvT1_,comdat
	.globl	_ZN7rocprim17ROCPRIM_400000_NS6detail17trampoline_kernelINS0_14default_configENS1_25transform_config_selectorIlLb0EEEZNS1_14transform_implILb0ES3_S5_NS0_18transform_iteratorINS0_17counting_iteratorImlEEZNS1_24adjacent_difference_implIS3_Lb1ELb0EPlSB_ZN2at6native12_GLOBAL__N_124unique_dim_cuda_templateIiEESt5tupleIJNSC_6TensorESH_SH_EERKSH_lbbbEUlllE1_EE10hipError_tPvRmT2_T3_mT4_P12ihipStream_tbEUlmE_lEESB_NS0_8identityIvEEEESM_SP_SQ_mSR_ST_bEUlT_E_NS1_11comp_targetILNS1_3genE3ELNS1_11target_archE908ELNS1_3gpuE7ELNS1_3repE0EEENS1_30default_config_static_selectorELNS0_4arch9wavefront6targetE1EEEvT1_ ; -- Begin function _ZN7rocprim17ROCPRIM_400000_NS6detail17trampoline_kernelINS0_14default_configENS1_25transform_config_selectorIlLb0EEEZNS1_14transform_implILb0ES3_S5_NS0_18transform_iteratorINS0_17counting_iteratorImlEEZNS1_24adjacent_difference_implIS3_Lb1ELb0EPlSB_ZN2at6native12_GLOBAL__N_124unique_dim_cuda_templateIiEESt5tupleIJNSC_6TensorESH_SH_EERKSH_lbbbEUlllE1_EE10hipError_tPvRmT2_T3_mT4_P12ihipStream_tbEUlmE_lEESB_NS0_8identityIvEEEESM_SP_SQ_mSR_ST_bEUlT_E_NS1_11comp_targetILNS1_3genE3ELNS1_11target_archE908ELNS1_3gpuE7ELNS1_3repE0EEENS1_30default_config_static_selectorELNS0_4arch9wavefront6targetE1EEEvT1_
	.p2align	8
	.type	_ZN7rocprim17ROCPRIM_400000_NS6detail17trampoline_kernelINS0_14default_configENS1_25transform_config_selectorIlLb0EEEZNS1_14transform_implILb0ES3_S5_NS0_18transform_iteratorINS0_17counting_iteratorImlEEZNS1_24adjacent_difference_implIS3_Lb1ELb0EPlSB_ZN2at6native12_GLOBAL__N_124unique_dim_cuda_templateIiEESt5tupleIJNSC_6TensorESH_SH_EERKSH_lbbbEUlllE1_EE10hipError_tPvRmT2_T3_mT4_P12ihipStream_tbEUlmE_lEESB_NS0_8identityIvEEEESM_SP_SQ_mSR_ST_bEUlT_E_NS1_11comp_targetILNS1_3genE3ELNS1_11target_archE908ELNS1_3gpuE7ELNS1_3repE0EEENS1_30default_config_static_selectorELNS0_4arch9wavefront6targetE1EEEvT1_,@function
_ZN7rocprim17ROCPRIM_400000_NS6detail17trampoline_kernelINS0_14default_configENS1_25transform_config_selectorIlLb0EEEZNS1_14transform_implILb0ES3_S5_NS0_18transform_iteratorINS0_17counting_iteratorImlEEZNS1_24adjacent_difference_implIS3_Lb1ELb0EPlSB_ZN2at6native12_GLOBAL__N_124unique_dim_cuda_templateIiEESt5tupleIJNSC_6TensorESH_SH_EERKSH_lbbbEUlllE1_EE10hipError_tPvRmT2_T3_mT4_P12ihipStream_tbEUlmE_lEESB_NS0_8identityIvEEEESM_SP_SQ_mSR_ST_bEUlT_E_NS1_11comp_targetILNS1_3genE3ELNS1_11target_archE908ELNS1_3gpuE7ELNS1_3repE0EEENS1_30default_config_static_selectorELNS0_4arch9wavefront6targetE1EEEvT1_: ; @_ZN7rocprim17ROCPRIM_400000_NS6detail17trampoline_kernelINS0_14default_configENS1_25transform_config_selectorIlLb0EEEZNS1_14transform_implILb0ES3_S5_NS0_18transform_iteratorINS0_17counting_iteratorImlEEZNS1_24adjacent_difference_implIS3_Lb1ELb0EPlSB_ZN2at6native12_GLOBAL__N_124unique_dim_cuda_templateIiEESt5tupleIJNSC_6TensorESH_SH_EERKSH_lbbbEUlllE1_EE10hipError_tPvRmT2_T3_mT4_P12ihipStream_tbEUlmE_lEESB_NS0_8identityIvEEEESM_SP_SQ_mSR_ST_bEUlT_E_NS1_11comp_targetILNS1_3genE3ELNS1_11target_archE908ELNS1_3gpuE7ELNS1_3repE0EEENS1_30default_config_static_selectorELNS0_4arch9wavefront6targetE1EEEvT1_
; %bb.0:
	.section	.rodata,"a",@progbits
	.p2align	6, 0x0
	.amdhsa_kernel _ZN7rocprim17ROCPRIM_400000_NS6detail17trampoline_kernelINS0_14default_configENS1_25transform_config_selectorIlLb0EEEZNS1_14transform_implILb0ES3_S5_NS0_18transform_iteratorINS0_17counting_iteratorImlEEZNS1_24adjacent_difference_implIS3_Lb1ELb0EPlSB_ZN2at6native12_GLOBAL__N_124unique_dim_cuda_templateIiEESt5tupleIJNSC_6TensorESH_SH_EERKSH_lbbbEUlllE1_EE10hipError_tPvRmT2_T3_mT4_P12ihipStream_tbEUlmE_lEESB_NS0_8identityIvEEEESM_SP_SQ_mSR_ST_bEUlT_E_NS1_11comp_targetILNS1_3genE3ELNS1_11target_archE908ELNS1_3gpuE7ELNS1_3repE0EEENS1_30default_config_static_selectorELNS0_4arch9wavefront6targetE1EEEvT1_
		.amdhsa_group_segment_fixed_size 0
		.amdhsa_private_segment_fixed_size 0
		.amdhsa_kernarg_size 56
		.amdhsa_user_sgpr_count 2
		.amdhsa_user_sgpr_dispatch_ptr 0
		.amdhsa_user_sgpr_queue_ptr 0
		.amdhsa_user_sgpr_kernarg_segment_ptr 1
		.amdhsa_user_sgpr_dispatch_id 0
		.amdhsa_user_sgpr_kernarg_preload_length 0
		.amdhsa_user_sgpr_kernarg_preload_offset 0
		.amdhsa_user_sgpr_private_segment_size 0
		.amdhsa_uses_dynamic_stack 0
		.amdhsa_enable_private_segment 0
		.amdhsa_system_sgpr_workgroup_id_x 1
		.amdhsa_system_sgpr_workgroup_id_y 0
		.amdhsa_system_sgpr_workgroup_id_z 0
		.amdhsa_system_sgpr_workgroup_info 0
		.amdhsa_system_vgpr_workitem_id 0
		.amdhsa_next_free_vgpr 1
		.amdhsa_next_free_sgpr 0
		.amdhsa_accum_offset 4
		.amdhsa_reserve_vcc 0
		.amdhsa_float_round_mode_32 0
		.amdhsa_float_round_mode_16_64 0
		.amdhsa_float_denorm_mode_32 3
		.amdhsa_float_denorm_mode_16_64 3
		.amdhsa_dx10_clamp 1
		.amdhsa_ieee_mode 1
		.amdhsa_fp16_overflow 0
		.amdhsa_tg_split 0
		.amdhsa_exception_fp_ieee_invalid_op 0
		.amdhsa_exception_fp_denorm_src 0
		.amdhsa_exception_fp_ieee_div_zero 0
		.amdhsa_exception_fp_ieee_overflow 0
		.amdhsa_exception_fp_ieee_underflow 0
		.amdhsa_exception_fp_ieee_inexact 0
		.amdhsa_exception_int_div_zero 0
	.end_amdhsa_kernel
	.section	.text._ZN7rocprim17ROCPRIM_400000_NS6detail17trampoline_kernelINS0_14default_configENS1_25transform_config_selectorIlLb0EEEZNS1_14transform_implILb0ES3_S5_NS0_18transform_iteratorINS0_17counting_iteratorImlEEZNS1_24adjacent_difference_implIS3_Lb1ELb0EPlSB_ZN2at6native12_GLOBAL__N_124unique_dim_cuda_templateIiEESt5tupleIJNSC_6TensorESH_SH_EERKSH_lbbbEUlllE1_EE10hipError_tPvRmT2_T3_mT4_P12ihipStream_tbEUlmE_lEESB_NS0_8identityIvEEEESM_SP_SQ_mSR_ST_bEUlT_E_NS1_11comp_targetILNS1_3genE3ELNS1_11target_archE908ELNS1_3gpuE7ELNS1_3repE0EEENS1_30default_config_static_selectorELNS0_4arch9wavefront6targetE1EEEvT1_,"axG",@progbits,_ZN7rocprim17ROCPRIM_400000_NS6detail17trampoline_kernelINS0_14default_configENS1_25transform_config_selectorIlLb0EEEZNS1_14transform_implILb0ES3_S5_NS0_18transform_iteratorINS0_17counting_iteratorImlEEZNS1_24adjacent_difference_implIS3_Lb1ELb0EPlSB_ZN2at6native12_GLOBAL__N_124unique_dim_cuda_templateIiEESt5tupleIJNSC_6TensorESH_SH_EERKSH_lbbbEUlllE1_EE10hipError_tPvRmT2_T3_mT4_P12ihipStream_tbEUlmE_lEESB_NS0_8identityIvEEEESM_SP_SQ_mSR_ST_bEUlT_E_NS1_11comp_targetILNS1_3genE3ELNS1_11target_archE908ELNS1_3gpuE7ELNS1_3repE0EEENS1_30default_config_static_selectorELNS0_4arch9wavefront6targetE1EEEvT1_,comdat
.Lfunc_end427:
	.size	_ZN7rocprim17ROCPRIM_400000_NS6detail17trampoline_kernelINS0_14default_configENS1_25transform_config_selectorIlLb0EEEZNS1_14transform_implILb0ES3_S5_NS0_18transform_iteratorINS0_17counting_iteratorImlEEZNS1_24adjacent_difference_implIS3_Lb1ELb0EPlSB_ZN2at6native12_GLOBAL__N_124unique_dim_cuda_templateIiEESt5tupleIJNSC_6TensorESH_SH_EERKSH_lbbbEUlllE1_EE10hipError_tPvRmT2_T3_mT4_P12ihipStream_tbEUlmE_lEESB_NS0_8identityIvEEEESM_SP_SQ_mSR_ST_bEUlT_E_NS1_11comp_targetILNS1_3genE3ELNS1_11target_archE908ELNS1_3gpuE7ELNS1_3repE0EEENS1_30default_config_static_selectorELNS0_4arch9wavefront6targetE1EEEvT1_, .Lfunc_end427-_ZN7rocprim17ROCPRIM_400000_NS6detail17trampoline_kernelINS0_14default_configENS1_25transform_config_selectorIlLb0EEEZNS1_14transform_implILb0ES3_S5_NS0_18transform_iteratorINS0_17counting_iteratorImlEEZNS1_24adjacent_difference_implIS3_Lb1ELb0EPlSB_ZN2at6native12_GLOBAL__N_124unique_dim_cuda_templateIiEESt5tupleIJNSC_6TensorESH_SH_EERKSH_lbbbEUlllE1_EE10hipError_tPvRmT2_T3_mT4_P12ihipStream_tbEUlmE_lEESB_NS0_8identityIvEEEESM_SP_SQ_mSR_ST_bEUlT_E_NS1_11comp_targetILNS1_3genE3ELNS1_11target_archE908ELNS1_3gpuE7ELNS1_3repE0EEENS1_30default_config_static_selectorELNS0_4arch9wavefront6targetE1EEEvT1_
                                        ; -- End function
	.set _ZN7rocprim17ROCPRIM_400000_NS6detail17trampoline_kernelINS0_14default_configENS1_25transform_config_selectorIlLb0EEEZNS1_14transform_implILb0ES3_S5_NS0_18transform_iteratorINS0_17counting_iteratorImlEEZNS1_24adjacent_difference_implIS3_Lb1ELb0EPlSB_ZN2at6native12_GLOBAL__N_124unique_dim_cuda_templateIiEESt5tupleIJNSC_6TensorESH_SH_EERKSH_lbbbEUlllE1_EE10hipError_tPvRmT2_T3_mT4_P12ihipStream_tbEUlmE_lEESB_NS0_8identityIvEEEESM_SP_SQ_mSR_ST_bEUlT_E_NS1_11comp_targetILNS1_3genE3ELNS1_11target_archE908ELNS1_3gpuE7ELNS1_3repE0EEENS1_30default_config_static_selectorELNS0_4arch9wavefront6targetE1EEEvT1_.num_vgpr, 0
	.set _ZN7rocprim17ROCPRIM_400000_NS6detail17trampoline_kernelINS0_14default_configENS1_25transform_config_selectorIlLb0EEEZNS1_14transform_implILb0ES3_S5_NS0_18transform_iteratorINS0_17counting_iteratorImlEEZNS1_24adjacent_difference_implIS3_Lb1ELb0EPlSB_ZN2at6native12_GLOBAL__N_124unique_dim_cuda_templateIiEESt5tupleIJNSC_6TensorESH_SH_EERKSH_lbbbEUlllE1_EE10hipError_tPvRmT2_T3_mT4_P12ihipStream_tbEUlmE_lEESB_NS0_8identityIvEEEESM_SP_SQ_mSR_ST_bEUlT_E_NS1_11comp_targetILNS1_3genE3ELNS1_11target_archE908ELNS1_3gpuE7ELNS1_3repE0EEENS1_30default_config_static_selectorELNS0_4arch9wavefront6targetE1EEEvT1_.num_agpr, 0
	.set _ZN7rocprim17ROCPRIM_400000_NS6detail17trampoline_kernelINS0_14default_configENS1_25transform_config_selectorIlLb0EEEZNS1_14transform_implILb0ES3_S5_NS0_18transform_iteratorINS0_17counting_iteratorImlEEZNS1_24adjacent_difference_implIS3_Lb1ELb0EPlSB_ZN2at6native12_GLOBAL__N_124unique_dim_cuda_templateIiEESt5tupleIJNSC_6TensorESH_SH_EERKSH_lbbbEUlllE1_EE10hipError_tPvRmT2_T3_mT4_P12ihipStream_tbEUlmE_lEESB_NS0_8identityIvEEEESM_SP_SQ_mSR_ST_bEUlT_E_NS1_11comp_targetILNS1_3genE3ELNS1_11target_archE908ELNS1_3gpuE7ELNS1_3repE0EEENS1_30default_config_static_selectorELNS0_4arch9wavefront6targetE1EEEvT1_.numbered_sgpr, 0
	.set _ZN7rocprim17ROCPRIM_400000_NS6detail17trampoline_kernelINS0_14default_configENS1_25transform_config_selectorIlLb0EEEZNS1_14transform_implILb0ES3_S5_NS0_18transform_iteratorINS0_17counting_iteratorImlEEZNS1_24adjacent_difference_implIS3_Lb1ELb0EPlSB_ZN2at6native12_GLOBAL__N_124unique_dim_cuda_templateIiEESt5tupleIJNSC_6TensorESH_SH_EERKSH_lbbbEUlllE1_EE10hipError_tPvRmT2_T3_mT4_P12ihipStream_tbEUlmE_lEESB_NS0_8identityIvEEEESM_SP_SQ_mSR_ST_bEUlT_E_NS1_11comp_targetILNS1_3genE3ELNS1_11target_archE908ELNS1_3gpuE7ELNS1_3repE0EEENS1_30default_config_static_selectorELNS0_4arch9wavefront6targetE1EEEvT1_.num_named_barrier, 0
	.set _ZN7rocprim17ROCPRIM_400000_NS6detail17trampoline_kernelINS0_14default_configENS1_25transform_config_selectorIlLb0EEEZNS1_14transform_implILb0ES3_S5_NS0_18transform_iteratorINS0_17counting_iteratorImlEEZNS1_24adjacent_difference_implIS3_Lb1ELb0EPlSB_ZN2at6native12_GLOBAL__N_124unique_dim_cuda_templateIiEESt5tupleIJNSC_6TensorESH_SH_EERKSH_lbbbEUlllE1_EE10hipError_tPvRmT2_T3_mT4_P12ihipStream_tbEUlmE_lEESB_NS0_8identityIvEEEESM_SP_SQ_mSR_ST_bEUlT_E_NS1_11comp_targetILNS1_3genE3ELNS1_11target_archE908ELNS1_3gpuE7ELNS1_3repE0EEENS1_30default_config_static_selectorELNS0_4arch9wavefront6targetE1EEEvT1_.private_seg_size, 0
	.set _ZN7rocprim17ROCPRIM_400000_NS6detail17trampoline_kernelINS0_14default_configENS1_25transform_config_selectorIlLb0EEEZNS1_14transform_implILb0ES3_S5_NS0_18transform_iteratorINS0_17counting_iteratorImlEEZNS1_24adjacent_difference_implIS3_Lb1ELb0EPlSB_ZN2at6native12_GLOBAL__N_124unique_dim_cuda_templateIiEESt5tupleIJNSC_6TensorESH_SH_EERKSH_lbbbEUlllE1_EE10hipError_tPvRmT2_T3_mT4_P12ihipStream_tbEUlmE_lEESB_NS0_8identityIvEEEESM_SP_SQ_mSR_ST_bEUlT_E_NS1_11comp_targetILNS1_3genE3ELNS1_11target_archE908ELNS1_3gpuE7ELNS1_3repE0EEENS1_30default_config_static_selectorELNS0_4arch9wavefront6targetE1EEEvT1_.uses_vcc, 0
	.set _ZN7rocprim17ROCPRIM_400000_NS6detail17trampoline_kernelINS0_14default_configENS1_25transform_config_selectorIlLb0EEEZNS1_14transform_implILb0ES3_S5_NS0_18transform_iteratorINS0_17counting_iteratorImlEEZNS1_24adjacent_difference_implIS3_Lb1ELb0EPlSB_ZN2at6native12_GLOBAL__N_124unique_dim_cuda_templateIiEESt5tupleIJNSC_6TensorESH_SH_EERKSH_lbbbEUlllE1_EE10hipError_tPvRmT2_T3_mT4_P12ihipStream_tbEUlmE_lEESB_NS0_8identityIvEEEESM_SP_SQ_mSR_ST_bEUlT_E_NS1_11comp_targetILNS1_3genE3ELNS1_11target_archE908ELNS1_3gpuE7ELNS1_3repE0EEENS1_30default_config_static_selectorELNS0_4arch9wavefront6targetE1EEEvT1_.uses_flat_scratch, 0
	.set _ZN7rocprim17ROCPRIM_400000_NS6detail17trampoline_kernelINS0_14default_configENS1_25transform_config_selectorIlLb0EEEZNS1_14transform_implILb0ES3_S5_NS0_18transform_iteratorINS0_17counting_iteratorImlEEZNS1_24adjacent_difference_implIS3_Lb1ELb0EPlSB_ZN2at6native12_GLOBAL__N_124unique_dim_cuda_templateIiEESt5tupleIJNSC_6TensorESH_SH_EERKSH_lbbbEUlllE1_EE10hipError_tPvRmT2_T3_mT4_P12ihipStream_tbEUlmE_lEESB_NS0_8identityIvEEEESM_SP_SQ_mSR_ST_bEUlT_E_NS1_11comp_targetILNS1_3genE3ELNS1_11target_archE908ELNS1_3gpuE7ELNS1_3repE0EEENS1_30default_config_static_selectorELNS0_4arch9wavefront6targetE1EEEvT1_.has_dyn_sized_stack, 0
	.set _ZN7rocprim17ROCPRIM_400000_NS6detail17trampoline_kernelINS0_14default_configENS1_25transform_config_selectorIlLb0EEEZNS1_14transform_implILb0ES3_S5_NS0_18transform_iteratorINS0_17counting_iteratorImlEEZNS1_24adjacent_difference_implIS3_Lb1ELb0EPlSB_ZN2at6native12_GLOBAL__N_124unique_dim_cuda_templateIiEESt5tupleIJNSC_6TensorESH_SH_EERKSH_lbbbEUlllE1_EE10hipError_tPvRmT2_T3_mT4_P12ihipStream_tbEUlmE_lEESB_NS0_8identityIvEEEESM_SP_SQ_mSR_ST_bEUlT_E_NS1_11comp_targetILNS1_3genE3ELNS1_11target_archE908ELNS1_3gpuE7ELNS1_3repE0EEENS1_30default_config_static_selectorELNS0_4arch9wavefront6targetE1EEEvT1_.has_recursion, 0
	.set _ZN7rocprim17ROCPRIM_400000_NS6detail17trampoline_kernelINS0_14default_configENS1_25transform_config_selectorIlLb0EEEZNS1_14transform_implILb0ES3_S5_NS0_18transform_iteratorINS0_17counting_iteratorImlEEZNS1_24adjacent_difference_implIS3_Lb1ELb0EPlSB_ZN2at6native12_GLOBAL__N_124unique_dim_cuda_templateIiEESt5tupleIJNSC_6TensorESH_SH_EERKSH_lbbbEUlllE1_EE10hipError_tPvRmT2_T3_mT4_P12ihipStream_tbEUlmE_lEESB_NS0_8identityIvEEEESM_SP_SQ_mSR_ST_bEUlT_E_NS1_11comp_targetILNS1_3genE3ELNS1_11target_archE908ELNS1_3gpuE7ELNS1_3repE0EEENS1_30default_config_static_selectorELNS0_4arch9wavefront6targetE1EEEvT1_.has_indirect_call, 0
	.section	.AMDGPU.csdata,"",@progbits
; Kernel info:
; codeLenInByte = 0
; TotalNumSgprs: 6
; NumVgprs: 0
; NumAgprs: 0
; TotalNumVgprs: 0
; ScratchSize: 0
; MemoryBound: 0
; FloatMode: 240
; IeeeMode: 1
; LDSByteSize: 0 bytes/workgroup (compile time only)
; SGPRBlocks: 0
; VGPRBlocks: 0
; NumSGPRsForWavesPerEU: 6
; NumVGPRsForWavesPerEU: 1
; AccumOffset: 4
; Occupancy: 8
; WaveLimiterHint : 0
; COMPUTE_PGM_RSRC2:SCRATCH_EN: 0
; COMPUTE_PGM_RSRC2:USER_SGPR: 2
; COMPUTE_PGM_RSRC2:TRAP_HANDLER: 0
; COMPUTE_PGM_RSRC2:TGID_X_EN: 1
; COMPUTE_PGM_RSRC2:TGID_Y_EN: 0
; COMPUTE_PGM_RSRC2:TGID_Z_EN: 0
; COMPUTE_PGM_RSRC2:TIDIG_COMP_CNT: 0
; COMPUTE_PGM_RSRC3_GFX90A:ACCUM_OFFSET: 0
; COMPUTE_PGM_RSRC3_GFX90A:TG_SPLIT: 0
	.section	.text._ZN7rocprim17ROCPRIM_400000_NS6detail17trampoline_kernelINS0_14default_configENS1_25transform_config_selectorIlLb0EEEZNS1_14transform_implILb0ES3_S5_NS0_18transform_iteratorINS0_17counting_iteratorImlEEZNS1_24adjacent_difference_implIS3_Lb1ELb0EPlSB_ZN2at6native12_GLOBAL__N_124unique_dim_cuda_templateIiEESt5tupleIJNSC_6TensorESH_SH_EERKSH_lbbbEUlllE1_EE10hipError_tPvRmT2_T3_mT4_P12ihipStream_tbEUlmE_lEESB_NS0_8identityIvEEEESM_SP_SQ_mSR_ST_bEUlT_E_NS1_11comp_targetILNS1_3genE2ELNS1_11target_archE906ELNS1_3gpuE6ELNS1_3repE0EEENS1_30default_config_static_selectorELNS0_4arch9wavefront6targetE1EEEvT1_,"axG",@progbits,_ZN7rocprim17ROCPRIM_400000_NS6detail17trampoline_kernelINS0_14default_configENS1_25transform_config_selectorIlLb0EEEZNS1_14transform_implILb0ES3_S5_NS0_18transform_iteratorINS0_17counting_iteratorImlEEZNS1_24adjacent_difference_implIS3_Lb1ELb0EPlSB_ZN2at6native12_GLOBAL__N_124unique_dim_cuda_templateIiEESt5tupleIJNSC_6TensorESH_SH_EERKSH_lbbbEUlllE1_EE10hipError_tPvRmT2_T3_mT4_P12ihipStream_tbEUlmE_lEESB_NS0_8identityIvEEEESM_SP_SQ_mSR_ST_bEUlT_E_NS1_11comp_targetILNS1_3genE2ELNS1_11target_archE906ELNS1_3gpuE6ELNS1_3repE0EEENS1_30default_config_static_selectorELNS0_4arch9wavefront6targetE1EEEvT1_,comdat
	.globl	_ZN7rocprim17ROCPRIM_400000_NS6detail17trampoline_kernelINS0_14default_configENS1_25transform_config_selectorIlLb0EEEZNS1_14transform_implILb0ES3_S5_NS0_18transform_iteratorINS0_17counting_iteratorImlEEZNS1_24adjacent_difference_implIS3_Lb1ELb0EPlSB_ZN2at6native12_GLOBAL__N_124unique_dim_cuda_templateIiEESt5tupleIJNSC_6TensorESH_SH_EERKSH_lbbbEUlllE1_EE10hipError_tPvRmT2_T3_mT4_P12ihipStream_tbEUlmE_lEESB_NS0_8identityIvEEEESM_SP_SQ_mSR_ST_bEUlT_E_NS1_11comp_targetILNS1_3genE2ELNS1_11target_archE906ELNS1_3gpuE6ELNS1_3repE0EEENS1_30default_config_static_selectorELNS0_4arch9wavefront6targetE1EEEvT1_ ; -- Begin function _ZN7rocprim17ROCPRIM_400000_NS6detail17trampoline_kernelINS0_14default_configENS1_25transform_config_selectorIlLb0EEEZNS1_14transform_implILb0ES3_S5_NS0_18transform_iteratorINS0_17counting_iteratorImlEEZNS1_24adjacent_difference_implIS3_Lb1ELb0EPlSB_ZN2at6native12_GLOBAL__N_124unique_dim_cuda_templateIiEESt5tupleIJNSC_6TensorESH_SH_EERKSH_lbbbEUlllE1_EE10hipError_tPvRmT2_T3_mT4_P12ihipStream_tbEUlmE_lEESB_NS0_8identityIvEEEESM_SP_SQ_mSR_ST_bEUlT_E_NS1_11comp_targetILNS1_3genE2ELNS1_11target_archE906ELNS1_3gpuE6ELNS1_3repE0EEENS1_30default_config_static_selectorELNS0_4arch9wavefront6targetE1EEEvT1_
	.p2align	8
	.type	_ZN7rocprim17ROCPRIM_400000_NS6detail17trampoline_kernelINS0_14default_configENS1_25transform_config_selectorIlLb0EEEZNS1_14transform_implILb0ES3_S5_NS0_18transform_iteratorINS0_17counting_iteratorImlEEZNS1_24adjacent_difference_implIS3_Lb1ELb0EPlSB_ZN2at6native12_GLOBAL__N_124unique_dim_cuda_templateIiEESt5tupleIJNSC_6TensorESH_SH_EERKSH_lbbbEUlllE1_EE10hipError_tPvRmT2_T3_mT4_P12ihipStream_tbEUlmE_lEESB_NS0_8identityIvEEEESM_SP_SQ_mSR_ST_bEUlT_E_NS1_11comp_targetILNS1_3genE2ELNS1_11target_archE906ELNS1_3gpuE6ELNS1_3repE0EEENS1_30default_config_static_selectorELNS0_4arch9wavefront6targetE1EEEvT1_,@function
_ZN7rocprim17ROCPRIM_400000_NS6detail17trampoline_kernelINS0_14default_configENS1_25transform_config_selectorIlLb0EEEZNS1_14transform_implILb0ES3_S5_NS0_18transform_iteratorINS0_17counting_iteratorImlEEZNS1_24adjacent_difference_implIS3_Lb1ELb0EPlSB_ZN2at6native12_GLOBAL__N_124unique_dim_cuda_templateIiEESt5tupleIJNSC_6TensorESH_SH_EERKSH_lbbbEUlllE1_EE10hipError_tPvRmT2_T3_mT4_P12ihipStream_tbEUlmE_lEESB_NS0_8identityIvEEEESM_SP_SQ_mSR_ST_bEUlT_E_NS1_11comp_targetILNS1_3genE2ELNS1_11target_archE906ELNS1_3gpuE6ELNS1_3repE0EEENS1_30default_config_static_selectorELNS0_4arch9wavefront6targetE1EEEvT1_: ; @_ZN7rocprim17ROCPRIM_400000_NS6detail17trampoline_kernelINS0_14default_configENS1_25transform_config_selectorIlLb0EEEZNS1_14transform_implILb0ES3_S5_NS0_18transform_iteratorINS0_17counting_iteratorImlEEZNS1_24adjacent_difference_implIS3_Lb1ELb0EPlSB_ZN2at6native12_GLOBAL__N_124unique_dim_cuda_templateIiEESt5tupleIJNSC_6TensorESH_SH_EERKSH_lbbbEUlllE1_EE10hipError_tPvRmT2_T3_mT4_P12ihipStream_tbEUlmE_lEESB_NS0_8identityIvEEEESM_SP_SQ_mSR_ST_bEUlT_E_NS1_11comp_targetILNS1_3genE2ELNS1_11target_archE906ELNS1_3gpuE6ELNS1_3repE0EEENS1_30default_config_static_selectorELNS0_4arch9wavefront6targetE1EEEvT1_
; %bb.0:
	.section	.rodata,"a",@progbits
	.p2align	6, 0x0
	.amdhsa_kernel _ZN7rocprim17ROCPRIM_400000_NS6detail17trampoline_kernelINS0_14default_configENS1_25transform_config_selectorIlLb0EEEZNS1_14transform_implILb0ES3_S5_NS0_18transform_iteratorINS0_17counting_iteratorImlEEZNS1_24adjacent_difference_implIS3_Lb1ELb0EPlSB_ZN2at6native12_GLOBAL__N_124unique_dim_cuda_templateIiEESt5tupleIJNSC_6TensorESH_SH_EERKSH_lbbbEUlllE1_EE10hipError_tPvRmT2_T3_mT4_P12ihipStream_tbEUlmE_lEESB_NS0_8identityIvEEEESM_SP_SQ_mSR_ST_bEUlT_E_NS1_11comp_targetILNS1_3genE2ELNS1_11target_archE906ELNS1_3gpuE6ELNS1_3repE0EEENS1_30default_config_static_selectorELNS0_4arch9wavefront6targetE1EEEvT1_
		.amdhsa_group_segment_fixed_size 0
		.amdhsa_private_segment_fixed_size 0
		.amdhsa_kernarg_size 56
		.amdhsa_user_sgpr_count 2
		.amdhsa_user_sgpr_dispatch_ptr 0
		.amdhsa_user_sgpr_queue_ptr 0
		.amdhsa_user_sgpr_kernarg_segment_ptr 1
		.amdhsa_user_sgpr_dispatch_id 0
		.amdhsa_user_sgpr_kernarg_preload_length 0
		.amdhsa_user_sgpr_kernarg_preload_offset 0
		.amdhsa_user_sgpr_private_segment_size 0
		.amdhsa_uses_dynamic_stack 0
		.amdhsa_enable_private_segment 0
		.amdhsa_system_sgpr_workgroup_id_x 1
		.amdhsa_system_sgpr_workgroup_id_y 0
		.amdhsa_system_sgpr_workgroup_id_z 0
		.amdhsa_system_sgpr_workgroup_info 0
		.amdhsa_system_vgpr_workitem_id 0
		.amdhsa_next_free_vgpr 1
		.amdhsa_next_free_sgpr 0
		.amdhsa_accum_offset 4
		.amdhsa_reserve_vcc 0
		.amdhsa_float_round_mode_32 0
		.amdhsa_float_round_mode_16_64 0
		.amdhsa_float_denorm_mode_32 3
		.amdhsa_float_denorm_mode_16_64 3
		.amdhsa_dx10_clamp 1
		.amdhsa_ieee_mode 1
		.amdhsa_fp16_overflow 0
		.amdhsa_tg_split 0
		.amdhsa_exception_fp_ieee_invalid_op 0
		.amdhsa_exception_fp_denorm_src 0
		.amdhsa_exception_fp_ieee_div_zero 0
		.amdhsa_exception_fp_ieee_overflow 0
		.amdhsa_exception_fp_ieee_underflow 0
		.amdhsa_exception_fp_ieee_inexact 0
		.amdhsa_exception_int_div_zero 0
	.end_amdhsa_kernel
	.section	.text._ZN7rocprim17ROCPRIM_400000_NS6detail17trampoline_kernelINS0_14default_configENS1_25transform_config_selectorIlLb0EEEZNS1_14transform_implILb0ES3_S5_NS0_18transform_iteratorINS0_17counting_iteratorImlEEZNS1_24adjacent_difference_implIS3_Lb1ELb0EPlSB_ZN2at6native12_GLOBAL__N_124unique_dim_cuda_templateIiEESt5tupleIJNSC_6TensorESH_SH_EERKSH_lbbbEUlllE1_EE10hipError_tPvRmT2_T3_mT4_P12ihipStream_tbEUlmE_lEESB_NS0_8identityIvEEEESM_SP_SQ_mSR_ST_bEUlT_E_NS1_11comp_targetILNS1_3genE2ELNS1_11target_archE906ELNS1_3gpuE6ELNS1_3repE0EEENS1_30default_config_static_selectorELNS0_4arch9wavefront6targetE1EEEvT1_,"axG",@progbits,_ZN7rocprim17ROCPRIM_400000_NS6detail17trampoline_kernelINS0_14default_configENS1_25transform_config_selectorIlLb0EEEZNS1_14transform_implILb0ES3_S5_NS0_18transform_iteratorINS0_17counting_iteratorImlEEZNS1_24adjacent_difference_implIS3_Lb1ELb0EPlSB_ZN2at6native12_GLOBAL__N_124unique_dim_cuda_templateIiEESt5tupleIJNSC_6TensorESH_SH_EERKSH_lbbbEUlllE1_EE10hipError_tPvRmT2_T3_mT4_P12ihipStream_tbEUlmE_lEESB_NS0_8identityIvEEEESM_SP_SQ_mSR_ST_bEUlT_E_NS1_11comp_targetILNS1_3genE2ELNS1_11target_archE906ELNS1_3gpuE6ELNS1_3repE0EEENS1_30default_config_static_selectorELNS0_4arch9wavefront6targetE1EEEvT1_,comdat
.Lfunc_end428:
	.size	_ZN7rocprim17ROCPRIM_400000_NS6detail17trampoline_kernelINS0_14default_configENS1_25transform_config_selectorIlLb0EEEZNS1_14transform_implILb0ES3_S5_NS0_18transform_iteratorINS0_17counting_iteratorImlEEZNS1_24adjacent_difference_implIS3_Lb1ELb0EPlSB_ZN2at6native12_GLOBAL__N_124unique_dim_cuda_templateIiEESt5tupleIJNSC_6TensorESH_SH_EERKSH_lbbbEUlllE1_EE10hipError_tPvRmT2_T3_mT4_P12ihipStream_tbEUlmE_lEESB_NS0_8identityIvEEEESM_SP_SQ_mSR_ST_bEUlT_E_NS1_11comp_targetILNS1_3genE2ELNS1_11target_archE906ELNS1_3gpuE6ELNS1_3repE0EEENS1_30default_config_static_selectorELNS0_4arch9wavefront6targetE1EEEvT1_, .Lfunc_end428-_ZN7rocprim17ROCPRIM_400000_NS6detail17trampoline_kernelINS0_14default_configENS1_25transform_config_selectorIlLb0EEEZNS1_14transform_implILb0ES3_S5_NS0_18transform_iteratorINS0_17counting_iteratorImlEEZNS1_24adjacent_difference_implIS3_Lb1ELb0EPlSB_ZN2at6native12_GLOBAL__N_124unique_dim_cuda_templateIiEESt5tupleIJNSC_6TensorESH_SH_EERKSH_lbbbEUlllE1_EE10hipError_tPvRmT2_T3_mT4_P12ihipStream_tbEUlmE_lEESB_NS0_8identityIvEEEESM_SP_SQ_mSR_ST_bEUlT_E_NS1_11comp_targetILNS1_3genE2ELNS1_11target_archE906ELNS1_3gpuE6ELNS1_3repE0EEENS1_30default_config_static_selectorELNS0_4arch9wavefront6targetE1EEEvT1_
                                        ; -- End function
	.set _ZN7rocprim17ROCPRIM_400000_NS6detail17trampoline_kernelINS0_14default_configENS1_25transform_config_selectorIlLb0EEEZNS1_14transform_implILb0ES3_S5_NS0_18transform_iteratorINS0_17counting_iteratorImlEEZNS1_24adjacent_difference_implIS3_Lb1ELb0EPlSB_ZN2at6native12_GLOBAL__N_124unique_dim_cuda_templateIiEESt5tupleIJNSC_6TensorESH_SH_EERKSH_lbbbEUlllE1_EE10hipError_tPvRmT2_T3_mT4_P12ihipStream_tbEUlmE_lEESB_NS0_8identityIvEEEESM_SP_SQ_mSR_ST_bEUlT_E_NS1_11comp_targetILNS1_3genE2ELNS1_11target_archE906ELNS1_3gpuE6ELNS1_3repE0EEENS1_30default_config_static_selectorELNS0_4arch9wavefront6targetE1EEEvT1_.num_vgpr, 0
	.set _ZN7rocprim17ROCPRIM_400000_NS6detail17trampoline_kernelINS0_14default_configENS1_25transform_config_selectorIlLb0EEEZNS1_14transform_implILb0ES3_S5_NS0_18transform_iteratorINS0_17counting_iteratorImlEEZNS1_24adjacent_difference_implIS3_Lb1ELb0EPlSB_ZN2at6native12_GLOBAL__N_124unique_dim_cuda_templateIiEESt5tupleIJNSC_6TensorESH_SH_EERKSH_lbbbEUlllE1_EE10hipError_tPvRmT2_T3_mT4_P12ihipStream_tbEUlmE_lEESB_NS0_8identityIvEEEESM_SP_SQ_mSR_ST_bEUlT_E_NS1_11comp_targetILNS1_3genE2ELNS1_11target_archE906ELNS1_3gpuE6ELNS1_3repE0EEENS1_30default_config_static_selectorELNS0_4arch9wavefront6targetE1EEEvT1_.num_agpr, 0
	.set _ZN7rocprim17ROCPRIM_400000_NS6detail17trampoline_kernelINS0_14default_configENS1_25transform_config_selectorIlLb0EEEZNS1_14transform_implILb0ES3_S5_NS0_18transform_iteratorINS0_17counting_iteratorImlEEZNS1_24adjacent_difference_implIS3_Lb1ELb0EPlSB_ZN2at6native12_GLOBAL__N_124unique_dim_cuda_templateIiEESt5tupleIJNSC_6TensorESH_SH_EERKSH_lbbbEUlllE1_EE10hipError_tPvRmT2_T3_mT4_P12ihipStream_tbEUlmE_lEESB_NS0_8identityIvEEEESM_SP_SQ_mSR_ST_bEUlT_E_NS1_11comp_targetILNS1_3genE2ELNS1_11target_archE906ELNS1_3gpuE6ELNS1_3repE0EEENS1_30default_config_static_selectorELNS0_4arch9wavefront6targetE1EEEvT1_.numbered_sgpr, 0
	.set _ZN7rocprim17ROCPRIM_400000_NS6detail17trampoline_kernelINS0_14default_configENS1_25transform_config_selectorIlLb0EEEZNS1_14transform_implILb0ES3_S5_NS0_18transform_iteratorINS0_17counting_iteratorImlEEZNS1_24adjacent_difference_implIS3_Lb1ELb0EPlSB_ZN2at6native12_GLOBAL__N_124unique_dim_cuda_templateIiEESt5tupleIJNSC_6TensorESH_SH_EERKSH_lbbbEUlllE1_EE10hipError_tPvRmT2_T3_mT4_P12ihipStream_tbEUlmE_lEESB_NS0_8identityIvEEEESM_SP_SQ_mSR_ST_bEUlT_E_NS1_11comp_targetILNS1_3genE2ELNS1_11target_archE906ELNS1_3gpuE6ELNS1_3repE0EEENS1_30default_config_static_selectorELNS0_4arch9wavefront6targetE1EEEvT1_.num_named_barrier, 0
	.set _ZN7rocprim17ROCPRIM_400000_NS6detail17trampoline_kernelINS0_14default_configENS1_25transform_config_selectorIlLb0EEEZNS1_14transform_implILb0ES3_S5_NS0_18transform_iteratorINS0_17counting_iteratorImlEEZNS1_24adjacent_difference_implIS3_Lb1ELb0EPlSB_ZN2at6native12_GLOBAL__N_124unique_dim_cuda_templateIiEESt5tupleIJNSC_6TensorESH_SH_EERKSH_lbbbEUlllE1_EE10hipError_tPvRmT2_T3_mT4_P12ihipStream_tbEUlmE_lEESB_NS0_8identityIvEEEESM_SP_SQ_mSR_ST_bEUlT_E_NS1_11comp_targetILNS1_3genE2ELNS1_11target_archE906ELNS1_3gpuE6ELNS1_3repE0EEENS1_30default_config_static_selectorELNS0_4arch9wavefront6targetE1EEEvT1_.private_seg_size, 0
	.set _ZN7rocprim17ROCPRIM_400000_NS6detail17trampoline_kernelINS0_14default_configENS1_25transform_config_selectorIlLb0EEEZNS1_14transform_implILb0ES3_S5_NS0_18transform_iteratorINS0_17counting_iteratorImlEEZNS1_24adjacent_difference_implIS3_Lb1ELb0EPlSB_ZN2at6native12_GLOBAL__N_124unique_dim_cuda_templateIiEESt5tupleIJNSC_6TensorESH_SH_EERKSH_lbbbEUlllE1_EE10hipError_tPvRmT2_T3_mT4_P12ihipStream_tbEUlmE_lEESB_NS0_8identityIvEEEESM_SP_SQ_mSR_ST_bEUlT_E_NS1_11comp_targetILNS1_3genE2ELNS1_11target_archE906ELNS1_3gpuE6ELNS1_3repE0EEENS1_30default_config_static_selectorELNS0_4arch9wavefront6targetE1EEEvT1_.uses_vcc, 0
	.set _ZN7rocprim17ROCPRIM_400000_NS6detail17trampoline_kernelINS0_14default_configENS1_25transform_config_selectorIlLb0EEEZNS1_14transform_implILb0ES3_S5_NS0_18transform_iteratorINS0_17counting_iteratorImlEEZNS1_24adjacent_difference_implIS3_Lb1ELb0EPlSB_ZN2at6native12_GLOBAL__N_124unique_dim_cuda_templateIiEESt5tupleIJNSC_6TensorESH_SH_EERKSH_lbbbEUlllE1_EE10hipError_tPvRmT2_T3_mT4_P12ihipStream_tbEUlmE_lEESB_NS0_8identityIvEEEESM_SP_SQ_mSR_ST_bEUlT_E_NS1_11comp_targetILNS1_3genE2ELNS1_11target_archE906ELNS1_3gpuE6ELNS1_3repE0EEENS1_30default_config_static_selectorELNS0_4arch9wavefront6targetE1EEEvT1_.uses_flat_scratch, 0
	.set _ZN7rocprim17ROCPRIM_400000_NS6detail17trampoline_kernelINS0_14default_configENS1_25transform_config_selectorIlLb0EEEZNS1_14transform_implILb0ES3_S5_NS0_18transform_iteratorINS0_17counting_iteratorImlEEZNS1_24adjacent_difference_implIS3_Lb1ELb0EPlSB_ZN2at6native12_GLOBAL__N_124unique_dim_cuda_templateIiEESt5tupleIJNSC_6TensorESH_SH_EERKSH_lbbbEUlllE1_EE10hipError_tPvRmT2_T3_mT4_P12ihipStream_tbEUlmE_lEESB_NS0_8identityIvEEEESM_SP_SQ_mSR_ST_bEUlT_E_NS1_11comp_targetILNS1_3genE2ELNS1_11target_archE906ELNS1_3gpuE6ELNS1_3repE0EEENS1_30default_config_static_selectorELNS0_4arch9wavefront6targetE1EEEvT1_.has_dyn_sized_stack, 0
	.set _ZN7rocprim17ROCPRIM_400000_NS6detail17trampoline_kernelINS0_14default_configENS1_25transform_config_selectorIlLb0EEEZNS1_14transform_implILb0ES3_S5_NS0_18transform_iteratorINS0_17counting_iteratorImlEEZNS1_24adjacent_difference_implIS3_Lb1ELb0EPlSB_ZN2at6native12_GLOBAL__N_124unique_dim_cuda_templateIiEESt5tupleIJNSC_6TensorESH_SH_EERKSH_lbbbEUlllE1_EE10hipError_tPvRmT2_T3_mT4_P12ihipStream_tbEUlmE_lEESB_NS0_8identityIvEEEESM_SP_SQ_mSR_ST_bEUlT_E_NS1_11comp_targetILNS1_3genE2ELNS1_11target_archE906ELNS1_3gpuE6ELNS1_3repE0EEENS1_30default_config_static_selectorELNS0_4arch9wavefront6targetE1EEEvT1_.has_recursion, 0
	.set _ZN7rocprim17ROCPRIM_400000_NS6detail17trampoline_kernelINS0_14default_configENS1_25transform_config_selectorIlLb0EEEZNS1_14transform_implILb0ES3_S5_NS0_18transform_iteratorINS0_17counting_iteratorImlEEZNS1_24adjacent_difference_implIS3_Lb1ELb0EPlSB_ZN2at6native12_GLOBAL__N_124unique_dim_cuda_templateIiEESt5tupleIJNSC_6TensorESH_SH_EERKSH_lbbbEUlllE1_EE10hipError_tPvRmT2_T3_mT4_P12ihipStream_tbEUlmE_lEESB_NS0_8identityIvEEEESM_SP_SQ_mSR_ST_bEUlT_E_NS1_11comp_targetILNS1_3genE2ELNS1_11target_archE906ELNS1_3gpuE6ELNS1_3repE0EEENS1_30default_config_static_selectorELNS0_4arch9wavefront6targetE1EEEvT1_.has_indirect_call, 0
	.section	.AMDGPU.csdata,"",@progbits
; Kernel info:
; codeLenInByte = 0
; TotalNumSgprs: 6
; NumVgprs: 0
; NumAgprs: 0
; TotalNumVgprs: 0
; ScratchSize: 0
; MemoryBound: 0
; FloatMode: 240
; IeeeMode: 1
; LDSByteSize: 0 bytes/workgroup (compile time only)
; SGPRBlocks: 0
; VGPRBlocks: 0
; NumSGPRsForWavesPerEU: 6
; NumVGPRsForWavesPerEU: 1
; AccumOffset: 4
; Occupancy: 8
; WaveLimiterHint : 0
; COMPUTE_PGM_RSRC2:SCRATCH_EN: 0
; COMPUTE_PGM_RSRC2:USER_SGPR: 2
; COMPUTE_PGM_RSRC2:TRAP_HANDLER: 0
; COMPUTE_PGM_RSRC2:TGID_X_EN: 1
; COMPUTE_PGM_RSRC2:TGID_Y_EN: 0
; COMPUTE_PGM_RSRC2:TGID_Z_EN: 0
; COMPUTE_PGM_RSRC2:TIDIG_COMP_CNT: 0
; COMPUTE_PGM_RSRC3_GFX90A:ACCUM_OFFSET: 0
; COMPUTE_PGM_RSRC3_GFX90A:TG_SPLIT: 0
	.section	.text._ZN7rocprim17ROCPRIM_400000_NS6detail17trampoline_kernelINS0_14default_configENS1_25transform_config_selectorIlLb0EEEZNS1_14transform_implILb0ES3_S5_NS0_18transform_iteratorINS0_17counting_iteratorImlEEZNS1_24adjacent_difference_implIS3_Lb1ELb0EPlSB_ZN2at6native12_GLOBAL__N_124unique_dim_cuda_templateIiEESt5tupleIJNSC_6TensorESH_SH_EERKSH_lbbbEUlllE1_EE10hipError_tPvRmT2_T3_mT4_P12ihipStream_tbEUlmE_lEESB_NS0_8identityIvEEEESM_SP_SQ_mSR_ST_bEUlT_E_NS1_11comp_targetILNS1_3genE10ELNS1_11target_archE1201ELNS1_3gpuE5ELNS1_3repE0EEENS1_30default_config_static_selectorELNS0_4arch9wavefront6targetE1EEEvT1_,"axG",@progbits,_ZN7rocprim17ROCPRIM_400000_NS6detail17trampoline_kernelINS0_14default_configENS1_25transform_config_selectorIlLb0EEEZNS1_14transform_implILb0ES3_S5_NS0_18transform_iteratorINS0_17counting_iteratorImlEEZNS1_24adjacent_difference_implIS3_Lb1ELb0EPlSB_ZN2at6native12_GLOBAL__N_124unique_dim_cuda_templateIiEESt5tupleIJNSC_6TensorESH_SH_EERKSH_lbbbEUlllE1_EE10hipError_tPvRmT2_T3_mT4_P12ihipStream_tbEUlmE_lEESB_NS0_8identityIvEEEESM_SP_SQ_mSR_ST_bEUlT_E_NS1_11comp_targetILNS1_3genE10ELNS1_11target_archE1201ELNS1_3gpuE5ELNS1_3repE0EEENS1_30default_config_static_selectorELNS0_4arch9wavefront6targetE1EEEvT1_,comdat
	.globl	_ZN7rocprim17ROCPRIM_400000_NS6detail17trampoline_kernelINS0_14default_configENS1_25transform_config_selectorIlLb0EEEZNS1_14transform_implILb0ES3_S5_NS0_18transform_iteratorINS0_17counting_iteratorImlEEZNS1_24adjacent_difference_implIS3_Lb1ELb0EPlSB_ZN2at6native12_GLOBAL__N_124unique_dim_cuda_templateIiEESt5tupleIJNSC_6TensorESH_SH_EERKSH_lbbbEUlllE1_EE10hipError_tPvRmT2_T3_mT4_P12ihipStream_tbEUlmE_lEESB_NS0_8identityIvEEEESM_SP_SQ_mSR_ST_bEUlT_E_NS1_11comp_targetILNS1_3genE10ELNS1_11target_archE1201ELNS1_3gpuE5ELNS1_3repE0EEENS1_30default_config_static_selectorELNS0_4arch9wavefront6targetE1EEEvT1_ ; -- Begin function _ZN7rocprim17ROCPRIM_400000_NS6detail17trampoline_kernelINS0_14default_configENS1_25transform_config_selectorIlLb0EEEZNS1_14transform_implILb0ES3_S5_NS0_18transform_iteratorINS0_17counting_iteratorImlEEZNS1_24adjacent_difference_implIS3_Lb1ELb0EPlSB_ZN2at6native12_GLOBAL__N_124unique_dim_cuda_templateIiEESt5tupleIJNSC_6TensorESH_SH_EERKSH_lbbbEUlllE1_EE10hipError_tPvRmT2_T3_mT4_P12ihipStream_tbEUlmE_lEESB_NS0_8identityIvEEEESM_SP_SQ_mSR_ST_bEUlT_E_NS1_11comp_targetILNS1_3genE10ELNS1_11target_archE1201ELNS1_3gpuE5ELNS1_3repE0EEENS1_30default_config_static_selectorELNS0_4arch9wavefront6targetE1EEEvT1_
	.p2align	8
	.type	_ZN7rocprim17ROCPRIM_400000_NS6detail17trampoline_kernelINS0_14default_configENS1_25transform_config_selectorIlLb0EEEZNS1_14transform_implILb0ES3_S5_NS0_18transform_iteratorINS0_17counting_iteratorImlEEZNS1_24adjacent_difference_implIS3_Lb1ELb0EPlSB_ZN2at6native12_GLOBAL__N_124unique_dim_cuda_templateIiEESt5tupleIJNSC_6TensorESH_SH_EERKSH_lbbbEUlllE1_EE10hipError_tPvRmT2_T3_mT4_P12ihipStream_tbEUlmE_lEESB_NS0_8identityIvEEEESM_SP_SQ_mSR_ST_bEUlT_E_NS1_11comp_targetILNS1_3genE10ELNS1_11target_archE1201ELNS1_3gpuE5ELNS1_3repE0EEENS1_30default_config_static_selectorELNS0_4arch9wavefront6targetE1EEEvT1_,@function
_ZN7rocprim17ROCPRIM_400000_NS6detail17trampoline_kernelINS0_14default_configENS1_25transform_config_selectorIlLb0EEEZNS1_14transform_implILb0ES3_S5_NS0_18transform_iteratorINS0_17counting_iteratorImlEEZNS1_24adjacent_difference_implIS3_Lb1ELb0EPlSB_ZN2at6native12_GLOBAL__N_124unique_dim_cuda_templateIiEESt5tupleIJNSC_6TensorESH_SH_EERKSH_lbbbEUlllE1_EE10hipError_tPvRmT2_T3_mT4_P12ihipStream_tbEUlmE_lEESB_NS0_8identityIvEEEESM_SP_SQ_mSR_ST_bEUlT_E_NS1_11comp_targetILNS1_3genE10ELNS1_11target_archE1201ELNS1_3gpuE5ELNS1_3repE0EEENS1_30default_config_static_selectorELNS0_4arch9wavefront6targetE1EEEvT1_: ; @_ZN7rocprim17ROCPRIM_400000_NS6detail17trampoline_kernelINS0_14default_configENS1_25transform_config_selectorIlLb0EEEZNS1_14transform_implILb0ES3_S5_NS0_18transform_iteratorINS0_17counting_iteratorImlEEZNS1_24adjacent_difference_implIS3_Lb1ELb0EPlSB_ZN2at6native12_GLOBAL__N_124unique_dim_cuda_templateIiEESt5tupleIJNSC_6TensorESH_SH_EERKSH_lbbbEUlllE1_EE10hipError_tPvRmT2_T3_mT4_P12ihipStream_tbEUlmE_lEESB_NS0_8identityIvEEEESM_SP_SQ_mSR_ST_bEUlT_E_NS1_11comp_targetILNS1_3genE10ELNS1_11target_archE1201ELNS1_3gpuE5ELNS1_3repE0EEENS1_30default_config_static_selectorELNS0_4arch9wavefront6targetE1EEEvT1_
; %bb.0:
	.section	.rodata,"a",@progbits
	.p2align	6, 0x0
	.amdhsa_kernel _ZN7rocprim17ROCPRIM_400000_NS6detail17trampoline_kernelINS0_14default_configENS1_25transform_config_selectorIlLb0EEEZNS1_14transform_implILb0ES3_S5_NS0_18transform_iteratorINS0_17counting_iteratorImlEEZNS1_24adjacent_difference_implIS3_Lb1ELb0EPlSB_ZN2at6native12_GLOBAL__N_124unique_dim_cuda_templateIiEESt5tupleIJNSC_6TensorESH_SH_EERKSH_lbbbEUlllE1_EE10hipError_tPvRmT2_T3_mT4_P12ihipStream_tbEUlmE_lEESB_NS0_8identityIvEEEESM_SP_SQ_mSR_ST_bEUlT_E_NS1_11comp_targetILNS1_3genE10ELNS1_11target_archE1201ELNS1_3gpuE5ELNS1_3repE0EEENS1_30default_config_static_selectorELNS0_4arch9wavefront6targetE1EEEvT1_
		.amdhsa_group_segment_fixed_size 0
		.amdhsa_private_segment_fixed_size 0
		.amdhsa_kernarg_size 56
		.amdhsa_user_sgpr_count 2
		.amdhsa_user_sgpr_dispatch_ptr 0
		.amdhsa_user_sgpr_queue_ptr 0
		.amdhsa_user_sgpr_kernarg_segment_ptr 1
		.amdhsa_user_sgpr_dispatch_id 0
		.amdhsa_user_sgpr_kernarg_preload_length 0
		.amdhsa_user_sgpr_kernarg_preload_offset 0
		.amdhsa_user_sgpr_private_segment_size 0
		.amdhsa_uses_dynamic_stack 0
		.amdhsa_enable_private_segment 0
		.amdhsa_system_sgpr_workgroup_id_x 1
		.amdhsa_system_sgpr_workgroup_id_y 0
		.amdhsa_system_sgpr_workgroup_id_z 0
		.amdhsa_system_sgpr_workgroup_info 0
		.amdhsa_system_vgpr_workitem_id 0
		.amdhsa_next_free_vgpr 1
		.amdhsa_next_free_sgpr 0
		.amdhsa_accum_offset 4
		.amdhsa_reserve_vcc 0
		.amdhsa_float_round_mode_32 0
		.amdhsa_float_round_mode_16_64 0
		.amdhsa_float_denorm_mode_32 3
		.amdhsa_float_denorm_mode_16_64 3
		.amdhsa_dx10_clamp 1
		.amdhsa_ieee_mode 1
		.amdhsa_fp16_overflow 0
		.amdhsa_tg_split 0
		.amdhsa_exception_fp_ieee_invalid_op 0
		.amdhsa_exception_fp_denorm_src 0
		.amdhsa_exception_fp_ieee_div_zero 0
		.amdhsa_exception_fp_ieee_overflow 0
		.amdhsa_exception_fp_ieee_underflow 0
		.amdhsa_exception_fp_ieee_inexact 0
		.amdhsa_exception_int_div_zero 0
	.end_amdhsa_kernel
	.section	.text._ZN7rocprim17ROCPRIM_400000_NS6detail17trampoline_kernelINS0_14default_configENS1_25transform_config_selectorIlLb0EEEZNS1_14transform_implILb0ES3_S5_NS0_18transform_iteratorINS0_17counting_iteratorImlEEZNS1_24adjacent_difference_implIS3_Lb1ELb0EPlSB_ZN2at6native12_GLOBAL__N_124unique_dim_cuda_templateIiEESt5tupleIJNSC_6TensorESH_SH_EERKSH_lbbbEUlllE1_EE10hipError_tPvRmT2_T3_mT4_P12ihipStream_tbEUlmE_lEESB_NS0_8identityIvEEEESM_SP_SQ_mSR_ST_bEUlT_E_NS1_11comp_targetILNS1_3genE10ELNS1_11target_archE1201ELNS1_3gpuE5ELNS1_3repE0EEENS1_30default_config_static_selectorELNS0_4arch9wavefront6targetE1EEEvT1_,"axG",@progbits,_ZN7rocprim17ROCPRIM_400000_NS6detail17trampoline_kernelINS0_14default_configENS1_25transform_config_selectorIlLb0EEEZNS1_14transform_implILb0ES3_S5_NS0_18transform_iteratorINS0_17counting_iteratorImlEEZNS1_24adjacent_difference_implIS3_Lb1ELb0EPlSB_ZN2at6native12_GLOBAL__N_124unique_dim_cuda_templateIiEESt5tupleIJNSC_6TensorESH_SH_EERKSH_lbbbEUlllE1_EE10hipError_tPvRmT2_T3_mT4_P12ihipStream_tbEUlmE_lEESB_NS0_8identityIvEEEESM_SP_SQ_mSR_ST_bEUlT_E_NS1_11comp_targetILNS1_3genE10ELNS1_11target_archE1201ELNS1_3gpuE5ELNS1_3repE0EEENS1_30default_config_static_selectorELNS0_4arch9wavefront6targetE1EEEvT1_,comdat
.Lfunc_end429:
	.size	_ZN7rocprim17ROCPRIM_400000_NS6detail17trampoline_kernelINS0_14default_configENS1_25transform_config_selectorIlLb0EEEZNS1_14transform_implILb0ES3_S5_NS0_18transform_iteratorINS0_17counting_iteratorImlEEZNS1_24adjacent_difference_implIS3_Lb1ELb0EPlSB_ZN2at6native12_GLOBAL__N_124unique_dim_cuda_templateIiEESt5tupleIJNSC_6TensorESH_SH_EERKSH_lbbbEUlllE1_EE10hipError_tPvRmT2_T3_mT4_P12ihipStream_tbEUlmE_lEESB_NS0_8identityIvEEEESM_SP_SQ_mSR_ST_bEUlT_E_NS1_11comp_targetILNS1_3genE10ELNS1_11target_archE1201ELNS1_3gpuE5ELNS1_3repE0EEENS1_30default_config_static_selectorELNS0_4arch9wavefront6targetE1EEEvT1_, .Lfunc_end429-_ZN7rocprim17ROCPRIM_400000_NS6detail17trampoline_kernelINS0_14default_configENS1_25transform_config_selectorIlLb0EEEZNS1_14transform_implILb0ES3_S5_NS0_18transform_iteratorINS0_17counting_iteratorImlEEZNS1_24adjacent_difference_implIS3_Lb1ELb0EPlSB_ZN2at6native12_GLOBAL__N_124unique_dim_cuda_templateIiEESt5tupleIJNSC_6TensorESH_SH_EERKSH_lbbbEUlllE1_EE10hipError_tPvRmT2_T3_mT4_P12ihipStream_tbEUlmE_lEESB_NS0_8identityIvEEEESM_SP_SQ_mSR_ST_bEUlT_E_NS1_11comp_targetILNS1_3genE10ELNS1_11target_archE1201ELNS1_3gpuE5ELNS1_3repE0EEENS1_30default_config_static_selectorELNS0_4arch9wavefront6targetE1EEEvT1_
                                        ; -- End function
	.set _ZN7rocprim17ROCPRIM_400000_NS6detail17trampoline_kernelINS0_14default_configENS1_25transform_config_selectorIlLb0EEEZNS1_14transform_implILb0ES3_S5_NS0_18transform_iteratorINS0_17counting_iteratorImlEEZNS1_24adjacent_difference_implIS3_Lb1ELb0EPlSB_ZN2at6native12_GLOBAL__N_124unique_dim_cuda_templateIiEESt5tupleIJNSC_6TensorESH_SH_EERKSH_lbbbEUlllE1_EE10hipError_tPvRmT2_T3_mT4_P12ihipStream_tbEUlmE_lEESB_NS0_8identityIvEEEESM_SP_SQ_mSR_ST_bEUlT_E_NS1_11comp_targetILNS1_3genE10ELNS1_11target_archE1201ELNS1_3gpuE5ELNS1_3repE0EEENS1_30default_config_static_selectorELNS0_4arch9wavefront6targetE1EEEvT1_.num_vgpr, 0
	.set _ZN7rocprim17ROCPRIM_400000_NS6detail17trampoline_kernelINS0_14default_configENS1_25transform_config_selectorIlLb0EEEZNS1_14transform_implILb0ES3_S5_NS0_18transform_iteratorINS0_17counting_iteratorImlEEZNS1_24adjacent_difference_implIS3_Lb1ELb0EPlSB_ZN2at6native12_GLOBAL__N_124unique_dim_cuda_templateIiEESt5tupleIJNSC_6TensorESH_SH_EERKSH_lbbbEUlllE1_EE10hipError_tPvRmT2_T3_mT4_P12ihipStream_tbEUlmE_lEESB_NS0_8identityIvEEEESM_SP_SQ_mSR_ST_bEUlT_E_NS1_11comp_targetILNS1_3genE10ELNS1_11target_archE1201ELNS1_3gpuE5ELNS1_3repE0EEENS1_30default_config_static_selectorELNS0_4arch9wavefront6targetE1EEEvT1_.num_agpr, 0
	.set _ZN7rocprim17ROCPRIM_400000_NS6detail17trampoline_kernelINS0_14default_configENS1_25transform_config_selectorIlLb0EEEZNS1_14transform_implILb0ES3_S5_NS0_18transform_iteratorINS0_17counting_iteratorImlEEZNS1_24adjacent_difference_implIS3_Lb1ELb0EPlSB_ZN2at6native12_GLOBAL__N_124unique_dim_cuda_templateIiEESt5tupleIJNSC_6TensorESH_SH_EERKSH_lbbbEUlllE1_EE10hipError_tPvRmT2_T3_mT4_P12ihipStream_tbEUlmE_lEESB_NS0_8identityIvEEEESM_SP_SQ_mSR_ST_bEUlT_E_NS1_11comp_targetILNS1_3genE10ELNS1_11target_archE1201ELNS1_3gpuE5ELNS1_3repE0EEENS1_30default_config_static_selectorELNS0_4arch9wavefront6targetE1EEEvT1_.numbered_sgpr, 0
	.set _ZN7rocprim17ROCPRIM_400000_NS6detail17trampoline_kernelINS0_14default_configENS1_25transform_config_selectorIlLb0EEEZNS1_14transform_implILb0ES3_S5_NS0_18transform_iteratorINS0_17counting_iteratorImlEEZNS1_24adjacent_difference_implIS3_Lb1ELb0EPlSB_ZN2at6native12_GLOBAL__N_124unique_dim_cuda_templateIiEESt5tupleIJNSC_6TensorESH_SH_EERKSH_lbbbEUlllE1_EE10hipError_tPvRmT2_T3_mT4_P12ihipStream_tbEUlmE_lEESB_NS0_8identityIvEEEESM_SP_SQ_mSR_ST_bEUlT_E_NS1_11comp_targetILNS1_3genE10ELNS1_11target_archE1201ELNS1_3gpuE5ELNS1_3repE0EEENS1_30default_config_static_selectorELNS0_4arch9wavefront6targetE1EEEvT1_.num_named_barrier, 0
	.set _ZN7rocprim17ROCPRIM_400000_NS6detail17trampoline_kernelINS0_14default_configENS1_25transform_config_selectorIlLb0EEEZNS1_14transform_implILb0ES3_S5_NS0_18transform_iteratorINS0_17counting_iteratorImlEEZNS1_24adjacent_difference_implIS3_Lb1ELb0EPlSB_ZN2at6native12_GLOBAL__N_124unique_dim_cuda_templateIiEESt5tupleIJNSC_6TensorESH_SH_EERKSH_lbbbEUlllE1_EE10hipError_tPvRmT2_T3_mT4_P12ihipStream_tbEUlmE_lEESB_NS0_8identityIvEEEESM_SP_SQ_mSR_ST_bEUlT_E_NS1_11comp_targetILNS1_3genE10ELNS1_11target_archE1201ELNS1_3gpuE5ELNS1_3repE0EEENS1_30default_config_static_selectorELNS0_4arch9wavefront6targetE1EEEvT1_.private_seg_size, 0
	.set _ZN7rocprim17ROCPRIM_400000_NS6detail17trampoline_kernelINS0_14default_configENS1_25transform_config_selectorIlLb0EEEZNS1_14transform_implILb0ES3_S5_NS0_18transform_iteratorINS0_17counting_iteratorImlEEZNS1_24adjacent_difference_implIS3_Lb1ELb0EPlSB_ZN2at6native12_GLOBAL__N_124unique_dim_cuda_templateIiEESt5tupleIJNSC_6TensorESH_SH_EERKSH_lbbbEUlllE1_EE10hipError_tPvRmT2_T3_mT4_P12ihipStream_tbEUlmE_lEESB_NS0_8identityIvEEEESM_SP_SQ_mSR_ST_bEUlT_E_NS1_11comp_targetILNS1_3genE10ELNS1_11target_archE1201ELNS1_3gpuE5ELNS1_3repE0EEENS1_30default_config_static_selectorELNS0_4arch9wavefront6targetE1EEEvT1_.uses_vcc, 0
	.set _ZN7rocprim17ROCPRIM_400000_NS6detail17trampoline_kernelINS0_14default_configENS1_25transform_config_selectorIlLb0EEEZNS1_14transform_implILb0ES3_S5_NS0_18transform_iteratorINS0_17counting_iteratorImlEEZNS1_24adjacent_difference_implIS3_Lb1ELb0EPlSB_ZN2at6native12_GLOBAL__N_124unique_dim_cuda_templateIiEESt5tupleIJNSC_6TensorESH_SH_EERKSH_lbbbEUlllE1_EE10hipError_tPvRmT2_T3_mT4_P12ihipStream_tbEUlmE_lEESB_NS0_8identityIvEEEESM_SP_SQ_mSR_ST_bEUlT_E_NS1_11comp_targetILNS1_3genE10ELNS1_11target_archE1201ELNS1_3gpuE5ELNS1_3repE0EEENS1_30default_config_static_selectorELNS0_4arch9wavefront6targetE1EEEvT1_.uses_flat_scratch, 0
	.set _ZN7rocprim17ROCPRIM_400000_NS6detail17trampoline_kernelINS0_14default_configENS1_25transform_config_selectorIlLb0EEEZNS1_14transform_implILb0ES3_S5_NS0_18transform_iteratorINS0_17counting_iteratorImlEEZNS1_24adjacent_difference_implIS3_Lb1ELb0EPlSB_ZN2at6native12_GLOBAL__N_124unique_dim_cuda_templateIiEESt5tupleIJNSC_6TensorESH_SH_EERKSH_lbbbEUlllE1_EE10hipError_tPvRmT2_T3_mT4_P12ihipStream_tbEUlmE_lEESB_NS0_8identityIvEEEESM_SP_SQ_mSR_ST_bEUlT_E_NS1_11comp_targetILNS1_3genE10ELNS1_11target_archE1201ELNS1_3gpuE5ELNS1_3repE0EEENS1_30default_config_static_selectorELNS0_4arch9wavefront6targetE1EEEvT1_.has_dyn_sized_stack, 0
	.set _ZN7rocprim17ROCPRIM_400000_NS6detail17trampoline_kernelINS0_14default_configENS1_25transform_config_selectorIlLb0EEEZNS1_14transform_implILb0ES3_S5_NS0_18transform_iteratorINS0_17counting_iteratorImlEEZNS1_24adjacent_difference_implIS3_Lb1ELb0EPlSB_ZN2at6native12_GLOBAL__N_124unique_dim_cuda_templateIiEESt5tupleIJNSC_6TensorESH_SH_EERKSH_lbbbEUlllE1_EE10hipError_tPvRmT2_T3_mT4_P12ihipStream_tbEUlmE_lEESB_NS0_8identityIvEEEESM_SP_SQ_mSR_ST_bEUlT_E_NS1_11comp_targetILNS1_3genE10ELNS1_11target_archE1201ELNS1_3gpuE5ELNS1_3repE0EEENS1_30default_config_static_selectorELNS0_4arch9wavefront6targetE1EEEvT1_.has_recursion, 0
	.set _ZN7rocprim17ROCPRIM_400000_NS6detail17trampoline_kernelINS0_14default_configENS1_25transform_config_selectorIlLb0EEEZNS1_14transform_implILb0ES3_S5_NS0_18transform_iteratorINS0_17counting_iteratorImlEEZNS1_24adjacent_difference_implIS3_Lb1ELb0EPlSB_ZN2at6native12_GLOBAL__N_124unique_dim_cuda_templateIiEESt5tupleIJNSC_6TensorESH_SH_EERKSH_lbbbEUlllE1_EE10hipError_tPvRmT2_T3_mT4_P12ihipStream_tbEUlmE_lEESB_NS0_8identityIvEEEESM_SP_SQ_mSR_ST_bEUlT_E_NS1_11comp_targetILNS1_3genE10ELNS1_11target_archE1201ELNS1_3gpuE5ELNS1_3repE0EEENS1_30default_config_static_selectorELNS0_4arch9wavefront6targetE1EEEvT1_.has_indirect_call, 0
	.section	.AMDGPU.csdata,"",@progbits
; Kernel info:
; codeLenInByte = 0
; TotalNumSgprs: 6
; NumVgprs: 0
; NumAgprs: 0
; TotalNumVgprs: 0
; ScratchSize: 0
; MemoryBound: 0
; FloatMode: 240
; IeeeMode: 1
; LDSByteSize: 0 bytes/workgroup (compile time only)
; SGPRBlocks: 0
; VGPRBlocks: 0
; NumSGPRsForWavesPerEU: 6
; NumVGPRsForWavesPerEU: 1
; AccumOffset: 4
; Occupancy: 8
; WaveLimiterHint : 0
; COMPUTE_PGM_RSRC2:SCRATCH_EN: 0
; COMPUTE_PGM_RSRC2:USER_SGPR: 2
; COMPUTE_PGM_RSRC2:TRAP_HANDLER: 0
; COMPUTE_PGM_RSRC2:TGID_X_EN: 1
; COMPUTE_PGM_RSRC2:TGID_Y_EN: 0
; COMPUTE_PGM_RSRC2:TGID_Z_EN: 0
; COMPUTE_PGM_RSRC2:TIDIG_COMP_CNT: 0
; COMPUTE_PGM_RSRC3_GFX90A:ACCUM_OFFSET: 0
; COMPUTE_PGM_RSRC3_GFX90A:TG_SPLIT: 0
	.section	.text._ZN7rocprim17ROCPRIM_400000_NS6detail17trampoline_kernelINS0_14default_configENS1_25transform_config_selectorIlLb0EEEZNS1_14transform_implILb0ES3_S5_NS0_18transform_iteratorINS0_17counting_iteratorImlEEZNS1_24adjacent_difference_implIS3_Lb1ELb0EPlSB_ZN2at6native12_GLOBAL__N_124unique_dim_cuda_templateIiEESt5tupleIJNSC_6TensorESH_SH_EERKSH_lbbbEUlllE1_EE10hipError_tPvRmT2_T3_mT4_P12ihipStream_tbEUlmE_lEESB_NS0_8identityIvEEEESM_SP_SQ_mSR_ST_bEUlT_E_NS1_11comp_targetILNS1_3genE10ELNS1_11target_archE1200ELNS1_3gpuE4ELNS1_3repE0EEENS1_30default_config_static_selectorELNS0_4arch9wavefront6targetE1EEEvT1_,"axG",@progbits,_ZN7rocprim17ROCPRIM_400000_NS6detail17trampoline_kernelINS0_14default_configENS1_25transform_config_selectorIlLb0EEEZNS1_14transform_implILb0ES3_S5_NS0_18transform_iteratorINS0_17counting_iteratorImlEEZNS1_24adjacent_difference_implIS3_Lb1ELb0EPlSB_ZN2at6native12_GLOBAL__N_124unique_dim_cuda_templateIiEESt5tupleIJNSC_6TensorESH_SH_EERKSH_lbbbEUlllE1_EE10hipError_tPvRmT2_T3_mT4_P12ihipStream_tbEUlmE_lEESB_NS0_8identityIvEEEESM_SP_SQ_mSR_ST_bEUlT_E_NS1_11comp_targetILNS1_3genE10ELNS1_11target_archE1200ELNS1_3gpuE4ELNS1_3repE0EEENS1_30default_config_static_selectorELNS0_4arch9wavefront6targetE1EEEvT1_,comdat
	.globl	_ZN7rocprim17ROCPRIM_400000_NS6detail17trampoline_kernelINS0_14default_configENS1_25transform_config_selectorIlLb0EEEZNS1_14transform_implILb0ES3_S5_NS0_18transform_iteratorINS0_17counting_iteratorImlEEZNS1_24adjacent_difference_implIS3_Lb1ELb0EPlSB_ZN2at6native12_GLOBAL__N_124unique_dim_cuda_templateIiEESt5tupleIJNSC_6TensorESH_SH_EERKSH_lbbbEUlllE1_EE10hipError_tPvRmT2_T3_mT4_P12ihipStream_tbEUlmE_lEESB_NS0_8identityIvEEEESM_SP_SQ_mSR_ST_bEUlT_E_NS1_11comp_targetILNS1_3genE10ELNS1_11target_archE1200ELNS1_3gpuE4ELNS1_3repE0EEENS1_30default_config_static_selectorELNS0_4arch9wavefront6targetE1EEEvT1_ ; -- Begin function _ZN7rocprim17ROCPRIM_400000_NS6detail17trampoline_kernelINS0_14default_configENS1_25transform_config_selectorIlLb0EEEZNS1_14transform_implILb0ES3_S5_NS0_18transform_iteratorINS0_17counting_iteratorImlEEZNS1_24adjacent_difference_implIS3_Lb1ELb0EPlSB_ZN2at6native12_GLOBAL__N_124unique_dim_cuda_templateIiEESt5tupleIJNSC_6TensorESH_SH_EERKSH_lbbbEUlllE1_EE10hipError_tPvRmT2_T3_mT4_P12ihipStream_tbEUlmE_lEESB_NS0_8identityIvEEEESM_SP_SQ_mSR_ST_bEUlT_E_NS1_11comp_targetILNS1_3genE10ELNS1_11target_archE1200ELNS1_3gpuE4ELNS1_3repE0EEENS1_30default_config_static_selectorELNS0_4arch9wavefront6targetE1EEEvT1_
	.p2align	8
	.type	_ZN7rocprim17ROCPRIM_400000_NS6detail17trampoline_kernelINS0_14default_configENS1_25transform_config_selectorIlLb0EEEZNS1_14transform_implILb0ES3_S5_NS0_18transform_iteratorINS0_17counting_iteratorImlEEZNS1_24adjacent_difference_implIS3_Lb1ELb0EPlSB_ZN2at6native12_GLOBAL__N_124unique_dim_cuda_templateIiEESt5tupleIJNSC_6TensorESH_SH_EERKSH_lbbbEUlllE1_EE10hipError_tPvRmT2_T3_mT4_P12ihipStream_tbEUlmE_lEESB_NS0_8identityIvEEEESM_SP_SQ_mSR_ST_bEUlT_E_NS1_11comp_targetILNS1_3genE10ELNS1_11target_archE1200ELNS1_3gpuE4ELNS1_3repE0EEENS1_30default_config_static_selectorELNS0_4arch9wavefront6targetE1EEEvT1_,@function
_ZN7rocprim17ROCPRIM_400000_NS6detail17trampoline_kernelINS0_14default_configENS1_25transform_config_selectorIlLb0EEEZNS1_14transform_implILb0ES3_S5_NS0_18transform_iteratorINS0_17counting_iteratorImlEEZNS1_24adjacent_difference_implIS3_Lb1ELb0EPlSB_ZN2at6native12_GLOBAL__N_124unique_dim_cuda_templateIiEESt5tupleIJNSC_6TensorESH_SH_EERKSH_lbbbEUlllE1_EE10hipError_tPvRmT2_T3_mT4_P12ihipStream_tbEUlmE_lEESB_NS0_8identityIvEEEESM_SP_SQ_mSR_ST_bEUlT_E_NS1_11comp_targetILNS1_3genE10ELNS1_11target_archE1200ELNS1_3gpuE4ELNS1_3repE0EEENS1_30default_config_static_selectorELNS0_4arch9wavefront6targetE1EEEvT1_: ; @_ZN7rocprim17ROCPRIM_400000_NS6detail17trampoline_kernelINS0_14default_configENS1_25transform_config_selectorIlLb0EEEZNS1_14transform_implILb0ES3_S5_NS0_18transform_iteratorINS0_17counting_iteratorImlEEZNS1_24adjacent_difference_implIS3_Lb1ELb0EPlSB_ZN2at6native12_GLOBAL__N_124unique_dim_cuda_templateIiEESt5tupleIJNSC_6TensorESH_SH_EERKSH_lbbbEUlllE1_EE10hipError_tPvRmT2_T3_mT4_P12ihipStream_tbEUlmE_lEESB_NS0_8identityIvEEEESM_SP_SQ_mSR_ST_bEUlT_E_NS1_11comp_targetILNS1_3genE10ELNS1_11target_archE1200ELNS1_3gpuE4ELNS1_3repE0EEENS1_30default_config_static_selectorELNS0_4arch9wavefront6targetE1EEEvT1_
; %bb.0:
	.section	.rodata,"a",@progbits
	.p2align	6, 0x0
	.amdhsa_kernel _ZN7rocprim17ROCPRIM_400000_NS6detail17trampoline_kernelINS0_14default_configENS1_25transform_config_selectorIlLb0EEEZNS1_14transform_implILb0ES3_S5_NS0_18transform_iteratorINS0_17counting_iteratorImlEEZNS1_24adjacent_difference_implIS3_Lb1ELb0EPlSB_ZN2at6native12_GLOBAL__N_124unique_dim_cuda_templateIiEESt5tupleIJNSC_6TensorESH_SH_EERKSH_lbbbEUlllE1_EE10hipError_tPvRmT2_T3_mT4_P12ihipStream_tbEUlmE_lEESB_NS0_8identityIvEEEESM_SP_SQ_mSR_ST_bEUlT_E_NS1_11comp_targetILNS1_3genE10ELNS1_11target_archE1200ELNS1_3gpuE4ELNS1_3repE0EEENS1_30default_config_static_selectorELNS0_4arch9wavefront6targetE1EEEvT1_
		.amdhsa_group_segment_fixed_size 0
		.amdhsa_private_segment_fixed_size 0
		.amdhsa_kernarg_size 56
		.amdhsa_user_sgpr_count 2
		.amdhsa_user_sgpr_dispatch_ptr 0
		.amdhsa_user_sgpr_queue_ptr 0
		.amdhsa_user_sgpr_kernarg_segment_ptr 1
		.amdhsa_user_sgpr_dispatch_id 0
		.amdhsa_user_sgpr_kernarg_preload_length 0
		.amdhsa_user_sgpr_kernarg_preload_offset 0
		.amdhsa_user_sgpr_private_segment_size 0
		.amdhsa_uses_dynamic_stack 0
		.amdhsa_enable_private_segment 0
		.amdhsa_system_sgpr_workgroup_id_x 1
		.amdhsa_system_sgpr_workgroup_id_y 0
		.amdhsa_system_sgpr_workgroup_id_z 0
		.amdhsa_system_sgpr_workgroup_info 0
		.amdhsa_system_vgpr_workitem_id 0
		.amdhsa_next_free_vgpr 1
		.amdhsa_next_free_sgpr 0
		.amdhsa_accum_offset 4
		.amdhsa_reserve_vcc 0
		.amdhsa_float_round_mode_32 0
		.amdhsa_float_round_mode_16_64 0
		.amdhsa_float_denorm_mode_32 3
		.amdhsa_float_denorm_mode_16_64 3
		.amdhsa_dx10_clamp 1
		.amdhsa_ieee_mode 1
		.amdhsa_fp16_overflow 0
		.amdhsa_tg_split 0
		.amdhsa_exception_fp_ieee_invalid_op 0
		.amdhsa_exception_fp_denorm_src 0
		.amdhsa_exception_fp_ieee_div_zero 0
		.amdhsa_exception_fp_ieee_overflow 0
		.amdhsa_exception_fp_ieee_underflow 0
		.amdhsa_exception_fp_ieee_inexact 0
		.amdhsa_exception_int_div_zero 0
	.end_amdhsa_kernel
	.section	.text._ZN7rocprim17ROCPRIM_400000_NS6detail17trampoline_kernelINS0_14default_configENS1_25transform_config_selectorIlLb0EEEZNS1_14transform_implILb0ES3_S5_NS0_18transform_iteratorINS0_17counting_iteratorImlEEZNS1_24adjacent_difference_implIS3_Lb1ELb0EPlSB_ZN2at6native12_GLOBAL__N_124unique_dim_cuda_templateIiEESt5tupleIJNSC_6TensorESH_SH_EERKSH_lbbbEUlllE1_EE10hipError_tPvRmT2_T3_mT4_P12ihipStream_tbEUlmE_lEESB_NS0_8identityIvEEEESM_SP_SQ_mSR_ST_bEUlT_E_NS1_11comp_targetILNS1_3genE10ELNS1_11target_archE1200ELNS1_3gpuE4ELNS1_3repE0EEENS1_30default_config_static_selectorELNS0_4arch9wavefront6targetE1EEEvT1_,"axG",@progbits,_ZN7rocprim17ROCPRIM_400000_NS6detail17trampoline_kernelINS0_14default_configENS1_25transform_config_selectorIlLb0EEEZNS1_14transform_implILb0ES3_S5_NS0_18transform_iteratorINS0_17counting_iteratorImlEEZNS1_24adjacent_difference_implIS3_Lb1ELb0EPlSB_ZN2at6native12_GLOBAL__N_124unique_dim_cuda_templateIiEESt5tupleIJNSC_6TensorESH_SH_EERKSH_lbbbEUlllE1_EE10hipError_tPvRmT2_T3_mT4_P12ihipStream_tbEUlmE_lEESB_NS0_8identityIvEEEESM_SP_SQ_mSR_ST_bEUlT_E_NS1_11comp_targetILNS1_3genE10ELNS1_11target_archE1200ELNS1_3gpuE4ELNS1_3repE0EEENS1_30default_config_static_selectorELNS0_4arch9wavefront6targetE1EEEvT1_,comdat
.Lfunc_end430:
	.size	_ZN7rocprim17ROCPRIM_400000_NS6detail17trampoline_kernelINS0_14default_configENS1_25transform_config_selectorIlLb0EEEZNS1_14transform_implILb0ES3_S5_NS0_18transform_iteratorINS0_17counting_iteratorImlEEZNS1_24adjacent_difference_implIS3_Lb1ELb0EPlSB_ZN2at6native12_GLOBAL__N_124unique_dim_cuda_templateIiEESt5tupleIJNSC_6TensorESH_SH_EERKSH_lbbbEUlllE1_EE10hipError_tPvRmT2_T3_mT4_P12ihipStream_tbEUlmE_lEESB_NS0_8identityIvEEEESM_SP_SQ_mSR_ST_bEUlT_E_NS1_11comp_targetILNS1_3genE10ELNS1_11target_archE1200ELNS1_3gpuE4ELNS1_3repE0EEENS1_30default_config_static_selectorELNS0_4arch9wavefront6targetE1EEEvT1_, .Lfunc_end430-_ZN7rocprim17ROCPRIM_400000_NS6detail17trampoline_kernelINS0_14default_configENS1_25transform_config_selectorIlLb0EEEZNS1_14transform_implILb0ES3_S5_NS0_18transform_iteratorINS0_17counting_iteratorImlEEZNS1_24adjacent_difference_implIS3_Lb1ELb0EPlSB_ZN2at6native12_GLOBAL__N_124unique_dim_cuda_templateIiEESt5tupleIJNSC_6TensorESH_SH_EERKSH_lbbbEUlllE1_EE10hipError_tPvRmT2_T3_mT4_P12ihipStream_tbEUlmE_lEESB_NS0_8identityIvEEEESM_SP_SQ_mSR_ST_bEUlT_E_NS1_11comp_targetILNS1_3genE10ELNS1_11target_archE1200ELNS1_3gpuE4ELNS1_3repE0EEENS1_30default_config_static_selectorELNS0_4arch9wavefront6targetE1EEEvT1_
                                        ; -- End function
	.set _ZN7rocprim17ROCPRIM_400000_NS6detail17trampoline_kernelINS0_14default_configENS1_25transform_config_selectorIlLb0EEEZNS1_14transform_implILb0ES3_S5_NS0_18transform_iteratorINS0_17counting_iteratorImlEEZNS1_24adjacent_difference_implIS3_Lb1ELb0EPlSB_ZN2at6native12_GLOBAL__N_124unique_dim_cuda_templateIiEESt5tupleIJNSC_6TensorESH_SH_EERKSH_lbbbEUlllE1_EE10hipError_tPvRmT2_T3_mT4_P12ihipStream_tbEUlmE_lEESB_NS0_8identityIvEEEESM_SP_SQ_mSR_ST_bEUlT_E_NS1_11comp_targetILNS1_3genE10ELNS1_11target_archE1200ELNS1_3gpuE4ELNS1_3repE0EEENS1_30default_config_static_selectorELNS0_4arch9wavefront6targetE1EEEvT1_.num_vgpr, 0
	.set _ZN7rocprim17ROCPRIM_400000_NS6detail17trampoline_kernelINS0_14default_configENS1_25transform_config_selectorIlLb0EEEZNS1_14transform_implILb0ES3_S5_NS0_18transform_iteratorINS0_17counting_iteratorImlEEZNS1_24adjacent_difference_implIS3_Lb1ELb0EPlSB_ZN2at6native12_GLOBAL__N_124unique_dim_cuda_templateIiEESt5tupleIJNSC_6TensorESH_SH_EERKSH_lbbbEUlllE1_EE10hipError_tPvRmT2_T3_mT4_P12ihipStream_tbEUlmE_lEESB_NS0_8identityIvEEEESM_SP_SQ_mSR_ST_bEUlT_E_NS1_11comp_targetILNS1_3genE10ELNS1_11target_archE1200ELNS1_3gpuE4ELNS1_3repE0EEENS1_30default_config_static_selectorELNS0_4arch9wavefront6targetE1EEEvT1_.num_agpr, 0
	.set _ZN7rocprim17ROCPRIM_400000_NS6detail17trampoline_kernelINS0_14default_configENS1_25transform_config_selectorIlLb0EEEZNS1_14transform_implILb0ES3_S5_NS0_18transform_iteratorINS0_17counting_iteratorImlEEZNS1_24adjacent_difference_implIS3_Lb1ELb0EPlSB_ZN2at6native12_GLOBAL__N_124unique_dim_cuda_templateIiEESt5tupleIJNSC_6TensorESH_SH_EERKSH_lbbbEUlllE1_EE10hipError_tPvRmT2_T3_mT4_P12ihipStream_tbEUlmE_lEESB_NS0_8identityIvEEEESM_SP_SQ_mSR_ST_bEUlT_E_NS1_11comp_targetILNS1_3genE10ELNS1_11target_archE1200ELNS1_3gpuE4ELNS1_3repE0EEENS1_30default_config_static_selectorELNS0_4arch9wavefront6targetE1EEEvT1_.numbered_sgpr, 0
	.set _ZN7rocprim17ROCPRIM_400000_NS6detail17trampoline_kernelINS0_14default_configENS1_25transform_config_selectorIlLb0EEEZNS1_14transform_implILb0ES3_S5_NS0_18transform_iteratorINS0_17counting_iteratorImlEEZNS1_24adjacent_difference_implIS3_Lb1ELb0EPlSB_ZN2at6native12_GLOBAL__N_124unique_dim_cuda_templateIiEESt5tupleIJNSC_6TensorESH_SH_EERKSH_lbbbEUlllE1_EE10hipError_tPvRmT2_T3_mT4_P12ihipStream_tbEUlmE_lEESB_NS0_8identityIvEEEESM_SP_SQ_mSR_ST_bEUlT_E_NS1_11comp_targetILNS1_3genE10ELNS1_11target_archE1200ELNS1_3gpuE4ELNS1_3repE0EEENS1_30default_config_static_selectorELNS0_4arch9wavefront6targetE1EEEvT1_.num_named_barrier, 0
	.set _ZN7rocprim17ROCPRIM_400000_NS6detail17trampoline_kernelINS0_14default_configENS1_25transform_config_selectorIlLb0EEEZNS1_14transform_implILb0ES3_S5_NS0_18transform_iteratorINS0_17counting_iteratorImlEEZNS1_24adjacent_difference_implIS3_Lb1ELb0EPlSB_ZN2at6native12_GLOBAL__N_124unique_dim_cuda_templateIiEESt5tupleIJNSC_6TensorESH_SH_EERKSH_lbbbEUlllE1_EE10hipError_tPvRmT2_T3_mT4_P12ihipStream_tbEUlmE_lEESB_NS0_8identityIvEEEESM_SP_SQ_mSR_ST_bEUlT_E_NS1_11comp_targetILNS1_3genE10ELNS1_11target_archE1200ELNS1_3gpuE4ELNS1_3repE0EEENS1_30default_config_static_selectorELNS0_4arch9wavefront6targetE1EEEvT1_.private_seg_size, 0
	.set _ZN7rocprim17ROCPRIM_400000_NS6detail17trampoline_kernelINS0_14default_configENS1_25transform_config_selectorIlLb0EEEZNS1_14transform_implILb0ES3_S5_NS0_18transform_iteratorINS0_17counting_iteratorImlEEZNS1_24adjacent_difference_implIS3_Lb1ELb0EPlSB_ZN2at6native12_GLOBAL__N_124unique_dim_cuda_templateIiEESt5tupleIJNSC_6TensorESH_SH_EERKSH_lbbbEUlllE1_EE10hipError_tPvRmT2_T3_mT4_P12ihipStream_tbEUlmE_lEESB_NS0_8identityIvEEEESM_SP_SQ_mSR_ST_bEUlT_E_NS1_11comp_targetILNS1_3genE10ELNS1_11target_archE1200ELNS1_3gpuE4ELNS1_3repE0EEENS1_30default_config_static_selectorELNS0_4arch9wavefront6targetE1EEEvT1_.uses_vcc, 0
	.set _ZN7rocprim17ROCPRIM_400000_NS6detail17trampoline_kernelINS0_14default_configENS1_25transform_config_selectorIlLb0EEEZNS1_14transform_implILb0ES3_S5_NS0_18transform_iteratorINS0_17counting_iteratorImlEEZNS1_24adjacent_difference_implIS3_Lb1ELb0EPlSB_ZN2at6native12_GLOBAL__N_124unique_dim_cuda_templateIiEESt5tupleIJNSC_6TensorESH_SH_EERKSH_lbbbEUlllE1_EE10hipError_tPvRmT2_T3_mT4_P12ihipStream_tbEUlmE_lEESB_NS0_8identityIvEEEESM_SP_SQ_mSR_ST_bEUlT_E_NS1_11comp_targetILNS1_3genE10ELNS1_11target_archE1200ELNS1_3gpuE4ELNS1_3repE0EEENS1_30default_config_static_selectorELNS0_4arch9wavefront6targetE1EEEvT1_.uses_flat_scratch, 0
	.set _ZN7rocprim17ROCPRIM_400000_NS6detail17trampoline_kernelINS0_14default_configENS1_25transform_config_selectorIlLb0EEEZNS1_14transform_implILb0ES3_S5_NS0_18transform_iteratorINS0_17counting_iteratorImlEEZNS1_24adjacent_difference_implIS3_Lb1ELb0EPlSB_ZN2at6native12_GLOBAL__N_124unique_dim_cuda_templateIiEESt5tupleIJNSC_6TensorESH_SH_EERKSH_lbbbEUlllE1_EE10hipError_tPvRmT2_T3_mT4_P12ihipStream_tbEUlmE_lEESB_NS0_8identityIvEEEESM_SP_SQ_mSR_ST_bEUlT_E_NS1_11comp_targetILNS1_3genE10ELNS1_11target_archE1200ELNS1_3gpuE4ELNS1_3repE0EEENS1_30default_config_static_selectorELNS0_4arch9wavefront6targetE1EEEvT1_.has_dyn_sized_stack, 0
	.set _ZN7rocprim17ROCPRIM_400000_NS6detail17trampoline_kernelINS0_14default_configENS1_25transform_config_selectorIlLb0EEEZNS1_14transform_implILb0ES3_S5_NS0_18transform_iteratorINS0_17counting_iteratorImlEEZNS1_24adjacent_difference_implIS3_Lb1ELb0EPlSB_ZN2at6native12_GLOBAL__N_124unique_dim_cuda_templateIiEESt5tupleIJNSC_6TensorESH_SH_EERKSH_lbbbEUlllE1_EE10hipError_tPvRmT2_T3_mT4_P12ihipStream_tbEUlmE_lEESB_NS0_8identityIvEEEESM_SP_SQ_mSR_ST_bEUlT_E_NS1_11comp_targetILNS1_3genE10ELNS1_11target_archE1200ELNS1_3gpuE4ELNS1_3repE0EEENS1_30default_config_static_selectorELNS0_4arch9wavefront6targetE1EEEvT1_.has_recursion, 0
	.set _ZN7rocprim17ROCPRIM_400000_NS6detail17trampoline_kernelINS0_14default_configENS1_25transform_config_selectorIlLb0EEEZNS1_14transform_implILb0ES3_S5_NS0_18transform_iteratorINS0_17counting_iteratorImlEEZNS1_24adjacent_difference_implIS3_Lb1ELb0EPlSB_ZN2at6native12_GLOBAL__N_124unique_dim_cuda_templateIiEESt5tupleIJNSC_6TensorESH_SH_EERKSH_lbbbEUlllE1_EE10hipError_tPvRmT2_T3_mT4_P12ihipStream_tbEUlmE_lEESB_NS0_8identityIvEEEESM_SP_SQ_mSR_ST_bEUlT_E_NS1_11comp_targetILNS1_3genE10ELNS1_11target_archE1200ELNS1_3gpuE4ELNS1_3repE0EEENS1_30default_config_static_selectorELNS0_4arch9wavefront6targetE1EEEvT1_.has_indirect_call, 0
	.section	.AMDGPU.csdata,"",@progbits
; Kernel info:
; codeLenInByte = 0
; TotalNumSgprs: 6
; NumVgprs: 0
; NumAgprs: 0
; TotalNumVgprs: 0
; ScratchSize: 0
; MemoryBound: 0
; FloatMode: 240
; IeeeMode: 1
; LDSByteSize: 0 bytes/workgroup (compile time only)
; SGPRBlocks: 0
; VGPRBlocks: 0
; NumSGPRsForWavesPerEU: 6
; NumVGPRsForWavesPerEU: 1
; AccumOffset: 4
; Occupancy: 8
; WaveLimiterHint : 0
; COMPUTE_PGM_RSRC2:SCRATCH_EN: 0
; COMPUTE_PGM_RSRC2:USER_SGPR: 2
; COMPUTE_PGM_RSRC2:TRAP_HANDLER: 0
; COMPUTE_PGM_RSRC2:TGID_X_EN: 1
; COMPUTE_PGM_RSRC2:TGID_Y_EN: 0
; COMPUTE_PGM_RSRC2:TGID_Z_EN: 0
; COMPUTE_PGM_RSRC2:TIDIG_COMP_CNT: 0
; COMPUTE_PGM_RSRC3_GFX90A:ACCUM_OFFSET: 0
; COMPUTE_PGM_RSRC3_GFX90A:TG_SPLIT: 0
	.section	.text._ZN7rocprim17ROCPRIM_400000_NS6detail17trampoline_kernelINS0_14default_configENS1_25transform_config_selectorIlLb0EEEZNS1_14transform_implILb0ES3_S5_NS0_18transform_iteratorINS0_17counting_iteratorImlEEZNS1_24adjacent_difference_implIS3_Lb1ELb0EPlSB_ZN2at6native12_GLOBAL__N_124unique_dim_cuda_templateIiEESt5tupleIJNSC_6TensorESH_SH_EERKSH_lbbbEUlllE1_EE10hipError_tPvRmT2_T3_mT4_P12ihipStream_tbEUlmE_lEESB_NS0_8identityIvEEEESM_SP_SQ_mSR_ST_bEUlT_E_NS1_11comp_targetILNS1_3genE9ELNS1_11target_archE1100ELNS1_3gpuE3ELNS1_3repE0EEENS1_30default_config_static_selectorELNS0_4arch9wavefront6targetE1EEEvT1_,"axG",@progbits,_ZN7rocprim17ROCPRIM_400000_NS6detail17trampoline_kernelINS0_14default_configENS1_25transform_config_selectorIlLb0EEEZNS1_14transform_implILb0ES3_S5_NS0_18transform_iteratorINS0_17counting_iteratorImlEEZNS1_24adjacent_difference_implIS3_Lb1ELb0EPlSB_ZN2at6native12_GLOBAL__N_124unique_dim_cuda_templateIiEESt5tupleIJNSC_6TensorESH_SH_EERKSH_lbbbEUlllE1_EE10hipError_tPvRmT2_T3_mT4_P12ihipStream_tbEUlmE_lEESB_NS0_8identityIvEEEESM_SP_SQ_mSR_ST_bEUlT_E_NS1_11comp_targetILNS1_3genE9ELNS1_11target_archE1100ELNS1_3gpuE3ELNS1_3repE0EEENS1_30default_config_static_selectorELNS0_4arch9wavefront6targetE1EEEvT1_,comdat
	.globl	_ZN7rocprim17ROCPRIM_400000_NS6detail17trampoline_kernelINS0_14default_configENS1_25transform_config_selectorIlLb0EEEZNS1_14transform_implILb0ES3_S5_NS0_18transform_iteratorINS0_17counting_iteratorImlEEZNS1_24adjacent_difference_implIS3_Lb1ELb0EPlSB_ZN2at6native12_GLOBAL__N_124unique_dim_cuda_templateIiEESt5tupleIJNSC_6TensorESH_SH_EERKSH_lbbbEUlllE1_EE10hipError_tPvRmT2_T3_mT4_P12ihipStream_tbEUlmE_lEESB_NS0_8identityIvEEEESM_SP_SQ_mSR_ST_bEUlT_E_NS1_11comp_targetILNS1_3genE9ELNS1_11target_archE1100ELNS1_3gpuE3ELNS1_3repE0EEENS1_30default_config_static_selectorELNS0_4arch9wavefront6targetE1EEEvT1_ ; -- Begin function _ZN7rocprim17ROCPRIM_400000_NS6detail17trampoline_kernelINS0_14default_configENS1_25transform_config_selectorIlLb0EEEZNS1_14transform_implILb0ES3_S5_NS0_18transform_iteratorINS0_17counting_iteratorImlEEZNS1_24adjacent_difference_implIS3_Lb1ELb0EPlSB_ZN2at6native12_GLOBAL__N_124unique_dim_cuda_templateIiEESt5tupleIJNSC_6TensorESH_SH_EERKSH_lbbbEUlllE1_EE10hipError_tPvRmT2_T3_mT4_P12ihipStream_tbEUlmE_lEESB_NS0_8identityIvEEEESM_SP_SQ_mSR_ST_bEUlT_E_NS1_11comp_targetILNS1_3genE9ELNS1_11target_archE1100ELNS1_3gpuE3ELNS1_3repE0EEENS1_30default_config_static_selectorELNS0_4arch9wavefront6targetE1EEEvT1_
	.p2align	8
	.type	_ZN7rocprim17ROCPRIM_400000_NS6detail17trampoline_kernelINS0_14default_configENS1_25transform_config_selectorIlLb0EEEZNS1_14transform_implILb0ES3_S5_NS0_18transform_iteratorINS0_17counting_iteratorImlEEZNS1_24adjacent_difference_implIS3_Lb1ELb0EPlSB_ZN2at6native12_GLOBAL__N_124unique_dim_cuda_templateIiEESt5tupleIJNSC_6TensorESH_SH_EERKSH_lbbbEUlllE1_EE10hipError_tPvRmT2_T3_mT4_P12ihipStream_tbEUlmE_lEESB_NS0_8identityIvEEEESM_SP_SQ_mSR_ST_bEUlT_E_NS1_11comp_targetILNS1_3genE9ELNS1_11target_archE1100ELNS1_3gpuE3ELNS1_3repE0EEENS1_30default_config_static_selectorELNS0_4arch9wavefront6targetE1EEEvT1_,@function
_ZN7rocprim17ROCPRIM_400000_NS6detail17trampoline_kernelINS0_14default_configENS1_25transform_config_selectorIlLb0EEEZNS1_14transform_implILb0ES3_S5_NS0_18transform_iteratorINS0_17counting_iteratorImlEEZNS1_24adjacent_difference_implIS3_Lb1ELb0EPlSB_ZN2at6native12_GLOBAL__N_124unique_dim_cuda_templateIiEESt5tupleIJNSC_6TensorESH_SH_EERKSH_lbbbEUlllE1_EE10hipError_tPvRmT2_T3_mT4_P12ihipStream_tbEUlmE_lEESB_NS0_8identityIvEEEESM_SP_SQ_mSR_ST_bEUlT_E_NS1_11comp_targetILNS1_3genE9ELNS1_11target_archE1100ELNS1_3gpuE3ELNS1_3repE0EEENS1_30default_config_static_selectorELNS0_4arch9wavefront6targetE1EEEvT1_: ; @_ZN7rocprim17ROCPRIM_400000_NS6detail17trampoline_kernelINS0_14default_configENS1_25transform_config_selectorIlLb0EEEZNS1_14transform_implILb0ES3_S5_NS0_18transform_iteratorINS0_17counting_iteratorImlEEZNS1_24adjacent_difference_implIS3_Lb1ELb0EPlSB_ZN2at6native12_GLOBAL__N_124unique_dim_cuda_templateIiEESt5tupleIJNSC_6TensorESH_SH_EERKSH_lbbbEUlllE1_EE10hipError_tPvRmT2_T3_mT4_P12ihipStream_tbEUlmE_lEESB_NS0_8identityIvEEEESM_SP_SQ_mSR_ST_bEUlT_E_NS1_11comp_targetILNS1_3genE9ELNS1_11target_archE1100ELNS1_3gpuE3ELNS1_3repE0EEENS1_30default_config_static_selectorELNS0_4arch9wavefront6targetE1EEEvT1_
; %bb.0:
	.section	.rodata,"a",@progbits
	.p2align	6, 0x0
	.amdhsa_kernel _ZN7rocprim17ROCPRIM_400000_NS6detail17trampoline_kernelINS0_14default_configENS1_25transform_config_selectorIlLb0EEEZNS1_14transform_implILb0ES3_S5_NS0_18transform_iteratorINS0_17counting_iteratorImlEEZNS1_24adjacent_difference_implIS3_Lb1ELb0EPlSB_ZN2at6native12_GLOBAL__N_124unique_dim_cuda_templateIiEESt5tupleIJNSC_6TensorESH_SH_EERKSH_lbbbEUlllE1_EE10hipError_tPvRmT2_T3_mT4_P12ihipStream_tbEUlmE_lEESB_NS0_8identityIvEEEESM_SP_SQ_mSR_ST_bEUlT_E_NS1_11comp_targetILNS1_3genE9ELNS1_11target_archE1100ELNS1_3gpuE3ELNS1_3repE0EEENS1_30default_config_static_selectorELNS0_4arch9wavefront6targetE1EEEvT1_
		.amdhsa_group_segment_fixed_size 0
		.amdhsa_private_segment_fixed_size 0
		.amdhsa_kernarg_size 56
		.amdhsa_user_sgpr_count 2
		.amdhsa_user_sgpr_dispatch_ptr 0
		.amdhsa_user_sgpr_queue_ptr 0
		.amdhsa_user_sgpr_kernarg_segment_ptr 1
		.amdhsa_user_sgpr_dispatch_id 0
		.amdhsa_user_sgpr_kernarg_preload_length 0
		.amdhsa_user_sgpr_kernarg_preload_offset 0
		.amdhsa_user_sgpr_private_segment_size 0
		.amdhsa_uses_dynamic_stack 0
		.amdhsa_enable_private_segment 0
		.amdhsa_system_sgpr_workgroup_id_x 1
		.amdhsa_system_sgpr_workgroup_id_y 0
		.amdhsa_system_sgpr_workgroup_id_z 0
		.amdhsa_system_sgpr_workgroup_info 0
		.amdhsa_system_vgpr_workitem_id 0
		.amdhsa_next_free_vgpr 1
		.amdhsa_next_free_sgpr 0
		.amdhsa_accum_offset 4
		.amdhsa_reserve_vcc 0
		.amdhsa_float_round_mode_32 0
		.amdhsa_float_round_mode_16_64 0
		.amdhsa_float_denorm_mode_32 3
		.amdhsa_float_denorm_mode_16_64 3
		.amdhsa_dx10_clamp 1
		.amdhsa_ieee_mode 1
		.amdhsa_fp16_overflow 0
		.amdhsa_tg_split 0
		.amdhsa_exception_fp_ieee_invalid_op 0
		.amdhsa_exception_fp_denorm_src 0
		.amdhsa_exception_fp_ieee_div_zero 0
		.amdhsa_exception_fp_ieee_overflow 0
		.amdhsa_exception_fp_ieee_underflow 0
		.amdhsa_exception_fp_ieee_inexact 0
		.amdhsa_exception_int_div_zero 0
	.end_amdhsa_kernel
	.section	.text._ZN7rocprim17ROCPRIM_400000_NS6detail17trampoline_kernelINS0_14default_configENS1_25transform_config_selectorIlLb0EEEZNS1_14transform_implILb0ES3_S5_NS0_18transform_iteratorINS0_17counting_iteratorImlEEZNS1_24adjacent_difference_implIS3_Lb1ELb0EPlSB_ZN2at6native12_GLOBAL__N_124unique_dim_cuda_templateIiEESt5tupleIJNSC_6TensorESH_SH_EERKSH_lbbbEUlllE1_EE10hipError_tPvRmT2_T3_mT4_P12ihipStream_tbEUlmE_lEESB_NS0_8identityIvEEEESM_SP_SQ_mSR_ST_bEUlT_E_NS1_11comp_targetILNS1_3genE9ELNS1_11target_archE1100ELNS1_3gpuE3ELNS1_3repE0EEENS1_30default_config_static_selectorELNS0_4arch9wavefront6targetE1EEEvT1_,"axG",@progbits,_ZN7rocprim17ROCPRIM_400000_NS6detail17trampoline_kernelINS0_14default_configENS1_25transform_config_selectorIlLb0EEEZNS1_14transform_implILb0ES3_S5_NS0_18transform_iteratorINS0_17counting_iteratorImlEEZNS1_24adjacent_difference_implIS3_Lb1ELb0EPlSB_ZN2at6native12_GLOBAL__N_124unique_dim_cuda_templateIiEESt5tupleIJNSC_6TensorESH_SH_EERKSH_lbbbEUlllE1_EE10hipError_tPvRmT2_T3_mT4_P12ihipStream_tbEUlmE_lEESB_NS0_8identityIvEEEESM_SP_SQ_mSR_ST_bEUlT_E_NS1_11comp_targetILNS1_3genE9ELNS1_11target_archE1100ELNS1_3gpuE3ELNS1_3repE0EEENS1_30default_config_static_selectorELNS0_4arch9wavefront6targetE1EEEvT1_,comdat
.Lfunc_end431:
	.size	_ZN7rocprim17ROCPRIM_400000_NS6detail17trampoline_kernelINS0_14default_configENS1_25transform_config_selectorIlLb0EEEZNS1_14transform_implILb0ES3_S5_NS0_18transform_iteratorINS0_17counting_iteratorImlEEZNS1_24adjacent_difference_implIS3_Lb1ELb0EPlSB_ZN2at6native12_GLOBAL__N_124unique_dim_cuda_templateIiEESt5tupleIJNSC_6TensorESH_SH_EERKSH_lbbbEUlllE1_EE10hipError_tPvRmT2_T3_mT4_P12ihipStream_tbEUlmE_lEESB_NS0_8identityIvEEEESM_SP_SQ_mSR_ST_bEUlT_E_NS1_11comp_targetILNS1_3genE9ELNS1_11target_archE1100ELNS1_3gpuE3ELNS1_3repE0EEENS1_30default_config_static_selectorELNS0_4arch9wavefront6targetE1EEEvT1_, .Lfunc_end431-_ZN7rocprim17ROCPRIM_400000_NS6detail17trampoline_kernelINS0_14default_configENS1_25transform_config_selectorIlLb0EEEZNS1_14transform_implILb0ES3_S5_NS0_18transform_iteratorINS0_17counting_iteratorImlEEZNS1_24adjacent_difference_implIS3_Lb1ELb0EPlSB_ZN2at6native12_GLOBAL__N_124unique_dim_cuda_templateIiEESt5tupleIJNSC_6TensorESH_SH_EERKSH_lbbbEUlllE1_EE10hipError_tPvRmT2_T3_mT4_P12ihipStream_tbEUlmE_lEESB_NS0_8identityIvEEEESM_SP_SQ_mSR_ST_bEUlT_E_NS1_11comp_targetILNS1_3genE9ELNS1_11target_archE1100ELNS1_3gpuE3ELNS1_3repE0EEENS1_30default_config_static_selectorELNS0_4arch9wavefront6targetE1EEEvT1_
                                        ; -- End function
	.set _ZN7rocprim17ROCPRIM_400000_NS6detail17trampoline_kernelINS0_14default_configENS1_25transform_config_selectorIlLb0EEEZNS1_14transform_implILb0ES3_S5_NS0_18transform_iteratorINS0_17counting_iteratorImlEEZNS1_24adjacent_difference_implIS3_Lb1ELb0EPlSB_ZN2at6native12_GLOBAL__N_124unique_dim_cuda_templateIiEESt5tupleIJNSC_6TensorESH_SH_EERKSH_lbbbEUlllE1_EE10hipError_tPvRmT2_T3_mT4_P12ihipStream_tbEUlmE_lEESB_NS0_8identityIvEEEESM_SP_SQ_mSR_ST_bEUlT_E_NS1_11comp_targetILNS1_3genE9ELNS1_11target_archE1100ELNS1_3gpuE3ELNS1_3repE0EEENS1_30default_config_static_selectorELNS0_4arch9wavefront6targetE1EEEvT1_.num_vgpr, 0
	.set _ZN7rocprim17ROCPRIM_400000_NS6detail17trampoline_kernelINS0_14default_configENS1_25transform_config_selectorIlLb0EEEZNS1_14transform_implILb0ES3_S5_NS0_18transform_iteratorINS0_17counting_iteratorImlEEZNS1_24adjacent_difference_implIS3_Lb1ELb0EPlSB_ZN2at6native12_GLOBAL__N_124unique_dim_cuda_templateIiEESt5tupleIJNSC_6TensorESH_SH_EERKSH_lbbbEUlllE1_EE10hipError_tPvRmT2_T3_mT4_P12ihipStream_tbEUlmE_lEESB_NS0_8identityIvEEEESM_SP_SQ_mSR_ST_bEUlT_E_NS1_11comp_targetILNS1_3genE9ELNS1_11target_archE1100ELNS1_3gpuE3ELNS1_3repE0EEENS1_30default_config_static_selectorELNS0_4arch9wavefront6targetE1EEEvT1_.num_agpr, 0
	.set _ZN7rocprim17ROCPRIM_400000_NS6detail17trampoline_kernelINS0_14default_configENS1_25transform_config_selectorIlLb0EEEZNS1_14transform_implILb0ES3_S5_NS0_18transform_iteratorINS0_17counting_iteratorImlEEZNS1_24adjacent_difference_implIS3_Lb1ELb0EPlSB_ZN2at6native12_GLOBAL__N_124unique_dim_cuda_templateIiEESt5tupleIJNSC_6TensorESH_SH_EERKSH_lbbbEUlllE1_EE10hipError_tPvRmT2_T3_mT4_P12ihipStream_tbEUlmE_lEESB_NS0_8identityIvEEEESM_SP_SQ_mSR_ST_bEUlT_E_NS1_11comp_targetILNS1_3genE9ELNS1_11target_archE1100ELNS1_3gpuE3ELNS1_3repE0EEENS1_30default_config_static_selectorELNS0_4arch9wavefront6targetE1EEEvT1_.numbered_sgpr, 0
	.set _ZN7rocprim17ROCPRIM_400000_NS6detail17trampoline_kernelINS0_14default_configENS1_25transform_config_selectorIlLb0EEEZNS1_14transform_implILb0ES3_S5_NS0_18transform_iteratorINS0_17counting_iteratorImlEEZNS1_24adjacent_difference_implIS3_Lb1ELb0EPlSB_ZN2at6native12_GLOBAL__N_124unique_dim_cuda_templateIiEESt5tupleIJNSC_6TensorESH_SH_EERKSH_lbbbEUlllE1_EE10hipError_tPvRmT2_T3_mT4_P12ihipStream_tbEUlmE_lEESB_NS0_8identityIvEEEESM_SP_SQ_mSR_ST_bEUlT_E_NS1_11comp_targetILNS1_3genE9ELNS1_11target_archE1100ELNS1_3gpuE3ELNS1_3repE0EEENS1_30default_config_static_selectorELNS0_4arch9wavefront6targetE1EEEvT1_.num_named_barrier, 0
	.set _ZN7rocprim17ROCPRIM_400000_NS6detail17trampoline_kernelINS0_14default_configENS1_25transform_config_selectorIlLb0EEEZNS1_14transform_implILb0ES3_S5_NS0_18transform_iteratorINS0_17counting_iteratorImlEEZNS1_24adjacent_difference_implIS3_Lb1ELb0EPlSB_ZN2at6native12_GLOBAL__N_124unique_dim_cuda_templateIiEESt5tupleIJNSC_6TensorESH_SH_EERKSH_lbbbEUlllE1_EE10hipError_tPvRmT2_T3_mT4_P12ihipStream_tbEUlmE_lEESB_NS0_8identityIvEEEESM_SP_SQ_mSR_ST_bEUlT_E_NS1_11comp_targetILNS1_3genE9ELNS1_11target_archE1100ELNS1_3gpuE3ELNS1_3repE0EEENS1_30default_config_static_selectorELNS0_4arch9wavefront6targetE1EEEvT1_.private_seg_size, 0
	.set _ZN7rocprim17ROCPRIM_400000_NS6detail17trampoline_kernelINS0_14default_configENS1_25transform_config_selectorIlLb0EEEZNS1_14transform_implILb0ES3_S5_NS0_18transform_iteratorINS0_17counting_iteratorImlEEZNS1_24adjacent_difference_implIS3_Lb1ELb0EPlSB_ZN2at6native12_GLOBAL__N_124unique_dim_cuda_templateIiEESt5tupleIJNSC_6TensorESH_SH_EERKSH_lbbbEUlllE1_EE10hipError_tPvRmT2_T3_mT4_P12ihipStream_tbEUlmE_lEESB_NS0_8identityIvEEEESM_SP_SQ_mSR_ST_bEUlT_E_NS1_11comp_targetILNS1_3genE9ELNS1_11target_archE1100ELNS1_3gpuE3ELNS1_3repE0EEENS1_30default_config_static_selectorELNS0_4arch9wavefront6targetE1EEEvT1_.uses_vcc, 0
	.set _ZN7rocprim17ROCPRIM_400000_NS6detail17trampoline_kernelINS0_14default_configENS1_25transform_config_selectorIlLb0EEEZNS1_14transform_implILb0ES3_S5_NS0_18transform_iteratorINS0_17counting_iteratorImlEEZNS1_24adjacent_difference_implIS3_Lb1ELb0EPlSB_ZN2at6native12_GLOBAL__N_124unique_dim_cuda_templateIiEESt5tupleIJNSC_6TensorESH_SH_EERKSH_lbbbEUlllE1_EE10hipError_tPvRmT2_T3_mT4_P12ihipStream_tbEUlmE_lEESB_NS0_8identityIvEEEESM_SP_SQ_mSR_ST_bEUlT_E_NS1_11comp_targetILNS1_3genE9ELNS1_11target_archE1100ELNS1_3gpuE3ELNS1_3repE0EEENS1_30default_config_static_selectorELNS0_4arch9wavefront6targetE1EEEvT1_.uses_flat_scratch, 0
	.set _ZN7rocprim17ROCPRIM_400000_NS6detail17trampoline_kernelINS0_14default_configENS1_25transform_config_selectorIlLb0EEEZNS1_14transform_implILb0ES3_S5_NS0_18transform_iteratorINS0_17counting_iteratorImlEEZNS1_24adjacent_difference_implIS3_Lb1ELb0EPlSB_ZN2at6native12_GLOBAL__N_124unique_dim_cuda_templateIiEESt5tupleIJNSC_6TensorESH_SH_EERKSH_lbbbEUlllE1_EE10hipError_tPvRmT2_T3_mT4_P12ihipStream_tbEUlmE_lEESB_NS0_8identityIvEEEESM_SP_SQ_mSR_ST_bEUlT_E_NS1_11comp_targetILNS1_3genE9ELNS1_11target_archE1100ELNS1_3gpuE3ELNS1_3repE0EEENS1_30default_config_static_selectorELNS0_4arch9wavefront6targetE1EEEvT1_.has_dyn_sized_stack, 0
	.set _ZN7rocprim17ROCPRIM_400000_NS6detail17trampoline_kernelINS0_14default_configENS1_25transform_config_selectorIlLb0EEEZNS1_14transform_implILb0ES3_S5_NS0_18transform_iteratorINS0_17counting_iteratorImlEEZNS1_24adjacent_difference_implIS3_Lb1ELb0EPlSB_ZN2at6native12_GLOBAL__N_124unique_dim_cuda_templateIiEESt5tupleIJNSC_6TensorESH_SH_EERKSH_lbbbEUlllE1_EE10hipError_tPvRmT2_T3_mT4_P12ihipStream_tbEUlmE_lEESB_NS0_8identityIvEEEESM_SP_SQ_mSR_ST_bEUlT_E_NS1_11comp_targetILNS1_3genE9ELNS1_11target_archE1100ELNS1_3gpuE3ELNS1_3repE0EEENS1_30default_config_static_selectorELNS0_4arch9wavefront6targetE1EEEvT1_.has_recursion, 0
	.set _ZN7rocprim17ROCPRIM_400000_NS6detail17trampoline_kernelINS0_14default_configENS1_25transform_config_selectorIlLb0EEEZNS1_14transform_implILb0ES3_S5_NS0_18transform_iteratorINS0_17counting_iteratorImlEEZNS1_24adjacent_difference_implIS3_Lb1ELb0EPlSB_ZN2at6native12_GLOBAL__N_124unique_dim_cuda_templateIiEESt5tupleIJNSC_6TensorESH_SH_EERKSH_lbbbEUlllE1_EE10hipError_tPvRmT2_T3_mT4_P12ihipStream_tbEUlmE_lEESB_NS0_8identityIvEEEESM_SP_SQ_mSR_ST_bEUlT_E_NS1_11comp_targetILNS1_3genE9ELNS1_11target_archE1100ELNS1_3gpuE3ELNS1_3repE0EEENS1_30default_config_static_selectorELNS0_4arch9wavefront6targetE1EEEvT1_.has_indirect_call, 0
	.section	.AMDGPU.csdata,"",@progbits
; Kernel info:
; codeLenInByte = 0
; TotalNumSgprs: 6
; NumVgprs: 0
; NumAgprs: 0
; TotalNumVgprs: 0
; ScratchSize: 0
; MemoryBound: 0
; FloatMode: 240
; IeeeMode: 1
; LDSByteSize: 0 bytes/workgroup (compile time only)
; SGPRBlocks: 0
; VGPRBlocks: 0
; NumSGPRsForWavesPerEU: 6
; NumVGPRsForWavesPerEU: 1
; AccumOffset: 4
; Occupancy: 8
; WaveLimiterHint : 0
; COMPUTE_PGM_RSRC2:SCRATCH_EN: 0
; COMPUTE_PGM_RSRC2:USER_SGPR: 2
; COMPUTE_PGM_RSRC2:TRAP_HANDLER: 0
; COMPUTE_PGM_RSRC2:TGID_X_EN: 1
; COMPUTE_PGM_RSRC2:TGID_Y_EN: 0
; COMPUTE_PGM_RSRC2:TGID_Z_EN: 0
; COMPUTE_PGM_RSRC2:TIDIG_COMP_CNT: 0
; COMPUTE_PGM_RSRC3_GFX90A:ACCUM_OFFSET: 0
; COMPUTE_PGM_RSRC3_GFX90A:TG_SPLIT: 0
	.section	.text._ZN7rocprim17ROCPRIM_400000_NS6detail17trampoline_kernelINS0_14default_configENS1_25transform_config_selectorIlLb0EEEZNS1_14transform_implILb0ES3_S5_NS0_18transform_iteratorINS0_17counting_iteratorImlEEZNS1_24adjacent_difference_implIS3_Lb1ELb0EPlSB_ZN2at6native12_GLOBAL__N_124unique_dim_cuda_templateIiEESt5tupleIJNSC_6TensorESH_SH_EERKSH_lbbbEUlllE1_EE10hipError_tPvRmT2_T3_mT4_P12ihipStream_tbEUlmE_lEESB_NS0_8identityIvEEEESM_SP_SQ_mSR_ST_bEUlT_E_NS1_11comp_targetILNS1_3genE8ELNS1_11target_archE1030ELNS1_3gpuE2ELNS1_3repE0EEENS1_30default_config_static_selectorELNS0_4arch9wavefront6targetE1EEEvT1_,"axG",@progbits,_ZN7rocprim17ROCPRIM_400000_NS6detail17trampoline_kernelINS0_14default_configENS1_25transform_config_selectorIlLb0EEEZNS1_14transform_implILb0ES3_S5_NS0_18transform_iteratorINS0_17counting_iteratorImlEEZNS1_24adjacent_difference_implIS3_Lb1ELb0EPlSB_ZN2at6native12_GLOBAL__N_124unique_dim_cuda_templateIiEESt5tupleIJNSC_6TensorESH_SH_EERKSH_lbbbEUlllE1_EE10hipError_tPvRmT2_T3_mT4_P12ihipStream_tbEUlmE_lEESB_NS0_8identityIvEEEESM_SP_SQ_mSR_ST_bEUlT_E_NS1_11comp_targetILNS1_3genE8ELNS1_11target_archE1030ELNS1_3gpuE2ELNS1_3repE0EEENS1_30default_config_static_selectorELNS0_4arch9wavefront6targetE1EEEvT1_,comdat
	.globl	_ZN7rocprim17ROCPRIM_400000_NS6detail17trampoline_kernelINS0_14default_configENS1_25transform_config_selectorIlLb0EEEZNS1_14transform_implILb0ES3_S5_NS0_18transform_iteratorINS0_17counting_iteratorImlEEZNS1_24adjacent_difference_implIS3_Lb1ELb0EPlSB_ZN2at6native12_GLOBAL__N_124unique_dim_cuda_templateIiEESt5tupleIJNSC_6TensorESH_SH_EERKSH_lbbbEUlllE1_EE10hipError_tPvRmT2_T3_mT4_P12ihipStream_tbEUlmE_lEESB_NS0_8identityIvEEEESM_SP_SQ_mSR_ST_bEUlT_E_NS1_11comp_targetILNS1_3genE8ELNS1_11target_archE1030ELNS1_3gpuE2ELNS1_3repE0EEENS1_30default_config_static_selectorELNS0_4arch9wavefront6targetE1EEEvT1_ ; -- Begin function _ZN7rocprim17ROCPRIM_400000_NS6detail17trampoline_kernelINS0_14default_configENS1_25transform_config_selectorIlLb0EEEZNS1_14transform_implILb0ES3_S5_NS0_18transform_iteratorINS0_17counting_iteratorImlEEZNS1_24adjacent_difference_implIS3_Lb1ELb0EPlSB_ZN2at6native12_GLOBAL__N_124unique_dim_cuda_templateIiEESt5tupleIJNSC_6TensorESH_SH_EERKSH_lbbbEUlllE1_EE10hipError_tPvRmT2_T3_mT4_P12ihipStream_tbEUlmE_lEESB_NS0_8identityIvEEEESM_SP_SQ_mSR_ST_bEUlT_E_NS1_11comp_targetILNS1_3genE8ELNS1_11target_archE1030ELNS1_3gpuE2ELNS1_3repE0EEENS1_30default_config_static_selectorELNS0_4arch9wavefront6targetE1EEEvT1_
	.p2align	8
	.type	_ZN7rocprim17ROCPRIM_400000_NS6detail17trampoline_kernelINS0_14default_configENS1_25transform_config_selectorIlLb0EEEZNS1_14transform_implILb0ES3_S5_NS0_18transform_iteratorINS0_17counting_iteratorImlEEZNS1_24adjacent_difference_implIS3_Lb1ELb0EPlSB_ZN2at6native12_GLOBAL__N_124unique_dim_cuda_templateIiEESt5tupleIJNSC_6TensorESH_SH_EERKSH_lbbbEUlllE1_EE10hipError_tPvRmT2_T3_mT4_P12ihipStream_tbEUlmE_lEESB_NS0_8identityIvEEEESM_SP_SQ_mSR_ST_bEUlT_E_NS1_11comp_targetILNS1_3genE8ELNS1_11target_archE1030ELNS1_3gpuE2ELNS1_3repE0EEENS1_30default_config_static_selectorELNS0_4arch9wavefront6targetE1EEEvT1_,@function
_ZN7rocprim17ROCPRIM_400000_NS6detail17trampoline_kernelINS0_14default_configENS1_25transform_config_selectorIlLb0EEEZNS1_14transform_implILb0ES3_S5_NS0_18transform_iteratorINS0_17counting_iteratorImlEEZNS1_24adjacent_difference_implIS3_Lb1ELb0EPlSB_ZN2at6native12_GLOBAL__N_124unique_dim_cuda_templateIiEESt5tupleIJNSC_6TensorESH_SH_EERKSH_lbbbEUlllE1_EE10hipError_tPvRmT2_T3_mT4_P12ihipStream_tbEUlmE_lEESB_NS0_8identityIvEEEESM_SP_SQ_mSR_ST_bEUlT_E_NS1_11comp_targetILNS1_3genE8ELNS1_11target_archE1030ELNS1_3gpuE2ELNS1_3repE0EEENS1_30default_config_static_selectorELNS0_4arch9wavefront6targetE1EEEvT1_: ; @_ZN7rocprim17ROCPRIM_400000_NS6detail17trampoline_kernelINS0_14default_configENS1_25transform_config_selectorIlLb0EEEZNS1_14transform_implILb0ES3_S5_NS0_18transform_iteratorINS0_17counting_iteratorImlEEZNS1_24adjacent_difference_implIS3_Lb1ELb0EPlSB_ZN2at6native12_GLOBAL__N_124unique_dim_cuda_templateIiEESt5tupleIJNSC_6TensorESH_SH_EERKSH_lbbbEUlllE1_EE10hipError_tPvRmT2_T3_mT4_P12ihipStream_tbEUlmE_lEESB_NS0_8identityIvEEEESM_SP_SQ_mSR_ST_bEUlT_E_NS1_11comp_targetILNS1_3genE8ELNS1_11target_archE1030ELNS1_3gpuE2ELNS1_3repE0EEENS1_30default_config_static_selectorELNS0_4arch9wavefront6targetE1EEEvT1_
; %bb.0:
	.section	.rodata,"a",@progbits
	.p2align	6, 0x0
	.amdhsa_kernel _ZN7rocprim17ROCPRIM_400000_NS6detail17trampoline_kernelINS0_14default_configENS1_25transform_config_selectorIlLb0EEEZNS1_14transform_implILb0ES3_S5_NS0_18transform_iteratorINS0_17counting_iteratorImlEEZNS1_24adjacent_difference_implIS3_Lb1ELb0EPlSB_ZN2at6native12_GLOBAL__N_124unique_dim_cuda_templateIiEESt5tupleIJNSC_6TensorESH_SH_EERKSH_lbbbEUlllE1_EE10hipError_tPvRmT2_T3_mT4_P12ihipStream_tbEUlmE_lEESB_NS0_8identityIvEEEESM_SP_SQ_mSR_ST_bEUlT_E_NS1_11comp_targetILNS1_3genE8ELNS1_11target_archE1030ELNS1_3gpuE2ELNS1_3repE0EEENS1_30default_config_static_selectorELNS0_4arch9wavefront6targetE1EEEvT1_
		.amdhsa_group_segment_fixed_size 0
		.amdhsa_private_segment_fixed_size 0
		.amdhsa_kernarg_size 56
		.amdhsa_user_sgpr_count 2
		.amdhsa_user_sgpr_dispatch_ptr 0
		.amdhsa_user_sgpr_queue_ptr 0
		.amdhsa_user_sgpr_kernarg_segment_ptr 1
		.amdhsa_user_sgpr_dispatch_id 0
		.amdhsa_user_sgpr_kernarg_preload_length 0
		.amdhsa_user_sgpr_kernarg_preload_offset 0
		.amdhsa_user_sgpr_private_segment_size 0
		.amdhsa_uses_dynamic_stack 0
		.amdhsa_enable_private_segment 0
		.amdhsa_system_sgpr_workgroup_id_x 1
		.amdhsa_system_sgpr_workgroup_id_y 0
		.amdhsa_system_sgpr_workgroup_id_z 0
		.amdhsa_system_sgpr_workgroup_info 0
		.amdhsa_system_vgpr_workitem_id 0
		.amdhsa_next_free_vgpr 1
		.amdhsa_next_free_sgpr 0
		.amdhsa_accum_offset 4
		.amdhsa_reserve_vcc 0
		.amdhsa_float_round_mode_32 0
		.amdhsa_float_round_mode_16_64 0
		.amdhsa_float_denorm_mode_32 3
		.amdhsa_float_denorm_mode_16_64 3
		.amdhsa_dx10_clamp 1
		.amdhsa_ieee_mode 1
		.amdhsa_fp16_overflow 0
		.amdhsa_tg_split 0
		.amdhsa_exception_fp_ieee_invalid_op 0
		.amdhsa_exception_fp_denorm_src 0
		.amdhsa_exception_fp_ieee_div_zero 0
		.amdhsa_exception_fp_ieee_overflow 0
		.amdhsa_exception_fp_ieee_underflow 0
		.amdhsa_exception_fp_ieee_inexact 0
		.amdhsa_exception_int_div_zero 0
	.end_amdhsa_kernel
	.section	.text._ZN7rocprim17ROCPRIM_400000_NS6detail17trampoline_kernelINS0_14default_configENS1_25transform_config_selectorIlLb0EEEZNS1_14transform_implILb0ES3_S5_NS0_18transform_iteratorINS0_17counting_iteratorImlEEZNS1_24adjacent_difference_implIS3_Lb1ELb0EPlSB_ZN2at6native12_GLOBAL__N_124unique_dim_cuda_templateIiEESt5tupleIJNSC_6TensorESH_SH_EERKSH_lbbbEUlllE1_EE10hipError_tPvRmT2_T3_mT4_P12ihipStream_tbEUlmE_lEESB_NS0_8identityIvEEEESM_SP_SQ_mSR_ST_bEUlT_E_NS1_11comp_targetILNS1_3genE8ELNS1_11target_archE1030ELNS1_3gpuE2ELNS1_3repE0EEENS1_30default_config_static_selectorELNS0_4arch9wavefront6targetE1EEEvT1_,"axG",@progbits,_ZN7rocprim17ROCPRIM_400000_NS6detail17trampoline_kernelINS0_14default_configENS1_25transform_config_selectorIlLb0EEEZNS1_14transform_implILb0ES3_S5_NS0_18transform_iteratorINS0_17counting_iteratorImlEEZNS1_24adjacent_difference_implIS3_Lb1ELb0EPlSB_ZN2at6native12_GLOBAL__N_124unique_dim_cuda_templateIiEESt5tupleIJNSC_6TensorESH_SH_EERKSH_lbbbEUlllE1_EE10hipError_tPvRmT2_T3_mT4_P12ihipStream_tbEUlmE_lEESB_NS0_8identityIvEEEESM_SP_SQ_mSR_ST_bEUlT_E_NS1_11comp_targetILNS1_3genE8ELNS1_11target_archE1030ELNS1_3gpuE2ELNS1_3repE0EEENS1_30default_config_static_selectorELNS0_4arch9wavefront6targetE1EEEvT1_,comdat
.Lfunc_end432:
	.size	_ZN7rocprim17ROCPRIM_400000_NS6detail17trampoline_kernelINS0_14default_configENS1_25transform_config_selectorIlLb0EEEZNS1_14transform_implILb0ES3_S5_NS0_18transform_iteratorINS0_17counting_iteratorImlEEZNS1_24adjacent_difference_implIS3_Lb1ELb0EPlSB_ZN2at6native12_GLOBAL__N_124unique_dim_cuda_templateIiEESt5tupleIJNSC_6TensorESH_SH_EERKSH_lbbbEUlllE1_EE10hipError_tPvRmT2_T3_mT4_P12ihipStream_tbEUlmE_lEESB_NS0_8identityIvEEEESM_SP_SQ_mSR_ST_bEUlT_E_NS1_11comp_targetILNS1_3genE8ELNS1_11target_archE1030ELNS1_3gpuE2ELNS1_3repE0EEENS1_30default_config_static_selectorELNS0_4arch9wavefront6targetE1EEEvT1_, .Lfunc_end432-_ZN7rocprim17ROCPRIM_400000_NS6detail17trampoline_kernelINS0_14default_configENS1_25transform_config_selectorIlLb0EEEZNS1_14transform_implILb0ES3_S5_NS0_18transform_iteratorINS0_17counting_iteratorImlEEZNS1_24adjacent_difference_implIS3_Lb1ELb0EPlSB_ZN2at6native12_GLOBAL__N_124unique_dim_cuda_templateIiEESt5tupleIJNSC_6TensorESH_SH_EERKSH_lbbbEUlllE1_EE10hipError_tPvRmT2_T3_mT4_P12ihipStream_tbEUlmE_lEESB_NS0_8identityIvEEEESM_SP_SQ_mSR_ST_bEUlT_E_NS1_11comp_targetILNS1_3genE8ELNS1_11target_archE1030ELNS1_3gpuE2ELNS1_3repE0EEENS1_30default_config_static_selectorELNS0_4arch9wavefront6targetE1EEEvT1_
                                        ; -- End function
	.set _ZN7rocprim17ROCPRIM_400000_NS6detail17trampoline_kernelINS0_14default_configENS1_25transform_config_selectorIlLb0EEEZNS1_14transform_implILb0ES3_S5_NS0_18transform_iteratorINS0_17counting_iteratorImlEEZNS1_24adjacent_difference_implIS3_Lb1ELb0EPlSB_ZN2at6native12_GLOBAL__N_124unique_dim_cuda_templateIiEESt5tupleIJNSC_6TensorESH_SH_EERKSH_lbbbEUlllE1_EE10hipError_tPvRmT2_T3_mT4_P12ihipStream_tbEUlmE_lEESB_NS0_8identityIvEEEESM_SP_SQ_mSR_ST_bEUlT_E_NS1_11comp_targetILNS1_3genE8ELNS1_11target_archE1030ELNS1_3gpuE2ELNS1_3repE0EEENS1_30default_config_static_selectorELNS0_4arch9wavefront6targetE1EEEvT1_.num_vgpr, 0
	.set _ZN7rocprim17ROCPRIM_400000_NS6detail17trampoline_kernelINS0_14default_configENS1_25transform_config_selectorIlLb0EEEZNS1_14transform_implILb0ES3_S5_NS0_18transform_iteratorINS0_17counting_iteratorImlEEZNS1_24adjacent_difference_implIS3_Lb1ELb0EPlSB_ZN2at6native12_GLOBAL__N_124unique_dim_cuda_templateIiEESt5tupleIJNSC_6TensorESH_SH_EERKSH_lbbbEUlllE1_EE10hipError_tPvRmT2_T3_mT4_P12ihipStream_tbEUlmE_lEESB_NS0_8identityIvEEEESM_SP_SQ_mSR_ST_bEUlT_E_NS1_11comp_targetILNS1_3genE8ELNS1_11target_archE1030ELNS1_3gpuE2ELNS1_3repE0EEENS1_30default_config_static_selectorELNS0_4arch9wavefront6targetE1EEEvT1_.num_agpr, 0
	.set _ZN7rocprim17ROCPRIM_400000_NS6detail17trampoline_kernelINS0_14default_configENS1_25transform_config_selectorIlLb0EEEZNS1_14transform_implILb0ES3_S5_NS0_18transform_iteratorINS0_17counting_iteratorImlEEZNS1_24adjacent_difference_implIS3_Lb1ELb0EPlSB_ZN2at6native12_GLOBAL__N_124unique_dim_cuda_templateIiEESt5tupleIJNSC_6TensorESH_SH_EERKSH_lbbbEUlllE1_EE10hipError_tPvRmT2_T3_mT4_P12ihipStream_tbEUlmE_lEESB_NS0_8identityIvEEEESM_SP_SQ_mSR_ST_bEUlT_E_NS1_11comp_targetILNS1_3genE8ELNS1_11target_archE1030ELNS1_3gpuE2ELNS1_3repE0EEENS1_30default_config_static_selectorELNS0_4arch9wavefront6targetE1EEEvT1_.numbered_sgpr, 0
	.set _ZN7rocprim17ROCPRIM_400000_NS6detail17trampoline_kernelINS0_14default_configENS1_25transform_config_selectorIlLb0EEEZNS1_14transform_implILb0ES3_S5_NS0_18transform_iteratorINS0_17counting_iteratorImlEEZNS1_24adjacent_difference_implIS3_Lb1ELb0EPlSB_ZN2at6native12_GLOBAL__N_124unique_dim_cuda_templateIiEESt5tupleIJNSC_6TensorESH_SH_EERKSH_lbbbEUlllE1_EE10hipError_tPvRmT2_T3_mT4_P12ihipStream_tbEUlmE_lEESB_NS0_8identityIvEEEESM_SP_SQ_mSR_ST_bEUlT_E_NS1_11comp_targetILNS1_3genE8ELNS1_11target_archE1030ELNS1_3gpuE2ELNS1_3repE0EEENS1_30default_config_static_selectorELNS0_4arch9wavefront6targetE1EEEvT1_.num_named_barrier, 0
	.set _ZN7rocprim17ROCPRIM_400000_NS6detail17trampoline_kernelINS0_14default_configENS1_25transform_config_selectorIlLb0EEEZNS1_14transform_implILb0ES3_S5_NS0_18transform_iteratorINS0_17counting_iteratorImlEEZNS1_24adjacent_difference_implIS3_Lb1ELb0EPlSB_ZN2at6native12_GLOBAL__N_124unique_dim_cuda_templateIiEESt5tupleIJNSC_6TensorESH_SH_EERKSH_lbbbEUlllE1_EE10hipError_tPvRmT2_T3_mT4_P12ihipStream_tbEUlmE_lEESB_NS0_8identityIvEEEESM_SP_SQ_mSR_ST_bEUlT_E_NS1_11comp_targetILNS1_3genE8ELNS1_11target_archE1030ELNS1_3gpuE2ELNS1_3repE0EEENS1_30default_config_static_selectorELNS0_4arch9wavefront6targetE1EEEvT1_.private_seg_size, 0
	.set _ZN7rocprim17ROCPRIM_400000_NS6detail17trampoline_kernelINS0_14default_configENS1_25transform_config_selectorIlLb0EEEZNS1_14transform_implILb0ES3_S5_NS0_18transform_iteratorINS0_17counting_iteratorImlEEZNS1_24adjacent_difference_implIS3_Lb1ELb0EPlSB_ZN2at6native12_GLOBAL__N_124unique_dim_cuda_templateIiEESt5tupleIJNSC_6TensorESH_SH_EERKSH_lbbbEUlllE1_EE10hipError_tPvRmT2_T3_mT4_P12ihipStream_tbEUlmE_lEESB_NS0_8identityIvEEEESM_SP_SQ_mSR_ST_bEUlT_E_NS1_11comp_targetILNS1_3genE8ELNS1_11target_archE1030ELNS1_3gpuE2ELNS1_3repE0EEENS1_30default_config_static_selectorELNS0_4arch9wavefront6targetE1EEEvT1_.uses_vcc, 0
	.set _ZN7rocprim17ROCPRIM_400000_NS6detail17trampoline_kernelINS0_14default_configENS1_25transform_config_selectorIlLb0EEEZNS1_14transform_implILb0ES3_S5_NS0_18transform_iteratorINS0_17counting_iteratorImlEEZNS1_24adjacent_difference_implIS3_Lb1ELb0EPlSB_ZN2at6native12_GLOBAL__N_124unique_dim_cuda_templateIiEESt5tupleIJNSC_6TensorESH_SH_EERKSH_lbbbEUlllE1_EE10hipError_tPvRmT2_T3_mT4_P12ihipStream_tbEUlmE_lEESB_NS0_8identityIvEEEESM_SP_SQ_mSR_ST_bEUlT_E_NS1_11comp_targetILNS1_3genE8ELNS1_11target_archE1030ELNS1_3gpuE2ELNS1_3repE0EEENS1_30default_config_static_selectorELNS0_4arch9wavefront6targetE1EEEvT1_.uses_flat_scratch, 0
	.set _ZN7rocprim17ROCPRIM_400000_NS6detail17trampoline_kernelINS0_14default_configENS1_25transform_config_selectorIlLb0EEEZNS1_14transform_implILb0ES3_S5_NS0_18transform_iteratorINS0_17counting_iteratorImlEEZNS1_24adjacent_difference_implIS3_Lb1ELb0EPlSB_ZN2at6native12_GLOBAL__N_124unique_dim_cuda_templateIiEESt5tupleIJNSC_6TensorESH_SH_EERKSH_lbbbEUlllE1_EE10hipError_tPvRmT2_T3_mT4_P12ihipStream_tbEUlmE_lEESB_NS0_8identityIvEEEESM_SP_SQ_mSR_ST_bEUlT_E_NS1_11comp_targetILNS1_3genE8ELNS1_11target_archE1030ELNS1_3gpuE2ELNS1_3repE0EEENS1_30default_config_static_selectorELNS0_4arch9wavefront6targetE1EEEvT1_.has_dyn_sized_stack, 0
	.set _ZN7rocprim17ROCPRIM_400000_NS6detail17trampoline_kernelINS0_14default_configENS1_25transform_config_selectorIlLb0EEEZNS1_14transform_implILb0ES3_S5_NS0_18transform_iteratorINS0_17counting_iteratorImlEEZNS1_24adjacent_difference_implIS3_Lb1ELb0EPlSB_ZN2at6native12_GLOBAL__N_124unique_dim_cuda_templateIiEESt5tupleIJNSC_6TensorESH_SH_EERKSH_lbbbEUlllE1_EE10hipError_tPvRmT2_T3_mT4_P12ihipStream_tbEUlmE_lEESB_NS0_8identityIvEEEESM_SP_SQ_mSR_ST_bEUlT_E_NS1_11comp_targetILNS1_3genE8ELNS1_11target_archE1030ELNS1_3gpuE2ELNS1_3repE0EEENS1_30default_config_static_selectorELNS0_4arch9wavefront6targetE1EEEvT1_.has_recursion, 0
	.set _ZN7rocprim17ROCPRIM_400000_NS6detail17trampoline_kernelINS0_14default_configENS1_25transform_config_selectorIlLb0EEEZNS1_14transform_implILb0ES3_S5_NS0_18transform_iteratorINS0_17counting_iteratorImlEEZNS1_24adjacent_difference_implIS3_Lb1ELb0EPlSB_ZN2at6native12_GLOBAL__N_124unique_dim_cuda_templateIiEESt5tupleIJNSC_6TensorESH_SH_EERKSH_lbbbEUlllE1_EE10hipError_tPvRmT2_T3_mT4_P12ihipStream_tbEUlmE_lEESB_NS0_8identityIvEEEESM_SP_SQ_mSR_ST_bEUlT_E_NS1_11comp_targetILNS1_3genE8ELNS1_11target_archE1030ELNS1_3gpuE2ELNS1_3repE0EEENS1_30default_config_static_selectorELNS0_4arch9wavefront6targetE1EEEvT1_.has_indirect_call, 0
	.section	.AMDGPU.csdata,"",@progbits
; Kernel info:
; codeLenInByte = 0
; TotalNumSgprs: 6
; NumVgprs: 0
; NumAgprs: 0
; TotalNumVgprs: 0
; ScratchSize: 0
; MemoryBound: 0
; FloatMode: 240
; IeeeMode: 1
; LDSByteSize: 0 bytes/workgroup (compile time only)
; SGPRBlocks: 0
; VGPRBlocks: 0
; NumSGPRsForWavesPerEU: 6
; NumVGPRsForWavesPerEU: 1
; AccumOffset: 4
; Occupancy: 8
; WaveLimiterHint : 0
; COMPUTE_PGM_RSRC2:SCRATCH_EN: 0
; COMPUTE_PGM_RSRC2:USER_SGPR: 2
; COMPUTE_PGM_RSRC2:TRAP_HANDLER: 0
; COMPUTE_PGM_RSRC2:TGID_X_EN: 1
; COMPUTE_PGM_RSRC2:TGID_Y_EN: 0
; COMPUTE_PGM_RSRC2:TGID_Z_EN: 0
; COMPUTE_PGM_RSRC2:TIDIG_COMP_CNT: 0
; COMPUTE_PGM_RSRC3_GFX90A:ACCUM_OFFSET: 0
; COMPUTE_PGM_RSRC3_GFX90A:TG_SPLIT: 0
	.section	.text._ZN7rocprim17ROCPRIM_400000_NS6detail17trampoline_kernelINS0_14default_configENS1_35adjacent_difference_config_selectorILb1ElEEZNS1_24adjacent_difference_implIS3_Lb1ELb0EPlS7_ZN2at6native12_GLOBAL__N_124unique_dim_cuda_templateIiEESt5tupleIJNS8_6TensorESD_SD_EERKSD_lbbbEUlllE1_EE10hipError_tPvRmT2_T3_mT4_P12ihipStream_tbEUlT_E_NS1_11comp_targetILNS1_3genE0ELNS1_11target_archE4294967295ELNS1_3gpuE0ELNS1_3repE0EEENS1_30default_config_static_selectorELNS0_4arch9wavefront6targetE1EEEvT1_,"axG",@progbits,_ZN7rocprim17ROCPRIM_400000_NS6detail17trampoline_kernelINS0_14default_configENS1_35adjacent_difference_config_selectorILb1ElEEZNS1_24adjacent_difference_implIS3_Lb1ELb0EPlS7_ZN2at6native12_GLOBAL__N_124unique_dim_cuda_templateIiEESt5tupleIJNS8_6TensorESD_SD_EERKSD_lbbbEUlllE1_EE10hipError_tPvRmT2_T3_mT4_P12ihipStream_tbEUlT_E_NS1_11comp_targetILNS1_3genE0ELNS1_11target_archE4294967295ELNS1_3gpuE0ELNS1_3repE0EEENS1_30default_config_static_selectorELNS0_4arch9wavefront6targetE1EEEvT1_,comdat
	.globl	_ZN7rocprim17ROCPRIM_400000_NS6detail17trampoline_kernelINS0_14default_configENS1_35adjacent_difference_config_selectorILb1ElEEZNS1_24adjacent_difference_implIS3_Lb1ELb0EPlS7_ZN2at6native12_GLOBAL__N_124unique_dim_cuda_templateIiEESt5tupleIJNS8_6TensorESD_SD_EERKSD_lbbbEUlllE1_EE10hipError_tPvRmT2_T3_mT4_P12ihipStream_tbEUlT_E_NS1_11comp_targetILNS1_3genE0ELNS1_11target_archE4294967295ELNS1_3gpuE0ELNS1_3repE0EEENS1_30default_config_static_selectorELNS0_4arch9wavefront6targetE1EEEvT1_ ; -- Begin function _ZN7rocprim17ROCPRIM_400000_NS6detail17trampoline_kernelINS0_14default_configENS1_35adjacent_difference_config_selectorILb1ElEEZNS1_24adjacent_difference_implIS3_Lb1ELb0EPlS7_ZN2at6native12_GLOBAL__N_124unique_dim_cuda_templateIiEESt5tupleIJNS8_6TensorESD_SD_EERKSD_lbbbEUlllE1_EE10hipError_tPvRmT2_T3_mT4_P12ihipStream_tbEUlT_E_NS1_11comp_targetILNS1_3genE0ELNS1_11target_archE4294967295ELNS1_3gpuE0ELNS1_3repE0EEENS1_30default_config_static_selectorELNS0_4arch9wavefront6targetE1EEEvT1_
	.p2align	8
	.type	_ZN7rocprim17ROCPRIM_400000_NS6detail17trampoline_kernelINS0_14default_configENS1_35adjacent_difference_config_selectorILb1ElEEZNS1_24adjacent_difference_implIS3_Lb1ELb0EPlS7_ZN2at6native12_GLOBAL__N_124unique_dim_cuda_templateIiEESt5tupleIJNS8_6TensorESD_SD_EERKSD_lbbbEUlllE1_EE10hipError_tPvRmT2_T3_mT4_P12ihipStream_tbEUlT_E_NS1_11comp_targetILNS1_3genE0ELNS1_11target_archE4294967295ELNS1_3gpuE0ELNS1_3repE0EEENS1_30default_config_static_selectorELNS0_4arch9wavefront6targetE1EEEvT1_,@function
_ZN7rocprim17ROCPRIM_400000_NS6detail17trampoline_kernelINS0_14default_configENS1_35adjacent_difference_config_selectorILb1ElEEZNS1_24adjacent_difference_implIS3_Lb1ELb0EPlS7_ZN2at6native12_GLOBAL__N_124unique_dim_cuda_templateIiEESt5tupleIJNS8_6TensorESD_SD_EERKSD_lbbbEUlllE1_EE10hipError_tPvRmT2_T3_mT4_P12ihipStream_tbEUlT_E_NS1_11comp_targetILNS1_3genE0ELNS1_11target_archE4294967295ELNS1_3gpuE0ELNS1_3repE0EEENS1_30default_config_static_selectorELNS0_4arch9wavefront6targetE1EEEvT1_: ; @_ZN7rocprim17ROCPRIM_400000_NS6detail17trampoline_kernelINS0_14default_configENS1_35adjacent_difference_config_selectorILb1ElEEZNS1_24adjacent_difference_implIS3_Lb1ELb0EPlS7_ZN2at6native12_GLOBAL__N_124unique_dim_cuda_templateIiEESt5tupleIJNS8_6TensorESD_SD_EERKSD_lbbbEUlllE1_EE10hipError_tPvRmT2_T3_mT4_P12ihipStream_tbEUlT_E_NS1_11comp_targetILNS1_3genE0ELNS1_11target_archE4294967295ELNS1_3gpuE0ELNS1_3repE0EEENS1_30default_config_static_selectorELNS0_4arch9wavefront6targetE1EEEvT1_
; %bb.0:
	s_load_dwordx16 s[4:19], s[0:1], 0x0
	s_mov_b32 s25, 0
	s_mov_b64 s[26:27], -1
	s_waitcnt lgkmcnt(0)
	s_lshl_b64 s[6:7], s[6:7], 3
	s_add_u32 s30, s4, s6
	s_addc_u32 s31, s5, s7
	s_lshl_b32 s4, s2, 10
	s_lshr_b64 s[0:1], s[10:11], 10
	s_and_b32 s24, s10, 0x3ff
	s_cmp_lg_u64 s[24:25], 0
	s_cselect_b64 s[20:21], -1, 0
	v_cndmask_b32_e64 v1, 0, 1, s[20:21]
	s_mov_b32 s24, s2
	v_readfirstlane_b32 s3, v1
	s_add_u32 s22, s0, s3
	s_addc_u32 s23, s1, 0
	s_add_u32 s2, s18, s2
	s_addc_u32 s3, s19, 0
	s_add_u32 s20, s22, -1
	s_addc_u32 s21, s23, -1
	v_mov_b64_e32 v[2:3], s[20:21]
	v_cmp_ge_u64_e64 s[0:1], s[2:3], v[2:3]
	s_and_b64 vcc, exec, s[0:1]
	s_cbranch_vccz .LBB433_6
; %bb.1:
	s_lshl_b32 s5, s20, 10
	s_sub_i32 s11, s10, s5
	s_mov_b32 s5, s25
	s_lshl_b64 s[26:27], s[4:5], 3
	s_add_u32 s26, s30, s26
	v_mov_b32_e32 v2, 0
	s_addc_u32 s27, s31, s27
	v_cmp_gt_u32_e32 vcc, s11, v0
	v_mov_b32_e32 v3, v2
	v_mov_b32_e32 v4, v2
	;; [unrolled: 1-line block ×3, first 2 shown]
	s_and_saveexec_b64 s[28:29], vcc
	s_cbranch_execz .LBB433_3
; %bb.2:
	v_lshlrev_b32_e32 v1, 3, v0
	global_load_dwordx2 v[4:5], v1, s[26:27]
	v_mov_b32_e32 v6, v2
	v_mov_b32_e32 v7, v2
	s_waitcnt vmcnt(0)
	v_mov_b64_e32 v[2:3], v[4:5]
	v_mov_b64_e32 v[4:5], v[6:7]
.LBB433_3:
	s_or_b64 exec, exec, s[28:29]
	v_or_b32_e32 v1, 0x200, v0
	v_cmp_gt_u32_e32 vcc, s11, v1
	s_and_saveexec_b64 s[28:29], vcc
	s_cbranch_execz .LBB433_5
; %bb.4:
	v_lshlrev_b32_e32 v4, 3, v1
	global_load_dwordx2 v[4:5], v4, s[26:27]
.LBB433_5:
	s_or_b64 exec, exec, s[28:29]
	v_lshrrev_b32_e32 v6, 2, v0
	v_lshrrev_b32_e32 v1, 2, v1
	v_and_b32_e32 v6, 0x78, v6
	v_lshlrev_b32_e32 v7, 3, v0
	v_and_b32_e32 v1, 0xf8, v1
	v_add_u32_e32 v6, v6, v7
	v_add_u32_e32 v1, v1, v7
	s_mov_b64 s[26:27], 0
	ds_write_b64 v6, v[2:3]
	s_waitcnt vmcnt(0)
	ds_write_b64 v1, v[4:5] offset:4096
	s_waitcnt lgkmcnt(0)
	s_barrier
.LBB433_6:
	s_and_b64 vcc, exec, s[26:27]
	s_cbranch_vccz .LBB433_8
; %bb.7:
	s_mov_b32 s5, 0
	s_lshl_b64 s[26:27], s[4:5], 3
	s_add_u32 s26, s30, s26
	s_addc_u32 s27, s31, s27
	v_lshlrev_b32_e32 v2, 3, v0
	v_mov_b32_e32 v3, 0
	v_lshl_add_u64 v[4:5], s[26:27], 0, v[2:3]
	v_add_co_u32_e32 v4, vcc, 0x1000, v4
	v_lshrrev_b32_e32 v1, 2, v0
	s_nop 0
	v_addc_co_u32_e32 v5, vcc, 0, v5, vcc
	global_load_dwordx2 v[6:7], v2, s[26:27]
	global_load_dwordx2 v[8:9], v[4:5], off
	v_or_b32_e32 v3, 0x200, v0
	v_and_b32_e32 v1, 0x78, v1
	v_lshrrev_b32_e32 v3, 2, v3
	v_add_u32_e32 v1, v1, v2
	v_and_b32_e32 v3, 0xf8, v3
	v_add_u32_e32 v2, v3, v2
	s_waitcnt vmcnt(1)
	ds_write_b64 v1, v[6:7]
	s_waitcnt vmcnt(0)
	ds_write_b64 v2, v[8:9] offset:4096
	s_waitcnt lgkmcnt(0)
	s_barrier
.LBB433_8:
	v_lshrrev_b32_e32 v1, 1, v0
	v_and_b32_e32 v2, 0xf8, v1
	v_lshl_add_u32 v2, v0, 4, v2
	ds_read2_b64 v[2:5], v2 offset1:1
	s_cmp_eq_u64 s[2:3], 0
	s_waitcnt lgkmcnt(0)
	s_barrier
	s_cbranch_scc1 .LBB433_15
; %bb.9:
	s_lshl_b64 s[18:19], s[18:19], 3
	s_add_u32 s5, s16, s18
	s_addc_u32 s11, s17, s19
	s_lshl_b64 s[16:17], s[24:25], 3
	s_add_u32 s5, s5, s16
	s_addc_u32 s11, s11, s17
	s_add_u32 s16, s5, -8
	s_addc_u32 s17, s11, -1
	s_load_dwordx2 s[16:17], s[16:17], 0x0
	s_cmp_eq_u64 s[2:3], s[20:21]
	s_cbranch_scc1 .LBB433_16
; %bb.10:
	v_cmp_lt_i64_e64 s[24:25], s[12:13], 1
	v_lshlrev_b32_e32 v12, 3, v0
	v_mov_b64_e32 v[8:9], 0
	v_cmp_gt_i64_e64 s[18:19], s[12:13], 0
	s_and_b64 vcc, exec, s[24:25]
	ds_write_b64 v12, v[4:5]
	s_cbranch_vccnz .LBB433_18
; %bb.11:
	v_mul_lo_u32 v8, v5, s12
	v_mul_lo_u32 v9, v4, s13
	v_mad_u64_u32 v[6:7], s[24:25], v4, s12, 0
	v_add3_u32 v7, v7, v9, v8
	v_mul_lo_u32 v10, v3, s12
	v_mul_lo_u32 v11, v2, s13
	v_mad_u64_u32 v[8:9], s[24:25], v2, s12, 0
	v_add3_u32 v9, v9, v11, v10
	v_lshl_add_u64 v[6:7], v[6:7], 2, s[14:15]
	v_lshl_add_u64 v[10:11], v[8:9], 2, s[14:15]
	s_mov_b64 s[24:25], 0
	s_mov_b64 s[26:27], s[12:13]
                                        ; implicit-def: $sgpr28_sgpr29
	s_branch .LBB433_13
.LBB433_12:                             ;   in Loop: Header=BB433_13 Depth=1
	s_or_b64 exec, exec, s[30:31]
	s_and_b64 s[30:31], exec, s[28:29]
	s_or_b64 s[24:25], s[30:31], s[24:25]
	s_andn2_b64 exec, exec, s[24:25]
	s_cbranch_execz .LBB433_17
.LBB433_13:                             ; =>This Inner Loop Header: Depth=1
	global_load_dword v13, v[6:7], off
	global_load_dword v14, v[10:11], off
	v_mov_b64_e32 v[8:9], 1
	s_or_b64 s[28:29], s[28:29], exec
	s_waitcnt vmcnt(0)
	v_cmp_eq_u32_e32 vcc, v13, v14
	s_and_saveexec_b64 s[30:31], vcc
	s_cbranch_execz .LBB433_12
; %bb.14:                               ;   in Loop: Header=BB433_13 Depth=1
	s_add_u32 s26, s26, -1
	s_addc_u32 s27, s27, -1
	s_cmp_eq_u64 s[26:27], 0
	s_cselect_b64 s[34:35], -1, 0
	s_andn2_b64 s[28:29], s[28:29], exec
	s_and_b64 s[34:35], s[34:35], exec
	v_lshl_add_u64 v[6:7], v[6:7], 0, 4
	v_lshl_add_u64 v[10:11], v[10:11], 0, 4
	v_mov_b64_e32 v[8:9], 0
	s_or_b64 s[28:29], s[28:29], s[34:35]
	s_branch .LBB433_12
.LBB433_15:
                                        ; implicit-def: $vgpr8_vgpr9
                                        ; implicit-def: $vgpr6_vgpr7
	s_branch .LBB433_47
.LBB433_16:
                                        ; implicit-def: $vgpr8_vgpr9
                                        ; implicit-def: $vgpr6_vgpr7
	s_cbranch_execnz .LBB433_27
	s_branch .LBB433_46
.LBB433_17:
	s_or_b64 exec, exec, s[24:25]
.LBB433_18:
	v_cmp_ne_u32_e32 vcc, 0, v0
	s_waitcnt lgkmcnt(0)
	v_mov_b64_e32 v[6:7], s[16:17]
	s_barrier
	s_and_saveexec_b64 s[24:25], vcc
; %bb.19:
	v_add_u32_e32 v6, -8, v12
	ds_read_b64 v[6:7], v6
; %bb.20:
	s_or_b64 exec, exec, s[24:25]
	s_andn2_b64 vcc, exec, s[18:19]
	s_cbranch_vccnz .LBB433_26
; %bb.21:
	v_mul_lo_u32 v12, v3, s12
	v_mul_lo_u32 v13, v2, s13
	v_mad_u64_u32 v[10:11], s[18:19], v2, s12, 0
	v_add3_u32 v11, v11, v13, v12
	s_waitcnt lgkmcnt(0)
	v_mul_lo_u32 v12, v7, s12
	v_mul_lo_u32 v13, v6, s13
	v_mad_u64_u32 v[6:7], s[18:19], v6, s12, 0
	v_add3_u32 v7, v7, v13, v12
	v_lshl_add_u64 v[10:11], v[10:11], 2, s[14:15]
	v_lshl_add_u64 v[12:13], v[6:7], 2, s[14:15]
	s_mov_b64 s[18:19], 0
	s_mov_b64 s[24:25], s[12:13]
                                        ; implicit-def: $sgpr26_sgpr27
	s_branch .LBB433_23
.LBB433_22:                             ;   in Loop: Header=BB433_23 Depth=1
	s_or_b64 exec, exec, s[28:29]
	s_and_b64 s[28:29], exec, s[26:27]
	s_or_b64 s[18:19], s[28:29], s[18:19]
	s_andn2_b64 exec, exec, s[18:19]
	s_cbranch_execz .LBB433_25
.LBB433_23:                             ; =>This Inner Loop Header: Depth=1
	global_load_dword v14, v[10:11], off
	global_load_dword v15, v[12:13], off
	v_mov_b64_e32 v[6:7], 1
	s_or_b64 s[26:27], s[26:27], exec
	s_waitcnt vmcnt(0)
	v_cmp_eq_u32_e32 vcc, v14, v15
	s_and_saveexec_b64 s[28:29], vcc
	s_cbranch_execz .LBB433_22
; %bb.24:                               ;   in Loop: Header=BB433_23 Depth=1
	s_add_u32 s24, s24, -1
	s_addc_u32 s25, s25, -1
	s_cmp_eq_u64 s[24:25], 0
	s_cselect_b64 s[30:31], -1, 0
	s_andn2_b64 s[26:27], s[26:27], exec
	s_and_b64 s[30:31], s[30:31], exec
	v_lshl_add_u64 v[10:11], v[10:11], 0, 4
	v_lshl_add_u64 v[12:13], v[12:13], 0, 4
	v_mov_b64_e32 v[6:7], 0
	s_or_b64 s[26:27], s[26:27], s[30:31]
	s_branch .LBB433_22
.LBB433_25:
	s_or_b64 exec, exec, s[18:19]
	s_branch .LBB433_46
.LBB433_26:
	s_waitcnt lgkmcnt(0)
	v_mov_b64_e32 v[6:7], 0
	s_branch .LBB433_46
.LBB433_27:
	s_lshl_b32 s2, s2, 10
	v_lshlrev_b32_e32 v14, 1, v0
	s_sub_i32 s5, s10, s2
	v_or_b32_e32 v6, 1, v14
	v_lshlrev_b32_e32 v15, 3, v0
	v_cmp_gt_u32_e32 vcc, s5, v6
	v_mov_b64_e32 v[8:9], v[4:5]
	ds_write_b64 v15, v[4:5]
	v_mov_b64_e32 v[6:7], v[2:3]
	s_and_saveexec_b64 s[2:3], vcc
	s_cbranch_execz .LBB433_35
; %bb.28:
	v_cmp_lt_i64_e64 s[18:19], s[12:13], 1
	s_and_b64 vcc, exec, s[18:19]
	s_cbranch_vccnz .LBB433_34
; %bb.29:
	v_mul_lo_u32 v8, v5, s12
	v_mul_lo_u32 v9, v4, s13
	v_mad_u64_u32 v[6:7], s[18:19], v4, s12, 0
	v_add3_u32 v7, v7, v9, v8
	v_mul_lo_u32 v10, v3, s12
	v_mul_lo_u32 v11, v2, s13
	v_mad_u64_u32 v[8:9], s[18:19], v2, s12, 0
	v_add3_u32 v9, v9, v11, v10
	v_lshl_add_u64 v[6:7], v[6:7], 2, s[14:15]
	v_lshl_add_u64 v[10:11], v[8:9], 2, s[14:15]
	s_mov_b64 s[18:19], 0
	s_mov_b64 s[24:25], s[12:13]
                                        ; implicit-def: $sgpr26_sgpr27
	s_branch .LBB433_31
.LBB433_30:                             ;   in Loop: Header=BB433_31 Depth=1
	s_or_b64 exec, exec, s[28:29]
	s_and_b64 s[28:29], exec, s[26:27]
	s_or_b64 s[18:19], s[28:29], s[18:19]
	s_andn2_b64 exec, exec, s[18:19]
	s_cbranch_execz .LBB433_33
.LBB433_31:                             ; =>This Inner Loop Header: Depth=1
	global_load_dword v12, v[6:7], off
	global_load_dword v13, v[10:11], off
	v_mov_b64_e32 v[8:9], 1
	s_or_b64 s[26:27], s[26:27], exec
	s_waitcnt vmcnt(0)
	v_cmp_eq_u32_e32 vcc, v12, v13
	s_and_saveexec_b64 s[28:29], vcc
	s_cbranch_execz .LBB433_30
; %bb.32:                               ;   in Loop: Header=BB433_31 Depth=1
	s_add_u32 s24, s24, -1
	s_addc_u32 s25, s25, -1
	s_cmp_eq_u64 s[24:25], 0
	s_cselect_b64 s[30:31], -1, 0
	s_andn2_b64 s[26:27], s[26:27], exec
	s_and_b64 s[30:31], s[30:31], exec
	v_lshl_add_u64 v[6:7], v[6:7], 0, 4
	v_lshl_add_u64 v[10:11], v[10:11], 0, 4
	v_mov_b64_e32 v[8:9], 0
	s_or_b64 s[26:27], s[26:27], s[30:31]
	s_branch .LBB433_30
.LBB433_33:
	s_or_b64 exec, exec, s[18:19]
	s_branch .LBB433_35
.LBB433_34:
	v_mov_b64_e32 v[8:9], 0
.LBB433_35:
	s_or_b64 exec, exec, s[2:3]
	v_cmp_ne_u32_e32 vcc, 0, v0
	s_waitcnt lgkmcnt(0)
	v_mov_b64_e32 v[12:13], s[16:17]
	s_barrier
	s_and_saveexec_b64 s[2:3], vcc
; %bb.36:
	v_add_u32_e32 v6, -8, v15
	ds_read_b64 v[12:13], v6
; %bb.37:
	s_or_b64 exec, exec, s[2:3]
	v_cmp_gt_u32_e32 vcc, s5, v14
	v_mov_b64_e32 v[6:7], v[2:3]
	s_and_saveexec_b64 s[2:3], vcc
	s_cbranch_execz .LBB433_45
; %bb.38:
	v_cmp_lt_i64_e64 s[16:17], s[12:13], 1
	s_and_b64 vcc, exec, s[16:17]
	s_cbranch_vccnz .LBB433_44
; %bb.39:
	v_mul_lo_u32 v10, v3, s12
	v_mul_lo_u32 v11, v2, s13
	v_mad_u64_u32 v[6:7], s[16:17], v2, s12, 0
	v_add3_u32 v7, v7, v11, v10
	v_lshl_add_u64 v[10:11], v[6:7], 2, s[14:15]
	s_waitcnt lgkmcnt(0)
	v_mul_lo_u32 v13, v13, s12
	v_mul_lo_u32 v14, v12, s13
	v_mad_u64_u32 v[6:7], s[16:17], v12, s12, 0
	v_add3_u32 v7, v7, v14, v13
	v_lshl_add_u64 v[12:13], v[6:7], 2, s[14:15]
	s_mov_b64 s[16:17], 0
	s_mov_b64 s[18:19], s[12:13]
                                        ; implicit-def: $sgpr24_sgpr25
	s_branch .LBB433_41
.LBB433_40:                             ;   in Loop: Header=BB433_41 Depth=1
	s_or_b64 exec, exec, s[26:27]
	s_and_b64 s[26:27], exec, s[24:25]
	s_or_b64 s[16:17], s[26:27], s[16:17]
	s_andn2_b64 exec, exec, s[16:17]
	s_cbranch_execz .LBB433_43
.LBB433_41:                             ; =>This Inner Loop Header: Depth=1
	global_load_dword v14, v[10:11], off
	global_load_dword v15, v[12:13], off
	v_mov_b64_e32 v[6:7], 1
	s_or_b64 s[24:25], s[24:25], exec
	s_waitcnt vmcnt(0)
	v_cmp_eq_u32_e32 vcc, v14, v15
	s_and_saveexec_b64 s[26:27], vcc
	s_cbranch_execz .LBB433_40
; %bb.42:                               ;   in Loop: Header=BB433_41 Depth=1
	s_add_u32 s18, s18, -1
	s_addc_u32 s19, s19, -1
	s_cmp_eq_u64 s[18:19], 0
	s_cselect_b64 s[28:29], -1, 0
	s_andn2_b64 s[24:25], s[24:25], exec
	s_and_b64 s[28:29], s[28:29], exec
	v_lshl_add_u64 v[10:11], v[10:11], 0, 4
	v_lshl_add_u64 v[12:13], v[12:13], 0, 4
	v_mov_b64_e32 v[6:7], 0
	s_or_b64 s[24:25], s[24:25], s[28:29]
	s_branch .LBB433_40
.LBB433_43:
	s_or_b64 exec, exec, s[16:17]
	s_branch .LBB433_45
.LBB433_44:
	v_mov_b64_e32 v[6:7], 0
.LBB433_45:
	s_or_b64 exec, exec, s[2:3]
.LBB433_46:
	s_cbranch_execnz .LBB433_81
.LBB433_47:
	s_cmp_eq_u64 s[22:23], 1
	s_cbranch_scc1 .LBB433_53
; %bb.48:
	s_waitcnt lgkmcnt(0)
	v_cmp_lt_i64_e64 s[16:17], s[12:13], 1
	v_lshlrev_b32_e32 v12, 3, v0
	v_mov_b64_e32 v[8:9], 0
	v_cmp_gt_i64_e64 s[2:3], s[12:13], 0
	s_and_b64 vcc, exec, s[16:17]
	ds_write_b64 v12, v[4:5]
	s_cbranch_vccnz .LBB433_55
; %bb.49:
	v_mul_lo_u32 v8, v5, s12
	v_mul_lo_u32 v9, v4, s13
	v_mad_u64_u32 v[6:7], s[16:17], v4, s12, 0
	v_add3_u32 v7, v7, v9, v8
	v_mul_lo_u32 v10, v3, s12
	v_mul_lo_u32 v11, v2, s13
	v_mad_u64_u32 v[8:9], s[16:17], v2, s12, 0
	v_add3_u32 v9, v9, v11, v10
	v_lshl_add_u64 v[6:7], v[6:7], 2, s[14:15]
	v_lshl_add_u64 v[10:11], v[8:9], 2, s[14:15]
	s_mov_b64 s[16:17], 0
	s_mov_b64 s[18:19], s[12:13]
                                        ; implicit-def: $sgpr22_sgpr23
	s_branch .LBB433_51
.LBB433_50:                             ;   in Loop: Header=BB433_51 Depth=1
	s_or_b64 exec, exec, s[24:25]
	s_and_b64 s[24:25], exec, s[22:23]
	s_or_b64 s[16:17], s[24:25], s[16:17]
	s_andn2_b64 exec, exec, s[16:17]
	s_cbranch_execz .LBB433_54
.LBB433_51:                             ; =>This Inner Loop Header: Depth=1
	global_load_dword v13, v[6:7], off
	global_load_dword v14, v[10:11], off
	v_mov_b64_e32 v[8:9], 1
	s_or_b64 s[22:23], s[22:23], exec
	s_waitcnt vmcnt(0)
	v_cmp_eq_u32_e32 vcc, v13, v14
	s_and_saveexec_b64 s[24:25], vcc
	s_cbranch_execz .LBB433_50
; %bb.52:                               ;   in Loop: Header=BB433_51 Depth=1
	s_add_u32 s18, s18, -1
	s_addc_u32 s19, s19, -1
	s_cmp_eq_u64 s[18:19], 0
	s_cselect_b64 s[26:27], -1, 0
	s_andn2_b64 s[22:23], s[22:23], exec
	s_and_b64 s[26:27], s[26:27], exec
	v_lshl_add_u64 v[6:7], v[6:7], 0, 4
	v_lshl_add_u64 v[10:11], v[10:11], 0, 4
	v_mov_b64_e32 v[8:9], 0
	s_or_b64 s[22:23], s[22:23], s[26:27]
	s_branch .LBB433_50
.LBB433_53:
                                        ; implicit-def: $vgpr8_vgpr9
                                        ; implicit-def: $vgpr6_vgpr7
	s_cbranch_execnz .LBB433_64
	s_branch .LBB433_81
.LBB433_54:
	s_or_b64 exec, exec, s[16:17]
.LBB433_55:
	v_cmp_ne_u32_e32 vcc, 0, v0
	v_mov_b64_e32 v[6:7], v[2:3]
	s_waitcnt lgkmcnt(0)
	s_barrier
	s_and_saveexec_b64 s[16:17], vcc
	s_cbranch_execz .LBB433_63
; %bb.56:
	s_andn2_b64 vcc, exec, s[2:3]
	s_cbranch_vccnz .LBB433_62
; %bb.57:
	v_add_u32_e32 v6, -8, v12
	ds_read_b64 v[6:7], v6
	v_mul_lo_u32 v12, v3, s12
	v_mul_lo_u32 v13, v2, s13
	v_mad_u64_u32 v[10:11], s[2:3], v2, s12, 0
	v_add3_u32 v11, v11, v13, v12
	s_waitcnt lgkmcnt(0)
	v_mul_lo_u32 v12, s13, v6
	v_mul_lo_u32 v13, s12, v7
	v_mad_u64_u32 v[6:7], s[2:3], s12, v6, 0
	v_add3_u32 v7, v7, v13, v12
	v_lshl_add_u64 v[10:11], v[10:11], 2, s[14:15]
	v_lshl_add_u64 v[12:13], v[6:7], 2, s[14:15]
	s_mov_b64 s[2:3], 0
	s_mov_b64 s[18:19], s[12:13]
                                        ; implicit-def: $sgpr22_sgpr23
	s_branch .LBB433_59
.LBB433_58:                             ;   in Loop: Header=BB433_59 Depth=1
	s_or_b64 exec, exec, s[24:25]
	s_and_b64 s[24:25], exec, s[22:23]
	s_or_b64 s[2:3], s[24:25], s[2:3]
	s_andn2_b64 exec, exec, s[2:3]
	s_cbranch_execz .LBB433_61
.LBB433_59:                             ; =>This Inner Loop Header: Depth=1
	global_load_dword v14, v[10:11], off
	global_load_dword v15, v[12:13], off
	v_mov_b64_e32 v[6:7], 1
	s_or_b64 s[22:23], s[22:23], exec
	s_waitcnt vmcnt(0)
	v_cmp_eq_u32_e32 vcc, v14, v15
	s_and_saveexec_b64 s[24:25], vcc
	s_cbranch_execz .LBB433_58
; %bb.60:                               ;   in Loop: Header=BB433_59 Depth=1
	s_add_u32 s18, s18, -1
	s_addc_u32 s19, s19, -1
	s_cmp_eq_u64 s[18:19], 0
	s_cselect_b64 s[26:27], -1, 0
	s_andn2_b64 s[22:23], s[22:23], exec
	s_and_b64 s[26:27], s[26:27], exec
	v_lshl_add_u64 v[10:11], v[10:11], 0, 4
	v_lshl_add_u64 v[12:13], v[12:13], 0, 4
	v_mov_b64_e32 v[6:7], 0
	s_or_b64 s[22:23], s[22:23], s[26:27]
	s_branch .LBB433_58
.LBB433_61:
	s_or_b64 exec, exec, s[2:3]
	s_branch .LBB433_63
.LBB433_62:
	v_mov_b64_e32 v[6:7], 0
.LBB433_63:
	s_or_b64 exec, exec, s[16:17]
	s_branch .LBB433_81
.LBB433_64:
	v_lshlrev_b32_e32 v11, 1, v0
	v_or_b32_e32 v6, 1, v11
	v_lshlrev_b32_e32 v10, 3, v0
	v_cmp_gt_u32_e32 vcc, s10, v6
	v_mov_b64_e32 v[8:9], v[4:5]
	ds_write_b64 v10, v[4:5]
	v_mov_b64_e32 v[6:7], v[2:3]
	s_and_saveexec_b64 s[2:3], vcc
	s_cbranch_execz .LBB433_72
; %bb.65:
	s_waitcnt lgkmcnt(0)
	v_cmp_lt_i64_e64 s[16:17], s[12:13], 1
	s_and_b64 vcc, exec, s[16:17]
	s_cbranch_vccnz .LBB433_71
; %bb.66:
	v_mul_lo_u32 v6, v5, s12
	v_mul_lo_u32 v7, v4, s13
	v_mad_u64_u32 v[4:5], s[16:17], v4, s12, 0
	v_add3_u32 v5, v5, v7, v6
	v_mul_lo_u32 v8, v3, s12
	v_mul_lo_u32 v9, v2, s13
	v_mad_u64_u32 v[6:7], s[16:17], v2, s12, 0
	v_add3_u32 v7, v7, v9, v8
	v_lshl_add_u64 v[4:5], v[4:5], 2, s[14:15]
	v_lshl_add_u64 v[6:7], v[6:7], 2, s[14:15]
	s_mov_b64 s[16:17], 0
	s_mov_b64 s[18:19], s[12:13]
                                        ; implicit-def: $sgpr22_sgpr23
	s_branch .LBB433_68
.LBB433_67:                             ;   in Loop: Header=BB433_68 Depth=1
	s_or_b64 exec, exec, s[24:25]
	s_and_b64 s[24:25], exec, s[22:23]
	s_or_b64 s[16:17], s[24:25], s[16:17]
	s_andn2_b64 exec, exec, s[16:17]
	s_cbranch_execz .LBB433_70
.LBB433_68:                             ; =>This Inner Loop Header: Depth=1
	global_load_dword v12, v[4:5], off
	global_load_dword v13, v[6:7], off
	v_mov_b64_e32 v[8:9], 1
	s_or_b64 s[22:23], s[22:23], exec
	s_waitcnt vmcnt(0)
	v_cmp_eq_u32_e32 vcc, v12, v13
	s_and_saveexec_b64 s[24:25], vcc
	s_cbranch_execz .LBB433_67
; %bb.69:                               ;   in Loop: Header=BB433_68 Depth=1
	s_add_u32 s18, s18, -1
	s_addc_u32 s19, s19, -1
	s_cmp_eq_u64 s[18:19], 0
	s_cselect_b64 s[26:27], -1, 0
	s_andn2_b64 s[22:23], s[22:23], exec
	s_and_b64 s[26:27], s[26:27], exec
	v_lshl_add_u64 v[4:5], v[4:5], 0, 4
	v_lshl_add_u64 v[6:7], v[6:7], 0, 4
	v_mov_b64_e32 v[8:9], 0
	s_or_b64 s[22:23], s[22:23], s[26:27]
	s_branch .LBB433_67
.LBB433_70:
	s_or_b64 exec, exec, s[16:17]
	s_branch .LBB433_72
.LBB433_71:
	v_mov_b64_e32 v[8:9], 0
.LBB433_72:
	s_or_b64 exec, exec, s[2:3]
	v_cmp_ne_u32_e32 vcc, 0, v0
	v_cmp_gt_u32_e64 s[2:3], s10, v11
	s_waitcnt lgkmcnt(0)
	s_and_b64 s[16:17], vcc, s[2:3]
	s_barrier
	s_and_saveexec_b64 s[2:3], s[16:17]
	s_cbranch_execz .LBB433_80
; %bb.73:
	v_cmp_lt_i64_e64 s[16:17], s[12:13], 1
	s_and_b64 vcc, exec, s[16:17]
	s_cbranch_vccnz .LBB433_79
; %bb.74:
	v_add_u32_e32 v4, -8, v10
	ds_read_b64 v[6:7], v4
	v_mul_lo_u32 v4, v3, s12
	v_mul_lo_u32 v5, v2, s13
	v_mad_u64_u32 v[2:3], s[16:17], v2, s12, 0
	v_add3_u32 v3, v3, v5, v4
	v_lshl_add_u64 v[4:5], v[2:3], 2, s[14:15]
	s_waitcnt lgkmcnt(0)
	v_mul_lo_u32 v10, s13, v6
	v_mul_lo_u32 v7, s12, v7
	v_mad_u64_u32 v[2:3], s[16:17], s12, v6, 0
	v_add3_u32 v3, v3, v7, v10
	v_lshl_add_u64 v[6:7], v[2:3], 2, s[14:15]
	s_mov_b64 s[14:15], 0
                                        ; implicit-def: $sgpr16_sgpr17
	s_branch .LBB433_76
.LBB433_75:                             ;   in Loop: Header=BB433_76 Depth=1
	s_or_b64 exec, exec, s[18:19]
	s_and_b64 s[18:19], exec, s[16:17]
	s_or_b64 s[14:15], s[18:19], s[14:15]
	s_andn2_b64 exec, exec, s[14:15]
	s_cbranch_execz .LBB433_78
.LBB433_76:                             ; =>This Inner Loop Header: Depth=1
	global_load_dword v10, v[4:5], off
	global_load_dword v11, v[6:7], off
	v_mov_b64_e32 v[2:3], 1
	s_or_b64 s[16:17], s[16:17], exec
	s_waitcnt vmcnt(0)
	v_cmp_eq_u32_e32 vcc, v10, v11
	s_and_saveexec_b64 s[18:19], vcc
	s_cbranch_execz .LBB433_75
; %bb.77:                               ;   in Loop: Header=BB433_76 Depth=1
	s_add_u32 s12, s12, -1
	s_addc_u32 s13, s13, -1
	s_cmp_eq_u64 s[12:13], 0
	s_cselect_b64 s[22:23], -1, 0
	s_andn2_b64 s[16:17], s[16:17], exec
	s_and_b64 s[22:23], s[22:23], exec
	v_lshl_add_u64 v[4:5], v[4:5], 0, 4
	v_lshl_add_u64 v[6:7], v[6:7], 0, 4
	v_mov_b64_e32 v[2:3], 0
	s_or_b64 s[16:17], s[16:17], s[22:23]
	s_branch .LBB433_75
.LBB433_78:
	s_or_b64 exec, exec, s[14:15]
	s_branch .LBB433_80
.LBB433_79:
	v_mov_b64_e32 v[2:3], 0
.LBB433_80:
	s_or_b64 exec, exec, s[2:3]
	v_mov_b64_e32 v[6:7], v[2:3]
.LBB433_81:
	s_add_u32 s6, s8, s6
	s_addc_u32 s7, s9, s7
	s_and_b64 vcc, exec, s[0:1]
	s_waitcnt lgkmcnt(0)
	s_barrier
	s_cbranch_vccz .LBB433_85
; %bb.82:
	v_and_b32_e32 v2, 0xf8, v1
	v_lshl_add_u32 v2, v0, 4, v2
	v_or_b32_e32 v10, 0x200, v0
	ds_write2_b64 v2, v[6:7], v[8:9] offset1:1
	v_lshrrev_b32_e32 v2, 2, v10
	v_and_b32_e32 v2, 0xf8, v2
	v_lshlrev_b32_e32 v4, 3, v0
	v_add_u32_e32 v2, v2, v4
	s_lshl_b32 s0, s20, 10
	s_mov_b32 s5, 0
	s_waitcnt lgkmcnt(0)
	s_barrier
	ds_read_b64 v[2:3], v2 offset:4096
	s_sub_i32 s2, s10, s0
	s_lshl_b64 s[0:1], s[4:5], 3
	s_add_u32 s0, s6, s0
	s_addc_u32 s1, s7, s1
	v_mov_b32_e32 v5, 0
	v_lshl_add_u64 v[4:5], s[0:1], 0, v[4:5]
	v_cmp_gt_u32_e32 vcc, s2, v0
	s_and_saveexec_b64 s[0:1], vcc
	s_cbranch_execz .LBB433_84
; %bb.83:
	v_lshrrev_b32_e32 v11, 2, v0
	v_and_b32_e32 v11, 0x78, v11
	v_lshl_add_u32 v11, v0, 3, v11
	ds_read_b64 v[12:13], v11
	s_waitcnt lgkmcnt(0)
	global_store_dwordx2 v[4:5], v[12:13], off
.LBB433_84:
	s_or_b64 exec, exec, s[0:1]
	v_cmp_gt_u32_e64 s[0:1], s2, v10
	s_branch .LBB433_87
.LBB433_85:
	s_mov_b64 s[0:1], 0
                                        ; implicit-def: $vgpr2_vgpr3
                                        ; implicit-def: $vgpr4_vgpr5
	s_cbranch_execz .LBB433_87
; %bb.86:
	v_and_b32_e32 v1, 0xf8, v1
	v_lshl_add_u32 v1, v0, 4, v1
	ds_write2_b64 v1, v[6:7], v[8:9] offset1:1
	v_lshrrev_b32_e32 v1, 2, v0
	v_lshlrev_b32_e32 v6, 3, v0
	v_or_b32_e32 v0, 0x200, v0
	v_lshrrev_b32_e32 v0, 2, v0
	v_and_b32_e32 v1, 0x78, v1
	v_and_b32_e32 v0, 0xf8, v0
	v_add_u32_e32 v1, v1, v6
	v_add_u32_e32 v0, v0, v6
	s_mov_b32 s5, 0
	s_waitcnt lgkmcnt(0)
	s_barrier
	ds_read_b64 v[8:9], v1
	ds_read_b64 v[2:3], v0 offset:4096
	s_lshl_b64 s[2:3], s[4:5], 3
	s_add_u32 s2, s6, s2
	s_addc_u32 s3, s7, s3
	v_mov_b32_e32 v7, 0
	v_lshl_add_u64 v[4:5], s[2:3], 0, v[6:7]
	s_or_b64 s[0:1], s[0:1], exec
	s_waitcnt lgkmcnt(1)
	global_store_dwordx2 v6, v[8:9], s[2:3]
.LBB433_87:
	s_and_saveexec_b64 s[2:3], s[0:1]
	s_cbranch_execnz .LBB433_89
; %bb.88:
	s_endpgm
.LBB433_89:
	v_add_co_u32_e32 v0, vcc, 0x1000, v4
	s_nop 1
	v_addc_co_u32_e32 v1, vcc, 0, v5, vcc
	s_waitcnt lgkmcnt(0)
	global_store_dwordx2 v[0:1], v[2:3], off
	s_endpgm
	.section	.rodata,"a",@progbits
	.p2align	6, 0x0
	.amdhsa_kernel _ZN7rocprim17ROCPRIM_400000_NS6detail17trampoline_kernelINS0_14default_configENS1_35adjacent_difference_config_selectorILb1ElEEZNS1_24adjacent_difference_implIS3_Lb1ELb0EPlS7_ZN2at6native12_GLOBAL__N_124unique_dim_cuda_templateIiEESt5tupleIJNS8_6TensorESD_SD_EERKSD_lbbbEUlllE1_EE10hipError_tPvRmT2_T3_mT4_P12ihipStream_tbEUlT_E_NS1_11comp_targetILNS1_3genE0ELNS1_11target_archE4294967295ELNS1_3gpuE0ELNS1_3repE0EEENS1_30default_config_static_selectorELNS0_4arch9wavefront6targetE1EEEvT1_
		.amdhsa_group_segment_fixed_size 8448
		.amdhsa_private_segment_fixed_size 0
		.amdhsa_kernarg_size 64
		.amdhsa_user_sgpr_count 2
		.amdhsa_user_sgpr_dispatch_ptr 0
		.amdhsa_user_sgpr_queue_ptr 0
		.amdhsa_user_sgpr_kernarg_segment_ptr 1
		.amdhsa_user_sgpr_dispatch_id 0
		.amdhsa_user_sgpr_kernarg_preload_length 0
		.amdhsa_user_sgpr_kernarg_preload_offset 0
		.amdhsa_user_sgpr_private_segment_size 0
		.amdhsa_uses_dynamic_stack 0
		.amdhsa_enable_private_segment 0
		.amdhsa_system_sgpr_workgroup_id_x 1
		.amdhsa_system_sgpr_workgroup_id_y 0
		.amdhsa_system_sgpr_workgroup_id_z 0
		.amdhsa_system_sgpr_workgroup_info 0
		.amdhsa_system_vgpr_workitem_id 0
		.amdhsa_next_free_vgpr 16
		.amdhsa_next_free_sgpr 36
		.amdhsa_accum_offset 16
		.amdhsa_reserve_vcc 1
		.amdhsa_float_round_mode_32 0
		.amdhsa_float_round_mode_16_64 0
		.amdhsa_float_denorm_mode_32 3
		.amdhsa_float_denorm_mode_16_64 3
		.amdhsa_dx10_clamp 1
		.amdhsa_ieee_mode 1
		.amdhsa_fp16_overflow 0
		.amdhsa_tg_split 0
		.amdhsa_exception_fp_ieee_invalid_op 0
		.amdhsa_exception_fp_denorm_src 0
		.amdhsa_exception_fp_ieee_div_zero 0
		.amdhsa_exception_fp_ieee_overflow 0
		.amdhsa_exception_fp_ieee_underflow 0
		.amdhsa_exception_fp_ieee_inexact 0
		.amdhsa_exception_int_div_zero 0
	.end_amdhsa_kernel
	.section	.text._ZN7rocprim17ROCPRIM_400000_NS6detail17trampoline_kernelINS0_14default_configENS1_35adjacent_difference_config_selectorILb1ElEEZNS1_24adjacent_difference_implIS3_Lb1ELb0EPlS7_ZN2at6native12_GLOBAL__N_124unique_dim_cuda_templateIiEESt5tupleIJNS8_6TensorESD_SD_EERKSD_lbbbEUlllE1_EE10hipError_tPvRmT2_T3_mT4_P12ihipStream_tbEUlT_E_NS1_11comp_targetILNS1_3genE0ELNS1_11target_archE4294967295ELNS1_3gpuE0ELNS1_3repE0EEENS1_30default_config_static_selectorELNS0_4arch9wavefront6targetE1EEEvT1_,"axG",@progbits,_ZN7rocprim17ROCPRIM_400000_NS6detail17trampoline_kernelINS0_14default_configENS1_35adjacent_difference_config_selectorILb1ElEEZNS1_24adjacent_difference_implIS3_Lb1ELb0EPlS7_ZN2at6native12_GLOBAL__N_124unique_dim_cuda_templateIiEESt5tupleIJNS8_6TensorESD_SD_EERKSD_lbbbEUlllE1_EE10hipError_tPvRmT2_T3_mT4_P12ihipStream_tbEUlT_E_NS1_11comp_targetILNS1_3genE0ELNS1_11target_archE4294967295ELNS1_3gpuE0ELNS1_3repE0EEENS1_30default_config_static_selectorELNS0_4arch9wavefront6targetE1EEEvT1_,comdat
.Lfunc_end433:
	.size	_ZN7rocprim17ROCPRIM_400000_NS6detail17trampoline_kernelINS0_14default_configENS1_35adjacent_difference_config_selectorILb1ElEEZNS1_24adjacent_difference_implIS3_Lb1ELb0EPlS7_ZN2at6native12_GLOBAL__N_124unique_dim_cuda_templateIiEESt5tupleIJNS8_6TensorESD_SD_EERKSD_lbbbEUlllE1_EE10hipError_tPvRmT2_T3_mT4_P12ihipStream_tbEUlT_E_NS1_11comp_targetILNS1_3genE0ELNS1_11target_archE4294967295ELNS1_3gpuE0ELNS1_3repE0EEENS1_30default_config_static_selectorELNS0_4arch9wavefront6targetE1EEEvT1_, .Lfunc_end433-_ZN7rocprim17ROCPRIM_400000_NS6detail17trampoline_kernelINS0_14default_configENS1_35adjacent_difference_config_selectorILb1ElEEZNS1_24adjacent_difference_implIS3_Lb1ELb0EPlS7_ZN2at6native12_GLOBAL__N_124unique_dim_cuda_templateIiEESt5tupleIJNS8_6TensorESD_SD_EERKSD_lbbbEUlllE1_EE10hipError_tPvRmT2_T3_mT4_P12ihipStream_tbEUlT_E_NS1_11comp_targetILNS1_3genE0ELNS1_11target_archE4294967295ELNS1_3gpuE0ELNS1_3repE0EEENS1_30default_config_static_selectorELNS0_4arch9wavefront6targetE1EEEvT1_
                                        ; -- End function
	.set _ZN7rocprim17ROCPRIM_400000_NS6detail17trampoline_kernelINS0_14default_configENS1_35adjacent_difference_config_selectorILb1ElEEZNS1_24adjacent_difference_implIS3_Lb1ELb0EPlS7_ZN2at6native12_GLOBAL__N_124unique_dim_cuda_templateIiEESt5tupleIJNS8_6TensorESD_SD_EERKSD_lbbbEUlllE1_EE10hipError_tPvRmT2_T3_mT4_P12ihipStream_tbEUlT_E_NS1_11comp_targetILNS1_3genE0ELNS1_11target_archE4294967295ELNS1_3gpuE0ELNS1_3repE0EEENS1_30default_config_static_selectorELNS0_4arch9wavefront6targetE1EEEvT1_.num_vgpr, 16
	.set _ZN7rocprim17ROCPRIM_400000_NS6detail17trampoline_kernelINS0_14default_configENS1_35adjacent_difference_config_selectorILb1ElEEZNS1_24adjacent_difference_implIS3_Lb1ELb0EPlS7_ZN2at6native12_GLOBAL__N_124unique_dim_cuda_templateIiEESt5tupleIJNS8_6TensorESD_SD_EERKSD_lbbbEUlllE1_EE10hipError_tPvRmT2_T3_mT4_P12ihipStream_tbEUlT_E_NS1_11comp_targetILNS1_3genE0ELNS1_11target_archE4294967295ELNS1_3gpuE0ELNS1_3repE0EEENS1_30default_config_static_selectorELNS0_4arch9wavefront6targetE1EEEvT1_.num_agpr, 0
	.set _ZN7rocprim17ROCPRIM_400000_NS6detail17trampoline_kernelINS0_14default_configENS1_35adjacent_difference_config_selectorILb1ElEEZNS1_24adjacent_difference_implIS3_Lb1ELb0EPlS7_ZN2at6native12_GLOBAL__N_124unique_dim_cuda_templateIiEESt5tupleIJNS8_6TensorESD_SD_EERKSD_lbbbEUlllE1_EE10hipError_tPvRmT2_T3_mT4_P12ihipStream_tbEUlT_E_NS1_11comp_targetILNS1_3genE0ELNS1_11target_archE4294967295ELNS1_3gpuE0ELNS1_3repE0EEENS1_30default_config_static_selectorELNS0_4arch9wavefront6targetE1EEEvT1_.numbered_sgpr, 36
	.set _ZN7rocprim17ROCPRIM_400000_NS6detail17trampoline_kernelINS0_14default_configENS1_35adjacent_difference_config_selectorILb1ElEEZNS1_24adjacent_difference_implIS3_Lb1ELb0EPlS7_ZN2at6native12_GLOBAL__N_124unique_dim_cuda_templateIiEESt5tupleIJNS8_6TensorESD_SD_EERKSD_lbbbEUlllE1_EE10hipError_tPvRmT2_T3_mT4_P12ihipStream_tbEUlT_E_NS1_11comp_targetILNS1_3genE0ELNS1_11target_archE4294967295ELNS1_3gpuE0ELNS1_3repE0EEENS1_30default_config_static_selectorELNS0_4arch9wavefront6targetE1EEEvT1_.num_named_barrier, 0
	.set _ZN7rocprim17ROCPRIM_400000_NS6detail17trampoline_kernelINS0_14default_configENS1_35adjacent_difference_config_selectorILb1ElEEZNS1_24adjacent_difference_implIS3_Lb1ELb0EPlS7_ZN2at6native12_GLOBAL__N_124unique_dim_cuda_templateIiEESt5tupleIJNS8_6TensorESD_SD_EERKSD_lbbbEUlllE1_EE10hipError_tPvRmT2_T3_mT4_P12ihipStream_tbEUlT_E_NS1_11comp_targetILNS1_3genE0ELNS1_11target_archE4294967295ELNS1_3gpuE0ELNS1_3repE0EEENS1_30default_config_static_selectorELNS0_4arch9wavefront6targetE1EEEvT1_.private_seg_size, 0
	.set _ZN7rocprim17ROCPRIM_400000_NS6detail17trampoline_kernelINS0_14default_configENS1_35adjacent_difference_config_selectorILb1ElEEZNS1_24adjacent_difference_implIS3_Lb1ELb0EPlS7_ZN2at6native12_GLOBAL__N_124unique_dim_cuda_templateIiEESt5tupleIJNS8_6TensorESD_SD_EERKSD_lbbbEUlllE1_EE10hipError_tPvRmT2_T3_mT4_P12ihipStream_tbEUlT_E_NS1_11comp_targetILNS1_3genE0ELNS1_11target_archE4294967295ELNS1_3gpuE0ELNS1_3repE0EEENS1_30default_config_static_selectorELNS0_4arch9wavefront6targetE1EEEvT1_.uses_vcc, 1
	.set _ZN7rocprim17ROCPRIM_400000_NS6detail17trampoline_kernelINS0_14default_configENS1_35adjacent_difference_config_selectorILb1ElEEZNS1_24adjacent_difference_implIS3_Lb1ELb0EPlS7_ZN2at6native12_GLOBAL__N_124unique_dim_cuda_templateIiEESt5tupleIJNS8_6TensorESD_SD_EERKSD_lbbbEUlllE1_EE10hipError_tPvRmT2_T3_mT4_P12ihipStream_tbEUlT_E_NS1_11comp_targetILNS1_3genE0ELNS1_11target_archE4294967295ELNS1_3gpuE0ELNS1_3repE0EEENS1_30default_config_static_selectorELNS0_4arch9wavefront6targetE1EEEvT1_.uses_flat_scratch, 0
	.set _ZN7rocprim17ROCPRIM_400000_NS6detail17trampoline_kernelINS0_14default_configENS1_35adjacent_difference_config_selectorILb1ElEEZNS1_24adjacent_difference_implIS3_Lb1ELb0EPlS7_ZN2at6native12_GLOBAL__N_124unique_dim_cuda_templateIiEESt5tupleIJNS8_6TensorESD_SD_EERKSD_lbbbEUlllE1_EE10hipError_tPvRmT2_T3_mT4_P12ihipStream_tbEUlT_E_NS1_11comp_targetILNS1_3genE0ELNS1_11target_archE4294967295ELNS1_3gpuE0ELNS1_3repE0EEENS1_30default_config_static_selectorELNS0_4arch9wavefront6targetE1EEEvT1_.has_dyn_sized_stack, 0
	.set _ZN7rocprim17ROCPRIM_400000_NS6detail17trampoline_kernelINS0_14default_configENS1_35adjacent_difference_config_selectorILb1ElEEZNS1_24adjacent_difference_implIS3_Lb1ELb0EPlS7_ZN2at6native12_GLOBAL__N_124unique_dim_cuda_templateIiEESt5tupleIJNS8_6TensorESD_SD_EERKSD_lbbbEUlllE1_EE10hipError_tPvRmT2_T3_mT4_P12ihipStream_tbEUlT_E_NS1_11comp_targetILNS1_3genE0ELNS1_11target_archE4294967295ELNS1_3gpuE0ELNS1_3repE0EEENS1_30default_config_static_selectorELNS0_4arch9wavefront6targetE1EEEvT1_.has_recursion, 0
	.set _ZN7rocprim17ROCPRIM_400000_NS6detail17trampoline_kernelINS0_14default_configENS1_35adjacent_difference_config_selectorILb1ElEEZNS1_24adjacent_difference_implIS3_Lb1ELb0EPlS7_ZN2at6native12_GLOBAL__N_124unique_dim_cuda_templateIiEESt5tupleIJNS8_6TensorESD_SD_EERKSD_lbbbEUlllE1_EE10hipError_tPvRmT2_T3_mT4_P12ihipStream_tbEUlT_E_NS1_11comp_targetILNS1_3genE0ELNS1_11target_archE4294967295ELNS1_3gpuE0ELNS1_3repE0EEENS1_30default_config_static_selectorELNS0_4arch9wavefront6targetE1EEEvT1_.has_indirect_call, 0
	.section	.AMDGPU.csdata,"",@progbits
; Kernel info:
; codeLenInByte = 3144
; TotalNumSgprs: 42
; NumVgprs: 16
; NumAgprs: 0
; TotalNumVgprs: 16
; ScratchSize: 0
; MemoryBound: 0
; FloatMode: 240
; IeeeMode: 1
; LDSByteSize: 8448 bytes/workgroup (compile time only)
; SGPRBlocks: 5
; VGPRBlocks: 1
; NumSGPRsForWavesPerEU: 42
; NumVGPRsForWavesPerEU: 16
; AccumOffset: 16
; Occupancy: 8
; WaveLimiterHint : 1
; COMPUTE_PGM_RSRC2:SCRATCH_EN: 0
; COMPUTE_PGM_RSRC2:USER_SGPR: 2
; COMPUTE_PGM_RSRC2:TRAP_HANDLER: 0
; COMPUTE_PGM_RSRC2:TGID_X_EN: 1
; COMPUTE_PGM_RSRC2:TGID_Y_EN: 0
; COMPUTE_PGM_RSRC2:TGID_Z_EN: 0
; COMPUTE_PGM_RSRC2:TIDIG_COMP_CNT: 0
; COMPUTE_PGM_RSRC3_GFX90A:ACCUM_OFFSET: 3
; COMPUTE_PGM_RSRC3_GFX90A:TG_SPLIT: 0
	.section	.text._ZN7rocprim17ROCPRIM_400000_NS6detail17trampoline_kernelINS0_14default_configENS1_35adjacent_difference_config_selectorILb1ElEEZNS1_24adjacent_difference_implIS3_Lb1ELb0EPlS7_ZN2at6native12_GLOBAL__N_124unique_dim_cuda_templateIiEESt5tupleIJNS8_6TensorESD_SD_EERKSD_lbbbEUlllE1_EE10hipError_tPvRmT2_T3_mT4_P12ihipStream_tbEUlT_E_NS1_11comp_targetILNS1_3genE10ELNS1_11target_archE1201ELNS1_3gpuE5ELNS1_3repE0EEENS1_30default_config_static_selectorELNS0_4arch9wavefront6targetE1EEEvT1_,"axG",@progbits,_ZN7rocprim17ROCPRIM_400000_NS6detail17trampoline_kernelINS0_14default_configENS1_35adjacent_difference_config_selectorILb1ElEEZNS1_24adjacent_difference_implIS3_Lb1ELb0EPlS7_ZN2at6native12_GLOBAL__N_124unique_dim_cuda_templateIiEESt5tupleIJNS8_6TensorESD_SD_EERKSD_lbbbEUlllE1_EE10hipError_tPvRmT2_T3_mT4_P12ihipStream_tbEUlT_E_NS1_11comp_targetILNS1_3genE10ELNS1_11target_archE1201ELNS1_3gpuE5ELNS1_3repE0EEENS1_30default_config_static_selectorELNS0_4arch9wavefront6targetE1EEEvT1_,comdat
	.globl	_ZN7rocprim17ROCPRIM_400000_NS6detail17trampoline_kernelINS0_14default_configENS1_35adjacent_difference_config_selectorILb1ElEEZNS1_24adjacent_difference_implIS3_Lb1ELb0EPlS7_ZN2at6native12_GLOBAL__N_124unique_dim_cuda_templateIiEESt5tupleIJNS8_6TensorESD_SD_EERKSD_lbbbEUlllE1_EE10hipError_tPvRmT2_T3_mT4_P12ihipStream_tbEUlT_E_NS1_11comp_targetILNS1_3genE10ELNS1_11target_archE1201ELNS1_3gpuE5ELNS1_3repE0EEENS1_30default_config_static_selectorELNS0_4arch9wavefront6targetE1EEEvT1_ ; -- Begin function _ZN7rocprim17ROCPRIM_400000_NS6detail17trampoline_kernelINS0_14default_configENS1_35adjacent_difference_config_selectorILb1ElEEZNS1_24adjacent_difference_implIS3_Lb1ELb0EPlS7_ZN2at6native12_GLOBAL__N_124unique_dim_cuda_templateIiEESt5tupleIJNS8_6TensorESD_SD_EERKSD_lbbbEUlllE1_EE10hipError_tPvRmT2_T3_mT4_P12ihipStream_tbEUlT_E_NS1_11comp_targetILNS1_3genE10ELNS1_11target_archE1201ELNS1_3gpuE5ELNS1_3repE0EEENS1_30default_config_static_selectorELNS0_4arch9wavefront6targetE1EEEvT1_
	.p2align	8
	.type	_ZN7rocprim17ROCPRIM_400000_NS6detail17trampoline_kernelINS0_14default_configENS1_35adjacent_difference_config_selectorILb1ElEEZNS1_24adjacent_difference_implIS3_Lb1ELb0EPlS7_ZN2at6native12_GLOBAL__N_124unique_dim_cuda_templateIiEESt5tupleIJNS8_6TensorESD_SD_EERKSD_lbbbEUlllE1_EE10hipError_tPvRmT2_T3_mT4_P12ihipStream_tbEUlT_E_NS1_11comp_targetILNS1_3genE10ELNS1_11target_archE1201ELNS1_3gpuE5ELNS1_3repE0EEENS1_30default_config_static_selectorELNS0_4arch9wavefront6targetE1EEEvT1_,@function
_ZN7rocprim17ROCPRIM_400000_NS6detail17trampoline_kernelINS0_14default_configENS1_35adjacent_difference_config_selectorILb1ElEEZNS1_24adjacent_difference_implIS3_Lb1ELb0EPlS7_ZN2at6native12_GLOBAL__N_124unique_dim_cuda_templateIiEESt5tupleIJNS8_6TensorESD_SD_EERKSD_lbbbEUlllE1_EE10hipError_tPvRmT2_T3_mT4_P12ihipStream_tbEUlT_E_NS1_11comp_targetILNS1_3genE10ELNS1_11target_archE1201ELNS1_3gpuE5ELNS1_3repE0EEENS1_30default_config_static_selectorELNS0_4arch9wavefront6targetE1EEEvT1_: ; @_ZN7rocprim17ROCPRIM_400000_NS6detail17trampoline_kernelINS0_14default_configENS1_35adjacent_difference_config_selectorILb1ElEEZNS1_24adjacent_difference_implIS3_Lb1ELb0EPlS7_ZN2at6native12_GLOBAL__N_124unique_dim_cuda_templateIiEESt5tupleIJNS8_6TensorESD_SD_EERKSD_lbbbEUlllE1_EE10hipError_tPvRmT2_T3_mT4_P12ihipStream_tbEUlT_E_NS1_11comp_targetILNS1_3genE10ELNS1_11target_archE1201ELNS1_3gpuE5ELNS1_3repE0EEENS1_30default_config_static_selectorELNS0_4arch9wavefront6targetE1EEEvT1_
; %bb.0:
	.section	.rodata,"a",@progbits
	.p2align	6, 0x0
	.amdhsa_kernel _ZN7rocprim17ROCPRIM_400000_NS6detail17trampoline_kernelINS0_14default_configENS1_35adjacent_difference_config_selectorILb1ElEEZNS1_24adjacent_difference_implIS3_Lb1ELb0EPlS7_ZN2at6native12_GLOBAL__N_124unique_dim_cuda_templateIiEESt5tupleIJNS8_6TensorESD_SD_EERKSD_lbbbEUlllE1_EE10hipError_tPvRmT2_T3_mT4_P12ihipStream_tbEUlT_E_NS1_11comp_targetILNS1_3genE10ELNS1_11target_archE1201ELNS1_3gpuE5ELNS1_3repE0EEENS1_30default_config_static_selectorELNS0_4arch9wavefront6targetE1EEEvT1_
		.amdhsa_group_segment_fixed_size 0
		.amdhsa_private_segment_fixed_size 0
		.amdhsa_kernarg_size 64
		.amdhsa_user_sgpr_count 2
		.amdhsa_user_sgpr_dispatch_ptr 0
		.amdhsa_user_sgpr_queue_ptr 0
		.amdhsa_user_sgpr_kernarg_segment_ptr 1
		.amdhsa_user_sgpr_dispatch_id 0
		.amdhsa_user_sgpr_kernarg_preload_length 0
		.amdhsa_user_sgpr_kernarg_preload_offset 0
		.amdhsa_user_sgpr_private_segment_size 0
		.amdhsa_uses_dynamic_stack 0
		.amdhsa_enable_private_segment 0
		.amdhsa_system_sgpr_workgroup_id_x 1
		.amdhsa_system_sgpr_workgroup_id_y 0
		.amdhsa_system_sgpr_workgroup_id_z 0
		.amdhsa_system_sgpr_workgroup_info 0
		.amdhsa_system_vgpr_workitem_id 0
		.amdhsa_next_free_vgpr 1
		.amdhsa_next_free_sgpr 0
		.amdhsa_accum_offset 4
		.amdhsa_reserve_vcc 0
		.amdhsa_float_round_mode_32 0
		.amdhsa_float_round_mode_16_64 0
		.amdhsa_float_denorm_mode_32 3
		.amdhsa_float_denorm_mode_16_64 3
		.amdhsa_dx10_clamp 1
		.amdhsa_ieee_mode 1
		.amdhsa_fp16_overflow 0
		.amdhsa_tg_split 0
		.amdhsa_exception_fp_ieee_invalid_op 0
		.amdhsa_exception_fp_denorm_src 0
		.amdhsa_exception_fp_ieee_div_zero 0
		.amdhsa_exception_fp_ieee_overflow 0
		.amdhsa_exception_fp_ieee_underflow 0
		.amdhsa_exception_fp_ieee_inexact 0
		.amdhsa_exception_int_div_zero 0
	.end_amdhsa_kernel
	.section	.text._ZN7rocprim17ROCPRIM_400000_NS6detail17trampoline_kernelINS0_14default_configENS1_35adjacent_difference_config_selectorILb1ElEEZNS1_24adjacent_difference_implIS3_Lb1ELb0EPlS7_ZN2at6native12_GLOBAL__N_124unique_dim_cuda_templateIiEESt5tupleIJNS8_6TensorESD_SD_EERKSD_lbbbEUlllE1_EE10hipError_tPvRmT2_T3_mT4_P12ihipStream_tbEUlT_E_NS1_11comp_targetILNS1_3genE10ELNS1_11target_archE1201ELNS1_3gpuE5ELNS1_3repE0EEENS1_30default_config_static_selectorELNS0_4arch9wavefront6targetE1EEEvT1_,"axG",@progbits,_ZN7rocprim17ROCPRIM_400000_NS6detail17trampoline_kernelINS0_14default_configENS1_35adjacent_difference_config_selectorILb1ElEEZNS1_24adjacent_difference_implIS3_Lb1ELb0EPlS7_ZN2at6native12_GLOBAL__N_124unique_dim_cuda_templateIiEESt5tupleIJNS8_6TensorESD_SD_EERKSD_lbbbEUlllE1_EE10hipError_tPvRmT2_T3_mT4_P12ihipStream_tbEUlT_E_NS1_11comp_targetILNS1_3genE10ELNS1_11target_archE1201ELNS1_3gpuE5ELNS1_3repE0EEENS1_30default_config_static_selectorELNS0_4arch9wavefront6targetE1EEEvT1_,comdat
.Lfunc_end434:
	.size	_ZN7rocprim17ROCPRIM_400000_NS6detail17trampoline_kernelINS0_14default_configENS1_35adjacent_difference_config_selectorILb1ElEEZNS1_24adjacent_difference_implIS3_Lb1ELb0EPlS7_ZN2at6native12_GLOBAL__N_124unique_dim_cuda_templateIiEESt5tupleIJNS8_6TensorESD_SD_EERKSD_lbbbEUlllE1_EE10hipError_tPvRmT2_T3_mT4_P12ihipStream_tbEUlT_E_NS1_11comp_targetILNS1_3genE10ELNS1_11target_archE1201ELNS1_3gpuE5ELNS1_3repE0EEENS1_30default_config_static_selectorELNS0_4arch9wavefront6targetE1EEEvT1_, .Lfunc_end434-_ZN7rocprim17ROCPRIM_400000_NS6detail17trampoline_kernelINS0_14default_configENS1_35adjacent_difference_config_selectorILb1ElEEZNS1_24adjacent_difference_implIS3_Lb1ELb0EPlS7_ZN2at6native12_GLOBAL__N_124unique_dim_cuda_templateIiEESt5tupleIJNS8_6TensorESD_SD_EERKSD_lbbbEUlllE1_EE10hipError_tPvRmT2_T3_mT4_P12ihipStream_tbEUlT_E_NS1_11comp_targetILNS1_3genE10ELNS1_11target_archE1201ELNS1_3gpuE5ELNS1_3repE0EEENS1_30default_config_static_selectorELNS0_4arch9wavefront6targetE1EEEvT1_
                                        ; -- End function
	.set _ZN7rocprim17ROCPRIM_400000_NS6detail17trampoline_kernelINS0_14default_configENS1_35adjacent_difference_config_selectorILb1ElEEZNS1_24adjacent_difference_implIS3_Lb1ELb0EPlS7_ZN2at6native12_GLOBAL__N_124unique_dim_cuda_templateIiEESt5tupleIJNS8_6TensorESD_SD_EERKSD_lbbbEUlllE1_EE10hipError_tPvRmT2_T3_mT4_P12ihipStream_tbEUlT_E_NS1_11comp_targetILNS1_3genE10ELNS1_11target_archE1201ELNS1_3gpuE5ELNS1_3repE0EEENS1_30default_config_static_selectorELNS0_4arch9wavefront6targetE1EEEvT1_.num_vgpr, 0
	.set _ZN7rocprim17ROCPRIM_400000_NS6detail17trampoline_kernelINS0_14default_configENS1_35adjacent_difference_config_selectorILb1ElEEZNS1_24adjacent_difference_implIS3_Lb1ELb0EPlS7_ZN2at6native12_GLOBAL__N_124unique_dim_cuda_templateIiEESt5tupleIJNS8_6TensorESD_SD_EERKSD_lbbbEUlllE1_EE10hipError_tPvRmT2_T3_mT4_P12ihipStream_tbEUlT_E_NS1_11comp_targetILNS1_3genE10ELNS1_11target_archE1201ELNS1_3gpuE5ELNS1_3repE0EEENS1_30default_config_static_selectorELNS0_4arch9wavefront6targetE1EEEvT1_.num_agpr, 0
	.set _ZN7rocprim17ROCPRIM_400000_NS6detail17trampoline_kernelINS0_14default_configENS1_35adjacent_difference_config_selectorILb1ElEEZNS1_24adjacent_difference_implIS3_Lb1ELb0EPlS7_ZN2at6native12_GLOBAL__N_124unique_dim_cuda_templateIiEESt5tupleIJNS8_6TensorESD_SD_EERKSD_lbbbEUlllE1_EE10hipError_tPvRmT2_T3_mT4_P12ihipStream_tbEUlT_E_NS1_11comp_targetILNS1_3genE10ELNS1_11target_archE1201ELNS1_3gpuE5ELNS1_3repE0EEENS1_30default_config_static_selectorELNS0_4arch9wavefront6targetE1EEEvT1_.numbered_sgpr, 0
	.set _ZN7rocprim17ROCPRIM_400000_NS6detail17trampoline_kernelINS0_14default_configENS1_35adjacent_difference_config_selectorILb1ElEEZNS1_24adjacent_difference_implIS3_Lb1ELb0EPlS7_ZN2at6native12_GLOBAL__N_124unique_dim_cuda_templateIiEESt5tupleIJNS8_6TensorESD_SD_EERKSD_lbbbEUlllE1_EE10hipError_tPvRmT2_T3_mT4_P12ihipStream_tbEUlT_E_NS1_11comp_targetILNS1_3genE10ELNS1_11target_archE1201ELNS1_3gpuE5ELNS1_3repE0EEENS1_30default_config_static_selectorELNS0_4arch9wavefront6targetE1EEEvT1_.num_named_barrier, 0
	.set _ZN7rocprim17ROCPRIM_400000_NS6detail17trampoline_kernelINS0_14default_configENS1_35adjacent_difference_config_selectorILb1ElEEZNS1_24adjacent_difference_implIS3_Lb1ELb0EPlS7_ZN2at6native12_GLOBAL__N_124unique_dim_cuda_templateIiEESt5tupleIJNS8_6TensorESD_SD_EERKSD_lbbbEUlllE1_EE10hipError_tPvRmT2_T3_mT4_P12ihipStream_tbEUlT_E_NS1_11comp_targetILNS1_3genE10ELNS1_11target_archE1201ELNS1_3gpuE5ELNS1_3repE0EEENS1_30default_config_static_selectorELNS0_4arch9wavefront6targetE1EEEvT1_.private_seg_size, 0
	.set _ZN7rocprim17ROCPRIM_400000_NS6detail17trampoline_kernelINS0_14default_configENS1_35adjacent_difference_config_selectorILb1ElEEZNS1_24adjacent_difference_implIS3_Lb1ELb0EPlS7_ZN2at6native12_GLOBAL__N_124unique_dim_cuda_templateIiEESt5tupleIJNS8_6TensorESD_SD_EERKSD_lbbbEUlllE1_EE10hipError_tPvRmT2_T3_mT4_P12ihipStream_tbEUlT_E_NS1_11comp_targetILNS1_3genE10ELNS1_11target_archE1201ELNS1_3gpuE5ELNS1_3repE0EEENS1_30default_config_static_selectorELNS0_4arch9wavefront6targetE1EEEvT1_.uses_vcc, 0
	.set _ZN7rocprim17ROCPRIM_400000_NS6detail17trampoline_kernelINS0_14default_configENS1_35adjacent_difference_config_selectorILb1ElEEZNS1_24adjacent_difference_implIS3_Lb1ELb0EPlS7_ZN2at6native12_GLOBAL__N_124unique_dim_cuda_templateIiEESt5tupleIJNS8_6TensorESD_SD_EERKSD_lbbbEUlllE1_EE10hipError_tPvRmT2_T3_mT4_P12ihipStream_tbEUlT_E_NS1_11comp_targetILNS1_3genE10ELNS1_11target_archE1201ELNS1_3gpuE5ELNS1_3repE0EEENS1_30default_config_static_selectorELNS0_4arch9wavefront6targetE1EEEvT1_.uses_flat_scratch, 0
	.set _ZN7rocprim17ROCPRIM_400000_NS6detail17trampoline_kernelINS0_14default_configENS1_35adjacent_difference_config_selectorILb1ElEEZNS1_24adjacent_difference_implIS3_Lb1ELb0EPlS7_ZN2at6native12_GLOBAL__N_124unique_dim_cuda_templateIiEESt5tupleIJNS8_6TensorESD_SD_EERKSD_lbbbEUlllE1_EE10hipError_tPvRmT2_T3_mT4_P12ihipStream_tbEUlT_E_NS1_11comp_targetILNS1_3genE10ELNS1_11target_archE1201ELNS1_3gpuE5ELNS1_3repE0EEENS1_30default_config_static_selectorELNS0_4arch9wavefront6targetE1EEEvT1_.has_dyn_sized_stack, 0
	.set _ZN7rocprim17ROCPRIM_400000_NS6detail17trampoline_kernelINS0_14default_configENS1_35adjacent_difference_config_selectorILb1ElEEZNS1_24adjacent_difference_implIS3_Lb1ELb0EPlS7_ZN2at6native12_GLOBAL__N_124unique_dim_cuda_templateIiEESt5tupleIJNS8_6TensorESD_SD_EERKSD_lbbbEUlllE1_EE10hipError_tPvRmT2_T3_mT4_P12ihipStream_tbEUlT_E_NS1_11comp_targetILNS1_3genE10ELNS1_11target_archE1201ELNS1_3gpuE5ELNS1_3repE0EEENS1_30default_config_static_selectorELNS0_4arch9wavefront6targetE1EEEvT1_.has_recursion, 0
	.set _ZN7rocprim17ROCPRIM_400000_NS6detail17trampoline_kernelINS0_14default_configENS1_35adjacent_difference_config_selectorILb1ElEEZNS1_24adjacent_difference_implIS3_Lb1ELb0EPlS7_ZN2at6native12_GLOBAL__N_124unique_dim_cuda_templateIiEESt5tupleIJNS8_6TensorESD_SD_EERKSD_lbbbEUlllE1_EE10hipError_tPvRmT2_T3_mT4_P12ihipStream_tbEUlT_E_NS1_11comp_targetILNS1_3genE10ELNS1_11target_archE1201ELNS1_3gpuE5ELNS1_3repE0EEENS1_30default_config_static_selectorELNS0_4arch9wavefront6targetE1EEEvT1_.has_indirect_call, 0
	.section	.AMDGPU.csdata,"",@progbits
; Kernel info:
; codeLenInByte = 0
; TotalNumSgprs: 6
; NumVgprs: 0
; NumAgprs: 0
; TotalNumVgprs: 0
; ScratchSize: 0
; MemoryBound: 0
; FloatMode: 240
; IeeeMode: 1
; LDSByteSize: 0 bytes/workgroup (compile time only)
; SGPRBlocks: 0
; VGPRBlocks: 0
; NumSGPRsForWavesPerEU: 6
; NumVGPRsForWavesPerEU: 1
; AccumOffset: 4
; Occupancy: 8
; WaveLimiterHint : 0
; COMPUTE_PGM_RSRC2:SCRATCH_EN: 0
; COMPUTE_PGM_RSRC2:USER_SGPR: 2
; COMPUTE_PGM_RSRC2:TRAP_HANDLER: 0
; COMPUTE_PGM_RSRC2:TGID_X_EN: 1
; COMPUTE_PGM_RSRC2:TGID_Y_EN: 0
; COMPUTE_PGM_RSRC2:TGID_Z_EN: 0
; COMPUTE_PGM_RSRC2:TIDIG_COMP_CNT: 0
; COMPUTE_PGM_RSRC3_GFX90A:ACCUM_OFFSET: 0
; COMPUTE_PGM_RSRC3_GFX90A:TG_SPLIT: 0
	.section	.text._ZN7rocprim17ROCPRIM_400000_NS6detail17trampoline_kernelINS0_14default_configENS1_35adjacent_difference_config_selectorILb1ElEEZNS1_24adjacent_difference_implIS3_Lb1ELb0EPlS7_ZN2at6native12_GLOBAL__N_124unique_dim_cuda_templateIiEESt5tupleIJNS8_6TensorESD_SD_EERKSD_lbbbEUlllE1_EE10hipError_tPvRmT2_T3_mT4_P12ihipStream_tbEUlT_E_NS1_11comp_targetILNS1_3genE5ELNS1_11target_archE942ELNS1_3gpuE9ELNS1_3repE0EEENS1_30default_config_static_selectorELNS0_4arch9wavefront6targetE1EEEvT1_,"axG",@progbits,_ZN7rocprim17ROCPRIM_400000_NS6detail17trampoline_kernelINS0_14default_configENS1_35adjacent_difference_config_selectorILb1ElEEZNS1_24adjacent_difference_implIS3_Lb1ELb0EPlS7_ZN2at6native12_GLOBAL__N_124unique_dim_cuda_templateIiEESt5tupleIJNS8_6TensorESD_SD_EERKSD_lbbbEUlllE1_EE10hipError_tPvRmT2_T3_mT4_P12ihipStream_tbEUlT_E_NS1_11comp_targetILNS1_3genE5ELNS1_11target_archE942ELNS1_3gpuE9ELNS1_3repE0EEENS1_30default_config_static_selectorELNS0_4arch9wavefront6targetE1EEEvT1_,comdat
	.globl	_ZN7rocprim17ROCPRIM_400000_NS6detail17trampoline_kernelINS0_14default_configENS1_35adjacent_difference_config_selectorILb1ElEEZNS1_24adjacent_difference_implIS3_Lb1ELb0EPlS7_ZN2at6native12_GLOBAL__N_124unique_dim_cuda_templateIiEESt5tupleIJNS8_6TensorESD_SD_EERKSD_lbbbEUlllE1_EE10hipError_tPvRmT2_T3_mT4_P12ihipStream_tbEUlT_E_NS1_11comp_targetILNS1_3genE5ELNS1_11target_archE942ELNS1_3gpuE9ELNS1_3repE0EEENS1_30default_config_static_selectorELNS0_4arch9wavefront6targetE1EEEvT1_ ; -- Begin function _ZN7rocprim17ROCPRIM_400000_NS6detail17trampoline_kernelINS0_14default_configENS1_35adjacent_difference_config_selectorILb1ElEEZNS1_24adjacent_difference_implIS3_Lb1ELb0EPlS7_ZN2at6native12_GLOBAL__N_124unique_dim_cuda_templateIiEESt5tupleIJNS8_6TensorESD_SD_EERKSD_lbbbEUlllE1_EE10hipError_tPvRmT2_T3_mT4_P12ihipStream_tbEUlT_E_NS1_11comp_targetILNS1_3genE5ELNS1_11target_archE942ELNS1_3gpuE9ELNS1_3repE0EEENS1_30default_config_static_selectorELNS0_4arch9wavefront6targetE1EEEvT1_
	.p2align	8
	.type	_ZN7rocprim17ROCPRIM_400000_NS6detail17trampoline_kernelINS0_14default_configENS1_35adjacent_difference_config_selectorILb1ElEEZNS1_24adjacent_difference_implIS3_Lb1ELb0EPlS7_ZN2at6native12_GLOBAL__N_124unique_dim_cuda_templateIiEESt5tupleIJNS8_6TensorESD_SD_EERKSD_lbbbEUlllE1_EE10hipError_tPvRmT2_T3_mT4_P12ihipStream_tbEUlT_E_NS1_11comp_targetILNS1_3genE5ELNS1_11target_archE942ELNS1_3gpuE9ELNS1_3repE0EEENS1_30default_config_static_selectorELNS0_4arch9wavefront6targetE1EEEvT1_,@function
_ZN7rocprim17ROCPRIM_400000_NS6detail17trampoline_kernelINS0_14default_configENS1_35adjacent_difference_config_selectorILb1ElEEZNS1_24adjacent_difference_implIS3_Lb1ELb0EPlS7_ZN2at6native12_GLOBAL__N_124unique_dim_cuda_templateIiEESt5tupleIJNS8_6TensorESD_SD_EERKSD_lbbbEUlllE1_EE10hipError_tPvRmT2_T3_mT4_P12ihipStream_tbEUlT_E_NS1_11comp_targetILNS1_3genE5ELNS1_11target_archE942ELNS1_3gpuE9ELNS1_3repE0EEENS1_30default_config_static_selectorELNS0_4arch9wavefront6targetE1EEEvT1_: ; @_ZN7rocprim17ROCPRIM_400000_NS6detail17trampoline_kernelINS0_14default_configENS1_35adjacent_difference_config_selectorILb1ElEEZNS1_24adjacent_difference_implIS3_Lb1ELb0EPlS7_ZN2at6native12_GLOBAL__N_124unique_dim_cuda_templateIiEESt5tupleIJNS8_6TensorESD_SD_EERKSD_lbbbEUlllE1_EE10hipError_tPvRmT2_T3_mT4_P12ihipStream_tbEUlT_E_NS1_11comp_targetILNS1_3genE5ELNS1_11target_archE942ELNS1_3gpuE9ELNS1_3repE0EEENS1_30default_config_static_selectorELNS0_4arch9wavefront6targetE1EEEvT1_
; %bb.0:
	.section	.rodata,"a",@progbits
	.p2align	6, 0x0
	.amdhsa_kernel _ZN7rocprim17ROCPRIM_400000_NS6detail17trampoline_kernelINS0_14default_configENS1_35adjacent_difference_config_selectorILb1ElEEZNS1_24adjacent_difference_implIS3_Lb1ELb0EPlS7_ZN2at6native12_GLOBAL__N_124unique_dim_cuda_templateIiEESt5tupleIJNS8_6TensorESD_SD_EERKSD_lbbbEUlllE1_EE10hipError_tPvRmT2_T3_mT4_P12ihipStream_tbEUlT_E_NS1_11comp_targetILNS1_3genE5ELNS1_11target_archE942ELNS1_3gpuE9ELNS1_3repE0EEENS1_30default_config_static_selectorELNS0_4arch9wavefront6targetE1EEEvT1_
		.amdhsa_group_segment_fixed_size 0
		.amdhsa_private_segment_fixed_size 0
		.amdhsa_kernarg_size 64
		.amdhsa_user_sgpr_count 2
		.amdhsa_user_sgpr_dispatch_ptr 0
		.amdhsa_user_sgpr_queue_ptr 0
		.amdhsa_user_sgpr_kernarg_segment_ptr 1
		.amdhsa_user_sgpr_dispatch_id 0
		.amdhsa_user_sgpr_kernarg_preload_length 0
		.amdhsa_user_sgpr_kernarg_preload_offset 0
		.amdhsa_user_sgpr_private_segment_size 0
		.amdhsa_uses_dynamic_stack 0
		.amdhsa_enable_private_segment 0
		.amdhsa_system_sgpr_workgroup_id_x 1
		.amdhsa_system_sgpr_workgroup_id_y 0
		.amdhsa_system_sgpr_workgroup_id_z 0
		.amdhsa_system_sgpr_workgroup_info 0
		.amdhsa_system_vgpr_workitem_id 0
		.amdhsa_next_free_vgpr 1
		.amdhsa_next_free_sgpr 0
		.amdhsa_accum_offset 4
		.amdhsa_reserve_vcc 0
		.amdhsa_float_round_mode_32 0
		.amdhsa_float_round_mode_16_64 0
		.amdhsa_float_denorm_mode_32 3
		.amdhsa_float_denorm_mode_16_64 3
		.amdhsa_dx10_clamp 1
		.amdhsa_ieee_mode 1
		.amdhsa_fp16_overflow 0
		.amdhsa_tg_split 0
		.amdhsa_exception_fp_ieee_invalid_op 0
		.amdhsa_exception_fp_denorm_src 0
		.amdhsa_exception_fp_ieee_div_zero 0
		.amdhsa_exception_fp_ieee_overflow 0
		.amdhsa_exception_fp_ieee_underflow 0
		.amdhsa_exception_fp_ieee_inexact 0
		.amdhsa_exception_int_div_zero 0
	.end_amdhsa_kernel
	.section	.text._ZN7rocprim17ROCPRIM_400000_NS6detail17trampoline_kernelINS0_14default_configENS1_35adjacent_difference_config_selectorILb1ElEEZNS1_24adjacent_difference_implIS3_Lb1ELb0EPlS7_ZN2at6native12_GLOBAL__N_124unique_dim_cuda_templateIiEESt5tupleIJNS8_6TensorESD_SD_EERKSD_lbbbEUlllE1_EE10hipError_tPvRmT2_T3_mT4_P12ihipStream_tbEUlT_E_NS1_11comp_targetILNS1_3genE5ELNS1_11target_archE942ELNS1_3gpuE9ELNS1_3repE0EEENS1_30default_config_static_selectorELNS0_4arch9wavefront6targetE1EEEvT1_,"axG",@progbits,_ZN7rocprim17ROCPRIM_400000_NS6detail17trampoline_kernelINS0_14default_configENS1_35adjacent_difference_config_selectorILb1ElEEZNS1_24adjacent_difference_implIS3_Lb1ELb0EPlS7_ZN2at6native12_GLOBAL__N_124unique_dim_cuda_templateIiEESt5tupleIJNS8_6TensorESD_SD_EERKSD_lbbbEUlllE1_EE10hipError_tPvRmT2_T3_mT4_P12ihipStream_tbEUlT_E_NS1_11comp_targetILNS1_3genE5ELNS1_11target_archE942ELNS1_3gpuE9ELNS1_3repE0EEENS1_30default_config_static_selectorELNS0_4arch9wavefront6targetE1EEEvT1_,comdat
.Lfunc_end435:
	.size	_ZN7rocprim17ROCPRIM_400000_NS6detail17trampoline_kernelINS0_14default_configENS1_35adjacent_difference_config_selectorILb1ElEEZNS1_24adjacent_difference_implIS3_Lb1ELb0EPlS7_ZN2at6native12_GLOBAL__N_124unique_dim_cuda_templateIiEESt5tupleIJNS8_6TensorESD_SD_EERKSD_lbbbEUlllE1_EE10hipError_tPvRmT2_T3_mT4_P12ihipStream_tbEUlT_E_NS1_11comp_targetILNS1_3genE5ELNS1_11target_archE942ELNS1_3gpuE9ELNS1_3repE0EEENS1_30default_config_static_selectorELNS0_4arch9wavefront6targetE1EEEvT1_, .Lfunc_end435-_ZN7rocprim17ROCPRIM_400000_NS6detail17trampoline_kernelINS0_14default_configENS1_35adjacent_difference_config_selectorILb1ElEEZNS1_24adjacent_difference_implIS3_Lb1ELb0EPlS7_ZN2at6native12_GLOBAL__N_124unique_dim_cuda_templateIiEESt5tupleIJNS8_6TensorESD_SD_EERKSD_lbbbEUlllE1_EE10hipError_tPvRmT2_T3_mT4_P12ihipStream_tbEUlT_E_NS1_11comp_targetILNS1_3genE5ELNS1_11target_archE942ELNS1_3gpuE9ELNS1_3repE0EEENS1_30default_config_static_selectorELNS0_4arch9wavefront6targetE1EEEvT1_
                                        ; -- End function
	.set _ZN7rocprim17ROCPRIM_400000_NS6detail17trampoline_kernelINS0_14default_configENS1_35adjacent_difference_config_selectorILb1ElEEZNS1_24adjacent_difference_implIS3_Lb1ELb0EPlS7_ZN2at6native12_GLOBAL__N_124unique_dim_cuda_templateIiEESt5tupleIJNS8_6TensorESD_SD_EERKSD_lbbbEUlllE1_EE10hipError_tPvRmT2_T3_mT4_P12ihipStream_tbEUlT_E_NS1_11comp_targetILNS1_3genE5ELNS1_11target_archE942ELNS1_3gpuE9ELNS1_3repE0EEENS1_30default_config_static_selectorELNS0_4arch9wavefront6targetE1EEEvT1_.num_vgpr, 0
	.set _ZN7rocprim17ROCPRIM_400000_NS6detail17trampoline_kernelINS0_14default_configENS1_35adjacent_difference_config_selectorILb1ElEEZNS1_24adjacent_difference_implIS3_Lb1ELb0EPlS7_ZN2at6native12_GLOBAL__N_124unique_dim_cuda_templateIiEESt5tupleIJNS8_6TensorESD_SD_EERKSD_lbbbEUlllE1_EE10hipError_tPvRmT2_T3_mT4_P12ihipStream_tbEUlT_E_NS1_11comp_targetILNS1_3genE5ELNS1_11target_archE942ELNS1_3gpuE9ELNS1_3repE0EEENS1_30default_config_static_selectorELNS0_4arch9wavefront6targetE1EEEvT1_.num_agpr, 0
	.set _ZN7rocprim17ROCPRIM_400000_NS6detail17trampoline_kernelINS0_14default_configENS1_35adjacent_difference_config_selectorILb1ElEEZNS1_24adjacent_difference_implIS3_Lb1ELb0EPlS7_ZN2at6native12_GLOBAL__N_124unique_dim_cuda_templateIiEESt5tupleIJNS8_6TensorESD_SD_EERKSD_lbbbEUlllE1_EE10hipError_tPvRmT2_T3_mT4_P12ihipStream_tbEUlT_E_NS1_11comp_targetILNS1_3genE5ELNS1_11target_archE942ELNS1_3gpuE9ELNS1_3repE0EEENS1_30default_config_static_selectorELNS0_4arch9wavefront6targetE1EEEvT1_.numbered_sgpr, 0
	.set _ZN7rocprim17ROCPRIM_400000_NS6detail17trampoline_kernelINS0_14default_configENS1_35adjacent_difference_config_selectorILb1ElEEZNS1_24adjacent_difference_implIS3_Lb1ELb0EPlS7_ZN2at6native12_GLOBAL__N_124unique_dim_cuda_templateIiEESt5tupleIJNS8_6TensorESD_SD_EERKSD_lbbbEUlllE1_EE10hipError_tPvRmT2_T3_mT4_P12ihipStream_tbEUlT_E_NS1_11comp_targetILNS1_3genE5ELNS1_11target_archE942ELNS1_3gpuE9ELNS1_3repE0EEENS1_30default_config_static_selectorELNS0_4arch9wavefront6targetE1EEEvT1_.num_named_barrier, 0
	.set _ZN7rocprim17ROCPRIM_400000_NS6detail17trampoline_kernelINS0_14default_configENS1_35adjacent_difference_config_selectorILb1ElEEZNS1_24adjacent_difference_implIS3_Lb1ELb0EPlS7_ZN2at6native12_GLOBAL__N_124unique_dim_cuda_templateIiEESt5tupleIJNS8_6TensorESD_SD_EERKSD_lbbbEUlllE1_EE10hipError_tPvRmT2_T3_mT4_P12ihipStream_tbEUlT_E_NS1_11comp_targetILNS1_3genE5ELNS1_11target_archE942ELNS1_3gpuE9ELNS1_3repE0EEENS1_30default_config_static_selectorELNS0_4arch9wavefront6targetE1EEEvT1_.private_seg_size, 0
	.set _ZN7rocprim17ROCPRIM_400000_NS6detail17trampoline_kernelINS0_14default_configENS1_35adjacent_difference_config_selectorILb1ElEEZNS1_24adjacent_difference_implIS3_Lb1ELb0EPlS7_ZN2at6native12_GLOBAL__N_124unique_dim_cuda_templateIiEESt5tupleIJNS8_6TensorESD_SD_EERKSD_lbbbEUlllE1_EE10hipError_tPvRmT2_T3_mT4_P12ihipStream_tbEUlT_E_NS1_11comp_targetILNS1_3genE5ELNS1_11target_archE942ELNS1_3gpuE9ELNS1_3repE0EEENS1_30default_config_static_selectorELNS0_4arch9wavefront6targetE1EEEvT1_.uses_vcc, 0
	.set _ZN7rocprim17ROCPRIM_400000_NS6detail17trampoline_kernelINS0_14default_configENS1_35adjacent_difference_config_selectorILb1ElEEZNS1_24adjacent_difference_implIS3_Lb1ELb0EPlS7_ZN2at6native12_GLOBAL__N_124unique_dim_cuda_templateIiEESt5tupleIJNS8_6TensorESD_SD_EERKSD_lbbbEUlllE1_EE10hipError_tPvRmT2_T3_mT4_P12ihipStream_tbEUlT_E_NS1_11comp_targetILNS1_3genE5ELNS1_11target_archE942ELNS1_3gpuE9ELNS1_3repE0EEENS1_30default_config_static_selectorELNS0_4arch9wavefront6targetE1EEEvT1_.uses_flat_scratch, 0
	.set _ZN7rocprim17ROCPRIM_400000_NS6detail17trampoline_kernelINS0_14default_configENS1_35adjacent_difference_config_selectorILb1ElEEZNS1_24adjacent_difference_implIS3_Lb1ELb0EPlS7_ZN2at6native12_GLOBAL__N_124unique_dim_cuda_templateIiEESt5tupleIJNS8_6TensorESD_SD_EERKSD_lbbbEUlllE1_EE10hipError_tPvRmT2_T3_mT4_P12ihipStream_tbEUlT_E_NS1_11comp_targetILNS1_3genE5ELNS1_11target_archE942ELNS1_3gpuE9ELNS1_3repE0EEENS1_30default_config_static_selectorELNS0_4arch9wavefront6targetE1EEEvT1_.has_dyn_sized_stack, 0
	.set _ZN7rocprim17ROCPRIM_400000_NS6detail17trampoline_kernelINS0_14default_configENS1_35adjacent_difference_config_selectorILb1ElEEZNS1_24adjacent_difference_implIS3_Lb1ELb0EPlS7_ZN2at6native12_GLOBAL__N_124unique_dim_cuda_templateIiEESt5tupleIJNS8_6TensorESD_SD_EERKSD_lbbbEUlllE1_EE10hipError_tPvRmT2_T3_mT4_P12ihipStream_tbEUlT_E_NS1_11comp_targetILNS1_3genE5ELNS1_11target_archE942ELNS1_3gpuE9ELNS1_3repE0EEENS1_30default_config_static_selectorELNS0_4arch9wavefront6targetE1EEEvT1_.has_recursion, 0
	.set _ZN7rocprim17ROCPRIM_400000_NS6detail17trampoline_kernelINS0_14default_configENS1_35adjacent_difference_config_selectorILb1ElEEZNS1_24adjacent_difference_implIS3_Lb1ELb0EPlS7_ZN2at6native12_GLOBAL__N_124unique_dim_cuda_templateIiEESt5tupleIJNS8_6TensorESD_SD_EERKSD_lbbbEUlllE1_EE10hipError_tPvRmT2_T3_mT4_P12ihipStream_tbEUlT_E_NS1_11comp_targetILNS1_3genE5ELNS1_11target_archE942ELNS1_3gpuE9ELNS1_3repE0EEENS1_30default_config_static_selectorELNS0_4arch9wavefront6targetE1EEEvT1_.has_indirect_call, 0
	.section	.AMDGPU.csdata,"",@progbits
; Kernel info:
; codeLenInByte = 0
; TotalNumSgprs: 6
; NumVgprs: 0
; NumAgprs: 0
; TotalNumVgprs: 0
; ScratchSize: 0
; MemoryBound: 0
; FloatMode: 240
; IeeeMode: 1
; LDSByteSize: 0 bytes/workgroup (compile time only)
; SGPRBlocks: 0
; VGPRBlocks: 0
; NumSGPRsForWavesPerEU: 6
; NumVGPRsForWavesPerEU: 1
; AccumOffset: 4
; Occupancy: 8
; WaveLimiterHint : 0
; COMPUTE_PGM_RSRC2:SCRATCH_EN: 0
; COMPUTE_PGM_RSRC2:USER_SGPR: 2
; COMPUTE_PGM_RSRC2:TRAP_HANDLER: 0
; COMPUTE_PGM_RSRC2:TGID_X_EN: 1
; COMPUTE_PGM_RSRC2:TGID_Y_EN: 0
; COMPUTE_PGM_RSRC2:TGID_Z_EN: 0
; COMPUTE_PGM_RSRC2:TIDIG_COMP_CNT: 0
; COMPUTE_PGM_RSRC3_GFX90A:ACCUM_OFFSET: 0
; COMPUTE_PGM_RSRC3_GFX90A:TG_SPLIT: 0
	.section	.text._ZN7rocprim17ROCPRIM_400000_NS6detail17trampoline_kernelINS0_14default_configENS1_35adjacent_difference_config_selectorILb1ElEEZNS1_24adjacent_difference_implIS3_Lb1ELb0EPlS7_ZN2at6native12_GLOBAL__N_124unique_dim_cuda_templateIiEESt5tupleIJNS8_6TensorESD_SD_EERKSD_lbbbEUlllE1_EE10hipError_tPvRmT2_T3_mT4_P12ihipStream_tbEUlT_E_NS1_11comp_targetILNS1_3genE4ELNS1_11target_archE910ELNS1_3gpuE8ELNS1_3repE0EEENS1_30default_config_static_selectorELNS0_4arch9wavefront6targetE1EEEvT1_,"axG",@progbits,_ZN7rocprim17ROCPRIM_400000_NS6detail17trampoline_kernelINS0_14default_configENS1_35adjacent_difference_config_selectorILb1ElEEZNS1_24adjacent_difference_implIS3_Lb1ELb0EPlS7_ZN2at6native12_GLOBAL__N_124unique_dim_cuda_templateIiEESt5tupleIJNS8_6TensorESD_SD_EERKSD_lbbbEUlllE1_EE10hipError_tPvRmT2_T3_mT4_P12ihipStream_tbEUlT_E_NS1_11comp_targetILNS1_3genE4ELNS1_11target_archE910ELNS1_3gpuE8ELNS1_3repE0EEENS1_30default_config_static_selectorELNS0_4arch9wavefront6targetE1EEEvT1_,comdat
	.globl	_ZN7rocprim17ROCPRIM_400000_NS6detail17trampoline_kernelINS0_14default_configENS1_35adjacent_difference_config_selectorILb1ElEEZNS1_24adjacent_difference_implIS3_Lb1ELb0EPlS7_ZN2at6native12_GLOBAL__N_124unique_dim_cuda_templateIiEESt5tupleIJNS8_6TensorESD_SD_EERKSD_lbbbEUlllE1_EE10hipError_tPvRmT2_T3_mT4_P12ihipStream_tbEUlT_E_NS1_11comp_targetILNS1_3genE4ELNS1_11target_archE910ELNS1_3gpuE8ELNS1_3repE0EEENS1_30default_config_static_selectorELNS0_4arch9wavefront6targetE1EEEvT1_ ; -- Begin function _ZN7rocprim17ROCPRIM_400000_NS6detail17trampoline_kernelINS0_14default_configENS1_35adjacent_difference_config_selectorILb1ElEEZNS1_24adjacent_difference_implIS3_Lb1ELb0EPlS7_ZN2at6native12_GLOBAL__N_124unique_dim_cuda_templateIiEESt5tupleIJNS8_6TensorESD_SD_EERKSD_lbbbEUlllE1_EE10hipError_tPvRmT2_T3_mT4_P12ihipStream_tbEUlT_E_NS1_11comp_targetILNS1_3genE4ELNS1_11target_archE910ELNS1_3gpuE8ELNS1_3repE0EEENS1_30default_config_static_selectorELNS0_4arch9wavefront6targetE1EEEvT1_
	.p2align	8
	.type	_ZN7rocprim17ROCPRIM_400000_NS6detail17trampoline_kernelINS0_14default_configENS1_35adjacent_difference_config_selectorILb1ElEEZNS1_24adjacent_difference_implIS3_Lb1ELb0EPlS7_ZN2at6native12_GLOBAL__N_124unique_dim_cuda_templateIiEESt5tupleIJNS8_6TensorESD_SD_EERKSD_lbbbEUlllE1_EE10hipError_tPvRmT2_T3_mT4_P12ihipStream_tbEUlT_E_NS1_11comp_targetILNS1_3genE4ELNS1_11target_archE910ELNS1_3gpuE8ELNS1_3repE0EEENS1_30default_config_static_selectorELNS0_4arch9wavefront6targetE1EEEvT1_,@function
_ZN7rocprim17ROCPRIM_400000_NS6detail17trampoline_kernelINS0_14default_configENS1_35adjacent_difference_config_selectorILb1ElEEZNS1_24adjacent_difference_implIS3_Lb1ELb0EPlS7_ZN2at6native12_GLOBAL__N_124unique_dim_cuda_templateIiEESt5tupleIJNS8_6TensorESD_SD_EERKSD_lbbbEUlllE1_EE10hipError_tPvRmT2_T3_mT4_P12ihipStream_tbEUlT_E_NS1_11comp_targetILNS1_3genE4ELNS1_11target_archE910ELNS1_3gpuE8ELNS1_3repE0EEENS1_30default_config_static_selectorELNS0_4arch9wavefront6targetE1EEEvT1_: ; @_ZN7rocprim17ROCPRIM_400000_NS6detail17trampoline_kernelINS0_14default_configENS1_35adjacent_difference_config_selectorILb1ElEEZNS1_24adjacent_difference_implIS3_Lb1ELb0EPlS7_ZN2at6native12_GLOBAL__N_124unique_dim_cuda_templateIiEESt5tupleIJNS8_6TensorESD_SD_EERKSD_lbbbEUlllE1_EE10hipError_tPvRmT2_T3_mT4_P12ihipStream_tbEUlT_E_NS1_11comp_targetILNS1_3genE4ELNS1_11target_archE910ELNS1_3gpuE8ELNS1_3repE0EEENS1_30default_config_static_selectorELNS0_4arch9wavefront6targetE1EEEvT1_
; %bb.0:
	.section	.rodata,"a",@progbits
	.p2align	6, 0x0
	.amdhsa_kernel _ZN7rocprim17ROCPRIM_400000_NS6detail17trampoline_kernelINS0_14default_configENS1_35adjacent_difference_config_selectorILb1ElEEZNS1_24adjacent_difference_implIS3_Lb1ELb0EPlS7_ZN2at6native12_GLOBAL__N_124unique_dim_cuda_templateIiEESt5tupleIJNS8_6TensorESD_SD_EERKSD_lbbbEUlllE1_EE10hipError_tPvRmT2_T3_mT4_P12ihipStream_tbEUlT_E_NS1_11comp_targetILNS1_3genE4ELNS1_11target_archE910ELNS1_3gpuE8ELNS1_3repE0EEENS1_30default_config_static_selectorELNS0_4arch9wavefront6targetE1EEEvT1_
		.amdhsa_group_segment_fixed_size 0
		.amdhsa_private_segment_fixed_size 0
		.amdhsa_kernarg_size 64
		.amdhsa_user_sgpr_count 2
		.amdhsa_user_sgpr_dispatch_ptr 0
		.amdhsa_user_sgpr_queue_ptr 0
		.amdhsa_user_sgpr_kernarg_segment_ptr 1
		.amdhsa_user_sgpr_dispatch_id 0
		.amdhsa_user_sgpr_kernarg_preload_length 0
		.amdhsa_user_sgpr_kernarg_preload_offset 0
		.amdhsa_user_sgpr_private_segment_size 0
		.amdhsa_uses_dynamic_stack 0
		.amdhsa_enable_private_segment 0
		.amdhsa_system_sgpr_workgroup_id_x 1
		.amdhsa_system_sgpr_workgroup_id_y 0
		.amdhsa_system_sgpr_workgroup_id_z 0
		.amdhsa_system_sgpr_workgroup_info 0
		.amdhsa_system_vgpr_workitem_id 0
		.amdhsa_next_free_vgpr 1
		.amdhsa_next_free_sgpr 0
		.amdhsa_accum_offset 4
		.amdhsa_reserve_vcc 0
		.amdhsa_float_round_mode_32 0
		.amdhsa_float_round_mode_16_64 0
		.amdhsa_float_denorm_mode_32 3
		.amdhsa_float_denorm_mode_16_64 3
		.amdhsa_dx10_clamp 1
		.amdhsa_ieee_mode 1
		.amdhsa_fp16_overflow 0
		.amdhsa_tg_split 0
		.amdhsa_exception_fp_ieee_invalid_op 0
		.amdhsa_exception_fp_denorm_src 0
		.amdhsa_exception_fp_ieee_div_zero 0
		.amdhsa_exception_fp_ieee_overflow 0
		.amdhsa_exception_fp_ieee_underflow 0
		.amdhsa_exception_fp_ieee_inexact 0
		.amdhsa_exception_int_div_zero 0
	.end_amdhsa_kernel
	.section	.text._ZN7rocprim17ROCPRIM_400000_NS6detail17trampoline_kernelINS0_14default_configENS1_35adjacent_difference_config_selectorILb1ElEEZNS1_24adjacent_difference_implIS3_Lb1ELb0EPlS7_ZN2at6native12_GLOBAL__N_124unique_dim_cuda_templateIiEESt5tupleIJNS8_6TensorESD_SD_EERKSD_lbbbEUlllE1_EE10hipError_tPvRmT2_T3_mT4_P12ihipStream_tbEUlT_E_NS1_11comp_targetILNS1_3genE4ELNS1_11target_archE910ELNS1_3gpuE8ELNS1_3repE0EEENS1_30default_config_static_selectorELNS0_4arch9wavefront6targetE1EEEvT1_,"axG",@progbits,_ZN7rocprim17ROCPRIM_400000_NS6detail17trampoline_kernelINS0_14default_configENS1_35adjacent_difference_config_selectorILb1ElEEZNS1_24adjacent_difference_implIS3_Lb1ELb0EPlS7_ZN2at6native12_GLOBAL__N_124unique_dim_cuda_templateIiEESt5tupleIJNS8_6TensorESD_SD_EERKSD_lbbbEUlllE1_EE10hipError_tPvRmT2_T3_mT4_P12ihipStream_tbEUlT_E_NS1_11comp_targetILNS1_3genE4ELNS1_11target_archE910ELNS1_3gpuE8ELNS1_3repE0EEENS1_30default_config_static_selectorELNS0_4arch9wavefront6targetE1EEEvT1_,comdat
.Lfunc_end436:
	.size	_ZN7rocprim17ROCPRIM_400000_NS6detail17trampoline_kernelINS0_14default_configENS1_35adjacent_difference_config_selectorILb1ElEEZNS1_24adjacent_difference_implIS3_Lb1ELb0EPlS7_ZN2at6native12_GLOBAL__N_124unique_dim_cuda_templateIiEESt5tupleIJNS8_6TensorESD_SD_EERKSD_lbbbEUlllE1_EE10hipError_tPvRmT2_T3_mT4_P12ihipStream_tbEUlT_E_NS1_11comp_targetILNS1_3genE4ELNS1_11target_archE910ELNS1_3gpuE8ELNS1_3repE0EEENS1_30default_config_static_selectorELNS0_4arch9wavefront6targetE1EEEvT1_, .Lfunc_end436-_ZN7rocprim17ROCPRIM_400000_NS6detail17trampoline_kernelINS0_14default_configENS1_35adjacent_difference_config_selectorILb1ElEEZNS1_24adjacent_difference_implIS3_Lb1ELb0EPlS7_ZN2at6native12_GLOBAL__N_124unique_dim_cuda_templateIiEESt5tupleIJNS8_6TensorESD_SD_EERKSD_lbbbEUlllE1_EE10hipError_tPvRmT2_T3_mT4_P12ihipStream_tbEUlT_E_NS1_11comp_targetILNS1_3genE4ELNS1_11target_archE910ELNS1_3gpuE8ELNS1_3repE0EEENS1_30default_config_static_selectorELNS0_4arch9wavefront6targetE1EEEvT1_
                                        ; -- End function
	.set _ZN7rocprim17ROCPRIM_400000_NS6detail17trampoline_kernelINS0_14default_configENS1_35adjacent_difference_config_selectorILb1ElEEZNS1_24adjacent_difference_implIS3_Lb1ELb0EPlS7_ZN2at6native12_GLOBAL__N_124unique_dim_cuda_templateIiEESt5tupleIJNS8_6TensorESD_SD_EERKSD_lbbbEUlllE1_EE10hipError_tPvRmT2_T3_mT4_P12ihipStream_tbEUlT_E_NS1_11comp_targetILNS1_3genE4ELNS1_11target_archE910ELNS1_3gpuE8ELNS1_3repE0EEENS1_30default_config_static_selectorELNS0_4arch9wavefront6targetE1EEEvT1_.num_vgpr, 0
	.set _ZN7rocprim17ROCPRIM_400000_NS6detail17trampoline_kernelINS0_14default_configENS1_35adjacent_difference_config_selectorILb1ElEEZNS1_24adjacent_difference_implIS3_Lb1ELb0EPlS7_ZN2at6native12_GLOBAL__N_124unique_dim_cuda_templateIiEESt5tupleIJNS8_6TensorESD_SD_EERKSD_lbbbEUlllE1_EE10hipError_tPvRmT2_T3_mT4_P12ihipStream_tbEUlT_E_NS1_11comp_targetILNS1_3genE4ELNS1_11target_archE910ELNS1_3gpuE8ELNS1_3repE0EEENS1_30default_config_static_selectorELNS0_4arch9wavefront6targetE1EEEvT1_.num_agpr, 0
	.set _ZN7rocprim17ROCPRIM_400000_NS6detail17trampoline_kernelINS0_14default_configENS1_35adjacent_difference_config_selectorILb1ElEEZNS1_24adjacent_difference_implIS3_Lb1ELb0EPlS7_ZN2at6native12_GLOBAL__N_124unique_dim_cuda_templateIiEESt5tupleIJNS8_6TensorESD_SD_EERKSD_lbbbEUlllE1_EE10hipError_tPvRmT2_T3_mT4_P12ihipStream_tbEUlT_E_NS1_11comp_targetILNS1_3genE4ELNS1_11target_archE910ELNS1_3gpuE8ELNS1_3repE0EEENS1_30default_config_static_selectorELNS0_4arch9wavefront6targetE1EEEvT1_.numbered_sgpr, 0
	.set _ZN7rocprim17ROCPRIM_400000_NS6detail17trampoline_kernelINS0_14default_configENS1_35adjacent_difference_config_selectorILb1ElEEZNS1_24adjacent_difference_implIS3_Lb1ELb0EPlS7_ZN2at6native12_GLOBAL__N_124unique_dim_cuda_templateIiEESt5tupleIJNS8_6TensorESD_SD_EERKSD_lbbbEUlllE1_EE10hipError_tPvRmT2_T3_mT4_P12ihipStream_tbEUlT_E_NS1_11comp_targetILNS1_3genE4ELNS1_11target_archE910ELNS1_3gpuE8ELNS1_3repE0EEENS1_30default_config_static_selectorELNS0_4arch9wavefront6targetE1EEEvT1_.num_named_barrier, 0
	.set _ZN7rocprim17ROCPRIM_400000_NS6detail17trampoline_kernelINS0_14default_configENS1_35adjacent_difference_config_selectorILb1ElEEZNS1_24adjacent_difference_implIS3_Lb1ELb0EPlS7_ZN2at6native12_GLOBAL__N_124unique_dim_cuda_templateIiEESt5tupleIJNS8_6TensorESD_SD_EERKSD_lbbbEUlllE1_EE10hipError_tPvRmT2_T3_mT4_P12ihipStream_tbEUlT_E_NS1_11comp_targetILNS1_3genE4ELNS1_11target_archE910ELNS1_3gpuE8ELNS1_3repE0EEENS1_30default_config_static_selectorELNS0_4arch9wavefront6targetE1EEEvT1_.private_seg_size, 0
	.set _ZN7rocprim17ROCPRIM_400000_NS6detail17trampoline_kernelINS0_14default_configENS1_35adjacent_difference_config_selectorILb1ElEEZNS1_24adjacent_difference_implIS3_Lb1ELb0EPlS7_ZN2at6native12_GLOBAL__N_124unique_dim_cuda_templateIiEESt5tupleIJNS8_6TensorESD_SD_EERKSD_lbbbEUlllE1_EE10hipError_tPvRmT2_T3_mT4_P12ihipStream_tbEUlT_E_NS1_11comp_targetILNS1_3genE4ELNS1_11target_archE910ELNS1_3gpuE8ELNS1_3repE0EEENS1_30default_config_static_selectorELNS0_4arch9wavefront6targetE1EEEvT1_.uses_vcc, 0
	.set _ZN7rocprim17ROCPRIM_400000_NS6detail17trampoline_kernelINS0_14default_configENS1_35adjacent_difference_config_selectorILb1ElEEZNS1_24adjacent_difference_implIS3_Lb1ELb0EPlS7_ZN2at6native12_GLOBAL__N_124unique_dim_cuda_templateIiEESt5tupleIJNS8_6TensorESD_SD_EERKSD_lbbbEUlllE1_EE10hipError_tPvRmT2_T3_mT4_P12ihipStream_tbEUlT_E_NS1_11comp_targetILNS1_3genE4ELNS1_11target_archE910ELNS1_3gpuE8ELNS1_3repE0EEENS1_30default_config_static_selectorELNS0_4arch9wavefront6targetE1EEEvT1_.uses_flat_scratch, 0
	.set _ZN7rocprim17ROCPRIM_400000_NS6detail17trampoline_kernelINS0_14default_configENS1_35adjacent_difference_config_selectorILb1ElEEZNS1_24adjacent_difference_implIS3_Lb1ELb0EPlS7_ZN2at6native12_GLOBAL__N_124unique_dim_cuda_templateIiEESt5tupleIJNS8_6TensorESD_SD_EERKSD_lbbbEUlllE1_EE10hipError_tPvRmT2_T3_mT4_P12ihipStream_tbEUlT_E_NS1_11comp_targetILNS1_3genE4ELNS1_11target_archE910ELNS1_3gpuE8ELNS1_3repE0EEENS1_30default_config_static_selectorELNS0_4arch9wavefront6targetE1EEEvT1_.has_dyn_sized_stack, 0
	.set _ZN7rocprim17ROCPRIM_400000_NS6detail17trampoline_kernelINS0_14default_configENS1_35adjacent_difference_config_selectorILb1ElEEZNS1_24adjacent_difference_implIS3_Lb1ELb0EPlS7_ZN2at6native12_GLOBAL__N_124unique_dim_cuda_templateIiEESt5tupleIJNS8_6TensorESD_SD_EERKSD_lbbbEUlllE1_EE10hipError_tPvRmT2_T3_mT4_P12ihipStream_tbEUlT_E_NS1_11comp_targetILNS1_3genE4ELNS1_11target_archE910ELNS1_3gpuE8ELNS1_3repE0EEENS1_30default_config_static_selectorELNS0_4arch9wavefront6targetE1EEEvT1_.has_recursion, 0
	.set _ZN7rocprim17ROCPRIM_400000_NS6detail17trampoline_kernelINS0_14default_configENS1_35adjacent_difference_config_selectorILb1ElEEZNS1_24adjacent_difference_implIS3_Lb1ELb0EPlS7_ZN2at6native12_GLOBAL__N_124unique_dim_cuda_templateIiEESt5tupleIJNS8_6TensorESD_SD_EERKSD_lbbbEUlllE1_EE10hipError_tPvRmT2_T3_mT4_P12ihipStream_tbEUlT_E_NS1_11comp_targetILNS1_3genE4ELNS1_11target_archE910ELNS1_3gpuE8ELNS1_3repE0EEENS1_30default_config_static_selectorELNS0_4arch9wavefront6targetE1EEEvT1_.has_indirect_call, 0
	.section	.AMDGPU.csdata,"",@progbits
; Kernel info:
; codeLenInByte = 0
; TotalNumSgprs: 6
; NumVgprs: 0
; NumAgprs: 0
; TotalNumVgprs: 0
; ScratchSize: 0
; MemoryBound: 0
; FloatMode: 240
; IeeeMode: 1
; LDSByteSize: 0 bytes/workgroup (compile time only)
; SGPRBlocks: 0
; VGPRBlocks: 0
; NumSGPRsForWavesPerEU: 6
; NumVGPRsForWavesPerEU: 1
; AccumOffset: 4
; Occupancy: 8
; WaveLimiterHint : 0
; COMPUTE_PGM_RSRC2:SCRATCH_EN: 0
; COMPUTE_PGM_RSRC2:USER_SGPR: 2
; COMPUTE_PGM_RSRC2:TRAP_HANDLER: 0
; COMPUTE_PGM_RSRC2:TGID_X_EN: 1
; COMPUTE_PGM_RSRC2:TGID_Y_EN: 0
; COMPUTE_PGM_RSRC2:TGID_Z_EN: 0
; COMPUTE_PGM_RSRC2:TIDIG_COMP_CNT: 0
; COMPUTE_PGM_RSRC3_GFX90A:ACCUM_OFFSET: 0
; COMPUTE_PGM_RSRC3_GFX90A:TG_SPLIT: 0
	.section	.text._ZN7rocprim17ROCPRIM_400000_NS6detail17trampoline_kernelINS0_14default_configENS1_35adjacent_difference_config_selectorILb1ElEEZNS1_24adjacent_difference_implIS3_Lb1ELb0EPlS7_ZN2at6native12_GLOBAL__N_124unique_dim_cuda_templateIiEESt5tupleIJNS8_6TensorESD_SD_EERKSD_lbbbEUlllE1_EE10hipError_tPvRmT2_T3_mT4_P12ihipStream_tbEUlT_E_NS1_11comp_targetILNS1_3genE3ELNS1_11target_archE908ELNS1_3gpuE7ELNS1_3repE0EEENS1_30default_config_static_selectorELNS0_4arch9wavefront6targetE1EEEvT1_,"axG",@progbits,_ZN7rocprim17ROCPRIM_400000_NS6detail17trampoline_kernelINS0_14default_configENS1_35adjacent_difference_config_selectorILb1ElEEZNS1_24adjacent_difference_implIS3_Lb1ELb0EPlS7_ZN2at6native12_GLOBAL__N_124unique_dim_cuda_templateIiEESt5tupleIJNS8_6TensorESD_SD_EERKSD_lbbbEUlllE1_EE10hipError_tPvRmT2_T3_mT4_P12ihipStream_tbEUlT_E_NS1_11comp_targetILNS1_3genE3ELNS1_11target_archE908ELNS1_3gpuE7ELNS1_3repE0EEENS1_30default_config_static_selectorELNS0_4arch9wavefront6targetE1EEEvT1_,comdat
	.globl	_ZN7rocprim17ROCPRIM_400000_NS6detail17trampoline_kernelINS0_14default_configENS1_35adjacent_difference_config_selectorILb1ElEEZNS1_24adjacent_difference_implIS3_Lb1ELb0EPlS7_ZN2at6native12_GLOBAL__N_124unique_dim_cuda_templateIiEESt5tupleIJNS8_6TensorESD_SD_EERKSD_lbbbEUlllE1_EE10hipError_tPvRmT2_T3_mT4_P12ihipStream_tbEUlT_E_NS1_11comp_targetILNS1_3genE3ELNS1_11target_archE908ELNS1_3gpuE7ELNS1_3repE0EEENS1_30default_config_static_selectorELNS0_4arch9wavefront6targetE1EEEvT1_ ; -- Begin function _ZN7rocprim17ROCPRIM_400000_NS6detail17trampoline_kernelINS0_14default_configENS1_35adjacent_difference_config_selectorILb1ElEEZNS1_24adjacent_difference_implIS3_Lb1ELb0EPlS7_ZN2at6native12_GLOBAL__N_124unique_dim_cuda_templateIiEESt5tupleIJNS8_6TensorESD_SD_EERKSD_lbbbEUlllE1_EE10hipError_tPvRmT2_T3_mT4_P12ihipStream_tbEUlT_E_NS1_11comp_targetILNS1_3genE3ELNS1_11target_archE908ELNS1_3gpuE7ELNS1_3repE0EEENS1_30default_config_static_selectorELNS0_4arch9wavefront6targetE1EEEvT1_
	.p2align	8
	.type	_ZN7rocprim17ROCPRIM_400000_NS6detail17trampoline_kernelINS0_14default_configENS1_35adjacent_difference_config_selectorILb1ElEEZNS1_24adjacent_difference_implIS3_Lb1ELb0EPlS7_ZN2at6native12_GLOBAL__N_124unique_dim_cuda_templateIiEESt5tupleIJNS8_6TensorESD_SD_EERKSD_lbbbEUlllE1_EE10hipError_tPvRmT2_T3_mT4_P12ihipStream_tbEUlT_E_NS1_11comp_targetILNS1_3genE3ELNS1_11target_archE908ELNS1_3gpuE7ELNS1_3repE0EEENS1_30default_config_static_selectorELNS0_4arch9wavefront6targetE1EEEvT1_,@function
_ZN7rocprim17ROCPRIM_400000_NS6detail17trampoline_kernelINS0_14default_configENS1_35adjacent_difference_config_selectorILb1ElEEZNS1_24adjacent_difference_implIS3_Lb1ELb0EPlS7_ZN2at6native12_GLOBAL__N_124unique_dim_cuda_templateIiEESt5tupleIJNS8_6TensorESD_SD_EERKSD_lbbbEUlllE1_EE10hipError_tPvRmT2_T3_mT4_P12ihipStream_tbEUlT_E_NS1_11comp_targetILNS1_3genE3ELNS1_11target_archE908ELNS1_3gpuE7ELNS1_3repE0EEENS1_30default_config_static_selectorELNS0_4arch9wavefront6targetE1EEEvT1_: ; @_ZN7rocprim17ROCPRIM_400000_NS6detail17trampoline_kernelINS0_14default_configENS1_35adjacent_difference_config_selectorILb1ElEEZNS1_24adjacent_difference_implIS3_Lb1ELb0EPlS7_ZN2at6native12_GLOBAL__N_124unique_dim_cuda_templateIiEESt5tupleIJNS8_6TensorESD_SD_EERKSD_lbbbEUlllE1_EE10hipError_tPvRmT2_T3_mT4_P12ihipStream_tbEUlT_E_NS1_11comp_targetILNS1_3genE3ELNS1_11target_archE908ELNS1_3gpuE7ELNS1_3repE0EEENS1_30default_config_static_selectorELNS0_4arch9wavefront6targetE1EEEvT1_
; %bb.0:
	.section	.rodata,"a",@progbits
	.p2align	6, 0x0
	.amdhsa_kernel _ZN7rocprim17ROCPRIM_400000_NS6detail17trampoline_kernelINS0_14default_configENS1_35adjacent_difference_config_selectorILb1ElEEZNS1_24adjacent_difference_implIS3_Lb1ELb0EPlS7_ZN2at6native12_GLOBAL__N_124unique_dim_cuda_templateIiEESt5tupleIJNS8_6TensorESD_SD_EERKSD_lbbbEUlllE1_EE10hipError_tPvRmT2_T3_mT4_P12ihipStream_tbEUlT_E_NS1_11comp_targetILNS1_3genE3ELNS1_11target_archE908ELNS1_3gpuE7ELNS1_3repE0EEENS1_30default_config_static_selectorELNS0_4arch9wavefront6targetE1EEEvT1_
		.amdhsa_group_segment_fixed_size 0
		.amdhsa_private_segment_fixed_size 0
		.amdhsa_kernarg_size 64
		.amdhsa_user_sgpr_count 2
		.amdhsa_user_sgpr_dispatch_ptr 0
		.amdhsa_user_sgpr_queue_ptr 0
		.amdhsa_user_sgpr_kernarg_segment_ptr 1
		.amdhsa_user_sgpr_dispatch_id 0
		.amdhsa_user_sgpr_kernarg_preload_length 0
		.amdhsa_user_sgpr_kernarg_preload_offset 0
		.amdhsa_user_sgpr_private_segment_size 0
		.amdhsa_uses_dynamic_stack 0
		.amdhsa_enable_private_segment 0
		.amdhsa_system_sgpr_workgroup_id_x 1
		.amdhsa_system_sgpr_workgroup_id_y 0
		.amdhsa_system_sgpr_workgroup_id_z 0
		.amdhsa_system_sgpr_workgroup_info 0
		.amdhsa_system_vgpr_workitem_id 0
		.amdhsa_next_free_vgpr 1
		.amdhsa_next_free_sgpr 0
		.amdhsa_accum_offset 4
		.amdhsa_reserve_vcc 0
		.amdhsa_float_round_mode_32 0
		.amdhsa_float_round_mode_16_64 0
		.amdhsa_float_denorm_mode_32 3
		.amdhsa_float_denorm_mode_16_64 3
		.amdhsa_dx10_clamp 1
		.amdhsa_ieee_mode 1
		.amdhsa_fp16_overflow 0
		.amdhsa_tg_split 0
		.amdhsa_exception_fp_ieee_invalid_op 0
		.amdhsa_exception_fp_denorm_src 0
		.amdhsa_exception_fp_ieee_div_zero 0
		.amdhsa_exception_fp_ieee_overflow 0
		.amdhsa_exception_fp_ieee_underflow 0
		.amdhsa_exception_fp_ieee_inexact 0
		.amdhsa_exception_int_div_zero 0
	.end_amdhsa_kernel
	.section	.text._ZN7rocprim17ROCPRIM_400000_NS6detail17trampoline_kernelINS0_14default_configENS1_35adjacent_difference_config_selectorILb1ElEEZNS1_24adjacent_difference_implIS3_Lb1ELb0EPlS7_ZN2at6native12_GLOBAL__N_124unique_dim_cuda_templateIiEESt5tupleIJNS8_6TensorESD_SD_EERKSD_lbbbEUlllE1_EE10hipError_tPvRmT2_T3_mT4_P12ihipStream_tbEUlT_E_NS1_11comp_targetILNS1_3genE3ELNS1_11target_archE908ELNS1_3gpuE7ELNS1_3repE0EEENS1_30default_config_static_selectorELNS0_4arch9wavefront6targetE1EEEvT1_,"axG",@progbits,_ZN7rocprim17ROCPRIM_400000_NS6detail17trampoline_kernelINS0_14default_configENS1_35adjacent_difference_config_selectorILb1ElEEZNS1_24adjacent_difference_implIS3_Lb1ELb0EPlS7_ZN2at6native12_GLOBAL__N_124unique_dim_cuda_templateIiEESt5tupleIJNS8_6TensorESD_SD_EERKSD_lbbbEUlllE1_EE10hipError_tPvRmT2_T3_mT4_P12ihipStream_tbEUlT_E_NS1_11comp_targetILNS1_3genE3ELNS1_11target_archE908ELNS1_3gpuE7ELNS1_3repE0EEENS1_30default_config_static_selectorELNS0_4arch9wavefront6targetE1EEEvT1_,comdat
.Lfunc_end437:
	.size	_ZN7rocprim17ROCPRIM_400000_NS6detail17trampoline_kernelINS0_14default_configENS1_35adjacent_difference_config_selectorILb1ElEEZNS1_24adjacent_difference_implIS3_Lb1ELb0EPlS7_ZN2at6native12_GLOBAL__N_124unique_dim_cuda_templateIiEESt5tupleIJNS8_6TensorESD_SD_EERKSD_lbbbEUlllE1_EE10hipError_tPvRmT2_T3_mT4_P12ihipStream_tbEUlT_E_NS1_11comp_targetILNS1_3genE3ELNS1_11target_archE908ELNS1_3gpuE7ELNS1_3repE0EEENS1_30default_config_static_selectorELNS0_4arch9wavefront6targetE1EEEvT1_, .Lfunc_end437-_ZN7rocprim17ROCPRIM_400000_NS6detail17trampoline_kernelINS0_14default_configENS1_35adjacent_difference_config_selectorILb1ElEEZNS1_24adjacent_difference_implIS3_Lb1ELb0EPlS7_ZN2at6native12_GLOBAL__N_124unique_dim_cuda_templateIiEESt5tupleIJNS8_6TensorESD_SD_EERKSD_lbbbEUlllE1_EE10hipError_tPvRmT2_T3_mT4_P12ihipStream_tbEUlT_E_NS1_11comp_targetILNS1_3genE3ELNS1_11target_archE908ELNS1_3gpuE7ELNS1_3repE0EEENS1_30default_config_static_selectorELNS0_4arch9wavefront6targetE1EEEvT1_
                                        ; -- End function
	.set _ZN7rocprim17ROCPRIM_400000_NS6detail17trampoline_kernelINS0_14default_configENS1_35adjacent_difference_config_selectorILb1ElEEZNS1_24adjacent_difference_implIS3_Lb1ELb0EPlS7_ZN2at6native12_GLOBAL__N_124unique_dim_cuda_templateIiEESt5tupleIJNS8_6TensorESD_SD_EERKSD_lbbbEUlllE1_EE10hipError_tPvRmT2_T3_mT4_P12ihipStream_tbEUlT_E_NS1_11comp_targetILNS1_3genE3ELNS1_11target_archE908ELNS1_3gpuE7ELNS1_3repE0EEENS1_30default_config_static_selectorELNS0_4arch9wavefront6targetE1EEEvT1_.num_vgpr, 0
	.set _ZN7rocprim17ROCPRIM_400000_NS6detail17trampoline_kernelINS0_14default_configENS1_35adjacent_difference_config_selectorILb1ElEEZNS1_24adjacent_difference_implIS3_Lb1ELb0EPlS7_ZN2at6native12_GLOBAL__N_124unique_dim_cuda_templateIiEESt5tupleIJNS8_6TensorESD_SD_EERKSD_lbbbEUlllE1_EE10hipError_tPvRmT2_T3_mT4_P12ihipStream_tbEUlT_E_NS1_11comp_targetILNS1_3genE3ELNS1_11target_archE908ELNS1_3gpuE7ELNS1_3repE0EEENS1_30default_config_static_selectorELNS0_4arch9wavefront6targetE1EEEvT1_.num_agpr, 0
	.set _ZN7rocprim17ROCPRIM_400000_NS6detail17trampoline_kernelINS0_14default_configENS1_35adjacent_difference_config_selectorILb1ElEEZNS1_24adjacent_difference_implIS3_Lb1ELb0EPlS7_ZN2at6native12_GLOBAL__N_124unique_dim_cuda_templateIiEESt5tupleIJNS8_6TensorESD_SD_EERKSD_lbbbEUlllE1_EE10hipError_tPvRmT2_T3_mT4_P12ihipStream_tbEUlT_E_NS1_11comp_targetILNS1_3genE3ELNS1_11target_archE908ELNS1_3gpuE7ELNS1_3repE0EEENS1_30default_config_static_selectorELNS0_4arch9wavefront6targetE1EEEvT1_.numbered_sgpr, 0
	.set _ZN7rocprim17ROCPRIM_400000_NS6detail17trampoline_kernelINS0_14default_configENS1_35adjacent_difference_config_selectorILb1ElEEZNS1_24adjacent_difference_implIS3_Lb1ELb0EPlS7_ZN2at6native12_GLOBAL__N_124unique_dim_cuda_templateIiEESt5tupleIJNS8_6TensorESD_SD_EERKSD_lbbbEUlllE1_EE10hipError_tPvRmT2_T3_mT4_P12ihipStream_tbEUlT_E_NS1_11comp_targetILNS1_3genE3ELNS1_11target_archE908ELNS1_3gpuE7ELNS1_3repE0EEENS1_30default_config_static_selectorELNS0_4arch9wavefront6targetE1EEEvT1_.num_named_barrier, 0
	.set _ZN7rocprim17ROCPRIM_400000_NS6detail17trampoline_kernelINS0_14default_configENS1_35adjacent_difference_config_selectorILb1ElEEZNS1_24adjacent_difference_implIS3_Lb1ELb0EPlS7_ZN2at6native12_GLOBAL__N_124unique_dim_cuda_templateIiEESt5tupleIJNS8_6TensorESD_SD_EERKSD_lbbbEUlllE1_EE10hipError_tPvRmT2_T3_mT4_P12ihipStream_tbEUlT_E_NS1_11comp_targetILNS1_3genE3ELNS1_11target_archE908ELNS1_3gpuE7ELNS1_3repE0EEENS1_30default_config_static_selectorELNS0_4arch9wavefront6targetE1EEEvT1_.private_seg_size, 0
	.set _ZN7rocprim17ROCPRIM_400000_NS6detail17trampoline_kernelINS0_14default_configENS1_35adjacent_difference_config_selectorILb1ElEEZNS1_24adjacent_difference_implIS3_Lb1ELb0EPlS7_ZN2at6native12_GLOBAL__N_124unique_dim_cuda_templateIiEESt5tupleIJNS8_6TensorESD_SD_EERKSD_lbbbEUlllE1_EE10hipError_tPvRmT2_T3_mT4_P12ihipStream_tbEUlT_E_NS1_11comp_targetILNS1_3genE3ELNS1_11target_archE908ELNS1_3gpuE7ELNS1_3repE0EEENS1_30default_config_static_selectorELNS0_4arch9wavefront6targetE1EEEvT1_.uses_vcc, 0
	.set _ZN7rocprim17ROCPRIM_400000_NS6detail17trampoline_kernelINS0_14default_configENS1_35adjacent_difference_config_selectorILb1ElEEZNS1_24adjacent_difference_implIS3_Lb1ELb0EPlS7_ZN2at6native12_GLOBAL__N_124unique_dim_cuda_templateIiEESt5tupleIJNS8_6TensorESD_SD_EERKSD_lbbbEUlllE1_EE10hipError_tPvRmT2_T3_mT4_P12ihipStream_tbEUlT_E_NS1_11comp_targetILNS1_3genE3ELNS1_11target_archE908ELNS1_3gpuE7ELNS1_3repE0EEENS1_30default_config_static_selectorELNS0_4arch9wavefront6targetE1EEEvT1_.uses_flat_scratch, 0
	.set _ZN7rocprim17ROCPRIM_400000_NS6detail17trampoline_kernelINS0_14default_configENS1_35adjacent_difference_config_selectorILb1ElEEZNS1_24adjacent_difference_implIS3_Lb1ELb0EPlS7_ZN2at6native12_GLOBAL__N_124unique_dim_cuda_templateIiEESt5tupleIJNS8_6TensorESD_SD_EERKSD_lbbbEUlllE1_EE10hipError_tPvRmT2_T3_mT4_P12ihipStream_tbEUlT_E_NS1_11comp_targetILNS1_3genE3ELNS1_11target_archE908ELNS1_3gpuE7ELNS1_3repE0EEENS1_30default_config_static_selectorELNS0_4arch9wavefront6targetE1EEEvT1_.has_dyn_sized_stack, 0
	.set _ZN7rocprim17ROCPRIM_400000_NS6detail17trampoline_kernelINS0_14default_configENS1_35adjacent_difference_config_selectorILb1ElEEZNS1_24adjacent_difference_implIS3_Lb1ELb0EPlS7_ZN2at6native12_GLOBAL__N_124unique_dim_cuda_templateIiEESt5tupleIJNS8_6TensorESD_SD_EERKSD_lbbbEUlllE1_EE10hipError_tPvRmT2_T3_mT4_P12ihipStream_tbEUlT_E_NS1_11comp_targetILNS1_3genE3ELNS1_11target_archE908ELNS1_3gpuE7ELNS1_3repE0EEENS1_30default_config_static_selectorELNS0_4arch9wavefront6targetE1EEEvT1_.has_recursion, 0
	.set _ZN7rocprim17ROCPRIM_400000_NS6detail17trampoline_kernelINS0_14default_configENS1_35adjacent_difference_config_selectorILb1ElEEZNS1_24adjacent_difference_implIS3_Lb1ELb0EPlS7_ZN2at6native12_GLOBAL__N_124unique_dim_cuda_templateIiEESt5tupleIJNS8_6TensorESD_SD_EERKSD_lbbbEUlllE1_EE10hipError_tPvRmT2_T3_mT4_P12ihipStream_tbEUlT_E_NS1_11comp_targetILNS1_3genE3ELNS1_11target_archE908ELNS1_3gpuE7ELNS1_3repE0EEENS1_30default_config_static_selectorELNS0_4arch9wavefront6targetE1EEEvT1_.has_indirect_call, 0
	.section	.AMDGPU.csdata,"",@progbits
; Kernel info:
; codeLenInByte = 0
; TotalNumSgprs: 6
; NumVgprs: 0
; NumAgprs: 0
; TotalNumVgprs: 0
; ScratchSize: 0
; MemoryBound: 0
; FloatMode: 240
; IeeeMode: 1
; LDSByteSize: 0 bytes/workgroup (compile time only)
; SGPRBlocks: 0
; VGPRBlocks: 0
; NumSGPRsForWavesPerEU: 6
; NumVGPRsForWavesPerEU: 1
; AccumOffset: 4
; Occupancy: 8
; WaveLimiterHint : 0
; COMPUTE_PGM_RSRC2:SCRATCH_EN: 0
; COMPUTE_PGM_RSRC2:USER_SGPR: 2
; COMPUTE_PGM_RSRC2:TRAP_HANDLER: 0
; COMPUTE_PGM_RSRC2:TGID_X_EN: 1
; COMPUTE_PGM_RSRC2:TGID_Y_EN: 0
; COMPUTE_PGM_RSRC2:TGID_Z_EN: 0
; COMPUTE_PGM_RSRC2:TIDIG_COMP_CNT: 0
; COMPUTE_PGM_RSRC3_GFX90A:ACCUM_OFFSET: 0
; COMPUTE_PGM_RSRC3_GFX90A:TG_SPLIT: 0
	.section	.text._ZN7rocprim17ROCPRIM_400000_NS6detail17trampoline_kernelINS0_14default_configENS1_35adjacent_difference_config_selectorILb1ElEEZNS1_24adjacent_difference_implIS3_Lb1ELb0EPlS7_ZN2at6native12_GLOBAL__N_124unique_dim_cuda_templateIiEESt5tupleIJNS8_6TensorESD_SD_EERKSD_lbbbEUlllE1_EE10hipError_tPvRmT2_T3_mT4_P12ihipStream_tbEUlT_E_NS1_11comp_targetILNS1_3genE2ELNS1_11target_archE906ELNS1_3gpuE6ELNS1_3repE0EEENS1_30default_config_static_selectorELNS0_4arch9wavefront6targetE1EEEvT1_,"axG",@progbits,_ZN7rocprim17ROCPRIM_400000_NS6detail17trampoline_kernelINS0_14default_configENS1_35adjacent_difference_config_selectorILb1ElEEZNS1_24adjacent_difference_implIS3_Lb1ELb0EPlS7_ZN2at6native12_GLOBAL__N_124unique_dim_cuda_templateIiEESt5tupleIJNS8_6TensorESD_SD_EERKSD_lbbbEUlllE1_EE10hipError_tPvRmT2_T3_mT4_P12ihipStream_tbEUlT_E_NS1_11comp_targetILNS1_3genE2ELNS1_11target_archE906ELNS1_3gpuE6ELNS1_3repE0EEENS1_30default_config_static_selectorELNS0_4arch9wavefront6targetE1EEEvT1_,comdat
	.globl	_ZN7rocprim17ROCPRIM_400000_NS6detail17trampoline_kernelINS0_14default_configENS1_35adjacent_difference_config_selectorILb1ElEEZNS1_24adjacent_difference_implIS3_Lb1ELb0EPlS7_ZN2at6native12_GLOBAL__N_124unique_dim_cuda_templateIiEESt5tupleIJNS8_6TensorESD_SD_EERKSD_lbbbEUlllE1_EE10hipError_tPvRmT2_T3_mT4_P12ihipStream_tbEUlT_E_NS1_11comp_targetILNS1_3genE2ELNS1_11target_archE906ELNS1_3gpuE6ELNS1_3repE0EEENS1_30default_config_static_selectorELNS0_4arch9wavefront6targetE1EEEvT1_ ; -- Begin function _ZN7rocprim17ROCPRIM_400000_NS6detail17trampoline_kernelINS0_14default_configENS1_35adjacent_difference_config_selectorILb1ElEEZNS1_24adjacent_difference_implIS3_Lb1ELb0EPlS7_ZN2at6native12_GLOBAL__N_124unique_dim_cuda_templateIiEESt5tupleIJNS8_6TensorESD_SD_EERKSD_lbbbEUlllE1_EE10hipError_tPvRmT2_T3_mT4_P12ihipStream_tbEUlT_E_NS1_11comp_targetILNS1_3genE2ELNS1_11target_archE906ELNS1_3gpuE6ELNS1_3repE0EEENS1_30default_config_static_selectorELNS0_4arch9wavefront6targetE1EEEvT1_
	.p2align	8
	.type	_ZN7rocprim17ROCPRIM_400000_NS6detail17trampoline_kernelINS0_14default_configENS1_35adjacent_difference_config_selectorILb1ElEEZNS1_24adjacent_difference_implIS3_Lb1ELb0EPlS7_ZN2at6native12_GLOBAL__N_124unique_dim_cuda_templateIiEESt5tupleIJNS8_6TensorESD_SD_EERKSD_lbbbEUlllE1_EE10hipError_tPvRmT2_T3_mT4_P12ihipStream_tbEUlT_E_NS1_11comp_targetILNS1_3genE2ELNS1_11target_archE906ELNS1_3gpuE6ELNS1_3repE0EEENS1_30default_config_static_selectorELNS0_4arch9wavefront6targetE1EEEvT1_,@function
_ZN7rocprim17ROCPRIM_400000_NS6detail17trampoline_kernelINS0_14default_configENS1_35adjacent_difference_config_selectorILb1ElEEZNS1_24adjacent_difference_implIS3_Lb1ELb0EPlS7_ZN2at6native12_GLOBAL__N_124unique_dim_cuda_templateIiEESt5tupleIJNS8_6TensorESD_SD_EERKSD_lbbbEUlllE1_EE10hipError_tPvRmT2_T3_mT4_P12ihipStream_tbEUlT_E_NS1_11comp_targetILNS1_3genE2ELNS1_11target_archE906ELNS1_3gpuE6ELNS1_3repE0EEENS1_30default_config_static_selectorELNS0_4arch9wavefront6targetE1EEEvT1_: ; @_ZN7rocprim17ROCPRIM_400000_NS6detail17trampoline_kernelINS0_14default_configENS1_35adjacent_difference_config_selectorILb1ElEEZNS1_24adjacent_difference_implIS3_Lb1ELb0EPlS7_ZN2at6native12_GLOBAL__N_124unique_dim_cuda_templateIiEESt5tupleIJNS8_6TensorESD_SD_EERKSD_lbbbEUlllE1_EE10hipError_tPvRmT2_T3_mT4_P12ihipStream_tbEUlT_E_NS1_11comp_targetILNS1_3genE2ELNS1_11target_archE906ELNS1_3gpuE6ELNS1_3repE0EEENS1_30default_config_static_selectorELNS0_4arch9wavefront6targetE1EEEvT1_
; %bb.0:
	.section	.rodata,"a",@progbits
	.p2align	6, 0x0
	.amdhsa_kernel _ZN7rocprim17ROCPRIM_400000_NS6detail17trampoline_kernelINS0_14default_configENS1_35adjacent_difference_config_selectorILb1ElEEZNS1_24adjacent_difference_implIS3_Lb1ELb0EPlS7_ZN2at6native12_GLOBAL__N_124unique_dim_cuda_templateIiEESt5tupleIJNS8_6TensorESD_SD_EERKSD_lbbbEUlllE1_EE10hipError_tPvRmT2_T3_mT4_P12ihipStream_tbEUlT_E_NS1_11comp_targetILNS1_3genE2ELNS1_11target_archE906ELNS1_3gpuE6ELNS1_3repE0EEENS1_30default_config_static_selectorELNS0_4arch9wavefront6targetE1EEEvT1_
		.amdhsa_group_segment_fixed_size 0
		.amdhsa_private_segment_fixed_size 0
		.amdhsa_kernarg_size 64
		.amdhsa_user_sgpr_count 2
		.amdhsa_user_sgpr_dispatch_ptr 0
		.amdhsa_user_sgpr_queue_ptr 0
		.amdhsa_user_sgpr_kernarg_segment_ptr 1
		.amdhsa_user_sgpr_dispatch_id 0
		.amdhsa_user_sgpr_kernarg_preload_length 0
		.amdhsa_user_sgpr_kernarg_preload_offset 0
		.amdhsa_user_sgpr_private_segment_size 0
		.amdhsa_uses_dynamic_stack 0
		.amdhsa_enable_private_segment 0
		.amdhsa_system_sgpr_workgroup_id_x 1
		.amdhsa_system_sgpr_workgroup_id_y 0
		.amdhsa_system_sgpr_workgroup_id_z 0
		.amdhsa_system_sgpr_workgroup_info 0
		.amdhsa_system_vgpr_workitem_id 0
		.amdhsa_next_free_vgpr 1
		.amdhsa_next_free_sgpr 0
		.amdhsa_accum_offset 4
		.amdhsa_reserve_vcc 0
		.amdhsa_float_round_mode_32 0
		.amdhsa_float_round_mode_16_64 0
		.amdhsa_float_denorm_mode_32 3
		.amdhsa_float_denorm_mode_16_64 3
		.amdhsa_dx10_clamp 1
		.amdhsa_ieee_mode 1
		.amdhsa_fp16_overflow 0
		.amdhsa_tg_split 0
		.amdhsa_exception_fp_ieee_invalid_op 0
		.amdhsa_exception_fp_denorm_src 0
		.amdhsa_exception_fp_ieee_div_zero 0
		.amdhsa_exception_fp_ieee_overflow 0
		.amdhsa_exception_fp_ieee_underflow 0
		.amdhsa_exception_fp_ieee_inexact 0
		.amdhsa_exception_int_div_zero 0
	.end_amdhsa_kernel
	.section	.text._ZN7rocprim17ROCPRIM_400000_NS6detail17trampoline_kernelINS0_14default_configENS1_35adjacent_difference_config_selectorILb1ElEEZNS1_24adjacent_difference_implIS3_Lb1ELb0EPlS7_ZN2at6native12_GLOBAL__N_124unique_dim_cuda_templateIiEESt5tupleIJNS8_6TensorESD_SD_EERKSD_lbbbEUlllE1_EE10hipError_tPvRmT2_T3_mT4_P12ihipStream_tbEUlT_E_NS1_11comp_targetILNS1_3genE2ELNS1_11target_archE906ELNS1_3gpuE6ELNS1_3repE0EEENS1_30default_config_static_selectorELNS0_4arch9wavefront6targetE1EEEvT1_,"axG",@progbits,_ZN7rocprim17ROCPRIM_400000_NS6detail17trampoline_kernelINS0_14default_configENS1_35adjacent_difference_config_selectorILb1ElEEZNS1_24adjacent_difference_implIS3_Lb1ELb0EPlS7_ZN2at6native12_GLOBAL__N_124unique_dim_cuda_templateIiEESt5tupleIJNS8_6TensorESD_SD_EERKSD_lbbbEUlllE1_EE10hipError_tPvRmT2_T3_mT4_P12ihipStream_tbEUlT_E_NS1_11comp_targetILNS1_3genE2ELNS1_11target_archE906ELNS1_3gpuE6ELNS1_3repE0EEENS1_30default_config_static_selectorELNS0_4arch9wavefront6targetE1EEEvT1_,comdat
.Lfunc_end438:
	.size	_ZN7rocprim17ROCPRIM_400000_NS6detail17trampoline_kernelINS0_14default_configENS1_35adjacent_difference_config_selectorILb1ElEEZNS1_24adjacent_difference_implIS3_Lb1ELb0EPlS7_ZN2at6native12_GLOBAL__N_124unique_dim_cuda_templateIiEESt5tupleIJNS8_6TensorESD_SD_EERKSD_lbbbEUlllE1_EE10hipError_tPvRmT2_T3_mT4_P12ihipStream_tbEUlT_E_NS1_11comp_targetILNS1_3genE2ELNS1_11target_archE906ELNS1_3gpuE6ELNS1_3repE0EEENS1_30default_config_static_selectorELNS0_4arch9wavefront6targetE1EEEvT1_, .Lfunc_end438-_ZN7rocprim17ROCPRIM_400000_NS6detail17trampoline_kernelINS0_14default_configENS1_35adjacent_difference_config_selectorILb1ElEEZNS1_24adjacent_difference_implIS3_Lb1ELb0EPlS7_ZN2at6native12_GLOBAL__N_124unique_dim_cuda_templateIiEESt5tupleIJNS8_6TensorESD_SD_EERKSD_lbbbEUlllE1_EE10hipError_tPvRmT2_T3_mT4_P12ihipStream_tbEUlT_E_NS1_11comp_targetILNS1_3genE2ELNS1_11target_archE906ELNS1_3gpuE6ELNS1_3repE0EEENS1_30default_config_static_selectorELNS0_4arch9wavefront6targetE1EEEvT1_
                                        ; -- End function
	.set _ZN7rocprim17ROCPRIM_400000_NS6detail17trampoline_kernelINS0_14default_configENS1_35adjacent_difference_config_selectorILb1ElEEZNS1_24adjacent_difference_implIS3_Lb1ELb0EPlS7_ZN2at6native12_GLOBAL__N_124unique_dim_cuda_templateIiEESt5tupleIJNS8_6TensorESD_SD_EERKSD_lbbbEUlllE1_EE10hipError_tPvRmT2_T3_mT4_P12ihipStream_tbEUlT_E_NS1_11comp_targetILNS1_3genE2ELNS1_11target_archE906ELNS1_3gpuE6ELNS1_3repE0EEENS1_30default_config_static_selectorELNS0_4arch9wavefront6targetE1EEEvT1_.num_vgpr, 0
	.set _ZN7rocprim17ROCPRIM_400000_NS6detail17trampoline_kernelINS0_14default_configENS1_35adjacent_difference_config_selectorILb1ElEEZNS1_24adjacent_difference_implIS3_Lb1ELb0EPlS7_ZN2at6native12_GLOBAL__N_124unique_dim_cuda_templateIiEESt5tupleIJNS8_6TensorESD_SD_EERKSD_lbbbEUlllE1_EE10hipError_tPvRmT2_T3_mT4_P12ihipStream_tbEUlT_E_NS1_11comp_targetILNS1_3genE2ELNS1_11target_archE906ELNS1_3gpuE6ELNS1_3repE0EEENS1_30default_config_static_selectorELNS0_4arch9wavefront6targetE1EEEvT1_.num_agpr, 0
	.set _ZN7rocprim17ROCPRIM_400000_NS6detail17trampoline_kernelINS0_14default_configENS1_35adjacent_difference_config_selectorILb1ElEEZNS1_24adjacent_difference_implIS3_Lb1ELb0EPlS7_ZN2at6native12_GLOBAL__N_124unique_dim_cuda_templateIiEESt5tupleIJNS8_6TensorESD_SD_EERKSD_lbbbEUlllE1_EE10hipError_tPvRmT2_T3_mT4_P12ihipStream_tbEUlT_E_NS1_11comp_targetILNS1_3genE2ELNS1_11target_archE906ELNS1_3gpuE6ELNS1_3repE0EEENS1_30default_config_static_selectorELNS0_4arch9wavefront6targetE1EEEvT1_.numbered_sgpr, 0
	.set _ZN7rocprim17ROCPRIM_400000_NS6detail17trampoline_kernelINS0_14default_configENS1_35adjacent_difference_config_selectorILb1ElEEZNS1_24adjacent_difference_implIS3_Lb1ELb0EPlS7_ZN2at6native12_GLOBAL__N_124unique_dim_cuda_templateIiEESt5tupleIJNS8_6TensorESD_SD_EERKSD_lbbbEUlllE1_EE10hipError_tPvRmT2_T3_mT4_P12ihipStream_tbEUlT_E_NS1_11comp_targetILNS1_3genE2ELNS1_11target_archE906ELNS1_3gpuE6ELNS1_3repE0EEENS1_30default_config_static_selectorELNS0_4arch9wavefront6targetE1EEEvT1_.num_named_barrier, 0
	.set _ZN7rocprim17ROCPRIM_400000_NS6detail17trampoline_kernelINS0_14default_configENS1_35adjacent_difference_config_selectorILb1ElEEZNS1_24adjacent_difference_implIS3_Lb1ELb0EPlS7_ZN2at6native12_GLOBAL__N_124unique_dim_cuda_templateIiEESt5tupleIJNS8_6TensorESD_SD_EERKSD_lbbbEUlllE1_EE10hipError_tPvRmT2_T3_mT4_P12ihipStream_tbEUlT_E_NS1_11comp_targetILNS1_3genE2ELNS1_11target_archE906ELNS1_3gpuE6ELNS1_3repE0EEENS1_30default_config_static_selectorELNS0_4arch9wavefront6targetE1EEEvT1_.private_seg_size, 0
	.set _ZN7rocprim17ROCPRIM_400000_NS6detail17trampoline_kernelINS0_14default_configENS1_35adjacent_difference_config_selectorILb1ElEEZNS1_24adjacent_difference_implIS3_Lb1ELb0EPlS7_ZN2at6native12_GLOBAL__N_124unique_dim_cuda_templateIiEESt5tupleIJNS8_6TensorESD_SD_EERKSD_lbbbEUlllE1_EE10hipError_tPvRmT2_T3_mT4_P12ihipStream_tbEUlT_E_NS1_11comp_targetILNS1_3genE2ELNS1_11target_archE906ELNS1_3gpuE6ELNS1_3repE0EEENS1_30default_config_static_selectorELNS0_4arch9wavefront6targetE1EEEvT1_.uses_vcc, 0
	.set _ZN7rocprim17ROCPRIM_400000_NS6detail17trampoline_kernelINS0_14default_configENS1_35adjacent_difference_config_selectorILb1ElEEZNS1_24adjacent_difference_implIS3_Lb1ELb0EPlS7_ZN2at6native12_GLOBAL__N_124unique_dim_cuda_templateIiEESt5tupleIJNS8_6TensorESD_SD_EERKSD_lbbbEUlllE1_EE10hipError_tPvRmT2_T3_mT4_P12ihipStream_tbEUlT_E_NS1_11comp_targetILNS1_3genE2ELNS1_11target_archE906ELNS1_3gpuE6ELNS1_3repE0EEENS1_30default_config_static_selectorELNS0_4arch9wavefront6targetE1EEEvT1_.uses_flat_scratch, 0
	.set _ZN7rocprim17ROCPRIM_400000_NS6detail17trampoline_kernelINS0_14default_configENS1_35adjacent_difference_config_selectorILb1ElEEZNS1_24adjacent_difference_implIS3_Lb1ELb0EPlS7_ZN2at6native12_GLOBAL__N_124unique_dim_cuda_templateIiEESt5tupleIJNS8_6TensorESD_SD_EERKSD_lbbbEUlllE1_EE10hipError_tPvRmT2_T3_mT4_P12ihipStream_tbEUlT_E_NS1_11comp_targetILNS1_3genE2ELNS1_11target_archE906ELNS1_3gpuE6ELNS1_3repE0EEENS1_30default_config_static_selectorELNS0_4arch9wavefront6targetE1EEEvT1_.has_dyn_sized_stack, 0
	.set _ZN7rocprim17ROCPRIM_400000_NS6detail17trampoline_kernelINS0_14default_configENS1_35adjacent_difference_config_selectorILb1ElEEZNS1_24adjacent_difference_implIS3_Lb1ELb0EPlS7_ZN2at6native12_GLOBAL__N_124unique_dim_cuda_templateIiEESt5tupleIJNS8_6TensorESD_SD_EERKSD_lbbbEUlllE1_EE10hipError_tPvRmT2_T3_mT4_P12ihipStream_tbEUlT_E_NS1_11comp_targetILNS1_3genE2ELNS1_11target_archE906ELNS1_3gpuE6ELNS1_3repE0EEENS1_30default_config_static_selectorELNS0_4arch9wavefront6targetE1EEEvT1_.has_recursion, 0
	.set _ZN7rocprim17ROCPRIM_400000_NS6detail17trampoline_kernelINS0_14default_configENS1_35adjacent_difference_config_selectorILb1ElEEZNS1_24adjacent_difference_implIS3_Lb1ELb0EPlS7_ZN2at6native12_GLOBAL__N_124unique_dim_cuda_templateIiEESt5tupleIJNS8_6TensorESD_SD_EERKSD_lbbbEUlllE1_EE10hipError_tPvRmT2_T3_mT4_P12ihipStream_tbEUlT_E_NS1_11comp_targetILNS1_3genE2ELNS1_11target_archE906ELNS1_3gpuE6ELNS1_3repE0EEENS1_30default_config_static_selectorELNS0_4arch9wavefront6targetE1EEEvT1_.has_indirect_call, 0
	.section	.AMDGPU.csdata,"",@progbits
; Kernel info:
; codeLenInByte = 0
; TotalNumSgprs: 6
; NumVgprs: 0
; NumAgprs: 0
; TotalNumVgprs: 0
; ScratchSize: 0
; MemoryBound: 0
; FloatMode: 240
; IeeeMode: 1
; LDSByteSize: 0 bytes/workgroup (compile time only)
; SGPRBlocks: 0
; VGPRBlocks: 0
; NumSGPRsForWavesPerEU: 6
; NumVGPRsForWavesPerEU: 1
; AccumOffset: 4
; Occupancy: 8
; WaveLimiterHint : 0
; COMPUTE_PGM_RSRC2:SCRATCH_EN: 0
; COMPUTE_PGM_RSRC2:USER_SGPR: 2
; COMPUTE_PGM_RSRC2:TRAP_HANDLER: 0
; COMPUTE_PGM_RSRC2:TGID_X_EN: 1
; COMPUTE_PGM_RSRC2:TGID_Y_EN: 0
; COMPUTE_PGM_RSRC2:TGID_Z_EN: 0
; COMPUTE_PGM_RSRC2:TIDIG_COMP_CNT: 0
; COMPUTE_PGM_RSRC3_GFX90A:ACCUM_OFFSET: 0
; COMPUTE_PGM_RSRC3_GFX90A:TG_SPLIT: 0
	.section	.text._ZN7rocprim17ROCPRIM_400000_NS6detail17trampoline_kernelINS0_14default_configENS1_35adjacent_difference_config_selectorILb1ElEEZNS1_24adjacent_difference_implIS3_Lb1ELb0EPlS7_ZN2at6native12_GLOBAL__N_124unique_dim_cuda_templateIiEESt5tupleIJNS8_6TensorESD_SD_EERKSD_lbbbEUlllE1_EE10hipError_tPvRmT2_T3_mT4_P12ihipStream_tbEUlT_E_NS1_11comp_targetILNS1_3genE9ELNS1_11target_archE1100ELNS1_3gpuE3ELNS1_3repE0EEENS1_30default_config_static_selectorELNS0_4arch9wavefront6targetE1EEEvT1_,"axG",@progbits,_ZN7rocprim17ROCPRIM_400000_NS6detail17trampoline_kernelINS0_14default_configENS1_35adjacent_difference_config_selectorILb1ElEEZNS1_24adjacent_difference_implIS3_Lb1ELb0EPlS7_ZN2at6native12_GLOBAL__N_124unique_dim_cuda_templateIiEESt5tupleIJNS8_6TensorESD_SD_EERKSD_lbbbEUlllE1_EE10hipError_tPvRmT2_T3_mT4_P12ihipStream_tbEUlT_E_NS1_11comp_targetILNS1_3genE9ELNS1_11target_archE1100ELNS1_3gpuE3ELNS1_3repE0EEENS1_30default_config_static_selectorELNS0_4arch9wavefront6targetE1EEEvT1_,comdat
	.globl	_ZN7rocprim17ROCPRIM_400000_NS6detail17trampoline_kernelINS0_14default_configENS1_35adjacent_difference_config_selectorILb1ElEEZNS1_24adjacent_difference_implIS3_Lb1ELb0EPlS7_ZN2at6native12_GLOBAL__N_124unique_dim_cuda_templateIiEESt5tupleIJNS8_6TensorESD_SD_EERKSD_lbbbEUlllE1_EE10hipError_tPvRmT2_T3_mT4_P12ihipStream_tbEUlT_E_NS1_11comp_targetILNS1_3genE9ELNS1_11target_archE1100ELNS1_3gpuE3ELNS1_3repE0EEENS1_30default_config_static_selectorELNS0_4arch9wavefront6targetE1EEEvT1_ ; -- Begin function _ZN7rocprim17ROCPRIM_400000_NS6detail17trampoline_kernelINS0_14default_configENS1_35adjacent_difference_config_selectorILb1ElEEZNS1_24adjacent_difference_implIS3_Lb1ELb0EPlS7_ZN2at6native12_GLOBAL__N_124unique_dim_cuda_templateIiEESt5tupleIJNS8_6TensorESD_SD_EERKSD_lbbbEUlllE1_EE10hipError_tPvRmT2_T3_mT4_P12ihipStream_tbEUlT_E_NS1_11comp_targetILNS1_3genE9ELNS1_11target_archE1100ELNS1_3gpuE3ELNS1_3repE0EEENS1_30default_config_static_selectorELNS0_4arch9wavefront6targetE1EEEvT1_
	.p2align	8
	.type	_ZN7rocprim17ROCPRIM_400000_NS6detail17trampoline_kernelINS0_14default_configENS1_35adjacent_difference_config_selectorILb1ElEEZNS1_24adjacent_difference_implIS3_Lb1ELb0EPlS7_ZN2at6native12_GLOBAL__N_124unique_dim_cuda_templateIiEESt5tupleIJNS8_6TensorESD_SD_EERKSD_lbbbEUlllE1_EE10hipError_tPvRmT2_T3_mT4_P12ihipStream_tbEUlT_E_NS1_11comp_targetILNS1_3genE9ELNS1_11target_archE1100ELNS1_3gpuE3ELNS1_3repE0EEENS1_30default_config_static_selectorELNS0_4arch9wavefront6targetE1EEEvT1_,@function
_ZN7rocprim17ROCPRIM_400000_NS6detail17trampoline_kernelINS0_14default_configENS1_35adjacent_difference_config_selectorILb1ElEEZNS1_24adjacent_difference_implIS3_Lb1ELb0EPlS7_ZN2at6native12_GLOBAL__N_124unique_dim_cuda_templateIiEESt5tupleIJNS8_6TensorESD_SD_EERKSD_lbbbEUlllE1_EE10hipError_tPvRmT2_T3_mT4_P12ihipStream_tbEUlT_E_NS1_11comp_targetILNS1_3genE9ELNS1_11target_archE1100ELNS1_3gpuE3ELNS1_3repE0EEENS1_30default_config_static_selectorELNS0_4arch9wavefront6targetE1EEEvT1_: ; @_ZN7rocprim17ROCPRIM_400000_NS6detail17trampoline_kernelINS0_14default_configENS1_35adjacent_difference_config_selectorILb1ElEEZNS1_24adjacent_difference_implIS3_Lb1ELb0EPlS7_ZN2at6native12_GLOBAL__N_124unique_dim_cuda_templateIiEESt5tupleIJNS8_6TensorESD_SD_EERKSD_lbbbEUlllE1_EE10hipError_tPvRmT2_T3_mT4_P12ihipStream_tbEUlT_E_NS1_11comp_targetILNS1_3genE9ELNS1_11target_archE1100ELNS1_3gpuE3ELNS1_3repE0EEENS1_30default_config_static_selectorELNS0_4arch9wavefront6targetE1EEEvT1_
; %bb.0:
	.section	.rodata,"a",@progbits
	.p2align	6, 0x0
	.amdhsa_kernel _ZN7rocprim17ROCPRIM_400000_NS6detail17trampoline_kernelINS0_14default_configENS1_35adjacent_difference_config_selectorILb1ElEEZNS1_24adjacent_difference_implIS3_Lb1ELb0EPlS7_ZN2at6native12_GLOBAL__N_124unique_dim_cuda_templateIiEESt5tupleIJNS8_6TensorESD_SD_EERKSD_lbbbEUlllE1_EE10hipError_tPvRmT2_T3_mT4_P12ihipStream_tbEUlT_E_NS1_11comp_targetILNS1_3genE9ELNS1_11target_archE1100ELNS1_3gpuE3ELNS1_3repE0EEENS1_30default_config_static_selectorELNS0_4arch9wavefront6targetE1EEEvT1_
		.amdhsa_group_segment_fixed_size 0
		.amdhsa_private_segment_fixed_size 0
		.amdhsa_kernarg_size 64
		.amdhsa_user_sgpr_count 2
		.amdhsa_user_sgpr_dispatch_ptr 0
		.amdhsa_user_sgpr_queue_ptr 0
		.amdhsa_user_sgpr_kernarg_segment_ptr 1
		.amdhsa_user_sgpr_dispatch_id 0
		.amdhsa_user_sgpr_kernarg_preload_length 0
		.amdhsa_user_sgpr_kernarg_preload_offset 0
		.amdhsa_user_sgpr_private_segment_size 0
		.amdhsa_uses_dynamic_stack 0
		.amdhsa_enable_private_segment 0
		.amdhsa_system_sgpr_workgroup_id_x 1
		.amdhsa_system_sgpr_workgroup_id_y 0
		.amdhsa_system_sgpr_workgroup_id_z 0
		.amdhsa_system_sgpr_workgroup_info 0
		.amdhsa_system_vgpr_workitem_id 0
		.amdhsa_next_free_vgpr 1
		.amdhsa_next_free_sgpr 0
		.amdhsa_accum_offset 4
		.amdhsa_reserve_vcc 0
		.amdhsa_float_round_mode_32 0
		.amdhsa_float_round_mode_16_64 0
		.amdhsa_float_denorm_mode_32 3
		.amdhsa_float_denorm_mode_16_64 3
		.amdhsa_dx10_clamp 1
		.amdhsa_ieee_mode 1
		.amdhsa_fp16_overflow 0
		.amdhsa_tg_split 0
		.amdhsa_exception_fp_ieee_invalid_op 0
		.amdhsa_exception_fp_denorm_src 0
		.amdhsa_exception_fp_ieee_div_zero 0
		.amdhsa_exception_fp_ieee_overflow 0
		.amdhsa_exception_fp_ieee_underflow 0
		.amdhsa_exception_fp_ieee_inexact 0
		.amdhsa_exception_int_div_zero 0
	.end_amdhsa_kernel
	.section	.text._ZN7rocprim17ROCPRIM_400000_NS6detail17trampoline_kernelINS0_14default_configENS1_35adjacent_difference_config_selectorILb1ElEEZNS1_24adjacent_difference_implIS3_Lb1ELb0EPlS7_ZN2at6native12_GLOBAL__N_124unique_dim_cuda_templateIiEESt5tupleIJNS8_6TensorESD_SD_EERKSD_lbbbEUlllE1_EE10hipError_tPvRmT2_T3_mT4_P12ihipStream_tbEUlT_E_NS1_11comp_targetILNS1_3genE9ELNS1_11target_archE1100ELNS1_3gpuE3ELNS1_3repE0EEENS1_30default_config_static_selectorELNS0_4arch9wavefront6targetE1EEEvT1_,"axG",@progbits,_ZN7rocprim17ROCPRIM_400000_NS6detail17trampoline_kernelINS0_14default_configENS1_35adjacent_difference_config_selectorILb1ElEEZNS1_24adjacent_difference_implIS3_Lb1ELb0EPlS7_ZN2at6native12_GLOBAL__N_124unique_dim_cuda_templateIiEESt5tupleIJNS8_6TensorESD_SD_EERKSD_lbbbEUlllE1_EE10hipError_tPvRmT2_T3_mT4_P12ihipStream_tbEUlT_E_NS1_11comp_targetILNS1_3genE9ELNS1_11target_archE1100ELNS1_3gpuE3ELNS1_3repE0EEENS1_30default_config_static_selectorELNS0_4arch9wavefront6targetE1EEEvT1_,comdat
.Lfunc_end439:
	.size	_ZN7rocprim17ROCPRIM_400000_NS6detail17trampoline_kernelINS0_14default_configENS1_35adjacent_difference_config_selectorILb1ElEEZNS1_24adjacent_difference_implIS3_Lb1ELb0EPlS7_ZN2at6native12_GLOBAL__N_124unique_dim_cuda_templateIiEESt5tupleIJNS8_6TensorESD_SD_EERKSD_lbbbEUlllE1_EE10hipError_tPvRmT2_T3_mT4_P12ihipStream_tbEUlT_E_NS1_11comp_targetILNS1_3genE9ELNS1_11target_archE1100ELNS1_3gpuE3ELNS1_3repE0EEENS1_30default_config_static_selectorELNS0_4arch9wavefront6targetE1EEEvT1_, .Lfunc_end439-_ZN7rocprim17ROCPRIM_400000_NS6detail17trampoline_kernelINS0_14default_configENS1_35adjacent_difference_config_selectorILb1ElEEZNS1_24adjacent_difference_implIS3_Lb1ELb0EPlS7_ZN2at6native12_GLOBAL__N_124unique_dim_cuda_templateIiEESt5tupleIJNS8_6TensorESD_SD_EERKSD_lbbbEUlllE1_EE10hipError_tPvRmT2_T3_mT4_P12ihipStream_tbEUlT_E_NS1_11comp_targetILNS1_3genE9ELNS1_11target_archE1100ELNS1_3gpuE3ELNS1_3repE0EEENS1_30default_config_static_selectorELNS0_4arch9wavefront6targetE1EEEvT1_
                                        ; -- End function
	.set _ZN7rocprim17ROCPRIM_400000_NS6detail17trampoline_kernelINS0_14default_configENS1_35adjacent_difference_config_selectorILb1ElEEZNS1_24adjacent_difference_implIS3_Lb1ELb0EPlS7_ZN2at6native12_GLOBAL__N_124unique_dim_cuda_templateIiEESt5tupleIJNS8_6TensorESD_SD_EERKSD_lbbbEUlllE1_EE10hipError_tPvRmT2_T3_mT4_P12ihipStream_tbEUlT_E_NS1_11comp_targetILNS1_3genE9ELNS1_11target_archE1100ELNS1_3gpuE3ELNS1_3repE0EEENS1_30default_config_static_selectorELNS0_4arch9wavefront6targetE1EEEvT1_.num_vgpr, 0
	.set _ZN7rocprim17ROCPRIM_400000_NS6detail17trampoline_kernelINS0_14default_configENS1_35adjacent_difference_config_selectorILb1ElEEZNS1_24adjacent_difference_implIS3_Lb1ELb0EPlS7_ZN2at6native12_GLOBAL__N_124unique_dim_cuda_templateIiEESt5tupleIJNS8_6TensorESD_SD_EERKSD_lbbbEUlllE1_EE10hipError_tPvRmT2_T3_mT4_P12ihipStream_tbEUlT_E_NS1_11comp_targetILNS1_3genE9ELNS1_11target_archE1100ELNS1_3gpuE3ELNS1_3repE0EEENS1_30default_config_static_selectorELNS0_4arch9wavefront6targetE1EEEvT1_.num_agpr, 0
	.set _ZN7rocprim17ROCPRIM_400000_NS6detail17trampoline_kernelINS0_14default_configENS1_35adjacent_difference_config_selectorILb1ElEEZNS1_24adjacent_difference_implIS3_Lb1ELb0EPlS7_ZN2at6native12_GLOBAL__N_124unique_dim_cuda_templateIiEESt5tupleIJNS8_6TensorESD_SD_EERKSD_lbbbEUlllE1_EE10hipError_tPvRmT2_T3_mT4_P12ihipStream_tbEUlT_E_NS1_11comp_targetILNS1_3genE9ELNS1_11target_archE1100ELNS1_3gpuE3ELNS1_3repE0EEENS1_30default_config_static_selectorELNS0_4arch9wavefront6targetE1EEEvT1_.numbered_sgpr, 0
	.set _ZN7rocprim17ROCPRIM_400000_NS6detail17trampoline_kernelINS0_14default_configENS1_35adjacent_difference_config_selectorILb1ElEEZNS1_24adjacent_difference_implIS3_Lb1ELb0EPlS7_ZN2at6native12_GLOBAL__N_124unique_dim_cuda_templateIiEESt5tupleIJNS8_6TensorESD_SD_EERKSD_lbbbEUlllE1_EE10hipError_tPvRmT2_T3_mT4_P12ihipStream_tbEUlT_E_NS1_11comp_targetILNS1_3genE9ELNS1_11target_archE1100ELNS1_3gpuE3ELNS1_3repE0EEENS1_30default_config_static_selectorELNS0_4arch9wavefront6targetE1EEEvT1_.num_named_barrier, 0
	.set _ZN7rocprim17ROCPRIM_400000_NS6detail17trampoline_kernelINS0_14default_configENS1_35adjacent_difference_config_selectorILb1ElEEZNS1_24adjacent_difference_implIS3_Lb1ELb0EPlS7_ZN2at6native12_GLOBAL__N_124unique_dim_cuda_templateIiEESt5tupleIJNS8_6TensorESD_SD_EERKSD_lbbbEUlllE1_EE10hipError_tPvRmT2_T3_mT4_P12ihipStream_tbEUlT_E_NS1_11comp_targetILNS1_3genE9ELNS1_11target_archE1100ELNS1_3gpuE3ELNS1_3repE0EEENS1_30default_config_static_selectorELNS0_4arch9wavefront6targetE1EEEvT1_.private_seg_size, 0
	.set _ZN7rocprim17ROCPRIM_400000_NS6detail17trampoline_kernelINS0_14default_configENS1_35adjacent_difference_config_selectorILb1ElEEZNS1_24adjacent_difference_implIS3_Lb1ELb0EPlS7_ZN2at6native12_GLOBAL__N_124unique_dim_cuda_templateIiEESt5tupleIJNS8_6TensorESD_SD_EERKSD_lbbbEUlllE1_EE10hipError_tPvRmT2_T3_mT4_P12ihipStream_tbEUlT_E_NS1_11comp_targetILNS1_3genE9ELNS1_11target_archE1100ELNS1_3gpuE3ELNS1_3repE0EEENS1_30default_config_static_selectorELNS0_4arch9wavefront6targetE1EEEvT1_.uses_vcc, 0
	.set _ZN7rocprim17ROCPRIM_400000_NS6detail17trampoline_kernelINS0_14default_configENS1_35adjacent_difference_config_selectorILb1ElEEZNS1_24adjacent_difference_implIS3_Lb1ELb0EPlS7_ZN2at6native12_GLOBAL__N_124unique_dim_cuda_templateIiEESt5tupleIJNS8_6TensorESD_SD_EERKSD_lbbbEUlllE1_EE10hipError_tPvRmT2_T3_mT4_P12ihipStream_tbEUlT_E_NS1_11comp_targetILNS1_3genE9ELNS1_11target_archE1100ELNS1_3gpuE3ELNS1_3repE0EEENS1_30default_config_static_selectorELNS0_4arch9wavefront6targetE1EEEvT1_.uses_flat_scratch, 0
	.set _ZN7rocprim17ROCPRIM_400000_NS6detail17trampoline_kernelINS0_14default_configENS1_35adjacent_difference_config_selectorILb1ElEEZNS1_24adjacent_difference_implIS3_Lb1ELb0EPlS7_ZN2at6native12_GLOBAL__N_124unique_dim_cuda_templateIiEESt5tupleIJNS8_6TensorESD_SD_EERKSD_lbbbEUlllE1_EE10hipError_tPvRmT2_T3_mT4_P12ihipStream_tbEUlT_E_NS1_11comp_targetILNS1_3genE9ELNS1_11target_archE1100ELNS1_3gpuE3ELNS1_3repE0EEENS1_30default_config_static_selectorELNS0_4arch9wavefront6targetE1EEEvT1_.has_dyn_sized_stack, 0
	.set _ZN7rocprim17ROCPRIM_400000_NS6detail17trampoline_kernelINS0_14default_configENS1_35adjacent_difference_config_selectorILb1ElEEZNS1_24adjacent_difference_implIS3_Lb1ELb0EPlS7_ZN2at6native12_GLOBAL__N_124unique_dim_cuda_templateIiEESt5tupleIJNS8_6TensorESD_SD_EERKSD_lbbbEUlllE1_EE10hipError_tPvRmT2_T3_mT4_P12ihipStream_tbEUlT_E_NS1_11comp_targetILNS1_3genE9ELNS1_11target_archE1100ELNS1_3gpuE3ELNS1_3repE0EEENS1_30default_config_static_selectorELNS0_4arch9wavefront6targetE1EEEvT1_.has_recursion, 0
	.set _ZN7rocprim17ROCPRIM_400000_NS6detail17trampoline_kernelINS0_14default_configENS1_35adjacent_difference_config_selectorILb1ElEEZNS1_24adjacent_difference_implIS3_Lb1ELb0EPlS7_ZN2at6native12_GLOBAL__N_124unique_dim_cuda_templateIiEESt5tupleIJNS8_6TensorESD_SD_EERKSD_lbbbEUlllE1_EE10hipError_tPvRmT2_T3_mT4_P12ihipStream_tbEUlT_E_NS1_11comp_targetILNS1_3genE9ELNS1_11target_archE1100ELNS1_3gpuE3ELNS1_3repE0EEENS1_30default_config_static_selectorELNS0_4arch9wavefront6targetE1EEEvT1_.has_indirect_call, 0
	.section	.AMDGPU.csdata,"",@progbits
; Kernel info:
; codeLenInByte = 0
; TotalNumSgprs: 6
; NumVgprs: 0
; NumAgprs: 0
; TotalNumVgprs: 0
; ScratchSize: 0
; MemoryBound: 0
; FloatMode: 240
; IeeeMode: 1
; LDSByteSize: 0 bytes/workgroup (compile time only)
; SGPRBlocks: 0
; VGPRBlocks: 0
; NumSGPRsForWavesPerEU: 6
; NumVGPRsForWavesPerEU: 1
; AccumOffset: 4
; Occupancy: 8
; WaveLimiterHint : 0
; COMPUTE_PGM_RSRC2:SCRATCH_EN: 0
; COMPUTE_PGM_RSRC2:USER_SGPR: 2
; COMPUTE_PGM_RSRC2:TRAP_HANDLER: 0
; COMPUTE_PGM_RSRC2:TGID_X_EN: 1
; COMPUTE_PGM_RSRC2:TGID_Y_EN: 0
; COMPUTE_PGM_RSRC2:TGID_Z_EN: 0
; COMPUTE_PGM_RSRC2:TIDIG_COMP_CNT: 0
; COMPUTE_PGM_RSRC3_GFX90A:ACCUM_OFFSET: 0
; COMPUTE_PGM_RSRC3_GFX90A:TG_SPLIT: 0
	.section	.text._ZN7rocprim17ROCPRIM_400000_NS6detail17trampoline_kernelINS0_14default_configENS1_35adjacent_difference_config_selectorILb1ElEEZNS1_24adjacent_difference_implIS3_Lb1ELb0EPlS7_ZN2at6native12_GLOBAL__N_124unique_dim_cuda_templateIiEESt5tupleIJNS8_6TensorESD_SD_EERKSD_lbbbEUlllE1_EE10hipError_tPvRmT2_T3_mT4_P12ihipStream_tbEUlT_E_NS1_11comp_targetILNS1_3genE8ELNS1_11target_archE1030ELNS1_3gpuE2ELNS1_3repE0EEENS1_30default_config_static_selectorELNS0_4arch9wavefront6targetE1EEEvT1_,"axG",@progbits,_ZN7rocprim17ROCPRIM_400000_NS6detail17trampoline_kernelINS0_14default_configENS1_35adjacent_difference_config_selectorILb1ElEEZNS1_24adjacent_difference_implIS3_Lb1ELb0EPlS7_ZN2at6native12_GLOBAL__N_124unique_dim_cuda_templateIiEESt5tupleIJNS8_6TensorESD_SD_EERKSD_lbbbEUlllE1_EE10hipError_tPvRmT2_T3_mT4_P12ihipStream_tbEUlT_E_NS1_11comp_targetILNS1_3genE8ELNS1_11target_archE1030ELNS1_3gpuE2ELNS1_3repE0EEENS1_30default_config_static_selectorELNS0_4arch9wavefront6targetE1EEEvT1_,comdat
	.globl	_ZN7rocprim17ROCPRIM_400000_NS6detail17trampoline_kernelINS0_14default_configENS1_35adjacent_difference_config_selectorILb1ElEEZNS1_24adjacent_difference_implIS3_Lb1ELb0EPlS7_ZN2at6native12_GLOBAL__N_124unique_dim_cuda_templateIiEESt5tupleIJNS8_6TensorESD_SD_EERKSD_lbbbEUlllE1_EE10hipError_tPvRmT2_T3_mT4_P12ihipStream_tbEUlT_E_NS1_11comp_targetILNS1_3genE8ELNS1_11target_archE1030ELNS1_3gpuE2ELNS1_3repE0EEENS1_30default_config_static_selectorELNS0_4arch9wavefront6targetE1EEEvT1_ ; -- Begin function _ZN7rocprim17ROCPRIM_400000_NS6detail17trampoline_kernelINS0_14default_configENS1_35adjacent_difference_config_selectorILb1ElEEZNS1_24adjacent_difference_implIS3_Lb1ELb0EPlS7_ZN2at6native12_GLOBAL__N_124unique_dim_cuda_templateIiEESt5tupleIJNS8_6TensorESD_SD_EERKSD_lbbbEUlllE1_EE10hipError_tPvRmT2_T3_mT4_P12ihipStream_tbEUlT_E_NS1_11comp_targetILNS1_3genE8ELNS1_11target_archE1030ELNS1_3gpuE2ELNS1_3repE0EEENS1_30default_config_static_selectorELNS0_4arch9wavefront6targetE1EEEvT1_
	.p2align	8
	.type	_ZN7rocprim17ROCPRIM_400000_NS6detail17trampoline_kernelINS0_14default_configENS1_35adjacent_difference_config_selectorILb1ElEEZNS1_24adjacent_difference_implIS3_Lb1ELb0EPlS7_ZN2at6native12_GLOBAL__N_124unique_dim_cuda_templateIiEESt5tupleIJNS8_6TensorESD_SD_EERKSD_lbbbEUlllE1_EE10hipError_tPvRmT2_T3_mT4_P12ihipStream_tbEUlT_E_NS1_11comp_targetILNS1_3genE8ELNS1_11target_archE1030ELNS1_3gpuE2ELNS1_3repE0EEENS1_30default_config_static_selectorELNS0_4arch9wavefront6targetE1EEEvT1_,@function
_ZN7rocprim17ROCPRIM_400000_NS6detail17trampoline_kernelINS0_14default_configENS1_35adjacent_difference_config_selectorILb1ElEEZNS1_24adjacent_difference_implIS3_Lb1ELb0EPlS7_ZN2at6native12_GLOBAL__N_124unique_dim_cuda_templateIiEESt5tupleIJNS8_6TensorESD_SD_EERKSD_lbbbEUlllE1_EE10hipError_tPvRmT2_T3_mT4_P12ihipStream_tbEUlT_E_NS1_11comp_targetILNS1_3genE8ELNS1_11target_archE1030ELNS1_3gpuE2ELNS1_3repE0EEENS1_30default_config_static_selectorELNS0_4arch9wavefront6targetE1EEEvT1_: ; @_ZN7rocprim17ROCPRIM_400000_NS6detail17trampoline_kernelINS0_14default_configENS1_35adjacent_difference_config_selectorILb1ElEEZNS1_24adjacent_difference_implIS3_Lb1ELb0EPlS7_ZN2at6native12_GLOBAL__N_124unique_dim_cuda_templateIiEESt5tupleIJNS8_6TensorESD_SD_EERKSD_lbbbEUlllE1_EE10hipError_tPvRmT2_T3_mT4_P12ihipStream_tbEUlT_E_NS1_11comp_targetILNS1_3genE8ELNS1_11target_archE1030ELNS1_3gpuE2ELNS1_3repE0EEENS1_30default_config_static_selectorELNS0_4arch9wavefront6targetE1EEEvT1_
; %bb.0:
	.section	.rodata,"a",@progbits
	.p2align	6, 0x0
	.amdhsa_kernel _ZN7rocprim17ROCPRIM_400000_NS6detail17trampoline_kernelINS0_14default_configENS1_35adjacent_difference_config_selectorILb1ElEEZNS1_24adjacent_difference_implIS3_Lb1ELb0EPlS7_ZN2at6native12_GLOBAL__N_124unique_dim_cuda_templateIiEESt5tupleIJNS8_6TensorESD_SD_EERKSD_lbbbEUlllE1_EE10hipError_tPvRmT2_T3_mT4_P12ihipStream_tbEUlT_E_NS1_11comp_targetILNS1_3genE8ELNS1_11target_archE1030ELNS1_3gpuE2ELNS1_3repE0EEENS1_30default_config_static_selectorELNS0_4arch9wavefront6targetE1EEEvT1_
		.amdhsa_group_segment_fixed_size 0
		.amdhsa_private_segment_fixed_size 0
		.amdhsa_kernarg_size 64
		.amdhsa_user_sgpr_count 2
		.amdhsa_user_sgpr_dispatch_ptr 0
		.amdhsa_user_sgpr_queue_ptr 0
		.amdhsa_user_sgpr_kernarg_segment_ptr 1
		.amdhsa_user_sgpr_dispatch_id 0
		.amdhsa_user_sgpr_kernarg_preload_length 0
		.amdhsa_user_sgpr_kernarg_preload_offset 0
		.amdhsa_user_sgpr_private_segment_size 0
		.amdhsa_uses_dynamic_stack 0
		.amdhsa_enable_private_segment 0
		.amdhsa_system_sgpr_workgroup_id_x 1
		.amdhsa_system_sgpr_workgroup_id_y 0
		.amdhsa_system_sgpr_workgroup_id_z 0
		.amdhsa_system_sgpr_workgroup_info 0
		.amdhsa_system_vgpr_workitem_id 0
		.amdhsa_next_free_vgpr 1
		.amdhsa_next_free_sgpr 0
		.amdhsa_accum_offset 4
		.amdhsa_reserve_vcc 0
		.amdhsa_float_round_mode_32 0
		.amdhsa_float_round_mode_16_64 0
		.amdhsa_float_denorm_mode_32 3
		.amdhsa_float_denorm_mode_16_64 3
		.amdhsa_dx10_clamp 1
		.amdhsa_ieee_mode 1
		.amdhsa_fp16_overflow 0
		.amdhsa_tg_split 0
		.amdhsa_exception_fp_ieee_invalid_op 0
		.amdhsa_exception_fp_denorm_src 0
		.amdhsa_exception_fp_ieee_div_zero 0
		.amdhsa_exception_fp_ieee_overflow 0
		.amdhsa_exception_fp_ieee_underflow 0
		.amdhsa_exception_fp_ieee_inexact 0
		.amdhsa_exception_int_div_zero 0
	.end_amdhsa_kernel
	.section	.text._ZN7rocprim17ROCPRIM_400000_NS6detail17trampoline_kernelINS0_14default_configENS1_35adjacent_difference_config_selectorILb1ElEEZNS1_24adjacent_difference_implIS3_Lb1ELb0EPlS7_ZN2at6native12_GLOBAL__N_124unique_dim_cuda_templateIiEESt5tupleIJNS8_6TensorESD_SD_EERKSD_lbbbEUlllE1_EE10hipError_tPvRmT2_T3_mT4_P12ihipStream_tbEUlT_E_NS1_11comp_targetILNS1_3genE8ELNS1_11target_archE1030ELNS1_3gpuE2ELNS1_3repE0EEENS1_30default_config_static_selectorELNS0_4arch9wavefront6targetE1EEEvT1_,"axG",@progbits,_ZN7rocprim17ROCPRIM_400000_NS6detail17trampoline_kernelINS0_14default_configENS1_35adjacent_difference_config_selectorILb1ElEEZNS1_24adjacent_difference_implIS3_Lb1ELb0EPlS7_ZN2at6native12_GLOBAL__N_124unique_dim_cuda_templateIiEESt5tupleIJNS8_6TensorESD_SD_EERKSD_lbbbEUlllE1_EE10hipError_tPvRmT2_T3_mT4_P12ihipStream_tbEUlT_E_NS1_11comp_targetILNS1_3genE8ELNS1_11target_archE1030ELNS1_3gpuE2ELNS1_3repE0EEENS1_30default_config_static_selectorELNS0_4arch9wavefront6targetE1EEEvT1_,comdat
.Lfunc_end440:
	.size	_ZN7rocprim17ROCPRIM_400000_NS6detail17trampoline_kernelINS0_14default_configENS1_35adjacent_difference_config_selectorILb1ElEEZNS1_24adjacent_difference_implIS3_Lb1ELb0EPlS7_ZN2at6native12_GLOBAL__N_124unique_dim_cuda_templateIiEESt5tupleIJNS8_6TensorESD_SD_EERKSD_lbbbEUlllE1_EE10hipError_tPvRmT2_T3_mT4_P12ihipStream_tbEUlT_E_NS1_11comp_targetILNS1_3genE8ELNS1_11target_archE1030ELNS1_3gpuE2ELNS1_3repE0EEENS1_30default_config_static_selectorELNS0_4arch9wavefront6targetE1EEEvT1_, .Lfunc_end440-_ZN7rocprim17ROCPRIM_400000_NS6detail17trampoline_kernelINS0_14default_configENS1_35adjacent_difference_config_selectorILb1ElEEZNS1_24adjacent_difference_implIS3_Lb1ELb0EPlS7_ZN2at6native12_GLOBAL__N_124unique_dim_cuda_templateIiEESt5tupleIJNS8_6TensorESD_SD_EERKSD_lbbbEUlllE1_EE10hipError_tPvRmT2_T3_mT4_P12ihipStream_tbEUlT_E_NS1_11comp_targetILNS1_3genE8ELNS1_11target_archE1030ELNS1_3gpuE2ELNS1_3repE0EEENS1_30default_config_static_selectorELNS0_4arch9wavefront6targetE1EEEvT1_
                                        ; -- End function
	.set _ZN7rocprim17ROCPRIM_400000_NS6detail17trampoline_kernelINS0_14default_configENS1_35adjacent_difference_config_selectorILb1ElEEZNS1_24adjacent_difference_implIS3_Lb1ELb0EPlS7_ZN2at6native12_GLOBAL__N_124unique_dim_cuda_templateIiEESt5tupleIJNS8_6TensorESD_SD_EERKSD_lbbbEUlllE1_EE10hipError_tPvRmT2_T3_mT4_P12ihipStream_tbEUlT_E_NS1_11comp_targetILNS1_3genE8ELNS1_11target_archE1030ELNS1_3gpuE2ELNS1_3repE0EEENS1_30default_config_static_selectorELNS0_4arch9wavefront6targetE1EEEvT1_.num_vgpr, 0
	.set _ZN7rocprim17ROCPRIM_400000_NS6detail17trampoline_kernelINS0_14default_configENS1_35adjacent_difference_config_selectorILb1ElEEZNS1_24adjacent_difference_implIS3_Lb1ELb0EPlS7_ZN2at6native12_GLOBAL__N_124unique_dim_cuda_templateIiEESt5tupleIJNS8_6TensorESD_SD_EERKSD_lbbbEUlllE1_EE10hipError_tPvRmT2_T3_mT4_P12ihipStream_tbEUlT_E_NS1_11comp_targetILNS1_3genE8ELNS1_11target_archE1030ELNS1_3gpuE2ELNS1_3repE0EEENS1_30default_config_static_selectorELNS0_4arch9wavefront6targetE1EEEvT1_.num_agpr, 0
	.set _ZN7rocprim17ROCPRIM_400000_NS6detail17trampoline_kernelINS0_14default_configENS1_35adjacent_difference_config_selectorILb1ElEEZNS1_24adjacent_difference_implIS3_Lb1ELb0EPlS7_ZN2at6native12_GLOBAL__N_124unique_dim_cuda_templateIiEESt5tupleIJNS8_6TensorESD_SD_EERKSD_lbbbEUlllE1_EE10hipError_tPvRmT2_T3_mT4_P12ihipStream_tbEUlT_E_NS1_11comp_targetILNS1_3genE8ELNS1_11target_archE1030ELNS1_3gpuE2ELNS1_3repE0EEENS1_30default_config_static_selectorELNS0_4arch9wavefront6targetE1EEEvT1_.numbered_sgpr, 0
	.set _ZN7rocprim17ROCPRIM_400000_NS6detail17trampoline_kernelINS0_14default_configENS1_35adjacent_difference_config_selectorILb1ElEEZNS1_24adjacent_difference_implIS3_Lb1ELb0EPlS7_ZN2at6native12_GLOBAL__N_124unique_dim_cuda_templateIiEESt5tupleIJNS8_6TensorESD_SD_EERKSD_lbbbEUlllE1_EE10hipError_tPvRmT2_T3_mT4_P12ihipStream_tbEUlT_E_NS1_11comp_targetILNS1_3genE8ELNS1_11target_archE1030ELNS1_3gpuE2ELNS1_3repE0EEENS1_30default_config_static_selectorELNS0_4arch9wavefront6targetE1EEEvT1_.num_named_barrier, 0
	.set _ZN7rocprim17ROCPRIM_400000_NS6detail17trampoline_kernelINS0_14default_configENS1_35adjacent_difference_config_selectorILb1ElEEZNS1_24adjacent_difference_implIS3_Lb1ELb0EPlS7_ZN2at6native12_GLOBAL__N_124unique_dim_cuda_templateIiEESt5tupleIJNS8_6TensorESD_SD_EERKSD_lbbbEUlllE1_EE10hipError_tPvRmT2_T3_mT4_P12ihipStream_tbEUlT_E_NS1_11comp_targetILNS1_3genE8ELNS1_11target_archE1030ELNS1_3gpuE2ELNS1_3repE0EEENS1_30default_config_static_selectorELNS0_4arch9wavefront6targetE1EEEvT1_.private_seg_size, 0
	.set _ZN7rocprim17ROCPRIM_400000_NS6detail17trampoline_kernelINS0_14default_configENS1_35adjacent_difference_config_selectorILb1ElEEZNS1_24adjacent_difference_implIS3_Lb1ELb0EPlS7_ZN2at6native12_GLOBAL__N_124unique_dim_cuda_templateIiEESt5tupleIJNS8_6TensorESD_SD_EERKSD_lbbbEUlllE1_EE10hipError_tPvRmT2_T3_mT4_P12ihipStream_tbEUlT_E_NS1_11comp_targetILNS1_3genE8ELNS1_11target_archE1030ELNS1_3gpuE2ELNS1_3repE0EEENS1_30default_config_static_selectorELNS0_4arch9wavefront6targetE1EEEvT1_.uses_vcc, 0
	.set _ZN7rocprim17ROCPRIM_400000_NS6detail17trampoline_kernelINS0_14default_configENS1_35adjacent_difference_config_selectorILb1ElEEZNS1_24adjacent_difference_implIS3_Lb1ELb0EPlS7_ZN2at6native12_GLOBAL__N_124unique_dim_cuda_templateIiEESt5tupleIJNS8_6TensorESD_SD_EERKSD_lbbbEUlllE1_EE10hipError_tPvRmT2_T3_mT4_P12ihipStream_tbEUlT_E_NS1_11comp_targetILNS1_3genE8ELNS1_11target_archE1030ELNS1_3gpuE2ELNS1_3repE0EEENS1_30default_config_static_selectorELNS0_4arch9wavefront6targetE1EEEvT1_.uses_flat_scratch, 0
	.set _ZN7rocprim17ROCPRIM_400000_NS6detail17trampoline_kernelINS0_14default_configENS1_35adjacent_difference_config_selectorILb1ElEEZNS1_24adjacent_difference_implIS3_Lb1ELb0EPlS7_ZN2at6native12_GLOBAL__N_124unique_dim_cuda_templateIiEESt5tupleIJNS8_6TensorESD_SD_EERKSD_lbbbEUlllE1_EE10hipError_tPvRmT2_T3_mT4_P12ihipStream_tbEUlT_E_NS1_11comp_targetILNS1_3genE8ELNS1_11target_archE1030ELNS1_3gpuE2ELNS1_3repE0EEENS1_30default_config_static_selectorELNS0_4arch9wavefront6targetE1EEEvT1_.has_dyn_sized_stack, 0
	.set _ZN7rocprim17ROCPRIM_400000_NS6detail17trampoline_kernelINS0_14default_configENS1_35adjacent_difference_config_selectorILb1ElEEZNS1_24adjacent_difference_implIS3_Lb1ELb0EPlS7_ZN2at6native12_GLOBAL__N_124unique_dim_cuda_templateIiEESt5tupleIJNS8_6TensorESD_SD_EERKSD_lbbbEUlllE1_EE10hipError_tPvRmT2_T3_mT4_P12ihipStream_tbEUlT_E_NS1_11comp_targetILNS1_3genE8ELNS1_11target_archE1030ELNS1_3gpuE2ELNS1_3repE0EEENS1_30default_config_static_selectorELNS0_4arch9wavefront6targetE1EEEvT1_.has_recursion, 0
	.set _ZN7rocprim17ROCPRIM_400000_NS6detail17trampoline_kernelINS0_14default_configENS1_35adjacent_difference_config_selectorILb1ElEEZNS1_24adjacent_difference_implIS3_Lb1ELb0EPlS7_ZN2at6native12_GLOBAL__N_124unique_dim_cuda_templateIiEESt5tupleIJNS8_6TensorESD_SD_EERKSD_lbbbEUlllE1_EE10hipError_tPvRmT2_T3_mT4_P12ihipStream_tbEUlT_E_NS1_11comp_targetILNS1_3genE8ELNS1_11target_archE1030ELNS1_3gpuE2ELNS1_3repE0EEENS1_30default_config_static_selectorELNS0_4arch9wavefront6targetE1EEEvT1_.has_indirect_call, 0
	.section	.AMDGPU.csdata,"",@progbits
; Kernel info:
; codeLenInByte = 0
; TotalNumSgprs: 6
; NumVgprs: 0
; NumAgprs: 0
; TotalNumVgprs: 0
; ScratchSize: 0
; MemoryBound: 0
; FloatMode: 240
; IeeeMode: 1
; LDSByteSize: 0 bytes/workgroup (compile time only)
; SGPRBlocks: 0
; VGPRBlocks: 0
; NumSGPRsForWavesPerEU: 6
; NumVGPRsForWavesPerEU: 1
; AccumOffset: 4
; Occupancy: 8
; WaveLimiterHint : 0
; COMPUTE_PGM_RSRC2:SCRATCH_EN: 0
; COMPUTE_PGM_RSRC2:USER_SGPR: 2
; COMPUTE_PGM_RSRC2:TRAP_HANDLER: 0
; COMPUTE_PGM_RSRC2:TGID_X_EN: 1
; COMPUTE_PGM_RSRC2:TGID_Y_EN: 0
; COMPUTE_PGM_RSRC2:TGID_Z_EN: 0
; COMPUTE_PGM_RSRC2:TIDIG_COMP_CNT: 0
; COMPUTE_PGM_RSRC3_GFX90A:ACCUM_OFFSET: 0
; COMPUTE_PGM_RSRC3_GFX90A:TG_SPLIT: 0
	.section	.text._ZN7rocprim17ROCPRIM_400000_NS6detail17trampoline_kernelINS0_14default_configENS1_25partition_config_selectorILNS1_17partition_subalgoE8ElNS0_10empty_typeEbEEZZNS1_14partition_implILS5_8ELb0ES3_jPlPS6_PKS6_NS0_5tupleIJS9_S6_EEENSD_IJSA_SA_EEENS0_18inequality_wrapperIZN2at6native12_GLOBAL__N_124unique_dim_cuda_templateIiEESt5tupleIJNSH_6TensorESM_SM_EERKSM_lbbbEUlllE0_EEPmJS6_EEE10hipError_tPvRmT3_T4_T5_T6_T7_T9_mT8_P12ihipStream_tbDpT10_ENKUlT_T0_E_clISt17integral_constantIbLb0EES1C_EEDaS17_S18_EUlS17_E_NS1_11comp_targetILNS1_3genE0ELNS1_11target_archE4294967295ELNS1_3gpuE0ELNS1_3repE0EEENS1_30default_config_static_selectorELNS0_4arch9wavefront6targetE1EEEvT1_,"axG",@progbits,_ZN7rocprim17ROCPRIM_400000_NS6detail17trampoline_kernelINS0_14default_configENS1_25partition_config_selectorILNS1_17partition_subalgoE8ElNS0_10empty_typeEbEEZZNS1_14partition_implILS5_8ELb0ES3_jPlPS6_PKS6_NS0_5tupleIJS9_S6_EEENSD_IJSA_SA_EEENS0_18inequality_wrapperIZN2at6native12_GLOBAL__N_124unique_dim_cuda_templateIiEESt5tupleIJNSH_6TensorESM_SM_EERKSM_lbbbEUlllE0_EEPmJS6_EEE10hipError_tPvRmT3_T4_T5_T6_T7_T9_mT8_P12ihipStream_tbDpT10_ENKUlT_T0_E_clISt17integral_constantIbLb0EES1C_EEDaS17_S18_EUlS17_E_NS1_11comp_targetILNS1_3genE0ELNS1_11target_archE4294967295ELNS1_3gpuE0ELNS1_3repE0EEENS1_30default_config_static_selectorELNS0_4arch9wavefront6targetE1EEEvT1_,comdat
	.globl	_ZN7rocprim17ROCPRIM_400000_NS6detail17trampoline_kernelINS0_14default_configENS1_25partition_config_selectorILNS1_17partition_subalgoE8ElNS0_10empty_typeEbEEZZNS1_14partition_implILS5_8ELb0ES3_jPlPS6_PKS6_NS0_5tupleIJS9_S6_EEENSD_IJSA_SA_EEENS0_18inequality_wrapperIZN2at6native12_GLOBAL__N_124unique_dim_cuda_templateIiEESt5tupleIJNSH_6TensorESM_SM_EERKSM_lbbbEUlllE0_EEPmJS6_EEE10hipError_tPvRmT3_T4_T5_T6_T7_T9_mT8_P12ihipStream_tbDpT10_ENKUlT_T0_E_clISt17integral_constantIbLb0EES1C_EEDaS17_S18_EUlS17_E_NS1_11comp_targetILNS1_3genE0ELNS1_11target_archE4294967295ELNS1_3gpuE0ELNS1_3repE0EEENS1_30default_config_static_selectorELNS0_4arch9wavefront6targetE1EEEvT1_ ; -- Begin function _ZN7rocprim17ROCPRIM_400000_NS6detail17trampoline_kernelINS0_14default_configENS1_25partition_config_selectorILNS1_17partition_subalgoE8ElNS0_10empty_typeEbEEZZNS1_14partition_implILS5_8ELb0ES3_jPlPS6_PKS6_NS0_5tupleIJS9_S6_EEENSD_IJSA_SA_EEENS0_18inequality_wrapperIZN2at6native12_GLOBAL__N_124unique_dim_cuda_templateIiEESt5tupleIJNSH_6TensorESM_SM_EERKSM_lbbbEUlllE0_EEPmJS6_EEE10hipError_tPvRmT3_T4_T5_T6_T7_T9_mT8_P12ihipStream_tbDpT10_ENKUlT_T0_E_clISt17integral_constantIbLb0EES1C_EEDaS17_S18_EUlS17_E_NS1_11comp_targetILNS1_3genE0ELNS1_11target_archE4294967295ELNS1_3gpuE0ELNS1_3repE0EEENS1_30default_config_static_selectorELNS0_4arch9wavefront6targetE1EEEvT1_
	.p2align	8
	.type	_ZN7rocprim17ROCPRIM_400000_NS6detail17trampoline_kernelINS0_14default_configENS1_25partition_config_selectorILNS1_17partition_subalgoE8ElNS0_10empty_typeEbEEZZNS1_14partition_implILS5_8ELb0ES3_jPlPS6_PKS6_NS0_5tupleIJS9_S6_EEENSD_IJSA_SA_EEENS0_18inequality_wrapperIZN2at6native12_GLOBAL__N_124unique_dim_cuda_templateIiEESt5tupleIJNSH_6TensorESM_SM_EERKSM_lbbbEUlllE0_EEPmJS6_EEE10hipError_tPvRmT3_T4_T5_T6_T7_T9_mT8_P12ihipStream_tbDpT10_ENKUlT_T0_E_clISt17integral_constantIbLb0EES1C_EEDaS17_S18_EUlS17_E_NS1_11comp_targetILNS1_3genE0ELNS1_11target_archE4294967295ELNS1_3gpuE0ELNS1_3repE0EEENS1_30default_config_static_selectorELNS0_4arch9wavefront6targetE1EEEvT1_,@function
_ZN7rocprim17ROCPRIM_400000_NS6detail17trampoline_kernelINS0_14default_configENS1_25partition_config_selectorILNS1_17partition_subalgoE8ElNS0_10empty_typeEbEEZZNS1_14partition_implILS5_8ELb0ES3_jPlPS6_PKS6_NS0_5tupleIJS9_S6_EEENSD_IJSA_SA_EEENS0_18inequality_wrapperIZN2at6native12_GLOBAL__N_124unique_dim_cuda_templateIiEESt5tupleIJNSH_6TensorESM_SM_EERKSM_lbbbEUlllE0_EEPmJS6_EEE10hipError_tPvRmT3_T4_T5_T6_T7_T9_mT8_P12ihipStream_tbDpT10_ENKUlT_T0_E_clISt17integral_constantIbLb0EES1C_EEDaS17_S18_EUlS17_E_NS1_11comp_targetILNS1_3genE0ELNS1_11target_archE4294967295ELNS1_3gpuE0ELNS1_3repE0EEENS1_30default_config_static_selectorELNS0_4arch9wavefront6targetE1EEEvT1_: ; @_ZN7rocprim17ROCPRIM_400000_NS6detail17trampoline_kernelINS0_14default_configENS1_25partition_config_selectorILNS1_17partition_subalgoE8ElNS0_10empty_typeEbEEZZNS1_14partition_implILS5_8ELb0ES3_jPlPS6_PKS6_NS0_5tupleIJS9_S6_EEENSD_IJSA_SA_EEENS0_18inequality_wrapperIZN2at6native12_GLOBAL__N_124unique_dim_cuda_templateIiEESt5tupleIJNSH_6TensorESM_SM_EERKSM_lbbbEUlllE0_EEPmJS6_EEE10hipError_tPvRmT3_T4_T5_T6_T7_T9_mT8_P12ihipStream_tbDpT10_ENKUlT_T0_E_clISt17integral_constantIbLb0EES1C_EEDaS17_S18_EUlS17_E_NS1_11comp_targetILNS1_3genE0ELNS1_11target_archE4294967295ELNS1_3gpuE0ELNS1_3repE0EEENS1_30default_config_static_selectorELNS0_4arch9wavefront6targetE1EEEvT1_
; %bb.0:
	s_load_dwordx4 s[4:7], s[0:1], 0x8
	s_load_dwordx8 s[24:31], s[0:1], 0x40
	s_load_dwordx4 s[20:23], s[0:1], 0x60
	s_load_dword s3, s[0:1], 0x70
	v_lshlrev_b32_e32 v18, 3, v0
	s_waitcnt lgkmcnt(0)
	s_lshl_b64 s[8:9], s[6:7], 3
	s_add_u32 s12, s4, s8
	s_addc_u32 s13, s5, s9
	s_mul_i32 s8, s3, 0xe00
	s_add_i32 s10, s3, -1
	s_add_i32 s3, s8, s6
	s_sub_i32 s3, s28, s3
	s_add_u32 s8, s6, s8
	s_addc_u32 s9, s7, 0
	v_mov_b64_e32 v[2:3], s[8:9]
	s_cmp_eq_u32 s2, s10
	s_load_dwordx2 s[26:27], s[26:27], 0x0
	v_cmp_le_u64_e32 vcc, s[28:29], v[2:3]
	s_cselect_b64 s[28:29], -1, 0
	s_mul_i32 s4, s2, 0xe00
	s_mov_b32 s5, 0
	s_and_b64 s[8:9], s[28:29], vcc
	s_xor_b64 s[34:35], s[8:9], -1
	s_lshl_b64 s[4:5], s[4:5], 3
	s_add_u32 s4, s12, s4
	s_mov_b64 s[10:11], -1
	s_addc_u32 s5, s13, s5
	s_and_b64 vcc, exec, s[34:35]
	s_cbranch_vccz .LBB441_2
; %bb.1:
	v_lshlrev_b32_e32 v2, 3, v0
	v_mov_b32_e32 v3, 0
	v_lshl_add_u64 v[4:5], s[4:5], 0, v[2:3]
	v_add_co_u32_e32 v8, vcc, 0x1000, v4
	global_load_dwordx2 v[6:7], v2, s[4:5]
	s_nop 0
	v_addc_co_u32_e32 v9, vcc, 0, v5, vcc
	v_add_co_u32_e32 v10, vcc, 0x2000, v4
	s_mov_b64 s[10:11], 0
	s_nop 0
	v_addc_co_u32_e32 v11, vcc, 0, v5, vcc
	v_add_co_u32_e32 v12, vcc, 0x3000, v4
	s_nop 1
	v_addc_co_u32_e32 v13, vcc, 0, v5, vcc
	v_add_co_u32_e32 v14, vcc, 0x4000, v4
	s_nop 1
	v_addc_co_u32_e32 v15, vcc, 0, v5, vcc
	global_load_dwordx2 v[16:17], v[8:9], off
	global_load_dwordx2 v[20:21], v[10:11], off
	;; [unrolled: 1-line block ×4, first 2 shown]
	v_add_co_u32_e32 v8, vcc, 0x5000, v4
	s_nop 1
	v_addc_co_u32_e32 v9, vcc, 0, v5, vcc
	v_add_co_u32_e32 v4, vcc, 0x6000, v4
	s_nop 1
	v_addc_co_u32_e32 v5, vcc, 0, v5, vcc
	global_load_dwordx2 v[10:11], v[8:9], off
	global_load_dwordx2 v[12:13], v[4:5], off
	s_waitcnt vmcnt(5)
	ds_write2st64_b64 v2, v[6:7], v[16:17] offset1:8
	s_waitcnt vmcnt(3)
	ds_write2st64_b64 v2, v[20:21], v[22:23] offset0:16 offset1:24
	s_waitcnt vmcnt(1)
	ds_write2st64_b64 v2, v[24:25], v[10:11] offset0:32 offset1:40
	s_waitcnt vmcnt(0)
	ds_write_b64 v2, v[12:13] offset:24576
	s_waitcnt lgkmcnt(0)
	s_barrier
.LBB441_2:
	s_andn2_b64 vcc, exec, s[10:11]
	s_addk_i32 s3, 0xe00
	s_cbranch_vccnz .LBB441_18
; %bb.3:
	v_mov_b32_e32 v2, 0
	v_cmp_gt_u32_e32 vcc, s3, v0
	v_mov_b32_e32 v3, v2
	v_mov_b32_e32 v4, v2
	;; [unrolled: 1-line block ×13, first 2 shown]
	s_and_saveexec_b64 s[10:11], vcc
	s_cbranch_execz .LBB441_5
; %bb.4:
	v_lshlrev_b32_e32 v1, 3, v0
	global_load_dwordx2 v[4:5], v1, s[4:5]
	v_mov_b32_e32 v6, v2
	v_mov_b32_e32 v7, v2
	;; [unrolled: 1-line block ×12, first 2 shown]
	s_waitcnt vmcnt(0)
	v_mov_b64_e32 v[2:3], v[4:5]
	v_mov_b64_e32 v[4:5], v[6:7]
	;; [unrolled: 1-line block ×8, first 2 shown]
.LBB441_5:
	s_or_b64 exec, exec, s[10:11]
	v_or_b32_e32 v1, 0x200, v0
	v_cmp_gt_u32_e32 vcc, s3, v1
	s_and_saveexec_b64 s[10:11], vcc
	s_cbranch_execz .LBB441_7
; %bb.6:
	v_lshlrev_b32_e32 v1, 3, v1
	global_load_dwordx2 v[4:5], v1, s[4:5]
.LBB441_7:
	s_or_b64 exec, exec, s[10:11]
	v_or_b32_e32 v1, 0x400, v0
	v_cmp_gt_u32_e32 vcc, s3, v1
	s_and_saveexec_b64 s[10:11], vcc
	s_cbranch_execz .LBB441_9
; %bb.8:
	v_lshlrev_b32_e32 v1, 3, v1
	global_load_dwordx2 v[6:7], v1, s[4:5]
.LBB441_9:
	;; [unrolled: 9-line block ×6, first 2 shown]
	s_or_b64 exec, exec, s[10:11]
	v_lshlrev_b32_e32 v1, 3, v0
	s_waitcnt vmcnt(0)
	ds_write2st64_b64 v1, v[2:3], v[4:5] offset1:8
	ds_write2st64_b64 v1, v[6:7], v[8:9] offset0:16 offset1:24
	ds_write2st64_b64 v1, v[10:11], v[12:13] offset0:32 offset1:40
	ds_write_b64 v1, v[14:15] offset:24576
	s_waitcnt lgkmcnt(0)
	s_barrier
.LBB441_18:
	v_mul_u32_u24_e32 v1, 7, v0
	v_lshlrev_b32_e32 v24, 3, v1
	s_waitcnt lgkmcnt(0)
	ds_read2_b64 v[10:13], v24 offset1:1
	ds_read2_b64 v[6:9], v24 offset0:2 offset1:3
	ds_read2_b64 v[2:5], v24 offset0:4 offset1:5
	ds_read_b64 v[14:15], v24 offset:48
	s_cmp_lg_u32 s2, 0
	s_cselect_b64 s[16:17], -1, 0
	s_cmp_lg_u64 s[6:7], 0
	s_cselect_b64 s[6:7], -1, 0
	s_or_b64 s[6:7], s[16:17], s[6:7]
	s_mov_b64 s[10:11], 0
	s_and_b64 vcc, exec, s[6:7]
	v_cmp_gt_i64_e64 s[12:13], s[30:31], 0
	s_waitcnt lgkmcnt(0)
	s_barrier
	s_cbranch_vccz .LBB441_34
; %bb.19:
	s_add_u32 s4, s4, -8
	s_addc_u32 s5, s5, -1
	s_load_dwordx2 s[10:11], s[4:5], 0x0
	v_cndmask_b32_e64 v16, 0, 1, s[12:13]
	v_lshlrev_b32_e32 v25, 3, v0
	s_mov_b64 s[6:7], 0
	s_and_b64 vcc, exec, s[34:35]
	v_cmp_ne_u32_e64 s[4:5], 1, v16
	ds_write_b64 v25, v[14:15]
	s_cbranch_vccz .LBB441_36
; %bb.20:
	s_and_b64 vcc, exec, s[4:5]
	s_cbranch_vccnz .LBB441_37
; %bb.21:
	v_mul_lo_u32 v19, v5, s30
	v_mul_lo_u32 v20, v4, s31
	v_mad_u64_u32 v[16:17], s[6:7], v4, s30, 0
	v_add3_u32 v17, v17, v20, v19
	v_mul_lo_u32 v19, v15, s30
	v_mul_lo_u32 v22, v14, s31
	v_mad_u64_u32 v[20:21], s[6:7], v14, s30, 0
	s_add_u32 s14, s30, -1
	v_lshl_add_u64 v[16:17], v[16:17], 2, s[20:21]
	v_add3_u32 v21, v21, v22, v19
	s_addc_u32 s15, s31, -1
	v_lshl_add_u64 v[20:21], v[20:21], 2, s[20:21]
	s_mov_b64 s[18:19], 0
	s_mov_b64 s[36:37], s[14:15]
	v_mov_b64_e32 v[22:23], v[16:17]
                                        ; implicit-def: $sgpr12_sgpr13
.LBB441_22:                             ; =>This Inner Loop Header: Depth=1
	global_load_dword v19, v[22:23], off
	global_load_dword v26, v[20:21], off
	s_add_u32 s6, s36, -1
	s_addc_u32 s7, s37, -1
	s_cmp_eq_u64 s[36:37], 0
	s_mov_b64 s[36:37], s[6:7]
	s_cselect_b64 s[38:39], -1, 0
	v_lshl_add_u64 v[22:23], v[22:23], 0, 4
	v_lshl_add_u64 v[20:21], v[20:21], 0, 4
	s_waitcnt vmcnt(0)
	v_cmp_ne_u32_e64 s[6:7], v19, v26
	s_or_b64 s[6:7], s[6:7], s[38:39]
	s_and_b64 s[6:7], exec, s[6:7]
	v_cmp_eq_u32_e32 vcc, v19, v26
	s_or_b64 s[18:19], s[6:7], s[18:19]
	s_andn2_b64 s[6:7], s[12:13], exec
	s_and_b64 s[12:13], vcc, exec
	s_or_b64 s[12:13], s[6:7], s[12:13]
	s_andn2_b64 exec, exec, s[18:19]
	s_cbranch_execnz .LBB441_22
; %bb.23:
	s_or_b64 exec, exec, s[18:19]
	v_mul_lo_u32 v19, v3, s30
	v_mul_lo_u32 v22, v2, s31
	v_mad_u64_u32 v[20:21], s[6:7], v2, s30, 0
	v_add3_u32 v21, v21, v22, v19
	v_lshl_add_u64 v[20:21], v[20:21], 2, s[20:21]
	s_mov_b64 s[36:37], 0
	s_mov_b64 s[38:39], s[14:15]
	v_mov_b64_e32 v[22:23], v[20:21]
                                        ; implicit-def: $sgpr18_sgpr19
.LBB441_24:                             ; =>This Inner Loop Header: Depth=1
	global_load_dword v19, v[22:23], off
	global_load_dword v26, v[16:17], off
	s_add_u32 s6, s38, -1
	s_addc_u32 s7, s39, -1
	s_cmp_eq_u64 s[38:39], 0
	s_mov_b64 s[38:39], s[6:7]
	s_cselect_b64 s[40:41], -1, 0
	v_lshl_add_u64 v[22:23], v[22:23], 0, 4
	v_lshl_add_u64 v[16:17], v[16:17], 0, 4
	s_waitcnt vmcnt(0)
	v_cmp_ne_u32_e64 s[6:7], v19, v26
	s_or_b64 s[6:7], s[6:7], s[40:41]
	s_and_b64 s[6:7], exec, s[6:7]
	v_cmp_eq_u32_e32 vcc, v19, v26
	s_or_b64 s[36:37], s[6:7], s[36:37]
	s_andn2_b64 s[6:7], s[18:19], exec
	s_and_b64 s[18:19], vcc, exec
	s_or_b64 s[18:19], s[6:7], s[18:19]
	s_andn2_b64 exec, exec, s[36:37]
	s_cbranch_execnz .LBB441_24
; %bb.25:
	s_or_b64 exec, exec, s[36:37]
	v_mul_lo_u32 v19, v9, s30
	v_mul_lo_u32 v22, v8, s31
	v_mad_u64_u32 v[16:17], s[6:7], v8, s30, 0
	v_add3_u32 v17, v17, v22, v19
	v_lshl_add_u64 v[16:17], v[16:17], 2, s[20:21]
	s_mov_b64 s[38:39], 0
	s_mov_b64 s[40:41], s[14:15]
	v_mov_b64_e32 v[22:23], v[16:17]
                                        ; implicit-def: $sgpr36_sgpr37
.LBB441_26:                             ; =>This Inner Loop Header: Depth=1
	global_load_dword v19, v[22:23], off
	global_load_dword v26, v[20:21], off
	s_add_u32 s6, s40, -1
	s_addc_u32 s7, s41, -1
	s_cmp_eq_u64 s[40:41], 0
	s_mov_b64 s[40:41], s[6:7]
	s_cselect_b64 s[42:43], -1, 0
	v_lshl_add_u64 v[22:23], v[22:23], 0, 4
	v_lshl_add_u64 v[20:21], v[20:21], 0, 4
	s_waitcnt vmcnt(0)
	v_cmp_ne_u32_e64 s[6:7], v19, v26
	s_or_b64 s[6:7], s[6:7], s[42:43]
	s_and_b64 s[6:7], exec, s[6:7]
	v_cmp_eq_u32_e32 vcc, v19, v26
	s_or_b64 s[38:39], s[6:7], s[38:39]
	s_andn2_b64 s[6:7], s[36:37], exec
	s_and_b64 s[36:37], vcc, exec
	s_or_b64 s[36:37], s[6:7], s[36:37]
	s_andn2_b64 exec, exec, s[38:39]
	s_cbranch_execnz .LBB441_26
; %bb.27:
	s_or_b64 exec, exec, s[38:39]
	v_mul_lo_u32 v19, v7, s30
	v_mul_lo_u32 v22, v6, s31
	v_mad_u64_u32 v[20:21], s[6:7], v6, s30, 0
	v_add3_u32 v21, v21, v22, v19
	v_lshl_add_u64 v[20:21], v[20:21], 2, s[20:21]
	s_mov_b64 s[40:41], 0
	s_mov_b64 s[42:43], s[14:15]
	v_mov_b64_e32 v[22:23], v[20:21]
                                        ; implicit-def: $sgpr38_sgpr39
.LBB441_28:                             ; =>This Inner Loop Header: Depth=1
	global_load_dword v19, v[22:23], off
	global_load_dword v26, v[16:17], off
	s_add_u32 s6, s42, -1
	s_addc_u32 s7, s43, -1
	s_cmp_eq_u64 s[42:43], 0
	s_mov_b64 s[42:43], s[6:7]
	s_cselect_b64 s[44:45], -1, 0
	v_lshl_add_u64 v[22:23], v[22:23], 0, 4
	v_lshl_add_u64 v[16:17], v[16:17], 0, 4
	s_waitcnt vmcnt(0)
	v_cmp_ne_u32_e64 s[6:7], v19, v26
	s_or_b64 s[6:7], s[6:7], s[44:45]
	s_and_b64 s[6:7], exec, s[6:7]
	v_cmp_eq_u32_e32 vcc, v19, v26
	s_or_b64 s[40:41], s[6:7], s[40:41]
	s_andn2_b64 s[6:7], s[38:39], exec
	s_and_b64 s[38:39], vcc, exec
	s_or_b64 s[38:39], s[6:7], s[38:39]
	s_andn2_b64 exec, exec, s[40:41]
	s_cbranch_execnz .LBB441_28
; %bb.29:
	s_or_b64 exec, exec, s[40:41]
	v_mul_lo_u32 v19, v13, s30
	v_mul_lo_u32 v22, v12, s31
	v_mad_u64_u32 v[16:17], s[6:7], v12, s30, 0
	v_add3_u32 v17, v17, v22, v19
	v_lshl_add_u64 v[16:17], v[16:17], 2, s[20:21]
	s_mov_b64 s[42:43], 0
	s_mov_b64 s[44:45], s[14:15]
	v_mov_b64_e32 v[22:23], v[16:17]
                                        ; implicit-def: $sgpr40_sgpr41
.LBB441_30:                             ; =>This Inner Loop Header: Depth=1
	global_load_dword v19, v[22:23], off
	global_load_dword v26, v[20:21], off
	s_add_u32 s6, s44, -1
	s_addc_u32 s7, s45, -1
	s_cmp_eq_u64 s[44:45], 0
	s_mov_b64 s[44:45], s[6:7]
	s_cselect_b64 s[46:47], -1, 0
	v_lshl_add_u64 v[22:23], v[22:23], 0, 4
	v_lshl_add_u64 v[20:21], v[20:21], 0, 4
	s_waitcnt vmcnt(0)
	v_cmp_ne_u32_e64 s[6:7], v19, v26
	s_or_b64 s[6:7], s[6:7], s[46:47]
	s_and_b64 s[6:7], exec, s[6:7]
	v_cmp_eq_u32_e32 vcc, v19, v26
	s_or_b64 s[42:43], s[6:7], s[42:43]
	s_andn2_b64 s[6:7], s[40:41], exec
	s_and_b64 s[40:41], vcc, exec
	s_or_b64 s[40:41], s[6:7], s[40:41]
	s_andn2_b64 exec, exec, s[42:43]
	s_cbranch_execnz .LBB441_30
; %bb.31:
	s_or_b64 exec, exec, s[42:43]
	v_mul_lo_u32 v19, v11, s30
	v_mul_lo_u32 v22, v10, s31
	v_mad_u64_u32 v[20:21], s[6:7], v10, s30, 0
	v_add3_u32 v21, v21, v22, v19
	v_lshl_add_u64 v[20:21], v[20:21], 2, s[20:21]
	s_mov_b64 s[44:45], 0
                                        ; implicit-def: $sgpr42_sgpr43
.LBB441_32:                             ; =>This Inner Loop Header: Depth=1
	global_load_dword v19, v[20:21], off
	global_load_dword v22, v[16:17], off
	s_add_u32 s6, s14, -1
	s_addc_u32 s7, s15, -1
	s_cmp_eq_u64 s[14:15], 0
	s_mov_b64 s[14:15], s[6:7]
	s_cselect_b64 s[46:47], -1, 0
	v_lshl_add_u64 v[20:21], v[20:21], 0, 4
	v_lshl_add_u64 v[16:17], v[16:17], 0, 4
	s_waitcnt vmcnt(0)
	v_cmp_ne_u32_e64 s[6:7], v19, v22
	s_or_b64 s[6:7], s[6:7], s[46:47]
	s_and_b64 s[6:7], exec, s[6:7]
	v_cmp_eq_u32_e32 vcc, v19, v22
	s_or_b64 s[44:45], s[6:7], s[44:45]
	s_andn2_b64 s[6:7], s[42:43], exec
	s_and_b64 s[42:43], vcc, exec
	s_or_b64 s[42:43], s[6:7], s[42:43]
	s_andn2_b64 exec, exec, s[44:45]
	s_cbranch_execnz .LBB441_32
; %bb.33:
	s_or_b64 exec, exec, s[44:45]
	s_xor_b64 s[6:7], s[18:19], -1
	v_cndmask_b32_e64 v40, 0, 1, s[6:7]
	s_xor_b64 s[6:7], s[38:39], -1
	v_cndmask_b32_e64 v16, 0, 1, s[6:7]
	v_lshlrev_b16_e32 v16, 8, v16
	s_xor_b64 s[6:7], s[12:13], -1
	v_lshrrev_b32_e32 v16, 8, v16
	v_mov_b32_e32 v20, 1
	s_xor_b64 s[12:13], s[40:41], -1
	v_cndmask_b32_e64 v19, 0, 1, s[6:7]
	s_xor_b64 s[6:7], s[36:37], -1
	v_and_b32_sdwa v16, v16, v20 dst_sel:BYTE_1 dst_unused:UNUSED_PAD src0_sel:DWORD src1_sel:DWORD
	v_cndmask_b32_e64 v20, 0, 1, s[12:13]
	v_cndmask_b32_e64 v17, 0, 1, s[6:7]
	s_xor_b64 s[6:7], s[42:43], -1
	v_or_b32_sdwa v22, v20, v16 dst_sel:WORD_1 dst_unused:UNUSED_PAD src0_sel:DWORD src1_sel:DWORD
	s_branch .LBB441_38
.LBB441_34:
                                        ; implicit-def: $sgpr6_sgpr7
                                        ; implicit-def: $vgpr19
                                        ; implicit-def: $vgpr40
                                        ; implicit-def: $vgpr17
                                        ; implicit-def: $vgpr21
	s_branch .LBB441_91
.LBB441_35:
                                        ; implicit-def: $vgpr42
                                        ; implicit-def: $vgpr41
                                        ; implicit-def: $vgpr20
	s_branch .LBB441_160
.LBB441_36:
                                        ; implicit-def: $sgpr6_sgpr7
                                        ; implicit-def: $vgpr19
                                        ; implicit-def: $vgpr40
                                        ; implicit-def: $vgpr17
                                        ; implicit-def: $vgpr21
	s_cbranch_execnz .LBB441_45
	s_branch .LBB441_90
.LBB441_37:
	v_mov_b32_e32 v22, 0
	v_mov_b32_e32 v19, 0
	;; [unrolled: 1-line block ×4, first 2 shown]
.LBB441_38:
	v_cmp_ne_u32_e32 vcc, 0, v0
	s_waitcnt lgkmcnt(0)
	v_mov_b64_e32 v[20:21], s[10:11]
	s_barrier
	s_and_saveexec_b64 s[12:13], vcc
; %bb.39:
	v_add_u32_e32 v16, -8, v25
	ds_read_b64 v[20:21], v16
; %bb.40:
	s_or_b64 exec, exec, s[12:13]
	v_cndmask_b32_e64 v23, 0, 1, s[6:7]
	v_lshrrev_b32_e32 v16, 16, v22
	s_mov_b32 s6, 0xc0c0304
	v_perm_b32 v16, v16, v22, s6
	v_lshlrev_b16_e32 v23, 8, v23
	s_movk_i32 s6, 0xff
	v_bitop3_b16 v22, v22, v23, s6 bitop3:0xec
	v_and_b32_e32 v26, 0xffff, v22
	s_mov_b64 s[12:13], 0
	s_and_b64 vcc, exec, s[4:5]
	s_mov_b64 s[6:7], 0
	s_cbranch_vccnz .LBB441_44
; %bb.41:
	s_waitcnt lgkmcnt(0)
	v_mul_lo_u32 v22, v21, s30
	v_mul_lo_u32 v23, v20, s31
	v_mad_u64_u32 v[20:21], s[6:7], v20, s30, 0
	v_add3_u32 v21, v21, v23, v22
	v_mul_lo_u32 v27, v11, s30
	v_mul_lo_u32 v28, v10, s31
	v_mad_u64_u32 v[22:23], s[6:7], v10, s30, 0
	v_add3_u32 v23, v23, v28, v27
	s_add_u32 s36, s30, -1
	v_lshl_add_u64 v[20:21], v[20:21], 2, s[20:21]
	v_lshl_add_u64 v[22:23], v[22:23], 2, s[20:21]
	s_addc_u32 s37, s31, -1
	s_mov_b64 s[14:15], 0
                                        ; implicit-def: $sgpr18_sgpr19
.LBB441_42:                             ; =>This Inner Loop Header: Depth=1
	global_load_dword v27, v[20:21], off
	global_load_dword v28, v[22:23], off
	s_add_u32 s6, s36, -1
	s_addc_u32 s7, s37, -1
	s_cmp_eq_u64 s[36:37], 0
	s_mov_b64 s[36:37], s[6:7]
	s_cselect_b64 s[38:39], -1, 0
	v_lshl_add_u64 v[20:21], v[20:21], 0, 4
	v_lshl_add_u64 v[22:23], v[22:23], 0, 4
	s_waitcnt vmcnt(0)
	v_cmp_ne_u32_e64 s[6:7], v27, v28
	s_or_b64 s[6:7], s[6:7], s[38:39]
	s_and_b64 s[6:7], exec, s[6:7]
	v_cmp_eq_u32_e32 vcc, v27, v28
	s_or_b64 s[14:15], s[6:7], s[14:15]
	s_andn2_b64 s[6:7], s[18:19], exec
	s_and_b64 s[18:19], vcc, exec
	s_or_b64 s[18:19], s[6:7], s[18:19]
	s_andn2_b64 exec, exec, s[14:15]
	s_cbranch_execnz .LBB441_42
; %bb.43:
	s_or_b64 exec, exec, s[14:15]
	s_xor_b64 s[6:7], s[18:19], -1
.LBB441_44:
	s_waitcnt lgkmcnt(0)
	v_lshl_or_b32 v21, v16, 16, v26
	s_and_b64 vcc, exec, s[12:13]
	s_cbranch_vccz .LBB441_90
.LBB441_45:
	v_add_u32_e32 v16, 6, v1
	v_cmp_gt_u32_e32 vcc, s3, v16
	s_mov_b64 s[14:15], 0
	s_mov_b64 s[12:13], 0
	s_and_saveexec_b64 s[18:19], vcc
	s_cbranch_execz .LBB441_51
; %bb.46:
	s_and_b64 vcc, exec, s[4:5]
	s_mov_b64 s[6:7], 0
	s_cbranch_vccnz .LBB441_50
; %bb.47:
	v_mul_lo_u32 v19, v5, s30
	v_mul_lo_u32 v20, v4, s31
	v_mad_u64_u32 v[16:17], s[6:7], v4, s30, 0
	v_add3_u32 v17, v17, v20, v19
	v_mul_lo_u32 v19, v15, s30
	v_mul_lo_u32 v22, v14, s31
	v_mad_u64_u32 v[20:21], s[6:7], v14, s30, 0
	v_add3_u32 v21, v21, v22, v19
	s_add_u32 s38, s30, -1
	v_lshl_add_u64 v[16:17], v[16:17], 2, s[20:21]
	v_lshl_add_u64 v[20:21], v[20:21], 2, s[20:21]
	s_addc_u32 s39, s31, -1
                                        ; implicit-def: $sgpr36_sgpr37
.LBB441_48:                             ; =>This Inner Loop Header: Depth=1
	global_load_dword v19, v[16:17], off
	global_load_dword v22, v[20:21], off
	s_add_u32 s6, s38, -1
	s_addc_u32 s7, s39, -1
	s_cmp_eq_u64 s[38:39], 0
	s_mov_b64 s[38:39], s[6:7]
	s_cselect_b64 s[40:41], -1, 0
	v_lshl_add_u64 v[16:17], v[16:17], 0, 4
	v_lshl_add_u64 v[20:21], v[20:21], 0, 4
	s_waitcnt vmcnt(0)
	v_cmp_ne_u32_e64 s[6:7], v19, v22
	s_or_b64 s[6:7], s[6:7], s[40:41]
	s_and_b64 s[6:7], exec, s[6:7]
	v_cmp_eq_u32_e32 vcc, v19, v22
	s_or_b64 s[12:13], s[6:7], s[12:13]
	s_andn2_b64 s[6:7], s[36:37], exec
	s_and_b64 s[36:37], vcc, exec
	s_or_b64 s[36:37], s[6:7], s[36:37]
	s_andn2_b64 exec, exec, s[12:13]
	s_cbranch_execnz .LBB441_48
; %bb.49:
	s_or_b64 exec, exec, s[12:13]
	s_xor_b64 s[6:7], s[36:37], -1
.LBB441_50:
	s_and_b64 s[12:13], s[6:7], exec
.LBB441_51:
	s_or_b64 exec, exec, s[18:19]
	v_add_u32_e32 v16, 5, v1
	v_cmp_gt_u32_e32 vcc, s3, v16
	s_and_saveexec_b64 s[18:19], vcc
	s_cbranch_execz .LBB441_57
; %bb.52:
	s_and_b64 vcc, exec, s[4:5]
	s_mov_b64 s[6:7], 0
	s_cbranch_vccnz .LBB441_56
; %bb.53:
	v_mul_lo_u32 v19, v3, s30
	v_mul_lo_u32 v20, v2, s31
	v_mad_u64_u32 v[16:17], s[6:7], v2, s30, 0
	v_add3_u32 v17, v17, v20, v19
	v_mul_lo_u32 v19, v5, s30
	v_mul_lo_u32 v22, v4, s31
	v_mad_u64_u32 v[20:21], s[6:7], v4, s30, 0
	v_add3_u32 v21, v21, v22, v19
	s_add_u32 s38, s30, -1
	v_lshl_add_u64 v[16:17], v[16:17], 2, s[20:21]
	v_lshl_add_u64 v[20:21], v[20:21], 2, s[20:21]
	s_addc_u32 s39, s31, -1
	s_mov_b64 s[14:15], 0
                                        ; implicit-def: $sgpr36_sgpr37
.LBB441_54:                             ; =>This Inner Loop Header: Depth=1
	global_load_dword v19, v[16:17], off
	global_load_dword v22, v[20:21], off
	s_add_u32 s6, s38, -1
	s_addc_u32 s7, s39, -1
	s_cmp_eq_u64 s[38:39], 0
	s_mov_b64 s[38:39], s[6:7]
	s_cselect_b64 s[40:41], -1, 0
	v_lshl_add_u64 v[16:17], v[16:17], 0, 4
	v_lshl_add_u64 v[20:21], v[20:21], 0, 4
	s_waitcnt vmcnt(0)
	v_cmp_ne_u32_e64 s[6:7], v19, v22
	s_or_b64 s[6:7], s[6:7], s[40:41]
	s_and_b64 s[6:7], exec, s[6:7]
	v_cmp_eq_u32_e32 vcc, v19, v22
	s_or_b64 s[14:15], s[6:7], s[14:15]
	s_andn2_b64 s[6:7], s[36:37], exec
	s_and_b64 s[36:37], vcc, exec
	s_or_b64 s[36:37], s[6:7], s[36:37]
	s_andn2_b64 exec, exec, s[14:15]
	s_cbranch_execnz .LBB441_54
; %bb.55:
	s_or_b64 exec, exec, s[14:15]
	s_xor_b64 s[6:7], s[36:37], -1
.LBB441_56:
	s_and_b64 s[14:15], s[6:7], exec
.LBB441_57:
	s_or_b64 exec, exec, s[18:19]
	v_add_u32_e32 v16, 4, v1
	v_cmp_gt_u32_e32 vcc, s3, v16
	s_mov_b64 s[36:37], 0
	s_mov_b64 s[18:19], 0
	s_and_saveexec_b64 s[38:39], vcc
	s_cbranch_execz .LBB441_63
; %bb.58:
	s_and_b64 vcc, exec, s[4:5]
	s_mov_b64 s[6:7], 0
	s_cbranch_vccnz .LBB441_62
; %bb.59:
	v_mul_lo_u32 v19, v9, s30
	v_mul_lo_u32 v20, v8, s31
	v_mad_u64_u32 v[16:17], s[6:7], v8, s30, 0
	v_add3_u32 v17, v17, v20, v19
	v_mul_lo_u32 v19, v3, s30
	v_mul_lo_u32 v22, v2, s31
	v_mad_u64_u32 v[20:21], s[6:7], v2, s30, 0
	v_add3_u32 v21, v21, v22, v19
	s_add_u32 s42, s30, -1
	v_lshl_add_u64 v[16:17], v[16:17], 2, s[20:21]
	v_lshl_add_u64 v[20:21], v[20:21], 2, s[20:21]
	s_addc_u32 s43, s31, -1
                                        ; implicit-def: $sgpr40_sgpr41
.LBB441_60:                             ; =>This Inner Loop Header: Depth=1
	global_load_dword v19, v[16:17], off
	global_load_dword v22, v[20:21], off
	s_add_u32 s6, s42, -1
	s_addc_u32 s7, s43, -1
	s_cmp_eq_u64 s[42:43], 0
	s_mov_b64 s[42:43], s[6:7]
	s_cselect_b64 s[44:45], -1, 0
	v_lshl_add_u64 v[16:17], v[16:17], 0, 4
	v_lshl_add_u64 v[20:21], v[20:21], 0, 4
	s_waitcnt vmcnt(0)
	v_cmp_ne_u32_e64 s[6:7], v19, v22
	s_or_b64 s[6:7], s[6:7], s[44:45]
	s_and_b64 s[6:7], exec, s[6:7]
	v_cmp_eq_u32_e32 vcc, v19, v22
	s_or_b64 s[18:19], s[6:7], s[18:19]
	s_andn2_b64 s[6:7], s[40:41], exec
	s_and_b64 s[40:41], vcc, exec
	s_or_b64 s[40:41], s[6:7], s[40:41]
	s_andn2_b64 exec, exec, s[18:19]
	s_cbranch_execnz .LBB441_60
; %bb.61:
	s_or_b64 exec, exec, s[18:19]
	s_xor_b64 s[6:7], s[40:41], -1
.LBB441_62:
	s_and_b64 s[18:19], s[6:7], exec
.LBB441_63:
	s_or_b64 exec, exec, s[38:39]
	v_add_u32_e32 v16, 3, v1
	v_cmp_gt_u32_e32 vcc, s3, v16
	s_and_saveexec_b64 s[38:39], vcc
	s_cbranch_execz .LBB441_69
; %bb.64:
	s_and_b64 vcc, exec, s[4:5]
	s_mov_b64 s[6:7], 0
	s_cbranch_vccnz .LBB441_68
; %bb.65:
	v_mul_lo_u32 v19, v7, s30
	v_mul_lo_u32 v20, v6, s31
	v_mad_u64_u32 v[16:17], s[6:7], v6, s30, 0
	v_add3_u32 v17, v17, v20, v19
	v_mul_lo_u32 v19, v9, s30
	v_mul_lo_u32 v22, v8, s31
	v_mad_u64_u32 v[20:21], s[6:7], v8, s30, 0
	v_add3_u32 v21, v21, v22, v19
	s_add_u32 s42, s30, -1
	v_lshl_add_u64 v[16:17], v[16:17], 2, s[20:21]
	v_lshl_add_u64 v[20:21], v[20:21], 2, s[20:21]
	s_addc_u32 s43, s31, -1
	s_mov_b64 s[36:37], 0
                                        ; implicit-def: $sgpr40_sgpr41
.LBB441_66:                             ; =>This Inner Loop Header: Depth=1
	global_load_dword v19, v[16:17], off
	global_load_dword v22, v[20:21], off
	s_add_u32 s6, s42, -1
	s_addc_u32 s7, s43, -1
	s_cmp_eq_u64 s[42:43], 0
	s_mov_b64 s[42:43], s[6:7]
	s_cselect_b64 s[44:45], -1, 0
	v_lshl_add_u64 v[16:17], v[16:17], 0, 4
	v_lshl_add_u64 v[20:21], v[20:21], 0, 4
	s_waitcnt vmcnt(0)
	v_cmp_ne_u32_e64 s[6:7], v19, v22
	s_or_b64 s[6:7], s[6:7], s[44:45]
	s_and_b64 s[6:7], exec, s[6:7]
	v_cmp_eq_u32_e32 vcc, v19, v22
	s_or_b64 s[36:37], s[6:7], s[36:37]
	s_andn2_b64 s[6:7], s[40:41], exec
	s_and_b64 s[40:41], vcc, exec
	s_or_b64 s[40:41], s[6:7], s[40:41]
	s_andn2_b64 exec, exec, s[36:37]
	s_cbranch_execnz .LBB441_66
; %bb.67:
	s_or_b64 exec, exec, s[36:37]
	s_xor_b64 s[6:7], s[40:41], -1
.LBB441_68:
	s_and_b64 s[36:37], s[6:7], exec
.LBB441_69:
	s_or_b64 exec, exec, s[38:39]
	v_add_u32_e32 v16, 2, v1
	v_cmp_gt_u32_e32 vcc, s3, v16
	s_mov_b64 s[38:39], 0
	s_mov_b64 s[40:41], 0
	s_and_saveexec_b64 s[42:43], vcc
	s_cbranch_execz .LBB441_75
; %bb.70:
	s_and_b64 vcc, exec, s[4:5]
	s_mov_b64 s[6:7], 0
	s_cbranch_vccnz .LBB441_74
; %bb.71:
	v_mul_lo_u32 v19, v13, s30
	v_mul_lo_u32 v20, v12, s31
	v_mad_u64_u32 v[16:17], s[6:7], v12, s30, 0
	v_add3_u32 v17, v17, v20, v19
	v_mul_lo_u32 v19, v7, s30
	v_mul_lo_u32 v22, v6, s31
	v_mad_u64_u32 v[20:21], s[6:7], v6, s30, 0
	v_add3_u32 v21, v21, v22, v19
	s_add_u32 s46, s30, -1
	v_lshl_add_u64 v[16:17], v[16:17], 2, s[20:21]
	v_lshl_add_u64 v[20:21], v[20:21], 2, s[20:21]
	s_addc_u32 s47, s31, -1
                                        ; implicit-def: $sgpr44_sgpr45
.LBB441_72:                             ; =>This Inner Loop Header: Depth=1
	global_load_dword v19, v[16:17], off
	global_load_dword v22, v[20:21], off
	s_add_u32 s6, s46, -1
	s_addc_u32 s7, s47, -1
	s_cmp_eq_u64 s[46:47], 0
	s_mov_b64 s[46:47], s[6:7]
	s_cselect_b64 s[48:49], -1, 0
	v_lshl_add_u64 v[16:17], v[16:17], 0, 4
	v_lshl_add_u64 v[20:21], v[20:21], 0, 4
	s_waitcnt vmcnt(0)
	v_cmp_ne_u32_e64 s[6:7], v19, v22
	s_or_b64 s[6:7], s[6:7], s[48:49]
	s_and_b64 s[6:7], exec, s[6:7]
	v_cmp_eq_u32_e32 vcc, v19, v22
	s_or_b64 s[40:41], s[6:7], s[40:41]
	s_andn2_b64 s[6:7], s[44:45], exec
	s_and_b64 s[44:45], vcc, exec
	s_or_b64 s[44:45], s[6:7], s[44:45]
	s_andn2_b64 exec, exec, s[40:41]
	s_cbranch_execnz .LBB441_72
; %bb.73:
	s_or_b64 exec, exec, s[40:41]
	s_xor_b64 s[6:7], s[44:45], -1
.LBB441_74:
	s_and_b64 s[40:41], s[6:7], exec
.LBB441_75:
	s_or_b64 exec, exec, s[42:43]
	v_add_u32_e32 v16, 1, v1
	v_cmp_gt_u32_e32 vcc, s3, v16
	s_and_saveexec_b64 s[42:43], vcc
	s_cbranch_execz .LBB441_81
; %bb.76:
	s_and_b64 vcc, exec, s[4:5]
	s_mov_b64 s[6:7], 0
	s_cbranch_vccnz .LBB441_80
; %bb.77:
	v_mul_lo_u32 v19, v11, s30
	v_mul_lo_u32 v20, v10, s31
	v_mad_u64_u32 v[16:17], s[6:7], v10, s30, 0
	v_add3_u32 v17, v17, v20, v19
	v_mul_lo_u32 v19, v13, s30
	v_mul_lo_u32 v22, v12, s31
	v_mad_u64_u32 v[20:21], s[6:7], v12, s30, 0
	v_add3_u32 v21, v21, v22, v19
	s_add_u32 s46, s30, -1
	v_lshl_add_u64 v[16:17], v[16:17], 2, s[20:21]
	v_lshl_add_u64 v[20:21], v[20:21], 2, s[20:21]
	s_addc_u32 s47, s31, -1
	s_mov_b64 s[38:39], 0
                                        ; implicit-def: $sgpr44_sgpr45
.LBB441_78:                             ; =>This Inner Loop Header: Depth=1
	global_load_dword v19, v[16:17], off
	global_load_dword v22, v[20:21], off
	s_add_u32 s6, s46, -1
	s_addc_u32 s7, s47, -1
	s_cmp_eq_u64 s[46:47], 0
	s_mov_b64 s[46:47], s[6:7]
	s_cselect_b64 s[48:49], -1, 0
	v_lshl_add_u64 v[16:17], v[16:17], 0, 4
	v_lshl_add_u64 v[20:21], v[20:21], 0, 4
	s_waitcnt vmcnt(0)
	v_cmp_ne_u32_e64 s[6:7], v19, v22
	s_or_b64 s[6:7], s[6:7], s[48:49]
	s_and_b64 s[6:7], exec, s[6:7]
	v_cmp_eq_u32_e32 vcc, v19, v22
	s_or_b64 s[38:39], s[6:7], s[38:39]
	s_andn2_b64 s[6:7], s[44:45], exec
	s_and_b64 s[44:45], vcc, exec
	s_or_b64 s[44:45], s[6:7], s[44:45]
	s_andn2_b64 exec, exec, s[38:39]
	s_cbranch_execnz .LBB441_78
; %bb.79:
	s_or_b64 exec, exec, s[38:39]
	s_xor_b64 s[6:7], s[44:45], -1
.LBB441_80:
	s_and_b64 s[38:39], s[6:7], exec
.LBB441_81:
	s_or_b64 exec, exec, s[42:43]
	v_cmp_ne_u32_e32 vcc, 0, v0
	s_waitcnt lgkmcnt(0)
	v_mov_b64_e32 v[16:17], s[10:11]
	s_barrier
	s_and_saveexec_b64 s[6:7], vcc
; %bb.82:
	v_add_u32_e32 v16, -8, v25
	ds_read_b64 v[16:17], v16
; %bb.83:
	s_or_b64 exec, exec, s[6:7]
	v_cndmask_b32_e64 v20, 0, 1, s[36:37]
	v_cndmask_b32_e64 v19, 0, 1, s[40:41]
	;; [unrolled: 1-line block ×3, first 2 shown]
	v_lshlrev_b16_e32 v20, 8, v20
	v_cmp_gt_u32_e32 vcc, s3, v1
	v_lshlrev_b16_e32 v22, 8, v21
	v_or_b32_sdwa v23, v19, v20 dst_sel:WORD_1 dst_unused:UNUSED_PAD src0_sel:DWORD src1_sel:DWORD
	s_mov_b64 s[6:7], 0
	s_and_saveexec_b64 s[10:11], vcc
	s_cbranch_execz .LBB441_89
; %bb.84:
	s_and_b64 vcc, exec, s[4:5]
	s_mov_b64 s[4:5], 0
	s_cbranch_vccnz .LBB441_88
; %bb.85:
	s_waitcnt lgkmcnt(0)
	v_mul_lo_u32 v19, v17, s30
	v_mul_lo_u32 v20, v16, s31
	v_mad_u64_u32 v[16:17], s[4:5], v16, s30, 0
	v_add3_u32 v17, v17, v20, v19
	v_mul_lo_u32 v19, v11, s30
	v_mul_lo_u32 v25, v10, s31
	v_mad_u64_u32 v[20:21], s[4:5], v10, s30, 0
	v_add3_u32 v21, v21, v25, v19
	s_add_u32 s38, s30, -1
	v_lshl_add_u64 v[16:17], v[16:17], 2, s[20:21]
	v_lshl_add_u64 v[20:21], v[20:21], 2, s[20:21]
	s_addc_u32 s39, s31, -1
                                        ; implicit-def: $sgpr36_sgpr37
.LBB441_86:                             ; =>This Inner Loop Header: Depth=1
	global_load_dword v19, v[16:17], off
	global_load_dword v25, v[20:21], off
	s_add_u32 s4, s38, -1
	s_addc_u32 s5, s39, -1
	s_cmp_eq_u64 s[38:39], 0
	s_mov_b64 s[38:39], s[4:5]
	s_cselect_b64 s[40:41], -1, 0
	v_lshl_add_u64 v[16:17], v[16:17], 0, 4
	v_lshl_add_u64 v[20:21], v[20:21], 0, 4
	s_waitcnt vmcnt(0)
	v_cmp_ne_u32_e64 s[4:5], v19, v25
	s_or_b64 s[4:5], s[4:5], s[40:41]
	s_and_b64 s[4:5], exec, s[4:5]
	v_cmp_eq_u32_e32 vcc, v19, v25
	s_or_b64 s[6:7], s[4:5], s[6:7]
	s_andn2_b64 s[4:5], s[36:37], exec
	s_and_b64 s[36:37], vcc, exec
	s_or_b64 s[36:37], s[4:5], s[36:37]
	s_andn2_b64 exec, exec, s[6:7]
	s_cbranch_execnz .LBB441_86
; %bb.87:
	s_or_b64 exec, exec, s[6:7]
	s_xor_b64 s[4:5], s[36:37], -1
.LBB441_88:
	s_and_b64 s[6:7], s[4:5], exec
.LBB441_89:
	s_or_b64 exec, exec, s[10:11]
	s_waitcnt lgkmcnt(0)
	v_cndmask_b32_e64 v17, 0, 1, s[18:19]
	v_cndmask_b32_e64 v40, 0, 1, s[14:15]
	;; [unrolled: 1-line block ×3, first 2 shown]
	v_or_b32_e32 v21, v22, v23
.LBB441_90:
	s_waitcnt lgkmcnt(0)
	s_mov_b64 s[10:11], -1
	s_cbranch_execnz .LBB441_35
.LBB441_91:
	s_movk_i32 s4, 0xffd0
	v_mad_i32_i24 v26, v0, s4, v24
	s_mov_b64 s[6:7], 0
	v_cmp_gt_i64_e64 s[12:13], s[30:31], 0
	s_and_b64 vcc, exec, s[34:35]
	ds_write_b64 v26, v[14:15]
	s_cbranch_vccz .LBB441_106
; %bb.92:
	v_cndmask_b32_e64 v16, 0, 1, s[12:13]
	v_cmp_ne_u32_e64 s[4:5], 1, v16
	s_andn2_b64 vcc, exec, s[12:13]
	s_cbranch_vccnz .LBB441_107
; %bb.93:
	v_mul_lo_u32 v19, v5, s30
	v_mul_lo_u32 v20, v4, s31
	v_mad_u64_u32 v[16:17], s[6:7], v4, s30, 0
	v_add3_u32 v17, v17, v20, v19
	v_mul_lo_u32 v19, v15, s30
	v_mul_lo_u32 v22, v14, s31
	v_mad_u64_u32 v[20:21], s[6:7], v14, s30, 0
	s_add_u32 s18, s30, -1
	v_lshl_add_u64 v[16:17], v[16:17], 2, s[20:21]
	v_add3_u32 v21, v21, v22, v19
	s_addc_u32 s19, s31, -1
	v_lshl_add_u64 v[20:21], v[20:21], 2, s[20:21]
	s_mov_b64 s[36:37], 0
	s_mov_b64 s[38:39], s[18:19]
	v_mov_b64_e32 v[22:23], v[16:17]
                                        ; implicit-def: $sgpr14_sgpr15
.LBB441_94:                             ; =>This Inner Loop Header: Depth=1
	global_load_dword v19, v[22:23], off
	global_load_dword v24, v[20:21], off
	s_add_u32 s6, s38, -1
	s_addc_u32 s7, s39, -1
	s_cmp_eq_u64 s[38:39], 0
	s_mov_b64 s[38:39], s[6:7]
	s_cselect_b64 s[40:41], -1, 0
	v_lshl_add_u64 v[22:23], v[22:23], 0, 4
	v_lshl_add_u64 v[20:21], v[20:21], 0, 4
	s_waitcnt vmcnt(0)
	v_cmp_ne_u32_e64 s[6:7], v19, v24
	s_or_b64 s[6:7], s[6:7], s[40:41]
	s_and_b64 s[6:7], exec, s[6:7]
	v_cmp_eq_u32_e32 vcc, v19, v24
	s_or_b64 s[36:37], s[6:7], s[36:37]
	s_andn2_b64 s[6:7], s[14:15], exec
	s_and_b64 s[14:15], vcc, exec
	s_or_b64 s[14:15], s[6:7], s[14:15]
	s_andn2_b64 exec, exec, s[36:37]
	s_cbranch_execnz .LBB441_94
; %bb.95:
	s_or_b64 exec, exec, s[36:37]
	v_mul_lo_u32 v19, v3, s30
	v_mul_lo_u32 v22, v2, s31
	v_mad_u64_u32 v[20:21], s[6:7], v2, s30, 0
	v_add3_u32 v21, v21, v22, v19
	v_lshl_add_u64 v[20:21], v[20:21], 2, s[20:21]
	s_mov_b64 s[38:39], 0
	s_mov_b64 s[40:41], s[18:19]
	v_mov_b64_e32 v[22:23], v[20:21]
                                        ; implicit-def: $sgpr36_sgpr37
.LBB441_96:                             ; =>This Inner Loop Header: Depth=1
	global_load_dword v19, v[22:23], off
	global_load_dword v24, v[16:17], off
	s_add_u32 s6, s40, -1
	s_addc_u32 s7, s41, -1
	s_cmp_eq_u64 s[40:41], 0
	s_mov_b64 s[40:41], s[6:7]
	s_cselect_b64 s[42:43], -1, 0
	v_lshl_add_u64 v[22:23], v[22:23], 0, 4
	v_lshl_add_u64 v[16:17], v[16:17], 0, 4
	s_waitcnt vmcnt(0)
	v_cmp_ne_u32_e64 s[6:7], v19, v24
	s_or_b64 s[6:7], s[6:7], s[42:43]
	s_and_b64 s[6:7], exec, s[6:7]
	v_cmp_eq_u32_e32 vcc, v19, v24
	s_or_b64 s[38:39], s[6:7], s[38:39]
	s_andn2_b64 s[6:7], s[36:37], exec
	s_and_b64 s[36:37], vcc, exec
	s_or_b64 s[36:37], s[6:7], s[36:37]
	s_andn2_b64 exec, exec, s[38:39]
	s_cbranch_execnz .LBB441_96
; %bb.97:
	s_or_b64 exec, exec, s[38:39]
	v_mul_lo_u32 v19, v9, s30
	v_mul_lo_u32 v22, v8, s31
	v_mad_u64_u32 v[16:17], s[6:7], v8, s30, 0
	v_add3_u32 v17, v17, v22, v19
	v_lshl_add_u64 v[16:17], v[16:17], 2, s[20:21]
	s_mov_b64 s[40:41], 0
	s_mov_b64 s[42:43], s[18:19]
	v_mov_b64_e32 v[22:23], v[16:17]
                                        ; implicit-def: $sgpr38_sgpr39
.LBB441_98:                             ; =>This Inner Loop Header: Depth=1
	global_load_dword v19, v[22:23], off
	global_load_dword v24, v[20:21], off
	s_add_u32 s6, s42, -1
	s_addc_u32 s7, s43, -1
	s_cmp_eq_u64 s[42:43], 0
	s_mov_b64 s[42:43], s[6:7]
	s_cselect_b64 s[44:45], -1, 0
	v_lshl_add_u64 v[22:23], v[22:23], 0, 4
	v_lshl_add_u64 v[20:21], v[20:21], 0, 4
	s_waitcnt vmcnt(0)
	v_cmp_ne_u32_e64 s[6:7], v19, v24
	s_or_b64 s[6:7], s[6:7], s[44:45]
	s_and_b64 s[6:7], exec, s[6:7]
	v_cmp_eq_u32_e32 vcc, v19, v24
	s_or_b64 s[40:41], s[6:7], s[40:41]
	s_andn2_b64 s[6:7], s[38:39], exec
	s_and_b64 s[38:39], vcc, exec
	s_or_b64 s[38:39], s[6:7], s[38:39]
	s_andn2_b64 exec, exec, s[40:41]
	s_cbranch_execnz .LBB441_98
; %bb.99:
	s_or_b64 exec, exec, s[40:41]
	v_mul_lo_u32 v19, v7, s30
	v_mul_lo_u32 v22, v6, s31
	v_mad_u64_u32 v[20:21], s[6:7], v6, s30, 0
	v_add3_u32 v21, v21, v22, v19
	v_lshl_add_u64 v[20:21], v[20:21], 2, s[20:21]
	s_mov_b64 s[42:43], 0
	s_mov_b64 s[44:45], s[18:19]
	v_mov_b64_e32 v[22:23], v[20:21]
                                        ; implicit-def: $sgpr40_sgpr41
.LBB441_100:                            ; =>This Inner Loop Header: Depth=1
	global_load_dword v19, v[22:23], off
	global_load_dword v24, v[16:17], off
	s_add_u32 s6, s44, -1
	s_addc_u32 s7, s45, -1
	s_cmp_eq_u64 s[44:45], 0
	s_mov_b64 s[44:45], s[6:7]
	s_cselect_b64 s[46:47], -1, 0
	v_lshl_add_u64 v[22:23], v[22:23], 0, 4
	v_lshl_add_u64 v[16:17], v[16:17], 0, 4
	s_waitcnt vmcnt(0)
	v_cmp_ne_u32_e64 s[6:7], v19, v24
	s_or_b64 s[6:7], s[6:7], s[46:47]
	s_and_b64 s[6:7], exec, s[6:7]
	v_cmp_eq_u32_e32 vcc, v19, v24
	s_or_b64 s[42:43], s[6:7], s[42:43]
	s_andn2_b64 s[6:7], s[40:41], exec
	s_and_b64 s[40:41], vcc, exec
	s_or_b64 s[40:41], s[6:7], s[40:41]
	s_andn2_b64 exec, exec, s[42:43]
	s_cbranch_execnz .LBB441_100
; %bb.101:
	s_or_b64 exec, exec, s[42:43]
	v_mul_lo_u32 v19, v13, s30
	v_mul_lo_u32 v22, v12, s31
	v_mad_u64_u32 v[16:17], s[6:7], v12, s30, 0
	v_add3_u32 v17, v17, v22, v19
	v_lshl_add_u64 v[16:17], v[16:17], 2, s[20:21]
	s_mov_b64 s[44:45], 0
	s_mov_b64 s[46:47], s[18:19]
	v_mov_b64_e32 v[22:23], v[16:17]
                                        ; implicit-def: $sgpr42_sgpr43
.LBB441_102:                            ; =>This Inner Loop Header: Depth=1
	global_load_dword v19, v[22:23], off
	global_load_dword v24, v[20:21], off
	s_add_u32 s6, s46, -1
	s_addc_u32 s7, s47, -1
	s_cmp_eq_u64 s[46:47], 0
	s_mov_b64 s[46:47], s[6:7]
	s_cselect_b64 s[48:49], -1, 0
	v_lshl_add_u64 v[22:23], v[22:23], 0, 4
	v_lshl_add_u64 v[20:21], v[20:21], 0, 4
	s_waitcnt vmcnt(0)
	v_cmp_ne_u32_e64 s[6:7], v19, v24
	s_or_b64 s[6:7], s[6:7], s[48:49]
	s_and_b64 s[6:7], exec, s[6:7]
	v_cmp_eq_u32_e32 vcc, v19, v24
	s_or_b64 s[44:45], s[6:7], s[44:45]
	s_andn2_b64 s[6:7], s[42:43], exec
	s_and_b64 s[42:43], vcc, exec
	s_or_b64 s[42:43], s[6:7], s[42:43]
	s_andn2_b64 exec, exec, s[44:45]
	s_cbranch_execnz .LBB441_102
; %bb.103:
	s_or_b64 exec, exec, s[44:45]
	v_mul_lo_u32 v19, v11, s30
	v_mul_lo_u32 v22, v10, s31
	v_mad_u64_u32 v[20:21], s[6:7], v10, s30, 0
	v_add3_u32 v21, v21, v22, v19
	v_lshl_add_u64 v[20:21], v[20:21], 2, s[20:21]
	s_mov_b64 s[46:47], 0
                                        ; implicit-def: $sgpr44_sgpr45
.LBB441_104:                            ; =>This Inner Loop Header: Depth=1
	global_load_dword v19, v[20:21], off
	global_load_dword v22, v[16:17], off
	s_add_u32 s6, s18, -1
	s_addc_u32 s7, s19, -1
	s_cmp_eq_u64 s[18:19], 0
	s_mov_b64 s[18:19], s[6:7]
	s_cselect_b64 s[48:49], -1, 0
	v_lshl_add_u64 v[20:21], v[20:21], 0, 4
	v_lshl_add_u64 v[16:17], v[16:17], 0, 4
	s_waitcnt vmcnt(0)
	v_cmp_ne_u32_e64 s[6:7], v19, v22
	s_or_b64 s[6:7], s[6:7], s[48:49]
	s_and_b64 s[6:7], exec, s[6:7]
	v_cmp_eq_u32_e32 vcc, v19, v22
	s_or_b64 s[46:47], s[6:7], s[46:47]
	s_andn2_b64 s[6:7], s[44:45], exec
	s_and_b64 s[44:45], vcc, exec
	s_or_b64 s[44:45], s[6:7], s[44:45]
	s_andn2_b64 exec, exec, s[46:47]
	s_cbranch_execnz .LBB441_104
; %bb.105:
	s_or_b64 exec, exec, s[46:47]
	s_xor_b64 s[6:7], s[36:37], -1
	v_cndmask_b32_e64 v40, 0, 1, s[6:7]
	s_xor_b64 s[6:7], s[40:41], -1
	v_cndmask_b32_e64 v16, 0, 1, s[6:7]
	v_lshlrev_b16_e32 v16, 8, v16
	s_xor_b64 s[6:7], s[14:15], -1
	v_lshrrev_b32_e32 v16, 8, v16
	v_mov_b32_e32 v20, 1
	s_xor_b64 s[14:15], s[42:43], -1
	v_cndmask_b32_e64 v19, 0, 1, s[6:7]
	s_xor_b64 s[6:7], s[38:39], -1
	v_and_b32_sdwa v16, v16, v20 dst_sel:BYTE_1 dst_unused:UNUSED_PAD src0_sel:DWORD src1_sel:DWORD
	v_cndmask_b32_e64 v20, 0, 1, s[14:15]
	v_cndmask_b32_e64 v17, 0, 1, s[6:7]
	s_xor_b64 s[6:7], s[44:45], -1
	v_or_b32_sdwa v16, v20, v16 dst_sel:WORD_1 dst_unused:UNUSED_PAD src0_sel:DWORD src1_sel:DWORD
	s_branch .LBB441_108
.LBB441_106:
                                        ; implicit-def: $sgpr6_sgpr7
                                        ; implicit-def: $vgpr19
                                        ; implicit-def: $vgpr40
                                        ; implicit-def: $vgpr17
                                        ; implicit-def: $vgpr21
                                        ; implicit-def: $vgpr42
                                        ; implicit-def: $vgpr41
                                        ; implicit-def: $vgpr20
	s_cbranch_execnz .LBB441_115
	s_branch .LBB441_160
.LBB441_107:
	v_mov_b32_e32 v16, 0
	v_mov_b32_e32 v19, 0
	;; [unrolled: 1-line block ×4, first 2 shown]
.LBB441_108:
	v_lshrrev_b32_e32 v41, 16, v16
	v_lshrrev_b32_e32 v20, 24, v16
	v_cndmask_b32_e64 v42, 0, 1, s[6:7]
	v_mov_b32_e32 v16, 1
	v_cmp_ne_u32_e32 vcc, 0, v0
	s_waitcnt lgkmcnt(0)
	s_barrier
                                        ; implicit-def: $sgpr6_sgpr7
                                        ; implicit-def: $vgpr21
	s_and_saveexec_b64 s[14:15], vcc
	s_xor_b64 s[14:15], exec, s[14:15]
	s_cbranch_execz .LBB441_114
; %bb.109:
	v_lshlrev_b16_e32 v21, 8, v20
	s_movk_i32 s6, 0xff
	v_bitop3_b16 v21, v41, v21, s6 bitop3:0xec
	v_lshlrev_b16_e32 v22, 8, v42
	v_lshlrev_b32_e32 v21, 16, v21
	v_or_b32_e32 v22, 1, v22
	v_or_b32_sdwa v21, v22, v21 dst_sel:DWORD dst_unused:UNUSED_PAD src0_sel:WORD_0 src1_sel:DWORD
	s_mov_b32 s33, 0x3020104
	s_and_b64 vcc, exec, s[4:5]
	s_mov_b64 s[6:7], 0
	s_cbranch_vccnz .LBB441_113
; %bb.110:
	v_add_u32_e32 v22, -8, v26
	ds_read_b64 v[22:23], v22
	v_mul_lo_u32 v27, v11, s30
	v_mul_lo_u32 v28, v10, s31
	s_add_u32 s36, s30, -1
	s_addc_u32 s37, s31, -1
	s_waitcnt lgkmcnt(0)
	v_mul_lo_u32 v24, v23, s30
	v_mul_lo_u32 v25, v22, s31
	v_mad_u64_u32 v[22:23], s[4:5], v22, s30, 0
	v_add3_u32 v23, v23, v25, v24
	v_mad_u64_u32 v[24:25], s[4:5], v10, s30, 0
	v_add3_u32 v25, v25, v28, v27
	v_lshl_add_u64 v[22:23], v[22:23], 2, s[20:21]
	v_lshl_add_u64 v[24:25], v[24:25], 2, s[20:21]
                                        ; implicit-def: $sgpr18_sgpr19
.LBB441_111:                            ; =>This Inner Loop Header: Depth=1
	global_load_dword v27, v[22:23], off
	global_load_dword v28, v[24:25], off
	s_add_u32 s4, s36, -1
	s_addc_u32 s5, s37, -1
	s_cmp_eq_u64 s[36:37], 0
	s_mov_b64 s[36:37], s[4:5]
	s_cselect_b64 s[38:39], -1, 0
	v_lshl_add_u64 v[22:23], v[22:23], 0, 4
	v_lshl_add_u64 v[24:25], v[24:25], 0, 4
	s_waitcnt vmcnt(0)
	v_cmp_ne_u32_e64 s[4:5], v27, v28
	s_or_b64 s[4:5], s[4:5], s[38:39]
	s_and_b64 s[4:5], exec, s[4:5]
	v_cmp_eq_u32_e32 vcc, v27, v28
	s_or_b64 s[6:7], s[4:5], s[6:7]
	s_andn2_b64 s[4:5], s[18:19], exec
	s_and_b64 s[18:19], vcc, exec
	s_or_b64 s[18:19], s[4:5], s[18:19]
	s_andn2_b64 exec, exec, s[6:7]
	s_cbranch_execnz .LBB441_111
; %bb.112:
	s_or_b64 exec, exec, s[6:7]
	s_xor_b64 s[6:7], s[18:19], -1
.LBB441_113:
	v_perm_b32 v21, v21, v21, s33
	s_or_b64 s[10:11], s[10:11], exec
.LBB441_114:
	s_or_b64 exec, exec, s[14:15]
	s_branch .LBB441_160
.LBB441_115:
	v_add_u32_e32 v16, 6, v1
	v_cmp_gt_u32_e32 vcc, s3, v16
	s_mov_b64 s[14:15], 0
	s_mov_b64 s[6:7], 0
	s_and_saveexec_b64 s[18:19], vcc
	s_cbranch_execz .LBB441_121
; %bb.116:
	s_andn2_b64 vcc, exec, s[12:13]
	s_mov_b64 s[4:5], 0
	s_cbranch_vccnz .LBB441_120
; %bb.117:
	v_mul_lo_u32 v19, v5, s30
	v_mul_lo_u32 v20, v4, s31
	v_mad_u64_u32 v[16:17], s[4:5], v4, s30, 0
	v_add3_u32 v17, v17, v20, v19
	v_mul_lo_u32 v19, v15, s30
	v_mul_lo_u32 v22, v14, s31
	v_mad_u64_u32 v[20:21], s[4:5], v14, s30, 0
	v_add3_u32 v21, v21, v22, v19
	s_add_u32 s38, s30, -1
	v_lshl_add_u64 v[16:17], v[16:17], 2, s[20:21]
	v_lshl_add_u64 v[20:21], v[20:21], 2, s[20:21]
	s_addc_u32 s39, s31, -1
                                        ; implicit-def: $sgpr36_sgpr37
.LBB441_118:                            ; =>This Inner Loop Header: Depth=1
	global_load_dword v19, v[16:17], off
	global_load_dword v22, v[20:21], off
	s_add_u32 s4, s38, -1
	s_addc_u32 s5, s39, -1
	s_cmp_eq_u64 s[38:39], 0
	s_mov_b64 s[38:39], s[4:5]
	s_cselect_b64 s[40:41], -1, 0
	v_lshl_add_u64 v[16:17], v[16:17], 0, 4
	v_lshl_add_u64 v[20:21], v[20:21], 0, 4
	s_waitcnt vmcnt(0)
	v_cmp_ne_u32_e64 s[4:5], v19, v22
	s_or_b64 s[4:5], s[4:5], s[40:41]
	s_and_b64 s[4:5], exec, s[4:5]
	v_cmp_eq_u32_e32 vcc, v19, v22
	s_or_b64 s[6:7], s[4:5], s[6:7]
	s_andn2_b64 s[4:5], s[36:37], exec
	s_and_b64 s[36:37], vcc, exec
	s_or_b64 s[36:37], s[4:5], s[36:37]
	s_andn2_b64 exec, exec, s[6:7]
	s_cbranch_execnz .LBB441_118
; %bb.119:
	s_or_b64 exec, exec, s[6:7]
	s_xor_b64 s[4:5], s[36:37], -1
.LBB441_120:
	s_and_b64 s[6:7], s[4:5], exec
.LBB441_121:
	s_or_b64 exec, exec, s[18:19]
	v_add_u32_e32 v16, 5, v1
	v_cmp_gt_u32_e32 vcc, s3, v16
	s_and_saveexec_b64 s[18:19], vcc
	s_cbranch_execz .LBB441_127
; %bb.122:
	s_andn2_b64 vcc, exec, s[12:13]
	s_mov_b64 s[4:5], 0
	s_cbranch_vccnz .LBB441_126
; %bb.123:
	v_mul_lo_u32 v19, v3, s30
	v_mul_lo_u32 v20, v2, s31
	v_mad_u64_u32 v[16:17], s[4:5], v2, s30, 0
	v_add3_u32 v17, v17, v20, v19
	v_mul_lo_u32 v19, v5, s30
	v_mul_lo_u32 v22, v4, s31
	v_mad_u64_u32 v[20:21], s[4:5], v4, s30, 0
	v_add3_u32 v21, v21, v22, v19
	s_add_u32 s38, s30, -1
	v_lshl_add_u64 v[16:17], v[16:17], 2, s[20:21]
	v_lshl_add_u64 v[20:21], v[20:21], 2, s[20:21]
	s_addc_u32 s39, s31, -1
	s_mov_b64 s[14:15], 0
                                        ; implicit-def: $sgpr36_sgpr37
.LBB441_124:                            ; =>This Inner Loop Header: Depth=1
	global_load_dword v19, v[16:17], off
	global_load_dword v22, v[20:21], off
	s_add_u32 s4, s38, -1
	s_addc_u32 s5, s39, -1
	s_cmp_eq_u64 s[38:39], 0
	s_mov_b64 s[38:39], s[4:5]
	s_cselect_b64 s[40:41], -1, 0
	v_lshl_add_u64 v[16:17], v[16:17], 0, 4
	v_lshl_add_u64 v[20:21], v[20:21], 0, 4
	s_waitcnt vmcnt(0)
	v_cmp_ne_u32_e64 s[4:5], v19, v22
	s_or_b64 s[4:5], s[4:5], s[40:41]
	s_and_b64 s[4:5], exec, s[4:5]
	v_cmp_eq_u32_e32 vcc, v19, v22
	s_or_b64 s[14:15], s[4:5], s[14:15]
	s_andn2_b64 s[4:5], s[36:37], exec
	s_and_b64 s[36:37], vcc, exec
	s_or_b64 s[36:37], s[4:5], s[36:37]
	s_andn2_b64 exec, exec, s[14:15]
	s_cbranch_execnz .LBB441_124
; %bb.125:
	s_or_b64 exec, exec, s[14:15]
	s_xor_b64 s[4:5], s[36:37], -1
.LBB441_126:
	s_and_b64 s[14:15], s[4:5], exec
.LBB441_127:
	s_or_b64 exec, exec, s[18:19]
	v_add_u32_e32 v16, 4, v1
	v_cmp_gt_u32_e32 vcc, s3, v16
	s_mov_b64 s[18:19], 0
	s_mov_b64 s[36:37], 0
	s_and_saveexec_b64 s[38:39], vcc
	s_cbranch_execz .LBB441_133
; %bb.128:
	s_andn2_b64 vcc, exec, s[12:13]
	s_mov_b64 s[4:5], 0
	s_cbranch_vccnz .LBB441_132
; %bb.129:
	v_mul_lo_u32 v19, v9, s30
	v_mul_lo_u32 v20, v8, s31
	v_mad_u64_u32 v[16:17], s[4:5], v8, s30, 0
	v_add3_u32 v17, v17, v20, v19
	v_mul_lo_u32 v19, v3, s30
	v_mul_lo_u32 v22, v2, s31
	v_mad_u64_u32 v[20:21], s[4:5], v2, s30, 0
	v_add3_u32 v21, v21, v22, v19
	s_add_u32 s42, s30, -1
	v_lshl_add_u64 v[16:17], v[16:17], 2, s[20:21]
	v_lshl_add_u64 v[20:21], v[20:21], 2, s[20:21]
	s_addc_u32 s43, s31, -1
                                        ; implicit-def: $sgpr40_sgpr41
.LBB441_130:                            ; =>This Inner Loop Header: Depth=1
	global_load_dword v19, v[16:17], off
	global_load_dword v22, v[20:21], off
	s_add_u32 s4, s42, -1
	s_addc_u32 s5, s43, -1
	s_cmp_eq_u64 s[42:43], 0
	s_mov_b64 s[42:43], s[4:5]
	s_cselect_b64 s[44:45], -1, 0
	v_lshl_add_u64 v[16:17], v[16:17], 0, 4
	v_lshl_add_u64 v[20:21], v[20:21], 0, 4
	s_waitcnt vmcnt(0)
	v_cmp_ne_u32_e64 s[4:5], v19, v22
	s_or_b64 s[4:5], s[4:5], s[44:45]
	s_and_b64 s[4:5], exec, s[4:5]
	v_cmp_eq_u32_e32 vcc, v19, v22
	s_or_b64 s[36:37], s[4:5], s[36:37]
	s_andn2_b64 s[4:5], s[40:41], exec
	s_and_b64 s[40:41], vcc, exec
	s_or_b64 s[40:41], s[4:5], s[40:41]
	s_andn2_b64 exec, exec, s[36:37]
	s_cbranch_execnz .LBB441_130
; %bb.131:
	s_or_b64 exec, exec, s[36:37]
	s_xor_b64 s[4:5], s[40:41], -1
.LBB441_132:
	s_and_b64 s[36:37], s[4:5], exec
.LBB441_133:
	s_or_b64 exec, exec, s[38:39]
	v_add_u32_e32 v16, 3, v1
	v_cmp_gt_u32_e32 vcc, s3, v16
	s_and_saveexec_b64 s[38:39], vcc
	s_cbranch_execz .LBB441_139
; %bb.134:
	s_andn2_b64 vcc, exec, s[12:13]
	s_mov_b64 s[4:5], 0
	s_cbranch_vccnz .LBB441_138
; %bb.135:
	v_mul_lo_u32 v19, v7, s30
	v_mul_lo_u32 v20, v6, s31
	v_mad_u64_u32 v[16:17], s[4:5], v6, s30, 0
	v_add3_u32 v17, v17, v20, v19
	v_mul_lo_u32 v19, v9, s30
	v_mul_lo_u32 v22, v8, s31
	v_mad_u64_u32 v[20:21], s[4:5], v8, s30, 0
	v_add3_u32 v21, v21, v22, v19
	s_add_u32 s42, s30, -1
	v_lshl_add_u64 v[16:17], v[16:17], 2, s[20:21]
	v_lshl_add_u64 v[20:21], v[20:21], 2, s[20:21]
	s_addc_u32 s43, s31, -1
	s_mov_b64 s[18:19], 0
                                        ; implicit-def: $sgpr40_sgpr41
.LBB441_136:                            ; =>This Inner Loop Header: Depth=1
	global_load_dword v19, v[16:17], off
	global_load_dword v22, v[20:21], off
	s_add_u32 s4, s42, -1
	s_addc_u32 s5, s43, -1
	s_cmp_eq_u64 s[42:43], 0
	s_mov_b64 s[42:43], s[4:5]
	s_cselect_b64 s[44:45], -1, 0
	v_lshl_add_u64 v[16:17], v[16:17], 0, 4
	v_lshl_add_u64 v[20:21], v[20:21], 0, 4
	s_waitcnt vmcnt(0)
	v_cmp_ne_u32_e64 s[4:5], v19, v22
	s_or_b64 s[4:5], s[4:5], s[44:45]
	s_and_b64 s[4:5], exec, s[4:5]
	v_cmp_eq_u32_e32 vcc, v19, v22
	s_or_b64 s[18:19], s[4:5], s[18:19]
	s_andn2_b64 s[4:5], s[40:41], exec
	s_and_b64 s[40:41], vcc, exec
	s_or_b64 s[40:41], s[4:5], s[40:41]
	s_andn2_b64 exec, exec, s[18:19]
	s_cbranch_execnz .LBB441_136
; %bb.137:
	s_or_b64 exec, exec, s[18:19]
	s_xor_b64 s[4:5], s[40:41], -1
.LBB441_138:
	s_and_b64 s[18:19], s[4:5], exec
.LBB441_139:
	s_or_b64 exec, exec, s[38:39]
	v_add_u32_e32 v16, 2, v1
	v_cmp_gt_u32_e32 vcc, s3, v16
	s_mov_b64 s[38:39], 0
	s_mov_b64 s[40:41], 0
	s_and_saveexec_b64 s[42:43], vcc
	s_cbranch_execz .LBB441_145
; %bb.140:
	s_andn2_b64 vcc, exec, s[12:13]
	s_mov_b64 s[4:5], 0
	s_cbranch_vccnz .LBB441_144
; %bb.141:
	v_mul_lo_u32 v19, v13, s30
	v_mul_lo_u32 v20, v12, s31
	v_mad_u64_u32 v[16:17], s[4:5], v12, s30, 0
	v_add3_u32 v17, v17, v20, v19
	v_mul_lo_u32 v19, v7, s30
	v_mul_lo_u32 v22, v6, s31
	v_mad_u64_u32 v[20:21], s[4:5], v6, s30, 0
	v_add3_u32 v21, v21, v22, v19
	s_add_u32 s46, s30, -1
	v_lshl_add_u64 v[16:17], v[16:17], 2, s[20:21]
	v_lshl_add_u64 v[20:21], v[20:21], 2, s[20:21]
	s_addc_u32 s47, s31, -1
                                        ; implicit-def: $sgpr44_sgpr45
.LBB441_142:                            ; =>This Inner Loop Header: Depth=1
	global_load_dword v19, v[16:17], off
	global_load_dword v22, v[20:21], off
	s_add_u32 s4, s46, -1
	s_addc_u32 s5, s47, -1
	s_cmp_eq_u64 s[46:47], 0
	s_mov_b64 s[46:47], s[4:5]
	s_cselect_b64 s[48:49], -1, 0
	v_lshl_add_u64 v[16:17], v[16:17], 0, 4
	v_lshl_add_u64 v[20:21], v[20:21], 0, 4
	s_waitcnt vmcnt(0)
	v_cmp_ne_u32_e64 s[4:5], v19, v22
	s_or_b64 s[4:5], s[4:5], s[48:49]
	s_and_b64 s[4:5], exec, s[4:5]
	v_cmp_eq_u32_e32 vcc, v19, v22
	s_or_b64 s[40:41], s[4:5], s[40:41]
	s_andn2_b64 s[4:5], s[44:45], exec
	s_and_b64 s[44:45], vcc, exec
	s_or_b64 s[44:45], s[4:5], s[44:45]
	s_andn2_b64 exec, exec, s[40:41]
	s_cbranch_execnz .LBB441_142
; %bb.143:
	s_or_b64 exec, exec, s[40:41]
	s_xor_b64 s[4:5], s[44:45], -1
.LBB441_144:
	s_and_b64 s[40:41], s[4:5], exec
.LBB441_145:
	s_or_b64 exec, exec, s[42:43]
	v_add_u32_e32 v16, 1, v1
	v_cmp_gt_u32_e32 vcc, s3, v16
	s_and_saveexec_b64 s[42:43], vcc
	s_cbranch_execz .LBB441_151
; %bb.146:
	s_andn2_b64 vcc, exec, s[12:13]
	s_mov_b64 s[4:5], 0
	s_cbranch_vccnz .LBB441_150
; %bb.147:
	v_mul_lo_u32 v19, v11, s30
	v_mul_lo_u32 v20, v10, s31
	v_mad_u64_u32 v[16:17], s[4:5], v10, s30, 0
	v_add3_u32 v17, v17, v20, v19
	v_mul_lo_u32 v19, v13, s30
	v_mul_lo_u32 v22, v12, s31
	v_mad_u64_u32 v[20:21], s[4:5], v12, s30, 0
	v_add3_u32 v21, v21, v22, v19
	s_add_u32 s46, s30, -1
	v_lshl_add_u64 v[16:17], v[16:17], 2, s[20:21]
	v_lshl_add_u64 v[20:21], v[20:21], 2, s[20:21]
	s_addc_u32 s47, s31, -1
	s_mov_b64 s[38:39], 0
                                        ; implicit-def: $sgpr44_sgpr45
.LBB441_148:                            ; =>This Inner Loop Header: Depth=1
	global_load_dword v19, v[16:17], off
	global_load_dword v22, v[20:21], off
	s_add_u32 s4, s46, -1
	s_addc_u32 s5, s47, -1
	s_cmp_eq_u64 s[46:47], 0
	s_mov_b64 s[46:47], s[4:5]
	s_cselect_b64 s[48:49], -1, 0
	v_lshl_add_u64 v[16:17], v[16:17], 0, 4
	v_lshl_add_u64 v[20:21], v[20:21], 0, 4
	s_waitcnt vmcnt(0)
	v_cmp_ne_u32_e64 s[4:5], v19, v22
	s_or_b64 s[4:5], s[4:5], s[48:49]
	s_and_b64 s[4:5], exec, s[4:5]
	v_cmp_eq_u32_e32 vcc, v19, v22
	s_or_b64 s[38:39], s[4:5], s[38:39]
	s_andn2_b64 s[4:5], s[44:45], exec
	s_and_b64 s[44:45], vcc, exec
	s_or_b64 s[44:45], s[4:5], s[44:45]
	s_andn2_b64 exec, exec, s[38:39]
	s_cbranch_execnz .LBB441_148
; %bb.149:
	s_or_b64 exec, exec, s[38:39]
	s_xor_b64 s[4:5], s[44:45], -1
.LBB441_150:
	s_and_b64 s[38:39], s[4:5], exec
.LBB441_151:
	s_or_b64 exec, exec, s[42:43]
	v_cndmask_b32_e64 v17, 0, 1, s[36:37]
	v_cndmask_b32_e64 v40, 0, 1, s[14:15]
	;; [unrolled: 1-line block ×6, first 2 shown]
	v_mov_b32_e32 v16, 1
	v_cmp_ne_u32_e32 vcc, 0, v0
	s_waitcnt lgkmcnt(0)
	s_barrier
                                        ; implicit-def: $sgpr6_sgpr7
                                        ; implicit-def: $vgpr21
	s_and_saveexec_b64 s[14:15], vcc
	s_cbranch_execz .LBB441_159
; %bb.152:
	v_lshlrev_b16_e32 v21, 8, v42
	v_lshlrev_b16_e32 v22, 8, v20
	v_or_b32_e32 v21, 1, v21
	v_or_b32_sdwa v22, v41, v22 dst_sel:WORD_1 dst_unused:UNUSED_PAD src0_sel:DWORD src1_sel:DWORD
	v_cmp_gt_u32_e32 vcc, s3, v1
	v_or_b32_sdwa v21, v21, v22 dst_sel:DWORD dst_unused:UNUSED_PAD src0_sel:WORD_0 src1_sel:DWORD
	s_mov_b32 s33, 0x3020104
	s_mov_b64 s[6:7], 0
	s_and_saveexec_b64 s[18:19], vcc
	s_cbranch_execz .LBB441_158
; %bb.153:
	s_andn2_b64 vcc, exec, s[12:13]
	s_mov_b64 s[4:5], 0
	s_cbranch_vccnz .LBB441_157
; %bb.154:
	v_add_u32_e32 v22, -8, v26
	ds_read_b64 v[22:23], v22
	v_mul_lo_u32 v26, v11, s30
	v_mul_lo_u32 v27, v10, s31
                                        ; implicit-def: $sgpr12_sgpr13
	s_waitcnt lgkmcnt(0)
	v_mul_lo_u32 v24, v23, s30
	v_mul_lo_u32 v25, v22, s31
	v_mad_u64_u32 v[22:23], s[4:5], v22, s30, 0
	v_add3_u32 v23, v23, v25, v24
	v_mad_u64_u32 v[24:25], s[4:5], v10, s30, 0
	v_add3_u32 v25, v25, v27, v26
	v_lshl_add_u64 v[22:23], v[22:23], 2, s[20:21]
	v_lshl_add_u64 v[24:25], v[24:25], 2, s[20:21]
	s_add_u32 s20, s30, -1
	s_addc_u32 s21, s31, -1
.LBB441_155:                            ; =>This Inner Loop Header: Depth=1
	global_load_dword v26, v[22:23], off
	global_load_dword v27, v[24:25], off
	s_add_u32 s4, s20, -1
	s_addc_u32 s5, s21, -1
	s_cmp_eq_u64 s[20:21], 0
	s_mov_b64 s[20:21], s[4:5]
	s_cselect_b64 s[30:31], -1, 0
	v_lshl_add_u64 v[22:23], v[22:23], 0, 4
	v_lshl_add_u64 v[24:25], v[24:25], 0, 4
	s_waitcnt vmcnt(0)
	v_cmp_ne_u32_e64 s[4:5], v26, v27
	s_or_b64 s[4:5], s[4:5], s[30:31]
	s_and_b64 s[4:5], exec, s[4:5]
	v_cmp_eq_u32_e32 vcc, v26, v27
	s_or_b64 s[6:7], s[4:5], s[6:7]
	s_andn2_b64 s[4:5], s[12:13], exec
	s_and_b64 s[12:13], vcc, exec
	s_or_b64 s[12:13], s[4:5], s[12:13]
	s_andn2_b64 exec, exec, s[6:7]
	s_cbranch_execnz .LBB441_155
; %bb.156:
	s_or_b64 exec, exec, s[6:7]
	s_xor_b64 s[4:5], s[12:13], -1
.LBB441_157:
	s_and_b64 s[6:7], s[4:5], exec
.LBB441_158:
	s_or_b64 exec, exec, s[18:19]
	v_perm_b32 v21, v21, v21, s33
	s_or_b64 s[10:11], s[10:11], exec
.LBB441_159:
	s_or_b64 exec, exec, s[14:15]
.LBB441_160:
	s_and_saveexec_b64 s[4:5], s[10:11]
; %bb.161:
	v_lshrrev_b32_e32 v20, 24, v21
	v_lshrrev_b32_e32 v41, 16, v21
	;; [unrolled: 1-line block ×3, first 2 shown]
	v_cndmask_b32_e64 v16, 0, 1, s[6:7]
; %bb.162:
	s_or_b64 exec, exec, s[4:5]
	s_andn2_b64 vcc, exec, s[8:9]
	s_cbranch_vccnz .LBB441_166
; %bb.163:
	s_mov_b32 s4, 0xc0c0004
	v_perm_b32 v20, v41, v20, s4
	v_perm_b32 v16, v16, v42, s4
	v_lshlrev_b32_e32 v20, 16, v20
	v_or_b32_e32 v16, v16, v20
	v_cmp_gt_u32_e32 vcc, s3, v1
	v_add_u32_e32 v22, 1, v1
	v_perm_b32 v17, v17, v40, s4
	v_cndmask_b32_e32 v20, v20, v16, vcc
	v_and_b32_e32 v20, 0xffff00ff, v20
	v_cmp_gt_u32_e32 vcc, s3, v22
	v_add_u32_e32 v22, 2, v1
	s_mov_b32 s4, 0x40c0100
	v_cndmask_b32_e32 v20, v20, v16, vcc
	v_lshrrev_b32_e32 v23, 24, v20
	v_and_b32_e32 v19, 0xff, v19
	v_perm_b32 v20, v23, v20, s4
	v_cmp_gt_u32_e32 vcc, s3, v22
	v_lshlrev_b32_e32 v19, 16, v19
	v_add_u32_e32 v22, 3, v1
	v_cndmask_b32_e32 v20, v20, v16, vcc
	s_mov_b32 s4, 0xffff00
	v_or_b32_e32 v21, v17, v19
	v_and_b32_e32 v20, 0xffffff, v20
	v_cmp_gt_u32_e32 vcc, s3, v22
	v_bitop3_b32 v17, v17, s4, v19 bitop3:0xc8
	v_add_u32_e32 v19, 4, v1
	v_cndmask_b32_e32 v20, v20, v16, vcc
	v_cmp_gt_u32_e32 vcc, s3, v19
	v_add_u32_e32 v19, 5, v1
	v_cmp_gt_u32_e64 s[4:5], s3, v19
	v_cndmask_b32_e32 v17, v17, v21, vcc
	v_and_b32_e32 v17, 0xffff00ff, v17
	s_or_b64 vcc, s[4:5], vcc
	v_cndmask_b32_e64 v17, v17, v21, s[4:5]
	v_cndmask_b32_e32 v16, v20, v16, vcc
	v_add_u32_e32 v1, 6, v1
	v_lshrrev_b32_e32 v41, 16, v16
	v_lshrrev_b32_e32 v42, 8, v16
	v_lshrrev_b64 v[20:21], 24, v[16:17]
	v_lshrrev_b32_e32 v19, 16, v17
	v_lshrrev_b32_e32 v40, 8, v17
	v_cmp_le_u32_e32 vcc, s3, v1
	s_and_saveexec_b64 s[4:5], vcc
; %bb.164:
	v_mov_b32_e32 v19, 0
; %bb.165:
	s_or_b64 exec, exec, s[4:5]
.LBB441_166:
	v_and_b32_e32 v1, 0xff, v16
	v_and_b32_e32 v21, 0xff, v42
	;; [unrolled: 1-line block ×5, first 2 shown]
	v_add3_u32 v23, v21, v1, v33
	v_and_b32_e32 v39, 0xff, v40
	v_and_b32_e32 v22, 0xff, v19
	v_add3_u32 v23, v23, v35, v37
	v_add3_u32 v45, v23, v39, v22
	v_mbcnt_lo_u32_b32 v22, -1, 0
	v_mbcnt_hi_u32_b32 v43, -1, v22
	v_and_b32_e32 v22, 15, v43
	v_cmp_eq_u32_e64 s[14:15], 0, v22
	v_cmp_lt_u32_e64 s[12:13], 1, v22
	v_cmp_lt_u32_e64 s[10:11], 3, v22
	;; [unrolled: 1-line block ×3, first 2 shown]
	v_and_b32_e32 v22, 16, v43
	v_cmp_eq_u32_e64 s[6:7], 0, v22
	v_or_b32_e32 v22, 63, v0
	v_cmp_lt_u32_e64 s[18:19], 31, v43
	v_lshrrev_b32_e32 v44, 6, v0
	v_cmp_eq_u32_e64 s[4:5], v0, v22
	s_and_b64 vcc, exec, s[16:17]
	s_waitcnt lgkmcnt(0)
	s_barrier
	s_cbranch_vccz .LBB441_188
; %bb.167:
	v_mov_b32_dpp v22, v45 row_shr:1 row_mask:0xf bank_mask:0xf
	v_cndmask_b32_e64 v22, v22, 0, s[14:15]
	v_add_u32_e32 v22, v22, v45
	s_nop 1
	v_mov_b32_dpp v23, v22 row_shr:2 row_mask:0xf bank_mask:0xf
	v_cndmask_b32_e64 v23, 0, v23, s[12:13]
	v_add_u32_e32 v22, v22, v23
	s_nop 1
	;; [unrolled: 4-line block ×4, first 2 shown]
	v_mov_b32_dpp v23, v22 row_bcast:15 row_mask:0xf bank_mask:0xf
	v_cndmask_b32_e64 v23, v23, 0, s[6:7]
	v_add_u32_e32 v22, v22, v23
	s_nop 1
	v_mov_b32_dpp v23, v22 row_bcast:31 row_mask:0xf bank_mask:0xf
	v_cndmask_b32_e64 v23, 0, v23, s[18:19]
	v_add_u32_e32 v22, v22, v23
	s_and_saveexec_b64 s[16:17], s[4:5]
; %bb.168:
	v_lshlrev_b32_e32 v23, 2, v44
	ds_write_b32 v23, v22
; %bb.169:
	s_or_b64 exec, exec, s[16:17]
	v_cmp_gt_u32_e32 vcc, 8, v0
	s_waitcnt lgkmcnt(0)
	s_barrier
	s_and_saveexec_b64 s[16:17], vcc
	s_cbranch_execz .LBB441_171
; %bb.170:
	v_lshlrev_b32_e32 v23, 2, v0
	ds_read_b32 v24, v23
	v_and_b32_e32 v25, 7, v43
	v_cmp_ne_u32_e32 vcc, 0, v25
	s_waitcnt lgkmcnt(0)
	v_mov_b32_dpp v26, v24 row_shr:1 row_mask:0xf bank_mask:0xf
	v_cndmask_b32_e32 v26, 0, v26, vcc
	v_add_u32_e32 v24, v26, v24
	v_cmp_lt_u32_e32 vcc, 1, v25
	s_nop 0
	v_mov_b32_dpp v26, v24 row_shr:2 row_mask:0xf bank_mask:0xf
	v_cndmask_b32_e32 v26, 0, v26, vcc
	v_add_u32_e32 v24, v24, v26
	v_cmp_lt_u32_e32 vcc, 3, v25
	s_nop 0
	v_mov_b32_dpp v26, v24 row_shr:4 row_mask:0xf bank_mask:0xf
	v_cndmask_b32_e32 v25, 0, v26, vcc
	v_add_u32_e32 v24, v24, v25
	ds_write_b32 v23, v24
.LBB441_171:
	s_or_b64 exec, exec, s[16:17]
	v_cmp_gt_u32_e32 vcc, 64, v0
	v_cmp_lt_u32_e64 s[16:17], 63, v0
	s_waitcnt lgkmcnt(0)
	s_barrier
                                        ; implicit-def: $vgpr32
	s_and_saveexec_b64 s[20:21], s[16:17]
	s_cbranch_execz .LBB441_173
; %bb.172:
	v_lshl_add_u32 v23, v44, 2, -4
	ds_read_b32 v32, v23
	s_waitcnt lgkmcnt(0)
	v_add_u32_e32 v22, v32, v22
.LBB441_173:
	s_or_b64 exec, exec, s[20:21]
	v_subrev_co_u32_e64 v23, s[16:17], 1, v43
	v_and_b32_e32 v24, 64, v43
	v_cmp_lt_i32_e64 s[20:21], v23, v24
	s_nop 1
	v_cndmask_b32_e64 v23, v23, v43, s[20:21]
	v_lshlrev_b32_e32 v23, 2, v23
	ds_bpermute_b32 v34, v23, v22
	s_and_saveexec_b64 s[20:21], vcc
	s_cbranch_execz .LBB441_193
; %bb.174:
	v_mov_b32_e32 v29, 0
	ds_read_b32 v22, v29 offset:28
	s_and_saveexec_b64 s[30:31], s[16:17]
	s_cbranch_execz .LBB441_176
; %bb.175:
	s_add_i32 s36, s2, 64
	s_mov_b32 s37, 0
	s_lshl_b64 s[36:37], s[36:37], 3
	s_add_u32 s36, s22, s36
	v_mov_b32_e32 v23, 1
	s_addc_u32 s37, s23, s37
	s_waitcnt lgkmcnt(0)
	global_store_dwordx2 v29, v[22:23], s[36:37] sc1
.LBB441_176:
	s_or_b64 exec, exec, s[30:31]
	v_xad_u32 v24, v43, -1, s2
	v_add_u32_e32 v28, 64, v24
	v_lshl_add_u64 v[30:31], v[28:29], 3, s[22:23]
	global_load_dwordx2 v[26:27], v[30:31], off sc1
	s_waitcnt vmcnt(0)
	v_cmp_eq_u16_sdwa s[36:37], v27, v29 src0_sel:BYTE_0 src1_sel:DWORD
	s_and_saveexec_b64 s[30:31], s[36:37]
	s_cbranch_execz .LBB441_180
; %bb.177:
	s_mov_b64 s[36:37], 0
	v_mov_b32_e32 v23, 0
.LBB441_178:                            ; =>This Inner Loop Header: Depth=1
	global_load_dwordx2 v[26:27], v[30:31], off sc1
	s_waitcnt vmcnt(0)
	v_cmp_ne_u16_sdwa s[38:39], v27, v23 src0_sel:BYTE_0 src1_sel:DWORD
	s_or_b64 s[36:37], s[38:39], s[36:37]
	s_andn2_b64 exec, exec, s[36:37]
	s_cbranch_execnz .LBB441_178
; %bb.179:
	s_or_b64 exec, exec, s[36:37]
.LBB441_180:
	s_or_b64 exec, exec, s[30:31]
	v_and_b32_e32 v38, 63, v43
	v_mov_b32_e32 v36, 2
	v_cmp_ne_u32_e32 vcc, 63, v38
	v_cmp_eq_u16_sdwa s[30:31], v27, v36 src0_sel:BYTE_0 src1_sel:DWORD
	v_lshlrev_b64 v[28:29], v43, -1
	v_addc_co_u32_e32 v30, vcc, 0, v43, vcc
	v_and_b32_e32 v23, s31, v29
	v_lshlrev_b32_e32 v46, 2, v30
	v_or_b32_e32 v23, 0x80000000, v23
	ds_bpermute_b32 v30, v46, v26
	v_and_b32_e32 v25, s30, v28
	v_ffbl_b32_e32 v23, v23
	v_add_u32_e32 v23, 32, v23
	v_ffbl_b32_e32 v25, v25
	v_min_u32_e32 v23, v25, v23
	v_cmp_lt_u32_e32 vcc, v38, v23
	v_add_u32_e32 v48, 2, v38
	v_add_u32_e32 v50, 4, v38
	s_waitcnt lgkmcnt(0)
	v_cndmask_b32_e32 v25, 0, v30, vcc
	v_cmp_gt_u32_e32 vcc, 62, v38
	v_add_u32_e32 v25, v25, v26
	v_add_u32_e32 v52, 8, v38
	v_cndmask_b32_e64 v26, 0, 2, vcc
	v_add_lshl_u32 v47, v26, v43, 2
	ds_bpermute_b32 v26, v47, v25
	v_cmp_le_u32_e32 vcc, v48, v23
	v_add_u32_e32 v54, 16, v38
	v_add_u32_e32 v56, 32, v38
	s_waitcnt lgkmcnt(0)
	v_cndmask_b32_e32 v26, 0, v26, vcc
	v_cmp_gt_u32_e32 vcc, 60, v38
	v_add_u32_e32 v25, v25, v26
	s_nop 0
	v_cndmask_b32_e64 v26, 0, 4, vcc
	v_add_lshl_u32 v49, v26, v43, 2
	ds_bpermute_b32 v26, v49, v25
	v_cmp_le_u32_e32 vcc, v50, v23
	s_waitcnt lgkmcnt(0)
	s_nop 0
	v_cndmask_b32_e32 v26, 0, v26, vcc
	v_cmp_gt_u32_e32 vcc, 56, v38
	v_add_u32_e32 v25, v25, v26
	s_nop 0
	v_cndmask_b32_e64 v26, 0, 8, vcc
	v_add_lshl_u32 v51, v26, v43, 2
	ds_bpermute_b32 v26, v51, v25
	v_cmp_le_u32_e32 vcc, v52, v23
	s_waitcnt lgkmcnt(0)
	s_nop 0
	;; [unrolled: 10-line block ×3, first 2 shown]
	v_cndmask_b32_e32 v26, 0, v26, vcc
	v_add_u32_e32 v25, v25, v26
	v_mov_b32_e32 v26, 0x80
	v_lshl_or_b32 v55, v43, 2, v26
	ds_bpermute_b32 v26, v55, v25
	v_cmp_le_u32_e32 vcc, v56, v23
	s_waitcnt lgkmcnt(0)
	s_nop 0
	v_cndmask_b32_e32 v23, 0, v26, vcc
	v_add_u32_e32 v26, v25, v23
	v_mov_b32_e32 v25, 0
	s_branch .LBB441_183
.LBB441_181:                            ;   in Loop: Header=BB441_183 Depth=1
	s_or_b64 exec, exec, s[30:31]
	v_cmp_eq_u16_sdwa s[30:31], v27, v36 src0_sel:BYTE_0 src1_sel:DWORD
	ds_bpermute_b32 v57, v46, v26
	v_subrev_u32_e32 v24, 64, v24
	v_and_b32_e32 v30, s31, v29
	v_or_b32_e32 v30, 0x80000000, v30
	v_and_b32_e32 v31, s30, v28
	v_ffbl_b32_e32 v30, v30
	v_add_u32_e32 v30, 32, v30
	v_ffbl_b32_e32 v31, v31
	v_min_u32_e32 v30, v31, v30
	v_cmp_lt_u32_e32 vcc, v38, v30
	s_mov_b64 s[30:31], 0
	s_waitcnt lgkmcnt(0)
	v_cndmask_b32_e32 v31, 0, v57, vcc
	v_add_u32_e32 v26, v31, v26
	ds_bpermute_b32 v31, v47, v26
	v_cmp_le_u32_e32 vcc, v48, v30
	s_waitcnt lgkmcnt(0)
	s_nop 0
	v_cndmask_b32_e32 v31, 0, v31, vcc
	v_add_u32_e32 v26, v26, v31
	ds_bpermute_b32 v31, v49, v26
	v_cmp_le_u32_e32 vcc, v50, v30
	s_waitcnt lgkmcnt(0)
	s_nop 0
	;; [unrolled: 6-line block ×5, first 2 shown]
	v_cndmask_b32_e32 v30, 0, v31, vcc
	v_add3_u32 v26, v30, v23, v26
.LBB441_182:                            ;   in Loop: Header=BB441_183 Depth=1
	s_and_b64 vcc, exec, s[30:31]
	s_cbranch_vccnz .LBB441_189
.LBB441_183:                            ; =>This Loop Header: Depth=1
                                        ;     Child Loop BB441_186 Depth 2
	v_cmp_ne_u16_sdwa s[30:31], v27, v36 src0_sel:BYTE_0 src1_sel:DWORD
	v_mov_b32_e32 v23, v26
	s_cmp_lg_u64 s[30:31], exec
	s_mov_b64 s[30:31], -1
                                        ; implicit-def: $vgpr26
                                        ; implicit-def: $vgpr27
	s_cbranch_scc1 .LBB441_182
; %bb.184:                              ;   in Loop: Header=BB441_183 Depth=1
	v_lshl_add_u64 v[30:31], v[24:25], 3, s[22:23]
	global_load_dwordx2 v[26:27], v[30:31], off sc1
	s_waitcnt vmcnt(0)
	v_cmp_eq_u16_sdwa s[36:37], v27, v25 src0_sel:BYTE_0 src1_sel:DWORD
	s_and_saveexec_b64 s[30:31], s[36:37]
	s_cbranch_execz .LBB441_181
; %bb.185:                              ;   in Loop: Header=BB441_183 Depth=1
	s_mov_b64 s[36:37], 0
.LBB441_186:                            ;   Parent Loop BB441_183 Depth=1
                                        ; =>  This Inner Loop Header: Depth=2
	global_load_dwordx2 v[26:27], v[30:31], off sc1
	s_waitcnt vmcnt(0)
	v_cmp_ne_u16_sdwa s[38:39], v27, v25 src0_sel:BYTE_0 src1_sel:DWORD
	s_or_b64 s[36:37], s[38:39], s[36:37]
	s_andn2_b64 exec, exec, s[36:37]
	s_cbranch_execnz .LBB441_186
; %bb.187:                              ;   in Loop: Header=BB441_183 Depth=1
	s_or_b64 exec, exec, s[36:37]
	s_branch .LBB441_181
.LBB441_188:
                                        ; implicit-def: $vgpr26
                                        ; implicit-def: $vgpr28
                                        ; implicit-def: $vgpr30
                                        ; implicit-def: $vgpr32
                                        ; implicit-def: $vgpr34
                                        ; implicit-def: $vgpr36
                                        ; implicit-def: $vgpr38
                                        ; implicit-def: $vgpr24
                                        ; implicit-def: $vgpr22
	s_load_dwordx2 s[2:3], s[0:1], 0x28
	s_cbranch_execnz .LBB441_194
	s_branch .LBB441_203
.LBB441_189:
	s_and_saveexec_b64 s[30:31], s[16:17]
	s_cbranch_execz .LBB441_191
; %bb.190:
	s_add_i32 s2, s2, 64
	s_mov_b32 s3, 0
	s_lshl_b64 s[2:3], s[2:3], 3
	s_add_u32 s2, s22, s2
	v_add_u32_e32 v24, v23, v22
	v_mov_b32_e32 v25, 2
	s_addc_u32 s3, s23, s3
	v_mov_b32_e32 v26, 0
	global_store_dwordx2 v26, v[24:25], s[2:3] sc1
	ds_write_b64 v26, v[22:23] offset:28672
.LBB441_191:
	s_or_b64 exec, exec, s[30:31]
	v_cmp_eq_u32_e32 vcc, 0, v0
	s_and_b64 exec, exec, vcc
; %bb.192:
	v_mov_b32_e32 v22, 0
	ds_write_b32 v22, v23 offset:28
.LBB441_193:
	s_or_b64 exec, exec, s[20:21]
	v_mov_b32_e32 v22, 0
	s_waitcnt lgkmcnt(0)
	s_barrier
	ds_read_b32 v23, v22 offset:28
	v_cndmask_b32_e64 v24, v34, v32, s[16:17]
	v_cmp_ne_u32_e32 vcc, 0, v0
	s_waitcnt lgkmcnt(0)
	s_barrier
	v_cndmask_b32_e32 v24, 0, v24, vcc
	v_add_u32_e32 v38, v23, v24
	v_add_u32_e32 v36, v38, v1
	ds_read_b64 v[22:23], v22 offset:28672
	v_add_u32_e32 v34, v36, v21
	v_add_u32_e32 v32, v34, v33
	;; [unrolled: 1-line block ×5, first 2 shown]
	s_waitcnt lgkmcnt(0)
	v_mov_b32_e32 v24, v23
	s_load_dwordx2 s[2:3], s[0:1], 0x28
	s_branch .LBB441_203
.LBB441_194:
	v_mov_b32_dpp v22, v45 row_shr:1 row_mask:0xf bank_mask:0xf
	v_cndmask_b32_e64 v22, v22, 0, s[14:15]
	v_add_u32_e32 v22, v22, v45
	s_nop 1
	v_mov_b32_dpp v23, v22 row_shr:2 row_mask:0xf bank_mask:0xf
	v_cndmask_b32_e64 v23, 0, v23, s[12:13]
	v_add_u32_e32 v22, v22, v23
	s_nop 1
	;; [unrolled: 4-line block ×4, first 2 shown]
	v_mov_b32_dpp v23, v22 row_bcast:15 row_mask:0xf bank_mask:0xf
	v_cndmask_b32_e64 v23, v23, 0, s[6:7]
	v_add_u32_e32 v22, v22, v23
	s_nop 1
	v_mov_b32_dpp v23, v22 row_bcast:31 row_mask:0xf bank_mask:0xf
	v_cndmask_b32_e64 v23, 0, v23, s[18:19]
	v_add_u32_e32 v22, v22, v23
	s_and_saveexec_b64 s[0:1], s[4:5]
; %bb.195:
	v_lshlrev_b32_e32 v23, 2, v44
	ds_write_b32 v23, v22
; %bb.196:
	s_or_b64 exec, exec, s[0:1]
	v_cmp_gt_u32_e32 vcc, 8, v0
	s_waitcnt lgkmcnt(0)
	s_barrier
	s_and_saveexec_b64 s[0:1], vcc
	s_cbranch_execz .LBB441_198
; %bb.197:
	v_lshlrev_b32_e32 v23, 2, v0
	ds_read_b32 v24, v23
	v_and_b32_e32 v25, 7, v43
	v_cmp_ne_u32_e32 vcc, 0, v25
	s_waitcnt lgkmcnt(0)
	v_mov_b32_dpp v26, v24 row_shr:1 row_mask:0xf bank_mask:0xf
	v_cndmask_b32_e32 v26, 0, v26, vcc
	v_add_u32_e32 v24, v26, v24
	v_cmp_lt_u32_e32 vcc, 1, v25
	s_nop 0
	v_mov_b32_dpp v26, v24 row_shr:2 row_mask:0xf bank_mask:0xf
	v_cndmask_b32_e32 v26, 0, v26, vcc
	v_add_u32_e32 v24, v24, v26
	v_cmp_lt_u32_e32 vcc, 3, v25
	s_nop 0
	v_mov_b32_dpp v26, v24 row_shr:4 row_mask:0xf bank_mask:0xf
	v_cndmask_b32_e32 v25, 0, v26, vcc
	v_add_u32_e32 v24, v24, v25
	ds_write_b32 v23, v24
.LBB441_198:
	s_or_b64 exec, exec, s[0:1]
	v_cmp_lt_u32_e32 vcc, 63, v0
	v_mov_b32_e32 v23, 0
	v_mov_b32_e32 v24, 0
	s_waitcnt lgkmcnt(0)
	s_barrier
	s_and_saveexec_b64 s[0:1], vcc
; %bb.199:
	v_lshl_add_u32 v24, v44, 2, -4
	ds_read_b32 v24, v24
; %bb.200:
	s_or_b64 exec, exec, s[0:1]
	v_subrev_co_u32_e32 v25, vcc, 1, v43
	v_and_b32_e32 v26, 64, v43
	v_cmp_lt_i32_e64 s[0:1], v25, v26
	s_waitcnt lgkmcnt(0)
	v_add_u32_e32 v22, v24, v22
	v_cndmask_b32_e64 v25, v25, v43, s[0:1]
	v_lshlrev_b32_e32 v25, 2, v25
	ds_bpermute_b32 v25, v25, v22
	ds_read_b32 v22, v23 offset:28
	v_cmp_eq_u32_e64 s[0:1], 0, v0
	s_and_saveexec_b64 s[4:5], s[0:1]
	s_cbranch_execz .LBB441_202
; %bb.201:
	v_mov_b32_e32 v26, 0
	v_mov_b32_e32 v23, 2
	s_waitcnt lgkmcnt(0)
	global_store_dwordx2 v26, v[22:23], s[22:23] offset:512 sc1
.LBB441_202:
	s_or_b64 exec, exec, s[4:5]
	s_waitcnt lgkmcnt(1)
	v_cndmask_b32_e32 v23, v25, v24, vcc
	v_cndmask_b32_e64 v38, v23, 0, s[0:1]
	v_add_u32_e32 v36, v38, v1
	v_add_u32_e32 v34, v36, v21
	;; [unrolled: 1-line block ×6, first 2 shown]
	s_waitcnt lgkmcnt(0)
	s_barrier
	v_mov_b32_e32 v24, 0
.LBB441_203:
	s_movk_i32 s0, 0x201
	v_cmp_gt_u32_e32 vcc, s0, v22
	v_and_b32_e32 v1, 1, v16
	s_mov_b64 s[4:5], -1
	v_cmp_eq_u32_e64 s[0:1], 1, v1
	s_cbranch_vccnz .LBB441_207
; %bb.204:
	s_and_b64 vcc, exec, s[4:5]
	s_cbranch_vccnz .LBB441_222
.LBB441_205:
	v_cmp_eq_u32_e32 vcc, 0, v0
	s_and_b64 s[0:1], vcc, s[28:29]
	s_waitcnt lgkmcnt(0)
	s_and_saveexec_b64 s[2:3], s[0:1]
	s_cbranch_execnz .LBB441_239
.LBB441_206:
	s_endpgm
.LBB441_207:
	v_add_u32_e32 v16, v24, v22
	v_cmp_lt_u32_e32 vcc, v38, v16
	s_or_b64 s[4:5], s[34:35], vcc
	s_and_b64 s[4:5], s[4:5], s[0:1]
	s_and_saveexec_b64 s[0:1], s[4:5]
	s_cbranch_execz .LBB441_209
; %bb.208:
	s_lshl_b64 s[4:5], s[26:27], 3
	s_waitcnt lgkmcnt(0)
	s_add_u32 s4, s2, s4
	s_addc_u32 s5, s3, s5
	v_mov_b32_e32 v39, 0
	v_lshl_add_u64 v[44:45], v[38:39], 3, s[4:5]
	global_store_dwordx2 v[44:45], v[10:11], off
.LBB441_209:
	s_or_b64 exec, exec, s[0:1]
	v_cmp_lt_u32_e32 vcc, v36, v16
	v_and_b32_e32 v21, 1, v42
	s_or_b64 s[0:1], s[34:35], vcc
	v_cmp_eq_u32_e32 vcc, 1, v21
	s_and_b64 s[4:5], s[0:1], vcc
	s_and_saveexec_b64 s[0:1], s[4:5]
	s_cbranch_execz .LBB441_211
; %bb.210:
	s_lshl_b64 s[4:5], s[26:27], 3
	s_waitcnt lgkmcnt(0)
	s_add_u32 s4, s2, s4
	s_addc_u32 s5, s3, s5
	v_mov_b32_e32 v37, 0
	v_lshl_add_u64 v[44:45], v[36:37], 3, s[4:5]
	global_store_dwordx2 v[44:45], v[12:13], off
.LBB441_211:
	s_or_b64 exec, exec, s[0:1]
	v_cmp_lt_u32_e32 vcc, v34, v16
	v_and_b32_e32 v21, 1, v41
	s_or_b64 s[0:1], s[34:35], vcc
	v_cmp_eq_u32_e32 vcc, 1, v21
	s_and_b64 s[4:5], s[0:1], vcc
	;; [unrolled: 17-line block ×6, first 2 shown]
	s_and_saveexec_b64 s[0:1], s[4:5]
	s_cbranch_execz .LBB441_221
; %bb.220:
	s_lshl_b64 s[4:5], s[26:27], 3
	s_waitcnt lgkmcnt(0)
	s_add_u32 s4, s2, s4
	s_addc_u32 s5, s3, s5
	v_mov_b32_e32 v27, 0
	v_lshl_add_u64 v[44:45], v[26:27], 3, s[4:5]
	global_store_dwordx2 v[44:45], v[14:15], off
.LBB441_221:
	s_or_b64 exec, exec, s[0:1]
	s_branch .LBB441_205
.LBB441_222:
	v_cmp_eq_u32_e32 vcc, 1, v1
	s_and_saveexec_b64 s[0:1], vcc
; %bb.223:
	v_sub_u32_e32 v1, v38, v24
	v_lshlrev_b32_e32 v1, 3, v1
	ds_write_b64 v1, v[10:11]
; %bb.224:
	s_or_b64 exec, exec, s[0:1]
	v_and_b32_e32 v1, 1, v42
	v_cmp_eq_u32_e32 vcc, 1, v1
	s_and_saveexec_b64 s[0:1], vcc
; %bb.225:
	v_sub_u32_e32 v1, v36, v24
	v_lshlrev_b32_e32 v1, 3, v1
	ds_write_b64 v1, v[12:13]
; %bb.226:
	s_or_b64 exec, exec, s[0:1]
	v_and_b32_e32 v1, 1, v41
	;; [unrolled: 9-line block ×6, first 2 shown]
	v_cmp_eq_u32_e32 vcc, 1, v1
	s_and_saveexec_b64 s[0:1], vcc
; %bb.235:
	v_sub_u32_e32 v1, v26, v24
	v_lshlrev_b32_e32 v1, 3, v1
	ds_write_b64 v1, v[14:15]
; %bb.236:
	s_or_b64 exec, exec, s[0:1]
	v_mov_b32_e32 v25, 0
	s_lshl_b64 s[0:1], s[26:27], 3
	v_lshlrev_b64 v[2:3], 3, v[24:25]
	v_lshl_add_u64 v[2:3], s[0:1], 0, v[2:3]
	v_mov_b32_e32 v19, v25
	s_waitcnt lgkmcnt(0)
	v_lshl_add_u64 v[2:3], s[2:3], 0, v[2:3]
	v_lshl_add_u64 v[2:3], v[2:3], 0, v[18:19]
	s_mov_b64 s[0:1], 0
	s_mov_b64 s[2:3], 0x1000
	v_mov_b32_e32 v1, v0
	s_barrier
.LBB441_237:                            ; =>This Inner Loop Header: Depth=1
	ds_read_b64 v[4:5], v18
	v_add_u32_e32 v1, 0x200, v1
	v_cmp_ge_u32_e32 vcc, v1, v22
	v_add_u32_e32 v18, 0x1000, v18
	s_or_b64 s[0:1], vcc, s[0:1]
	s_waitcnt lgkmcnt(0)
	global_store_dwordx2 v[2:3], v[4:5], off
	v_lshl_add_u64 v[2:3], v[2:3], 0, s[2:3]
	s_andn2_b64 exec, exec, s[0:1]
	s_cbranch_execnz .LBB441_237
; %bb.238:
	s_or_b64 exec, exec, s[0:1]
	v_cmp_eq_u32_e32 vcc, 0, v0
	s_and_b64 s[0:1], vcc, s[28:29]
	s_and_saveexec_b64 s[2:3], s[0:1]
	s_cbranch_execz .LBB441_206
.LBB441_239:
	v_mov_b32_e32 v23, 0
	v_lshl_add_u64 v[0:1], s[26:27], 0, v[22:23]
	v_mov_b32_e32 v25, v23
	v_lshl_add_u64 v[0:1], v[0:1], 0, v[24:25]
	global_store_dwordx2 v23, v[0:1], s[24:25]
	s_endpgm
	.section	.rodata,"a",@progbits
	.p2align	6, 0x0
	.amdhsa_kernel _ZN7rocprim17ROCPRIM_400000_NS6detail17trampoline_kernelINS0_14default_configENS1_25partition_config_selectorILNS1_17partition_subalgoE8ElNS0_10empty_typeEbEEZZNS1_14partition_implILS5_8ELb0ES3_jPlPS6_PKS6_NS0_5tupleIJS9_S6_EEENSD_IJSA_SA_EEENS0_18inequality_wrapperIZN2at6native12_GLOBAL__N_124unique_dim_cuda_templateIiEESt5tupleIJNSH_6TensorESM_SM_EERKSM_lbbbEUlllE0_EEPmJS6_EEE10hipError_tPvRmT3_T4_T5_T6_T7_T9_mT8_P12ihipStream_tbDpT10_ENKUlT_T0_E_clISt17integral_constantIbLb0EES1C_EEDaS17_S18_EUlS17_E_NS1_11comp_targetILNS1_3genE0ELNS1_11target_archE4294967295ELNS1_3gpuE0ELNS1_3repE0EEENS1_30default_config_static_selectorELNS0_4arch9wavefront6targetE1EEEvT1_
		.amdhsa_group_segment_fixed_size 28680
		.amdhsa_private_segment_fixed_size 0
		.amdhsa_kernarg_size 120
		.amdhsa_user_sgpr_count 2
		.amdhsa_user_sgpr_dispatch_ptr 0
		.amdhsa_user_sgpr_queue_ptr 0
		.amdhsa_user_sgpr_kernarg_segment_ptr 1
		.amdhsa_user_sgpr_dispatch_id 0
		.amdhsa_user_sgpr_kernarg_preload_length 0
		.amdhsa_user_sgpr_kernarg_preload_offset 0
		.amdhsa_user_sgpr_private_segment_size 0
		.amdhsa_uses_dynamic_stack 0
		.amdhsa_enable_private_segment 0
		.amdhsa_system_sgpr_workgroup_id_x 1
		.amdhsa_system_sgpr_workgroup_id_y 0
		.amdhsa_system_sgpr_workgroup_id_z 0
		.amdhsa_system_sgpr_workgroup_info 0
		.amdhsa_system_vgpr_workitem_id 0
		.amdhsa_next_free_vgpr 58
		.amdhsa_next_free_sgpr 50
		.amdhsa_accum_offset 60
		.amdhsa_reserve_vcc 1
		.amdhsa_float_round_mode_32 0
		.amdhsa_float_round_mode_16_64 0
		.amdhsa_float_denorm_mode_32 3
		.amdhsa_float_denorm_mode_16_64 3
		.amdhsa_dx10_clamp 1
		.amdhsa_ieee_mode 1
		.amdhsa_fp16_overflow 0
		.amdhsa_tg_split 0
		.amdhsa_exception_fp_ieee_invalid_op 0
		.amdhsa_exception_fp_denorm_src 0
		.amdhsa_exception_fp_ieee_div_zero 0
		.amdhsa_exception_fp_ieee_overflow 0
		.amdhsa_exception_fp_ieee_underflow 0
		.amdhsa_exception_fp_ieee_inexact 0
		.amdhsa_exception_int_div_zero 0
	.end_amdhsa_kernel
	.section	.text._ZN7rocprim17ROCPRIM_400000_NS6detail17trampoline_kernelINS0_14default_configENS1_25partition_config_selectorILNS1_17partition_subalgoE8ElNS0_10empty_typeEbEEZZNS1_14partition_implILS5_8ELb0ES3_jPlPS6_PKS6_NS0_5tupleIJS9_S6_EEENSD_IJSA_SA_EEENS0_18inequality_wrapperIZN2at6native12_GLOBAL__N_124unique_dim_cuda_templateIiEESt5tupleIJNSH_6TensorESM_SM_EERKSM_lbbbEUlllE0_EEPmJS6_EEE10hipError_tPvRmT3_T4_T5_T6_T7_T9_mT8_P12ihipStream_tbDpT10_ENKUlT_T0_E_clISt17integral_constantIbLb0EES1C_EEDaS17_S18_EUlS17_E_NS1_11comp_targetILNS1_3genE0ELNS1_11target_archE4294967295ELNS1_3gpuE0ELNS1_3repE0EEENS1_30default_config_static_selectorELNS0_4arch9wavefront6targetE1EEEvT1_,"axG",@progbits,_ZN7rocprim17ROCPRIM_400000_NS6detail17trampoline_kernelINS0_14default_configENS1_25partition_config_selectorILNS1_17partition_subalgoE8ElNS0_10empty_typeEbEEZZNS1_14partition_implILS5_8ELb0ES3_jPlPS6_PKS6_NS0_5tupleIJS9_S6_EEENSD_IJSA_SA_EEENS0_18inequality_wrapperIZN2at6native12_GLOBAL__N_124unique_dim_cuda_templateIiEESt5tupleIJNSH_6TensorESM_SM_EERKSM_lbbbEUlllE0_EEPmJS6_EEE10hipError_tPvRmT3_T4_T5_T6_T7_T9_mT8_P12ihipStream_tbDpT10_ENKUlT_T0_E_clISt17integral_constantIbLb0EES1C_EEDaS17_S18_EUlS17_E_NS1_11comp_targetILNS1_3genE0ELNS1_11target_archE4294967295ELNS1_3gpuE0ELNS1_3repE0EEENS1_30default_config_static_selectorELNS0_4arch9wavefront6targetE1EEEvT1_,comdat
.Lfunc_end441:
	.size	_ZN7rocprim17ROCPRIM_400000_NS6detail17trampoline_kernelINS0_14default_configENS1_25partition_config_selectorILNS1_17partition_subalgoE8ElNS0_10empty_typeEbEEZZNS1_14partition_implILS5_8ELb0ES3_jPlPS6_PKS6_NS0_5tupleIJS9_S6_EEENSD_IJSA_SA_EEENS0_18inequality_wrapperIZN2at6native12_GLOBAL__N_124unique_dim_cuda_templateIiEESt5tupleIJNSH_6TensorESM_SM_EERKSM_lbbbEUlllE0_EEPmJS6_EEE10hipError_tPvRmT3_T4_T5_T6_T7_T9_mT8_P12ihipStream_tbDpT10_ENKUlT_T0_E_clISt17integral_constantIbLb0EES1C_EEDaS17_S18_EUlS17_E_NS1_11comp_targetILNS1_3genE0ELNS1_11target_archE4294967295ELNS1_3gpuE0ELNS1_3repE0EEENS1_30default_config_static_selectorELNS0_4arch9wavefront6targetE1EEEvT1_, .Lfunc_end441-_ZN7rocprim17ROCPRIM_400000_NS6detail17trampoline_kernelINS0_14default_configENS1_25partition_config_selectorILNS1_17partition_subalgoE8ElNS0_10empty_typeEbEEZZNS1_14partition_implILS5_8ELb0ES3_jPlPS6_PKS6_NS0_5tupleIJS9_S6_EEENSD_IJSA_SA_EEENS0_18inequality_wrapperIZN2at6native12_GLOBAL__N_124unique_dim_cuda_templateIiEESt5tupleIJNSH_6TensorESM_SM_EERKSM_lbbbEUlllE0_EEPmJS6_EEE10hipError_tPvRmT3_T4_T5_T6_T7_T9_mT8_P12ihipStream_tbDpT10_ENKUlT_T0_E_clISt17integral_constantIbLb0EES1C_EEDaS17_S18_EUlS17_E_NS1_11comp_targetILNS1_3genE0ELNS1_11target_archE4294967295ELNS1_3gpuE0ELNS1_3repE0EEENS1_30default_config_static_selectorELNS0_4arch9wavefront6targetE1EEEvT1_
                                        ; -- End function
	.set _ZN7rocprim17ROCPRIM_400000_NS6detail17trampoline_kernelINS0_14default_configENS1_25partition_config_selectorILNS1_17partition_subalgoE8ElNS0_10empty_typeEbEEZZNS1_14partition_implILS5_8ELb0ES3_jPlPS6_PKS6_NS0_5tupleIJS9_S6_EEENSD_IJSA_SA_EEENS0_18inequality_wrapperIZN2at6native12_GLOBAL__N_124unique_dim_cuda_templateIiEESt5tupleIJNSH_6TensorESM_SM_EERKSM_lbbbEUlllE0_EEPmJS6_EEE10hipError_tPvRmT3_T4_T5_T6_T7_T9_mT8_P12ihipStream_tbDpT10_ENKUlT_T0_E_clISt17integral_constantIbLb0EES1C_EEDaS17_S18_EUlS17_E_NS1_11comp_targetILNS1_3genE0ELNS1_11target_archE4294967295ELNS1_3gpuE0ELNS1_3repE0EEENS1_30default_config_static_selectorELNS0_4arch9wavefront6targetE1EEEvT1_.num_vgpr, 58
	.set _ZN7rocprim17ROCPRIM_400000_NS6detail17trampoline_kernelINS0_14default_configENS1_25partition_config_selectorILNS1_17partition_subalgoE8ElNS0_10empty_typeEbEEZZNS1_14partition_implILS5_8ELb0ES3_jPlPS6_PKS6_NS0_5tupleIJS9_S6_EEENSD_IJSA_SA_EEENS0_18inequality_wrapperIZN2at6native12_GLOBAL__N_124unique_dim_cuda_templateIiEESt5tupleIJNSH_6TensorESM_SM_EERKSM_lbbbEUlllE0_EEPmJS6_EEE10hipError_tPvRmT3_T4_T5_T6_T7_T9_mT8_P12ihipStream_tbDpT10_ENKUlT_T0_E_clISt17integral_constantIbLb0EES1C_EEDaS17_S18_EUlS17_E_NS1_11comp_targetILNS1_3genE0ELNS1_11target_archE4294967295ELNS1_3gpuE0ELNS1_3repE0EEENS1_30default_config_static_selectorELNS0_4arch9wavefront6targetE1EEEvT1_.num_agpr, 0
	.set _ZN7rocprim17ROCPRIM_400000_NS6detail17trampoline_kernelINS0_14default_configENS1_25partition_config_selectorILNS1_17partition_subalgoE8ElNS0_10empty_typeEbEEZZNS1_14partition_implILS5_8ELb0ES3_jPlPS6_PKS6_NS0_5tupleIJS9_S6_EEENSD_IJSA_SA_EEENS0_18inequality_wrapperIZN2at6native12_GLOBAL__N_124unique_dim_cuda_templateIiEESt5tupleIJNSH_6TensorESM_SM_EERKSM_lbbbEUlllE0_EEPmJS6_EEE10hipError_tPvRmT3_T4_T5_T6_T7_T9_mT8_P12ihipStream_tbDpT10_ENKUlT_T0_E_clISt17integral_constantIbLb0EES1C_EEDaS17_S18_EUlS17_E_NS1_11comp_targetILNS1_3genE0ELNS1_11target_archE4294967295ELNS1_3gpuE0ELNS1_3repE0EEENS1_30default_config_static_selectorELNS0_4arch9wavefront6targetE1EEEvT1_.numbered_sgpr, 50
	.set _ZN7rocprim17ROCPRIM_400000_NS6detail17trampoline_kernelINS0_14default_configENS1_25partition_config_selectorILNS1_17partition_subalgoE8ElNS0_10empty_typeEbEEZZNS1_14partition_implILS5_8ELb0ES3_jPlPS6_PKS6_NS0_5tupleIJS9_S6_EEENSD_IJSA_SA_EEENS0_18inequality_wrapperIZN2at6native12_GLOBAL__N_124unique_dim_cuda_templateIiEESt5tupleIJNSH_6TensorESM_SM_EERKSM_lbbbEUlllE0_EEPmJS6_EEE10hipError_tPvRmT3_T4_T5_T6_T7_T9_mT8_P12ihipStream_tbDpT10_ENKUlT_T0_E_clISt17integral_constantIbLb0EES1C_EEDaS17_S18_EUlS17_E_NS1_11comp_targetILNS1_3genE0ELNS1_11target_archE4294967295ELNS1_3gpuE0ELNS1_3repE0EEENS1_30default_config_static_selectorELNS0_4arch9wavefront6targetE1EEEvT1_.num_named_barrier, 0
	.set _ZN7rocprim17ROCPRIM_400000_NS6detail17trampoline_kernelINS0_14default_configENS1_25partition_config_selectorILNS1_17partition_subalgoE8ElNS0_10empty_typeEbEEZZNS1_14partition_implILS5_8ELb0ES3_jPlPS6_PKS6_NS0_5tupleIJS9_S6_EEENSD_IJSA_SA_EEENS0_18inequality_wrapperIZN2at6native12_GLOBAL__N_124unique_dim_cuda_templateIiEESt5tupleIJNSH_6TensorESM_SM_EERKSM_lbbbEUlllE0_EEPmJS6_EEE10hipError_tPvRmT3_T4_T5_T6_T7_T9_mT8_P12ihipStream_tbDpT10_ENKUlT_T0_E_clISt17integral_constantIbLb0EES1C_EEDaS17_S18_EUlS17_E_NS1_11comp_targetILNS1_3genE0ELNS1_11target_archE4294967295ELNS1_3gpuE0ELNS1_3repE0EEENS1_30default_config_static_selectorELNS0_4arch9wavefront6targetE1EEEvT1_.private_seg_size, 0
	.set _ZN7rocprim17ROCPRIM_400000_NS6detail17trampoline_kernelINS0_14default_configENS1_25partition_config_selectorILNS1_17partition_subalgoE8ElNS0_10empty_typeEbEEZZNS1_14partition_implILS5_8ELb0ES3_jPlPS6_PKS6_NS0_5tupleIJS9_S6_EEENSD_IJSA_SA_EEENS0_18inequality_wrapperIZN2at6native12_GLOBAL__N_124unique_dim_cuda_templateIiEESt5tupleIJNSH_6TensorESM_SM_EERKSM_lbbbEUlllE0_EEPmJS6_EEE10hipError_tPvRmT3_T4_T5_T6_T7_T9_mT8_P12ihipStream_tbDpT10_ENKUlT_T0_E_clISt17integral_constantIbLb0EES1C_EEDaS17_S18_EUlS17_E_NS1_11comp_targetILNS1_3genE0ELNS1_11target_archE4294967295ELNS1_3gpuE0ELNS1_3repE0EEENS1_30default_config_static_selectorELNS0_4arch9wavefront6targetE1EEEvT1_.uses_vcc, 1
	.set _ZN7rocprim17ROCPRIM_400000_NS6detail17trampoline_kernelINS0_14default_configENS1_25partition_config_selectorILNS1_17partition_subalgoE8ElNS0_10empty_typeEbEEZZNS1_14partition_implILS5_8ELb0ES3_jPlPS6_PKS6_NS0_5tupleIJS9_S6_EEENSD_IJSA_SA_EEENS0_18inequality_wrapperIZN2at6native12_GLOBAL__N_124unique_dim_cuda_templateIiEESt5tupleIJNSH_6TensorESM_SM_EERKSM_lbbbEUlllE0_EEPmJS6_EEE10hipError_tPvRmT3_T4_T5_T6_T7_T9_mT8_P12ihipStream_tbDpT10_ENKUlT_T0_E_clISt17integral_constantIbLb0EES1C_EEDaS17_S18_EUlS17_E_NS1_11comp_targetILNS1_3genE0ELNS1_11target_archE4294967295ELNS1_3gpuE0ELNS1_3repE0EEENS1_30default_config_static_selectorELNS0_4arch9wavefront6targetE1EEEvT1_.uses_flat_scratch, 0
	.set _ZN7rocprim17ROCPRIM_400000_NS6detail17trampoline_kernelINS0_14default_configENS1_25partition_config_selectorILNS1_17partition_subalgoE8ElNS0_10empty_typeEbEEZZNS1_14partition_implILS5_8ELb0ES3_jPlPS6_PKS6_NS0_5tupleIJS9_S6_EEENSD_IJSA_SA_EEENS0_18inequality_wrapperIZN2at6native12_GLOBAL__N_124unique_dim_cuda_templateIiEESt5tupleIJNSH_6TensorESM_SM_EERKSM_lbbbEUlllE0_EEPmJS6_EEE10hipError_tPvRmT3_T4_T5_T6_T7_T9_mT8_P12ihipStream_tbDpT10_ENKUlT_T0_E_clISt17integral_constantIbLb0EES1C_EEDaS17_S18_EUlS17_E_NS1_11comp_targetILNS1_3genE0ELNS1_11target_archE4294967295ELNS1_3gpuE0ELNS1_3repE0EEENS1_30default_config_static_selectorELNS0_4arch9wavefront6targetE1EEEvT1_.has_dyn_sized_stack, 0
	.set _ZN7rocprim17ROCPRIM_400000_NS6detail17trampoline_kernelINS0_14default_configENS1_25partition_config_selectorILNS1_17partition_subalgoE8ElNS0_10empty_typeEbEEZZNS1_14partition_implILS5_8ELb0ES3_jPlPS6_PKS6_NS0_5tupleIJS9_S6_EEENSD_IJSA_SA_EEENS0_18inequality_wrapperIZN2at6native12_GLOBAL__N_124unique_dim_cuda_templateIiEESt5tupleIJNSH_6TensorESM_SM_EERKSM_lbbbEUlllE0_EEPmJS6_EEE10hipError_tPvRmT3_T4_T5_T6_T7_T9_mT8_P12ihipStream_tbDpT10_ENKUlT_T0_E_clISt17integral_constantIbLb0EES1C_EEDaS17_S18_EUlS17_E_NS1_11comp_targetILNS1_3genE0ELNS1_11target_archE4294967295ELNS1_3gpuE0ELNS1_3repE0EEENS1_30default_config_static_selectorELNS0_4arch9wavefront6targetE1EEEvT1_.has_recursion, 0
	.set _ZN7rocprim17ROCPRIM_400000_NS6detail17trampoline_kernelINS0_14default_configENS1_25partition_config_selectorILNS1_17partition_subalgoE8ElNS0_10empty_typeEbEEZZNS1_14partition_implILS5_8ELb0ES3_jPlPS6_PKS6_NS0_5tupleIJS9_S6_EEENSD_IJSA_SA_EEENS0_18inequality_wrapperIZN2at6native12_GLOBAL__N_124unique_dim_cuda_templateIiEESt5tupleIJNSH_6TensorESM_SM_EERKSM_lbbbEUlllE0_EEPmJS6_EEE10hipError_tPvRmT3_T4_T5_T6_T7_T9_mT8_P12ihipStream_tbDpT10_ENKUlT_T0_E_clISt17integral_constantIbLb0EES1C_EEDaS17_S18_EUlS17_E_NS1_11comp_targetILNS1_3genE0ELNS1_11target_archE4294967295ELNS1_3gpuE0ELNS1_3repE0EEENS1_30default_config_static_selectorELNS0_4arch9wavefront6targetE1EEEvT1_.has_indirect_call, 0
	.section	.AMDGPU.csdata,"",@progbits
; Kernel info:
; codeLenInByte = 10796
; TotalNumSgprs: 56
; NumVgprs: 58
; NumAgprs: 0
; TotalNumVgprs: 58
; ScratchSize: 0
; MemoryBound: 0
; FloatMode: 240
; IeeeMode: 1
; LDSByteSize: 28680 bytes/workgroup (compile time only)
; SGPRBlocks: 6
; VGPRBlocks: 7
; NumSGPRsForWavesPerEU: 56
; NumVGPRsForWavesPerEU: 58
; AccumOffset: 60
; Occupancy: 8
; WaveLimiterHint : 1
; COMPUTE_PGM_RSRC2:SCRATCH_EN: 0
; COMPUTE_PGM_RSRC2:USER_SGPR: 2
; COMPUTE_PGM_RSRC2:TRAP_HANDLER: 0
; COMPUTE_PGM_RSRC2:TGID_X_EN: 1
; COMPUTE_PGM_RSRC2:TGID_Y_EN: 0
; COMPUTE_PGM_RSRC2:TGID_Z_EN: 0
; COMPUTE_PGM_RSRC2:TIDIG_COMP_CNT: 0
; COMPUTE_PGM_RSRC3_GFX90A:ACCUM_OFFSET: 14
; COMPUTE_PGM_RSRC3_GFX90A:TG_SPLIT: 0
	.section	.text._ZN7rocprim17ROCPRIM_400000_NS6detail17trampoline_kernelINS0_14default_configENS1_25partition_config_selectorILNS1_17partition_subalgoE8ElNS0_10empty_typeEbEEZZNS1_14partition_implILS5_8ELb0ES3_jPlPS6_PKS6_NS0_5tupleIJS9_S6_EEENSD_IJSA_SA_EEENS0_18inequality_wrapperIZN2at6native12_GLOBAL__N_124unique_dim_cuda_templateIiEESt5tupleIJNSH_6TensorESM_SM_EERKSM_lbbbEUlllE0_EEPmJS6_EEE10hipError_tPvRmT3_T4_T5_T6_T7_T9_mT8_P12ihipStream_tbDpT10_ENKUlT_T0_E_clISt17integral_constantIbLb0EES1C_EEDaS17_S18_EUlS17_E_NS1_11comp_targetILNS1_3genE5ELNS1_11target_archE942ELNS1_3gpuE9ELNS1_3repE0EEENS1_30default_config_static_selectorELNS0_4arch9wavefront6targetE1EEEvT1_,"axG",@progbits,_ZN7rocprim17ROCPRIM_400000_NS6detail17trampoline_kernelINS0_14default_configENS1_25partition_config_selectorILNS1_17partition_subalgoE8ElNS0_10empty_typeEbEEZZNS1_14partition_implILS5_8ELb0ES3_jPlPS6_PKS6_NS0_5tupleIJS9_S6_EEENSD_IJSA_SA_EEENS0_18inequality_wrapperIZN2at6native12_GLOBAL__N_124unique_dim_cuda_templateIiEESt5tupleIJNSH_6TensorESM_SM_EERKSM_lbbbEUlllE0_EEPmJS6_EEE10hipError_tPvRmT3_T4_T5_T6_T7_T9_mT8_P12ihipStream_tbDpT10_ENKUlT_T0_E_clISt17integral_constantIbLb0EES1C_EEDaS17_S18_EUlS17_E_NS1_11comp_targetILNS1_3genE5ELNS1_11target_archE942ELNS1_3gpuE9ELNS1_3repE0EEENS1_30default_config_static_selectorELNS0_4arch9wavefront6targetE1EEEvT1_,comdat
	.globl	_ZN7rocprim17ROCPRIM_400000_NS6detail17trampoline_kernelINS0_14default_configENS1_25partition_config_selectorILNS1_17partition_subalgoE8ElNS0_10empty_typeEbEEZZNS1_14partition_implILS5_8ELb0ES3_jPlPS6_PKS6_NS0_5tupleIJS9_S6_EEENSD_IJSA_SA_EEENS0_18inequality_wrapperIZN2at6native12_GLOBAL__N_124unique_dim_cuda_templateIiEESt5tupleIJNSH_6TensorESM_SM_EERKSM_lbbbEUlllE0_EEPmJS6_EEE10hipError_tPvRmT3_T4_T5_T6_T7_T9_mT8_P12ihipStream_tbDpT10_ENKUlT_T0_E_clISt17integral_constantIbLb0EES1C_EEDaS17_S18_EUlS17_E_NS1_11comp_targetILNS1_3genE5ELNS1_11target_archE942ELNS1_3gpuE9ELNS1_3repE0EEENS1_30default_config_static_selectorELNS0_4arch9wavefront6targetE1EEEvT1_ ; -- Begin function _ZN7rocprim17ROCPRIM_400000_NS6detail17trampoline_kernelINS0_14default_configENS1_25partition_config_selectorILNS1_17partition_subalgoE8ElNS0_10empty_typeEbEEZZNS1_14partition_implILS5_8ELb0ES3_jPlPS6_PKS6_NS0_5tupleIJS9_S6_EEENSD_IJSA_SA_EEENS0_18inequality_wrapperIZN2at6native12_GLOBAL__N_124unique_dim_cuda_templateIiEESt5tupleIJNSH_6TensorESM_SM_EERKSM_lbbbEUlllE0_EEPmJS6_EEE10hipError_tPvRmT3_T4_T5_T6_T7_T9_mT8_P12ihipStream_tbDpT10_ENKUlT_T0_E_clISt17integral_constantIbLb0EES1C_EEDaS17_S18_EUlS17_E_NS1_11comp_targetILNS1_3genE5ELNS1_11target_archE942ELNS1_3gpuE9ELNS1_3repE0EEENS1_30default_config_static_selectorELNS0_4arch9wavefront6targetE1EEEvT1_
	.p2align	8
	.type	_ZN7rocprim17ROCPRIM_400000_NS6detail17trampoline_kernelINS0_14default_configENS1_25partition_config_selectorILNS1_17partition_subalgoE8ElNS0_10empty_typeEbEEZZNS1_14partition_implILS5_8ELb0ES3_jPlPS6_PKS6_NS0_5tupleIJS9_S6_EEENSD_IJSA_SA_EEENS0_18inequality_wrapperIZN2at6native12_GLOBAL__N_124unique_dim_cuda_templateIiEESt5tupleIJNSH_6TensorESM_SM_EERKSM_lbbbEUlllE0_EEPmJS6_EEE10hipError_tPvRmT3_T4_T5_T6_T7_T9_mT8_P12ihipStream_tbDpT10_ENKUlT_T0_E_clISt17integral_constantIbLb0EES1C_EEDaS17_S18_EUlS17_E_NS1_11comp_targetILNS1_3genE5ELNS1_11target_archE942ELNS1_3gpuE9ELNS1_3repE0EEENS1_30default_config_static_selectorELNS0_4arch9wavefront6targetE1EEEvT1_,@function
_ZN7rocprim17ROCPRIM_400000_NS6detail17trampoline_kernelINS0_14default_configENS1_25partition_config_selectorILNS1_17partition_subalgoE8ElNS0_10empty_typeEbEEZZNS1_14partition_implILS5_8ELb0ES3_jPlPS6_PKS6_NS0_5tupleIJS9_S6_EEENSD_IJSA_SA_EEENS0_18inequality_wrapperIZN2at6native12_GLOBAL__N_124unique_dim_cuda_templateIiEESt5tupleIJNSH_6TensorESM_SM_EERKSM_lbbbEUlllE0_EEPmJS6_EEE10hipError_tPvRmT3_T4_T5_T6_T7_T9_mT8_P12ihipStream_tbDpT10_ENKUlT_T0_E_clISt17integral_constantIbLb0EES1C_EEDaS17_S18_EUlS17_E_NS1_11comp_targetILNS1_3genE5ELNS1_11target_archE942ELNS1_3gpuE9ELNS1_3repE0EEENS1_30default_config_static_selectorELNS0_4arch9wavefront6targetE1EEEvT1_: ; @_ZN7rocprim17ROCPRIM_400000_NS6detail17trampoline_kernelINS0_14default_configENS1_25partition_config_selectorILNS1_17partition_subalgoE8ElNS0_10empty_typeEbEEZZNS1_14partition_implILS5_8ELb0ES3_jPlPS6_PKS6_NS0_5tupleIJS9_S6_EEENSD_IJSA_SA_EEENS0_18inequality_wrapperIZN2at6native12_GLOBAL__N_124unique_dim_cuda_templateIiEESt5tupleIJNSH_6TensorESM_SM_EERKSM_lbbbEUlllE0_EEPmJS6_EEE10hipError_tPvRmT3_T4_T5_T6_T7_T9_mT8_P12ihipStream_tbDpT10_ENKUlT_T0_E_clISt17integral_constantIbLb0EES1C_EEDaS17_S18_EUlS17_E_NS1_11comp_targetILNS1_3genE5ELNS1_11target_archE942ELNS1_3gpuE9ELNS1_3repE0EEENS1_30default_config_static_selectorELNS0_4arch9wavefront6targetE1EEEvT1_
; %bb.0:
	.section	.rodata,"a",@progbits
	.p2align	6, 0x0
	.amdhsa_kernel _ZN7rocprim17ROCPRIM_400000_NS6detail17trampoline_kernelINS0_14default_configENS1_25partition_config_selectorILNS1_17partition_subalgoE8ElNS0_10empty_typeEbEEZZNS1_14partition_implILS5_8ELb0ES3_jPlPS6_PKS6_NS0_5tupleIJS9_S6_EEENSD_IJSA_SA_EEENS0_18inequality_wrapperIZN2at6native12_GLOBAL__N_124unique_dim_cuda_templateIiEESt5tupleIJNSH_6TensorESM_SM_EERKSM_lbbbEUlllE0_EEPmJS6_EEE10hipError_tPvRmT3_T4_T5_T6_T7_T9_mT8_P12ihipStream_tbDpT10_ENKUlT_T0_E_clISt17integral_constantIbLb0EES1C_EEDaS17_S18_EUlS17_E_NS1_11comp_targetILNS1_3genE5ELNS1_11target_archE942ELNS1_3gpuE9ELNS1_3repE0EEENS1_30default_config_static_selectorELNS0_4arch9wavefront6targetE1EEEvT1_
		.amdhsa_group_segment_fixed_size 0
		.amdhsa_private_segment_fixed_size 0
		.amdhsa_kernarg_size 120
		.amdhsa_user_sgpr_count 2
		.amdhsa_user_sgpr_dispatch_ptr 0
		.amdhsa_user_sgpr_queue_ptr 0
		.amdhsa_user_sgpr_kernarg_segment_ptr 1
		.amdhsa_user_sgpr_dispatch_id 0
		.amdhsa_user_sgpr_kernarg_preload_length 0
		.amdhsa_user_sgpr_kernarg_preload_offset 0
		.amdhsa_user_sgpr_private_segment_size 0
		.amdhsa_uses_dynamic_stack 0
		.amdhsa_enable_private_segment 0
		.amdhsa_system_sgpr_workgroup_id_x 1
		.amdhsa_system_sgpr_workgroup_id_y 0
		.amdhsa_system_sgpr_workgroup_id_z 0
		.amdhsa_system_sgpr_workgroup_info 0
		.amdhsa_system_vgpr_workitem_id 0
		.amdhsa_next_free_vgpr 1
		.amdhsa_next_free_sgpr 0
		.amdhsa_accum_offset 4
		.amdhsa_reserve_vcc 0
		.amdhsa_float_round_mode_32 0
		.amdhsa_float_round_mode_16_64 0
		.amdhsa_float_denorm_mode_32 3
		.amdhsa_float_denorm_mode_16_64 3
		.amdhsa_dx10_clamp 1
		.amdhsa_ieee_mode 1
		.amdhsa_fp16_overflow 0
		.amdhsa_tg_split 0
		.amdhsa_exception_fp_ieee_invalid_op 0
		.amdhsa_exception_fp_denorm_src 0
		.amdhsa_exception_fp_ieee_div_zero 0
		.amdhsa_exception_fp_ieee_overflow 0
		.amdhsa_exception_fp_ieee_underflow 0
		.amdhsa_exception_fp_ieee_inexact 0
		.amdhsa_exception_int_div_zero 0
	.end_amdhsa_kernel
	.section	.text._ZN7rocprim17ROCPRIM_400000_NS6detail17trampoline_kernelINS0_14default_configENS1_25partition_config_selectorILNS1_17partition_subalgoE8ElNS0_10empty_typeEbEEZZNS1_14partition_implILS5_8ELb0ES3_jPlPS6_PKS6_NS0_5tupleIJS9_S6_EEENSD_IJSA_SA_EEENS0_18inequality_wrapperIZN2at6native12_GLOBAL__N_124unique_dim_cuda_templateIiEESt5tupleIJNSH_6TensorESM_SM_EERKSM_lbbbEUlllE0_EEPmJS6_EEE10hipError_tPvRmT3_T4_T5_T6_T7_T9_mT8_P12ihipStream_tbDpT10_ENKUlT_T0_E_clISt17integral_constantIbLb0EES1C_EEDaS17_S18_EUlS17_E_NS1_11comp_targetILNS1_3genE5ELNS1_11target_archE942ELNS1_3gpuE9ELNS1_3repE0EEENS1_30default_config_static_selectorELNS0_4arch9wavefront6targetE1EEEvT1_,"axG",@progbits,_ZN7rocprim17ROCPRIM_400000_NS6detail17trampoline_kernelINS0_14default_configENS1_25partition_config_selectorILNS1_17partition_subalgoE8ElNS0_10empty_typeEbEEZZNS1_14partition_implILS5_8ELb0ES3_jPlPS6_PKS6_NS0_5tupleIJS9_S6_EEENSD_IJSA_SA_EEENS0_18inequality_wrapperIZN2at6native12_GLOBAL__N_124unique_dim_cuda_templateIiEESt5tupleIJNSH_6TensorESM_SM_EERKSM_lbbbEUlllE0_EEPmJS6_EEE10hipError_tPvRmT3_T4_T5_T6_T7_T9_mT8_P12ihipStream_tbDpT10_ENKUlT_T0_E_clISt17integral_constantIbLb0EES1C_EEDaS17_S18_EUlS17_E_NS1_11comp_targetILNS1_3genE5ELNS1_11target_archE942ELNS1_3gpuE9ELNS1_3repE0EEENS1_30default_config_static_selectorELNS0_4arch9wavefront6targetE1EEEvT1_,comdat
.Lfunc_end442:
	.size	_ZN7rocprim17ROCPRIM_400000_NS6detail17trampoline_kernelINS0_14default_configENS1_25partition_config_selectorILNS1_17partition_subalgoE8ElNS0_10empty_typeEbEEZZNS1_14partition_implILS5_8ELb0ES3_jPlPS6_PKS6_NS0_5tupleIJS9_S6_EEENSD_IJSA_SA_EEENS0_18inequality_wrapperIZN2at6native12_GLOBAL__N_124unique_dim_cuda_templateIiEESt5tupleIJNSH_6TensorESM_SM_EERKSM_lbbbEUlllE0_EEPmJS6_EEE10hipError_tPvRmT3_T4_T5_T6_T7_T9_mT8_P12ihipStream_tbDpT10_ENKUlT_T0_E_clISt17integral_constantIbLb0EES1C_EEDaS17_S18_EUlS17_E_NS1_11comp_targetILNS1_3genE5ELNS1_11target_archE942ELNS1_3gpuE9ELNS1_3repE0EEENS1_30default_config_static_selectorELNS0_4arch9wavefront6targetE1EEEvT1_, .Lfunc_end442-_ZN7rocprim17ROCPRIM_400000_NS6detail17trampoline_kernelINS0_14default_configENS1_25partition_config_selectorILNS1_17partition_subalgoE8ElNS0_10empty_typeEbEEZZNS1_14partition_implILS5_8ELb0ES3_jPlPS6_PKS6_NS0_5tupleIJS9_S6_EEENSD_IJSA_SA_EEENS0_18inequality_wrapperIZN2at6native12_GLOBAL__N_124unique_dim_cuda_templateIiEESt5tupleIJNSH_6TensorESM_SM_EERKSM_lbbbEUlllE0_EEPmJS6_EEE10hipError_tPvRmT3_T4_T5_T6_T7_T9_mT8_P12ihipStream_tbDpT10_ENKUlT_T0_E_clISt17integral_constantIbLb0EES1C_EEDaS17_S18_EUlS17_E_NS1_11comp_targetILNS1_3genE5ELNS1_11target_archE942ELNS1_3gpuE9ELNS1_3repE0EEENS1_30default_config_static_selectorELNS0_4arch9wavefront6targetE1EEEvT1_
                                        ; -- End function
	.set _ZN7rocprim17ROCPRIM_400000_NS6detail17trampoline_kernelINS0_14default_configENS1_25partition_config_selectorILNS1_17partition_subalgoE8ElNS0_10empty_typeEbEEZZNS1_14partition_implILS5_8ELb0ES3_jPlPS6_PKS6_NS0_5tupleIJS9_S6_EEENSD_IJSA_SA_EEENS0_18inequality_wrapperIZN2at6native12_GLOBAL__N_124unique_dim_cuda_templateIiEESt5tupleIJNSH_6TensorESM_SM_EERKSM_lbbbEUlllE0_EEPmJS6_EEE10hipError_tPvRmT3_T4_T5_T6_T7_T9_mT8_P12ihipStream_tbDpT10_ENKUlT_T0_E_clISt17integral_constantIbLb0EES1C_EEDaS17_S18_EUlS17_E_NS1_11comp_targetILNS1_3genE5ELNS1_11target_archE942ELNS1_3gpuE9ELNS1_3repE0EEENS1_30default_config_static_selectorELNS0_4arch9wavefront6targetE1EEEvT1_.num_vgpr, 0
	.set _ZN7rocprim17ROCPRIM_400000_NS6detail17trampoline_kernelINS0_14default_configENS1_25partition_config_selectorILNS1_17partition_subalgoE8ElNS0_10empty_typeEbEEZZNS1_14partition_implILS5_8ELb0ES3_jPlPS6_PKS6_NS0_5tupleIJS9_S6_EEENSD_IJSA_SA_EEENS0_18inequality_wrapperIZN2at6native12_GLOBAL__N_124unique_dim_cuda_templateIiEESt5tupleIJNSH_6TensorESM_SM_EERKSM_lbbbEUlllE0_EEPmJS6_EEE10hipError_tPvRmT3_T4_T5_T6_T7_T9_mT8_P12ihipStream_tbDpT10_ENKUlT_T0_E_clISt17integral_constantIbLb0EES1C_EEDaS17_S18_EUlS17_E_NS1_11comp_targetILNS1_3genE5ELNS1_11target_archE942ELNS1_3gpuE9ELNS1_3repE0EEENS1_30default_config_static_selectorELNS0_4arch9wavefront6targetE1EEEvT1_.num_agpr, 0
	.set _ZN7rocprim17ROCPRIM_400000_NS6detail17trampoline_kernelINS0_14default_configENS1_25partition_config_selectorILNS1_17partition_subalgoE8ElNS0_10empty_typeEbEEZZNS1_14partition_implILS5_8ELb0ES3_jPlPS6_PKS6_NS0_5tupleIJS9_S6_EEENSD_IJSA_SA_EEENS0_18inequality_wrapperIZN2at6native12_GLOBAL__N_124unique_dim_cuda_templateIiEESt5tupleIJNSH_6TensorESM_SM_EERKSM_lbbbEUlllE0_EEPmJS6_EEE10hipError_tPvRmT3_T4_T5_T6_T7_T9_mT8_P12ihipStream_tbDpT10_ENKUlT_T0_E_clISt17integral_constantIbLb0EES1C_EEDaS17_S18_EUlS17_E_NS1_11comp_targetILNS1_3genE5ELNS1_11target_archE942ELNS1_3gpuE9ELNS1_3repE0EEENS1_30default_config_static_selectorELNS0_4arch9wavefront6targetE1EEEvT1_.numbered_sgpr, 0
	.set _ZN7rocprim17ROCPRIM_400000_NS6detail17trampoline_kernelINS0_14default_configENS1_25partition_config_selectorILNS1_17partition_subalgoE8ElNS0_10empty_typeEbEEZZNS1_14partition_implILS5_8ELb0ES3_jPlPS6_PKS6_NS0_5tupleIJS9_S6_EEENSD_IJSA_SA_EEENS0_18inequality_wrapperIZN2at6native12_GLOBAL__N_124unique_dim_cuda_templateIiEESt5tupleIJNSH_6TensorESM_SM_EERKSM_lbbbEUlllE0_EEPmJS6_EEE10hipError_tPvRmT3_T4_T5_T6_T7_T9_mT8_P12ihipStream_tbDpT10_ENKUlT_T0_E_clISt17integral_constantIbLb0EES1C_EEDaS17_S18_EUlS17_E_NS1_11comp_targetILNS1_3genE5ELNS1_11target_archE942ELNS1_3gpuE9ELNS1_3repE0EEENS1_30default_config_static_selectorELNS0_4arch9wavefront6targetE1EEEvT1_.num_named_barrier, 0
	.set _ZN7rocprim17ROCPRIM_400000_NS6detail17trampoline_kernelINS0_14default_configENS1_25partition_config_selectorILNS1_17partition_subalgoE8ElNS0_10empty_typeEbEEZZNS1_14partition_implILS5_8ELb0ES3_jPlPS6_PKS6_NS0_5tupleIJS9_S6_EEENSD_IJSA_SA_EEENS0_18inequality_wrapperIZN2at6native12_GLOBAL__N_124unique_dim_cuda_templateIiEESt5tupleIJNSH_6TensorESM_SM_EERKSM_lbbbEUlllE0_EEPmJS6_EEE10hipError_tPvRmT3_T4_T5_T6_T7_T9_mT8_P12ihipStream_tbDpT10_ENKUlT_T0_E_clISt17integral_constantIbLb0EES1C_EEDaS17_S18_EUlS17_E_NS1_11comp_targetILNS1_3genE5ELNS1_11target_archE942ELNS1_3gpuE9ELNS1_3repE0EEENS1_30default_config_static_selectorELNS0_4arch9wavefront6targetE1EEEvT1_.private_seg_size, 0
	.set _ZN7rocprim17ROCPRIM_400000_NS6detail17trampoline_kernelINS0_14default_configENS1_25partition_config_selectorILNS1_17partition_subalgoE8ElNS0_10empty_typeEbEEZZNS1_14partition_implILS5_8ELb0ES3_jPlPS6_PKS6_NS0_5tupleIJS9_S6_EEENSD_IJSA_SA_EEENS0_18inequality_wrapperIZN2at6native12_GLOBAL__N_124unique_dim_cuda_templateIiEESt5tupleIJNSH_6TensorESM_SM_EERKSM_lbbbEUlllE0_EEPmJS6_EEE10hipError_tPvRmT3_T4_T5_T6_T7_T9_mT8_P12ihipStream_tbDpT10_ENKUlT_T0_E_clISt17integral_constantIbLb0EES1C_EEDaS17_S18_EUlS17_E_NS1_11comp_targetILNS1_3genE5ELNS1_11target_archE942ELNS1_3gpuE9ELNS1_3repE0EEENS1_30default_config_static_selectorELNS0_4arch9wavefront6targetE1EEEvT1_.uses_vcc, 0
	.set _ZN7rocprim17ROCPRIM_400000_NS6detail17trampoline_kernelINS0_14default_configENS1_25partition_config_selectorILNS1_17partition_subalgoE8ElNS0_10empty_typeEbEEZZNS1_14partition_implILS5_8ELb0ES3_jPlPS6_PKS6_NS0_5tupleIJS9_S6_EEENSD_IJSA_SA_EEENS0_18inequality_wrapperIZN2at6native12_GLOBAL__N_124unique_dim_cuda_templateIiEESt5tupleIJNSH_6TensorESM_SM_EERKSM_lbbbEUlllE0_EEPmJS6_EEE10hipError_tPvRmT3_T4_T5_T6_T7_T9_mT8_P12ihipStream_tbDpT10_ENKUlT_T0_E_clISt17integral_constantIbLb0EES1C_EEDaS17_S18_EUlS17_E_NS1_11comp_targetILNS1_3genE5ELNS1_11target_archE942ELNS1_3gpuE9ELNS1_3repE0EEENS1_30default_config_static_selectorELNS0_4arch9wavefront6targetE1EEEvT1_.uses_flat_scratch, 0
	.set _ZN7rocprim17ROCPRIM_400000_NS6detail17trampoline_kernelINS0_14default_configENS1_25partition_config_selectorILNS1_17partition_subalgoE8ElNS0_10empty_typeEbEEZZNS1_14partition_implILS5_8ELb0ES3_jPlPS6_PKS6_NS0_5tupleIJS9_S6_EEENSD_IJSA_SA_EEENS0_18inequality_wrapperIZN2at6native12_GLOBAL__N_124unique_dim_cuda_templateIiEESt5tupleIJNSH_6TensorESM_SM_EERKSM_lbbbEUlllE0_EEPmJS6_EEE10hipError_tPvRmT3_T4_T5_T6_T7_T9_mT8_P12ihipStream_tbDpT10_ENKUlT_T0_E_clISt17integral_constantIbLb0EES1C_EEDaS17_S18_EUlS17_E_NS1_11comp_targetILNS1_3genE5ELNS1_11target_archE942ELNS1_3gpuE9ELNS1_3repE0EEENS1_30default_config_static_selectorELNS0_4arch9wavefront6targetE1EEEvT1_.has_dyn_sized_stack, 0
	.set _ZN7rocprim17ROCPRIM_400000_NS6detail17trampoline_kernelINS0_14default_configENS1_25partition_config_selectorILNS1_17partition_subalgoE8ElNS0_10empty_typeEbEEZZNS1_14partition_implILS5_8ELb0ES3_jPlPS6_PKS6_NS0_5tupleIJS9_S6_EEENSD_IJSA_SA_EEENS0_18inequality_wrapperIZN2at6native12_GLOBAL__N_124unique_dim_cuda_templateIiEESt5tupleIJNSH_6TensorESM_SM_EERKSM_lbbbEUlllE0_EEPmJS6_EEE10hipError_tPvRmT3_T4_T5_T6_T7_T9_mT8_P12ihipStream_tbDpT10_ENKUlT_T0_E_clISt17integral_constantIbLb0EES1C_EEDaS17_S18_EUlS17_E_NS1_11comp_targetILNS1_3genE5ELNS1_11target_archE942ELNS1_3gpuE9ELNS1_3repE0EEENS1_30default_config_static_selectorELNS0_4arch9wavefront6targetE1EEEvT1_.has_recursion, 0
	.set _ZN7rocprim17ROCPRIM_400000_NS6detail17trampoline_kernelINS0_14default_configENS1_25partition_config_selectorILNS1_17partition_subalgoE8ElNS0_10empty_typeEbEEZZNS1_14partition_implILS5_8ELb0ES3_jPlPS6_PKS6_NS0_5tupleIJS9_S6_EEENSD_IJSA_SA_EEENS0_18inequality_wrapperIZN2at6native12_GLOBAL__N_124unique_dim_cuda_templateIiEESt5tupleIJNSH_6TensorESM_SM_EERKSM_lbbbEUlllE0_EEPmJS6_EEE10hipError_tPvRmT3_T4_T5_T6_T7_T9_mT8_P12ihipStream_tbDpT10_ENKUlT_T0_E_clISt17integral_constantIbLb0EES1C_EEDaS17_S18_EUlS17_E_NS1_11comp_targetILNS1_3genE5ELNS1_11target_archE942ELNS1_3gpuE9ELNS1_3repE0EEENS1_30default_config_static_selectorELNS0_4arch9wavefront6targetE1EEEvT1_.has_indirect_call, 0
	.section	.AMDGPU.csdata,"",@progbits
; Kernel info:
; codeLenInByte = 0
; TotalNumSgprs: 6
; NumVgprs: 0
; NumAgprs: 0
; TotalNumVgprs: 0
; ScratchSize: 0
; MemoryBound: 0
; FloatMode: 240
; IeeeMode: 1
; LDSByteSize: 0 bytes/workgroup (compile time only)
; SGPRBlocks: 0
; VGPRBlocks: 0
; NumSGPRsForWavesPerEU: 6
; NumVGPRsForWavesPerEU: 1
; AccumOffset: 4
; Occupancy: 8
; WaveLimiterHint : 0
; COMPUTE_PGM_RSRC2:SCRATCH_EN: 0
; COMPUTE_PGM_RSRC2:USER_SGPR: 2
; COMPUTE_PGM_RSRC2:TRAP_HANDLER: 0
; COMPUTE_PGM_RSRC2:TGID_X_EN: 1
; COMPUTE_PGM_RSRC2:TGID_Y_EN: 0
; COMPUTE_PGM_RSRC2:TGID_Z_EN: 0
; COMPUTE_PGM_RSRC2:TIDIG_COMP_CNT: 0
; COMPUTE_PGM_RSRC3_GFX90A:ACCUM_OFFSET: 0
; COMPUTE_PGM_RSRC3_GFX90A:TG_SPLIT: 0
	.section	.text._ZN7rocprim17ROCPRIM_400000_NS6detail17trampoline_kernelINS0_14default_configENS1_25partition_config_selectorILNS1_17partition_subalgoE8ElNS0_10empty_typeEbEEZZNS1_14partition_implILS5_8ELb0ES3_jPlPS6_PKS6_NS0_5tupleIJS9_S6_EEENSD_IJSA_SA_EEENS0_18inequality_wrapperIZN2at6native12_GLOBAL__N_124unique_dim_cuda_templateIiEESt5tupleIJNSH_6TensorESM_SM_EERKSM_lbbbEUlllE0_EEPmJS6_EEE10hipError_tPvRmT3_T4_T5_T6_T7_T9_mT8_P12ihipStream_tbDpT10_ENKUlT_T0_E_clISt17integral_constantIbLb0EES1C_EEDaS17_S18_EUlS17_E_NS1_11comp_targetILNS1_3genE4ELNS1_11target_archE910ELNS1_3gpuE8ELNS1_3repE0EEENS1_30default_config_static_selectorELNS0_4arch9wavefront6targetE1EEEvT1_,"axG",@progbits,_ZN7rocprim17ROCPRIM_400000_NS6detail17trampoline_kernelINS0_14default_configENS1_25partition_config_selectorILNS1_17partition_subalgoE8ElNS0_10empty_typeEbEEZZNS1_14partition_implILS5_8ELb0ES3_jPlPS6_PKS6_NS0_5tupleIJS9_S6_EEENSD_IJSA_SA_EEENS0_18inequality_wrapperIZN2at6native12_GLOBAL__N_124unique_dim_cuda_templateIiEESt5tupleIJNSH_6TensorESM_SM_EERKSM_lbbbEUlllE0_EEPmJS6_EEE10hipError_tPvRmT3_T4_T5_T6_T7_T9_mT8_P12ihipStream_tbDpT10_ENKUlT_T0_E_clISt17integral_constantIbLb0EES1C_EEDaS17_S18_EUlS17_E_NS1_11comp_targetILNS1_3genE4ELNS1_11target_archE910ELNS1_3gpuE8ELNS1_3repE0EEENS1_30default_config_static_selectorELNS0_4arch9wavefront6targetE1EEEvT1_,comdat
	.globl	_ZN7rocprim17ROCPRIM_400000_NS6detail17trampoline_kernelINS0_14default_configENS1_25partition_config_selectorILNS1_17partition_subalgoE8ElNS0_10empty_typeEbEEZZNS1_14partition_implILS5_8ELb0ES3_jPlPS6_PKS6_NS0_5tupleIJS9_S6_EEENSD_IJSA_SA_EEENS0_18inequality_wrapperIZN2at6native12_GLOBAL__N_124unique_dim_cuda_templateIiEESt5tupleIJNSH_6TensorESM_SM_EERKSM_lbbbEUlllE0_EEPmJS6_EEE10hipError_tPvRmT3_T4_T5_T6_T7_T9_mT8_P12ihipStream_tbDpT10_ENKUlT_T0_E_clISt17integral_constantIbLb0EES1C_EEDaS17_S18_EUlS17_E_NS1_11comp_targetILNS1_3genE4ELNS1_11target_archE910ELNS1_3gpuE8ELNS1_3repE0EEENS1_30default_config_static_selectorELNS0_4arch9wavefront6targetE1EEEvT1_ ; -- Begin function _ZN7rocprim17ROCPRIM_400000_NS6detail17trampoline_kernelINS0_14default_configENS1_25partition_config_selectorILNS1_17partition_subalgoE8ElNS0_10empty_typeEbEEZZNS1_14partition_implILS5_8ELb0ES3_jPlPS6_PKS6_NS0_5tupleIJS9_S6_EEENSD_IJSA_SA_EEENS0_18inequality_wrapperIZN2at6native12_GLOBAL__N_124unique_dim_cuda_templateIiEESt5tupleIJNSH_6TensorESM_SM_EERKSM_lbbbEUlllE0_EEPmJS6_EEE10hipError_tPvRmT3_T4_T5_T6_T7_T9_mT8_P12ihipStream_tbDpT10_ENKUlT_T0_E_clISt17integral_constantIbLb0EES1C_EEDaS17_S18_EUlS17_E_NS1_11comp_targetILNS1_3genE4ELNS1_11target_archE910ELNS1_3gpuE8ELNS1_3repE0EEENS1_30default_config_static_selectorELNS0_4arch9wavefront6targetE1EEEvT1_
	.p2align	8
	.type	_ZN7rocprim17ROCPRIM_400000_NS6detail17trampoline_kernelINS0_14default_configENS1_25partition_config_selectorILNS1_17partition_subalgoE8ElNS0_10empty_typeEbEEZZNS1_14partition_implILS5_8ELb0ES3_jPlPS6_PKS6_NS0_5tupleIJS9_S6_EEENSD_IJSA_SA_EEENS0_18inequality_wrapperIZN2at6native12_GLOBAL__N_124unique_dim_cuda_templateIiEESt5tupleIJNSH_6TensorESM_SM_EERKSM_lbbbEUlllE0_EEPmJS6_EEE10hipError_tPvRmT3_T4_T5_T6_T7_T9_mT8_P12ihipStream_tbDpT10_ENKUlT_T0_E_clISt17integral_constantIbLb0EES1C_EEDaS17_S18_EUlS17_E_NS1_11comp_targetILNS1_3genE4ELNS1_11target_archE910ELNS1_3gpuE8ELNS1_3repE0EEENS1_30default_config_static_selectorELNS0_4arch9wavefront6targetE1EEEvT1_,@function
_ZN7rocprim17ROCPRIM_400000_NS6detail17trampoline_kernelINS0_14default_configENS1_25partition_config_selectorILNS1_17partition_subalgoE8ElNS0_10empty_typeEbEEZZNS1_14partition_implILS5_8ELb0ES3_jPlPS6_PKS6_NS0_5tupleIJS9_S6_EEENSD_IJSA_SA_EEENS0_18inequality_wrapperIZN2at6native12_GLOBAL__N_124unique_dim_cuda_templateIiEESt5tupleIJNSH_6TensorESM_SM_EERKSM_lbbbEUlllE0_EEPmJS6_EEE10hipError_tPvRmT3_T4_T5_T6_T7_T9_mT8_P12ihipStream_tbDpT10_ENKUlT_T0_E_clISt17integral_constantIbLb0EES1C_EEDaS17_S18_EUlS17_E_NS1_11comp_targetILNS1_3genE4ELNS1_11target_archE910ELNS1_3gpuE8ELNS1_3repE0EEENS1_30default_config_static_selectorELNS0_4arch9wavefront6targetE1EEEvT1_: ; @_ZN7rocprim17ROCPRIM_400000_NS6detail17trampoline_kernelINS0_14default_configENS1_25partition_config_selectorILNS1_17partition_subalgoE8ElNS0_10empty_typeEbEEZZNS1_14partition_implILS5_8ELb0ES3_jPlPS6_PKS6_NS0_5tupleIJS9_S6_EEENSD_IJSA_SA_EEENS0_18inequality_wrapperIZN2at6native12_GLOBAL__N_124unique_dim_cuda_templateIiEESt5tupleIJNSH_6TensorESM_SM_EERKSM_lbbbEUlllE0_EEPmJS6_EEE10hipError_tPvRmT3_T4_T5_T6_T7_T9_mT8_P12ihipStream_tbDpT10_ENKUlT_T0_E_clISt17integral_constantIbLb0EES1C_EEDaS17_S18_EUlS17_E_NS1_11comp_targetILNS1_3genE4ELNS1_11target_archE910ELNS1_3gpuE8ELNS1_3repE0EEENS1_30default_config_static_selectorELNS0_4arch9wavefront6targetE1EEEvT1_
; %bb.0:
	.section	.rodata,"a",@progbits
	.p2align	6, 0x0
	.amdhsa_kernel _ZN7rocprim17ROCPRIM_400000_NS6detail17trampoline_kernelINS0_14default_configENS1_25partition_config_selectorILNS1_17partition_subalgoE8ElNS0_10empty_typeEbEEZZNS1_14partition_implILS5_8ELb0ES3_jPlPS6_PKS6_NS0_5tupleIJS9_S6_EEENSD_IJSA_SA_EEENS0_18inequality_wrapperIZN2at6native12_GLOBAL__N_124unique_dim_cuda_templateIiEESt5tupleIJNSH_6TensorESM_SM_EERKSM_lbbbEUlllE0_EEPmJS6_EEE10hipError_tPvRmT3_T4_T5_T6_T7_T9_mT8_P12ihipStream_tbDpT10_ENKUlT_T0_E_clISt17integral_constantIbLb0EES1C_EEDaS17_S18_EUlS17_E_NS1_11comp_targetILNS1_3genE4ELNS1_11target_archE910ELNS1_3gpuE8ELNS1_3repE0EEENS1_30default_config_static_selectorELNS0_4arch9wavefront6targetE1EEEvT1_
		.amdhsa_group_segment_fixed_size 0
		.amdhsa_private_segment_fixed_size 0
		.amdhsa_kernarg_size 120
		.amdhsa_user_sgpr_count 2
		.amdhsa_user_sgpr_dispatch_ptr 0
		.amdhsa_user_sgpr_queue_ptr 0
		.amdhsa_user_sgpr_kernarg_segment_ptr 1
		.amdhsa_user_sgpr_dispatch_id 0
		.amdhsa_user_sgpr_kernarg_preload_length 0
		.amdhsa_user_sgpr_kernarg_preload_offset 0
		.amdhsa_user_sgpr_private_segment_size 0
		.amdhsa_uses_dynamic_stack 0
		.amdhsa_enable_private_segment 0
		.amdhsa_system_sgpr_workgroup_id_x 1
		.amdhsa_system_sgpr_workgroup_id_y 0
		.amdhsa_system_sgpr_workgroup_id_z 0
		.amdhsa_system_sgpr_workgroup_info 0
		.amdhsa_system_vgpr_workitem_id 0
		.amdhsa_next_free_vgpr 1
		.amdhsa_next_free_sgpr 0
		.amdhsa_accum_offset 4
		.amdhsa_reserve_vcc 0
		.amdhsa_float_round_mode_32 0
		.amdhsa_float_round_mode_16_64 0
		.amdhsa_float_denorm_mode_32 3
		.amdhsa_float_denorm_mode_16_64 3
		.amdhsa_dx10_clamp 1
		.amdhsa_ieee_mode 1
		.amdhsa_fp16_overflow 0
		.amdhsa_tg_split 0
		.amdhsa_exception_fp_ieee_invalid_op 0
		.amdhsa_exception_fp_denorm_src 0
		.amdhsa_exception_fp_ieee_div_zero 0
		.amdhsa_exception_fp_ieee_overflow 0
		.amdhsa_exception_fp_ieee_underflow 0
		.amdhsa_exception_fp_ieee_inexact 0
		.amdhsa_exception_int_div_zero 0
	.end_amdhsa_kernel
	.section	.text._ZN7rocprim17ROCPRIM_400000_NS6detail17trampoline_kernelINS0_14default_configENS1_25partition_config_selectorILNS1_17partition_subalgoE8ElNS0_10empty_typeEbEEZZNS1_14partition_implILS5_8ELb0ES3_jPlPS6_PKS6_NS0_5tupleIJS9_S6_EEENSD_IJSA_SA_EEENS0_18inequality_wrapperIZN2at6native12_GLOBAL__N_124unique_dim_cuda_templateIiEESt5tupleIJNSH_6TensorESM_SM_EERKSM_lbbbEUlllE0_EEPmJS6_EEE10hipError_tPvRmT3_T4_T5_T6_T7_T9_mT8_P12ihipStream_tbDpT10_ENKUlT_T0_E_clISt17integral_constantIbLb0EES1C_EEDaS17_S18_EUlS17_E_NS1_11comp_targetILNS1_3genE4ELNS1_11target_archE910ELNS1_3gpuE8ELNS1_3repE0EEENS1_30default_config_static_selectorELNS0_4arch9wavefront6targetE1EEEvT1_,"axG",@progbits,_ZN7rocprim17ROCPRIM_400000_NS6detail17trampoline_kernelINS0_14default_configENS1_25partition_config_selectorILNS1_17partition_subalgoE8ElNS0_10empty_typeEbEEZZNS1_14partition_implILS5_8ELb0ES3_jPlPS6_PKS6_NS0_5tupleIJS9_S6_EEENSD_IJSA_SA_EEENS0_18inequality_wrapperIZN2at6native12_GLOBAL__N_124unique_dim_cuda_templateIiEESt5tupleIJNSH_6TensorESM_SM_EERKSM_lbbbEUlllE0_EEPmJS6_EEE10hipError_tPvRmT3_T4_T5_T6_T7_T9_mT8_P12ihipStream_tbDpT10_ENKUlT_T0_E_clISt17integral_constantIbLb0EES1C_EEDaS17_S18_EUlS17_E_NS1_11comp_targetILNS1_3genE4ELNS1_11target_archE910ELNS1_3gpuE8ELNS1_3repE0EEENS1_30default_config_static_selectorELNS0_4arch9wavefront6targetE1EEEvT1_,comdat
.Lfunc_end443:
	.size	_ZN7rocprim17ROCPRIM_400000_NS6detail17trampoline_kernelINS0_14default_configENS1_25partition_config_selectorILNS1_17partition_subalgoE8ElNS0_10empty_typeEbEEZZNS1_14partition_implILS5_8ELb0ES3_jPlPS6_PKS6_NS0_5tupleIJS9_S6_EEENSD_IJSA_SA_EEENS0_18inequality_wrapperIZN2at6native12_GLOBAL__N_124unique_dim_cuda_templateIiEESt5tupleIJNSH_6TensorESM_SM_EERKSM_lbbbEUlllE0_EEPmJS6_EEE10hipError_tPvRmT3_T4_T5_T6_T7_T9_mT8_P12ihipStream_tbDpT10_ENKUlT_T0_E_clISt17integral_constantIbLb0EES1C_EEDaS17_S18_EUlS17_E_NS1_11comp_targetILNS1_3genE4ELNS1_11target_archE910ELNS1_3gpuE8ELNS1_3repE0EEENS1_30default_config_static_selectorELNS0_4arch9wavefront6targetE1EEEvT1_, .Lfunc_end443-_ZN7rocprim17ROCPRIM_400000_NS6detail17trampoline_kernelINS0_14default_configENS1_25partition_config_selectorILNS1_17partition_subalgoE8ElNS0_10empty_typeEbEEZZNS1_14partition_implILS5_8ELb0ES3_jPlPS6_PKS6_NS0_5tupleIJS9_S6_EEENSD_IJSA_SA_EEENS0_18inequality_wrapperIZN2at6native12_GLOBAL__N_124unique_dim_cuda_templateIiEESt5tupleIJNSH_6TensorESM_SM_EERKSM_lbbbEUlllE0_EEPmJS6_EEE10hipError_tPvRmT3_T4_T5_T6_T7_T9_mT8_P12ihipStream_tbDpT10_ENKUlT_T0_E_clISt17integral_constantIbLb0EES1C_EEDaS17_S18_EUlS17_E_NS1_11comp_targetILNS1_3genE4ELNS1_11target_archE910ELNS1_3gpuE8ELNS1_3repE0EEENS1_30default_config_static_selectorELNS0_4arch9wavefront6targetE1EEEvT1_
                                        ; -- End function
	.set _ZN7rocprim17ROCPRIM_400000_NS6detail17trampoline_kernelINS0_14default_configENS1_25partition_config_selectorILNS1_17partition_subalgoE8ElNS0_10empty_typeEbEEZZNS1_14partition_implILS5_8ELb0ES3_jPlPS6_PKS6_NS0_5tupleIJS9_S6_EEENSD_IJSA_SA_EEENS0_18inequality_wrapperIZN2at6native12_GLOBAL__N_124unique_dim_cuda_templateIiEESt5tupleIJNSH_6TensorESM_SM_EERKSM_lbbbEUlllE0_EEPmJS6_EEE10hipError_tPvRmT3_T4_T5_T6_T7_T9_mT8_P12ihipStream_tbDpT10_ENKUlT_T0_E_clISt17integral_constantIbLb0EES1C_EEDaS17_S18_EUlS17_E_NS1_11comp_targetILNS1_3genE4ELNS1_11target_archE910ELNS1_3gpuE8ELNS1_3repE0EEENS1_30default_config_static_selectorELNS0_4arch9wavefront6targetE1EEEvT1_.num_vgpr, 0
	.set _ZN7rocprim17ROCPRIM_400000_NS6detail17trampoline_kernelINS0_14default_configENS1_25partition_config_selectorILNS1_17partition_subalgoE8ElNS0_10empty_typeEbEEZZNS1_14partition_implILS5_8ELb0ES3_jPlPS6_PKS6_NS0_5tupleIJS9_S6_EEENSD_IJSA_SA_EEENS0_18inequality_wrapperIZN2at6native12_GLOBAL__N_124unique_dim_cuda_templateIiEESt5tupleIJNSH_6TensorESM_SM_EERKSM_lbbbEUlllE0_EEPmJS6_EEE10hipError_tPvRmT3_T4_T5_T6_T7_T9_mT8_P12ihipStream_tbDpT10_ENKUlT_T0_E_clISt17integral_constantIbLb0EES1C_EEDaS17_S18_EUlS17_E_NS1_11comp_targetILNS1_3genE4ELNS1_11target_archE910ELNS1_3gpuE8ELNS1_3repE0EEENS1_30default_config_static_selectorELNS0_4arch9wavefront6targetE1EEEvT1_.num_agpr, 0
	.set _ZN7rocprim17ROCPRIM_400000_NS6detail17trampoline_kernelINS0_14default_configENS1_25partition_config_selectorILNS1_17partition_subalgoE8ElNS0_10empty_typeEbEEZZNS1_14partition_implILS5_8ELb0ES3_jPlPS6_PKS6_NS0_5tupleIJS9_S6_EEENSD_IJSA_SA_EEENS0_18inequality_wrapperIZN2at6native12_GLOBAL__N_124unique_dim_cuda_templateIiEESt5tupleIJNSH_6TensorESM_SM_EERKSM_lbbbEUlllE0_EEPmJS6_EEE10hipError_tPvRmT3_T4_T5_T6_T7_T9_mT8_P12ihipStream_tbDpT10_ENKUlT_T0_E_clISt17integral_constantIbLb0EES1C_EEDaS17_S18_EUlS17_E_NS1_11comp_targetILNS1_3genE4ELNS1_11target_archE910ELNS1_3gpuE8ELNS1_3repE0EEENS1_30default_config_static_selectorELNS0_4arch9wavefront6targetE1EEEvT1_.numbered_sgpr, 0
	.set _ZN7rocprim17ROCPRIM_400000_NS6detail17trampoline_kernelINS0_14default_configENS1_25partition_config_selectorILNS1_17partition_subalgoE8ElNS0_10empty_typeEbEEZZNS1_14partition_implILS5_8ELb0ES3_jPlPS6_PKS6_NS0_5tupleIJS9_S6_EEENSD_IJSA_SA_EEENS0_18inequality_wrapperIZN2at6native12_GLOBAL__N_124unique_dim_cuda_templateIiEESt5tupleIJNSH_6TensorESM_SM_EERKSM_lbbbEUlllE0_EEPmJS6_EEE10hipError_tPvRmT3_T4_T5_T6_T7_T9_mT8_P12ihipStream_tbDpT10_ENKUlT_T0_E_clISt17integral_constantIbLb0EES1C_EEDaS17_S18_EUlS17_E_NS1_11comp_targetILNS1_3genE4ELNS1_11target_archE910ELNS1_3gpuE8ELNS1_3repE0EEENS1_30default_config_static_selectorELNS0_4arch9wavefront6targetE1EEEvT1_.num_named_barrier, 0
	.set _ZN7rocprim17ROCPRIM_400000_NS6detail17trampoline_kernelINS0_14default_configENS1_25partition_config_selectorILNS1_17partition_subalgoE8ElNS0_10empty_typeEbEEZZNS1_14partition_implILS5_8ELb0ES3_jPlPS6_PKS6_NS0_5tupleIJS9_S6_EEENSD_IJSA_SA_EEENS0_18inequality_wrapperIZN2at6native12_GLOBAL__N_124unique_dim_cuda_templateIiEESt5tupleIJNSH_6TensorESM_SM_EERKSM_lbbbEUlllE0_EEPmJS6_EEE10hipError_tPvRmT3_T4_T5_T6_T7_T9_mT8_P12ihipStream_tbDpT10_ENKUlT_T0_E_clISt17integral_constantIbLb0EES1C_EEDaS17_S18_EUlS17_E_NS1_11comp_targetILNS1_3genE4ELNS1_11target_archE910ELNS1_3gpuE8ELNS1_3repE0EEENS1_30default_config_static_selectorELNS0_4arch9wavefront6targetE1EEEvT1_.private_seg_size, 0
	.set _ZN7rocprim17ROCPRIM_400000_NS6detail17trampoline_kernelINS0_14default_configENS1_25partition_config_selectorILNS1_17partition_subalgoE8ElNS0_10empty_typeEbEEZZNS1_14partition_implILS5_8ELb0ES3_jPlPS6_PKS6_NS0_5tupleIJS9_S6_EEENSD_IJSA_SA_EEENS0_18inequality_wrapperIZN2at6native12_GLOBAL__N_124unique_dim_cuda_templateIiEESt5tupleIJNSH_6TensorESM_SM_EERKSM_lbbbEUlllE0_EEPmJS6_EEE10hipError_tPvRmT3_T4_T5_T6_T7_T9_mT8_P12ihipStream_tbDpT10_ENKUlT_T0_E_clISt17integral_constantIbLb0EES1C_EEDaS17_S18_EUlS17_E_NS1_11comp_targetILNS1_3genE4ELNS1_11target_archE910ELNS1_3gpuE8ELNS1_3repE0EEENS1_30default_config_static_selectorELNS0_4arch9wavefront6targetE1EEEvT1_.uses_vcc, 0
	.set _ZN7rocprim17ROCPRIM_400000_NS6detail17trampoline_kernelINS0_14default_configENS1_25partition_config_selectorILNS1_17partition_subalgoE8ElNS0_10empty_typeEbEEZZNS1_14partition_implILS5_8ELb0ES3_jPlPS6_PKS6_NS0_5tupleIJS9_S6_EEENSD_IJSA_SA_EEENS0_18inequality_wrapperIZN2at6native12_GLOBAL__N_124unique_dim_cuda_templateIiEESt5tupleIJNSH_6TensorESM_SM_EERKSM_lbbbEUlllE0_EEPmJS6_EEE10hipError_tPvRmT3_T4_T5_T6_T7_T9_mT8_P12ihipStream_tbDpT10_ENKUlT_T0_E_clISt17integral_constantIbLb0EES1C_EEDaS17_S18_EUlS17_E_NS1_11comp_targetILNS1_3genE4ELNS1_11target_archE910ELNS1_3gpuE8ELNS1_3repE0EEENS1_30default_config_static_selectorELNS0_4arch9wavefront6targetE1EEEvT1_.uses_flat_scratch, 0
	.set _ZN7rocprim17ROCPRIM_400000_NS6detail17trampoline_kernelINS0_14default_configENS1_25partition_config_selectorILNS1_17partition_subalgoE8ElNS0_10empty_typeEbEEZZNS1_14partition_implILS5_8ELb0ES3_jPlPS6_PKS6_NS0_5tupleIJS9_S6_EEENSD_IJSA_SA_EEENS0_18inequality_wrapperIZN2at6native12_GLOBAL__N_124unique_dim_cuda_templateIiEESt5tupleIJNSH_6TensorESM_SM_EERKSM_lbbbEUlllE0_EEPmJS6_EEE10hipError_tPvRmT3_T4_T5_T6_T7_T9_mT8_P12ihipStream_tbDpT10_ENKUlT_T0_E_clISt17integral_constantIbLb0EES1C_EEDaS17_S18_EUlS17_E_NS1_11comp_targetILNS1_3genE4ELNS1_11target_archE910ELNS1_3gpuE8ELNS1_3repE0EEENS1_30default_config_static_selectorELNS0_4arch9wavefront6targetE1EEEvT1_.has_dyn_sized_stack, 0
	.set _ZN7rocprim17ROCPRIM_400000_NS6detail17trampoline_kernelINS0_14default_configENS1_25partition_config_selectorILNS1_17partition_subalgoE8ElNS0_10empty_typeEbEEZZNS1_14partition_implILS5_8ELb0ES3_jPlPS6_PKS6_NS0_5tupleIJS9_S6_EEENSD_IJSA_SA_EEENS0_18inequality_wrapperIZN2at6native12_GLOBAL__N_124unique_dim_cuda_templateIiEESt5tupleIJNSH_6TensorESM_SM_EERKSM_lbbbEUlllE0_EEPmJS6_EEE10hipError_tPvRmT3_T4_T5_T6_T7_T9_mT8_P12ihipStream_tbDpT10_ENKUlT_T0_E_clISt17integral_constantIbLb0EES1C_EEDaS17_S18_EUlS17_E_NS1_11comp_targetILNS1_3genE4ELNS1_11target_archE910ELNS1_3gpuE8ELNS1_3repE0EEENS1_30default_config_static_selectorELNS0_4arch9wavefront6targetE1EEEvT1_.has_recursion, 0
	.set _ZN7rocprim17ROCPRIM_400000_NS6detail17trampoline_kernelINS0_14default_configENS1_25partition_config_selectorILNS1_17partition_subalgoE8ElNS0_10empty_typeEbEEZZNS1_14partition_implILS5_8ELb0ES3_jPlPS6_PKS6_NS0_5tupleIJS9_S6_EEENSD_IJSA_SA_EEENS0_18inequality_wrapperIZN2at6native12_GLOBAL__N_124unique_dim_cuda_templateIiEESt5tupleIJNSH_6TensorESM_SM_EERKSM_lbbbEUlllE0_EEPmJS6_EEE10hipError_tPvRmT3_T4_T5_T6_T7_T9_mT8_P12ihipStream_tbDpT10_ENKUlT_T0_E_clISt17integral_constantIbLb0EES1C_EEDaS17_S18_EUlS17_E_NS1_11comp_targetILNS1_3genE4ELNS1_11target_archE910ELNS1_3gpuE8ELNS1_3repE0EEENS1_30default_config_static_selectorELNS0_4arch9wavefront6targetE1EEEvT1_.has_indirect_call, 0
	.section	.AMDGPU.csdata,"",@progbits
; Kernel info:
; codeLenInByte = 0
; TotalNumSgprs: 6
; NumVgprs: 0
; NumAgprs: 0
; TotalNumVgprs: 0
; ScratchSize: 0
; MemoryBound: 0
; FloatMode: 240
; IeeeMode: 1
; LDSByteSize: 0 bytes/workgroup (compile time only)
; SGPRBlocks: 0
; VGPRBlocks: 0
; NumSGPRsForWavesPerEU: 6
; NumVGPRsForWavesPerEU: 1
; AccumOffset: 4
; Occupancy: 8
; WaveLimiterHint : 0
; COMPUTE_PGM_RSRC2:SCRATCH_EN: 0
; COMPUTE_PGM_RSRC2:USER_SGPR: 2
; COMPUTE_PGM_RSRC2:TRAP_HANDLER: 0
; COMPUTE_PGM_RSRC2:TGID_X_EN: 1
; COMPUTE_PGM_RSRC2:TGID_Y_EN: 0
; COMPUTE_PGM_RSRC2:TGID_Z_EN: 0
; COMPUTE_PGM_RSRC2:TIDIG_COMP_CNT: 0
; COMPUTE_PGM_RSRC3_GFX90A:ACCUM_OFFSET: 0
; COMPUTE_PGM_RSRC3_GFX90A:TG_SPLIT: 0
	.section	.text._ZN7rocprim17ROCPRIM_400000_NS6detail17trampoline_kernelINS0_14default_configENS1_25partition_config_selectorILNS1_17partition_subalgoE8ElNS0_10empty_typeEbEEZZNS1_14partition_implILS5_8ELb0ES3_jPlPS6_PKS6_NS0_5tupleIJS9_S6_EEENSD_IJSA_SA_EEENS0_18inequality_wrapperIZN2at6native12_GLOBAL__N_124unique_dim_cuda_templateIiEESt5tupleIJNSH_6TensorESM_SM_EERKSM_lbbbEUlllE0_EEPmJS6_EEE10hipError_tPvRmT3_T4_T5_T6_T7_T9_mT8_P12ihipStream_tbDpT10_ENKUlT_T0_E_clISt17integral_constantIbLb0EES1C_EEDaS17_S18_EUlS17_E_NS1_11comp_targetILNS1_3genE3ELNS1_11target_archE908ELNS1_3gpuE7ELNS1_3repE0EEENS1_30default_config_static_selectorELNS0_4arch9wavefront6targetE1EEEvT1_,"axG",@progbits,_ZN7rocprim17ROCPRIM_400000_NS6detail17trampoline_kernelINS0_14default_configENS1_25partition_config_selectorILNS1_17partition_subalgoE8ElNS0_10empty_typeEbEEZZNS1_14partition_implILS5_8ELb0ES3_jPlPS6_PKS6_NS0_5tupleIJS9_S6_EEENSD_IJSA_SA_EEENS0_18inequality_wrapperIZN2at6native12_GLOBAL__N_124unique_dim_cuda_templateIiEESt5tupleIJNSH_6TensorESM_SM_EERKSM_lbbbEUlllE0_EEPmJS6_EEE10hipError_tPvRmT3_T4_T5_T6_T7_T9_mT8_P12ihipStream_tbDpT10_ENKUlT_T0_E_clISt17integral_constantIbLb0EES1C_EEDaS17_S18_EUlS17_E_NS1_11comp_targetILNS1_3genE3ELNS1_11target_archE908ELNS1_3gpuE7ELNS1_3repE0EEENS1_30default_config_static_selectorELNS0_4arch9wavefront6targetE1EEEvT1_,comdat
	.globl	_ZN7rocprim17ROCPRIM_400000_NS6detail17trampoline_kernelINS0_14default_configENS1_25partition_config_selectorILNS1_17partition_subalgoE8ElNS0_10empty_typeEbEEZZNS1_14partition_implILS5_8ELb0ES3_jPlPS6_PKS6_NS0_5tupleIJS9_S6_EEENSD_IJSA_SA_EEENS0_18inequality_wrapperIZN2at6native12_GLOBAL__N_124unique_dim_cuda_templateIiEESt5tupleIJNSH_6TensorESM_SM_EERKSM_lbbbEUlllE0_EEPmJS6_EEE10hipError_tPvRmT3_T4_T5_T6_T7_T9_mT8_P12ihipStream_tbDpT10_ENKUlT_T0_E_clISt17integral_constantIbLb0EES1C_EEDaS17_S18_EUlS17_E_NS1_11comp_targetILNS1_3genE3ELNS1_11target_archE908ELNS1_3gpuE7ELNS1_3repE0EEENS1_30default_config_static_selectorELNS0_4arch9wavefront6targetE1EEEvT1_ ; -- Begin function _ZN7rocprim17ROCPRIM_400000_NS6detail17trampoline_kernelINS0_14default_configENS1_25partition_config_selectorILNS1_17partition_subalgoE8ElNS0_10empty_typeEbEEZZNS1_14partition_implILS5_8ELb0ES3_jPlPS6_PKS6_NS0_5tupleIJS9_S6_EEENSD_IJSA_SA_EEENS0_18inequality_wrapperIZN2at6native12_GLOBAL__N_124unique_dim_cuda_templateIiEESt5tupleIJNSH_6TensorESM_SM_EERKSM_lbbbEUlllE0_EEPmJS6_EEE10hipError_tPvRmT3_T4_T5_T6_T7_T9_mT8_P12ihipStream_tbDpT10_ENKUlT_T0_E_clISt17integral_constantIbLb0EES1C_EEDaS17_S18_EUlS17_E_NS1_11comp_targetILNS1_3genE3ELNS1_11target_archE908ELNS1_3gpuE7ELNS1_3repE0EEENS1_30default_config_static_selectorELNS0_4arch9wavefront6targetE1EEEvT1_
	.p2align	8
	.type	_ZN7rocprim17ROCPRIM_400000_NS6detail17trampoline_kernelINS0_14default_configENS1_25partition_config_selectorILNS1_17partition_subalgoE8ElNS0_10empty_typeEbEEZZNS1_14partition_implILS5_8ELb0ES3_jPlPS6_PKS6_NS0_5tupleIJS9_S6_EEENSD_IJSA_SA_EEENS0_18inequality_wrapperIZN2at6native12_GLOBAL__N_124unique_dim_cuda_templateIiEESt5tupleIJNSH_6TensorESM_SM_EERKSM_lbbbEUlllE0_EEPmJS6_EEE10hipError_tPvRmT3_T4_T5_T6_T7_T9_mT8_P12ihipStream_tbDpT10_ENKUlT_T0_E_clISt17integral_constantIbLb0EES1C_EEDaS17_S18_EUlS17_E_NS1_11comp_targetILNS1_3genE3ELNS1_11target_archE908ELNS1_3gpuE7ELNS1_3repE0EEENS1_30default_config_static_selectorELNS0_4arch9wavefront6targetE1EEEvT1_,@function
_ZN7rocprim17ROCPRIM_400000_NS6detail17trampoline_kernelINS0_14default_configENS1_25partition_config_selectorILNS1_17partition_subalgoE8ElNS0_10empty_typeEbEEZZNS1_14partition_implILS5_8ELb0ES3_jPlPS6_PKS6_NS0_5tupleIJS9_S6_EEENSD_IJSA_SA_EEENS0_18inequality_wrapperIZN2at6native12_GLOBAL__N_124unique_dim_cuda_templateIiEESt5tupleIJNSH_6TensorESM_SM_EERKSM_lbbbEUlllE0_EEPmJS6_EEE10hipError_tPvRmT3_T4_T5_T6_T7_T9_mT8_P12ihipStream_tbDpT10_ENKUlT_T0_E_clISt17integral_constantIbLb0EES1C_EEDaS17_S18_EUlS17_E_NS1_11comp_targetILNS1_3genE3ELNS1_11target_archE908ELNS1_3gpuE7ELNS1_3repE0EEENS1_30default_config_static_selectorELNS0_4arch9wavefront6targetE1EEEvT1_: ; @_ZN7rocprim17ROCPRIM_400000_NS6detail17trampoline_kernelINS0_14default_configENS1_25partition_config_selectorILNS1_17partition_subalgoE8ElNS0_10empty_typeEbEEZZNS1_14partition_implILS5_8ELb0ES3_jPlPS6_PKS6_NS0_5tupleIJS9_S6_EEENSD_IJSA_SA_EEENS0_18inequality_wrapperIZN2at6native12_GLOBAL__N_124unique_dim_cuda_templateIiEESt5tupleIJNSH_6TensorESM_SM_EERKSM_lbbbEUlllE0_EEPmJS6_EEE10hipError_tPvRmT3_T4_T5_T6_T7_T9_mT8_P12ihipStream_tbDpT10_ENKUlT_T0_E_clISt17integral_constantIbLb0EES1C_EEDaS17_S18_EUlS17_E_NS1_11comp_targetILNS1_3genE3ELNS1_11target_archE908ELNS1_3gpuE7ELNS1_3repE0EEENS1_30default_config_static_selectorELNS0_4arch9wavefront6targetE1EEEvT1_
; %bb.0:
	.section	.rodata,"a",@progbits
	.p2align	6, 0x0
	.amdhsa_kernel _ZN7rocprim17ROCPRIM_400000_NS6detail17trampoline_kernelINS0_14default_configENS1_25partition_config_selectorILNS1_17partition_subalgoE8ElNS0_10empty_typeEbEEZZNS1_14partition_implILS5_8ELb0ES3_jPlPS6_PKS6_NS0_5tupleIJS9_S6_EEENSD_IJSA_SA_EEENS0_18inequality_wrapperIZN2at6native12_GLOBAL__N_124unique_dim_cuda_templateIiEESt5tupleIJNSH_6TensorESM_SM_EERKSM_lbbbEUlllE0_EEPmJS6_EEE10hipError_tPvRmT3_T4_T5_T6_T7_T9_mT8_P12ihipStream_tbDpT10_ENKUlT_T0_E_clISt17integral_constantIbLb0EES1C_EEDaS17_S18_EUlS17_E_NS1_11comp_targetILNS1_3genE3ELNS1_11target_archE908ELNS1_3gpuE7ELNS1_3repE0EEENS1_30default_config_static_selectorELNS0_4arch9wavefront6targetE1EEEvT1_
		.amdhsa_group_segment_fixed_size 0
		.amdhsa_private_segment_fixed_size 0
		.amdhsa_kernarg_size 120
		.amdhsa_user_sgpr_count 2
		.amdhsa_user_sgpr_dispatch_ptr 0
		.amdhsa_user_sgpr_queue_ptr 0
		.amdhsa_user_sgpr_kernarg_segment_ptr 1
		.amdhsa_user_sgpr_dispatch_id 0
		.amdhsa_user_sgpr_kernarg_preload_length 0
		.amdhsa_user_sgpr_kernarg_preload_offset 0
		.amdhsa_user_sgpr_private_segment_size 0
		.amdhsa_uses_dynamic_stack 0
		.amdhsa_enable_private_segment 0
		.amdhsa_system_sgpr_workgroup_id_x 1
		.amdhsa_system_sgpr_workgroup_id_y 0
		.amdhsa_system_sgpr_workgroup_id_z 0
		.amdhsa_system_sgpr_workgroup_info 0
		.amdhsa_system_vgpr_workitem_id 0
		.amdhsa_next_free_vgpr 1
		.amdhsa_next_free_sgpr 0
		.amdhsa_accum_offset 4
		.amdhsa_reserve_vcc 0
		.amdhsa_float_round_mode_32 0
		.amdhsa_float_round_mode_16_64 0
		.amdhsa_float_denorm_mode_32 3
		.amdhsa_float_denorm_mode_16_64 3
		.amdhsa_dx10_clamp 1
		.amdhsa_ieee_mode 1
		.amdhsa_fp16_overflow 0
		.amdhsa_tg_split 0
		.amdhsa_exception_fp_ieee_invalid_op 0
		.amdhsa_exception_fp_denorm_src 0
		.amdhsa_exception_fp_ieee_div_zero 0
		.amdhsa_exception_fp_ieee_overflow 0
		.amdhsa_exception_fp_ieee_underflow 0
		.amdhsa_exception_fp_ieee_inexact 0
		.amdhsa_exception_int_div_zero 0
	.end_amdhsa_kernel
	.section	.text._ZN7rocprim17ROCPRIM_400000_NS6detail17trampoline_kernelINS0_14default_configENS1_25partition_config_selectorILNS1_17partition_subalgoE8ElNS0_10empty_typeEbEEZZNS1_14partition_implILS5_8ELb0ES3_jPlPS6_PKS6_NS0_5tupleIJS9_S6_EEENSD_IJSA_SA_EEENS0_18inequality_wrapperIZN2at6native12_GLOBAL__N_124unique_dim_cuda_templateIiEESt5tupleIJNSH_6TensorESM_SM_EERKSM_lbbbEUlllE0_EEPmJS6_EEE10hipError_tPvRmT3_T4_T5_T6_T7_T9_mT8_P12ihipStream_tbDpT10_ENKUlT_T0_E_clISt17integral_constantIbLb0EES1C_EEDaS17_S18_EUlS17_E_NS1_11comp_targetILNS1_3genE3ELNS1_11target_archE908ELNS1_3gpuE7ELNS1_3repE0EEENS1_30default_config_static_selectorELNS0_4arch9wavefront6targetE1EEEvT1_,"axG",@progbits,_ZN7rocprim17ROCPRIM_400000_NS6detail17trampoline_kernelINS0_14default_configENS1_25partition_config_selectorILNS1_17partition_subalgoE8ElNS0_10empty_typeEbEEZZNS1_14partition_implILS5_8ELb0ES3_jPlPS6_PKS6_NS0_5tupleIJS9_S6_EEENSD_IJSA_SA_EEENS0_18inequality_wrapperIZN2at6native12_GLOBAL__N_124unique_dim_cuda_templateIiEESt5tupleIJNSH_6TensorESM_SM_EERKSM_lbbbEUlllE0_EEPmJS6_EEE10hipError_tPvRmT3_T4_T5_T6_T7_T9_mT8_P12ihipStream_tbDpT10_ENKUlT_T0_E_clISt17integral_constantIbLb0EES1C_EEDaS17_S18_EUlS17_E_NS1_11comp_targetILNS1_3genE3ELNS1_11target_archE908ELNS1_3gpuE7ELNS1_3repE0EEENS1_30default_config_static_selectorELNS0_4arch9wavefront6targetE1EEEvT1_,comdat
.Lfunc_end444:
	.size	_ZN7rocprim17ROCPRIM_400000_NS6detail17trampoline_kernelINS0_14default_configENS1_25partition_config_selectorILNS1_17partition_subalgoE8ElNS0_10empty_typeEbEEZZNS1_14partition_implILS5_8ELb0ES3_jPlPS6_PKS6_NS0_5tupleIJS9_S6_EEENSD_IJSA_SA_EEENS0_18inequality_wrapperIZN2at6native12_GLOBAL__N_124unique_dim_cuda_templateIiEESt5tupleIJNSH_6TensorESM_SM_EERKSM_lbbbEUlllE0_EEPmJS6_EEE10hipError_tPvRmT3_T4_T5_T6_T7_T9_mT8_P12ihipStream_tbDpT10_ENKUlT_T0_E_clISt17integral_constantIbLb0EES1C_EEDaS17_S18_EUlS17_E_NS1_11comp_targetILNS1_3genE3ELNS1_11target_archE908ELNS1_3gpuE7ELNS1_3repE0EEENS1_30default_config_static_selectorELNS0_4arch9wavefront6targetE1EEEvT1_, .Lfunc_end444-_ZN7rocprim17ROCPRIM_400000_NS6detail17trampoline_kernelINS0_14default_configENS1_25partition_config_selectorILNS1_17partition_subalgoE8ElNS0_10empty_typeEbEEZZNS1_14partition_implILS5_8ELb0ES3_jPlPS6_PKS6_NS0_5tupleIJS9_S6_EEENSD_IJSA_SA_EEENS0_18inequality_wrapperIZN2at6native12_GLOBAL__N_124unique_dim_cuda_templateIiEESt5tupleIJNSH_6TensorESM_SM_EERKSM_lbbbEUlllE0_EEPmJS6_EEE10hipError_tPvRmT3_T4_T5_T6_T7_T9_mT8_P12ihipStream_tbDpT10_ENKUlT_T0_E_clISt17integral_constantIbLb0EES1C_EEDaS17_S18_EUlS17_E_NS1_11comp_targetILNS1_3genE3ELNS1_11target_archE908ELNS1_3gpuE7ELNS1_3repE0EEENS1_30default_config_static_selectorELNS0_4arch9wavefront6targetE1EEEvT1_
                                        ; -- End function
	.set _ZN7rocprim17ROCPRIM_400000_NS6detail17trampoline_kernelINS0_14default_configENS1_25partition_config_selectorILNS1_17partition_subalgoE8ElNS0_10empty_typeEbEEZZNS1_14partition_implILS5_8ELb0ES3_jPlPS6_PKS6_NS0_5tupleIJS9_S6_EEENSD_IJSA_SA_EEENS0_18inequality_wrapperIZN2at6native12_GLOBAL__N_124unique_dim_cuda_templateIiEESt5tupleIJNSH_6TensorESM_SM_EERKSM_lbbbEUlllE0_EEPmJS6_EEE10hipError_tPvRmT3_T4_T5_T6_T7_T9_mT8_P12ihipStream_tbDpT10_ENKUlT_T0_E_clISt17integral_constantIbLb0EES1C_EEDaS17_S18_EUlS17_E_NS1_11comp_targetILNS1_3genE3ELNS1_11target_archE908ELNS1_3gpuE7ELNS1_3repE0EEENS1_30default_config_static_selectorELNS0_4arch9wavefront6targetE1EEEvT1_.num_vgpr, 0
	.set _ZN7rocprim17ROCPRIM_400000_NS6detail17trampoline_kernelINS0_14default_configENS1_25partition_config_selectorILNS1_17partition_subalgoE8ElNS0_10empty_typeEbEEZZNS1_14partition_implILS5_8ELb0ES3_jPlPS6_PKS6_NS0_5tupleIJS9_S6_EEENSD_IJSA_SA_EEENS0_18inequality_wrapperIZN2at6native12_GLOBAL__N_124unique_dim_cuda_templateIiEESt5tupleIJNSH_6TensorESM_SM_EERKSM_lbbbEUlllE0_EEPmJS6_EEE10hipError_tPvRmT3_T4_T5_T6_T7_T9_mT8_P12ihipStream_tbDpT10_ENKUlT_T0_E_clISt17integral_constantIbLb0EES1C_EEDaS17_S18_EUlS17_E_NS1_11comp_targetILNS1_3genE3ELNS1_11target_archE908ELNS1_3gpuE7ELNS1_3repE0EEENS1_30default_config_static_selectorELNS0_4arch9wavefront6targetE1EEEvT1_.num_agpr, 0
	.set _ZN7rocprim17ROCPRIM_400000_NS6detail17trampoline_kernelINS0_14default_configENS1_25partition_config_selectorILNS1_17partition_subalgoE8ElNS0_10empty_typeEbEEZZNS1_14partition_implILS5_8ELb0ES3_jPlPS6_PKS6_NS0_5tupleIJS9_S6_EEENSD_IJSA_SA_EEENS0_18inequality_wrapperIZN2at6native12_GLOBAL__N_124unique_dim_cuda_templateIiEESt5tupleIJNSH_6TensorESM_SM_EERKSM_lbbbEUlllE0_EEPmJS6_EEE10hipError_tPvRmT3_T4_T5_T6_T7_T9_mT8_P12ihipStream_tbDpT10_ENKUlT_T0_E_clISt17integral_constantIbLb0EES1C_EEDaS17_S18_EUlS17_E_NS1_11comp_targetILNS1_3genE3ELNS1_11target_archE908ELNS1_3gpuE7ELNS1_3repE0EEENS1_30default_config_static_selectorELNS0_4arch9wavefront6targetE1EEEvT1_.numbered_sgpr, 0
	.set _ZN7rocprim17ROCPRIM_400000_NS6detail17trampoline_kernelINS0_14default_configENS1_25partition_config_selectorILNS1_17partition_subalgoE8ElNS0_10empty_typeEbEEZZNS1_14partition_implILS5_8ELb0ES3_jPlPS6_PKS6_NS0_5tupleIJS9_S6_EEENSD_IJSA_SA_EEENS0_18inequality_wrapperIZN2at6native12_GLOBAL__N_124unique_dim_cuda_templateIiEESt5tupleIJNSH_6TensorESM_SM_EERKSM_lbbbEUlllE0_EEPmJS6_EEE10hipError_tPvRmT3_T4_T5_T6_T7_T9_mT8_P12ihipStream_tbDpT10_ENKUlT_T0_E_clISt17integral_constantIbLb0EES1C_EEDaS17_S18_EUlS17_E_NS1_11comp_targetILNS1_3genE3ELNS1_11target_archE908ELNS1_3gpuE7ELNS1_3repE0EEENS1_30default_config_static_selectorELNS0_4arch9wavefront6targetE1EEEvT1_.num_named_barrier, 0
	.set _ZN7rocprim17ROCPRIM_400000_NS6detail17trampoline_kernelINS0_14default_configENS1_25partition_config_selectorILNS1_17partition_subalgoE8ElNS0_10empty_typeEbEEZZNS1_14partition_implILS5_8ELb0ES3_jPlPS6_PKS6_NS0_5tupleIJS9_S6_EEENSD_IJSA_SA_EEENS0_18inequality_wrapperIZN2at6native12_GLOBAL__N_124unique_dim_cuda_templateIiEESt5tupleIJNSH_6TensorESM_SM_EERKSM_lbbbEUlllE0_EEPmJS6_EEE10hipError_tPvRmT3_T4_T5_T6_T7_T9_mT8_P12ihipStream_tbDpT10_ENKUlT_T0_E_clISt17integral_constantIbLb0EES1C_EEDaS17_S18_EUlS17_E_NS1_11comp_targetILNS1_3genE3ELNS1_11target_archE908ELNS1_3gpuE7ELNS1_3repE0EEENS1_30default_config_static_selectorELNS0_4arch9wavefront6targetE1EEEvT1_.private_seg_size, 0
	.set _ZN7rocprim17ROCPRIM_400000_NS6detail17trampoline_kernelINS0_14default_configENS1_25partition_config_selectorILNS1_17partition_subalgoE8ElNS0_10empty_typeEbEEZZNS1_14partition_implILS5_8ELb0ES3_jPlPS6_PKS6_NS0_5tupleIJS9_S6_EEENSD_IJSA_SA_EEENS0_18inequality_wrapperIZN2at6native12_GLOBAL__N_124unique_dim_cuda_templateIiEESt5tupleIJNSH_6TensorESM_SM_EERKSM_lbbbEUlllE0_EEPmJS6_EEE10hipError_tPvRmT3_T4_T5_T6_T7_T9_mT8_P12ihipStream_tbDpT10_ENKUlT_T0_E_clISt17integral_constantIbLb0EES1C_EEDaS17_S18_EUlS17_E_NS1_11comp_targetILNS1_3genE3ELNS1_11target_archE908ELNS1_3gpuE7ELNS1_3repE0EEENS1_30default_config_static_selectorELNS0_4arch9wavefront6targetE1EEEvT1_.uses_vcc, 0
	.set _ZN7rocprim17ROCPRIM_400000_NS6detail17trampoline_kernelINS0_14default_configENS1_25partition_config_selectorILNS1_17partition_subalgoE8ElNS0_10empty_typeEbEEZZNS1_14partition_implILS5_8ELb0ES3_jPlPS6_PKS6_NS0_5tupleIJS9_S6_EEENSD_IJSA_SA_EEENS0_18inequality_wrapperIZN2at6native12_GLOBAL__N_124unique_dim_cuda_templateIiEESt5tupleIJNSH_6TensorESM_SM_EERKSM_lbbbEUlllE0_EEPmJS6_EEE10hipError_tPvRmT3_T4_T5_T6_T7_T9_mT8_P12ihipStream_tbDpT10_ENKUlT_T0_E_clISt17integral_constantIbLb0EES1C_EEDaS17_S18_EUlS17_E_NS1_11comp_targetILNS1_3genE3ELNS1_11target_archE908ELNS1_3gpuE7ELNS1_3repE0EEENS1_30default_config_static_selectorELNS0_4arch9wavefront6targetE1EEEvT1_.uses_flat_scratch, 0
	.set _ZN7rocprim17ROCPRIM_400000_NS6detail17trampoline_kernelINS0_14default_configENS1_25partition_config_selectorILNS1_17partition_subalgoE8ElNS0_10empty_typeEbEEZZNS1_14partition_implILS5_8ELb0ES3_jPlPS6_PKS6_NS0_5tupleIJS9_S6_EEENSD_IJSA_SA_EEENS0_18inequality_wrapperIZN2at6native12_GLOBAL__N_124unique_dim_cuda_templateIiEESt5tupleIJNSH_6TensorESM_SM_EERKSM_lbbbEUlllE0_EEPmJS6_EEE10hipError_tPvRmT3_T4_T5_T6_T7_T9_mT8_P12ihipStream_tbDpT10_ENKUlT_T0_E_clISt17integral_constantIbLb0EES1C_EEDaS17_S18_EUlS17_E_NS1_11comp_targetILNS1_3genE3ELNS1_11target_archE908ELNS1_3gpuE7ELNS1_3repE0EEENS1_30default_config_static_selectorELNS0_4arch9wavefront6targetE1EEEvT1_.has_dyn_sized_stack, 0
	.set _ZN7rocprim17ROCPRIM_400000_NS6detail17trampoline_kernelINS0_14default_configENS1_25partition_config_selectorILNS1_17partition_subalgoE8ElNS0_10empty_typeEbEEZZNS1_14partition_implILS5_8ELb0ES3_jPlPS6_PKS6_NS0_5tupleIJS9_S6_EEENSD_IJSA_SA_EEENS0_18inequality_wrapperIZN2at6native12_GLOBAL__N_124unique_dim_cuda_templateIiEESt5tupleIJNSH_6TensorESM_SM_EERKSM_lbbbEUlllE0_EEPmJS6_EEE10hipError_tPvRmT3_T4_T5_T6_T7_T9_mT8_P12ihipStream_tbDpT10_ENKUlT_T0_E_clISt17integral_constantIbLb0EES1C_EEDaS17_S18_EUlS17_E_NS1_11comp_targetILNS1_3genE3ELNS1_11target_archE908ELNS1_3gpuE7ELNS1_3repE0EEENS1_30default_config_static_selectorELNS0_4arch9wavefront6targetE1EEEvT1_.has_recursion, 0
	.set _ZN7rocprim17ROCPRIM_400000_NS6detail17trampoline_kernelINS0_14default_configENS1_25partition_config_selectorILNS1_17partition_subalgoE8ElNS0_10empty_typeEbEEZZNS1_14partition_implILS5_8ELb0ES3_jPlPS6_PKS6_NS0_5tupleIJS9_S6_EEENSD_IJSA_SA_EEENS0_18inequality_wrapperIZN2at6native12_GLOBAL__N_124unique_dim_cuda_templateIiEESt5tupleIJNSH_6TensorESM_SM_EERKSM_lbbbEUlllE0_EEPmJS6_EEE10hipError_tPvRmT3_T4_T5_T6_T7_T9_mT8_P12ihipStream_tbDpT10_ENKUlT_T0_E_clISt17integral_constantIbLb0EES1C_EEDaS17_S18_EUlS17_E_NS1_11comp_targetILNS1_3genE3ELNS1_11target_archE908ELNS1_3gpuE7ELNS1_3repE0EEENS1_30default_config_static_selectorELNS0_4arch9wavefront6targetE1EEEvT1_.has_indirect_call, 0
	.section	.AMDGPU.csdata,"",@progbits
; Kernel info:
; codeLenInByte = 0
; TotalNumSgprs: 6
; NumVgprs: 0
; NumAgprs: 0
; TotalNumVgprs: 0
; ScratchSize: 0
; MemoryBound: 0
; FloatMode: 240
; IeeeMode: 1
; LDSByteSize: 0 bytes/workgroup (compile time only)
; SGPRBlocks: 0
; VGPRBlocks: 0
; NumSGPRsForWavesPerEU: 6
; NumVGPRsForWavesPerEU: 1
; AccumOffset: 4
; Occupancy: 8
; WaveLimiterHint : 0
; COMPUTE_PGM_RSRC2:SCRATCH_EN: 0
; COMPUTE_PGM_RSRC2:USER_SGPR: 2
; COMPUTE_PGM_RSRC2:TRAP_HANDLER: 0
; COMPUTE_PGM_RSRC2:TGID_X_EN: 1
; COMPUTE_PGM_RSRC2:TGID_Y_EN: 0
; COMPUTE_PGM_RSRC2:TGID_Z_EN: 0
; COMPUTE_PGM_RSRC2:TIDIG_COMP_CNT: 0
; COMPUTE_PGM_RSRC3_GFX90A:ACCUM_OFFSET: 0
; COMPUTE_PGM_RSRC3_GFX90A:TG_SPLIT: 0
	.section	.text._ZN7rocprim17ROCPRIM_400000_NS6detail17trampoline_kernelINS0_14default_configENS1_25partition_config_selectorILNS1_17partition_subalgoE8ElNS0_10empty_typeEbEEZZNS1_14partition_implILS5_8ELb0ES3_jPlPS6_PKS6_NS0_5tupleIJS9_S6_EEENSD_IJSA_SA_EEENS0_18inequality_wrapperIZN2at6native12_GLOBAL__N_124unique_dim_cuda_templateIiEESt5tupleIJNSH_6TensorESM_SM_EERKSM_lbbbEUlllE0_EEPmJS6_EEE10hipError_tPvRmT3_T4_T5_T6_T7_T9_mT8_P12ihipStream_tbDpT10_ENKUlT_T0_E_clISt17integral_constantIbLb0EES1C_EEDaS17_S18_EUlS17_E_NS1_11comp_targetILNS1_3genE2ELNS1_11target_archE906ELNS1_3gpuE6ELNS1_3repE0EEENS1_30default_config_static_selectorELNS0_4arch9wavefront6targetE1EEEvT1_,"axG",@progbits,_ZN7rocprim17ROCPRIM_400000_NS6detail17trampoline_kernelINS0_14default_configENS1_25partition_config_selectorILNS1_17partition_subalgoE8ElNS0_10empty_typeEbEEZZNS1_14partition_implILS5_8ELb0ES3_jPlPS6_PKS6_NS0_5tupleIJS9_S6_EEENSD_IJSA_SA_EEENS0_18inequality_wrapperIZN2at6native12_GLOBAL__N_124unique_dim_cuda_templateIiEESt5tupleIJNSH_6TensorESM_SM_EERKSM_lbbbEUlllE0_EEPmJS6_EEE10hipError_tPvRmT3_T4_T5_T6_T7_T9_mT8_P12ihipStream_tbDpT10_ENKUlT_T0_E_clISt17integral_constantIbLb0EES1C_EEDaS17_S18_EUlS17_E_NS1_11comp_targetILNS1_3genE2ELNS1_11target_archE906ELNS1_3gpuE6ELNS1_3repE0EEENS1_30default_config_static_selectorELNS0_4arch9wavefront6targetE1EEEvT1_,comdat
	.globl	_ZN7rocprim17ROCPRIM_400000_NS6detail17trampoline_kernelINS0_14default_configENS1_25partition_config_selectorILNS1_17partition_subalgoE8ElNS0_10empty_typeEbEEZZNS1_14partition_implILS5_8ELb0ES3_jPlPS6_PKS6_NS0_5tupleIJS9_S6_EEENSD_IJSA_SA_EEENS0_18inequality_wrapperIZN2at6native12_GLOBAL__N_124unique_dim_cuda_templateIiEESt5tupleIJNSH_6TensorESM_SM_EERKSM_lbbbEUlllE0_EEPmJS6_EEE10hipError_tPvRmT3_T4_T5_T6_T7_T9_mT8_P12ihipStream_tbDpT10_ENKUlT_T0_E_clISt17integral_constantIbLb0EES1C_EEDaS17_S18_EUlS17_E_NS1_11comp_targetILNS1_3genE2ELNS1_11target_archE906ELNS1_3gpuE6ELNS1_3repE0EEENS1_30default_config_static_selectorELNS0_4arch9wavefront6targetE1EEEvT1_ ; -- Begin function _ZN7rocprim17ROCPRIM_400000_NS6detail17trampoline_kernelINS0_14default_configENS1_25partition_config_selectorILNS1_17partition_subalgoE8ElNS0_10empty_typeEbEEZZNS1_14partition_implILS5_8ELb0ES3_jPlPS6_PKS6_NS0_5tupleIJS9_S6_EEENSD_IJSA_SA_EEENS0_18inequality_wrapperIZN2at6native12_GLOBAL__N_124unique_dim_cuda_templateIiEESt5tupleIJNSH_6TensorESM_SM_EERKSM_lbbbEUlllE0_EEPmJS6_EEE10hipError_tPvRmT3_T4_T5_T6_T7_T9_mT8_P12ihipStream_tbDpT10_ENKUlT_T0_E_clISt17integral_constantIbLb0EES1C_EEDaS17_S18_EUlS17_E_NS1_11comp_targetILNS1_3genE2ELNS1_11target_archE906ELNS1_3gpuE6ELNS1_3repE0EEENS1_30default_config_static_selectorELNS0_4arch9wavefront6targetE1EEEvT1_
	.p2align	8
	.type	_ZN7rocprim17ROCPRIM_400000_NS6detail17trampoline_kernelINS0_14default_configENS1_25partition_config_selectorILNS1_17partition_subalgoE8ElNS0_10empty_typeEbEEZZNS1_14partition_implILS5_8ELb0ES3_jPlPS6_PKS6_NS0_5tupleIJS9_S6_EEENSD_IJSA_SA_EEENS0_18inequality_wrapperIZN2at6native12_GLOBAL__N_124unique_dim_cuda_templateIiEESt5tupleIJNSH_6TensorESM_SM_EERKSM_lbbbEUlllE0_EEPmJS6_EEE10hipError_tPvRmT3_T4_T5_T6_T7_T9_mT8_P12ihipStream_tbDpT10_ENKUlT_T0_E_clISt17integral_constantIbLb0EES1C_EEDaS17_S18_EUlS17_E_NS1_11comp_targetILNS1_3genE2ELNS1_11target_archE906ELNS1_3gpuE6ELNS1_3repE0EEENS1_30default_config_static_selectorELNS0_4arch9wavefront6targetE1EEEvT1_,@function
_ZN7rocprim17ROCPRIM_400000_NS6detail17trampoline_kernelINS0_14default_configENS1_25partition_config_selectorILNS1_17partition_subalgoE8ElNS0_10empty_typeEbEEZZNS1_14partition_implILS5_8ELb0ES3_jPlPS6_PKS6_NS0_5tupleIJS9_S6_EEENSD_IJSA_SA_EEENS0_18inequality_wrapperIZN2at6native12_GLOBAL__N_124unique_dim_cuda_templateIiEESt5tupleIJNSH_6TensorESM_SM_EERKSM_lbbbEUlllE0_EEPmJS6_EEE10hipError_tPvRmT3_T4_T5_T6_T7_T9_mT8_P12ihipStream_tbDpT10_ENKUlT_T0_E_clISt17integral_constantIbLb0EES1C_EEDaS17_S18_EUlS17_E_NS1_11comp_targetILNS1_3genE2ELNS1_11target_archE906ELNS1_3gpuE6ELNS1_3repE0EEENS1_30default_config_static_selectorELNS0_4arch9wavefront6targetE1EEEvT1_: ; @_ZN7rocprim17ROCPRIM_400000_NS6detail17trampoline_kernelINS0_14default_configENS1_25partition_config_selectorILNS1_17partition_subalgoE8ElNS0_10empty_typeEbEEZZNS1_14partition_implILS5_8ELb0ES3_jPlPS6_PKS6_NS0_5tupleIJS9_S6_EEENSD_IJSA_SA_EEENS0_18inequality_wrapperIZN2at6native12_GLOBAL__N_124unique_dim_cuda_templateIiEESt5tupleIJNSH_6TensorESM_SM_EERKSM_lbbbEUlllE0_EEPmJS6_EEE10hipError_tPvRmT3_T4_T5_T6_T7_T9_mT8_P12ihipStream_tbDpT10_ENKUlT_T0_E_clISt17integral_constantIbLb0EES1C_EEDaS17_S18_EUlS17_E_NS1_11comp_targetILNS1_3genE2ELNS1_11target_archE906ELNS1_3gpuE6ELNS1_3repE0EEENS1_30default_config_static_selectorELNS0_4arch9wavefront6targetE1EEEvT1_
; %bb.0:
	.section	.rodata,"a",@progbits
	.p2align	6, 0x0
	.amdhsa_kernel _ZN7rocprim17ROCPRIM_400000_NS6detail17trampoline_kernelINS0_14default_configENS1_25partition_config_selectorILNS1_17partition_subalgoE8ElNS0_10empty_typeEbEEZZNS1_14partition_implILS5_8ELb0ES3_jPlPS6_PKS6_NS0_5tupleIJS9_S6_EEENSD_IJSA_SA_EEENS0_18inequality_wrapperIZN2at6native12_GLOBAL__N_124unique_dim_cuda_templateIiEESt5tupleIJNSH_6TensorESM_SM_EERKSM_lbbbEUlllE0_EEPmJS6_EEE10hipError_tPvRmT3_T4_T5_T6_T7_T9_mT8_P12ihipStream_tbDpT10_ENKUlT_T0_E_clISt17integral_constantIbLb0EES1C_EEDaS17_S18_EUlS17_E_NS1_11comp_targetILNS1_3genE2ELNS1_11target_archE906ELNS1_3gpuE6ELNS1_3repE0EEENS1_30default_config_static_selectorELNS0_4arch9wavefront6targetE1EEEvT1_
		.amdhsa_group_segment_fixed_size 0
		.amdhsa_private_segment_fixed_size 0
		.amdhsa_kernarg_size 120
		.amdhsa_user_sgpr_count 2
		.amdhsa_user_sgpr_dispatch_ptr 0
		.amdhsa_user_sgpr_queue_ptr 0
		.amdhsa_user_sgpr_kernarg_segment_ptr 1
		.amdhsa_user_sgpr_dispatch_id 0
		.amdhsa_user_sgpr_kernarg_preload_length 0
		.amdhsa_user_sgpr_kernarg_preload_offset 0
		.amdhsa_user_sgpr_private_segment_size 0
		.amdhsa_uses_dynamic_stack 0
		.amdhsa_enable_private_segment 0
		.amdhsa_system_sgpr_workgroup_id_x 1
		.amdhsa_system_sgpr_workgroup_id_y 0
		.amdhsa_system_sgpr_workgroup_id_z 0
		.amdhsa_system_sgpr_workgroup_info 0
		.amdhsa_system_vgpr_workitem_id 0
		.amdhsa_next_free_vgpr 1
		.amdhsa_next_free_sgpr 0
		.amdhsa_accum_offset 4
		.amdhsa_reserve_vcc 0
		.amdhsa_float_round_mode_32 0
		.amdhsa_float_round_mode_16_64 0
		.amdhsa_float_denorm_mode_32 3
		.amdhsa_float_denorm_mode_16_64 3
		.amdhsa_dx10_clamp 1
		.amdhsa_ieee_mode 1
		.amdhsa_fp16_overflow 0
		.amdhsa_tg_split 0
		.amdhsa_exception_fp_ieee_invalid_op 0
		.amdhsa_exception_fp_denorm_src 0
		.amdhsa_exception_fp_ieee_div_zero 0
		.amdhsa_exception_fp_ieee_overflow 0
		.amdhsa_exception_fp_ieee_underflow 0
		.amdhsa_exception_fp_ieee_inexact 0
		.amdhsa_exception_int_div_zero 0
	.end_amdhsa_kernel
	.section	.text._ZN7rocprim17ROCPRIM_400000_NS6detail17trampoline_kernelINS0_14default_configENS1_25partition_config_selectorILNS1_17partition_subalgoE8ElNS0_10empty_typeEbEEZZNS1_14partition_implILS5_8ELb0ES3_jPlPS6_PKS6_NS0_5tupleIJS9_S6_EEENSD_IJSA_SA_EEENS0_18inequality_wrapperIZN2at6native12_GLOBAL__N_124unique_dim_cuda_templateIiEESt5tupleIJNSH_6TensorESM_SM_EERKSM_lbbbEUlllE0_EEPmJS6_EEE10hipError_tPvRmT3_T4_T5_T6_T7_T9_mT8_P12ihipStream_tbDpT10_ENKUlT_T0_E_clISt17integral_constantIbLb0EES1C_EEDaS17_S18_EUlS17_E_NS1_11comp_targetILNS1_3genE2ELNS1_11target_archE906ELNS1_3gpuE6ELNS1_3repE0EEENS1_30default_config_static_selectorELNS0_4arch9wavefront6targetE1EEEvT1_,"axG",@progbits,_ZN7rocprim17ROCPRIM_400000_NS6detail17trampoline_kernelINS0_14default_configENS1_25partition_config_selectorILNS1_17partition_subalgoE8ElNS0_10empty_typeEbEEZZNS1_14partition_implILS5_8ELb0ES3_jPlPS6_PKS6_NS0_5tupleIJS9_S6_EEENSD_IJSA_SA_EEENS0_18inequality_wrapperIZN2at6native12_GLOBAL__N_124unique_dim_cuda_templateIiEESt5tupleIJNSH_6TensorESM_SM_EERKSM_lbbbEUlllE0_EEPmJS6_EEE10hipError_tPvRmT3_T4_T5_T6_T7_T9_mT8_P12ihipStream_tbDpT10_ENKUlT_T0_E_clISt17integral_constantIbLb0EES1C_EEDaS17_S18_EUlS17_E_NS1_11comp_targetILNS1_3genE2ELNS1_11target_archE906ELNS1_3gpuE6ELNS1_3repE0EEENS1_30default_config_static_selectorELNS0_4arch9wavefront6targetE1EEEvT1_,comdat
.Lfunc_end445:
	.size	_ZN7rocprim17ROCPRIM_400000_NS6detail17trampoline_kernelINS0_14default_configENS1_25partition_config_selectorILNS1_17partition_subalgoE8ElNS0_10empty_typeEbEEZZNS1_14partition_implILS5_8ELb0ES3_jPlPS6_PKS6_NS0_5tupleIJS9_S6_EEENSD_IJSA_SA_EEENS0_18inequality_wrapperIZN2at6native12_GLOBAL__N_124unique_dim_cuda_templateIiEESt5tupleIJNSH_6TensorESM_SM_EERKSM_lbbbEUlllE0_EEPmJS6_EEE10hipError_tPvRmT3_T4_T5_T6_T7_T9_mT8_P12ihipStream_tbDpT10_ENKUlT_T0_E_clISt17integral_constantIbLb0EES1C_EEDaS17_S18_EUlS17_E_NS1_11comp_targetILNS1_3genE2ELNS1_11target_archE906ELNS1_3gpuE6ELNS1_3repE0EEENS1_30default_config_static_selectorELNS0_4arch9wavefront6targetE1EEEvT1_, .Lfunc_end445-_ZN7rocprim17ROCPRIM_400000_NS6detail17trampoline_kernelINS0_14default_configENS1_25partition_config_selectorILNS1_17partition_subalgoE8ElNS0_10empty_typeEbEEZZNS1_14partition_implILS5_8ELb0ES3_jPlPS6_PKS6_NS0_5tupleIJS9_S6_EEENSD_IJSA_SA_EEENS0_18inequality_wrapperIZN2at6native12_GLOBAL__N_124unique_dim_cuda_templateIiEESt5tupleIJNSH_6TensorESM_SM_EERKSM_lbbbEUlllE0_EEPmJS6_EEE10hipError_tPvRmT3_T4_T5_T6_T7_T9_mT8_P12ihipStream_tbDpT10_ENKUlT_T0_E_clISt17integral_constantIbLb0EES1C_EEDaS17_S18_EUlS17_E_NS1_11comp_targetILNS1_3genE2ELNS1_11target_archE906ELNS1_3gpuE6ELNS1_3repE0EEENS1_30default_config_static_selectorELNS0_4arch9wavefront6targetE1EEEvT1_
                                        ; -- End function
	.set _ZN7rocprim17ROCPRIM_400000_NS6detail17trampoline_kernelINS0_14default_configENS1_25partition_config_selectorILNS1_17partition_subalgoE8ElNS0_10empty_typeEbEEZZNS1_14partition_implILS5_8ELb0ES3_jPlPS6_PKS6_NS0_5tupleIJS9_S6_EEENSD_IJSA_SA_EEENS0_18inequality_wrapperIZN2at6native12_GLOBAL__N_124unique_dim_cuda_templateIiEESt5tupleIJNSH_6TensorESM_SM_EERKSM_lbbbEUlllE0_EEPmJS6_EEE10hipError_tPvRmT3_T4_T5_T6_T7_T9_mT8_P12ihipStream_tbDpT10_ENKUlT_T0_E_clISt17integral_constantIbLb0EES1C_EEDaS17_S18_EUlS17_E_NS1_11comp_targetILNS1_3genE2ELNS1_11target_archE906ELNS1_3gpuE6ELNS1_3repE0EEENS1_30default_config_static_selectorELNS0_4arch9wavefront6targetE1EEEvT1_.num_vgpr, 0
	.set _ZN7rocprim17ROCPRIM_400000_NS6detail17trampoline_kernelINS0_14default_configENS1_25partition_config_selectorILNS1_17partition_subalgoE8ElNS0_10empty_typeEbEEZZNS1_14partition_implILS5_8ELb0ES3_jPlPS6_PKS6_NS0_5tupleIJS9_S6_EEENSD_IJSA_SA_EEENS0_18inequality_wrapperIZN2at6native12_GLOBAL__N_124unique_dim_cuda_templateIiEESt5tupleIJNSH_6TensorESM_SM_EERKSM_lbbbEUlllE0_EEPmJS6_EEE10hipError_tPvRmT3_T4_T5_T6_T7_T9_mT8_P12ihipStream_tbDpT10_ENKUlT_T0_E_clISt17integral_constantIbLb0EES1C_EEDaS17_S18_EUlS17_E_NS1_11comp_targetILNS1_3genE2ELNS1_11target_archE906ELNS1_3gpuE6ELNS1_3repE0EEENS1_30default_config_static_selectorELNS0_4arch9wavefront6targetE1EEEvT1_.num_agpr, 0
	.set _ZN7rocprim17ROCPRIM_400000_NS6detail17trampoline_kernelINS0_14default_configENS1_25partition_config_selectorILNS1_17partition_subalgoE8ElNS0_10empty_typeEbEEZZNS1_14partition_implILS5_8ELb0ES3_jPlPS6_PKS6_NS0_5tupleIJS9_S6_EEENSD_IJSA_SA_EEENS0_18inequality_wrapperIZN2at6native12_GLOBAL__N_124unique_dim_cuda_templateIiEESt5tupleIJNSH_6TensorESM_SM_EERKSM_lbbbEUlllE0_EEPmJS6_EEE10hipError_tPvRmT3_T4_T5_T6_T7_T9_mT8_P12ihipStream_tbDpT10_ENKUlT_T0_E_clISt17integral_constantIbLb0EES1C_EEDaS17_S18_EUlS17_E_NS1_11comp_targetILNS1_3genE2ELNS1_11target_archE906ELNS1_3gpuE6ELNS1_3repE0EEENS1_30default_config_static_selectorELNS0_4arch9wavefront6targetE1EEEvT1_.numbered_sgpr, 0
	.set _ZN7rocprim17ROCPRIM_400000_NS6detail17trampoline_kernelINS0_14default_configENS1_25partition_config_selectorILNS1_17partition_subalgoE8ElNS0_10empty_typeEbEEZZNS1_14partition_implILS5_8ELb0ES3_jPlPS6_PKS6_NS0_5tupleIJS9_S6_EEENSD_IJSA_SA_EEENS0_18inequality_wrapperIZN2at6native12_GLOBAL__N_124unique_dim_cuda_templateIiEESt5tupleIJNSH_6TensorESM_SM_EERKSM_lbbbEUlllE0_EEPmJS6_EEE10hipError_tPvRmT3_T4_T5_T6_T7_T9_mT8_P12ihipStream_tbDpT10_ENKUlT_T0_E_clISt17integral_constantIbLb0EES1C_EEDaS17_S18_EUlS17_E_NS1_11comp_targetILNS1_3genE2ELNS1_11target_archE906ELNS1_3gpuE6ELNS1_3repE0EEENS1_30default_config_static_selectorELNS0_4arch9wavefront6targetE1EEEvT1_.num_named_barrier, 0
	.set _ZN7rocprim17ROCPRIM_400000_NS6detail17trampoline_kernelINS0_14default_configENS1_25partition_config_selectorILNS1_17partition_subalgoE8ElNS0_10empty_typeEbEEZZNS1_14partition_implILS5_8ELb0ES3_jPlPS6_PKS6_NS0_5tupleIJS9_S6_EEENSD_IJSA_SA_EEENS0_18inequality_wrapperIZN2at6native12_GLOBAL__N_124unique_dim_cuda_templateIiEESt5tupleIJNSH_6TensorESM_SM_EERKSM_lbbbEUlllE0_EEPmJS6_EEE10hipError_tPvRmT3_T4_T5_T6_T7_T9_mT8_P12ihipStream_tbDpT10_ENKUlT_T0_E_clISt17integral_constantIbLb0EES1C_EEDaS17_S18_EUlS17_E_NS1_11comp_targetILNS1_3genE2ELNS1_11target_archE906ELNS1_3gpuE6ELNS1_3repE0EEENS1_30default_config_static_selectorELNS0_4arch9wavefront6targetE1EEEvT1_.private_seg_size, 0
	.set _ZN7rocprim17ROCPRIM_400000_NS6detail17trampoline_kernelINS0_14default_configENS1_25partition_config_selectorILNS1_17partition_subalgoE8ElNS0_10empty_typeEbEEZZNS1_14partition_implILS5_8ELb0ES3_jPlPS6_PKS6_NS0_5tupleIJS9_S6_EEENSD_IJSA_SA_EEENS0_18inequality_wrapperIZN2at6native12_GLOBAL__N_124unique_dim_cuda_templateIiEESt5tupleIJNSH_6TensorESM_SM_EERKSM_lbbbEUlllE0_EEPmJS6_EEE10hipError_tPvRmT3_T4_T5_T6_T7_T9_mT8_P12ihipStream_tbDpT10_ENKUlT_T0_E_clISt17integral_constantIbLb0EES1C_EEDaS17_S18_EUlS17_E_NS1_11comp_targetILNS1_3genE2ELNS1_11target_archE906ELNS1_3gpuE6ELNS1_3repE0EEENS1_30default_config_static_selectorELNS0_4arch9wavefront6targetE1EEEvT1_.uses_vcc, 0
	.set _ZN7rocprim17ROCPRIM_400000_NS6detail17trampoline_kernelINS0_14default_configENS1_25partition_config_selectorILNS1_17partition_subalgoE8ElNS0_10empty_typeEbEEZZNS1_14partition_implILS5_8ELb0ES3_jPlPS6_PKS6_NS0_5tupleIJS9_S6_EEENSD_IJSA_SA_EEENS0_18inequality_wrapperIZN2at6native12_GLOBAL__N_124unique_dim_cuda_templateIiEESt5tupleIJNSH_6TensorESM_SM_EERKSM_lbbbEUlllE0_EEPmJS6_EEE10hipError_tPvRmT3_T4_T5_T6_T7_T9_mT8_P12ihipStream_tbDpT10_ENKUlT_T0_E_clISt17integral_constantIbLb0EES1C_EEDaS17_S18_EUlS17_E_NS1_11comp_targetILNS1_3genE2ELNS1_11target_archE906ELNS1_3gpuE6ELNS1_3repE0EEENS1_30default_config_static_selectorELNS0_4arch9wavefront6targetE1EEEvT1_.uses_flat_scratch, 0
	.set _ZN7rocprim17ROCPRIM_400000_NS6detail17trampoline_kernelINS0_14default_configENS1_25partition_config_selectorILNS1_17partition_subalgoE8ElNS0_10empty_typeEbEEZZNS1_14partition_implILS5_8ELb0ES3_jPlPS6_PKS6_NS0_5tupleIJS9_S6_EEENSD_IJSA_SA_EEENS0_18inequality_wrapperIZN2at6native12_GLOBAL__N_124unique_dim_cuda_templateIiEESt5tupleIJNSH_6TensorESM_SM_EERKSM_lbbbEUlllE0_EEPmJS6_EEE10hipError_tPvRmT3_T4_T5_T6_T7_T9_mT8_P12ihipStream_tbDpT10_ENKUlT_T0_E_clISt17integral_constantIbLb0EES1C_EEDaS17_S18_EUlS17_E_NS1_11comp_targetILNS1_3genE2ELNS1_11target_archE906ELNS1_3gpuE6ELNS1_3repE0EEENS1_30default_config_static_selectorELNS0_4arch9wavefront6targetE1EEEvT1_.has_dyn_sized_stack, 0
	.set _ZN7rocprim17ROCPRIM_400000_NS6detail17trampoline_kernelINS0_14default_configENS1_25partition_config_selectorILNS1_17partition_subalgoE8ElNS0_10empty_typeEbEEZZNS1_14partition_implILS5_8ELb0ES3_jPlPS6_PKS6_NS0_5tupleIJS9_S6_EEENSD_IJSA_SA_EEENS0_18inequality_wrapperIZN2at6native12_GLOBAL__N_124unique_dim_cuda_templateIiEESt5tupleIJNSH_6TensorESM_SM_EERKSM_lbbbEUlllE0_EEPmJS6_EEE10hipError_tPvRmT3_T4_T5_T6_T7_T9_mT8_P12ihipStream_tbDpT10_ENKUlT_T0_E_clISt17integral_constantIbLb0EES1C_EEDaS17_S18_EUlS17_E_NS1_11comp_targetILNS1_3genE2ELNS1_11target_archE906ELNS1_3gpuE6ELNS1_3repE0EEENS1_30default_config_static_selectorELNS0_4arch9wavefront6targetE1EEEvT1_.has_recursion, 0
	.set _ZN7rocprim17ROCPRIM_400000_NS6detail17trampoline_kernelINS0_14default_configENS1_25partition_config_selectorILNS1_17partition_subalgoE8ElNS0_10empty_typeEbEEZZNS1_14partition_implILS5_8ELb0ES3_jPlPS6_PKS6_NS0_5tupleIJS9_S6_EEENSD_IJSA_SA_EEENS0_18inequality_wrapperIZN2at6native12_GLOBAL__N_124unique_dim_cuda_templateIiEESt5tupleIJNSH_6TensorESM_SM_EERKSM_lbbbEUlllE0_EEPmJS6_EEE10hipError_tPvRmT3_T4_T5_T6_T7_T9_mT8_P12ihipStream_tbDpT10_ENKUlT_T0_E_clISt17integral_constantIbLb0EES1C_EEDaS17_S18_EUlS17_E_NS1_11comp_targetILNS1_3genE2ELNS1_11target_archE906ELNS1_3gpuE6ELNS1_3repE0EEENS1_30default_config_static_selectorELNS0_4arch9wavefront6targetE1EEEvT1_.has_indirect_call, 0
	.section	.AMDGPU.csdata,"",@progbits
; Kernel info:
; codeLenInByte = 0
; TotalNumSgprs: 6
; NumVgprs: 0
; NumAgprs: 0
; TotalNumVgprs: 0
; ScratchSize: 0
; MemoryBound: 0
; FloatMode: 240
; IeeeMode: 1
; LDSByteSize: 0 bytes/workgroup (compile time only)
; SGPRBlocks: 0
; VGPRBlocks: 0
; NumSGPRsForWavesPerEU: 6
; NumVGPRsForWavesPerEU: 1
; AccumOffset: 4
; Occupancy: 8
; WaveLimiterHint : 0
; COMPUTE_PGM_RSRC2:SCRATCH_EN: 0
; COMPUTE_PGM_RSRC2:USER_SGPR: 2
; COMPUTE_PGM_RSRC2:TRAP_HANDLER: 0
; COMPUTE_PGM_RSRC2:TGID_X_EN: 1
; COMPUTE_PGM_RSRC2:TGID_Y_EN: 0
; COMPUTE_PGM_RSRC2:TGID_Z_EN: 0
; COMPUTE_PGM_RSRC2:TIDIG_COMP_CNT: 0
; COMPUTE_PGM_RSRC3_GFX90A:ACCUM_OFFSET: 0
; COMPUTE_PGM_RSRC3_GFX90A:TG_SPLIT: 0
	.section	.text._ZN7rocprim17ROCPRIM_400000_NS6detail17trampoline_kernelINS0_14default_configENS1_25partition_config_selectorILNS1_17partition_subalgoE8ElNS0_10empty_typeEbEEZZNS1_14partition_implILS5_8ELb0ES3_jPlPS6_PKS6_NS0_5tupleIJS9_S6_EEENSD_IJSA_SA_EEENS0_18inequality_wrapperIZN2at6native12_GLOBAL__N_124unique_dim_cuda_templateIiEESt5tupleIJNSH_6TensorESM_SM_EERKSM_lbbbEUlllE0_EEPmJS6_EEE10hipError_tPvRmT3_T4_T5_T6_T7_T9_mT8_P12ihipStream_tbDpT10_ENKUlT_T0_E_clISt17integral_constantIbLb0EES1C_EEDaS17_S18_EUlS17_E_NS1_11comp_targetILNS1_3genE10ELNS1_11target_archE1200ELNS1_3gpuE4ELNS1_3repE0EEENS1_30default_config_static_selectorELNS0_4arch9wavefront6targetE1EEEvT1_,"axG",@progbits,_ZN7rocprim17ROCPRIM_400000_NS6detail17trampoline_kernelINS0_14default_configENS1_25partition_config_selectorILNS1_17partition_subalgoE8ElNS0_10empty_typeEbEEZZNS1_14partition_implILS5_8ELb0ES3_jPlPS6_PKS6_NS0_5tupleIJS9_S6_EEENSD_IJSA_SA_EEENS0_18inequality_wrapperIZN2at6native12_GLOBAL__N_124unique_dim_cuda_templateIiEESt5tupleIJNSH_6TensorESM_SM_EERKSM_lbbbEUlllE0_EEPmJS6_EEE10hipError_tPvRmT3_T4_T5_T6_T7_T9_mT8_P12ihipStream_tbDpT10_ENKUlT_T0_E_clISt17integral_constantIbLb0EES1C_EEDaS17_S18_EUlS17_E_NS1_11comp_targetILNS1_3genE10ELNS1_11target_archE1200ELNS1_3gpuE4ELNS1_3repE0EEENS1_30default_config_static_selectorELNS0_4arch9wavefront6targetE1EEEvT1_,comdat
	.globl	_ZN7rocprim17ROCPRIM_400000_NS6detail17trampoline_kernelINS0_14default_configENS1_25partition_config_selectorILNS1_17partition_subalgoE8ElNS0_10empty_typeEbEEZZNS1_14partition_implILS5_8ELb0ES3_jPlPS6_PKS6_NS0_5tupleIJS9_S6_EEENSD_IJSA_SA_EEENS0_18inequality_wrapperIZN2at6native12_GLOBAL__N_124unique_dim_cuda_templateIiEESt5tupleIJNSH_6TensorESM_SM_EERKSM_lbbbEUlllE0_EEPmJS6_EEE10hipError_tPvRmT3_T4_T5_T6_T7_T9_mT8_P12ihipStream_tbDpT10_ENKUlT_T0_E_clISt17integral_constantIbLb0EES1C_EEDaS17_S18_EUlS17_E_NS1_11comp_targetILNS1_3genE10ELNS1_11target_archE1200ELNS1_3gpuE4ELNS1_3repE0EEENS1_30default_config_static_selectorELNS0_4arch9wavefront6targetE1EEEvT1_ ; -- Begin function _ZN7rocprim17ROCPRIM_400000_NS6detail17trampoline_kernelINS0_14default_configENS1_25partition_config_selectorILNS1_17partition_subalgoE8ElNS0_10empty_typeEbEEZZNS1_14partition_implILS5_8ELb0ES3_jPlPS6_PKS6_NS0_5tupleIJS9_S6_EEENSD_IJSA_SA_EEENS0_18inequality_wrapperIZN2at6native12_GLOBAL__N_124unique_dim_cuda_templateIiEESt5tupleIJNSH_6TensorESM_SM_EERKSM_lbbbEUlllE0_EEPmJS6_EEE10hipError_tPvRmT3_T4_T5_T6_T7_T9_mT8_P12ihipStream_tbDpT10_ENKUlT_T0_E_clISt17integral_constantIbLb0EES1C_EEDaS17_S18_EUlS17_E_NS1_11comp_targetILNS1_3genE10ELNS1_11target_archE1200ELNS1_3gpuE4ELNS1_3repE0EEENS1_30default_config_static_selectorELNS0_4arch9wavefront6targetE1EEEvT1_
	.p2align	8
	.type	_ZN7rocprim17ROCPRIM_400000_NS6detail17trampoline_kernelINS0_14default_configENS1_25partition_config_selectorILNS1_17partition_subalgoE8ElNS0_10empty_typeEbEEZZNS1_14partition_implILS5_8ELb0ES3_jPlPS6_PKS6_NS0_5tupleIJS9_S6_EEENSD_IJSA_SA_EEENS0_18inequality_wrapperIZN2at6native12_GLOBAL__N_124unique_dim_cuda_templateIiEESt5tupleIJNSH_6TensorESM_SM_EERKSM_lbbbEUlllE0_EEPmJS6_EEE10hipError_tPvRmT3_T4_T5_T6_T7_T9_mT8_P12ihipStream_tbDpT10_ENKUlT_T0_E_clISt17integral_constantIbLb0EES1C_EEDaS17_S18_EUlS17_E_NS1_11comp_targetILNS1_3genE10ELNS1_11target_archE1200ELNS1_3gpuE4ELNS1_3repE0EEENS1_30default_config_static_selectorELNS0_4arch9wavefront6targetE1EEEvT1_,@function
_ZN7rocprim17ROCPRIM_400000_NS6detail17trampoline_kernelINS0_14default_configENS1_25partition_config_selectorILNS1_17partition_subalgoE8ElNS0_10empty_typeEbEEZZNS1_14partition_implILS5_8ELb0ES3_jPlPS6_PKS6_NS0_5tupleIJS9_S6_EEENSD_IJSA_SA_EEENS0_18inequality_wrapperIZN2at6native12_GLOBAL__N_124unique_dim_cuda_templateIiEESt5tupleIJNSH_6TensorESM_SM_EERKSM_lbbbEUlllE0_EEPmJS6_EEE10hipError_tPvRmT3_T4_T5_T6_T7_T9_mT8_P12ihipStream_tbDpT10_ENKUlT_T0_E_clISt17integral_constantIbLb0EES1C_EEDaS17_S18_EUlS17_E_NS1_11comp_targetILNS1_3genE10ELNS1_11target_archE1200ELNS1_3gpuE4ELNS1_3repE0EEENS1_30default_config_static_selectorELNS0_4arch9wavefront6targetE1EEEvT1_: ; @_ZN7rocprim17ROCPRIM_400000_NS6detail17trampoline_kernelINS0_14default_configENS1_25partition_config_selectorILNS1_17partition_subalgoE8ElNS0_10empty_typeEbEEZZNS1_14partition_implILS5_8ELb0ES3_jPlPS6_PKS6_NS0_5tupleIJS9_S6_EEENSD_IJSA_SA_EEENS0_18inequality_wrapperIZN2at6native12_GLOBAL__N_124unique_dim_cuda_templateIiEESt5tupleIJNSH_6TensorESM_SM_EERKSM_lbbbEUlllE0_EEPmJS6_EEE10hipError_tPvRmT3_T4_T5_T6_T7_T9_mT8_P12ihipStream_tbDpT10_ENKUlT_T0_E_clISt17integral_constantIbLb0EES1C_EEDaS17_S18_EUlS17_E_NS1_11comp_targetILNS1_3genE10ELNS1_11target_archE1200ELNS1_3gpuE4ELNS1_3repE0EEENS1_30default_config_static_selectorELNS0_4arch9wavefront6targetE1EEEvT1_
; %bb.0:
	.section	.rodata,"a",@progbits
	.p2align	6, 0x0
	.amdhsa_kernel _ZN7rocprim17ROCPRIM_400000_NS6detail17trampoline_kernelINS0_14default_configENS1_25partition_config_selectorILNS1_17partition_subalgoE8ElNS0_10empty_typeEbEEZZNS1_14partition_implILS5_8ELb0ES3_jPlPS6_PKS6_NS0_5tupleIJS9_S6_EEENSD_IJSA_SA_EEENS0_18inequality_wrapperIZN2at6native12_GLOBAL__N_124unique_dim_cuda_templateIiEESt5tupleIJNSH_6TensorESM_SM_EERKSM_lbbbEUlllE0_EEPmJS6_EEE10hipError_tPvRmT3_T4_T5_T6_T7_T9_mT8_P12ihipStream_tbDpT10_ENKUlT_T0_E_clISt17integral_constantIbLb0EES1C_EEDaS17_S18_EUlS17_E_NS1_11comp_targetILNS1_3genE10ELNS1_11target_archE1200ELNS1_3gpuE4ELNS1_3repE0EEENS1_30default_config_static_selectorELNS0_4arch9wavefront6targetE1EEEvT1_
		.amdhsa_group_segment_fixed_size 0
		.amdhsa_private_segment_fixed_size 0
		.amdhsa_kernarg_size 120
		.amdhsa_user_sgpr_count 2
		.amdhsa_user_sgpr_dispatch_ptr 0
		.amdhsa_user_sgpr_queue_ptr 0
		.amdhsa_user_sgpr_kernarg_segment_ptr 1
		.amdhsa_user_sgpr_dispatch_id 0
		.amdhsa_user_sgpr_kernarg_preload_length 0
		.amdhsa_user_sgpr_kernarg_preload_offset 0
		.amdhsa_user_sgpr_private_segment_size 0
		.amdhsa_uses_dynamic_stack 0
		.amdhsa_enable_private_segment 0
		.amdhsa_system_sgpr_workgroup_id_x 1
		.amdhsa_system_sgpr_workgroup_id_y 0
		.amdhsa_system_sgpr_workgroup_id_z 0
		.amdhsa_system_sgpr_workgroup_info 0
		.amdhsa_system_vgpr_workitem_id 0
		.amdhsa_next_free_vgpr 1
		.amdhsa_next_free_sgpr 0
		.amdhsa_accum_offset 4
		.amdhsa_reserve_vcc 0
		.amdhsa_float_round_mode_32 0
		.amdhsa_float_round_mode_16_64 0
		.amdhsa_float_denorm_mode_32 3
		.amdhsa_float_denorm_mode_16_64 3
		.amdhsa_dx10_clamp 1
		.amdhsa_ieee_mode 1
		.amdhsa_fp16_overflow 0
		.amdhsa_tg_split 0
		.amdhsa_exception_fp_ieee_invalid_op 0
		.amdhsa_exception_fp_denorm_src 0
		.amdhsa_exception_fp_ieee_div_zero 0
		.amdhsa_exception_fp_ieee_overflow 0
		.amdhsa_exception_fp_ieee_underflow 0
		.amdhsa_exception_fp_ieee_inexact 0
		.amdhsa_exception_int_div_zero 0
	.end_amdhsa_kernel
	.section	.text._ZN7rocprim17ROCPRIM_400000_NS6detail17trampoline_kernelINS0_14default_configENS1_25partition_config_selectorILNS1_17partition_subalgoE8ElNS0_10empty_typeEbEEZZNS1_14partition_implILS5_8ELb0ES3_jPlPS6_PKS6_NS0_5tupleIJS9_S6_EEENSD_IJSA_SA_EEENS0_18inequality_wrapperIZN2at6native12_GLOBAL__N_124unique_dim_cuda_templateIiEESt5tupleIJNSH_6TensorESM_SM_EERKSM_lbbbEUlllE0_EEPmJS6_EEE10hipError_tPvRmT3_T4_T5_T6_T7_T9_mT8_P12ihipStream_tbDpT10_ENKUlT_T0_E_clISt17integral_constantIbLb0EES1C_EEDaS17_S18_EUlS17_E_NS1_11comp_targetILNS1_3genE10ELNS1_11target_archE1200ELNS1_3gpuE4ELNS1_3repE0EEENS1_30default_config_static_selectorELNS0_4arch9wavefront6targetE1EEEvT1_,"axG",@progbits,_ZN7rocprim17ROCPRIM_400000_NS6detail17trampoline_kernelINS0_14default_configENS1_25partition_config_selectorILNS1_17partition_subalgoE8ElNS0_10empty_typeEbEEZZNS1_14partition_implILS5_8ELb0ES3_jPlPS6_PKS6_NS0_5tupleIJS9_S6_EEENSD_IJSA_SA_EEENS0_18inequality_wrapperIZN2at6native12_GLOBAL__N_124unique_dim_cuda_templateIiEESt5tupleIJNSH_6TensorESM_SM_EERKSM_lbbbEUlllE0_EEPmJS6_EEE10hipError_tPvRmT3_T4_T5_T6_T7_T9_mT8_P12ihipStream_tbDpT10_ENKUlT_T0_E_clISt17integral_constantIbLb0EES1C_EEDaS17_S18_EUlS17_E_NS1_11comp_targetILNS1_3genE10ELNS1_11target_archE1200ELNS1_3gpuE4ELNS1_3repE0EEENS1_30default_config_static_selectorELNS0_4arch9wavefront6targetE1EEEvT1_,comdat
.Lfunc_end446:
	.size	_ZN7rocprim17ROCPRIM_400000_NS6detail17trampoline_kernelINS0_14default_configENS1_25partition_config_selectorILNS1_17partition_subalgoE8ElNS0_10empty_typeEbEEZZNS1_14partition_implILS5_8ELb0ES3_jPlPS6_PKS6_NS0_5tupleIJS9_S6_EEENSD_IJSA_SA_EEENS0_18inequality_wrapperIZN2at6native12_GLOBAL__N_124unique_dim_cuda_templateIiEESt5tupleIJNSH_6TensorESM_SM_EERKSM_lbbbEUlllE0_EEPmJS6_EEE10hipError_tPvRmT3_T4_T5_T6_T7_T9_mT8_P12ihipStream_tbDpT10_ENKUlT_T0_E_clISt17integral_constantIbLb0EES1C_EEDaS17_S18_EUlS17_E_NS1_11comp_targetILNS1_3genE10ELNS1_11target_archE1200ELNS1_3gpuE4ELNS1_3repE0EEENS1_30default_config_static_selectorELNS0_4arch9wavefront6targetE1EEEvT1_, .Lfunc_end446-_ZN7rocprim17ROCPRIM_400000_NS6detail17trampoline_kernelINS0_14default_configENS1_25partition_config_selectorILNS1_17partition_subalgoE8ElNS0_10empty_typeEbEEZZNS1_14partition_implILS5_8ELb0ES3_jPlPS6_PKS6_NS0_5tupleIJS9_S6_EEENSD_IJSA_SA_EEENS0_18inequality_wrapperIZN2at6native12_GLOBAL__N_124unique_dim_cuda_templateIiEESt5tupleIJNSH_6TensorESM_SM_EERKSM_lbbbEUlllE0_EEPmJS6_EEE10hipError_tPvRmT3_T4_T5_T6_T7_T9_mT8_P12ihipStream_tbDpT10_ENKUlT_T0_E_clISt17integral_constantIbLb0EES1C_EEDaS17_S18_EUlS17_E_NS1_11comp_targetILNS1_3genE10ELNS1_11target_archE1200ELNS1_3gpuE4ELNS1_3repE0EEENS1_30default_config_static_selectorELNS0_4arch9wavefront6targetE1EEEvT1_
                                        ; -- End function
	.set _ZN7rocprim17ROCPRIM_400000_NS6detail17trampoline_kernelINS0_14default_configENS1_25partition_config_selectorILNS1_17partition_subalgoE8ElNS0_10empty_typeEbEEZZNS1_14partition_implILS5_8ELb0ES3_jPlPS6_PKS6_NS0_5tupleIJS9_S6_EEENSD_IJSA_SA_EEENS0_18inequality_wrapperIZN2at6native12_GLOBAL__N_124unique_dim_cuda_templateIiEESt5tupleIJNSH_6TensorESM_SM_EERKSM_lbbbEUlllE0_EEPmJS6_EEE10hipError_tPvRmT3_T4_T5_T6_T7_T9_mT8_P12ihipStream_tbDpT10_ENKUlT_T0_E_clISt17integral_constantIbLb0EES1C_EEDaS17_S18_EUlS17_E_NS1_11comp_targetILNS1_3genE10ELNS1_11target_archE1200ELNS1_3gpuE4ELNS1_3repE0EEENS1_30default_config_static_selectorELNS0_4arch9wavefront6targetE1EEEvT1_.num_vgpr, 0
	.set _ZN7rocprim17ROCPRIM_400000_NS6detail17trampoline_kernelINS0_14default_configENS1_25partition_config_selectorILNS1_17partition_subalgoE8ElNS0_10empty_typeEbEEZZNS1_14partition_implILS5_8ELb0ES3_jPlPS6_PKS6_NS0_5tupleIJS9_S6_EEENSD_IJSA_SA_EEENS0_18inequality_wrapperIZN2at6native12_GLOBAL__N_124unique_dim_cuda_templateIiEESt5tupleIJNSH_6TensorESM_SM_EERKSM_lbbbEUlllE0_EEPmJS6_EEE10hipError_tPvRmT3_T4_T5_T6_T7_T9_mT8_P12ihipStream_tbDpT10_ENKUlT_T0_E_clISt17integral_constantIbLb0EES1C_EEDaS17_S18_EUlS17_E_NS1_11comp_targetILNS1_3genE10ELNS1_11target_archE1200ELNS1_3gpuE4ELNS1_3repE0EEENS1_30default_config_static_selectorELNS0_4arch9wavefront6targetE1EEEvT1_.num_agpr, 0
	.set _ZN7rocprim17ROCPRIM_400000_NS6detail17trampoline_kernelINS0_14default_configENS1_25partition_config_selectorILNS1_17partition_subalgoE8ElNS0_10empty_typeEbEEZZNS1_14partition_implILS5_8ELb0ES3_jPlPS6_PKS6_NS0_5tupleIJS9_S6_EEENSD_IJSA_SA_EEENS0_18inequality_wrapperIZN2at6native12_GLOBAL__N_124unique_dim_cuda_templateIiEESt5tupleIJNSH_6TensorESM_SM_EERKSM_lbbbEUlllE0_EEPmJS6_EEE10hipError_tPvRmT3_T4_T5_T6_T7_T9_mT8_P12ihipStream_tbDpT10_ENKUlT_T0_E_clISt17integral_constantIbLb0EES1C_EEDaS17_S18_EUlS17_E_NS1_11comp_targetILNS1_3genE10ELNS1_11target_archE1200ELNS1_3gpuE4ELNS1_3repE0EEENS1_30default_config_static_selectorELNS0_4arch9wavefront6targetE1EEEvT1_.numbered_sgpr, 0
	.set _ZN7rocprim17ROCPRIM_400000_NS6detail17trampoline_kernelINS0_14default_configENS1_25partition_config_selectorILNS1_17partition_subalgoE8ElNS0_10empty_typeEbEEZZNS1_14partition_implILS5_8ELb0ES3_jPlPS6_PKS6_NS0_5tupleIJS9_S6_EEENSD_IJSA_SA_EEENS0_18inequality_wrapperIZN2at6native12_GLOBAL__N_124unique_dim_cuda_templateIiEESt5tupleIJNSH_6TensorESM_SM_EERKSM_lbbbEUlllE0_EEPmJS6_EEE10hipError_tPvRmT3_T4_T5_T6_T7_T9_mT8_P12ihipStream_tbDpT10_ENKUlT_T0_E_clISt17integral_constantIbLb0EES1C_EEDaS17_S18_EUlS17_E_NS1_11comp_targetILNS1_3genE10ELNS1_11target_archE1200ELNS1_3gpuE4ELNS1_3repE0EEENS1_30default_config_static_selectorELNS0_4arch9wavefront6targetE1EEEvT1_.num_named_barrier, 0
	.set _ZN7rocprim17ROCPRIM_400000_NS6detail17trampoline_kernelINS0_14default_configENS1_25partition_config_selectorILNS1_17partition_subalgoE8ElNS0_10empty_typeEbEEZZNS1_14partition_implILS5_8ELb0ES3_jPlPS6_PKS6_NS0_5tupleIJS9_S6_EEENSD_IJSA_SA_EEENS0_18inequality_wrapperIZN2at6native12_GLOBAL__N_124unique_dim_cuda_templateIiEESt5tupleIJNSH_6TensorESM_SM_EERKSM_lbbbEUlllE0_EEPmJS6_EEE10hipError_tPvRmT3_T4_T5_T6_T7_T9_mT8_P12ihipStream_tbDpT10_ENKUlT_T0_E_clISt17integral_constantIbLb0EES1C_EEDaS17_S18_EUlS17_E_NS1_11comp_targetILNS1_3genE10ELNS1_11target_archE1200ELNS1_3gpuE4ELNS1_3repE0EEENS1_30default_config_static_selectorELNS0_4arch9wavefront6targetE1EEEvT1_.private_seg_size, 0
	.set _ZN7rocprim17ROCPRIM_400000_NS6detail17trampoline_kernelINS0_14default_configENS1_25partition_config_selectorILNS1_17partition_subalgoE8ElNS0_10empty_typeEbEEZZNS1_14partition_implILS5_8ELb0ES3_jPlPS6_PKS6_NS0_5tupleIJS9_S6_EEENSD_IJSA_SA_EEENS0_18inequality_wrapperIZN2at6native12_GLOBAL__N_124unique_dim_cuda_templateIiEESt5tupleIJNSH_6TensorESM_SM_EERKSM_lbbbEUlllE0_EEPmJS6_EEE10hipError_tPvRmT3_T4_T5_T6_T7_T9_mT8_P12ihipStream_tbDpT10_ENKUlT_T0_E_clISt17integral_constantIbLb0EES1C_EEDaS17_S18_EUlS17_E_NS1_11comp_targetILNS1_3genE10ELNS1_11target_archE1200ELNS1_3gpuE4ELNS1_3repE0EEENS1_30default_config_static_selectorELNS0_4arch9wavefront6targetE1EEEvT1_.uses_vcc, 0
	.set _ZN7rocprim17ROCPRIM_400000_NS6detail17trampoline_kernelINS0_14default_configENS1_25partition_config_selectorILNS1_17partition_subalgoE8ElNS0_10empty_typeEbEEZZNS1_14partition_implILS5_8ELb0ES3_jPlPS6_PKS6_NS0_5tupleIJS9_S6_EEENSD_IJSA_SA_EEENS0_18inequality_wrapperIZN2at6native12_GLOBAL__N_124unique_dim_cuda_templateIiEESt5tupleIJNSH_6TensorESM_SM_EERKSM_lbbbEUlllE0_EEPmJS6_EEE10hipError_tPvRmT3_T4_T5_T6_T7_T9_mT8_P12ihipStream_tbDpT10_ENKUlT_T0_E_clISt17integral_constantIbLb0EES1C_EEDaS17_S18_EUlS17_E_NS1_11comp_targetILNS1_3genE10ELNS1_11target_archE1200ELNS1_3gpuE4ELNS1_3repE0EEENS1_30default_config_static_selectorELNS0_4arch9wavefront6targetE1EEEvT1_.uses_flat_scratch, 0
	.set _ZN7rocprim17ROCPRIM_400000_NS6detail17trampoline_kernelINS0_14default_configENS1_25partition_config_selectorILNS1_17partition_subalgoE8ElNS0_10empty_typeEbEEZZNS1_14partition_implILS5_8ELb0ES3_jPlPS6_PKS6_NS0_5tupleIJS9_S6_EEENSD_IJSA_SA_EEENS0_18inequality_wrapperIZN2at6native12_GLOBAL__N_124unique_dim_cuda_templateIiEESt5tupleIJNSH_6TensorESM_SM_EERKSM_lbbbEUlllE0_EEPmJS6_EEE10hipError_tPvRmT3_T4_T5_T6_T7_T9_mT8_P12ihipStream_tbDpT10_ENKUlT_T0_E_clISt17integral_constantIbLb0EES1C_EEDaS17_S18_EUlS17_E_NS1_11comp_targetILNS1_3genE10ELNS1_11target_archE1200ELNS1_3gpuE4ELNS1_3repE0EEENS1_30default_config_static_selectorELNS0_4arch9wavefront6targetE1EEEvT1_.has_dyn_sized_stack, 0
	.set _ZN7rocprim17ROCPRIM_400000_NS6detail17trampoline_kernelINS0_14default_configENS1_25partition_config_selectorILNS1_17partition_subalgoE8ElNS0_10empty_typeEbEEZZNS1_14partition_implILS5_8ELb0ES3_jPlPS6_PKS6_NS0_5tupleIJS9_S6_EEENSD_IJSA_SA_EEENS0_18inequality_wrapperIZN2at6native12_GLOBAL__N_124unique_dim_cuda_templateIiEESt5tupleIJNSH_6TensorESM_SM_EERKSM_lbbbEUlllE0_EEPmJS6_EEE10hipError_tPvRmT3_T4_T5_T6_T7_T9_mT8_P12ihipStream_tbDpT10_ENKUlT_T0_E_clISt17integral_constantIbLb0EES1C_EEDaS17_S18_EUlS17_E_NS1_11comp_targetILNS1_3genE10ELNS1_11target_archE1200ELNS1_3gpuE4ELNS1_3repE0EEENS1_30default_config_static_selectorELNS0_4arch9wavefront6targetE1EEEvT1_.has_recursion, 0
	.set _ZN7rocprim17ROCPRIM_400000_NS6detail17trampoline_kernelINS0_14default_configENS1_25partition_config_selectorILNS1_17partition_subalgoE8ElNS0_10empty_typeEbEEZZNS1_14partition_implILS5_8ELb0ES3_jPlPS6_PKS6_NS0_5tupleIJS9_S6_EEENSD_IJSA_SA_EEENS0_18inequality_wrapperIZN2at6native12_GLOBAL__N_124unique_dim_cuda_templateIiEESt5tupleIJNSH_6TensorESM_SM_EERKSM_lbbbEUlllE0_EEPmJS6_EEE10hipError_tPvRmT3_T4_T5_T6_T7_T9_mT8_P12ihipStream_tbDpT10_ENKUlT_T0_E_clISt17integral_constantIbLb0EES1C_EEDaS17_S18_EUlS17_E_NS1_11comp_targetILNS1_3genE10ELNS1_11target_archE1200ELNS1_3gpuE4ELNS1_3repE0EEENS1_30default_config_static_selectorELNS0_4arch9wavefront6targetE1EEEvT1_.has_indirect_call, 0
	.section	.AMDGPU.csdata,"",@progbits
; Kernel info:
; codeLenInByte = 0
; TotalNumSgprs: 6
; NumVgprs: 0
; NumAgprs: 0
; TotalNumVgprs: 0
; ScratchSize: 0
; MemoryBound: 0
; FloatMode: 240
; IeeeMode: 1
; LDSByteSize: 0 bytes/workgroup (compile time only)
; SGPRBlocks: 0
; VGPRBlocks: 0
; NumSGPRsForWavesPerEU: 6
; NumVGPRsForWavesPerEU: 1
; AccumOffset: 4
; Occupancy: 8
; WaveLimiterHint : 0
; COMPUTE_PGM_RSRC2:SCRATCH_EN: 0
; COMPUTE_PGM_RSRC2:USER_SGPR: 2
; COMPUTE_PGM_RSRC2:TRAP_HANDLER: 0
; COMPUTE_PGM_RSRC2:TGID_X_EN: 1
; COMPUTE_PGM_RSRC2:TGID_Y_EN: 0
; COMPUTE_PGM_RSRC2:TGID_Z_EN: 0
; COMPUTE_PGM_RSRC2:TIDIG_COMP_CNT: 0
; COMPUTE_PGM_RSRC3_GFX90A:ACCUM_OFFSET: 0
; COMPUTE_PGM_RSRC3_GFX90A:TG_SPLIT: 0
	.section	.text._ZN7rocprim17ROCPRIM_400000_NS6detail17trampoline_kernelINS0_14default_configENS1_25partition_config_selectorILNS1_17partition_subalgoE8ElNS0_10empty_typeEbEEZZNS1_14partition_implILS5_8ELb0ES3_jPlPS6_PKS6_NS0_5tupleIJS9_S6_EEENSD_IJSA_SA_EEENS0_18inequality_wrapperIZN2at6native12_GLOBAL__N_124unique_dim_cuda_templateIiEESt5tupleIJNSH_6TensorESM_SM_EERKSM_lbbbEUlllE0_EEPmJS6_EEE10hipError_tPvRmT3_T4_T5_T6_T7_T9_mT8_P12ihipStream_tbDpT10_ENKUlT_T0_E_clISt17integral_constantIbLb0EES1C_EEDaS17_S18_EUlS17_E_NS1_11comp_targetILNS1_3genE9ELNS1_11target_archE1100ELNS1_3gpuE3ELNS1_3repE0EEENS1_30default_config_static_selectorELNS0_4arch9wavefront6targetE1EEEvT1_,"axG",@progbits,_ZN7rocprim17ROCPRIM_400000_NS6detail17trampoline_kernelINS0_14default_configENS1_25partition_config_selectorILNS1_17partition_subalgoE8ElNS0_10empty_typeEbEEZZNS1_14partition_implILS5_8ELb0ES3_jPlPS6_PKS6_NS0_5tupleIJS9_S6_EEENSD_IJSA_SA_EEENS0_18inequality_wrapperIZN2at6native12_GLOBAL__N_124unique_dim_cuda_templateIiEESt5tupleIJNSH_6TensorESM_SM_EERKSM_lbbbEUlllE0_EEPmJS6_EEE10hipError_tPvRmT3_T4_T5_T6_T7_T9_mT8_P12ihipStream_tbDpT10_ENKUlT_T0_E_clISt17integral_constantIbLb0EES1C_EEDaS17_S18_EUlS17_E_NS1_11comp_targetILNS1_3genE9ELNS1_11target_archE1100ELNS1_3gpuE3ELNS1_3repE0EEENS1_30default_config_static_selectorELNS0_4arch9wavefront6targetE1EEEvT1_,comdat
	.globl	_ZN7rocprim17ROCPRIM_400000_NS6detail17trampoline_kernelINS0_14default_configENS1_25partition_config_selectorILNS1_17partition_subalgoE8ElNS0_10empty_typeEbEEZZNS1_14partition_implILS5_8ELb0ES3_jPlPS6_PKS6_NS0_5tupleIJS9_S6_EEENSD_IJSA_SA_EEENS0_18inequality_wrapperIZN2at6native12_GLOBAL__N_124unique_dim_cuda_templateIiEESt5tupleIJNSH_6TensorESM_SM_EERKSM_lbbbEUlllE0_EEPmJS6_EEE10hipError_tPvRmT3_T4_T5_T6_T7_T9_mT8_P12ihipStream_tbDpT10_ENKUlT_T0_E_clISt17integral_constantIbLb0EES1C_EEDaS17_S18_EUlS17_E_NS1_11comp_targetILNS1_3genE9ELNS1_11target_archE1100ELNS1_3gpuE3ELNS1_3repE0EEENS1_30default_config_static_selectorELNS0_4arch9wavefront6targetE1EEEvT1_ ; -- Begin function _ZN7rocprim17ROCPRIM_400000_NS6detail17trampoline_kernelINS0_14default_configENS1_25partition_config_selectorILNS1_17partition_subalgoE8ElNS0_10empty_typeEbEEZZNS1_14partition_implILS5_8ELb0ES3_jPlPS6_PKS6_NS0_5tupleIJS9_S6_EEENSD_IJSA_SA_EEENS0_18inequality_wrapperIZN2at6native12_GLOBAL__N_124unique_dim_cuda_templateIiEESt5tupleIJNSH_6TensorESM_SM_EERKSM_lbbbEUlllE0_EEPmJS6_EEE10hipError_tPvRmT3_T4_T5_T6_T7_T9_mT8_P12ihipStream_tbDpT10_ENKUlT_T0_E_clISt17integral_constantIbLb0EES1C_EEDaS17_S18_EUlS17_E_NS1_11comp_targetILNS1_3genE9ELNS1_11target_archE1100ELNS1_3gpuE3ELNS1_3repE0EEENS1_30default_config_static_selectorELNS0_4arch9wavefront6targetE1EEEvT1_
	.p2align	8
	.type	_ZN7rocprim17ROCPRIM_400000_NS6detail17trampoline_kernelINS0_14default_configENS1_25partition_config_selectorILNS1_17partition_subalgoE8ElNS0_10empty_typeEbEEZZNS1_14partition_implILS5_8ELb0ES3_jPlPS6_PKS6_NS0_5tupleIJS9_S6_EEENSD_IJSA_SA_EEENS0_18inequality_wrapperIZN2at6native12_GLOBAL__N_124unique_dim_cuda_templateIiEESt5tupleIJNSH_6TensorESM_SM_EERKSM_lbbbEUlllE0_EEPmJS6_EEE10hipError_tPvRmT3_T4_T5_T6_T7_T9_mT8_P12ihipStream_tbDpT10_ENKUlT_T0_E_clISt17integral_constantIbLb0EES1C_EEDaS17_S18_EUlS17_E_NS1_11comp_targetILNS1_3genE9ELNS1_11target_archE1100ELNS1_3gpuE3ELNS1_3repE0EEENS1_30default_config_static_selectorELNS0_4arch9wavefront6targetE1EEEvT1_,@function
_ZN7rocprim17ROCPRIM_400000_NS6detail17trampoline_kernelINS0_14default_configENS1_25partition_config_selectorILNS1_17partition_subalgoE8ElNS0_10empty_typeEbEEZZNS1_14partition_implILS5_8ELb0ES3_jPlPS6_PKS6_NS0_5tupleIJS9_S6_EEENSD_IJSA_SA_EEENS0_18inequality_wrapperIZN2at6native12_GLOBAL__N_124unique_dim_cuda_templateIiEESt5tupleIJNSH_6TensorESM_SM_EERKSM_lbbbEUlllE0_EEPmJS6_EEE10hipError_tPvRmT3_T4_T5_T6_T7_T9_mT8_P12ihipStream_tbDpT10_ENKUlT_T0_E_clISt17integral_constantIbLb0EES1C_EEDaS17_S18_EUlS17_E_NS1_11comp_targetILNS1_3genE9ELNS1_11target_archE1100ELNS1_3gpuE3ELNS1_3repE0EEENS1_30default_config_static_selectorELNS0_4arch9wavefront6targetE1EEEvT1_: ; @_ZN7rocprim17ROCPRIM_400000_NS6detail17trampoline_kernelINS0_14default_configENS1_25partition_config_selectorILNS1_17partition_subalgoE8ElNS0_10empty_typeEbEEZZNS1_14partition_implILS5_8ELb0ES3_jPlPS6_PKS6_NS0_5tupleIJS9_S6_EEENSD_IJSA_SA_EEENS0_18inequality_wrapperIZN2at6native12_GLOBAL__N_124unique_dim_cuda_templateIiEESt5tupleIJNSH_6TensorESM_SM_EERKSM_lbbbEUlllE0_EEPmJS6_EEE10hipError_tPvRmT3_T4_T5_T6_T7_T9_mT8_P12ihipStream_tbDpT10_ENKUlT_T0_E_clISt17integral_constantIbLb0EES1C_EEDaS17_S18_EUlS17_E_NS1_11comp_targetILNS1_3genE9ELNS1_11target_archE1100ELNS1_3gpuE3ELNS1_3repE0EEENS1_30default_config_static_selectorELNS0_4arch9wavefront6targetE1EEEvT1_
; %bb.0:
	.section	.rodata,"a",@progbits
	.p2align	6, 0x0
	.amdhsa_kernel _ZN7rocprim17ROCPRIM_400000_NS6detail17trampoline_kernelINS0_14default_configENS1_25partition_config_selectorILNS1_17partition_subalgoE8ElNS0_10empty_typeEbEEZZNS1_14partition_implILS5_8ELb0ES3_jPlPS6_PKS6_NS0_5tupleIJS9_S6_EEENSD_IJSA_SA_EEENS0_18inequality_wrapperIZN2at6native12_GLOBAL__N_124unique_dim_cuda_templateIiEESt5tupleIJNSH_6TensorESM_SM_EERKSM_lbbbEUlllE0_EEPmJS6_EEE10hipError_tPvRmT3_T4_T5_T6_T7_T9_mT8_P12ihipStream_tbDpT10_ENKUlT_T0_E_clISt17integral_constantIbLb0EES1C_EEDaS17_S18_EUlS17_E_NS1_11comp_targetILNS1_3genE9ELNS1_11target_archE1100ELNS1_3gpuE3ELNS1_3repE0EEENS1_30default_config_static_selectorELNS0_4arch9wavefront6targetE1EEEvT1_
		.amdhsa_group_segment_fixed_size 0
		.amdhsa_private_segment_fixed_size 0
		.amdhsa_kernarg_size 120
		.amdhsa_user_sgpr_count 2
		.amdhsa_user_sgpr_dispatch_ptr 0
		.amdhsa_user_sgpr_queue_ptr 0
		.amdhsa_user_sgpr_kernarg_segment_ptr 1
		.amdhsa_user_sgpr_dispatch_id 0
		.amdhsa_user_sgpr_kernarg_preload_length 0
		.amdhsa_user_sgpr_kernarg_preload_offset 0
		.amdhsa_user_sgpr_private_segment_size 0
		.amdhsa_uses_dynamic_stack 0
		.amdhsa_enable_private_segment 0
		.amdhsa_system_sgpr_workgroup_id_x 1
		.amdhsa_system_sgpr_workgroup_id_y 0
		.amdhsa_system_sgpr_workgroup_id_z 0
		.amdhsa_system_sgpr_workgroup_info 0
		.amdhsa_system_vgpr_workitem_id 0
		.amdhsa_next_free_vgpr 1
		.amdhsa_next_free_sgpr 0
		.amdhsa_accum_offset 4
		.amdhsa_reserve_vcc 0
		.amdhsa_float_round_mode_32 0
		.amdhsa_float_round_mode_16_64 0
		.amdhsa_float_denorm_mode_32 3
		.amdhsa_float_denorm_mode_16_64 3
		.amdhsa_dx10_clamp 1
		.amdhsa_ieee_mode 1
		.amdhsa_fp16_overflow 0
		.amdhsa_tg_split 0
		.amdhsa_exception_fp_ieee_invalid_op 0
		.amdhsa_exception_fp_denorm_src 0
		.amdhsa_exception_fp_ieee_div_zero 0
		.amdhsa_exception_fp_ieee_overflow 0
		.amdhsa_exception_fp_ieee_underflow 0
		.amdhsa_exception_fp_ieee_inexact 0
		.amdhsa_exception_int_div_zero 0
	.end_amdhsa_kernel
	.section	.text._ZN7rocprim17ROCPRIM_400000_NS6detail17trampoline_kernelINS0_14default_configENS1_25partition_config_selectorILNS1_17partition_subalgoE8ElNS0_10empty_typeEbEEZZNS1_14partition_implILS5_8ELb0ES3_jPlPS6_PKS6_NS0_5tupleIJS9_S6_EEENSD_IJSA_SA_EEENS0_18inequality_wrapperIZN2at6native12_GLOBAL__N_124unique_dim_cuda_templateIiEESt5tupleIJNSH_6TensorESM_SM_EERKSM_lbbbEUlllE0_EEPmJS6_EEE10hipError_tPvRmT3_T4_T5_T6_T7_T9_mT8_P12ihipStream_tbDpT10_ENKUlT_T0_E_clISt17integral_constantIbLb0EES1C_EEDaS17_S18_EUlS17_E_NS1_11comp_targetILNS1_3genE9ELNS1_11target_archE1100ELNS1_3gpuE3ELNS1_3repE0EEENS1_30default_config_static_selectorELNS0_4arch9wavefront6targetE1EEEvT1_,"axG",@progbits,_ZN7rocprim17ROCPRIM_400000_NS6detail17trampoline_kernelINS0_14default_configENS1_25partition_config_selectorILNS1_17partition_subalgoE8ElNS0_10empty_typeEbEEZZNS1_14partition_implILS5_8ELb0ES3_jPlPS6_PKS6_NS0_5tupleIJS9_S6_EEENSD_IJSA_SA_EEENS0_18inequality_wrapperIZN2at6native12_GLOBAL__N_124unique_dim_cuda_templateIiEESt5tupleIJNSH_6TensorESM_SM_EERKSM_lbbbEUlllE0_EEPmJS6_EEE10hipError_tPvRmT3_T4_T5_T6_T7_T9_mT8_P12ihipStream_tbDpT10_ENKUlT_T0_E_clISt17integral_constantIbLb0EES1C_EEDaS17_S18_EUlS17_E_NS1_11comp_targetILNS1_3genE9ELNS1_11target_archE1100ELNS1_3gpuE3ELNS1_3repE0EEENS1_30default_config_static_selectorELNS0_4arch9wavefront6targetE1EEEvT1_,comdat
.Lfunc_end447:
	.size	_ZN7rocprim17ROCPRIM_400000_NS6detail17trampoline_kernelINS0_14default_configENS1_25partition_config_selectorILNS1_17partition_subalgoE8ElNS0_10empty_typeEbEEZZNS1_14partition_implILS5_8ELb0ES3_jPlPS6_PKS6_NS0_5tupleIJS9_S6_EEENSD_IJSA_SA_EEENS0_18inequality_wrapperIZN2at6native12_GLOBAL__N_124unique_dim_cuda_templateIiEESt5tupleIJNSH_6TensorESM_SM_EERKSM_lbbbEUlllE0_EEPmJS6_EEE10hipError_tPvRmT3_T4_T5_T6_T7_T9_mT8_P12ihipStream_tbDpT10_ENKUlT_T0_E_clISt17integral_constantIbLb0EES1C_EEDaS17_S18_EUlS17_E_NS1_11comp_targetILNS1_3genE9ELNS1_11target_archE1100ELNS1_3gpuE3ELNS1_3repE0EEENS1_30default_config_static_selectorELNS0_4arch9wavefront6targetE1EEEvT1_, .Lfunc_end447-_ZN7rocprim17ROCPRIM_400000_NS6detail17trampoline_kernelINS0_14default_configENS1_25partition_config_selectorILNS1_17partition_subalgoE8ElNS0_10empty_typeEbEEZZNS1_14partition_implILS5_8ELb0ES3_jPlPS6_PKS6_NS0_5tupleIJS9_S6_EEENSD_IJSA_SA_EEENS0_18inequality_wrapperIZN2at6native12_GLOBAL__N_124unique_dim_cuda_templateIiEESt5tupleIJNSH_6TensorESM_SM_EERKSM_lbbbEUlllE0_EEPmJS6_EEE10hipError_tPvRmT3_T4_T5_T6_T7_T9_mT8_P12ihipStream_tbDpT10_ENKUlT_T0_E_clISt17integral_constantIbLb0EES1C_EEDaS17_S18_EUlS17_E_NS1_11comp_targetILNS1_3genE9ELNS1_11target_archE1100ELNS1_3gpuE3ELNS1_3repE0EEENS1_30default_config_static_selectorELNS0_4arch9wavefront6targetE1EEEvT1_
                                        ; -- End function
	.set _ZN7rocprim17ROCPRIM_400000_NS6detail17trampoline_kernelINS0_14default_configENS1_25partition_config_selectorILNS1_17partition_subalgoE8ElNS0_10empty_typeEbEEZZNS1_14partition_implILS5_8ELb0ES3_jPlPS6_PKS6_NS0_5tupleIJS9_S6_EEENSD_IJSA_SA_EEENS0_18inequality_wrapperIZN2at6native12_GLOBAL__N_124unique_dim_cuda_templateIiEESt5tupleIJNSH_6TensorESM_SM_EERKSM_lbbbEUlllE0_EEPmJS6_EEE10hipError_tPvRmT3_T4_T5_T6_T7_T9_mT8_P12ihipStream_tbDpT10_ENKUlT_T0_E_clISt17integral_constantIbLb0EES1C_EEDaS17_S18_EUlS17_E_NS1_11comp_targetILNS1_3genE9ELNS1_11target_archE1100ELNS1_3gpuE3ELNS1_3repE0EEENS1_30default_config_static_selectorELNS0_4arch9wavefront6targetE1EEEvT1_.num_vgpr, 0
	.set _ZN7rocprim17ROCPRIM_400000_NS6detail17trampoline_kernelINS0_14default_configENS1_25partition_config_selectorILNS1_17partition_subalgoE8ElNS0_10empty_typeEbEEZZNS1_14partition_implILS5_8ELb0ES3_jPlPS6_PKS6_NS0_5tupleIJS9_S6_EEENSD_IJSA_SA_EEENS0_18inequality_wrapperIZN2at6native12_GLOBAL__N_124unique_dim_cuda_templateIiEESt5tupleIJNSH_6TensorESM_SM_EERKSM_lbbbEUlllE0_EEPmJS6_EEE10hipError_tPvRmT3_T4_T5_T6_T7_T9_mT8_P12ihipStream_tbDpT10_ENKUlT_T0_E_clISt17integral_constantIbLb0EES1C_EEDaS17_S18_EUlS17_E_NS1_11comp_targetILNS1_3genE9ELNS1_11target_archE1100ELNS1_3gpuE3ELNS1_3repE0EEENS1_30default_config_static_selectorELNS0_4arch9wavefront6targetE1EEEvT1_.num_agpr, 0
	.set _ZN7rocprim17ROCPRIM_400000_NS6detail17trampoline_kernelINS0_14default_configENS1_25partition_config_selectorILNS1_17partition_subalgoE8ElNS0_10empty_typeEbEEZZNS1_14partition_implILS5_8ELb0ES3_jPlPS6_PKS6_NS0_5tupleIJS9_S6_EEENSD_IJSA_SA_EEENS0_18inequality_wrapperIZN2at6native12_GLOBAL__N_124unique_dim_cuda_templateIiEESt5tupleIJNSH_6TensorESM_SM_EERKSM_lbbbEUlllE0_EEPmJS6_EEE10hipError_tPvRmT3_T4_T5_T6_T7_T9_mT8_P12ihipStream_tbDpT10_ENKUlT_T0_E_clISt17integral_constantIbLb0EES1C_EEDaS17_S18_EUlS17_E_NS1_11comp_targetILNS1_3genE9ELNS1_11target_archE1100ELNS1_3gpuE3ELNS1_3repE0EEENS1_30default_config_static_selectorELNS0_4arch9wavefront6targetE1EEEvT1_.numbered_sgpr, 0
	.set _ZN7rocprim17ROCPRIM_400000_NS6detail17trampoline_kernelINS0_14default_configENS1_25partition_config_selectorILNS1_17partition_subalgoE8ElNS0_10empty_typeEbEEZZNS1_14partition_implILS5_8ELb0ES3_jPlPS6_PKS6_NS0_5tupleIJS9_S6_EEENSD_IJSA_SA_EEENS0_18inequality_wrapperIZN2at6native12_GLOBAL__N_124unique_dim_cuda_templateIiEESt5tupleIJNSH_6TensorESM_SM_EERKSM_lbbbEUlllE0_EEPmJS6_EEE10hipError_tPvRmT3_T4_T5_T6_T7_T9_mT8_P12ihipStream_tbDpT10_ENKUlT_T0_E_clISt17integral_constantIbLb0EES1C_EEDaS17_S18_EUlS17_E_NS1_11comp_targetILNS1_3genE9ELNS1_11target_archE1100ELNS1_3gpuE3ELNS1_3repE0EEENS1_30default_config_static_selectorELNS0_4arch9wavefront6targetE1EEEvT1_.num_named_barrier, 0
	.set _ZN7rocprim17ROCPRIM_400000_NS6detail17trampoline_kernelINS0_14default_configENS1_25partition_config_selectorILNS1_17partition_subalgoE8ElNS0_10empty_typeEbEEZZNS1_14partition_implILS5_8ELb0ES3_jPlPS6_PKS6_NS0_5tupleIJS9_S6_EEENSD_IJSA_SA_EEENS0_18inequality_wrapperIZN2at6native12_GLOBAL__N_124unique_dim_cuda_templateIiEESt5tupleIJNSH_6TensorESM_SM_EERKSM_lbbbEUlllE0_EEPmJS6_EEE10hipError_tPvRmT3_T4_T5_T6_T7_T9_mT8_P12ihipStream_tbDpT10_ENKUlT_T0_E_clISt17integral_constantIbLb0EES1C_EEDaS17_S18_EUlS17_E_NS1_11comp_targetILNS1_3genE9ELNS1_11target_archE1100ELNS1_3gpuE3ELNS1_3repE0EEENS1_30default_config_static_selectorELNS0_4arch9wavefront6targetE1EEEvT1_.private_seg_size, 0
	.set _ZN7rocprim17ROCPRIM_400000_NS6detail17trampoline_kernelINS0_14default_configENS1_25partition_config_selectorILNS1_17partition_subalgoE8ElNS0_10empty_typeEbEEZZNS1_14partition_implILS5_8ELb0ES3_jPlPS6_PKS6_NS0_5tupleIJS9_S6_EEENSD_IJSA_SA_EEENS0_18inequality_wrapperIZN2at6native12_GLOBAL__N_124unique_dim_cuda_templateIiEESt5tupleIJNSH_6TensorESM_SM_EERKSM_lbbbEUlllE0_EEPmJS6_EEE10hipError_tPvRmT3_T4_T5_T6_T7_T9_mT8_P12ihipStream_tbDpT10_ENKUlT_T0_E_clISt17integral_constantIbLb0EES1C_EEDaS17_S18_EUlS17_E_NS1_11comp_targetILNS1_3genE9ELNS1_11target_archE1100ELNS1_3gpuE3ELNS1_3repE0EEENS1_30default_config_static_selectorELNS0_4arch9wavefront6targetE1EEEvT1_.uses_vcc, 0
	.set _ZN7rocprim17ROCPRIM_400000_NS6detail17trampoline_kernelINS0_14default_configENS1_25partition_config_selectorILNS1_17partition_subalgoE8ElNS0_10empty_typeEbEEZZNS1_14partition_implILS5_8ELb0ES3_jPlPS6_PKS6_NS0_5tupleIJS9_S6_EEENSD_IJSA_SA_EEENS0_18inequality_wrapperIZN2at6native12_GLOBAL__N_124unique_dim_cuda_templateIiEESt5tupleIJNSH_6TensorESM_SM_EERKSM_lbbbEUlllE0_EEPmJS6_EEE10hipError_tPvRmT3_T4_T5_T6_T7_T9_mT8_P12ihipStream_tbDpT10_ENKUlT_T0_E_clISt17integral_constantIbLb0EES1C_EEDaS17_S18_EUlS17_E_NS1_11comp_targetILNS1_3genE9ELNS1_11target_archE1100ELNS1_3gpuE3ELNS1_3repE0EEENS1_30default_config_static_selectorELNS0_4arch9wavefront6targetE1EEEvT1_.uses_flat_scratch, 0
	.set _ZN7rocprim17ROCPRIM_400000_NS6detail17trampoline_kernelINS0_14default_configENS1_25partition_config_selectorILNS1_17partition_subalgoE8ElNS0_10empty_typeEbEEZZNS1_14partition_implILS5_8ELb0ES3_jPlPS6_PKS6_NS0_5tupleIJS9_S6_EEENSD_IJSA_SA_EEENS0_18inequality_wrapperIZN2at6native12_GLOBAL__N_124unique_dim_cuda_templateIiEESt5tupleIJNSH_6TensorESM_SM_EERKSM_lbbbEUlllE0_EEPmJS6_EEE10hipError_tPvRmT3_T4_T5_T6_T7_T9_mT8_P12ihipStream_tbDpT10_ENKUlT_T0_E_clISt17integral_constantIbLb0EES1C_EEDaS17_S18_EUlS17_E_NS1_11comp_targetILNS1_3genE9ELNS1_11target_archE1100ELNS1_3gpuE3ELNS1_3repE0EEENS1_30default_config_static_selectorELNS0_4arch9wavefront6targetE1EEEvT1_.has_dyn_sized_stack, 0
	.set _ZN7rocprim17ROCPRIM_400000_NS6detail17trampoline_kernelINS0_14default_configENS1_25partition_config_selectorILNS1_17partition_subalgoE8ElNS0_10empty_typeEbEEZZNS1_14partition_implILS5_8ELb0ES3_jPlPS6_PKS6_NS0_5tupleIJS9_S6_EEENSD_IJSA_SA_EEENS0_18inequality_wrapperIZN2at6native12_GLOBAL__N_124unique_dim_cuda_templateIiEESt5tupleIJNSH_6TensorESM_SM_EERKSM_lbbbEUlllE0_EEPmJS6_EEE10hipError_tPvRmT3_T4_T5_T6_T7_T9_mT8_P12ihipStream_tbDpT10_ENKUlT_T0_E_clISt17integral_constantIbLb0EES1C_EEDaS17_S18_EUlS17_E_NS1_11comp_targetILNS1_3genE9ELNS1_11target_archE1100ELNS1_3gpuE3ELNS1_3repE0EEENS1_30default_config_static_selectorELNS0_4arch9wavefront6targetE1EEEvT1_.has_recursion, 0
	.set _ZN7rocprim17ROCPRIM_400000_NS6detail17trampoline_kernelINS0_14default_configENS1_25partition_config_selectorILNS1_17partition_subalgoE8ElNS0_10empty_typeEbEEZZNS1_14partition_implILS5_8ELb0ES3_jPlPS6_PKS6_NS0_5tupleIJS9_S6_EEENSD_IJSA_SA_EEENS0_18inequality_wrapperIZN2at6native12_GLOBAL__N_124unique_dim_cuda_templateIiEESt5tupleIJNSH_6TensorESM_SM_EERKSM_lbbbEUlllE0_EEPmJS6_EEE10hipError_tPvRmT3_T4_T5_T6_T7_T9_mT8_P12ihipStream_tbDpT10_ENKUlT_T0_E_clISt17integral_constantIbLb0EES1C_EEDaS17_S18_EUlS17_E_NS1_11comp_targetILNS1_3genE9ELNS1_11target_archE1100ELNS1_3gpuE3ELNS1_3repE0EEENS1_30default_config_static_selectorELNS0_4arch9wavefront6targetE1EEEvT1_.has_indirect_call, 0
	.section	.AMDGPU.csdata,"",@progbits
; Kernel info:
; codeLenInByte = 0
; TotalNumSgprs: 6
; NumVgprs: 0
; NumAgprs: 0
; TotalNumVgprs: 0
; ScratchSize: 0
; MemoryBound: 0
; FloatMode: 240
; IeeeMode: 1
; LDSByteSize: 0 bytes/workgroup (compile time only)
; SGPRBlocks: 0
; VGPRBlocks: 0
; NumSGPRsForWavesPerEU: 6
; NumVGPRsForWavesPerEU: 1
; AccumOffset: 4
; Occupancy: 8
; WaveLimiterHint : 0
; COMPUTE_PGM_RSRC2:SCRATCH_EN: 0
; COMPUTE_PGM_RSRC2:USER_SGPR: 2
; COMPUTE_PGM_RSRC2:TRAP_HANDLER: 0
; COMPUTE_PGM_RSRC2:TGID_X_EN: 1
; COMPUTE_PGM_RSRC2:TGID_Y_EN: 0
; COMPUTE_PGM_RSRC2:TGID_Z_EN: 0
; COMPUTE_PGM_RSRC2:TIDIG_COMP_CNT: 0
; COMPUTE_PGM_RSRC3_GFX90A:ACCUM_OFFSET: 0
; COMPUTE_PGM_RSRC3_GFX90A:TG_SPLIT: 0
	.section	.text._ZN7rocprim17ROCPRIM_400000_NS6detail17trampoline_kernelINS0_14default_configENS1_25partition_config_selectorILNS1_17partition_subalgoE8ElNS0_10empty_typeEbEEZZNS1_14partition_implILS5_8ELb0ES3_jPlPS6_PKS6_NS0_5tupleIJS9_S6_EEENSD_IJSA_SA_EEENS0_18inequality_wrapperIZN2at6native12_GLOBAL__N_124unique_dim_cuda_templateIiEESt5tupleIJNSH_6TensorESM_SM_EERKSM_lbbbEUlllE0_EEPmJS6_EEE10hipError_tPvRmT3_T4_T5_T6_T7_T9_mT8_P12ihipStream_tbDpT10_ENKUlT_T0_E_clISt17integral_constantIbLb0EES1C_EEDaS17_S18_EUlS17_E_NS1_11comp_targetILNS1_3genE8ELNS1_11target_archE1030ELNS1_3gpuE2ELNS1_3repE0EEENS1_30default_config_static_selectorELNS0_4arch9wavefront6targetE1EEEvT1_,"axG",@progbits,_ZN7rocprim17ROCPRIM_400000_NS6detail17trampoline_kernelINS0_14default_configENS1_25partition_config_selectorILNS1_17partition_subalgoE8ElNS0_10empty_typeEbEEZZNS1_14partition_implILS5_8ELb0ES3_jPlPS6_PKS6_NS0_5tupleIJS9_S6_EEENSD_IJSA_SA_EEENS0_18inequality_wrapperIZN2at6native12_GLOBAL__N_124unique_dim_cuda_templateIiEESt5tupleIJNSH_6TensorESM_SM_EERKSM_lbbbEUlllE0_EEPmJS6_EEE10hipError_tPvRmT3_T4_T5_T6_T7_T9_mT8_P12ihipStream_tbDpT10_ENKUlT_T0_E_clISt17integral_constantIbLb0EES1C_EEDaS17_S18_EUlS17_E_NS1_11comp_targetILNS1_3genE8ELNS1_11target_archE1030ELNS1_3gpuE2ELNS1_3repE0EEENS1_30default_config_static_selectorELNS0_4arch9wavefront6targetE1EEEvT1_,comdat
	.globl	_ZN7rocprim17ROCPRIM_400000_NS6detail17trampoline_kernelINS0_14default_configENS1_25partition_config_selectorILNS1_17partition_subalgoE8ElNS0_10empty_typeEbEEZZNS1_14partition_implILS5_8ELb0ES3_jPlPS6_PKS6_NS0_5tupleIJS9_S6_EEENSD_IJSA_SA_EEENS0_18inequality_wrapperIZN2at6native12_GLOBAL__N_124unique_dim_cuda_templateIiEESt5tupleIJNSH_6TensorESM_SM_EERKSM_lbbbEUlllE0_EEPmJS6_EEE10hipError_tPvRmT3_T4_T5_T6_T7_T9_mT8_P12ihipStream_tbDpT10_ENKUlT_T0_E_clISt17integral_constantIbLb0EES1C_EEDaS17_S18_EUlS17_E_NS1_11comp_targetILNS1_3genE8ELNS1_11target_archE1030ELNS1_3gpuE2ELNS1_3repE0EEENS1_30default_config_static_selectorELNS0_4arch9wavefront6targetE1EEEvT1_ ; -- Begin function _ZN7rocprim17ROCPRIM_400000_NS6detail17trampoline_kernelINS0_14default_configENS1_25partition_config_selectorILNS1_17partition_subalgoE8ElNS0_10empty_typeEbEEZZNS1_14partition_implILS5_8ELb0ES3_jPlPS6_PKS6_NS0_5tupleIJS9_S6_EEENSD_IJSA_SA_EEENS0_18inequality_wrapperIZN2at6native12_GLOBAL__N_124unique_dim_cuda_templateIiEESt5tupleIJNSH_6TensorESM_SM_EERKSM_lbbbEUlllE0_EEPmJS6_EEE10hipError_tPvRmT3_T4_T5_T6_T7_T9_mT8_P12ihipStream_tbDpT10_ENKUlT_T0_E_clISt17integral_constantIbLb0EES1C_EEDaS17_S18_EUlS17_E_NS1_11comp_targetILNS1_3genE8ELNS1_11target_archE1030ELNS1_3gpuE2ELNS1_3repE0EEENS1_30default_config_static_selectorELNS0_4arch9wavefront6targetE1EEEvT1_
	.p2align	8
	.type	_ZN7rocprim17ROCPRIM_400000_NS6detail17trampoline_kernelINS0_14default_configENS1_25partition_config_selectorILNS1_17partition_subalgoE8ElNS0_10empty_typeEbEEZZNS1_14partition_implILS5_8ELb0ES3_jPlPS6_PKS6_NS0_5tupleIJS9_S6_EEENSD_IJSA_SA_EEENS0_18inequality_wrapperIZN2at6native12_GLOBAL__N_124unique_dim_cuda_templateIiEESt5tupleIJNSH_6TensorESM_SM_EERKSM_lbbbEUlllE0_EEPmJS6_EEE10hipError_tPvRmT3_T4_T5_T6_T7_T9_mT8_P12ihipStream_tbDpT10_ENKUlT_T0_E_clISt17integral_constantIbLb0EES1C_EEDaS17_S18_EUlS17_E_NS1_11comp_targetILNS1_3genE8ELNS1_11target_archE1030ELNS1_3gpuE2ELNS1_3repE0EEENS1_30default_config_static_selectorELNS0_4arch9wavefront6targetE1EEEvT1_,@function
_ZN7rocprim17ROCPRIM_400000_NS6detail17trampoline_kernelINS0_14default_configENS1_25partition_config_selectorILNS1_17partition_subalgoE8ElNS0_10empty_typeEbEEZZNS1_14partition_implILS5_8ELb0ES3_jPlPS6_PKS6_NS0_5tupleIJS9_S6_EEENSD_IJSA_SA_EEENS0_18inequality_wrapperIZN2at6native12_GLOBAL__N_124unique_dim_cuda_templateIiEESt5tupleIJNSH_6TensorESM_SM_EERKSM_lbbbEUlllE0_EEPmJS6_EEE10hipError_tPvRmT3_T4_T5_T6_T7_T9_mT8_P12ihipStream_tbDpT10_ENKUlT_T0_E_clISt17integral_constantIbLb0EES1C_EEDaS17_S18_EUlS17_E_NS1_11comp_targetILNS1_3genE8ELNS1_11target_archE1030ELNS1_3gpuE2ELNS1_3repE0EEENS1_30default_config_static_selectorELNS0_4arch9wavefront6targetE1EEEvT1_: ; @_ZN7rocprim17ROCPRIM_400000_NS6detail17trampoline_kernelINS0_14default_configENS1_25partition_config_selectorILNS1_17partition_subalgoE8ElNS0_10empty_typeEbEEZZNS1_14partition_implILS5_8ELb0ES3_jPlPS6_PKS6_NS0_5tupleIJS9_S6_EEENSD_IJSA_SA_EEENS0_18inequality_wrapperIZN2at6native12_GLOBAL__N_124unique_dim_cuda_templateIiEESt5tupleIJNSH_6TensorESM_SM_EERKSM_lbbbEUlllE0_EEPmJS6_EEE10hipError_tPvRmT3_T4_T5_T6_T7_T9_mT8_P12ihipStream_tbDpT10_ENKUlT_T0_E_clISt17integral_constantIbLb0EES1C_EEDaS17_S18_EUlS17_E_NS1_11comp_targetILNS1_3genE8ELNS1_11target_archE1030ELNS1_3gpuE2ELNS1_3repE0EEENS1_30default_config_static_selectorELNS0_4arch9wavefront6targetE1EEEvT1_
; %bb.0:
	.section	.rodata,"a",@progbits
	.p2align	6, 0x0
	.amdhsa_kernel _ZN7rocprim17ROCPRIM_400000_NS6detail17trampoline_kernelINS0_14default_configENS1_25partition_config_selectorILNS1_17partition_subalgoE8ElNS0_10empty_typeEbEEZZNS1_14partition_implILS5_8ELb0ES3_jPlPS6_PKS6_NS0_5tupleIJS9_S6_EEENSD_IJSA_SA_EEENS0_18inequality_wrapperIZN2at6native12_GLOBAL__N_124unique_dim_cuda_templateIiEESt5tupleIJNSH_6TensorESM_SM_EERKSM_lbbbEUlllE0_EEPmJS6_EEE10hipError_tPvRmT3_T4_T5_T6_T7_T9_mT8_P12ihipStream_tbDpT10_ENKUlT_T0_E_clISt17integral_constantIbLb0EES1C_EEDaS17_S18_EUlS17_E_NS1_11comp_targetILNS1_3genE8ELNS1_11target_archE1030ELNS1_3gpuE2ELNS1_3repE0EEENS1_30default_config_static_selectorELNS0_4arch9wavefront6targetE1EEEvT1_
		.amdhsa_group_segment_fixed_size 0
		.amdhsa_private_segment_fixed_size 0
		.amdhsa_kernarg_size 120
		.amdhsa_user_sgpr_count 2
		.amdhsa_user_sgpr_dispatch_ptr 0
		.amdhsa_user_sgpr_queue_ptr 0
		.amdhsa_user_sgpr_kernarg_segment_ptr 1
		.amdhsa_user_sgpr_dispatch_id 0
		.amdhsa_user_sgpr_kernarg_preload_length 0
		.amdhsa_user_sgpr_kernarg_preload_offset 0
		.amdhsa_user_sgpr_private_segment_size 0
		.amdhsa_uses_dynamic_stack 0
		.amdhsa_enable_private_segment 0
		.amdhsa_system_sgpr_workgroup_id_x 1
		.amdhsa_system_sgpr_workgroup_id_y 0
		.amdhsa_system_sgpr_workgroup_id_z 0
		.amdhsa_system_sgpr_workgroup_info 0
		.amdhsa_system_vgpr_workitem_id 0
		.amdhsa_next_free_vgpr 1
		.amdhsa_next_free_sgpr 0
		.amdhsa_accum_offset 4
		.amdhsa_reserve_vcc 0
		.amdhsa_float_round_mode_32 0
		.amdhsa_float_round_mode_16_64 0
		.amdhsa_float_denorm_mode_32 3
		.amdhsa_float_denorm_mode_16_64 3
		.amdhsa_dx10_clamp 1
		.amdhsa_ieee_mode 1
		.amdhsa_fp16_overflow 0
		.amdhsa_tg_split 0
		.amdhsa_exception_fp_ieee_invalid_op 0
		.amdhsa_exception_fp_denorm_src 0
		.amdhsa_exception_fp_ieee_div_zero 0
		.amdhsa_exception_fp_ieee_overflow 0
		.amdhsa_exception_fp_ieee_underflow 0
		.amdhsa_exception_fp_ieee_inexact 0
		.amdhsa_exception_int_div_zero 0
	.end_amdhsa_kernel
	.section	.text._ZN7rocprim17ROCPRIM_400000_NS6detail17trampoline_kernelINS0_14default_configENS1_25partition_config_selectorILNS1_17partition_subalgoE8ElNS0_10empty_typeEbEEZZNS1_14partition_implILS5_8ELb0ES3_jPlPS6_PKS6_NS0_5tupleIJS9_S6_EEENSD_IJSA_SA_EEENS0_18inequality_wrapperIZN2at6native12_GLOBAL__N_124unique_dim_cuda_templateIiEESt5tupleIJNSH_6TensorESM_SM_EERKSM_lbbbEUlllE0_EEPmJS6_EEE10hipError_tPvRmT3_T4_T5_T6_T7_T9_mT8_P12ihipStream_tbDpT10_ENKUlT_T0_E_clISt17integral_constantIbLb0EES1C_EEDaS17_S18_EUlS17_E_NS1_11comp_targetILNS1_3genE8ELNS1_11target_archE1030ELNS1_3gpuE2ELNS1_3repE0EEENS1_30default_config_static_selectorELNS0_4arch9wavefront6targetE1EEEvT1_,"axG",@progbits,_ZN7rocprim17ROCPRIM_400000_NS6detail17trampoline_kernelINS0_14default_configENS1_25partition_config_selectorILNS1_17partition_subalgoE8ElNS0_10empty_typeEbEEZZNS1_14partition_implILS5_8ELb0ES3_jPlPS6_PKS6_NS0_5tupleIJS9_S6_EEENSD_IJSA_SA_EEENS0_18inequality_wrapperIZN2at6native12_GLOBAL__N_124unique_dim_cuda_templateIiEESt5tupleIJNSH_6TensorESM_SM_EERKSM_lbbbEUlllE0_EEPmJS6_EEE10hipError_tPvRmT3_T4_T5_T6_T7_T9_mT8_P12ihipStream_tbDpT10_ENKUlT_T0_E_clISt17integral_constantIbLb0EES1C_EEDaS17_S18_EUlS17_E_NS1_11comp_targetILNS1_3genE8ELNS1_11target_archE1030ELNS1_3gpuE2ELNS1_3repE0EEENS1_30default_config_static_selectorELNS0_4arch9wavefront6targetE1EEEvT1_,comdat
.Lfunc_end448:
	.size	_ZN7rocprim17ROCPRIM_400000_NS6detail17trampoline_kernelINS0_14default_configENS1_25partition_config_selectorILNS1_17partition_subalgoE8ElNS0_10empty_typeEbEEZZNS1_14partition_implILS5_8ELb0ES3_jPlPS6_PKS6_NS0_5tupleIJS9_S6_EEENSD_IJSA_SA_EEENS0_18inequality_wrapperIZN2at6native12_GLOBAL__N_124unique_dim_cuda_templateIiEESt5tupleIJNSH_6TensorESM_SM_EERKSM_lbbbEUlllE0_EEPmJS6_EEE10hipError_tPvRmT3_T4_T5_T6_T7_T9_mT8_P12ihipStream_tbDpT10_ENKUlT_T0_E_clISt17integral_constantIbLb0EES1C_EEDaS17_S18_EUlS17_E_NS1_11comp_targetILNS1_3genE8ELNS1_11target_archE1030ELNS1_3gpuE2ELNS1_3repE0EEENS1_30default_config_static_selectorELNS0_4arch9wavefront6targetE1EEEvT1_, .Lfunc_end448-_ZN7rocprim17ROCPRIM_400000_NS6detail17trampoline_kernelINS0_14default_configENS1_25partition_config_selectorILNS1_17partition_subalgoE8ElNS0_10empty_typeEbEEZZNS1_14partition_implILS5_8ELb0ES3_jPlPS6_PKS6_NS0_5tupleIJS9_S6_EEENSD_IJSA_SA_EEENS0_18inequality_wrapperIZN2at6native12_GLOBAL__N_124unique_dim_cuda_templateIiEESt5tupleIJNSH_6TensorESM_SM_EERKSM_lbbbEUlllE0_EEPmJS6_EEE10hipError_tPvRmT3_T4_T5_T6_T7_T9_mT8_P12ihipStream_tbDpT10_ENKUlT_T0_E_clISt17integral_constantIbLb0EES1C_EEDaS17_S18_EUlS17_E_NS1_11comp_targetILNS1_3genE8ELNS1_11target_archE1030ELNS1_3gpuE2ELNS1_3repE0EEENS1_30default_config_static_selectorELNS0_4arch9wavefront6targetE1EEEvT1_
                                        ; -- End function
	.set _ZN7rocprim17ROCPRIM_400000_NS6detail17trampoline_kernelINS0_14default_configENS1_25partition_config_selectorILNS1_17partition_subalgoE8ElNS0_10empty_typeEbEEZZNS1_14partition_implILS5_8ELb0ES3_jPlPS6_PKS6_NS0_5tupleIJS9_S6_EEENSD_IJSA_SA_EEENS0_18inequality_wrapperIZN2at6native12_GLOBAL__N_124unique_dim_cuda_templateIiEESt5tupleIJNSH_6TensorESM_SM_EERKSM_lbbbEUlllE0_EEPmJS6_EEE10hipError_tPvRmT3_T4_T5_T6_T7_T9_mT8_P12ihipStream_tbDpT10_ENKUlT_T0_E_clISt17integral_constantIbLb0EES1C_EEDaS17_S18_EUlS17_E_NS1_11comp_targetILNS1_3genE8ELNS1_11target_archE1030ELNS1_3gpuE2ELNS1_3repE0EEENS1_30default_config_static_selectorELNS0_4arch9wavefront6targetE1EEEvT1_.num_vgpr, 0
	.set _ZN7rocprim17ROCPRIM_400000_NS6detail17trampoline_kernelINS0_14default_configENS1_25partition_config_selectorILNS1_17partition_subalgoE8ElNS0_10empty_typeEbEEZZNS1_14partition_implILS5_8ELb0ES3_jPlPS6_PKS6_NS0_5tupleIJS9_S6_EEENSD_IJSA_SA_EEENS0_18inequality_wrapperIZN2at6native12_GLOBAL__N_124unique_dim_cuda_templateIiEESt5tupleIJNSH_6TensorESM_SM_EERKSM_lbbbEUlllE0_EEPmJS6_EEE10hipError_tPvRmT3_T4_T5_T6_T7_T9_mT8_P12ihipStream_tbDpT10_ENKUlT_T0_E_clISt17integral_constantIbLb0EES1C_EEDaS17_S18_EUlS17_E_NS1_11comp_targetILNS1_3genE8ELNS1_11target_archE1030ELNS1_3gpuE2ELNS1_3repE0EEENS1_30default_config_static_selectorELNS0_4arch9wavefront6targetE1EEEvT1_.num_agpr, 0
	.set _ZN7rocprim17ROCPRIM_400000_NS6detail17trampoline_kernelINS0_14default_configENS1_25partition_config_selectorILNS1_17partition_subalgoE8ElNS0_10empty_typeEbEEZZNS1_14partition_implILS5_8ELb0ES3_jPlPS6_PKS6_NS0_5tupleIJS9_S6_EEENSD_IJSA_SA_EEENS0_18inequality_wrapperIZN2at6native12_GLOBAL__N_124unique_dim_cuda_templateIiEESt5tupleIJNSH_6TensorESM_SM_EERKSM_lbbbEUlllE0_EEPmJS6_EEE10hipError_tPvRmT3_T4_T5_T6_T7_T9_mT8_P12ihipStream_tbDpT10_ENKUlT_T0_E_clISt17integral_constantIbLb0EES1C_EEDaS17_S18_EUlS17_E_NS1_11comp_targetILNS1_3genE8ELNS1_11target_archE1030ELNS1_3gpuE2ELNS1_3repE0EEENS1_30default_config_static_selectorELNS0_4arch9wavefront6targetE1EEEvT1_.numbered_sgpr, 0
	.set _ZN7rocprim17ROCPRIM_400000_NS6detail17trampoline_kernelINS0_14default_configENS1_25partition_config_selectorILNS1_17partition_subalgoE8ElNS0_10empty_typeEbEEZZNS1_14partition_implILS5_8ELb0ES3_jPlPS6_PKS6_NS0_5tupleIJS9_S6_EEENSD_IJSA_SA_EEENS0_18inequality_wrapperIZN2at6native12_GLOBAL__N_124unique_dim_cuda_templateIiEESt5tupleIJNSH_6TensorESM_SM_EERKSM_lbbbEUlllE0_EEPmJS6_EEE10hipError_tPvRmT3_T4_T5_T6_T7_T9_mT8_P12ihipStream_tbDpT10_ENKUlT_T0_E_clISt17integral_constantIbLb0EES1C_EEDaS17_S18_EUlS17_E_NS1_11comp_targetILNS1_3genE8ELNS1_11target_archE1030ELNS1_3gpuE2ELNS1_3repE0EEENS1_30default_config_static_selectorELNS0_4arch9wavefront6targetE1EEEvT1_.num_named_barrier, 0
	.set _ZN7rocprim17ROCPRIM_400000_NS6detail17trampoline_kernelINS0_14default_configENS1_25partition_config_selectorILNS1_17partition_subalgoE8ElNS0_10empty_typeEbEEZZNS1_14partition_implILS5_8ELb0ES3_jPlPS6_PKS6_NS0_5tupleIJS9_S6_EEENSD_IJSA_SA_EEENS0_18inequality_wrapperIZN2at6native12_GLOBAL__N_124unique_dim_cuda_templateIiEESt5tupleIJNSH_6TensorESM_SM_EERKSM_lbbbEUlllE0_EEPmJS6_EEE10hipError_tPvRmT3_T4_T5_T6_T7_T9_mT8_P12ihipStream_tbDpT10_ENKUlT_T0_E_clISt17integral_constantIbLb0EES1C_EEDaS17_S18_EUlS17_E_NS1_11comp_targetILNS1_3genE8ELNS1_11target_archE1030ELNS1_3gpuE2ELNS1_3repE0EEENS1_30default_config_static_selectorELNS0_4arch9wavefront6targetE1EEEvT1_.private_seg_size, 0
	.set _ZN7rocprim17ROCPRIM_400000_NS6detail17trampoline_kernelINS0_14default_configENS1_25partition_config_selectorILNS1_17partition_subalgoE8ElNS0_10empty_typeEbEEZZNS1_14partition_implILS5_8ELb0ES3_jPlPS6_PKS6_NS0_5tupleIJS9_S6_EEENSD_IJSA_SA_EEENS0_18inequality_wrapperIZN2at6native12_GLOBAL__N_124unique_dim_cuda_templateIiEESt5tupleIJNSH_6TensorESM_SM_EERKSM_lbbbEUlllE0_EEPmJS6_EEE10hipError_tPvRmT3_T4_T5_T6_T7_T9_mT8_P12ihipStream_tbDpT10_ENKUlT_T0_E_clISt17integral_constantIbLb0EES1C_EEDaS17_S18_EUlS17_E_NS1_11comp_targetILNS1_3genE8ELNS1_11target_archE1030ELNS1_3gpuE2ELNS1_3repE0EEENS1_30default_config_static_selectorELNS0_4arch9wavefront6targetE1EEEvT1_.uses_vcc, 0
	.set _ZN7rocprim17ROCPRIM_400000_NS6detail17trampoline_kernelINS0_14default_configENS1_25partition_config_selectorILNS1_17partition_subalgoE8ElNS0_10empty_typeEbEEZZNS1_14partition_implILS5_8ELb0ES3_jPlPS6_PKS6_NS0_5tupleIJS9_S6_EEENSD_IJSA_SA_EEENS0_18inequality_wrapperIZN2at6native12_GLOBAL__N_124unique_dim_cuda_templateIiEESt5tupleIJNSH_6TensorESM_SM_EERKSM_lbbbEUlllE0_EEPmJS6_EEE10hipError_tPvRmT3_T4_T5_T6_T7_T9_mT8_P12ihipStream_tbDpT10_ENKUlT_T0_E_clISt17integral_constantIbLb0EES1C_EEDaS17_S18_EUlS17_E_NS1_11comp_targetILNS1_3genE8ELNS1_11target_archE1030ELNS1_3gpuE2ELNS1_3repE0EEENS1_30default_config_static_selectorELNS0_4arch9wavefront6targetE1EEEvT1_.uses_flat_scratch, 0
	.set _ZN7rocprim17ROCPRIM_400000_NS6detail17trampoline_kernelINS0_14default_configENS1_25partition_config_selectorILNS1_17partition_subalgoE8ElNS0_10empty_typeEbEEZZNS1_14partition_implILS5_8ELb0ES3_jPlPS6_PKS6_NS0_5tupleIJS9_S6_EEENSD_IJSA_SA_EEENS0_18inequality_wrapperIZN2at6native12_GLOBAL__N_124unique_dim_cuda_templateIiEESt5tupleIJNSH_6TensorESM_SM_EERKSM_lbbbEUlllE0_EEPmJS6_EEE10hipError_tPvRmT3_T4_T5_T6_T7_T9_mT8_P12ihipStream_tbDpT10_ENKUlT_T0_E_clISt17integral_constantIbLb0EES1C_EEDaS17_S18_EUlS17_E_NS1_11comp_targetILNS1_3genE8ELNS1_11target_archE1030ELNS1_3gpuE2ELNS1_3repE0EEENS1_30default_config_static_selectorELNS0_4arch9wavefront6targetE1EEEvT1_.has_dyn_sized_stack, 0
	.set _ZN7rocprim17ROCPRIM_400000_NS6detail17trampoline_kernelINS0_14default_configENS1_25partition_config_selectorILNS1_17partition_subalgoE8ElNS0_10empty_typeEbEEZZNS1_14partition_implILS5_8ELb0ES3_jPlPS6_PKS6_NS0_5tupleIJS9_S6_EEENSD_IJSA_SA_EEENS0_18inequality_wrapperIZN2at6native12_GLOBAL__N_124unique_dim_cuda_templateIiEESt5tupleIJNSH_6TensorESM_SM_EERKSM_lbbbEUlllE0_EEPmJS6_EEE10hipError_tPvRmT3_T4_T5_T6_T7_T9_mT8_P12ihipStream_tbDpT10_ENKUlT_T0_E_clISt17integral_constantIbLb0EES1C_EEDaS17_S18_EUlS17_E_NS1_11comp_targetILNS1_3genE8ELNS1_11target_archE1030ELNS1_3gpuE2ELNS1_3repE0EEENS1_30default_config_static_selectorELNS0_4arch9wavefront6targetE1EEEvT1_.has_recursion, 0
	.set _ZN7rocprim17ROCPRIM_400000_NS6detail17trampoline_kernelINS0_14default_configENS1_25partition_config_selectorILNS1_17partition_subalgoE8ElNS0_10empty_typeEbEEZZNS1_14partition_implILS5_8ELb0ES3_jPlPS6_PKS6_NS0_5tupleIJS9_S6_EEENSD_IJSA_SA_EEENS0_18inequality_wrapperIZN2at6native12_GLOBAL__N_124unique_dim_cuda_templateIiEESt5tupleIJNSH_6TensorESM_SM_EERKSM_lbbbEUlllE0_EEPmJS6_EEE10hipError_tPvRmT3_T4_T5_T6_T7_T9_mT8_P12ihipStream_tbDpT10_ENKUlT_T0_E_clISt17integral_constantIbLb0EES1C_EEDaS17_S18_EUlS17_E_NS1_11comp_targetILNS1_3genE8ELNS1_11target_archE1030ELNS1_3gpuE2ELNS1_3repE0EEENS1_30default_config_static_selectorELNS0_4arch9wavefront6targetE1EEEvT1_.has_indirect_call, 0
	.section	.AMDGPU.csdata,"",@progbits
; Kernel info:
; codeLenInByte = 0
; TotalNumSgprs: 6
; NumVgprs: 0
; NumAgprs: 0
; TotalNumVgprs: 0
; ScratchSize: 0
; MemoryBound: 0
; FloatMode: 240
; IeeeMode: 1
; LDSByteSize: 0 bytes/workgroup (compile time only)
; SGPRBlocks: 0
; VGPRBlocks: 0
; NumSGPRsForWavesPerEU: 6
; NumVGPRsForWavesPerEU: 1
; AccumOffset: 4
; Occupancy: 8
; WaveLimiterHint : 0
; COMPUTE_PGM_RSRC2:SCRATCH_EN: 0
; COMPUTE_PGM_RSRC2:USER_SGPR: 2
; COMPUTE_PGM_RSRC2:TRAP_HANDLER: 0
; COMPUTE_PGM_RSRC2:TGID_X_EN: 1
; COMPUTE_PGM_RSRC2:TGID_Y_EN: 0
; COMPUTE_PGM_RSRC2:TGID_Z_EN: 0
; COMPUTE_PGM_RSRC2:TIDIG_COMP_CNT: 0
; COMPUTE_PGM_RSRC3_GFX90A:ACCUM_OFFSET: 0
; COMPUTE_PGM_RSRC3_GFX90A:TG_SPLIT: 0
	.section	.text._ZN7rocprim17ROCPRIM_400000_NS6detail17trampoline_kernelINS0_14default_configENS1_25partition_config_selectorILNS1_17partition_subalgoE8ElNS0_10empty_typeEbEEZZNS1_14partition_implILS5_8ELb0ES3_jPlPS6_PKS6_NS0_5tupleIJS9_S6_EEENSD_IJSA_SA_EEENS0_18inequality_wrapperIZN2at6native12_GLOBAL__N_124unique_dim_cuda_templateIiEESt5tupleIJNSH_6TensorESM_SM_EERKSM_lbbbEUlllE0_EEPmJS6_EEE10hipError_tPvRmT3_T4_T5_T6_T7_T9_mT8_P12ihipStream_tbDpT10_ENKUlT_T0_E_clISt17integral_constantIbLb1EES1C_EEDaS17_S18_EUlS17_E_NS1_11comp_targetILNS1_3genE0ELNS1_11target_archE4294967295ELNS1_3gpuE0ELNS1_3repE0EEENS1_30default_config_static_selectorELNS0_4arch9wavefront6targetE1EEEvT1_,"axG",@progbits,_ZN7rocprim17ROCPRIM_400000_NS6detail17trampoline_kernelINS0_14default_configENS1_25partition_config_selectorILNS1_17partition_subalgoE8ElNS0_10empty_typeEbEEZZNS1_14partition_implILS5_8ELb0ES3_jPlPS6_PKS6_NS0_5tupleIJS9_S6_EEENSD_IJSA_SA_EEENS0_18inequality_wrapperIZN2at6native12_GLOBAL__N_124unique_dim_cuda_templateIiEESt5tupleIJNSH_6TensorESM_SM_EERKSM_lbbbEUlllE0_EEPmJS6_EEE10hipError_tPvRmT3_T4_T5_T6_T7_T9_mT8_P12ihipStream_tbDpT10_ENKUlT_T0_E_clISt17integral_constantIbLb1EES1C_EEDaS17_S18_EUlS17_E_NS1_11comp_targetILNS1_3genE0ELNS1_11target_archE4294967295ELNS1_3gpuE0ELNS1_3repE0EEENS1_30default_config_static_selectorELNS0_4arch9wavefront6targetE1EEEvT1_,comdat
	.globl	_ZN7rocprim17ROCPRIM_400000_NS6detail17trampoline_kernelINS0_14default_configENS1_25partition_config_selectorILNS1_17partition_subalgoE8ElNS0_10empty_typeEbEEZZNS1_14partition_implILS5_8ELb0ES3_jPlPS6_PKS6_NS0_5tupleIJS9_S6_EEENSD_IJSA_SA_EEENS0_18inequality_wrapperIZN2at6native12_GLOBAL__N_124unique_dim_cuda_templateIiEESt5tupleIJNSH_6TensorESM_SM_EERKSM_lbbbEUlllE0_EEPmJS6_EEE10hipError_tPvRmT3_T4_T5_T6_T7_T9_mT8_P12ihipStream_tbDpT10_ENKUlT_T0_E_clISt17integral_constantIbLb1EES1C_EEDaS17_S18_EUlS17_E_NS1_11comp_targetILNS1_3genE0ELNS1_11target_archE4294967295ELNS1_3gpuE0ELNS1_3repE0EEENS1_30default_config_static_selectorELNS0_4arch9wavefront6targetE1EEEvT1_ ; -- Begin function _ZN7rocprim17ROCPRIM_400000_NS6detail17trampoline_kernelINS0_14default_configENS1_25partition_config_selectorILNS1_17partition_subalgoE8ElNS0_10empty_typeEbEEZZNS1_14partition_implILS5_8ELb0ES3_jPlPS6_PKS6_NS0_5tupleIJS9_S6_EEENSD_IJSA_SA_EEENS0_18inequality_wrapperIZN2at6native12_GLOBAL__N_124unique_dim_cuda_templateIiEESt5tupleIJNSH_6TensorESM_SM_EERKSM_lbbbEUlllE0_EEPmJS6_EEE10hipError_tPvRmT3_T4_T5_T6_T7_T9_mT8_P12ihipStream_tbDpT10_ENKUlT_T0_E_clISt17integral_constantIbLb1EES1C_EEDaS17_S18_EUlS17_E_NS1_11comp_targetILNS1_3genE0ELNS1_11target_archE4294967295ELNS1_3gpuE0ELNS1_3repE0EEENS1_30default_config_static_selectorELNS0_4arch9wavefront6targetE1EEEvT1_
	.p2align	8
	.type	_ZN7rocprim17ROCPRIM_400000_NS6detail17trampoline_kernelINS0_14default_configENS1_25partition_config_selectorILNS1_17partition_subalgoE8ElNS0_10empty_typeEbEEZZNS1_14partition_implILS5_8ELb0ES3_jPlPS6_PKS6_NS0_5tupleIJS9_S6_EEENSD_IJSA_SA_EEENS0_18inequality_wrapperIZN2at6native12_GLOBAL__N_124unique_dim_cuda_templateIiEESt5tupleIJNSH_6TensorESM_SM_EERKSM_lbbbEUlllE0_EEPmJS6_EEE10hipError_tPvRmT3_T4_T5_T6_T7_T9_mT8_P12ihipStream_tbDpT10_ENKUlT_T0_E_clISt17integral_constantIbLb1EES1C_EEDaS17_S18_EUlS17_E_NS1_11comp_targetILNS1_3genE0ELNS1_11target_archE4294967295ELNS1_3gpuE0ELNS1_3repE0EEENS1_30default_config_static_selectorELNS0_4arch9wavefront6targetE1EEEvT1_,@function
_ZN7rocprim17ROCPRIM_400000_NS6detail17trampoline_kernelINS0_14default_configENS1_25partition_config_selectorILNS1_17partition_subalgoE8ElNS0_10empty_typeEbEEZZNS1_14partition_implILS5_8ELb0ES3_jPlPS6_PKS6_NS0_5tupleIJS9_S6_EEENSD_IJSA_SA_EEENS0_18inequality_wrapperIZN2at6native12_GLOBAL__N_124unique_dim_cuda_templateIiEESt5tupleIJNSH_6TensorESM_SM_EERKSM_lbbbEUlllE0_EEPmJS6_EEE10hipError_tPvRmT3_T4_T5_T6_T7_T9_mT8_P12ihipStream_tbDpT10_ENKUlT_T0_E_clISt17integral_constantIbLb1EES1C_EEDaS17_S18_EUlS17_E_NS1_11comp_targetILNS1_3genE0ELNS1_11target_archE4294967295ELNS1_3gpuE0ELNS1_3repE0EEENS1_30default_config_static_selectorELNS0_4arch9wavefront6targetE1EEEvT1_: ; @_ZN7rocprim17ROCPRIM_400000_NS6detail17trampoline_kernelINS0_14default_configENS1_25partition_config_selectorILNS1_17partition_subalgoE8ElNS0_10empty_typeEbEEZZNS1_14partition_implILS5_8ELb0ES3_jPlPS6_PKS6_NS0_5tupleIJS9_S6_EEENSD_IJSA_SA_EEENS0_18inequality_wrapperIZN2at6native12_GLOBAL__N_124unique_dim_cuda_templateIiEESt5tupleIJNSH_6TensorESM_SM_EERKSM_lbbbEUlllE0_EEPmJS6_EEE10hipError_tPvRmT3_T4_T5_T6_T7_T9_mT8_P12ihipStream_tbDpT10_ENKUlT_T0_E_clISt17integral_constantIbLb1EES1C_EEDaS17_S18_EUlS17_E_NS1_11comp_targetILNS1_3genE0ELNS1_11target_archE4294967295ELNS1_3gpuE0ELNS1_3repE0EEENS1_30default_config_static_selectorELNS0_4arch9wavefront6targetE1EEEvT1_
; %bb.0:
	s_endpgm
	.section	.rodata,"a",@progbits
	.p2align	6, 0x0
	.amdhsa_kernel _ZN7rocprim17ROCPRIM_400000_NS6detail17trampoline_kernelINS0_14default_configENS1_25partition_config_selectorILNS1_17partition_subalgoE8ElNS0_10empty_typeEbEEZZNS1_14partition_implILS5_8ELb0ES3_jPlPS6_PKS6_NS0_5tupleIJS9_S6_EEENSD_IJSA_SA_EEENS0_18inequality_wrapperIZN2at6native12_GLOBAL__N_124unique_dim_cuda_templateIiEESt5tupleIJNSH_6TensorESM_SM_EERKSM_lbbbEUlllE0_EEPmJS6_EEE10hipError_tPvRmT3_T4_T5_T6_T7_T9_mT8_P12ihipStream_tbDpT10_ENKUlT_T0_E_clISt17integral_constantIbLb1EES1C_EEDaS17_S18_EUlS17_E_NS1_11comp_targetILNS1_3genE0ELNS1_11target_archE4294967295ELNS1_3gpuE0ELNS1_3repE0EEENS1_30default_config_static_selectorELNS0_4arch9wavefront6targetE1EEEvT1_
		.amdhsa_group_segment_fixed_size 0
		.amdhsa_private_segment_fixed_size 0
		.amdhsa_kernarg_size 136
		.amdhsa_user_sgpr_count 2
		.amdhsa_user_sgpr_dispatch_ptr 0
		.amdhsa_user_sgpr_queue_ptr 0
		.amdhsa_user_sgpr_kernarg_segment_ptr 1
		.amdhsa_user_sgpr_dispatch_id 0
		.amdhsa_user_sgpr_kernarg_preload_length 0
		.amdhsa_user_sgpr_kernarg_preload_offset 0
		.amdhsa_user_sgpr_private_segment_size 0
		.amdhsa_uses_dynamic_stack 0
		.amdhsa_enable_private_segment 0
		.amdhsa_system_sgpr_workgroup_id_x 1
		.amdhsa_system_sgpr_workgroup_id_y 0
		.amdhsa_system_sgpr_workgroup_id_z 0
		.amdhsa_system_sgpr_workgroup_info 0
		.amdhsa_system_vgpr_workitem_id 0
		.amdhsa_next_free_vgpr 1
		.amdhsa_next_free_sgpr 0
		.amdhsa_accum_offset 4
		.amdhsa_reserve_vcc 0
		.amdhsa_float_round_mode_32 0
		.amdhsa_float_round_mode_16_64 0
		.amdhsa_float_denorm_mode_32 3
		.amdhsa_float_denorm_mode_16_64 3
		.amdhsa_dx10_clamp 1
		.amdhsa_ieee_mode 1
		.amdhsa_fp16_overflow 0
		.amdhsa_tg_split 0
		.amdhsa_exception_fp_ieee_invalid_op 0
		.amdhsa_exception_fp_denorm_src 0
		.amdhsa_exception_fp_ieee_div_zero 0
		.amdhsa_exception_fp_ieee_overflow 0
		.amdhsa_exception_fp_ieee_underflow 0
		.amdhsa_exception_fp_ieee_inexact 0
		.amdhsa_exception_int_div_zero 0
	.end_amdhsa_kernel
	.section	.text._ZN7rocprim17ROCPRIM_400000_NS6detail17trampoline_kernelINS0_14default_configENS1_25partition_config_selectorILNS1_17partition_subalgoE8ElNS0_10empty_typeEbEEZZNS1_14partition_implILS5_8ELb0ES3_jPlPS6_PKS6_NS0_5tupleIJS9_S6_EEENSD_IJSA_SA_EEENS0_18inequality_wrapperIZN2at6native12_GLOBAL__N_124unique_dim_cuda_templateIiEESt5tupleIJNSH_6TensorESM_SM_EERKSM_lbbbEUlllE0_EEPmJS6_EEE10hipError_tPvRmT3_T4_T5_T6_T7_T9_mT8_P12ihipStream_tbDpT10_ENKUlT_T0_E_clISt17integral_constantIbLb1EES1C_EEDaS17_S18_EUlS17_E_NS1_11comp_targetILNS1_3genE0ELNS1_11target_archE4294967295ELNS1_3gpuE0ELNS1_3repE0EEENS1_30default_config_static_selectorELNS0_4arch9wavefront6targetE1EEEvT1_,"axG",@progbits,_ZN7rocprim17ROCPRIM_400000_NS6detail17trampoline_kernelINS0_14default_configENS1_25partition_config_selectorILNS1_17partition_subalgoE8ElNS0_10empty_typeEbEEZZNS1_14partition_implILS5_8ELb0ES3_jPlPS6_PKS6_NS0_5tupleIJS9_S6_EEENSD_IJSA_SA_EEENS0_18inequality_wrapperIZN2at6native12_GLOBAL__N_124unique_dim_cuda_templateIiEESt5tupleIJNSH_6TensorESM_SM_EERKSM_lbbbEUlllE0_EEPmJS6_EEE10hipError_tPvRmT3_T4_T5_T6_T7_T9_mT8_P12ihipStream_tbDpT10_ENKUlT_T0_E_clISt17integral_constantIbLb1EES1C_EEDaS17_S18_EUlS17_E_NS1_11comp_targetILNS1_3genE0ELNS1_11target_archE4294967295ELNS1_3gpuE0ELNS1_3repE0EEENS1_30default_config_static_selectorELNS0_4arch9wavefront6targetE1EEEvT1_,comdat
.Lfunc_end449:
	.size	_ZN7rocprim17ROCPRIM_400000_NS6detail17trampoline_kernelINS0_14default_configENS1_25partition_config_selectorILNS1_17partition_subalgoE8ElNS0_10empty_typeEbEEZZNS1_14partition_implILS5_8ELb0ES3_jPlPS6_PKS6_NS0_5tupleIJS9_S6_EEENSD_IJSA_SA_EEENS0_18inequality_wrapperIZN2at6native12_GLOBAL__N_124unique_dim_cuda_templateIiEESt5tupleIJNSH_6TensorESM_SM_EERKSM_lbbbEUlllE0_EEPmJS6_EEE10hipError_tPvRmT3_T4_T5_T6_T7_T9_mT8_P12ihipStream_tbDpT10_ENKUlT_T0_E_clISt17integral_constantIbLb1EES1C_EEDaS17_S18_EUlS17_E_NS1_11comp_targetILNS1_3genE0ELNS1_11target_archE4294967295ELNS1_3gpuE0ELNS1_3repE0EEENS1_30default_config_static_selectorELNS0_4arch9wavefront6targetE1EEEvT1_, .Lfunc_end449-_ZN7rocprim17ROCPRIM_400000_NS6detail17trampoline_kernelINS0_14default_configENS1_25partition_config_selectorILNS1_17partition_subalgoE8ElNS0_10empty_typeEbEEZZNS1_14partition_implILS5_8ELb0ES3_jPlPS6_PKS6_NS0_5tupleIJS9_S6_EEENSD_IJSA_SA_EEENS0_18inequality_wrapperIZN2at6native12_GLOBAL__N_124unique_dim_cuda_templateIiEESt5tupleIJNSH_6TensorESM_SM_EERKSM_lbbbEUlllE0_EEPmJS6_EEE10hipError_tPvRmT3_T4_T5_T6_T7_T9_mT8_P12ihipStream_tbDpT10_ENKUlT_T0_E_clISt17integral_constantIbLb1EES1C_EEDaS17_S18_EUlS17_E_NS1_11comp_targetILNS1_3genE0ELNS1_11target_archE4294967295ELNS1_3gpuE0ELNS1_3repE0EEENS1_30default_config_static_selectorELNS0_4arch9wavefront6targetE1EEEvT1_
                                        ; -- End function
	.set _ZN7rocprim17ROCPRIM_400000_NS6detail17trampoline_kernelINS0_14default_configENS1_25partition_config_selectorILNS1_17partition_subalgoE8ElNS0_10empty_typeEbEEZZNS1_14partition_implILS5_8ELb0ES3_jPlPS6_PKS6_NS0_5tupleIJS9_S6_EEENSD_IJSA_SA_EEENS0_18inequality_wrapperIZN2at6native12_GLOBAL__N_124unique_dim_cuda_templateIiEESt5tupleIJNSH_6TensorESM_SM_EERKSM_lbbbEUlllE0_EEPmJS6_EEE10hipError_tPvRmT3_T4_T5_T6_T7_T9_mT8_P12ihipStream_tbDpT10_ENKUlT_T0_E_clISt17integral_constantIbLb1EES1C_EEDaS17_S18_EUlS17_E_NS1_11comp_targetILNS1_3genE0ELNS1_11target_archE4294967295ELNS1_3gpuE0ELNS1_3repE0EEENS1_30default_config_static_selectorELNS0_4arch9wavefront6targetE1EEEvT1_.num_vgpr, 0
	.set _ZN7rocprim17ROCPRIM_400000_NS6detail17trampoline_kernelINS0_14default_configENS1_25partition_config_selectorILNS1_17partition_subalgoE8ElNS0_10empty_typeEbEEZZNS1_14partition_implILS5_8ELb0ES3_jPlPS6_PKS6_NS0_5tupleIJS9_S6_EEENSD_IJSA_SA_EEENS0_18inequality_wrapperIZN2at6native12_GLOBAL__N_124unique_dim_cuda_templateIiEESt5tupleIJNSH_6TensorESM_SM_EERKSM_lbbbEUlllE0_EEPmJS6_EEE10hipError_tPvRmT3_T4_T5_T6_T7_T9_mT8_P12ihipStream_tbDpT10_ENKUlT_T0_E_clISt17integral_constantIbLb1EES1C_EEDaS17_S18_EUlS17_E_NS1_11comp_targetILNS1_3genE0ELNS1_11target_archE4294967295ELNS1_3gpuE0ELNS1_3repE0EEENS1_30default_config_static_selectorELNS0_4arch9wavefront6targetE1EEEvT1_.num_agpr, 0
	.set _ZN7rocprim17ROCPRIM_400000_NS6detail17trampoline_kernelINS0_14default_configENS1_25partition_config_selectorILNS1_17partition_subalgoE8ElNS0_10empty_typeEbEEZZNS1_14partition_implILS5_8ELb0ES3_jPlPS6_PKS6_NS0_5tupleIJS9_S6_EEENSD_IJSA_SA_EEENS0_18inequality_wrapperIZN2at6native12_GLOBAL__N_124unique_dim_cuda_templateIiEESt5tupleIJNSH_6TensorESM_SM_EERKSM_lbbbEUlllE0_EEPmJS6_EEE10hipError_tPvRmT3_T4_T5_T6_T7_T9_mT8_P12ihipStream_tbDpT10_ENKUlT_T0_E_clISt17integral_constantIbLb1EES1C_EEDaS17_S18_EUlS17_E_NS1_11comp_targetILNS1_3genE0ELNS1_11target_archE4294967295ELNS1_3gpuE0ELNS1_3repE0EEENS1_30default_config_static_selectorELNS0_4arch9wavefront6targetE1EEEvT1_.numbered_sgpr, 0
	.set _ZN7rocprim17ROCPRIM_400000_NS6detail17trampoline_kernelINS0_14default_configENS1_25partition_config_selectorILNS1_17partition_subalgoE8ElNS0_10empty_typeEbEEZZNS1_14partition_implILS5_8ELb0ES3_jPlPS6_PKS6_NS0_5tupleIJS9_S6_EEENSD_IJSA_SA_EEENS0_18inequality_wrapperIZN2at6native12_GLOBAL__N_124unique_dim_cuda_templateIiEESt5tupleIJNSH_6TensorESM_SM_EERKSM_lbbbEUlllE0_EEPmJS6_EEE10hipError_tPvRmT3_T4_T5_T6_T7_T9_mT8_P12ihipStream_tbDpT10_ENKUlT_T0_E_clISt17integral_constantIbLb1EES1C_EEDaS17_S18_EUlS17_E_NS1_11comp_targetILNS1_3genE0ELNS1_11target_archE4294967295ELNS1_3gpuE0ELNS1_3repE0EEENS1_30default_config_static_selectorELNS0_4arch9wavefront6targetE1EEEvT1_.num_named_barrier, 0
	.set _ZN7rocprim17ROCPRIM_400000_NS6detail17trampoline_kernelINS0_14default_configENS1_25partition_config_selectorILNS1_17partition_subalgoE8ElNS0_10empty_typeEbEEZZNS1_14partition_implILS5_8ELb0ES3_jPlPS6_PKS6_NS0_5tupleIJS9_S6_EEENSD_IJSA_SA_EEENS0_18inequality_wrapperIZN2at6native12_GLOBAL__N_124unique_dim_cuda_templateIiEESt5tupleIJNSH_6TensorESM_SM_EERKSM_lbbbEUlllE0_EEPmJS6_EEE10hipError_tPvRmT3_T4_T5_T6_T7_T9_mT8_P12ihipStream_tbDpT10_ENKUlT_T0_E_clISt17integral_constantIbLb1EES1C_EEDaS17_S18_EUlS17_E_NS1_11comp_targetILNS1_3genE0ELNS1_11target_archE4294967295ELNS1_3gpuE0ELNS1_3repE0EEENS1_30default_config_static_selectorELNS0_4arch9wavefront6targetE1EEEvT1_.private_seg_size, 0
	.set _ZN7rocprim17ROCPRIM_400000_NS6detail17trampoline_kernelINS0_14default_configENS1_25partition_config_selectorILNS1_17partition_subalgoE8ElNS0_10empty_typeEbEEZZNS1_14partition_implILS5_8ELb0ES3_jPlPS6_PKS6_NS0_5tupleIJS9_S6_EEENSD_IJSA_SA_EEENS0_18inequality_wrapperIZN2at6native12_GLOBAL__N_124unique_dim_cuda_templateIiEESt5tupleIJNSH_6TensorESM_SM_EERKSM_lbbbEUlllE0_EEPmJS6_EEE10hipError_tPvRmT3_T4_T5_T6_T7_T9_mT8_P12ihipStream_tbDpT10_ENKUlT_T0_E_clISt17integral_constantIbLb1EES1C_EEDaS17_S18_EUlS17_E_NS1_11comp_targetILNS1_3genE0ELNS1_11target_archE4294967295ELNS1_3gpuE0ELNS1_3repE0EEENS1_30default_config_static_selectorELNS0_4arch9wavefront6targetE1EEEvT1_.uses_vcc, 0
	.set _ZN7rocprim17ROCPRIM_400000_NS6detail17trampoline_kernelINS0_14default_configENS1_25partition_config_selectorILNS1_17partition_subalgoE8ElNS0_10empty_typeEbEEZZNS1_14partition_implILS5_8ELb0ES3_jPlPS6_PKS6_NS0_5tupleIJS9_S6_EEENSD_IJSA_SA_EEENS0_18inequality_wrapperIZN2at6native12_GLOBAL__N_124unique_dim_cuda_templateIiEESt5tupleIJNSH_6TensorESM_SM_EERKSM_lbbbEUlllE0_EEPmJS6_EEE10hipError_tPvRmT3_T4_T5_T6_T7_T9_mT8_P12ihipStream_tbDpT10_ENKUlT_T0_E_clISt17integral_constantIbLb1EES1C_EEDaS17_S18_EUlS17_E_NS1_11comp_targetILNS1_3genE0ELNS1_11target_archE4294967295ELNS1_3gpuE0ELNS1_3repE0EEENS1_30default_config_static_selectorELNS0_4arch9wavefront6targetE1EEEvT1_.uses_flat_scratch, 0
	.set _ZN7rocprim17ROCPRIM_400000_NS6detail17trampoline_kernelINS0_14default_configENS1_25partition_config_selectorILNS1_17partition_subalgoE8ElNS0_10empty_typeEbEEZZNS1_14partition_implILS5_8ELb0ES3_jPlPS6_PKS6_NS0_5tupleIJS9_S6_EEENSD_IJSA_SA_EEENS0_18inequality_wrapperIZN2at6native12_GLOBAL__N_124unique_dim_cuda_templateIiEESt5tupleIJNSH_6TensorESM_SM_EERKSM_lbbbEUlllE0_EEPmJS6_EEE10hipError_tPvRmT3_T4_T5_T6_T7_T9_mT8_P12ihipStream_tbDpT10_ENKUlT_T0_E_clISt17integral_constantIbLb1EES1C_EEDaS17_S18_EUlS17_E_NS1_11comp_targetILNS1_3genE0ELNS1_11target_archE4294967295ELNS1_3gpuE0ELNS1_3repE0EEENS1_30default_config_static_selectorELNS0_4arch9wavefront6targetE1EEEvT1_.has_dyn_sized_stack, 0
	.set _ZN7rocprim17ROCPRIM_400000_NS6detail17trampoline_kernelINS0_14default_configENS1_25partition_config_selectorILNS1_17partition_subalgoE8ElNS0_10empty_typeEbEEZZNS1_14partition_implILS5_8ELb0ES3_jPlPS6_PKS6_NS0_5tupleIJS9_S6_EEENSD_IJSA_SA_EEENS0_18inequality_wrapperIZN2at6native12_GLOBAL__N_124unique_dim_cuda_templateIiEESt5tupleIJNSH_6TensorESM_SM_EERKSM_lbbbEUlllE0_EEPmJS6_EEE10hipError_tPvRmT3_T4_T5_T6_T7_T9_mT8_P12ihipStream_tbDpT10_ENKUlT_T0_E_clISt17integral_constantIbLb1EES1C_EEDaS17_S18_EUlS17_E_NS1_11comp_targetILNS1_3genE0ELNS1_11target_archE4294967295ELNS1_3gpuE0ELNS1_3repE0EEENS1_30default_config_static_selectorELNS0_4arch9wavefront6targetE1EEEvT1_.has_recursion, 0
	.set _ZN7rocprim17ROCPRIM_400000_NS6detail17trampoline_kernelINS0_14default_configENS1_25partition_config_selectorILNS1_17partition_subalgoE8ElNS0_10empty_typeEbEEZZNS1_14partition_implILS5_8ELb0ES3_jPlPS6_PKS6_NS0_5tupleIJS9_S6_EEENSD_IJSA_SA_EEENS0_18inequality_wrapperIZN2at6native12_GLOBAL__N_124unique_dim_cuda_templateIiEESt5tupleIJNSH_6TensorESM_SM_EERKSM_lbbbEUlllE0_EEPmJS6_EEE10hipError_tPvRmT3_T4_T5_T6_T7_T9_mT8_P12ihipStream_tbDpT10_ENKUlT_T0_E_clISt17integral_constantIbLb1EES1C_EEDaS17_S18_EUlS17_E_NS1_11comp_targetILNS1_3genE0ELNS1_11target_archE4294967295ELNS1_3gpuE0ELNS1_3repE0EEENS1_30default_config_static_selectorELNS0_4arch9wavefront6targetE1EEEvT1_.has_indirect_call, 0
	.section	.AMDGPU.csdata,"",@progbits
; Kernel info:
; codeLenInByte = 4
; TotalNumSgprs: 6
; NumVgprs: 0
; NumAgprs: 0
; TotalNumVgprs: 0
; ScratchSize: 0
; MemoryBound: 0
; FloatMode: 240
; IeeeMode: 1
; LDSByteSize: 0 bytes/workgroup (compile time only)
; SGPRBlocks: 0
; VGPRBlocks: 0
; NumSGPRsForWavesPerEU: 6
; NumVGPRsForWavesPerEU: 1
; AccumOffset: 4
; Occupancy: 8
; WaveLimiterHint : 0
; COMPUTE_PGM_RSRC2:SCRATCH_EN: 0
; COMPUTE_PGM_RSRC2:USER_SGPR: 2
; COMPUTE_PGM_RSRC2:TRAP_HANDLER: 0
; COMPUTE_PGM_RSRC2:TGID_X_EN: 1
; COMPUTE_PGM_RSRC2:TGID_Y_EN: 0
; COMPUTE_PGM_RSRC2:TGID_Z_EN: 0
; COMPUTE_PGM_RSRC2:TIDIG_COMP_CNT: 0
; COMPUTE_PGM_RSRC3_GFX90A:ACCUM_OFFSET: 0
; COMPUTE_PGM_RSRC3_GFX90A:TG_SPLIT: 0
	.section	.text._ZN7rocprim17ROCPRIM_400000_NS6detail17trampoline_kernelINS0_14default_configENS1_25partition_config_selectorILNS1_17partition_subalgoE8ElNS0_10empty_typeEbEEZZNS1_14partition_implILS5_8ELb0ES3_jPlPS6_PKS6_NS0_5tupleIJS9_S6_EEENSD_IJSA_SA_EEENS0_18inequality_wrapperIZN2at6native12_GLOBAL__N_124unique_dim_cuda_templateIiEESt5tupleIJNSH_6TensorESM_SM_EERKSM_lbbbEUlllE0_EEPmJS6_EEE10hipError_tPvRmT3_T4_T5_T6_T7_T9_mT8_P12ihipStream_tbDpT10_ENKUlT_T0_E_clISt17integral_constantIbLb1EES1C_EEDaS17_S18_EUlS17_E_NS1_11comp_targetILNS1_3genE5ELNS1_11target_archE942ELNS1_3gpuE9ELNS1_3repE0EEENS1_30default_config_static_selectorELNS0_4arch9wavefront6targetE1EEEvT1_,"axG",@progbits,_ZN7rocprim17ROCPRIM_400000_NS6detail17trampoline_kernelINS0_14default_configENS1_25partition_config_selectorILNS1_17partition_subalgoE8ElNS0_10empty_typeEbEEZZNS1_14partition_implILS5_8ELb0ES3_jPlPS6_PKS6_NS0_5tupleIJS9_S6_EEENSD_IJSA_SA_EEENS0_18inequality_wrapperIZN2at6native12_GLOBAL__N_124unique_dim_cuda_templateIiEESt5tupleIJNSH_6TensorESM_SM_EERKSM_lbbbEUlllE0_EEPmJS6_EEE10hipError_tPvRmT3_T4_T5_T6_T7_T9_mT8_P12ihipStream_tbDpT10_ENKUlT_T0_E_clISt17integral_constantIbLb1EES1C_EEDaS17_S18_EUlS17_E_NS1_11comp_targetILNS1_3genE5ELNS1_11target_archE942ELNS1_3gpuE9ELNS1_3repE0EEENS1_30default_config_static_selectorELNS0_4arch9wavefront6targetE1EEEvT1_,comdat
	.globl	_ZN7rocprim17ROCPRIM_400000_NS6detail17trampoline_kernelINS0_14default_configENS1_25partition_config_selectorILNS1_17partition_subalgoE8ElNS0_10empty_typeEbEEZZNS1_14partition_implILS5_8ELb0ES3_jPlPS6_PKS6_NS0_5tupleIJS9_S6_EEENSD_IJSA_SA_EEENS0_18inequality_wrapperIZN2at6native12_GLOBAL__N_124unique_dim_cuda_templateIiEESt5tupleIJNSH_6TensorESM_SM_EERKSM_lbbbEUlllE0_EEPmJS6_EEE10hipError_tPvRmT3_T4_T5_T6_T7_T9_mT8_P12ihipStream_tbDpT10_ENKUlT_T0_E_clISt17integral_constantIbLb1EES1C_EEDaS17_S18_EUlS17_E_NS1_11comp_targetILNS1_3genE5ELNS1_11target_archE942ELNS1_3gpuE9ELNS1_3repE0EEENS1_30default_config_static_selectorELNS0_4arch9wavefront6targetE1EEEvT1_ ; -- Begin function _ZN7rocprim17ROCPRIM_400000_NS6detail17trampoline_kernelINS0_14default_configENS1_25partition_config_selectorILNS1_17partition_subalgoE8ElNS0_10empty_typeEbEEZZNS1_14partition_implILS5_8ELb0ES3_jPlPS6_PKS6_NS0_5tupleIJS9_S6_EEENSD_IJSA_SA_EEENS0_18inequality_wrapperIZN2at6native12_GLOBAL__N_124unique_dim_cuda_templateIiEESt5tupleIJNSH_6TensorESM_SM_EERKSM_lbbbEUlllE0_EEPmJS6_EEE10hipError_tPvRmT3_T4_T5_T6_T7_T9_mT8_P12ihipStream_tbDpT10_ENKUlT_T0_E_clISt17integral_constantIbLb1EES1C_EEDaS17_S18_EUlS17_E_NS1_11comp_targetILNS1_3genE5ELNS1_11target_archE942ELNS1_3gpuE9ELNS1_3repE0EEENS1_30default_config_static_selectorELNS0_4arch9wavefront6targetE1EEEvT1_
	.p2align	8
	.type	_ZN7rocprim17ROCPRIM_400000_NS6detail17trampoline_kernelINS0_14default_configENS1_25partition_config_selectorILNS1_17partition_subalgoE8ElNS0_10empty_typeEbEEZZNS1_14partition_implILS5_8ELb0ES3_jPlPS6_PKS6_NS0_5tupleIJS9_S6_EEENSD_IJSA_SA_EEENS0_18inequality_wrapperIZN2at6native12_GLOBAL__N_124unique_dim_cuda_templateIiEESt5tupleIJNSH_6TensorESM_SM_EERKSM_lbbbEUlllE0_EEPmJS6_EEE10hipError_tPvRmT3_T4_T5_T6_T7_T9_mT8_P12ihipStream_tbDpT10_ENKUlT_T0_E_clISt17integral_constantIbLb1EES1C_EEDaS17_S18_EUlS17_E_NS1_11comp_targetILNS1_3genE5ELNS1_11target_archE942ELNS1_3gpuE9ELNS1_3repE0EEENS1_30default_config_static_selectorELNS0_4arch9wavefront6targetE1EEEvT1_,@function
_ZN7rocprim17ROCPRIM_400000_NS6detail17trampoline_kernelINS0_14default_configENS1_25partition_config_selectorILNS1_17partition_subalgoE8ElNS0_10empty_typeEbEEZZNS1_14partition_implILS5_8ELb0ES3_jPlPS6_PKS6_NS0_5tupleIJS9_S6_EEENSD_IJSA_SA_EEENS0_18inequality_wrapperIZN2at6native12_GLOBAL__N_124unique_dim_cuda_templateIiEESt5tupleIJNSH_6TensorESM_SM_EERKSM_lbbbEUlllE0_EEPmJS6_EEE10hipError_tPvRmT3_T4_T5_T6_T7_T9_mT8_P12ihipStream_tbDpT10_ENKUlT_T0_E_clISt17integral_constantIbLb1EES1C_EEDaS17_S18_EUlS17_E_NS1_11comp_targetILNS1_3genE5ELNS1_11target_archE942ELNS1_3gpuE9ELNS1_3repE0EEENS1_30default_config_static_selectorELNS0_4arch9wavefront6targetE1EEEvT1_: ; @_ZN7rocprim17ROCPRIM_400000_NS6detail17trampoline_kernelINS0_14default_configENS1_25partition_config_selectorILNS1_17partition_subalgoE8ElNS0_10empty_typeEbEEZZNS1_14partition_implILS5_8ELb0ES3_jPlPS6_PKS6_NS0_5tupleIJS9_S6_EEENSD_IJSA_SA_EEENS0_18inequality_wrapperIZN2at6native12_GLOBAL__N_124unique_dim_cuda_templateIiEESt5tupleIJNSH_6TensorESM_SM_EERKSM_lbbbEUlllE0_EEPmJS6_EEE10hipError_tPvRmT3_T4_T5_T6_T7_T9_mT8_P12ihipStream_tbDpT10_ENKUlT_T0_E_clISt17integral_constantIbLb1EES1C_EEDaS17_S18_EUlS17_E_NS1_11comp_targetILNS1_3genE5ELNS1_11target_archE942ELNS1_3gpuE9ELNS1_3repE0EEENS1_30default_config_static_selectorELNS0_4arch9wavefront6targetE1EEEvT1_
; %bb.0:
	.section	.rodata,"a",@progbits
	.p2align	6, 0x0
	.amdhsa_kernel _ZN7rocprim17ROCPRIM_400000_NS6detail17trampoline_kernelINS0_14default_configENS1_25partition_config_selectorILNS1_17partition_subalgoE8ElNS0_10empty_typeEbEEZZNS1_14partition_implILS5_8ELb0ES3_jPlPS6_PKS6_NS0_5tupleIJS9_S6_EEENSD_IJSA_SA_EEENS0_18inequality_wrapperIZN2at6native12_GLOBAL__N_124unique_dim_cuda_templateIiEESt5tupleIJNSH_6TensorESM_SM_EERKSM_lbbbEUlllE0_EEPmJS6_EEE10hipError_tPvRmT3_T4_T5_T6_T7_T9_mT8_P12ihipStream_tbDpT10_ENKUlT_T0_E_clISt17integral_constantIbLb1EES1C_EEDaS17_S18_EUlS17_E_NS1_11comp_targetILNS1_3genE5ELNS1_11target_archE942ELNS1_3gpuE9ELNS1_3repE0EEENS1_30default_config_static_selectorELNS0_4arch9wavefront6targetE1EEEvT1_
		.amdhsa_group_segment_fixed_size 0
		.amdhsa_private_segment_fixed_size 0
		.amdhsa_kernarg_size 136
		.amdhsa_user_sgpr_count 2
		.amdhsa_user_sgpr_dispatch_ptr 0
		.amdhsa_user_sgpr_queue_ptr 0
		.amdhsa_user_sgpr_kernarg_segment_ptr 1
		.amdhsa_user_sgpr_dispatch_id 0
		.amdhsa_user_sgpr_kernarg_preload_length 0
		.amdhsa_user_sgpr_kernarg_preload_offset 0
		.amdhsa_user_sgpr_private_segment_size 0
		.amdhsa_uses_dynamic_stack 0
		.amdhsa_enable_private_segment 0
		.amdhsa_system_sgpr_workgroup_id_x 1
		.amdhsa_system_sgpr_workgroup_id_y 0
		.amdhsa_system_sgpr_workgroup_id_z 0
		.amdhsa_system_sgpr_workgroup_info 0
		.amdhsa_system_vgpr_workitem_id 0
		.amdhsa_next_free_vgpr 1
		.amdhsa_next_free_sgpr 0
		.amdhsa_accum_offset 4
		.amdhsa_reserve_vcc 0
		.amdhsa_float_round_mode_32 0
		.amdhsa_float_round_mode_16_64 0
		.amdhsa_float_denorm_mode_32 3
		.amdhsa_float_denorm_mode_16_64 3
		.amdhsa_dx10_clamp 1
		.amdhsa_ieee_mode 1
		.amdhsa_fp16_overflow 0
		.amdhsa_tg_split 0
		.amdhsa_exception_fp_ieee_invalid_op 0
		.amdhsa_exception_fp_denorm_src 0
		.amdhsa_exception_fp_ieee_div_zero 0
		.amdhsa_exception_fp_ieee_overflow 0
		.amdhsa_exception_fp_ieee_underflow 0
		.amdhsa_exception_fp_ieee_inexact 0
		.amdhsa_exception_int_div_zero 0
	.end_amdhsa_kernel
	.section	.text._ZN7rocprim17ROCPRIM_400000_NS6detail17trampoline_kernelINS0_14default_configENS1_25partition_config_selectorILNS1_17partition_subalgoE8ElNS0_10empty_typeEbEEZZNS1_14partition_implILS5_8ELb0ES3_jPlPS6_PKS6_NS0_5tupleIJS9_S6_EEENSD_IJSA_SA_EEENS0_18inequality_wrapperIZN2at6native12_GLOBAL__N_124unique_dim_cuda_templateIiEESt5tupleIJNSH_6TensorESM_SM_EERKSM_lbbbEUlllE0_EEPmJS6_EEE10hipError_tPvRmT3_T4_T5_T6_T7_T9_mT8_P12ihipStream_tbDpT10_ENKUlT_T0_E_clISt17integral_constantIbLb1EES1C_EEDaS17_S18_EUlS17_E_NS1_11comp_targetILNS1_3genE5ELNS1_11target_archE942ELNS1_3gpuE9ELNS1_3repE0EEENS1_30default_config_static_selectorELNS0_4arch9wavefront6targetE1EEEvT1_,"axG",@progbits,_ZN7rocprim17ROCPRIM_400000_NS6detail17trampoline_kernelINS0_14default_configENS1_25partition_config_selectorILNS1_17partition_subalgoE8ElNS0_10empty_typeEbEEZZNS1_14partition_implILS5_8ELb0ES3_jPlPS6_PKS6_NS0_5tupleIJS9_S6_EEENSD_IJSA_SA_EEENS0_18inequality_wrapperIZN2at6native12_GLOBAL__N_124unique_dim_cuda_templateIiEESt5tupleIJNSH_6TensorESM_SM_EERKSM_lbbbEUlllE0_EEPmJS6_EEE10hipError_tPvRmT3_T4_T5_T6_T7_T9_mT8_P12ihipStream_tbDpT10_ENKUlT_T0_E_clISt17integral_constantIbLb1EES1C_EEDaS17_S18_EUlS17_E_NS1_11comp_targetILNS1_3genE5ELNS1_11target_archE942ELNS1_3gpuE9ELNS1_3repE0EEENS1_30default_config_static_selectorELNS0_4arch9wavefront6targetE1EEEvT1_,comdat
.Lfunc_end450:
	.size	_ZN7rocprim17ROCPRIM_400000_NS6detail17trampoline_kernelINS0_14default_configENS1_25partition_config_selectorILNS1_17partition_subalgoE8ElNS0_10empty_typeEbEEZZNS1_14partition_implILS5_8ELb0ES3_jPlPS6_PKS6_NS0_5tupleIJS9_S6_EEENSD_IJSA_SA_EEENS0_18inequality_wrapperIZN2at6native12_GLOBAL__N_124unique_dim_cuda_templateIiEESt5tupleIJNSH_6TensorESM_SM_EERKSM_lbbbEUlllE0_EEPmJS6_EEE10hipError_tPvRmT3_T4_T5_T6_T7_T9_mT8_P12ihipStream_tbDpT10_ENKUlT_T0_E_clISt17integral_constantIbLb1EES1C_EEDaS17_S18_EUlS17_E_NS1_11comp_targetILNS1_3genE5ELNS1_11target_archE942ELNS1_3gpuE9ELNS1_3repE0EEENS1_30default_config_static_selectorELNS0_4arch9wavefront6targetE1EEEvT1_, .Lfunc_end450-_ZN7rocprim17ROCPRIM_400000_NS6detail17trampoline_kernelINS0_14default_configENS1_25partition_config_selectorILNS1_17partition_subalgoE8ElNS0_10empty_typeEbEEZZNS1_14partition_implILS5_8ELb0ES3_jPlPS6_PKS6_NS0_5tupleIJS9_S6_EEENSD_IJSA_SA_EEENS0_18inequality_wrapperIZN2at6native12_GLOBAL__N_124unique_dim_cuda_templateIiEESt5tupleIJNSH_6TensorESM_SM_EERKSM_lbbbEUlllE0_EEPmJS6_EEE10hipError_tPvRmT3_T4_T5_T6_T7_T9_mT8_P12ihipStream_tbDpT10_ENKUlT_T0_E_clISt17integral_constantIbLb1EES1C_EEDaS17_S18_EUlS17_E_NS1_11comp_targetILNS1_3genE5ELNS1_11target_archE942ELNS1_3gpuE9ELNS1_3repE0EEENS1_30default_config_static_selectorELNS0_4arch9wavefront6targetE1EEEvT1_
                                        ; -- End function
	.set _ZN7rocprim17ROCPRIM_400000_NS6detail17trampoline_kernelINS0_14default_configENS1_25partition_config_selectorILNS1_17partition_subalgoE8ElNS0_10empty_typeEbEEZZNS1_14partition_implILS5_8ELb0ES3_jPlPS6_PKS6_NS0_5tupleIJS9_S6_EEENSD_IJSA_SA_EEENS0_18inequality_wrapperIZN2at6native12_GLOBAL__N_124unique_dim_cuda_templateIiEESt5tupleIJNSH_6TensorESM_SM_EERKSM_lbbbEUlllE0_EEPmJS6_EEE10hipError_tPvRmT3_T4_T5_T6_T7_T9_mT8_P12ihipStream_tbDpT10_ENKUlT_T0_E_clISt17integral_constantIbLb1EES1C_EEDaS17_S18_EUlS17_E_NS1_11comp_targetILNS1_3genE5ELNS1_11target_archE942ELNS1_3gpuE9ELNS1_3repE0EEENS1_30default_config_static_selectorELNS0_4arch9wavefront6targetE1EEEvT1_.num_vgpr, 0
	.set _ZN7rocprim17ROCPRIM_400000_NS6detail17trampoline_kernelINS0_14default_configENS1_25partition_config_selectorILNS1_17partition_subalgoE8ElNS0_10empty_typeEbEEZZNS1_14partition_implILS5_8ELb0ES3_jPlPS6_PKS6_NS0_5tupleIJS9_S6_EEENSD_IJSA_SA_EEENS0_18inequality_wrapperIZN2at6native12_GLOBAL__N_124unique_dim_cuda_templateIiEESt5tupleIJNSH_6TensorESM_SM_EERKSM_lbbbEUlllE0_EEPmJS6_EEE10hipError_tPvRmT3_T4_T5_T6_T7_T9_mT8_P12ihipStream_tbDpT10_ENKUlT_T0_E_clISt17integral_constantIbLb1EES1C_EEDaS17_S18_EUlS17_E_NS1_11comp_targetILNS1_3genE5ELNS1_11target_archE942ELNS1_3gpuE9ELNS1_3repE0EEENS1_30default_config_static_selectorELNS0_4arch9wavefront6targetE1EEEvT1_.num_agpr, 0
	.set _ZN7rocprim17ROCPRIM_400000_NS6detail17trampoline_kernelINS0_14default_configENS1_25partition_config_selectorILNS1_17partition_subalgoE8ElNS0_10empty_typeEbEEZZNS1_14partition_implILS5_8ELb0ES3_jPlPS6_PKS6_NS0_5tupleIJS9_S6_EEENSD_IJSA_SA_EEENS0_18inequality_wrapperIZN2at6native12_GLOBAL__N_124unique_dim_cuda_templateIiEESt5tupleIJNSH_6TensorESM_SM_EERKSM_lbbbEUlllE0_EEPmJS6_EEE10hipError_tPvRmT3_T4_T5_T6_T7_T9_mT8_P12ihipStream_tbDpT10_ENKUlT_T0_E_clISt17integral_constantIbLb1EES1C_EEDaS17_S18_EUlS17_E_NS1_11comp_targetILNS1_3genE5ELNS1_11target_archE942ELNS1_3gpuE9ELNS1_3repE0EEENS1_30default_config_static_selectorELNS0_4arch9wavefront6targetE1EEEvT1_.numbered_sgpr, 0
	.set _ZN7rocprim17ROCPRIM_400000_NS6detail17trampoline_kernelINS0_14default_configENS1_25partition_config_selectorILNS1_17partition_subalgoE8ElNS0_10empty_typeEbEEZZNS1_14partition_implILS5_8ELb0ES3_jPlPS6_PKS6_NS0_5tupleIJS9_S6_EEENSD_IJSA_SA_EEENS0_18inequality_wrapperIZN2at6native12_GLOBAL__N_124unique_dim_cuda_templateIiEESt5tupleIJNSH_6TensorESM_SM_EERKSM_lbbbEUlllE0_EEPmJS6_EEE10hipError_tPvRmT3_T4_T5_T6_T7_T9_mT8_P12ihipStream_tbDpT10_ENKUlT_T0_E_clISt17integral_constantIbLb1EES1C_EEDaS17_S18_EUlS17_E_NS1_11comp_targetILNS1_3genE5ELNS1_11target_archE942ELNS1_3gpuE9ELNS1_3repE0EEENS1_30default_config_static_selectorELNS0_4arch9wavefront6targetE1EEEvT1_.num_named_barrier, 0
	.set _ZN7rocprim17ROCPRIM_400000_NS6detail17trampoline_kernelINS0_14default_configENS1_25partition_config_selectorILNS1_17partition_subalgoE8ElNS0_10empty_typeEbEEZZNS1_14partition_implILS5_8ELb0ES3_jPlPS6_PKS6_NS0_5tupleIJS9_S6_EEENSD_IJSA_SA_EEENS0_18inequality_wrapperIZN2at6native12_GLOBAL__N_124unique_dim_cuda_templateIiEESt5tupleIJNSH_6TensorESM_SM_EERKSM_lbbbEUlllE0_EEPmJS6_EEE10hipError_tPvRmT3_T4_T5_T6_T7_T9_mT8_P12ihipStream_tbDpT10_ENKUlT_T0_E_clISt17integral_constantIbLb1EES1C_EEDaS17_S18_EUlS17_E_NS1_11comp_targetILNS1_3genE5ELNS1_11target_archE942ELNS1_3gpuE9ELNS1_3repE0EEENS1_30default_config_static_selectorELNS0_4arch9wavefront6targetE1EEEvT1_.private_seg_size, 0
	.set _ZN7rocprim17ROCPRIM_400000_NS6detail17trampoline_kernelINS0_14default_configENS1_25partition_config_selectorILNS1_17partition_subalgoE8ElNS0_10empty_typeEbEEZZNS1_14partition_implILS5_8ELb0ES3_jPlPS6_PKS6_NS0_5tupleIJS9_S6_EEENSD_IJSA_SA_EEENS0_18inequality_wrapperIZN2at6native12_GLOBAL__N_124unique_dim_cuda_templateIiEESt5tupleIJNSH_6TensorESM_SM_EERKSM_lbbbEUlllE0_EEPmJS6_EEE10hipError_tPvRmT3_T4_T5_T6_T7_T9_mT8_P12ihipStream_tbDpT10_ENKUlT_T0_E_clISt17integral_constantIbLb1EES1C_EEDaS17_S18_EUlS17_E_NS1_11comp_targetILNS1_3genE5ELNS1_11target_archE942ELNS1_3gpuE9ELNS1_3repE0EEENS1_30default_config_static_selectorELNS0_4arch9wavefront6targetE1EEEvT1_.uses_vcc, 0
	.set _ZN7rocprim17ROCPRIM_400000_NS6detail17trampoline_kernelINS0_14default_configENS1_25partition_config_selectorILNS1_17partition_subalgoE8ElNS0_10empty_typeEbEEZZNS1_14partition_implILS5_8ELb0ES3_jPlPS6_PKS6_NS0_5tupleIJS9_S6_EEENSD_IJSA_SA_EEENS0_18inequality_wrapperIZN2at6native12_GLOBAL__N_124unique_dim_cuda_templateIiEESt5tupleIJNSH_6TensorESM_SM_EERKSM_lbbbEUlllE0_EEPmJS6_EEE10hipError_tPvRmT3_T4_T5_T6_T7_T9_mT8_P12ihipStream_tbDpT10_ENKUlT_T0_E_clISt17integral_constantIbLb1EES1C_EEDaS17_S18_EUlS17_E_NS1_11comp_targetILNS1_3genE5ELNS1_11target_archE942ELNS1_3gpuE9ELNS1_3repE0EEENS1_30default_config_static_selectorELNS0_4arch9wavefront6targetE1EEEvT1_.uses_flat_scratch, 0
	.set _ZN7rocprim17ROCPRIM_400000_NS6detail17trampoline_kernelINS0_14default_configENS1_25partition_config_selectorILNS1_17partition_subalgoE8ElNS0_10empty_typeEbEEZZNS1_14partition_implILS5_8ELb0ES3_jPlPS6_PKS6_NS0_5tupleIJS9_S6_EEENSD_IJSA_SA_EEENS0_18inequality_wrapperIZN2at6native12_GLOBAL__N_124unique_dim_cuda_templateIiEESt5tupleIJNSH_6TensorESM_SM_EERKSM_lbbbEUlllE0_EEPmJS6_EEE10hipError_tPvRmT3_T4_T5_T6_T7_T9_mT8_P12ihipStream_tbDpT10_ENKUlT_T0_E_clISt17integral_constantIbLb1EES1C_EEDaS17_S18_EUlS17_E_NS1_11comp_targetILNS1_3genE5ELNS1_11target_archE942ELNS1_3gpuE9ELNS1_3repE0EEENS1_30default_config_static_selectorELNS0_4arch9wavefront6targetE1EEEvT1_.has_dyn_sized_stack, 0
	.set _ZN7rocprim17ROCPRIM_400000_NS6detail17trampoline_kernelINS0_14default_configENS1_25partition_config_selectorILNS1_17partition_subalgoE8ElNS0_10empty_typeEbEEZZNS1_14partition_implILS5_8ELb0ES3_jPlPS6_PKS6_NS0_5tupleIJS9_S6_EEENSD_IJSA_SA_EEENS0_18inequality_wrapperIZN2at6native12_GLOBAL__N_124unique_dim_cuda_templateIiEESt5tupleIJNSH_6TensorESM_SM_EERKSM_lbbbEUlllE0_EEPmJS6_EEE10hipError_tPvRmT3_T4_T5_T6_T7_T9_mT8_P12ihipStream_tbDpT10_ENKUlT_T0_E_clISt17integral_constantIbLb1EES1C_EEDaS17_S18_EUlS17_E_NS1_11comp_targetILNS1_3genE5ELNS1_11target_archE942ELNS1_3gpuE9ELNS1_3repE0EEENS1_30default_config_static_selectorELNS0_4arch9wavefront6targetE1EEEvT1_.has_recursion, 0
	.set _ZN7rocprim17ROCPRIM_400000_NS6detail17trampoline_kernelINS0_14default_configENS1_25partition_config_selectorILNS1_17partition_subalgoE8ElNS0_10empty_typeEbEEZZNS1_14partition_implILS5_8ELb0ES3_jPlPS6_PKS6_NS0_5tupleIJS9_S6_EEENSD_IJSA_SA_EEENS0_18inequality_wrapperIZN2at6native12_GLOBAL__N_124unique_dim_cuda_templateIiEESt5tupleIJNSH_6TensorESM_SM_EERKSM_lbbbEUlllE0_EEPmJS6_EEE10hipError_tPvRmT3_T4_T5_T6_T7_T9_mT8_P12ihipStream_tbDpT10_ENKUlT_T0_E_clISt17integral_constantIbLb1EES1C_EEDaS17_S18_EUlS17_E_NS1_11comp_targetILNS1_3genE5ELNS1_11target_archE942ELNS1_3gpuE9ELNS1_3repE0EEENS1_30default_config_static_selectorELNS0_4arch9wavefront6targetE1EEEvT1_.has_indirect_call, 0
	.section	.AMDGPU.csdata,"",@progbits
; Kernel info:
; codeLenInByte = 0
; TotalNumSgprs: 6
; NumVgprs: 0
; NumAgprs: 0
; TotalNumVgprs: 0
; ScratchSize: 0
; MemoryBound: 0
; FloatMode: 240
; IeeeMode: 1
; LDSByteSize: 0 bytes/workgroup (compile time only)
; SGPRBlocks: 0
; VGPRBlocks: 0
; NumSGPRsForWavesPerEU: 6
; NumVGPRsForWavesPerEU: 1
; AccumOffset: 4
; Occupancy: 8
; WaveLimiterHint : 0
; COMPUTE_PGM_RSRC2:SCRATCH_EN: 0
; COMPUTE_PGM_RSRC2:USER_SGPR: 2
; COMPUTE_PGM_RSRC2:TRAP_HANDLER: 0
; COMPUTE_PGM_RSRC2:TGID_X_EN: 1
; COMPUTE_PGM_RSRC2:TGID_Y_EN: 0
; COMPUTE_PGM_RSRC2:TGID_Z_EN: 0
; COMPUTE_PGM_RSRC2:TIDIG_COMP_CNT: 0
; COMPUTE_PGM_RSRC3_GFX90A:ACCUM_OFFSET: 0
; COMPUTE_PGM_RSRC3_GFX90A:TG_SPLIT: 0
	.section	.text._ZN7rocprim17ROCPRIM_400000_NS6detail17trampoline_kernelINS0_14default_configENS1_25partition_config_selectorILNS1_17partition_subalgoE8ElNS0_10empty_typeEbEEZZNS1_14partition_implILS5_8ELb0ES3_jPlPS6_PKS6_NS0_5tupleIJS9_S6_EEENSD_IJSA_SA_EEENS0_18inequality_wrapperIZN2at6native12_GLOBAL__N_124unique_dim_cuda_templateIiEESt5tupleIJNSH_6TensorESM_SM_EERKSM_lbbbEUlllE0_EEPmJS6_EEE10hipError_tPvRmT3_T4_T5_T6_T7_T9_mT8_P12ihipStream_tbDpT10_ENKUlT_T0_E_clISt17integral_constantIbLb1EES1C_EEDaS17_S18_EUlS17_E_NS1_11comp_targetILNS1_3genE4ELNS1_11target_archE910ELNS1_3gpuE8ELNS1_3repE0EEENS1_30default_config_static_selectorELNS0_4arch9wavefront6targetE1EEEvT1_,"axG",@progbits,_ZN7rocprim17ROCPRIM_400000_NS6detail17trampoline_kernelINS0_14default_configENS1_25partition_config_selectorILNS1_17partition_subalgoE8ElNS0_10empty_typeEbEEZZNS1_14partition_implILS5_8ELb0ES3_jPlPS6_PKS6_NS0_5tupleIJS9_S6_EEENSD_IJSA_SA_EEENS0_18inequality_wrapperIZN2at6native12_GLOBAL__N_124unique_dim_cuda_templateIiEESt5tupleIJNSH_6TensorESM_SM_EERKSM_lbbbEUlllE0_EEPmJS6_EEE10hipError_tPvRmT3_T4_T5_T6_T7_T9_mT8_P12ihipStream_tbDpT10_ENKUlT_T0_E_clISt17integral_constantIbLb1EES1C_EEDaS17_S18_EUlS17_E_NS1_11comp_targetILNS1_3genE4ELNS1_11target_archE910ELNS1_3gpuE8ELNS1_3repE0EEENS1_30default_config_static_selectorELNS0_4arch9wavefront6targetE1EEEvT1_,comdat
	.globl	_ZN7rocprim17ROCPRIM_400000_NS6detail17trampoline_kernelINS0_14default_configENS1_25partition_config_selectorILNS1_17partition_subalgoE8ElNS0_10empty_typeEbEEZZNS1_14partition_implILS5_8ELb0ES3_jPlPS6_PKS6_NS0_5tupleIJS9_S6_EEENSD_IJSA_SA_EEENS0_18inequality_wrapperIZN2at6native12_GLOBAL__N_124unique_dim_cuda_templateIiEESt5tupleIJNSH_6TensorESM_SM_EERKSM_lbbbEUlllE0_EEPmJS6_EEE10hipError_tPvRmT3_T4_T5_T6_T7_T9_mT8_P12ihipStream_tbDpT10_ENKUlT_T0_E_clISt17integral_constantIbLb1EES1C_EEDaS17_S18_EUlS17_E_NS1_11comp_targetILNS1_3genE4ELNS1_11target_archE910ELNS1_3gpuE8ELNS1_3repE0EEENS1_30default_config_static_selectorELNS0_4arch9wavefront6targetE1EEEvT1_ ; -- Begin function _ZN7rocprim17ROCPRIM_400000_NS6detail17trampoline_kernelINS0_14default_configENS1_25partition_config_selectorILNS1_17partition_subalgoE8ElNS0_10empty_typeEbEEZZNS1_14partition_implILS5_8ELb0ES3_jPlPS6_PKS6_NS0_5tupleIJS9_S6_EEENSD_IJSA_SA_EEENS0_18inequality_wrapperIZN2at6native12_GLOBAL__N_124unique_dim_cuda_templateIiEESt5tupleIJNSH_6TensorESM_SM_EERKSM_lbbbEUlllE0_EEPmJS6_EEE10hipError_tPvRmT3_T4_T5_T6_T7_T9_mT8_P12ihipStream_tbDpT10_ENKUlT_T0_E_clISt17integral_constantIbLb1EES1C_EEDaS17_S18_EUlS17_E_NS1_11comp_targetILNS1_3genE4ELNS1_11target_archE910ELNS1_3gpuE8ELNS1_3repE0EEENS1_30default_config_static_selectorELNS0_4arch9wavefront6targetE1EEEvT1_
	.p2align	8
	.type	_ZN7rocprim17ROCPRIM_400000_NS6detail17trampoline_kernelINS0_14default_configENS1_25partition_config_selectorILNS1_17partition_subalgoE8ElNS0_10empty_typeEbEEZZNS1_14partition_implILS5_8ELb0ES3_jPlPS6_PKS6_NS0_5tupleIJS9_S6_EEENSD_IJSA_SA_EEENS0_18inequality_wrapperIZN2at6native12_GLOBAL__N_124unique_dim_cuda_templateIiEESt5tupleIJNSH_6TensorESM_SM_EERKSM_lbbbEUlllE0_EEPmJS6_EEE10hipError_tPvRmT3_T4_T5_T6_T7_T9_mT8_P12ihipStream_tbDpT10_ENKUlT_T0_E_clISt17integral_constantIbLb1EES1C_EEDaS17_S18_EUlS17_E_NS1_11comp_targetILNS1_3genE4ELNS1_11target_archE910ELNS1_3gpuE8ELNS1_3repE0EEENS1_30default_config_static_selectorELNS0_4arch9wavefront6targetE1EEEvT1_,@function
_ZN7rocprim17ROCPRIM_400000_NS6detail17trampoline_kernelINS0_14default_configENS1_25partition_config_selectorILNS1_17partition_subalgoE8ElNS0_10empty_typeEbEEZZNS1_14partition_implILS5_8ELb0ES3_jPlPS6_PKS6_NS0_5tupleIJS9_S6_EEENSD_IJSA_SA_EEENS0_18inequality_wrapperIZN2at6native12_GLOBAL__N_124unique_dim_cuda_templateIiEESt5tupleIJNSH_6TensorESM_SM_EERKSM_lbbbEUlllE0_EEPmJS6_EEE10hipError_tPvRmT3_T4_T5_T6_T7_T9_mT8_P12ihipStream_tbDpT10_ENKUlT_T0_E_clISt17integral_constantIbLb1EES1C_EEDaS17_S18_EUlS17_E_NS1_11comp_targetILNS1_3genE4ELNS1_11target_archE910ELNS1_3gpuE8ELNS1_3repE0EEENS1_30default_config_static_selectorELNS0_4arch9wavefront6targetE1EEEvT1_: ; @_ZN7rocprim17ROCPRIM_400000_NS6detail17trampoline_kernelINS0_14default_configENS1_25partition_config_selectorILNS1_17partition_subalgoE8ElNS0_10empty_typeEbEEZZNS1_14partition_implILS5_8ELb0ES3_jPlPS6_PKS6_NS0_5tupleIJS9_S6_EEENSD_IJSA_SA_EEENS0_18inequality_wrapperIZN2at6native12_GLOBAL__N_124unique_dim_cuda_templateIiEESt5tupleIJNSH_6TensorESM_SM_EERKSM_lbbbEUlllE0_EEPmJS6_EEE10hipError_tPvRmT3_T4_T5_T6_T7_T9_mT8_P12ihipStream_tbDpT10_ENKUlT_T0_E_clISt17integral_constantIbLb1EES1C_EEDaS17_S18_EUlS17_E_NS1_11comp_targetILNS1_3genE4ELNS1_11target_archE910ELNS1_3gpuE8ELNS1_3repE0EEENS1_30default_config_static_selectorELNS0_4arch9wavefront6targetE1EEEvT1_
; %bb.0:
	.section	.rodata,"a",@progbits
	.p2align	6, 0x0
	.amdhsa_kernel _ZN7rocprim17ROCPRIM_400000_NS6detail17trampoline_kernelINS0_14default_configENS1_25partition_config_selectorILNS1_17partition_subalgoE8ElNS0_10empty_typeEbEEZZNS1_14partition_implILS5_8ELb0ES3_jPlPS6_PKS6_NS0_5tupleIJS9_S6_EEENSD_IJSA_SA_EEENS0_18inequality_wrapperIZN2at6native12_GLOBAL__N_124unique_dim_cuda_templateIiEESt5tupleIJNSH_6TensorESM_SM_EERKSM_lbbbEUlllE0_EEPmJS6_EEE10hipError_tPvRmT3_T4_T5_T6_T7_T9_mT8_P12ihipStream_tbDpT10_ENKUlT_T0_E_clISt17integral_constantIbLb1EES1C_EEDaS17_S18_EUlS17_E_NS1_11comp_targetILNS1_3genE4ELNS1_11target_archE910ELNS1_3gpuE8ELNS1_3repE0EEENS1_30default_config_static_selectorELNS0_4arch9wavefront6targetE1EEEvT1_
		.amdhsa_group_segment_fixed_size 0
		.amdhsa_private_segment_fixed_size 0
		.amdhsa_kernarg_size 136
		.amdhsa_user_sgpr_count 2
		.amdhsa_user_sgpr_dispatch_ptr 0
		.amdhsa_user_sgpr_queue_ptr 0
		.amdhsa_user_sgpr_kernarg_segment_ptr 1
		.amdhsa_user_sgpr_dispatch_id 0
		.amdhsa_user_sgpr_kernarg_preload_length 0
		.amdhsa_user_sgpr_kernarg_preload_offset 0
		.amdhsa_user_sgpr_private_segment_size 0
		.amdhsa_uses_dynamic_stack 0
		.amdhsa_enable_private_segment 0
		.amdhsa_system_sgpr_workgroup_id_x 1
		.amdhsa_system_sgpr_workgroup_id_y 0
		.amdhsa_system_sgpr_workgroup_id_z 0
		.amdhsa_system_sgpr_workgroup_info 0
		.amdhsa_system_vgpr_workitem_id 0
		.amdhsa_next_free_vgpr 1
		.amdhsa_next_free_sgpr 0
		.amdhsa_accum_offset 4
		.amdhsa_reserve_vcc 0
		.amdhsa_float_round_mode_32 0
		.amdhsa_float_round_mode_16_64 0
		.amdhsa_float_denorm_mode_32 3
		.amdhsa_float_denorm_mode_16_64 3
		.amdhsa_dx10_clamp 1
		.amdhsa_ieee_mode 1
		.amdhsa_fp16_overflow 0
		.amdhsa_tg_split 0
		.amdhsa_exception_fp_ieee_invalid_op 0
		.amdhsa_exception_fp_denorm_src 0
		.amdhsa_exception_fp_ieee_div_zero 0
		.amdhsa_exception_fp_ieee_overflow 0
		.amdhsa_exception_fp_ieee_underflow 0
		.amdhsa_exception_fp_ieee_inexact 0
		.amdhsa_exception_int_div_zero 0
	.end_amdhsa_kernel
	.section	.text._ZN7rocprim17ROCPRIM_400000_NS6detail17trampoline_kernelINS0_14default_configENS1_25partition_config_selectorILNS1_17partition_subalgoE8ElNS0_10empty_typeEbEEZZNS1_14partition_implILS5_8ELb0ES3_jPlPS6_PKS6_NS0_5tupleIJS9_S6_EEENSD_IJSA_SA_EEENS0_18inequality_wrapperIZN2at6native12_GLOBAL__N_124unique_dim_cuda_templateIiEESt5tupleIJNSH_6TensorESM_SM_EERKSM_lbbbEUlllE0_EEPmJS6_EEE10hipError_tPvRmT3_T4_T5_T6_T7_T9_mT8_P12ihipStream_tbDpT10_ENKUlT_T0_E_clISt17integral_constantIbLb1EES1C_EEDaS17_S18_EUlS17_E_NS1_11comp_targetILNS1_3genE4ELNS1_11target_archE910ELNS1_3gpuE8ELNS1_3repE0EEENS1_30default_config_static_selectorELNS0_4arch9wavefront6targetE1EEEvT1_,"axG",@progbits,_ZN7rocprim17ROCPRIM_400000_NS6detail17trampoline_kernelINS0_14default_configENS1_25partition_config_selectorILNS1_17partition_subalgoE8ElNS0_10empty_typeEbEEZZNS1_14partition_implILS5_8ELb0ES3_jPlPS6_PKS6_NS0_5tupleIJS9_S6_EEENSD_IJSA_SA_EEENS0_18inequality_wrapperIZN2at6native12_GLOBAL__N_124unique_dim_cuda_templateIiEESt5tupleIJNSH_6TensorESM_SM_EERKSM_lbbbEUlllE0_EEPmJS6_EEE10hipError_tPvRmT3_T4_T5_T6_T7_T9_mT8_P12ihipStream_tbDpT10_ENKUlT_T0_E_clISt17integral_constantIbLb1EES1C_EEDaS17_S18_EUlS17_E_NS1_11comp_targetILNS1_3genE4ELNS1_11target_archE910ELNS1_3gpuE8ELNS1_3repE0EEENS1_30default_config_static_selectorELNS0_4arch9wavefront6targetE1EEEvT1_,comdat
.Lfunc_end451:
	.size	_ZN7rocprim17ROCPRIM_400000_NS6detail17trampoline_kernelINS0_14default_configENS1_25partition_config_selectorILNS1_17partition_subalgoE8ElNS0_10empty_typeEbEEZZNS1_14partition_implILS5_8ELb0ES3_jPlPS6_PKS6_NS0_5tupleIJS9_S6_EEENSD_IJSA_SA_EEENS0_18inequality_wrapperIZN2at6native12_GLOBAL__N_124unique_dim_cuda_templateIiEESt5tupleIJNSH_6TensorESM_SM_EERKSM_lbbbEUlllE0_EEPmJS6_EEE10hipError_tPvRmT3_T4_T5_T6_T7_T9_mT8_P12ihipStream_tbDpT10_ENKUlT_T0_E_clISt17integral_constantIbLb1EES1C_EEDaS17_S18_EUlS17_E_NS1_11comp_targetILNS1_3genE4ELNS1_11target_archE910ELNS1_3gpuE8ELNS1_3repE0EEENS1_30default_config_static_selectorELNS0_4arch9wavefront6targetE1EEEvT1_, .Lfunc_end451-_ZN7rocprim17ROCPRIM_400000_NS6detail17trampoline_kernelINS0_14default_configENS1_25partition_config_selectorILNS1_17partition_subalgoE8ElNS0_10empty_typeEbEEZZNS1_14partition_implILS5_8ELb0ES3_jPlPS6_PKS6_NS0_5tupleIJS9_S6_EEENSD_IJSA_SA_EEENS0_18inequality_wrapperIZN2at6native12_GLOBAL__N_124unique_dim_cuda_templateIiEESt5tupleIJNSH_6TensorESM_SM_EERKSM_lbbbEUlllE0_EEPmJS6_EEE10hipError_tPvRmT3_T4_T5_T6_T7_T9_mT8_P12ihipStream_tbDpT10_ENKUlT_T0_E_clISt17integral_constantIbLb1EES1C_EEDaS17_S18_EUlS17_E_NS1_11comp_targetILNS1_3genE4ELNS1_11target_archE910ELNS1_3gpuE8ELNS1_3repE0EEENS1_30default_config_static_selectorELNS0_4arch9wavefront6targetE1EEEvT1_
                                        ; -- End function
	.set _ZN7rocprim17ROCPRIM_400000_NS6detail17trampoline_kernelINS0_14default_configENS1_25partition_config_selectorILNS1_17partition_subalgoE8ElNS0_10empty_typeEbEEZZNS1_14partition_implILS5_8ELb0ES3_jPlPS6_PKS6_NS0_5tupleIJS9_S6_EEENSD_IJSA_SA_EEENS0_18inequality_wrapperIZN2at6native12_GLOBAL__N_124unique_dim_cuda_templateIiEESt5tupleIJNSH_6TensorESM_SM_EERKSM_lbbbEUlllE0_EEPmJS6_EEE10hipError_tPvRmT3_T4_T5_T6_T7_T9_mT8_P12ihipStream_tbDpT10_ENKUlT_T0_E_clISt17integral_constantIbLb1EES1C_EEDaS17_S18_EUlS17_E_NS1_11comp_targetILNS1_3genE4ELNS1_11target_archE910ELNS1_3gpuE8ELNS1_3repE0EEENS1_30default_config_static_selectorELNS0_4arch9wavefront6targetE1EEEvT1_.num_vgpr, 0
	.set _ZN7rocprim17ROCPRIM_400000_NS6detail17trampoline_kernelINS0_14default_configENS1_25partition_config_selectorILNS1_17partition_subalgoE8ElNS0_10empty_typeEbEEZZNS1_14partition_implILS5_8ELb0ES3_jPlPS6_PKS6_NS0_5tupleIJS9_S6_EEENSD_IJSA_SA_EEENS0_18inequality_wrapperIZN2at6native12_GLOBAL__N_124unique_dim_cuda_templateIiEESt5tupleIJNSH_6TensorESM_SM_EERKSM_lbbbEUlllE0_EEPmJS6_EEE10hipError_tPvRmT3_T4_T5_T6_T7_T9_mT8_P12ihipStream_tbDpT10_ENKUlT_T0_E_clISt17integral_constantIbLb1EES1C_EEDaS17_S18_EUlS17_E_NS1_11comp_targetILNS1_3genE4ELNS1_11target_archE910ELNS1_3gpuE8ELNS1_3repE0EEENS1_30default_config_static_selectorELNS0_4arch9wavefront6targetE1EEEvT1_.num_agpr, 0
	.set _ZN7rocprim17ROCPRIM_400000_NS6detail17trampoline_kernelINS0_14default_configENS1_25partition_config_selectorILNS1_17partition_subalgoE8ElNS0_10empty_typeEbEEZZNS1_14partition_implILS5_8ELb0ES3_jPlPS6_PKS6_NS0_5tupleIJS9_S6_EEENSD_IJSA_SA_EEENS0_18inequality_wrapperIZN2at6native12_GLOBAL__N_124unique_dim_cuda_templateIiEESt5tupleIJNSH_6TensorESM_SM_EERKSM_lbbbEUlllE0_EEPmJS6_EEE10hipError_tPvRmT3_T4_T5_T6_T7_T9_mT8_P12ihipStream_tbDpT10_ENKUlT_T0_E_clISt17integral_constantIbLb1EES1C_EEDaS17_S18_EUlS17_E_NS1_11comp_targetILNS1_3genE4ELNS1_11target_archE910ELNS1_3gpuE8ELNS1_3repE0EEENS1_30default_config_static_selectorELNS0_4arch9wavefront6targetE1EEEvT1_.numbered_sgpr, 0
	.set _ZN7rocprim17ROCPRIM_400000_NS6detail17trampoline_kernelINS0_14default_configENS1_25partition_config_selectorILNS1_17partition_subalgoE8ElNS0_10empty_typeEbEEZZNS1_14partition_implILS5_8ELb0ES3_jPlPS6_PKS6_NS0_5tupleIJS9_S6_EEENSD_IJSA_SA_EEENS0_18inequality_wrapperIZN2at6native12_GLOBAL__N_124unique_dim_cuda_templateIiEESt5tupleIJNSH_6TensorESM_SM_EERKSM_lbbbEUlllE0_EEPmJS6_EEE10hipError_tPvRmT3_T4_T5_T6_T7_T9_mT8_P12ihipStream_tbDpT10_ENKUlT_T0_E_clISt17integral_constantIbLb1EES1C_EEDaS17_S18_EUlS17_E_NS1_11comp_targetILNS1_3genE4ELNS1_11target_archE910ELNS1_3gpuE8ELNS1_3repE0EEENS1_30default_config_static_selectorELNS0_4arch9wavefront6targetE1EEEvT1_.num_named_barrier, 0
	.set _ZN7rocprim17ROCPRIM_400000_NS6detail17trampoline_kernelINS0_14default_configENS1_25partition_config_selectorILNS1_17partition_subalgoE8ElNS0_10empty_typeEbEEZZNS1_14partition_implILS5_8ELb0ES3_jPlPS6_PKS6_NS0_5tupleIJS9_S6_EEENSD_IJSA_SA_EEENS0_18inequality_wrapperIZN2at6native12_GLOBAL__N_124unique_dim_cuda_templateIiEESt5tupleIJNSH_6TensorESM_SM_EERKSM_lbbbEUlllE0_EEPmJS6_EEE10hipError_tPvRmT3_T4_T5_T6_T7_T9_mT8_P12ihipStream_tbDpT10_ENKUlT_T0_E_clISt17integral_constantIbLb1EES1C_EEDaS17_S18_EUlS17_E_NS1_11comp_targetILNS1_3genE4ELNS1_11target_archE910ELNS1_3gpuE8ELNS1_3repE0EEENS1_30default_config_static_selectorELNS0_4arch9wavefront6targetE1EEEvT1_.private_seg_size, 0
	.set _ZN7rocprim17ROCPRIM_400000_NS6detail17trampoline_kernelINS0_14default_configENS1_25partition_config_selectorILNS1_17partition_subalgoE8ElNS0_10empty_typeEbEEZZNS1_14partition_implILS5_8ELb0ES3_jPlPS6_PKS6_NS0_5tupleIJS9_S6_EEENSD_IJSA_SA_EEENS0_18inequality_wrapperIZN2at6native12_GLOBAL__N_124unique_dim_cuda_templateIiEESt5tupleIJNSH_6TensorESM_SM_EERKSM_lbbbEUlllE0_EEPmJS6_EEE10hipError_tPvRmT3_T4_T5_T6_T7_T9_mT8_P12ihipStream_tbDpT10_ENKUlT_T0_E_clISt17integral_constantIbLb1EES1C_EEDaS17_S18_EUlS17_E_NS1_11comp_targetILNS1_3genE4ELNS1_11target_archE910ELNS1_3gpuE8ELNS1_3repE0EEENS1_30default_config_static_selectorELNS0_4arch9wavefront6targetE1EEEvT1_.uses_vcc, 0
	.set _ZN7rocprim17ROCPRIM_400000_NS6detail17trampoline_kernelINS0_14default_configENS1_25partition_config_selectorILNS1_17partition_subalgoE8ElNS0_10empty_typeEbEEZZNS1_14partition_implILS5_8ELb0ES3_jPlPS6_PKS6_NS0_5tupleIJS9_S6_EEENSD_IJSA_SA_EEENS0_18inequality_wrapperIZN2at6native12_GLOBAL__N_124unique_dim_cuda_templateIiEESt5tupleIJNSH_6TensorESM_SM_EERKSM_lbbbEUlllE0_EEPmJS6_EEE10hipError_tPvRmT3_T4_T5_T6_T7_T9_mT8_P12ihipStream_tbDpT10_ENKUlT_T0_E_clISt17integral_constantIbLb1EES1C_EEDaS17_S18_EUlS17_E_NS1_11comp_targetILNS1_3genE4ELNS1_11target_archE910ELNS1_3gpuE8ELNS1_3repE0EEENS1_30default_config_static_selectorELNS0_4arch9wavefront6targetE1EEEvT1_.uses_flat_scratch, 0
	.set _ZN7rocprim17ROCPRIM_400000_NS6detail17trampoline_kernelINS0_14default_configENS1_25partition_config_selectorILNS1_17partition_subalgoE8ElNS0_10empty_typeEbEEZZNS1_14partition_implILS5_8ELb0ES3_jPlPS6_PKS6_NS0_5tupleIJS9_S6_EEENSD_IJSA_SA_EEENS0_18inequality_wrapperIZN2at6native12_GLOBAL__N_124unique_dim_cuda_templateIiEESt5tupleIJNSH_6TensorESM_SM_EERKSM_lbbbEUlllE0_EEPmJS6_EEE10hipError_tPvRmT3_T4_T5_T6_T7_T9_mT8_P12ihipStream_tbDpT10_ENKUlT_T0_E_clISt17integral_constantIbLb1EES1C_EEDaS17_S18_EUlS17_E_NS1_11comp_targetILNS1_3genE4ELNS1_11target_archE910ELNS1_3gpuE8ELNS1_3repE0EEENS1_30default_config_static_selectorELNS0_4arch9wavefront6targetE1EEEvT1_.has_dyn_sized_stack, 0
	.set _ZN7rocprim17ROCPRIM_400000_NS6detail17trampoline_kernelINS0_14default_configENS1_25partition_config_selectorILNS1_17partition_subalgoE8ElNS0_10empty_typeEbEEZZNS1_14partition_implILS5_8ELb0ES3_jPlPS6_PKS6_NS0_5tupleIJS9_S6_EEENSD_IJSA_SA_EEENS0_18inequality_wrapperIZN2at6native12_GLOBAL__N_124unique_dim_cuda_templateIiEESt5tupleIJNSH_6TensorESM_SM_EERKSM_lbbbEUlllE0_EEPmJS6_EEE10hipError_tPvRmT3_T4_T5_T6_T7_T9_mT8_P12ihipStream_tbDpT10_ENKUlT_T0_E_clISt17integral_constantIbLb1EES1C_EEDaS17_S18_EUlS17_E_NS1_11comp_targetILNS1_3genE4ELNS1_11target_archE910ELNS1_3gpuE8ELNS1_3repE0EEENS1_30default_config_static_selectorELNS0_4arch9wavefront6targetE1EEEvT1_.has_recursion, 0
	.set _ZN7rocprim17ROCPRIM_400000_NS6detail17trampoline_kernelINS0_14default_configENS1_25partition_config_selectorILNS1_17partition_subalgoE8ElNS0_10empty_typeEbEEZZNS1_14partition_implILS5_8ELb0ES3_jPlPS6_PKS6_NS0_5tupleIJS9_S6_EEENSD_IJSA_SA_EEENS0_18inequality_wrapperIZN2at6native12_GLOBAL__N_124unique_dim_cuda_templateIiEESt5tupleIJNSH_6TensorESM_SM_EERKSM_lbbbEUlllE0_EEPmJS6_EEE10hipError_tPvRmT3_T4_T5_T6_T7_T9_mT8_P12ihipStream_tbDpT10_ENKUlT_T0_E_clISt17integral_constantIbLb1EES1C_EEDaS17_S18_EUlS17_E_NS1_11comp_targetILNS1_3genE4ELNS1_11target_archE910ELNS1_3gpuE8ELNS1_3repE0EEENS1_30default_config_static_selectorELNS0_4arch9wavefront6targetE1EEEvT1_.has_indirect_call, 0
	.section	.AMDGPU.csdata,"",@progbits
; Kernel info:
; codeLenInByte = 0
; TotalNumSgprs: 6
; NumVgprs: 0
; NumAgprs: 0
; TotalNumVgprs: 0
; ScratchSize: 0
; MemoryBound: 0
; FloatMode: 240
; IeeeMode: 1
; LDSByteSize: 0 bytes/workgroup (compile time only)
; SGPRBlocks: 0
; VGPRBlocks: 0
; NumSGPRsForWavesPerEU: 6
; NumVGPRsForWavesPerEU: 1
; AccumOffset: 4
; Occupancy: 8
; WaveLimiterHint : 0
; COMPUTE_PGM_RSRC2:SCRATCH_EN: 0
; COMPUTE_PGM_RSRC2:USER_SGPR: 2
; COMPUTE_PGM_RSRC2:TRAP_HANDLER: 0
; COMPUTE_PGM_RSRC2:TGID_X_EN: 1
; COMPUTE_PGM_RSRC2:TGID_Y_EN: 0
; COMPUTE_PGM_RSRC2:TGID_Z_EN: 0
; COMPUTE_PGM_RSRC2:TIDIG_COMP_CNT: 0
; COMPUTE_PGM_RSRC3_GFX90A:ACCUM_OFFSET: 0
; COMPUTE_PGM_RSRC3_GFX90A:TG_SPLIT: 0
	.section	.text._ZN7rocprim17ROCPRIM_400000_NS6detail17trampoline_kernelINS0_14default_configENS1_25partition_config_selectorILNS1_17partition_subalgoE8ElNS0_10empty_typeEbEEZZNS1_14partition_implILS5_8ELb0ES3_jPlPS6_PKS6_NS0_5tupleIJS9_S6_EEENSD_IJSA_SA_EEENS0_18inequality_wrapperIZN2at6native12_GLOBAL__N_124unique_dim_cuda_templateIiEESt5tupleIJNSH_6TensorESM_SM_EERKSM_lbbbEUlllE0_EEPmJS6_EEE10hipError_tPvRmT3_T4_T5_T6_T7_T9_mT8_P12ihipStream_tbDpT10_ENKUlT_T0_E_clISt17integral_constantIbLb1EES1C_EEDaS17_S18_EUlS17_E_NS1_11comp_targetILNS1_3genE3ELNS1_11target_archE908ELNS1_3gpuE7ELNS1_3repE0EEENS1_30default_config_static_selectorELNS0_4arch9wavefront6targetE1EEEvT1_,"axG",@progbits,_ZN7rocprim17ROCPRIM_400000_NS6detail17trampoline_kernelINS0_14default_configENS1_25partition_config_selectorILNS1_17partition_subalgoE8ElNS0_10empty_typeEbEEZZNS1_14partition_implILS5_8ELb0ES3_jPlPS6_PKS6_NS0_5tupleIJS9_S6_EEENSD_IJSA_SA_EEENS0_18inequality_wrapperIZN2at6native12_GLOBAL__N_124unique_dim_cuda_templateIiEESt5tupleIJNSH_6TensorESM_SM_EERKSM_lbbbEUlllE0_EEPmJS6_EEE10hipError_tPvRmT3_T4_T5_T6_T7_T9_mT8_P12ihipStream_tbDpT10_ENKUlT_T0_E_clISt17integral_constantIbLb1EES1C_EEDaS17_S18_EUlS17_E_NS1_11comp_targetILNS1_3genE3ELNS1_11target_archE908ELNS1_3gpuE7ELNS1_3repE0EEENS1_30default_config_static_selectorELNS0_4arch9wavefront6targetE1EEEvT1_,comdat
	.globl	_ZN7rocprim17ROCPRIM_400000_NS6detail17trampoline_kernelINS0_14default_configENS1_25partition_config_selectorILNS1_17partition_subalgoE8ElNS0_10empty_typeEbEEZZNS1_14partition_implILS5_8ELb0ES3_jPlPS6_PKS6_NS0_5tupleIJS9_S6_EEENSD_IJSA_SA_EEENS0_18inequality_wrapperIZN2at6native12_GLOBAL__N_124unique_dim_cuda_templateIiEESt5tupleIJNSH_6TensorESM_SM_EERKSM_lbbbEUlllE0_EEPmJS6_EEE10hipError_tPvRmT3_T4_T5_T6_T7_T9_mT8_P12ihipStream_tbDpT10_ENKUlT_T0_E_clISt17integral_constantIbLb1EES1C_EEDaS17_S18_EUlS17_E_NS1_11comp_targetILNS1_3genE3ELNS1_11target_archE908ELNS1_3gpuE7ELNS1_3repE0EEENS1_30default_config_static_selectorELNS0_4arch9wavefront6targetE1EEEvT1_ ; -- Begin function _ZN7rocprim17ROCPRIM_400000_NS6detail17trampoline_kernelINS0_14default_configENS1_25partition_config_selectorILNS1_17partition_subalgoE8ElNS0_10empty_typeEbEEZZNS1_14partition_implILS5_8ELb0ES3_jPlPS6_PKS6_NS0_5tupleIJS9_S6_EEENSD_IJSA_SA_EEENS0_18inequality_wrapperIZN2at6native12_GLOBAL__N_124unique_dim_cuda_templateIiEESt5tupleIJNSH_6TensorESM_SM_EERKSM_lbbbEUlllE0_EEPmJS6_EEE10hipError_tPvRmT3_T4_T5_T6_T7_T9_mT8_P12ihipStream_tbDpT10_ENKUlT_T0_E_clISt17integral_constantIbLb1EES1C_EEDaS17_S18_EUlS17_E_NS1_11comp_targetILNS1_3genE3ELNS1_11target_archE908ELNS1_3gpuE7ELNS1_3repE0EEENS1_30default_config_static_selectorELNS0_4arch9wavefront6targetE1EEEvT1_
	.p2align	8
	.type	_ZN7rocprim17ROCPRIM_400000_NS6detail17trampoline_kernelINS0_14default_configENS1_25partition_config_selectorILNS1_17partition_subalgoE8ElNS0_10empty_typeEbEEZZNS1_14partition_implILS5_8ELb0ES3_jPlPS6_PKS6_NS0_5tupleIJS9_S6_EEENSD_IJSA_SA_EEENS0_18inequality_wrapperIZN2at6native12_GLOBAL__N_124unique_dim_cuda_templateIiEESt5tupleIJNSH_6TensorESM_SM_EERKSM_lbbbEUlllE0_EEPmJS6_EEE10hipError_tPvRmT3_T4_T5_T6_T7_T9_mT8_P12ihipStream_tbDpT10_ENKUlT_T0_E_clISt17integral_constantIbLb1EES1C_EEDaS17_S18_EUlS17_E_NS1_11comp_targetILNS1_3genE3ELNS1_11target_archE908ELNS1_3gpuE7ELNS1_3repE0EEENS1_30default_config_static_selectorELNS0_4arch9wavefront6targetE1EEEvT1_,@function
_ZN7rocprim17ROCPRIM_400000_NS6detail17trampoline_kernelINS0_14default_configENS1_25partition_config_selectorILNS1_17partition_subalgoE8ElNS0_10empty_typeEbEEZZNS1_14partition_implILS5_8ELb0ES3_jPlPS6_PKS6_NS0_5tupleIJS9_S6_EEENSD_IJSA_SA_EEENS0_18inequality_wrapperIZN2at6native12_GLOBAL__N_124unique_dim_cuda_templateIiEESt5tupleIJNSH_6TensorESM_SM_EERKSM_lbbbEUlllE0_EEPmJS6_EEE10hipError_tPvRmT3_T4_T5_T6_T7_T9_mT8_P12ihipStream_tbDpT10_ENKUlT_T0_E_clISt17integral_constantIbLb1EES1C_EEDaS17_S18_EUlS17_E_NS1_11comp_targetILNS1_3genE3ELNS1_11target_archE908ELNS1_3gpuE7ELNS1_3repE0EEENS1_30default_config_static_selectorELNS0_4arch9wavefront6targetE1EEEvT1_: ; @_ZN7rocprim17ROCPRIM_400000_NS6detail17trampoline_kernelINS0_14default_configENS1_25partition_config_selectorILNS1_17partition_subalgoE8ElNS0_10empty_typeEbEEZZNS1_14partition_implILS5_8ELb0ES3_jPlPS6_PKS6_NS0_5tupleIJS9_S6_EEENSD_IJSA_SA_EEENS0_18inequality_wrapperIZN2at6native12_GLOBAL__N_124unique_dim_cuda_templateIiEESt5tupleIJNSH_6TensorESM_SM_EERKSM_lbbbEUlllE0_EEPmJS6_EEE10hipError_tPvRmT3_T4_T5_T6_T7_T9_mT8_P12ihipStream_tbDpT10_ENKUlT_T0_E_clISt17integral_constantIbLb1EES1C_EEDaS17_S18_EUlS17_E_NS1_11comp_targetILNS1_3genE3ELNS1_11target_archE908ELNS1_3gpuE7ELNS1_3repE0EEENS1_30default_config_static_selectorELNS0_4arch9wavefront6targetE1EEEvT1_
; %bb.0:
	.section	.rodata,"a",@progbits
	.p2align	6, 0x0
	.amdhsa_kernel _ZN7rocprim17ROCPRIM_400000_NS6detail17trampoline_kernelINS0_14default_configENS1_25partition_config_selectorILNS1_17partition_subalgoE8ElNS0_10empty_typeEbEEZZNS1_14partition_implILS5_8ELb0ES3_jPlPS6_PKS6_NS0_5tupleIJS9_S6_EEENSD_IJSA_SA_EEENS0_18inequality_wrapperIZN2at6native12_GLOBAL__N_124unique_dim_cuda_templateIiEESt5tupleIJNSH_6TensorESM_SM_EERKSM_lbbbEUlllE0_EEPmJS6_EEE10hipError_tPvRmT3_T4_T5_T6_T7_T9_mT8_P12ihipStream_tbDpT10_ENKUlT_T0_E_clISt17integral_constantIbLb1EES1C_EEDaS17_S18_EUlS17_E_NS1_11comp_targetILNS1_3genE3ELNS1_11target_archE908ELNS1_3gpuE7ELNS1_3repE0EEENS1_30default_config_static_selectorELNS0_4arch9wavefront6targetE1EEEvT1_
		.amdhsa_group_segment_fixed_size 0
		.amdhsa_private_segment_fixed_size 0
		.amdhsa_kernarg_size 136
		.amdhsa_user_sgpr_count 2
		.amdhsa_user_sgpr_dispatch_ptr 0
		.amdhsa_user_sgpr_queue_ptr 0
		.amdhsa_user_sgpr_kernarg_segment_ptr 1
		.amdhsa_user_sgpr_dispatch_id 0
		.amdhsa_user_sgpr_kernarg_preload_length 0
		.amdhsa_user_sgpr_kernarg_preload_offset 0
		.amdhsa_user_sgpr_private_segment_size 0
		.amdhsa_uses_dynamic_stack 0
		.amdhsa_enable_private_segment 0
		.amdhsa_system_sgpr_workgroup_id_x 1
		.amdhsa_system_sgpr_workgroup_id_y 0
		.amdhsa_system_sgpr_workgroup_id_z 0
		.amdhsa_system_sgpr_workgroup_info 0
		.amdhsa_system_vgpr_workitem_id 0
		.amdhsa_next_free_vgpr 1
		.amdhsa_next_free_sgpr 0
		.amdhsa_accum_offset 4
		.amdhsa_reserve_vcc 0
		.amdhsa_float_round_mode_32 0
		.amdhsa_float_round_mode_16_64 0
		.amdhsa_float_denorm_mode_32 3
		.amdhsa_float_denorm_mode_16_64 3
		.amdhsa_dx10_clamp 1
		.amdhsa_ieee_mode 1
		.amdhsa_fp16_overflow 0
		.amdhsa_tg_split 0
		.amdhsa_exception_fp_ieee_invalid_op 0
		.amdhsa_exception_fp_denorm_src 0
		.amdhsa_exception_fp_ieee_div_zero 0
		.amdhsa_exception_fp_ieee_overflow 0
		.amdhsa_exception_fp_ieee_underflow 0
		.amdhsa_exception_fp_ieee_inexact 0
		.amdhsa_exception_int_div_zero 0
	.end_amdhsa_kernel
	.section	.text._ZN7rocprim17ROCPRIM_400000_NS6detail17trampoline_kernelINS0_14default_configENS1_25partition_config_selectorILNS1_17partition_subalgoE8ElNS0_10empty_typeEbEEZZNS1_14partition_implILS5_8ELb0ES3_jPlPS6_PKS6_NS0_5tupleIJS9_S6_EEENSD_IJSA_SA_EEENS0_18inequality_wrapperIZN2at6native12_GLOBAL__N_124unique_dim_cuda_templateIiEESt5tupleIJNSH_6TensorESM_SM_EERKSM_lbbbEUlllE0_EEPmJS6_EEE10hipError_tPvRmT3_T4_T5_T6_T7_T9_mT8_P12ihipStream_tbDpT10_ENKUlT_T0_E_clISt17integral_constantIbLb1EES1C_EEDaS17_S18_EUlS17_E_NS1_11comp_targetILNS1_3genE3ELNS1_11target_archE908ELNS1_3gpuE7ELNS1_3repE0EEENS1_30default_config_static_selectorELNS0_4arch9wavefront6targetE1EEEvT1_,"axG",@progbits,_ZN7rocprim17ROCPRIM_400000_NS6detail17trampoline_kernelINS0_14default_configENS1_25partition_config_selectorILNS1_17partition_subalgoE8ElNS0_10empty_typeEbEEZZNS1_14partition_implILS5_8ELb0ES3_jPlPS6_PKS6_NS0_5tupleIJS9_S6_EEENSD_IJSA_SA_EEENS0_18inequality_wrapperIZN2at6native12_GLOBAL__N_124unique_dim_cuda_templateIiEESt5tupleIJNSH_6TensorESM_SM_EERKSM_lbbbEUlllE0_EEPmJS6_EEE10hipError_tPvRmT3_T4_T5_T6_T7_T9_mT8_P12ihipStream_tbDpT10_ENKUlT_T0_E_clISt17integral_constantIbLb1EES1C_EEDaS17_S18_EUlS17_E_NS1_11comp_targetILNS1_3genE3ELNS1_11target_archE908ELNS1_3gpuE7ELNS1_3repE0EEENS1_30default_config_static_selectorELNS0_4arch9wavefront6targetE1EEEvT1_,comdat
.Lfunc_end452:
	.size	_ZN7rocprim17ROCPRIM_400000_NS6detail17trampoline_kernelINS0_14default_configENS1_25partition_config_selectorILNS1_17partition_subalgoE8ElNS0_10empty_typeEbEEZZNS1_14partition_implILS5_8ELb0ES3_jPlPS6_PKS6_NS0_5tupleIJS9_S6_EEENSD_IJSA_SA_EEENS0_18inequality_wrapperIZN2at6native12_GLOBAL__N_124unique_dim_cuda_templateIiEESt5tupleIJNSH_6TensorESM_SM_EERKSM_lbbbEUlllE0_EEPmJS6_EEE10hipError_tPvRmT3_T4_T5_T6_T7_T9_mT8_P12ihipStream_tbDpT10_ENKUlT_T0_E_clISt17integral_constantIbLb1EES1C_EEDaS17_S18_EUlS17_E_NS1_11comp_targetILNS1_3genE3ELNS1_11target_archE908ELNS1_3gpuE7ELNS1_3repE0EEENS1_30default_config_static_selectorELNS0_4arch9wavefront6targetE1EEEvT1_, .Lfunc_end452-_ZN7rocprim17ROCPRIM_400000_NS6detail17trampoline_kernelINS0_14default_configENS1_25partition_config_selectorILNS1_17partition_subalgoE8ElNS0_10empty_typeEbEEZZNS1_14partition_implILS5_8ELb0ES3_jPlPS6_PKS6_NS0_5tupleIJS9_S6_EEENSD_IJSA_SA_EEENS0_18inequality_wrapperIZN2at6native12_GLOBAL__N_124unique_dim_cuda_templateIiEESt5tupleIJNSH_6TensorESM_SM_EERKSM_lbbbEUlllE0_EEPmJS6_EEE10hipError_tPvRmT3_T4_T5_T6_T7_T9_mT8_P12ihipStream_tbDpT10_ENKUlT_T0_E_clISt17integral_constantIbLb1EES1C_EEDaS17_S18_EUlS17_E_NS1_11comp_targetILNS1_3genE3ELNS1_11target_archE908ELNS1_3gpuE7ELNS1_3repE0EEENS1_30default_config_static_selectorELNS0_4arch9wavefront6targetE1EEEvT1_
                                        ; -- End function
	.set _ZN7rocprim17ROCPRIM_400000_NS6detail17trampoline_kernelINS0_14default_configENS1_25partition_config_selectorILNS1_17partition_subalgoE8ElNS0_10empty_typeEbEEZZNS1_14partition_implILS5_8ELb0ES3_jPlPS6_PKS6_NS0_5tupleIJS9_S6_EEENSD_IJSA_SA_EEENS0_18inequality_wrapperIZN2at6native12_GLOBAL__N_124unique_dim_cuda_templateIiEESt5tupleIJNSH_6TensorESM_SM_EERKSM_lbbbEUlllE0_EEPmJS6_EEE10hipError_tPvRmT3_T4_T5_T6_T7_T9_mT8_P12ihipStream_tbDpT10_ENKUlT_T0_E_clISt17integral_constantIbLb1EES1C_EEDaS17_S18_EUlS17_E_NS1_11comp_targetILNS1_3genE3ELNS1_11target_archE908ELNS1_3gpuE7ELNS1_3repE0EEENS1_30default_config_static_selectorELNS0_4arch9wavefront6targetE1EEEvT1_.num_vgpr, 0
	.set _ZN7rocprim17ROCPRIM_400000_NS6detail17trampoline_kernelINS0_14default_configENS1_25partition_config_selectorILNS1_17partition_subalgoE8ElNS0_10empty_typeEbEEZZNS1_14partition_implILS5_8ELb0ES3_jPlPS6_PKS6_NS0_5tupleIJS9_S6_EEENSD_IJSA_SA_EEENS0_18inequality_wrapperIZN2at6native12_GLOBAL__N_124unique_dim_cuda_templateIiEESt5tupleIJNSH_6TensorESM_SM_EERKSM_lbbbEUlllE0_EEPmJS6_EEE10hipError_tPvRmT3_T4_T5_T6_T7_T9_mT8_P12ihipStream_tbDpT10_ENKUlT_T0_E_clISt17integral_constantIbLb1EES1C_EEDaS17_S18_EUlS17_E_NS1_11comp_targetILNS1_3genE3ELNS1_11target_archE908ELNS1_3gpuE7ELNS1_3repE0EEENS1_30default_config_static_selectorELNS0_4arch9wavefront6targetE1EEEvT1_.num_agpr, 0
	.set _ZN7rocprim17ROCPRIM_400000_NS6detail17trampoline_kernelINS0_14default_configENS1_25partition_config_selectorILNS1_17partition_subalgoE8ElNS0_10empty_typeEbEEZZNS1_14partition_implILS5_8ELb0ES3_jPlPS6_PKS6_NS0_5tupleIJS9_S6_EEENSD_IJSA_SA_EEENS0_18inequality_wrapperIZN2at6native12_GLOBAL__N_124unique_dim_cuda_templateIiEESt5tupleIJNSH_6TensorESM_SM_EERKSM_lbbbEUlllE0_EEPmJS6_EEE10hipError_tPvRmT3_T4_T5_T6_T7_T9_mT8_P12ihipStream_tbDpT10_ENKUlT_T0_E_clISt17integral_constantIbLb1EES1C_EEDaS17_S18_EUlS17_E_NS1_11comp_targetILNS1_3genE3ELNS1_11target_archE908ELNS1_3gpuE7ELNS1_3repE0EEENS1_30default_config_static_selectorELNS0_4arch9wavefront6targetE1EEEvT1_.numbered_sgpr, 0
	.set _ZN7rocprim17ROCPRIM_400000_NS6detail17trampoline_kernelINS0_14default_configENS1_25partition_config_selectorILNS1_17partition_subalgoE8ElNS0_10empty_typeEbEEZZNS1_14partition_implILS5_8ELb0ES3_jPlPS6_PKS6_NS0_5tupleIJS9_S6_EEENSD_IJSA_SA_EEENS0_18inequality_wrapperIZN2at6native12_GLOBAL__N_124unique_dim_cuda_templateIiEESt5tupleIJNSH_6TensorESM_SM_EERKSM_lbbbEUlllE0_EEPmJS6_EEE10hipError_tPvRmT3_T4_T5_T6_T7_T9_mT8_P12ihipStream_tbDpT10_ENKUlT_T0_E_clISt17integral_constantIbLb1EES1C_EEDaS17_S18_EUlS17_E_NS1_11comp_targetILNS1_3genE3ELNS1_11target_archE908ELNS1_3gpuE7ELNS1_3repE0EEENS1_30default_config_static_selectorELNS0_4arch9wavefront6targetE1EEEvT1_.num_named_barrier, 0
	.set _ZN7rocprim17ROCPRIM_400000_NS6detail17trampoline_kernelINS0_14default_configENS1_25partition_config_selectorILNS1_17partition_subalgoE8ElNS0_10empty_typeEbEEZZNS1_14partition_implILS5_8ELb0ES3_jPlPS6_PKS6_NS0_5tupleIJS9_S6_EEENSD_IJSA_SA_EEENS0_18inequality_wrapperIZN2at6native12_GLOBAL__N_124unique_dim_cuda_templateIiEESt5tupleIJNSH_6TensorESM_SM_EERKSM_lbbbEUlllE0_EEPmJS6_EEE10hipError_tPvRmT3_T4_T5_T6_T7_T9_mT8_P12ihipStream_tbDpT10_ENKUlT_T0_E_clISt17integral_constantIbLb1EES1C_EEDaS17_S18_EUlS17_E_NS1_11comp_targetILNS1_3genE3ELNS1_11target_archE908ELNS1_3gpuE7ELNS1_3repE0EEENS1_30default_config_static_selectorELNS0_4arch9wavefront6targetE1EEEvT1_.private_seg_size, 0
	.set _ZN7rocprim17ROCPRIM_400000_NS6detail17trampoline_kernelINS0_14default_configENS1_25partition_config_selectorILNS1_17partition_subalgoE8ElNS0_10empty_typeEbEEZZNS1_14partition_implILS5_8ELb0ES3_jPlPS6_PKS6_NS0_5tupleIJS9_S6_EEENSD_IJSA_SA_EEENS0_18inequality_wrapperIZN2at6native12_GLOBAL__N_124unique_dim_cuda_templateIiEESt5tupleIJNSH_6TensorESM_SM_EERKSM_lbbbEUlllE0_EEPmJS6_EEE10hipError_tPvRmT3_T4_T5_T6_T7_T9_mT8_P12ihipStream_tbDpT10_ENKUlT_T0_E_clISt17integral_constantIbLb1EES1C_EEDaS17_S18_EUlS17_E_NS1_11comp_targetILNS1_3genE3ELNS1_11target_archE908ELNS1_3gpuE7ELNS1_3repE0EEENS1_30default_config_static_selectorELNS0_4arch9wavefront6targetE1EEEvT1_.uses_vcc, 0
	.set _ZN7rocprim17ROCPRIM_400000_NS6detail17trampoline_kernelINS0_14default_configENS1_25partition_config_selectorILNS1_17partition_subalgoE8ElNS0_10empty_typeEbEEZZNS1_14partition_implILS5_8ELb0ES3_jPlPS6_PKS6_NS0_5tupleIJS9_S6_EEENSD_IJSA_SA_EEENS0_18inequality_wrapperIZN2at6native12_GLOBAL__N_124unique_dim_cuda_templateIiEESt5tupleIJNSH_6TensorESM_SM_EERKSM_lbbbEUlllE0_EEPmJS6_EEE10hipError_tPvRmT3_T4_T5_T6_T7_T9_mT8_P12ihipStream_tbDpT10_ENKUlT_T0_E_clISt17integral_constantIbLb1EES1C_EEDaS17_S18_EUlS17_E_NS1_11comp_targetILNS1_3genE3ELNS1_11target_archE908ELNS1_3gpuE7ELNS1_3repE0EEENS1_30default_config_static_selectorELNS0_4arch9wavefront6targetE1EEEvT1_.uses_flat_scratch, 0
	.set _ZN7rocprim17ROCPRIM_400000_NS6detail17trampoline_kernelINS0_14default_configENS1_25partition_config_selectorILNS1_17partition_subalgoE8ElNS0_10empty_typeEbEEZZNS1_14partition_implILS5_8ELb0ES3_jPlPS6_PKS6_NS0_5tupleIJS9_S6_EEENSD_IJSA_SA_EEENS0_18inequality_wrapperIZN2at6native12_GLOBAL__N_124unique_dim_cuda_templateIiEESt5tupleIJNSH_6TensorESM_SM_EERKSM_lbbbEUlllE0_EEPmJS6_EEE10hipError_tPvRmT3_T4_T5_T6_T7_T9_mT8_P12ihipStream_tbDpT10_ENKUlT_T0_E_clISt17integral_constantIbLb1EES1C_EEDaS17_S18_EUlS17_E_NS1_11comp_targetILNS1_3genE3ELNS1_11target_archE908ELNS1_3gpuE7ELNS1_3repE0EEENS1_30default_config_static_selectorELNS0_4arch9wavefront6targetE1EEEvT1_.has_dyn_sized_stack, 0
	.set _ZN7rocprim17ROCPRIM_400000_NS6detail17trampoline_kernelINS0_14default_configENS1_25partition_config_selectorILNS1_17partition_subalgoE8ElNS0_10empty_typeEbEEZZNS1_14partition_implILS5_8ELb0ES3_jPlPS6_PKS6_NS0_5tupleIJS9_S6_EEENSD_IJSA_SA_EEENS0_18inequality_wrapperIZN2at6native12_GLOBAL__N_124unique_dim_cuda_templateIiEESt5tupleIJNSH_6TensorESM_SM_EERKSM_lbbbEUlllE0_EEPmJS6_EEE10hipError_tPvRmT3_T4_T5_T6_T7_T9_mT8_P12ihipStream_tbDpT10_ENKUlT_T0_E_clISt17integral_constantIbLb1EES1C_EEDaS17_S18_EUlS17_E_NS1_11comp_targetILNS1_3genE3ELNS1_11target_archE908ELNS1_3gpuE7ELNS1_3repE0EEENS1_30default_config_static_selectorELNS0_4arch9wavefront6targetE1EEEvT1_.has_recursion, 0
	.set _ZN7rocprim17ROCPRIM_400000_NS6detail17trampoline_kernelINS0_14default_configENS1_25partition_config_selectorILNS1_17partition_subalgoE8ElNS0_10empty_typeEbEEZZNS1_14partition_implILS5_8ELb0ES3_jPlPS6_PKS6_NS0_5tupleIJS9_S6_EEENSD_IJSA_SA_EEENS0_18inequality_wrapperIZN2at6native12_GLOBAL__N_124unique_dim_cuda_templateIiEESt5tupleIJNSH_6TensorESM_SM_EERKSM_lbbbEUlllE0_EEPmJS6_EEE10hipError_tPvRmT3_T4_T5_T6_T7_T9_mT8_P12ihipStream_tbDpT10_ENKUlT_T0_E_clISt17integral_constantIbLb1EES1C_EEDaS17_S18_EUlS17_E_NS1_11comp_targetILNS1_3genE3ELNS1_11target_archE908ELNS1_3gpuE7ELNS1_3repE0EEENS1_30default_config_static_selectorELNS0_4arch9wavefront6targetE1EEEvT1_.has_indirect_call, 0
	.section	.AMDGPU.csdata,"",@progbits
; Kernel info:
; codeLenInByte = 0
; TotalNumSgprs: 6
; NumVgprs: 0
; NumAgprs: 0
; TotalNumVgprs: 0
; ScratchSize: 0
; MemoryBound: 0
; FloatMode: 240
; IeeeMode: 1
; LDSByteSize: 0 bytes/workgroup (compile time only)
; SGPRBlocks: 0
; VGPRBlocks: 0
; NumSGPRsForWavesPerEU: 6
; NumVGPRsForWavesPerEU: 1
; AccumOffset: 4
; Occupancy: 8
; WaveLimiterHint : 0
; COMPUTE_PGM_RSRC2:SCRATCH_EN: 0
; COMPUTE_PGM_RSRC2:USER_SGPR: 2
; COMPUTE_PGM_RSRC2:TRAP_HANDLER: 0
; COMPUTE_PGM_RSRC2:TGID_X_EN: 1
; COMPUTE_PGM_RSRC2:TGID_Y_EN: 0
; COMPUTE_PGM_RSRC2:TGID_Z_EN: 0
; COMPUTE_PGM_RSRC2:TIDIG_COMP_CNT: 0
; COMPUTE_PGM_RSRC3_GFX90A:ACCUM_OFFSET: 0
; COMPUTE_PGM_RSRC3_GFX90A:TG_SPLIT: 0
	.section	.text._ZN7rocprim17ROCPRIM_400000_NS6detail17trampoline_kernelINS0_14default_configENS1_25partition_config_selectorILNS1_17partition_subalgoE8ElNS0_10empty_typeEbEEZZNS1_14partition_implILS5_8ELb0ES3_jPlPS6_PKS6_NS0_5tupleIJS9_S6_EEENSD_IJSA_SA_EEENS0_18inequality_wrapperIZN2at6native12_GLOBAL__N_124unique_dim_cuda_templateIiEESt5tupleIJNSH_6TensorESM_SM_EERKSM_lbbbEUlllE0_EEPmJS6_EEE10hipError_tPvRmT3_T4_T5_T6_T7_T9_mT8_P12ihipStream_tbDpT10_ENKUlT_T0_E_clISt17integral_constantIbLb1EES1C_EEDaS17_S18_EUlS17_E_NS1_11comp_targetILNS1_3genE2ELNS1_11target_archE906ELNS1_3gpuE6ELNS1_3repE0EEENS1_30default_config_static_selectorELNS0_4arch9wavefront6targetE1EEEvT1_,"axG",@progbits,_ZN7rocprim17ROCPRIM_400000_NS6detail17trampoline_kernelINS0_14default_configENS1_25partition_config_selectorILNS1_17partition_subalgoE8ElNS0_10empty_typeEbEEZZNS1_14partition_implILS5_8ELb0ES3_jPlPS6_PKS6_NS0_5tupleIJS9_S6_EEENSD_IJSA_SA_EEENS0_18inequality_wrapperIZN2at6native12_GLOBAL__N_124unique_dim_cuda_templateIiEESt5tupleIJNSH_6TensorESM_SM_EERKSM_lbbbEUlllE0_EEPmJS6_EEE10hipError_tPvRmT3_T4_T5_T6_T7_T9_mT8_P12ihipStream_tbDpT10_ENKUlT_T0_E_clISt17integral_constantIbLb1EES1C_EEDaS17_S18_EUlS17_E_NS1_11comp_targetILNS1_3genE2ELNS1_11target_archE906ELNS1_3gpuE6ELNS1_3repE0EEENS1_30default_config_static_selectorELNS0_4arch9wavefront6targetE1EEEvT1_,comdat
	.globl	_ZN7rocprim17ROCPRIM_400000_NS6detail17trampoline_kernelINS0_14default_configENS1_25partition_config_selectorILNS1_17partition_subalgoE8ElNS0_10empty_typeEbEEZZNS1_14partition_implILS5_8ELb0ES3_jPlPS6_PKS6_NS0_5tupleIJS9_S6_EEENSD_IJSA_SA_EEENS0_18inequality_wrapperIZN2at6native12_GLOBAL__N_124unique_dim_cuda_templateIiEESt5tupleIJNSH_6TensorESM_SM_EERKSM_lbbbEUlllE0_EEPmJS6_EEE10hipError_tPvRmT3_T4_T5_T6_T7_T9_mT8_P12ihipStream_tbDpT10_ENKUlT_T0_E_clISt17integral_constantIbLb1EES1C_EEDaS17_S18_EUlS17_E_NS1_11comp_targetILNS1_3genE2ELNS1_11target_archE906ELNS1_3gpuE6ELNS1_3repE0EEENS1_30default_config_static_selectorELNS0_4arch9wavefront6targetE1EEEvT1_ ; -- Begin function _ZN7rocprim17ROCPRIM_400000_NS6detail17trampoline_kernelINS0_14default_configENS1_25partition_config_selectorILNS1_17partition_subalgoE8ElNS0_10empty_typeEbEEZZNS1_14partition_implILS5_8ELb0ES3_jPlPS6_PKS6_NS0_5tupleIJS9_S6_EEENSD_IJSA_SA_EEENS0_18inequality_wrapperIZN2at6native12_GLOBAL__N_124unique_dim_cuda_templateIiEESt5tupleIJNSH_6TensorESM_SM_EERKSM_lbbbEUlllE0_EEPmJS6_EEE10hipError_tPvRmT3_T4_T5_T6_T7_T9_mT8_P12ihipStream_tbDpT10_ENKUlT_T0_E_clISt17integral_constantIbLb1EES1C_EEDaS17_S18_EUlS17_E_NS1_11comp_targetILNS1_3genE2ELNS1_11target_archE906ELNS1_3gpuE6ELNS1_3repE0EEENS1_30default_config_static_selectorELNS0_4arch9wavefront6targetE1EEEvT1_
	.p2align	8
	.type	_ZN7rocprim17ROCPRIM_400000_NS6detail17trampoline_kernelINS0_14default_configENS1_25partition_config_selectorILNS1_17partition_subalgoE8ElNS0_10empty_typeEbEEZZNS1_14partition_implILS5_8ELb0ES3_jPlPS6_PKS6_NS0_5tupleIJS9_S6_EEENSD_IJSA_SA_EEENS0_18inequality_wrapperIZN2at6native12_GLOBAL__N_124unique_dim_cuda_templateIiEESt5tupleIJNSH_6TensorESM_SM_EERKSM_lbbbEUlllE0_EEPmJS6_EEE10hipError_tPvRmT3_T4_T5_T6_T7_T9_mT8_P12ihipStream_tbDpT10_ENKUlT_T0_E_clISt17integral_constantIbLb1EES1C_EEDaS17_S18_EUlS17_E_NS1_11comp_targetILNS1_3genE2ELNS1_11target_archE906ELNS1_3gpuE6ELNS1_3repE0EEENS1_30default_config_static_selectorELNS0_4arch9wavefront6targetE1EEEvT1_,@function
_ZN7rocprim17ROCPRIM_400000_NS6detail17trampoline_kernelINS0_14default_configENS1_25partition_config_selectorILNS1_17partition_subalgoE8ElNS0_10empty_typeEbEEZZNS1_14partition_implILS5_8ELb0ES3_jPlPS6_PKS6_NS0_5tupleIJS9_S6_EEENSD_IJSA_SA_EEENS0_18inequality_wrapperIZN2at6native12_GLOBAL__N_124unique_dim_cuda_templateIiEESt5tupleIJNSH_6TensorESM_SM_EERKSM_lbbbEUlllE0_EEPmJS6_EEE10hipError_tPvRmT3_T4_T5_T6_T7_T9_mT8_P12ihipStream_tbDpT10_ENKUlT_T0_E_clISt17integral_constantIbLb1EES1C_EEDaS17_S18_EUlS17_E_NS1_11comp_targetILNS1_3genE2ELNS1_11target_archE906ELNS1_3gpuE6ELNS1_3repE0EEENS1_30default_config_static_selectorELNS0_4arch9wavefront6targetE1EEEvT1_: ; @_ZN7rocprim17ROCPRIM_400000_NS6detail17trampoline_kernelINS0_14default_configENS1_25partition_config_selectorILNS1_17partition_subalgoE8ElNS0_10empty_typeEbEEZZNS1_14partition_implILS5_8ELb0ES3_jPlPS6_PKS6_NS0_5tupleIJS9_S6_EEENSD_IJSA_SA_EEENS0_18inequality_wrapperIZN2at6native12_GLOBAL__N_124unique_dim_cuda_templateIiEESt5tupleIJNSH_6TensorESM_SM_EERKSM_lbbbEUlllE0_EEPmJS6_EEE10hipError_tPvRmT3_T4_T5_T6_T7_T9_mT8_P12ihipStream_tbDpT10_ENKUlT_T0_E_clISt17integral_constantIbLb1EES1C_EEDaS17_S18_EUlS17_E_NS1_11comp_targetILNS1_3genE2ELNS1_11target_archE906ELNS1_3gpuE6ELNS1_3repE0EEENS1_30default_config_static_selectorELNS0_4arch9wavefront6targetE1EEEvT1_
; %bb.0:
	.section	.rodata,"a",@progbits
	.p2align	6, 0x0
	.amdhsa_kernel _ZN7rocprim17ROCPRIM_400000_NS6detail17trampoline_kernelINS0_14default_configENS1_25partition_config_selectorILNS1_17partition_subalgoE8ElNS0_10empty_typeEbEEZZNS1_14partition_implILS5_8ELb0ES3_jPlPS6_PKS6_NS0_5tupleIJS9_S6_EEENSD_IJSA_SA_EEENS0_18inequality_wrapperIZN2at6native12_GLOBAL__N_124unique_dim_cuda_templateIiEESt5tupleIJNSH_6TensorESM_SM_EERKSM_lbbbEUlllE0_EEPmJS6_EEE10hipError_tPvRmT3_T4_T5_T6_T7_T9_mT8_P12ihipStream_tbDpT10_ENKUlT_T0_E_clISt17integral_constantIbLb1EES1C_EEDaS17_S18_EUlS17_E_NS1_11comp_targetILNS1_3genE2ELNS1_11target_archE906ELNS1_3gpuE6ELNS1_3repE0EEENS1_30default_config_static_selectorELNS0_4arch9wavefront6targetE1EEEvT1_
		.amdhsa_group_segment_fixed_size 0
		.amdhsa_private_segment_fixed_size 0
		.amdhsa_kernarg_size 136
		.amdhsa_user_sgpr_count 2
		.amdhsa_user_sgpr_dispatch_ptr 0
		.amdhsa_user_sgpr_queue_ptr 0
		.amdhsa_user_sgpr_kernarg_segment_ptr 1
		.amdhsa_user_sgpr_dispatch_id 0
		.amdhsa_user_sgpr_kernarg_preload_length 0
		.amdhsa_user_sgpr_kernarg_preload_offset 0
		.amdhsa_user_sgpr_private_segment_size 0
		.amdhsa_uses_dynamic_stack 0
		.amdhsa_enable_private_segment 0
		.amdhsa_system_sgpr_workgroup_id_x 1
		.amdhsa_system_sgpr_workgroup_id_y 0
		.amdhsa_system_sgpr_workgroup_id_z 0
		.amdhsa_system_sgpr_workgroup_info 0
		.amdhsa_system_vgpr_workitem_id 0
		.amdhsa_next_free_vgpr 1
		.amdhsa_next_free_sgpr 0
		.amdhsa_accum_offset 4
		.amdhsa_reserve_vcc 0
		.amdhsa_float_round_mode_32 0
		.amdhsa_float_round_mode_16_64 0
		.amdhsa_float_denorm_mode_32 3
		.amdhsa_float_denorm_mode_16_64 3
		.amdhsa_dx10_clamp 1
		.amdhsa_ieee_mode 1
		.amdhsa_fp16_overflow 0
		.amdhsa_tg_split 0
		.amdhsa_exception_fp_ieee_invalid_op 0
		.amdhsa_exception_fp_denorm_src 0
		.amdhsa_exception_fp_ieee_div_zero 0
		.amdhsa_exception_fp_ieee_overflow 0
		.amdhsa_exception_fp_ieee_underflow 0
		.amdhsa_exception_fp_ieee_inexact 0
		.amdhsa_exception_int_div_zero 0
	.end_amdhsa_kernel
	.section	.text._ZN7rocprim17ROCPRIM_400000_NS6detail17trampoline_kernelINS0_14default_configENS1_25partition_config_selectorILNS1_17partition_subalgoE8ElNS0_10empty_typeEbEEZZNS1_14partition_implILS5_8ELb0ES3_jPlPS6_PKS6_NS0_5tupleIJS9_S6_EEENSD_IJSA_SA_EEENS0_18inequality_wrapperIZN2at6native12_GLOBAL__N_124unique_dim_cuda_templateIiEESt5tupleIJNSH_6TensorESM_SM_EERKSM_lbbbEUlllE0_EEPmJS6_EEE10hipError_tPvRmT3_T4_T5_T6_T7_T9_mT8_P12ihipStream_tbDpT10_ENKUlT_T0_E_clISt17integral_constantIbLb1EES1C_EEDaS17_S18_EUlS17_E_NS1_11comp_targetILNS1_3genE2ELNS1_11target_archE906ELNS1_3gpuE6ELNS1_3repE0EEENS1_30default_config_static_selectorELNS0_4arch9wavefront6targetE1EEEvT1_,"axG",@progbits,_ZN7rocprim17ROCPRIM_400000_NS6detail17trampoline_kernelINS0_14default_configENS1_25partition_config_selectorILNS1_17partition_subalgoE8ElNS0_10empty_typeEbEEZZNS1_14partition_implILS5_8ELb0ES3_jPlPS6_PKS6_NS0_5tupleIJS9_S6_EEENSD_IJSA_SA_EEENS0_18inequality_wrapperIZN2at6native12_GLOBAL__N_124unique_dim_cuda_templateIiEESt5tupleIJNSH_6TensorESM_SM_EERKSM_lbbbEUlllE0_EEPmJS6_EEE10hipError_tPvRmT3_T4_T5_T6_T7_T9_mT8_P12ihipStream_tbDpT10_ENKUlT_T0_E_clISt17integral_constantIbLb1EES1C_EEDaS17_S18_EUlS17_E_NS1_11comp_targetILNS1_3genE2ELNS1_11target_archE906ELNS1_3gpuE6ELNS1_3repE0EEENS1_30default_config_static_selectorELNS0_4arch9wavefront6targetE1EEEvT1_,comdat
.Lfunc_end453:
	.size	_ZN7rocprim17ROCPRIM_400000_NS6detail17trampoline_kernelINS0_14default_configENS1_25partition_config_selectorILNS1_17partition_subalgoE8ElNS0_10empty_typeEbEEZZNS1_14partition_implILS5_8ELb0ES3_jPlPS6_PKS6_NS0_5tupleIJS9_S6_EEENSD_IJSA_SA_EEENS0_18inequality_wrapperIZN2at6native12_GLOBAL__N_124unique_dim_cuda_templateIiEESt5tupleIJNSH_6TensorESM_SM_EERKSM_lbbbEUlllE0_EEPmJS6_EEE10hipError_tPvRmT3_T4_T5_T6_T7_T9_mT8_P12ihipStream_tbDpT10_ENKUlT_T0_E_clISt17integral_constantIbLb1EES1C_EEDaS17_S18_EUlS17_E_NS1_11comp_targetILNS1_3genE2ELNS1_11target_archE906ELNS1_3gpuE6ELNS1_3repE0EEENS1_30default_config_static_selectorELNS0_4arch9wavefront6targetE1EEEvT1_, .Lfunc_end453-_ZN7rocprim17ROCPRIM_400000_NS6detail17trampoline_kernelINS0_14default_configENS1_25partition_config_selectorILNS1_17partition_subalgoE8ElNS0_10empty_typeEbEEZZNS1_14partition_implILS5_8ELb0ES3_jPlPS6_PKS6_NS0_5tupleIJS9_S6_EEENSD_IJSA_SA_EEENS0_18inequality_wrapperIZN2at6native12_GLOBAL__N_124unique_dim_cuda_templateIiEESt5tupleIJNSH_6TensorESM_SM_EERKSM_lbbbEUlllE0_EEPmJS6_EEE10hipError_tPvRmT3_T4_T5_T6_T7_T9_mT8_P12ihipStream_tbDpT10_ENKUlT_T0_E_clISt17integral_constantIbLb1EES1C_EEDaS17_S18_EUlS17_E_NS1_11comp_targetILNS1_3genE2ELNS1_11target_archE906ELNS1_3gpuE6ELNS1_3repE0EEENS1_30default_config_static_selectorELNS0_4arch9wavefront6targetE1EEEvT1_
                                        ; -- End function
	.set _ZN7rocprim17ROCPRIM_400000_NS6detail17trampoline_kernelINS0_14default_configENS1_25partition_config_selectorILNS1_17partition_subalgoE8ElNS0_10empty_typeEbEEZZNS1_14partition_implILS5_8ELb0ES3_jPlPS6_PKS6_NS0_5tupleIJS9_S6_EEENSD_IJSA_SA_EEENS0_18inequality_wrapperIZN2at6native12_GLOBAL__N_124unique_dim_cuda_templateIiEESt5tupleIJNSH_6TensorESM_SM_EERKSM_lbbbEUlllE0_EEPmJS6_EEE10hipError_tPvRmT3_T4_T5_T6_T7_T9_mT8_P12ihipStream_tbDpT10_ENKUlT_T0_E_clISt17integral_constantIbLb1EES1C_EEDaS17_S18_EUlS17_E_NS1_11comp_targetILNS1_3genE2ELNS1_11target_archE906ELNS1_3gpuE6ELNS1_3repE0EEENS1_30default_config_static_selectorELNS0_4arch9wavefront6targetE1EEEvT1_.num_vgpr, 0
	.set _ZN7rocprim17ROCPRIM_400000_NS6detail17trampoline_kernelINS0_14default_configENS1_25partition_config_selectorILNS1_17partition_subalgoE8ElNS0_10empty_typeEbEEZZNS1_14partition_implILS5_8ELb0ES3_jPlPS6_PKS6_NS0_5tupleIJS9_S6_EEENSD_IJSA_SA_EEENS0_18inequality_wrapperIZN2at6native12_GLOBAL__N_124unique_dim_cuda_templateIiEESt5tupleIJNSH_6TensorESM_SM_EERKSM_lbbbEUlllE0_EEPmJS6_EEE10hipError_tPvRmT3_T4_T5_T6_T7_T9_mT8_P12ihipStream_tbDpT10_ENKUlT_T0_E_clISt17integral_constantIbLb1EES1C_EEDaS17_S18_EUlS17_E_NS1_11comp_targetILNS1_3genE2ELNS1_11target_archE906ELNS1_3gpuE6ELNS1_3repE0EEENS1_30default_config_static_selectorELNS0_4arch9wavefront6targetE1EEEvT1_.num_agpr, 0
	.set _ZN7rocprim17ROCPRIM_400000_NS6detail17trampoline_kernelINS0_14default_configENS1_25partition_config_selectorILNS1_17partition_subalgoE8ElNS0_10empty_typeEbEEZZNS1_14partition_implILS5_8ELb0ES3_jPlPS6_PKS6_NS0_5tupleIJS9_S6_EEENSD_IJSA_SA_EEENS0_18inequality_wrapperIZN2at6native12_GLOBAL__N_124unique_dim_cuda_templateIiEESt5tupleIJNSH_6TensorESM_SM_EERKSM_lbbbEUlllE0_EEPmJS6_EEE10hipError_tPvRmT3_T4_T5_T6_T7_T9_mT8_P12ihipStream_tbDpT10_ENKUlT_T0_E_clISt17integral_constantIbLb1EES1C_EEDaS17_S18_EUlS17_E_NS1_11comp_targetILNS1_3genE2ELNS1_11target_archE906ELNS1_3gpuE6ELNS1_3repE0EEENS1_30default_config_static_selectorELNS0_4arch9wavefront6targetE1EEEvT1_.numbered_sgpr, 0
	.set _ZN7rocprim17ROCPRIM_400000_NS6detail17trampoline_kernelINS0_14default_configENS1_25partition_config_selectorILNS1_17partition_subalgoE8ElNS0_10empty_typeEbEEZZNS1_14partition_implILS5_8ELb0ES3_jPlPS6_PKS6_NS0_5tupleIJS9_S6_EEENSD_IJSA_SA_EEENS0_18inequality_wrapperIZN2at6native12_GLOBAL__N_124unique_dim_cuda_templateIiEESt5tupleIJNSH_6TensorESM_SM_EERKSM_lbbbEUlllE0_EEPmJS6_EEE10hipError_tPvRmT3_T4_T5_T6_T7_T9_mT8_P12ihipStream_tbDpT10_ENKUlT_T0_E_clISt17integral_constantIbLb1EES1C_EEDaS17_S18_EUlS17_E_NS1_11comp_targetILNS1_3genE2ELNS1_11target_archE906ELNS1_3gpuE6ELNS1_3repE0EEENS1_30default_config_static_selectorELNS0_4arch9wavefront6targetE1EEEvT1_.num_named_barrier, 0
	.set _ZN7rocprim17ROCPRIM_400000_NS6detail17trampoline_kernelINS0_14default_configENS1_25partition_config_selectorILNS1_17partition_subalgoE8ElNS0_10empty_typeEbEEZZNS1_14partition_implILS5_8ELb0ES3_jPlPS6_PKS6_NS0_5tupleIJS9_S6_EEENSD_IJSA_SA_EEENS0_18inequality_wrapperIZN2at6native12_GLOBAL__N_124unique_dim_cuda_templateIiEESt5tupleIJNSH_6TensorESM_SM_EERKSM_lbbbEUlllE0_EEPmJS6_EEE10hipError_tPvRmT3_T4_T5_T6_T7_T9_mT8_P12ihipStream_tbDpT10_ENKUlT_T0_E_clISt17integral_constantIbLb1EES1C_EEDaS17_S18_EUlS17_E_NS1_11comp_targetILNS1_3genE2ELNS1_11target_archE906ELNS1_3gpuE6ELNS1_3repE0EEENS1_30default_config_static_selectorELNS0_4arch9wavefront6targetE1EEEvT1_.private_seg_size, 0
	.set _ZN7rocprim17ROCPRIM_400000_NS6detail17trampoline_kernelINS0_14default_configENS1_25partition_config_selectorILNS1_17partition_subalgoE8ElNS0_10empty_typeEbEEZZNS1_14partition_implILS5_8ELb0ES3_jPlPS6_PKS6_NS0_5tupleIJS9_S6_EEENSD_IJSA_SA_EEENS0_18inequality_wrapperIZN2at6native12_GLOBAL__N_124unique_dim_cuda_templateIiEESt5tupleIJNSH_6TensorESM_SM_EERKSM_lbbbEUlllE0_EEPmJS6_EEE10hipError_tPvRmT3_T4_T5_T6_T7_T9_mT8_P12ihipStream_tbDpT10_ENKUlT_T0_E_clISt17integral_constantIbLb1EES1C_EEDaS17_S18_EUlS17_E_NS1_11comp_targetILNS1_3genE2ELNS1_11target_archE906ELNS1_3gpuE6ELNS1_3repE0EEENS1_30default_config_static_selectorELNS0_4arch9wavefront6targetE1EEEvT1_.uses_vcc, 0
	.set _ZN7rocprim17ROCPRIM_400000_NS6detail17trampoline_kernelINS0_14default_configENS1_25partition_config_selectorILNS1_17partition_subalgoE8ElNS0_10empty_typeEbEEZZNS1_14partition_implILS5_8ELb0ES3_jPlPS6_PKS6_NS0_5tupleIJS9_S6_EEENSD_IJSA_SA_EEENS0_18inequality_wrapperIZN2at6native12_GLOBAL__N_124unique_dim_cuda_templateIiEESt5tupleIJNSH_6TensorESM_SM_EERKSM_lbbbEUlllE0_EEPmJS6_EEE10hipError_tPvRmT3_T4_T5_T6_T7_T9_mT8_P12ihipStream_tbDpT10_ENKUlT_T0_E_clISt17integral_constantIbLb1EES1C_EEDaS17_S18_EUlS17_E_NS1_11comp_targetILNS1_3genE2ELNS1_11target_archE906ELNS1_3gpuE6ELNS1_3repE0EEENS1_30default_config_static_selectorELNS0_4arch9wavefront6targetE1EEEvT1_.uses_flat_scratch, 0
	.set _ZN7rocprim17ROCPRIM_400000_NS6detail17trampoline_kernelINS0_14default_configENS1_25partition_config_selectorILNS1_17partition_subalgoE8ElNS0_10empty_typeEbEEZZNS1_14partition_implILS5_8ELb0ES3_jPlPS6_PKS6_NS0_5tupleIJS9_S6_EEENSD_IJSA_SA_EEENS0_18inequality_wrapperIZN2at6native12_GLOBAL__N_124unique_dim_cuda_templateIiEESt5tupleIJNSH_6TensorESM_SM_EERKSM_lbbbEUlllE0_EEPmJS6_EEE10hipError_tPvRmT3_T4_T5_T6_T7_T9_mT8_P12ihipStream_tbDpT10_ENKUlT_T0_E_clISt17integral_constantIbLb1EES1C_EEDaS17_S18_EUlS17_E_NS1_11comp_targetILNS1_3genE2ELNS1_11target_archE906ELNS1_3gpuE6ELNS1_3repE0EEENS1_30default_config_static_selectorELNS0_4arch9wavefront6targetE1EEEvT1_.has_dyn_sized_stack, 0
	.set _ZN7rocprim17ROCPRIM_400000_NS6detail17trampoline_kernelINS0_14default_configENS1_25partition_config_selectorILNS1_17partition_subalgoE8ElNS0_10empty_typeEbEEZZNS1_14partition_implILS5_8ELb0ES3_jPlPS6_PKS6_NS0_5tupleIJS9_S6_EEENSD_IJSA_SA_EEENS0_18inequality_wrapperIZN2at6native12_GLOBAL__N_124unique_dim_cuda_templateIiEESt5tupleIJNSH_6TensorESM_SM_EERKSM_lbbbEUlllE0_EEPmJS6_EEE10hipError_tPvRmT3_T4_T5_T6_T7_T9_mT8_P12ihipStream_tbDpT10_ENKUlT_T0_E_clISt17integral_constantIbLb1EES1C_EEDaS17_S18_EUlS17_E_NS1_11comp_targetILNS1_3genE2ELNS1_11target_archE906ELNS1_3gpuE6ELNS1_3repE0EEENS1_30default_config_static_selectorELNS0_4arch9wavefront6targetE1EEEvT1_.has_recursion, 0
	.set _ZN7rocprim17ROCPRIM_400000_NS6detail17trampoline_kernelINS0_14default_configENS1_25partition_config_selectorILNS1_17partition_subalgoE8ElNS0_10empty_typeEbEEZZNS1_14partition_implILS5_8ELb0ES3_jPlPS6_PKS6_NS0_5tupleIJS9_S6_EEENSD_IJSA_SA_EEENS0_18inequality_wrapperIZN2at6native12_GLOBAL__N_124unique_dim_cuda_templateIiEESt5tupleIJNSH_6TensorESM_SM_EERKSM_lbbbEUlllE0_EEPmJS6_EEE10hipError_tPvRmT3_T4_T5_T6_T7_T9_mT8_P12ihipStream_tbDpT10_ENKUlT_T0_E_clISt17integral_constantIbLb1EES1C_EEDaS17_S18_EUlS17_E_NS1_11comp_targetILNS1_3genE2ELNS1_11target_archE906ELNS1_3gpuE6ELNS1_3repE0EEENS1_30default_config_static_selectorELNS0_4arch9wavefront6targetE1EEEvT1_.has_indirect_call, 0
	.section	.AMDGPU.csdata,"",@progbits
; Kernel info:
; codeLenInByte = 0
; TotalNumSgprs: 6
; NumVgprs: 0
; NumAgprs: 0
; TotalNumVgprs: 0
; ScratchSize: 0
; MemoryBound: 0
; FloatMode: 240
; IeeeMode: 1
; LDSByteSize: 0 bytes/workgroup (compile time only)
; SGPRBlocks: 0
; VGPRBlocks: 0
; NumSGPRsForWavesPerEU: 6
; NumVGPRsForWavesPerEU: 1
; AccumOffset: 4
; Occupancy: 8
; WaveLimiterHint : 0
; COMPUTE_PGM_RSRC2:SCRATCH_EN: 0
; COMPUTE_PGM_RSRC2:USER_SGPR: 2
; COMPUTE_PGM_RSRC2:TRAP_HANDLER: 0
; COMPUTE_PGM_RSRC2:TGID_X_EN: 1
; COMPUTE_PGM_RSRC2:TGID_Y_EN: 0
; COMPUTE_PGM_RSRC2:TGID_Z_EN: 0
; COMPUTE_PGM_RSRC2:TIDIG_COMP_CNT: 0
; COMPUTE_PGM_RSRC3_GFX90A:ACCUM_OFFSET: 0
; COMPUTE_PGM_RSRC3_GFX90A:TG_SPLIT: 0
	.section	.text._ZN7rocprim17ROCPRIM_400000_NS6detail17trampoline_kernelINS0_14default_configENS1_25partition_config_selectorILNS1_17partition_subalgoE8ElNS0_10empty_typeEbEEZZNS1_14partition_implILS5_8ELb0ES3_jPlPS6_PKS6_NS0_5tupleIJS9_S6_EEENSD_IJSA_SA_EEENS0_18inequality_wrapperIZN2at6native12_GLOBAL__N_124unique_dim_cuda_templateIiEESt5tupleIJNSH_6TensorESM_SM_EERKSM_lbbbEUlllE0_EEPmJS6_EEE10hipError_tPvRmT3_T4_T5_T6_T7_T9_mT8_P12ihipStream_tbDpT10_ENKUlT_T0_E_clISt17integral_constantIbLb1EES1C_EEDaS17_S18_EUlS17_E_NS1_11comp_targetILNS1_3genE10ELNS1_11target_archE1200ELNS1_3gpuE4ELNS1_3repE0EEENS1_30default_config_static_selectorELNS0_4arch9wavefront6targetE1EEEvT1_,"axG",@progbits,_ZN7rocprim17ROCPRIM_400000_NS6detail17trampoline_kernelINS0_14default_configENS1_25partition_config_selectorILNS1_17partition_subalgoE8ElNS0_10empty_typeEbEEZZNS1_14partition_implILS5_8ELb0ES3_jPlPS6_PKS6_NS0_5tupleIJS9_S6_EEENSD_IJSA_SA_EEENS0_18inequality_wrapperIZN2at6native12_GLOBAL__N_124unique_dim_cuda_templateIiEESt5tupleIJNSH_6TensorESM_SM_EERKSM_lbbbEUlllE0_EEPmJS6_EEE10hipError_tPvRmT3_T4_T5_T6_T7_T9_mT8_P12ihipStream_tbDpT10_ENKUlT_T0_E_clISt17integral_constantIbLb1EES1C_EEDaS17_S18_EUlS17_E_NS1_11comp_targetILNS1_3genE10ELNS1_11target_archE1200ELNS1_3gpuE4ELNS1_3repE0EEENS1_30default_config_static_selectorELNS0_4arch9wavefront6targetE1EEEvT1_,comdat
	.globl	_ZN7rocprim17ROCPRIM_400000_NS6detail17trampoline_kernelINS0_14default_configENS1_25partition_config_selectorILNS1_17partition_subalgoE8ElNS0_10empty_typeEbEEZZNS1_14partition_implILS5_8ELb0ES3_jPlPS6_PKS6_NS0_5tupleIJS9_S6_EEENSD_IJSA_SA_EEENS0_18inequality_wrapperIZN2at6native12_GLOBAL__N_124unique_dim_cuda_templateIiEESt5tupleIJNSH_6TensorESM_SM_EERKSM_lbbbEUlllE0_EEPmJS6_EEE10hipError_tPvRmT3_T4_T5_T6_T7_T9_mT8_P12ihipStream_tbDpT10_ENKUlT_T0_E_clISt17integral_constantIbLb1EES1C_EEDaS17_S18_EUlS17_E_NS1_11comp_targetILNS1_3genE10ELNS1_11target_archE1200ELNS1_3gpuE4ELNS1_3repE0EEENS1_30default_config_static_selectorELNS0_4arch9wavefront6targetE1EEEvT1_ ; -- Begin function _ZN7rocprim17ROCPRIM_400000_NS6detail17trampoline_kernelINS0_14default_configENS1_25partition_config_selectorILNS1_17partition_subalgoE8ElNS0_10empty_typeEbEEZZNS1_14partition_implILS5_8ELb0ES3_jPlPS6_PKS6_NS0_5tupleIJS9_S6_EEENSD_IJSA_SA_EEENS0_18inequality_wrapperIZN2at6native12_GLOBAL__N_124unique_dim_cuda_templateIiEESt5tupleIJNSH_6TensorESM_SM_EERKSM_lbbbEUlllE0_EEPmJS6_EEE10hipError_tPvRmT3_T4_T5_T6_T7_T9_mT8_P12ihipStream_tbDpT10_ENKUlT_T0_E_clISt17integral_constantIbLb1EES1C_EEDaS17_S18_EUlS17_E_NS1_11comp_targetILNS1_3genE10ELNS1_11target_archE1200ELNS1_3gpuE4ELNS1_3repE0EEENS1_30default_config_static_selectorELNS0_4arch9wavefront6targetE1EEEvT1_
	.p2align	8
	.type	_ZN7rocprim17ROCPRIM_400000_NS6detail17trampoline_kernelINS0_14default_configENS1_25partition_config_selectorILNS1_17partition_subalgoE8ElNS0_10empty_typeEbEEZZNS1_14partition_implILS5_8ELb0ES3_jPlPS6_PKS6_NS0_5tupleIJS9_S6_EEENSD_IJSA_SA_EEENS0_18inequality_wrapperIZN2at6native12_GLOBAL__N_124unique_dim_cuda_templateIiEESt5tupleIJNSH_6TensorESM_SM_EERKSM_lbbbEUlllE0_EEPmJS6_EEE10hipError_tPvRmT3_T4_T5_T6_T7_T9_mT8_P12ihipStream_tbDpT10_ENKUlT_T0_E_clISt17integral_constantIbLb1EES1C_EEDaS17_S18_EUlS17_E_NS1_11comp_targetILNS1_3genE10ELNS1_11target_archE1200ELNS1_3gpuE4ELNS1_3repE0EEENS1_30default_config_static_selectorELNS0_4arch9wavefront6targetE1EEEvT1_,@function
_ZN7rocprim17ROCPRIM_400000_NS6detail17trampoline_kernelINS0_14default_configENS1_25partition_config_selectorILNS1_17partition_subalgoE8ElNS0_10empty_typeEbEEZZNS1_14partition_implILS5_8ELb0ES3_jPlPS6_PKS6_NS0_5tupleIJS9_S6_EEENSD_IJSA_SA_EEENS0_18inequality_wrapperIZN2at6native12_GLOBAL__N_124unique_dim_cuda_templateIiEESt5tupleIJNSH_6TensorESM_SM_EERKSM_lbbbEUlllE0_EEPmJS6_EEE10hipError_tPvRmT3_T4_T5_T6_T7_T9_mT8_P12ihipStream_tbDpT10_ENKUlT_T0_E_clISt17integral_constantIbLb1EES1C_EEDaS17_S18_EUlS17_E_NS1_11comp_targetILNS1_3genE10ELNS1_11target_archE1200ELNS1_3gpuE4ELNS1_3repE0EEENS1_30default_config_static_selectorELNS0_4arch9wavefront6targetE1EEEvT1_: ; @_ZN7rocprim17ROCPRIM_400000_NS6detail17trampoline_kernelINS0_14default_configENS1_25partition_config_selectorILNS1_17partition_subalgoE8ElNS0_10empty_typeEbEEZZNS1_14partition_implILS5_8ELb0ES3_jPlPS6_PKS6_NS0_5tupleIJS9_S6_EEENSD_IJSA_SA_EEENS0_18inequality_wrapperIZN2at6native12_GLOBAL__N_124unique_dim_cuda_templateIiEESt5tupleIJNSH_6TensorESM_SM_EERKSM_lbbbEUlllE0_EEPmJS6_EEE10hipError_tPvRmT3_T4_T5_T6_T7_T9_mT8_P12ihipStream_tbDpT10_ENKUlT_T0_E_clISt17integral_constantIbLb1EES1C_EEDaS17_S18_EUlS17_E_NS1_11comp_targetILNS1_3genE10ELNS1_11target_archE1200ELNS1_3gpuE4ELNS1_3repE0EEENS1_30default_config_static_selectorELNS0_4arch9wavefront6targetE1EEEvT1_
; %bb.0:
	.section	.rodata,"a",@progbits
	.p2align	6, 0x0
	.amdhsa_kernel _ZN7rocprim17ROCPRIM_400000_NS6detail17trampoline_kernelINS0_14default_configENS1_25partition_config_selectorILNS1_17partition_subalgoE8ElNS0_10empty_typeEbEEZZNS1_14partition_implILS5_8ELb0ES3_jPlPS6_PKS6_NS0_5tupleIJS9_S6_EEENSD_IJSA_SA_EEENS0_18inequality_wrapperIZN2at6native12_GLOBAL__N_124unique_dim_cuda_templateIiEESt5tupleIJNSH_6TensorESM_SM_EERKSM_lbbbEUlllE0_EEPmJS6_EEE10hipError_tPvRmT3_T4_T5_T6_T7_T9_mT8_P12ihipStream_tbDpT10_ENKUlT_T0_E_clISt17integral_constantIbLb1EES1C_EEDaS17_S18_EUlS17_E_NS1_11comp_targetILNS1_3genE10ELNS1_11target_archE1200ELNS1_3gpuE4ELNS1_3repE0EEENS1_30default_config_static_selectorELNS0_4arch9wavefront6targetE1EEEvT1_
		.amdhsa_group_segment_fixed_size 0
		.amdhsa_private_segment_fixed_size 0
		.amdhsa_kernarg_size 136
		.amdhsa_user_sgpr_count 2
		.amdhsa_user_sgpr_dispatch_ptr 0
		.amdhsa_user_sgpr_queue_ptr 0
		.amdhsa_user_sgpr_kernarg_segment_ptr 1
		.amdhsa_user_sgpr_dispatch_id 0
		.amdhsa_user_sgpr_kernarg_preload_length 0
		.amdhsa_user_sgpr_kernarg_preload_offset 0
		.amdhsa_user_sgpr_private_segment_size 0
		.amdhsa_uses_dynamic_stack 0
		.amdhsa_enable_private_segment 0
		.amdhsa_system_sgpr_workgroup_id_x 1
		.amdhsa_system_sgpr_workgroup_id_y 0
		.amdhsa_system_sgpr_workgroup_id_z 0
		.amdhsa_system_sgpr_workgroup_info 0
		.amdhsa_system_vgpr_workitem_id 0
		.amdhsa_next_free_vgpr 1
		.amdhsa_next_free_sgpr 0
		.amdhsa_accum_offset 4
		.amdhsa_reserve_vcc 0
		.amdhsa_float_round_mode_32 0
		.amdhsa_float_round_mode_16_64 0
		.amdhsa_float_denorm_mode_32 3
		.amdhsa_float_denorm_mode_16_64 3
		.amdhsa_dx10_clamp 1
		.amdhsa_ieee_mode 1
		.amdhsa_fp16_overflow 0
		.amdhsa_tg_split 0
		.amdhsa_exception_fp_ieee_invalid_op 0
		.amdhsa_exception_fp_denorm_src 0
		.amdhsa_exception_fp_ieee_div_zero 0
		.amdhsa_exception_fp_ieee_overflow 0
		.amdhsa_exception_fp_ieee_underflow 0
		.amdhsa_exception_fp_ieee_inexact 0
		.amdhsa_exception_int_div_zero 0
	.end_amdhsa_kernel
	.section	.text._ZN7rocprim17ROCPRIM_400000_NS6detail17trampoline_kernelINS0_14default_configENS1_25partition_config_selectorILNS1_17partition_subalgoE8ElNS0_10empty_typeEbEEZZNS1_14partition_implILS5_8ELb0ES3_jPlPS6_PKS6_NS0_5tupleIJS9_S6_EEENSD_IJSA_SA_EEENS0_18inequality_wrapperIZN2at6native12_GLOBAL__N_124unique_dim_cuda_templateIiEESt5tupleIJNSH_6TensorESM_SM_EERKSM_lbbbEUlllE0_EEPmJS6_EEE10hipError_tPvRmT3_T4_T5_T6_T7_T9_mT8_P12ihipStream_tbDpT10_ENKUlT_T0_E_clISt17integral_constantIbLb1EES1C_EEDaS17_S18_EUlS17_E_NS1_11comp_targetILNS1_3genE10ELNS1_11target_archE1200ELNS1_3gpuE4ELNS1_3repE0EEENS1_30default_config_static_selectorELNS0_4arch9wavefront6targetE1EEEvT1_,"axG",@progbits,_ZN7rocprim17ROCPRIM_400000_NS6detail17trampoline_kernelINS0_14default_configENS1_25partition_config_selectorILNS1_17partition_subalgoE8ElNS0_10empty_typeEbEEZZNS1_14partition_implILS5_8ELb0ES3_jPlPS6_PKS6_NS0_5tupleIJS9_S6_EEENSD_IJSA_SA_EEENS0_18inequality_wrapperIZN2at6native12_GLOBAL__N_124unique_dim_cuda_templateIiEESt5tupleIJNSH_6TensorESM_SM_EERKSM_lbbbEUlllE0_EEPmJS6_EEE10hipError_tPvRmT3_T4_T5_T6_T7_T9_mT8_P12ihipStream_tbDpT10_ENKUlT_T0_E_clISt17integral_constantIbLb1EES1C_EEDaS17_S18_EUlS17_E_NS1_11comp_targetILNS1_3genE10ELNS1_11target_archE1200ELNS1_3gpuE4ELNS1_3repE0EEENS1_30default_config_static_selectorELNS0_4arch9wavefront6targetE1EEEvT1_,comdat
.Lfunc_end454:
	.size	_ZN7rocprim17ROCPRIM_400000_NS6detail17trampoline_kernelINS0_14default_configENS1_25partition_config_selectorILNS1_17partition_subalgoE8ElNS0_10empty_typeEbEEZZNS1_14partition_implILS5_8ELb0ES3_jPlPS6_PKS6_NS0_5tupleIJS9_S6_EEENSD_IJSA_SA_EEENS0_18inequality_wrapperIZN2at6native12_GLOBAL__N_124unique_dim_cuda_templateIiEESt5tupleIJNSH_6TensorESM_SM_EERKSM_lbbbEUlllE0_EEPmJS6_EEE10hipError_tPvRmT3_T4_T5_T6_T7_T9_mT8_P12ihipStream_tbDpT10_ENKUlT_T0_E_clISt17integral_constantIbLb1EES1C_EEDaS17_S18_EUlS17_E_NS1_11comp_targetILNS1_3genE10ELNS1_11target_archE1200ELNS1_3gpuE4ELNS1_3repE0EEENS1_30default_config_static_selectorELNS0_4arch9wavefront6targetE1EEEvT1_, .Lfunc_end454-_ZN7rocprim17ROCPRIM_400000_NS6detail17trampoline_kernelINS0_14default_configENS1_25partition_config_selectorILNS1_17partition_subalgoE8ElNS0_10empty_typeEbEEZZNS1_14partition_implILS5_8ELb0ES3_jPlPS6_PKS6_NS0_5tupleIJS9_S6_EEENSD_IJSA_SA_EEENS0_18inequality_wrapperIZN2at6native12_GLOBAL__N_124unique_dim_cuda_templateIiEESt5tupleIJNSH_6TensorESM_SM_EERKSM_lbbbEUlllE0_EEPmJS6_EEE10hipError_tPvRmT3_T4_T5_T6_T7_T9_mT8_P12ihipStream_tbDpT10_ENKUlT_T0_E_clISt17integral_constantIbLb1EES1C_EEDaS17_S18_EUlS17_E_NS1_11comp_targetILNS1_3genE10ELNS1_11target_archE1200ELNS1_3gpuE4ELNS1_3repE0EEENS1_30default_config_static_selectorELNS0_4arch9wavefront6targetE1EEEvT1_
                                        ; -- End function
	.set _ZN7rocprim17ROCPRIM_400000_NS6detail17trampoline_kernelINS0_14default_configENS1_25partition_config_selectorILNS1_17partition_subalgoE8ElNS0_10empty_typeEbEEZZNS1_14partition_implILS5_8ELb0ES3_jPlPS6_PKS6_NS0_5tupleIJS9_S6_EEENSD_IJSA_SA_EEENS0_18inequality_wrapperIZN2at6native12_GLOBAL__N_124unique_dim_cuda_templateIiEESt5tupleIJNSH_6TensorESM_SM_EERKSM_lbbbEUlllE0_EEPmJS6_EEE10hipError_tPvRmT3_T4_T5_T6_T7_T9_mT8_P12ihipStream_tbDpT10_ENKUlT_T0_E_clISt17integral_constantIbLb1EES1C_EEDaS17_S18_EUlS17_E_NS1_11comp_targetILNS1_3genE10ELNS1_11target_archE1200ELNS1_3gpuE4ELNS1_3repE0EEENS1_30default_config_static_selectorELNS0_4arch9wavefront6targetE1EEEvT1_.num_vgpr, 0
	.set _ZN7rocprim17ROCPRIM_400000_NS6detail17trampoline_kernelINS0_14default_configENS1_25partition_config_selectorILNS1_17partition_subalgoE8ElNS0_10empty_typeEbEEZZNS1_14partition_implILS5_8ELb0ES3_jPlPS6_PKS6_NS0_5tupleIJS9_S6_EEENSD_IJSA_SA_EEENS0_18inequality_wrapperIZN2at6native12_GLOBAL__N_124unique_dim_cuda_templateIiEESt5tupleIJNSH_6TensorESM_SM_EERKSM_lbbbEUlllE0_EEPmJS6_EEE10hipError_tPvRmT3_T4_T5_T6_T7_T9_mT8_P12ihipStream_tbDpT10_ENKUlT_T0_E_clISt17integral_constantIbLb1EES1C_EEDaS17_S18_EUlS17_E_NS1_11comp_targetILNS1_3genE10ELNS1_11target_archE1200ELNS1_3gpuE4ELNS1_3repE0EEENS1_30default_config_static_selectorELNS0_4arch9wavefront6targetE1EEEvT1_.num_agpr, 0
	.set _ZN7rocprim17ROCPRIM_400000_NS6detail17trampoline_kernelINS0_14default_configENS1_25partition_config_selectorILNS1_17partition_subalgoE8ElNS0_10empty_typeEbEEZZNS1_14partition_implILS5_8ELb0ES3_jPlPS6_PKS6_NS0_5tupleIJS9_S6_EEENSD_IJSA_SA_EEENS0_18inequality_wrapperIZN2at6native12_GLOBAL__N_124unique_dim_cuda_templateIiEESt5tupleIJNSH_6TensorESM_SM_EERKSM_lbbbEUlllE0_EEPmJS6_EEE10hipError_tPvRmT3_T4_T5_T6_T7_T9_mT8_P12ihipStream_tbDpT10_ENKUlT_T0_E_clISt17integral_constantIbLb1EES1C_EEDaS17_S18_EUlS17_E_NS1_11comp_targetILNS1_3genE10ELNS1_11target_archE1200ELNS1_3gpuE4ELNS1_3repE0EEENS1_30default_config_static_selectorELNS0_4arch9wavefront6targetE1EEEvT1_.numbered_sgpr, 0
	.set _ZN7rocprim17ROCPRIM_400000_NS6detail17trampoline_kernelINS0_14default_configENS1_25partition_config_selectorILNS1_17partition_subalgoE8ElNS0_10empty_typeEbEEZZNS1_14partition_implILS5_8ELb0ES3_jPlPS6_PKS6_NS0_5tupleIJS9_S6_EEENSD_IJSA_SA_EEENS0_18inequality_wrapperIZN2at6native12_GLOBAL__N_124unique_dim_cuda_templateIiEESt5tupleIJNSH_6TensorESM_SM_EERKSM_lbbbEUlllE0_EEPmJS6_EEE10hipError_tPvRmT3_T4_T5_T6_T7_T9_mT8_P12ihipStream_tbDpT10_ENKUlT_T0_E_clISt17integral_constantIbLb1EES1C_EEDaS17_S18_EUlS17_E_NS1_11comp_targetILNS1_3genE10ELNS1_11target_archE1200ELNS1_3gpuE4ELNS1_3repE0EEENS1_30default_config_static_selectorELNS0_4arch9wavefront6targetE1EEEvT1_.num_named_barrier, 0
	.set _ZN7rocprim17ROCPRIM_400000_NS6detail17trampoline_kernelINS0_14default_configENS1_25partition_config_selectorILNS1_17partition_subalgoE8ElNS0_10empty_typeEbEEZZNS1_14partition_implILS5_8ELb0ES3_jPlPS6_PKS6_NS0_5tupleIJS9_S6_EEENSD_IJSA_SA_EEENS0_18inequality_wrapperIZN2at6native12_GLOBAL__N_124unique_dim_cuda_templateIiEESt5tupleIJNSH_6TensorESM_SM_EERKSM_lbbbEUlllE0_EEPmJS6_EEE10hipError_tPvRmT3_T4_T5_T6_T7_T9_mT8_P12ihipStream_tbDpT10_ENKUlT_T0_E_clISt17integral_constantIbLb1EES1C_EEDaS17_S18_EUlS17_E_NS1_11comp_targetILNS1_3genE10ELNS1_11target_archE1200ELNS1_3gpuE4ELNS1_3repE0EEENS1_30default_config_static_selectorELNS0_4arch9wavefront6targetE1EEEvT1_.private_seg_size, 0
	.set _ZN7rocprim17ROCPRIM_400000_NS6detail17trampoline_kernelINS0_14default_configENS1_25partition_config_selectorILNS1_17partition_subalgoE8ElNS0_10empty_typeEbEEZZNS1_14partition_implILS5_8ELb0ES3_jPlPS6_PKS6_NS0_5tupleIJS9_S6_EEENSD_IJSA_SA_EEENS0_18inequality_wrapperIZN2at6native12_GLOBAL__N_124unique_dim_cuda_templateIiEESt5tupleIJNSH_6TensorESM_SM_EERKSM_lbbbEUlllE0_EEPmJS6_EEE10hipError_tPvRmT3_T4_T5_T6_T7_T9_mT8_P12ihipStream_tbDpT10_ENKUlT_T0_E_clISt17integral_constantIbLb1EES1C_EEDaS17_S18_EUlS17_E_NS1_11comp_targetILNS1_3genE10ELNS1_11target_archE1200ELNS1_3gpuE4ELNS1_3repE0EEENS1_30default_config_static_selectorELNS0_4arch9wavefront6targetE1EEEvT1_.uses_vcc, 0
	.set _ZN7rocprim17ROCPRIM_400000_NS6detail17trampoline_kernelINS0_14default_configENS1_25partition_config_selectorILNS1_17partition_subalgoE8ElNS0_10empty_typeEbEEZZNS1_14partition_implILS5_8ELb0ES3_jPlPS6_PKS6_NS0_5tupleIJS9_S6_EEENSD_IJSA_SA_EEENS0_18inequality_wrapperIZN2at6native12_GLOBAL__N_124unique_dim_cuda_templateIiEESt5tupleIJNSH_6TensorESM_SM_EERKSM_lbbbEUlllE0_EEPmJS6_EEE10hipError_tPvRmT3_T4_T5_T6_T7_T9_mT8_P12ihipStream_tbDpT10_ENKUlT_T0_E_clISt17integral_constantIbLb1EES1C_EEDaS17_S18_EUlS17_E_NS1_11comp_targetILNS1_3genE10ELNS1_11target_archE1200ELNS1_3gpuE4ELNS1_3repE0EEENS1_30default_config_static_selectorELNS0_4arch9wavefront6targetE1EEEvT1_.uses_flat_scratch, 0
	.set _ZN7rocprim17ROCPRIM_400000_NS6detail17trampoline_kernelINS0_14default_configENS1_25partition_config_selectorILNS1_17partition_subalgoE8ElNS0_10empty_typeEbEEZZNS1_14partition_implILS5_8ELb0ES3_jPlPS6_PKS6_NS0_5tupleIJS9_S6_EEENSD_IJSA_SA_EEENS0_18inequality_wrapperIZN2at6native12_GLOBAL__N_124unique_dim_cuda_templateIiEESt5tupleIJNSH_6TensorESM_SM_EERKSM_lbbbEUlllE0_EEPmJS6_EEE10hipError_tPvRmT3_T4_T5_T6_T7_T9_mT8_P12ihipStream_tbDpT10_ENKUlT_T0_E_clISt17integral_constantIbLb1EES1C_EEDaS17_S18_EUlS17_E_NS1_11comp_targetILNS1_3genE10ELNS1_11target_archE1200ELNS1_3gpuE4ELNS1_3repE0EEENS1_30default_config_static_selectorELNS0_4arch9wavefront6targetE1EEEvT1_.has_dyn_sized_stack, 0
	.set _ZN7rocprim17ROCPRIM_400000_NS6detail17trampoline_kernelINS0_14default_configENS1_25partition_config_selectorILNS1_17partition_subalgoE8ElNS0_10empty_typeEbEEZZNS1_14partition_implILS5_8ELb0ES3_jPlPS6_PKS6_NS0_5tupleIJS9_S6_EEENSD_IJSA_SA_EEENS0_18inequality_wrapperIZN2at6native12_GLOBAL__N_124unique_dim_cuda_templateIiEESt5tupleIJNSH_6TensorESM_SM_EERKSM_lbbbEUlllE0_EEPmJS6_EEE10hipError_tPvRmT3_T4_T5_T6_T7_T9_mT8_P12ihipStream_tbDpT10_ENKUlT_T0_E_clISt17integral_constantIbLb1EES1C_EEDaS17_S18_EUlS17_E_NS1_11comp_targetILNS1_3genE10ELNS1_11target_archE1200ELNS1_3gpuE4ELNS1_3repE0EEENS1_30default_config_static_selectorELNS0_4arch9wavefront6targetE1EEEvT1_.has_recursion, 0
	.set _ZN7rocprim17ROCPRIM_400000_NS6detail17trampoline_kernelINS0_14default_configENS1_25partition_config_selectorILNS1_17partition_subalgoE8ElNS0_10empty_typeEbEEZZNS1_14partition_implILS5_8ELb0ES3_jPlPS6_PKS6_NS0_5tupleIJS9_S6_EEENSD_IJSA_SA_EEENS0_18inequality_wrapperIZN2at6native12_GLOBAL__N_124unique_dim_cuda_templateIiEESt5tupleIJNSH_6TensorESM_SM_EERKSM_lbbbEUlllE0_EEPmJS6_EEE10hipError_tPvRmT3_T4_T5_T6_T7_T9_mT8_P12ihipStream_tbDpT10_ENKUlT_T0_E_clISt17integral_constantIbLb1EES1C_EEDaS17_S18_EUlS17_E_NS1_11comp_targetILNS1_3genE10ELNS1_11target_archE1200ELNS1_3gpuE4ELNS1_3repE0EEENS1_30default_config_static_selectorELNS0_4arch9wavefront6targetE1EEEvT1_.has_indirect_call, 0
	.section	.AMDGPU.csdata,"",@progbits
; Kernel info:
; codeLenInByte = 0
; TotalNumSgprs: 6
; NumVgprs: 0
; NumAgprs: 0
; TotalNumVgprs: 0
; ScratchSize: 0
; MemoryBound: 0
; FloatMode: 240
; IeeeMode: 1
; LDSByteSize: 0 bytes/workgroup (compile time only)
; SGPRBlocks: 0
; VGPRBlocks: 0
; NumSGPRsForWavesPerEU: 6
; NumVGPRsForWavesPerEU: 1
; AccumOffset: 4
; Occupancy: 8
; WaveLimiterHint : 0
; COMPUTE_PGM_RSRC2:SCRATCH_EN: 0
; COMPUTE_PGM_RSRC2:USER_SGPR: 2
; COMPUTE_PGM_RSRC2:TRAP_HANDLER: 0
; COMPUTE_PGM_RSRC2:TGID_X_EN: 1
; COMPUTE_PGM_RSRC2:TGID_Y_EN: 0
; COMPUTE_PGM_RSRC2:TGID_Z_EN: 0
; COMPUTE_PGM_RSRC2:TIDIG_COMP_CNT: 0
; COMPUTE_PGM_RSRC3_GFX90A:ACCUM_OFFSET: 0
; COMPUTE_PGM_RSRC3_GFX90A:TG_SPLIT: 0
	.section	.text._ZN7rocprim17ROCPRIM_400000_NS6detail17trampoline_kernelINS0_14default_configENS1_25partition_config_selectorILNS1_17partition_subalgoE8ElNS0_10empty_typeEbEEZZNS1_14partition_implILS5_8ELb0ES3_jPlPS6_PKS6_NS0_5tupleIJS9_S6_EEENSD_IJSA_SA_EEENS0_18inequality_wrapperIZN2at6native12_GLOBAL__N_124unique_dim_cuda_templateIiEESt5tupleIJNSH_6TensorESM_SM_EERKSM_lbbbEUlllE0_EEPmJS6_EEE10hipError_tPvRmT3_T4_T5_T6_T7_T9_mT8_P12ihipStream_tbDpT10_ENKUlT_T0_E_clISt17integral_constantIbLb1EES1C_EEDaS17_S18_EUlS17_E_NS1_11comp_targetILNS1_3genE9ELNS1_11target_archE1100ELNS1_3gpuE3ELNS1_3repE0EEENS1_30default_config_static_selectorELNS0_4arch9wavefront6targetE1EEEvT1_,"axG",@progbits,_ZN7rocprim17ROCPRIM_400000_NS6detail17trampoline_kernelINS0_14default_configENS1_25partition_config_selectorILNS1_17partition_subalgoE8ElNS0_10empty_typeEbEEZZNS1_14partition_implILS5_8ELb0ES3_jPlPS6_PKS6_NS0_5tupleIJS9_S6_EEENSD_IJSA_SA_EEENS0_18inequality_wrapperIZN2at6native12_GLOBAL__N_124unique_dim_cuda_templateIiEESt5tupleIJNSH_6TensorESM_SM_EERKSM_lbbbEUlllE0_EEPmJS6_EEE10hipError_tPvRmT3_T4_T5_T6_T7_T9_mT8_P12ihipStream_tbDpT10_ENKUlT_T0_E_clISt17integral_constantIbLb1EES1C_EEDaS17_S18_EUlS17_E_NS1_11comp_targetILNS1_3genE9ELNS1_11target_archE1100ELNS1_3gpuE3ELNS1_3repE0EEENS1_30default_config_static_selectorELNS0_4arch9wavefront6targetE1EEEvT1_,comdat
	.globl	_ZN7rocprim17ROCPRIM_400000_NS6detail17trampoline_kernelINS0_14default_configENS1_25partition_config_selectorILNS1_17partition_subalgoE8ElNS0_10empty_typeEbEEZZNS1_14partition_implILS5_8ELb0ES3_jPlPS6_PKS6_NS0_5tupleIJS9_S6_EEENSD_IJSA_SA_EEENS0_18inequality_wrapperIZN2at6native12_GLOBAL__N_124unique_dim_cuda_templateIiEESt5tupleIJNSH_6TensorESM_SM_EERKSM_lbbbEUlllE0_EEPmJS6_EEE10hipError_tPvRmT3_T4_T5_T6_T7_T9_mT8_P12ihipStream_tbDpT10_ENKUlT_T0_E_clISt17integral_constantIbLb1EES1C_EEDaS17_S18_EUlS17_E_NS1_11comp_targetILNS1_3genE9ELNS1_11target_archE1100ELNS1_3gpuE3ELNS1_3repE0EEENS1_30default_config_static_selectorELNS0_4arch9wavefront6targetE1EEEvT1_ ; -- Begin function _ZN7rocprim17ROCPRIM_400000_NS6detail17trampoline_kernelINS0_14default_configENS1_25partition_config_selectorILNS1_17partition_subalgoE8ElNS0_10empty_typeEbEEZZNS1_14partition_implILS5_8ELb0ES3_jPlPS6_PKS6_NS0_5tupleIJS9_S6_EEENSD_IJSA_SA_EEENS0_18inequality_wrapperIZN2at6native12_GLOBAL__N_124unique_dim_cuda_templateIiEESt5tupleIJNSH_6TensorESM_SM_EERKSM_lbbbEUlllE0_EEPmJS6_EEE10hipError_tPvRmT3_T4_T5_T6_T7_T9_mT8_P12ihipStream_tbDpT10_ENKUlT_T0_E_clISt17integral_constantIbLb1EES1C_EEDaS17_S18_EUlS17_E_NS1_11comp_targetILNS1_3genE9ELNS1_11target_archE1100ELNS1_3gpuE3ELNS1_3repE0EEENS1_30default_config_static_selectorELNS0_4arch9wavefront6targetE1EEEvT1_
	.p2align	8
	.type	_ZN7rocprim17ROCPRIM_400000_NS6detail17trampoline_kernelINS0_14default_configENS1_25partition_config_selectorILNS1_17partition_subalgoE8ElNS0_10empty_typeEbEEZZNS1_14partition_implILS5_8ELb0ES3_jPlPS6_PKS6_NS0_5tupleIJS9_S6_EEENSD_IJSA_SA_EEENS0_18inequality_wrapperIZN2at6native12_GLOBAL__N_124unique_dim_cuda_templateIiEESt5tupleIJNSH_6TensorESM_SM_EERKSM_lbbbEUlllE0_EEPmJS6_EEE10hipError_tPvRmT3_T4_T5_T6_T7_T9_mT8_P12ihipStream_tbDpT10_ENKUlT_T0_E_clISt17integral_constantIbLb1EES1C_EEDaS17_S18_EUlS17_E_NS1_11comp_targetILNS1_3genE9ELNS1_11target_archE1100ELNS1_3gpuE3ELNS1_3repE0EEENS1_30default_config_static_selectorELNS0_4arch9wavefront6targetE1EEEvT1_,@function
_ZN7rocprim17ROCPRIM_400000_NS6detail17trampoline_kernelINS0_14default_configENS1_25partition_config_selectorILNS1_17partition_subalgoE8ElNS0_10empty_typeEbEEZZNS1_14partition_implILS5_8ELb0ES3_jPlPS6_PKS6_NS0_5tupleIJS9_S6_EEENSD_IJSA_SA_EEENS0_18inequality_wrapperIZN2at6native12_GLOBAL__N_124unique_dim_cuda_templateIiEESt5tupleIJNSH_6TensorESM_SM_EERKSM_lbbbEUlllE0_EEPmJS6_EEE10hipError_tPvRmT3_T4_T5_T6_T7_T9_mT8_P12ihipStream_tbDpT10_ENKUlT_T0_E_clISt17integral_constantIbLb1EES1C_EEDaS17_S18_EUlS17_E_NS1_11comp_targetILNS1_3genE9ELNS1_11target_archE1100ELNS1_3gpuE3ELNS1_3repE0EEENS1_30default_config_static_selectorELNS0_4arch9wavefront6targetE1EEEvT1_: ; @_ZN7rocprim17ROCPRIM_400000_NS6detail17trampoline_kernelINS0_14default_configENS1_25partition_config_selectorILNS1_17partition_subalgoE8ElNS0_10empty_typeEbEEZZNS1_14partition_implILS5_8ELb0ES3_jPlPS6_PKS6_NS0_5tupleIJS9_S6_EEENSD_IJSA_SA_EEENS0_18inequality_wrapperIZN2at6native12_GLOBAL__N_124unique_dim_cuda_templateIiEESt5tupleIJNSH_6TensorESM_SM_EERKSM_lbbbEUlllE0_EEPmJS6_EEE10hipError_tPvRmT3_T4_T5_T6_T7_T9_mT8_P12ihipStream_tbDpT10_ENKUlT_T0_E_clISt17integral_constantIbLb1EES1C_EEDaS17_S18_EUlS17_E_NS1_11comp_targetILNS1_3genE9ELNS1_11target_archE1100ELNS1_3gpuE3ELNS1_3repE0EEENS1_30default_config_static_selectorELNS0_4arch9wavefront6targetE1EEEvT1_
; %bb.0:
	.section	.rodata,"a",@progbits
	.p2align	6, 0x0
	.amdhsa_kernel _ZN7rocprim17ROCPRIM_400000_NS6detail17trampoline_kernelINS0_14default_configENS1_25partition_config_selectorILNS1_17partition_subalgoE8ElNS0_10empty_typeEbEEZZNS1_14partition_implILS5_8ELb0ES3_jPlPS6_PKS6_NS0_5tupleIJS9_S6_EEENSD_IJSA_SA_EEENS0_18inequality_wrapperIZN2at6native12_GLOBAL__N_124unique_dim_cuda_templateIiEESt5tupleIJNSH_6TensorESM_SM_EERKSM_lbbbEUlllE0_EEPmJS6_EEE10hipError_tPvRmT3_T4_T5_T6_T7_T9_mT8_P12ihipStream_tbDpT10_ENKUlT_T0_E_clISt17integral_constantIbLb1EES1C_EEDaS17_S18_EUlS17_E_NS1_11comp_targetILNS1_3genE9ELNS1_11target_archE1100ELNS1_3gpuE3ELNS1_3repE0EEENS1_30default_config_static_selectorELNS0_4arch9wavefront6targetE1EEEvT1_
		.amdhsa_group_segment_fixed_size 0
		.amdhsa_private_segment_fixed_size 0
		.amdhsa_kernarg_size 136
		.amdhsa_user_sgpr_count 2
		.amdhsa_user_sgpr_dispatch_ptr 0
		.amdhsa_user_sgpr_queue_ptr 0
		.amdhsa_user_sgpr_kernarg_segment_ptr 1
		.amdhsa_user_sgpr_dispatch_id 0
		.amdhsa_user_sgpr_kernarg_preload_length 0
		.amdhsa_user_sgpr_kernarg_preload_offset 0
		.amdhsa_user_sgpr_private_segment_size 0
		.amdhsa_uses_dynamic_stack 0
		.amdhsa_enable_private_segment 0
		.amdhsa_system_sgpr_workgroup_id_x 1
		.amdhsa_system_sgpr_workgroup_id_y 0
		.amdhsa_system_sgpr_workgroup_id_z 0
		.amdhsa_system_sgpr_workgroup_info 0
		.amdhsa_system_vgpr_workitem_id 0
		.amdhsa_next_free_vgpr 1
		.amdhsa_next_free_sgpr 0
		.amdhsa_accum_offset 4
		.amdhsa_reserve_vcc 0
		.amdhsa_float_round_mode_32 0
		.amdhsa_float_round_mode_16_64 0
		.amdhsa_float_denorm_mode_32 3
		.amdhsa_float_denorm_mode_16_64 3
		.amdhsa_dx10_clamp 1
		.amdhsa_ieee_mode 1
		.amdhsa_fp16_overflow 0
		.amdhsa_tg_split 0
		.amdhsa_exception_fp_ieee_invalid_op 0
		.amdhsa_exception_fp_denorm_src 0
		.amdhsa_exception_fp_ieee_div_zero 0
		.amdhsa_exception_fp_ieee_overflow 0
		.amdhsa_exception_fp_ieee_underflow 0
		.amdhsa_exception_fp_ieee_inexact 0
		.amdhsa_exception_int_div_zero 0
	.end_amdhsa_kernel
	.section	.text._ZN7rocprim17ROCPRIM_400000_NS6detail17trampoline_kernelINS0_14default_configENS1_25partition_config_selectorILNS1_17partition_subalgoE8ElNS0_10empty_typeEbEEZZNS1_14partition_implILS5_8ELb0ES3_jPlPS6_PKS6_NS0_5tupleIJS9_S6_EEENSD_IJSA_SA_EEENS0_18inequality_wrapperIZN2at6native12_GLOBAL__N_124unique_dim_cuda_templateIiEESt5tupleIJNSH_6TensorESM_SM_EERKSM_lbbbEUlllE0_EEPmJS6_EEE10hipError_tPvRmT3_T4_T5_T6_T7_T9_mT8_P12ihipStream_tbDpT10_ENKUlT_T0_E_clISt17integral_constantIbLb1EES1C_EEDaS17_S18_EUlS17_E_NS1_11comp_targetILNS1_3genE9ELNS1_11target_archE1100ELNS1_3gpuE3ELNS1_3repE0EEENS1_30default_config_static_selectorELNS0_4arch9wavefront6targetE1EEEvT1_,"axG",@progbits,_ZN7rocprim17ROCPRIM_400000_NS6detail17trampoline_kernelINS0_14default_configENS1_25partition_config_selectorILNS1_17partition_subalgoE8ElNS0_10empty_typeEbEEZZNS1_14partition_implILS5_8ELb0ES3_jPlPS6_PKS6_NS0_5tupleIJS9_S6_EEENSD_IJSA_SA_EEENS0_18inequality_wrapperIZN2at6native12_GLOBAL__N_124unique_dim_cuda_templateIiEESt5tupleIJNSH_6TensorESM_SM_EERKSM_lbbbEUlllE0_EEPmJS6_EEE10hipError_tPvRmT3_T4_T5_T6_T7_T9_mT8_P12ihipStream_tbDpT10_ENKUlT_T0_E_clISt17integral_constantIbLb1EES1C_EEDaS17_S18_EUlS17_E_NS1_11comp_targetILNS1_3genE9ELNS1_11target_archE1100ELNS1_3gpuE3ELNS1_3repE0EEENS1_30default_config_static_selectorELNS0_4arch9wavefront6targetE1EEEvT1_,comdat
.Lfunc_end455:
	.size	_ZN7rocprim17ROCPRIM_400000_NS6detail17trampoline_kernelINS0_14default_configENS1_25partition_config_selectorILNS1_17partition_subalgoE8ElNS0_10empty_typeEbEEZZNS1_14partition_implILS5_8ELb0ES3_jPlPS6_PKS6_NS0_5tupleIJS9_S6_EEENSD_IJSA_SA_EEENS0_18inequality_wrapperIZN2at6native12_GLOBAL__N_124unique_dim_cuda_templateIiEESt5tupleIJNSH_6TensorESM_SM_EERKSM_lbbbEUlllE0_EEPmJS6_EEE10hipError_tPvRmT3_T4_T5_T6_T7_T9_mT8_P12ihipStream_tbDpT10_ENKUlT_T0_E_clISt17integral_constantIbLb1EES1C_EEDaS17_S18_EUlS17_E_NS1_11comp_targetILNS1_3genE9ELNS1_11target_archE1100ELNS1_3gpuE3ELNS1_3repE0EEENS1_30default_config_static_selectorELNS0_4arch9wavefront6targetE1EEEvT1_, .Lfunc_end455-_ZN7rocprim17ROCPRIM_400000_NS6detail17trampoline_kernelINS0_14default_configENS1_25partition_config_selectorILNS1_17partition_subalgoE8ElNS0_10empty_typeEbEEZZNS1_14partition_implILS5_8ELb0ES3_jPlPS6_PKS6_NS0_5tupleIJS9_S6_EEENSD_IJSA_SA_EEENS0_18inequality_wrapperIZN2at6native12_GLOBAL__N_124unique_dim_cuda_templateIiEESt5tupleIJNSH_6TensorESM_SM_EERKSM_lbbbEUlllE0_EEPmJS6_EEE10hipError_tPvRmT3_T4_T5_T6_T7_T9_mT8_P12ihipStream_tbDpT10_ENKUlT_T0_E_clISt17integral_constantIbLb1EES1C_EEDaS17_S18_EUlS17_E_NS1_11comp_targetILNS1_3genE9ELNS1_11target_archE1100ELNS1_3gpuE3ELNS1_3repE0EEENS1_30default_config_static_selectorELNS0_4arch9wavefront6targetE1EEEvT1_
                                        ; -- End function
	.set _ZN7rocprim17ROCPRIM_400000_NS6detail17trampoline_kernelINS0_14default_configENS1_25partition_config_selectorILNS1_17partition_subalgoE8ElNS0_10empty_typeEbEEZZNS1_14partition_implILS5_8ELb0ES3_jPlPS6_PKS6_NS0_5tupleIJS9_S6_EEENSD_IJSA_SA_EEENS0_18inequality_wrapperIZN2at6native12_GLOBAL__N_124unique_dim_cuda_templateIiEESt5tupleIJNSH_6TensorESM_SM_EERKSM_lbbbEUlllE0_EEPmJS6_EEE10hipError_tPvRmT3_T4_T5_T6_T7_T9_mT8_P12ihipStream_tbDpT10_ENKUlT_T0_E_clISt17integral_constantIbLb1EES1C_EEDaS17_S18_EUlS17_E_NS1_11comp_targetILNS1_3genE9ELNS1_11target_archE1100ELNS1_3gpuE3ELNS1_3repE0EEENS1_30default_config_static_selectorELNS0_4arch9wavefront6targetE1EEEvT1_.num_vgpr, 0
	.set _ZN7rocprim17ROCPRIM_400000_NS6detail17trampoline_kernelINS0_14default_configENS1_25partition_config_selectorILNS1_17partition_subalgoE8ElNS0_10empty_typeEbEEZZNS1_14partition_implILS5_8ELb0ES3_jPlPS6_PKS6_NS0_5tupleIJS9_S6_EEENSD_IJSA_SA_EEENS0_18inequality_wrapperIZN2at6native12_GLOBAL__N_124unique_dim_cuda_templateIiEESt5tupleIJNSH_6TensorESM_SM_EERKSM_lbbbEUlllE0_EEPmJS6_EEE10hipError_tPvRmT3_T4_T5_T6_T7_T9_mT8_P12ihipStream_tbDpT10_ENKUlT_T0_E_clISt17integral_constantIbLb1EES1C_EEDaS17_S18_EUlS17_E_NS1_11comp_targetILNS1_3genE9ELNS1_11target_archE1100ELNS1_3gpuE3ELNS1_3repE0EEENS1_30default_config_static_selectorELNS0_4arch9wavefront6targetE1EEEvT1_.num_agpr, 0
	.set _ZN7rocprim17ROCPRIM_400000_NS6detail17trampoline_kernelINS0_14default_configENS1_25partition_config_selectorILNS1_17partition_subalgoE8ElNS0_10empty_typeEbEEZZNS1_14partition_implILS5_8ELb0ES3_jPlPS6_PKS6_NS0_5tupleIJS9_S6_EEENSD_IJSA_SA_EEENS0_18inequality_wrapperIZN2at6native12_GLOBAL__N_124unique_dim_cuda_templateIiEESt5tupleIJNSH_6TensorESM_SM_EERKSM_lbbbEUlllE0_EEPmJS6_EEE10hipError_tPvRmT3_T4_T5_T6_T7_T9_mT8_P12ihipStream_tbDpT10_ENKUlT_T0_E_clISt17integral_constantIbLb1EES1C_EEDaS17_S18_EUlS17_E_NS1_11comp_targetILNS1_3genE9ELNS1_11target_archE1100ELNS1_3gpuE3ELNS1_3repE0EEENS1_30default_config_static_selectorELNS0_4arch9wavefront6targetE1EEEvT1_.numbered_sgpr, 0
	.set _ZN7rocprim17ROCPRIM_400000_NS6detail17trampoline_kernelINS0_14default_configENS1_25partition_config_selectorILNS1_17partition_subalgoE8ElNS0_10empty_typeEbEEZZNS1_14partition_implILS5_8ELb0ES3_jPlPS6_PKS6_NS0_5tupleIJS9_S6_EEENSD_IJSA_SA_EEENS0_18inequality_wrapperIZN2at6native12_GLOBAL__N_124unique_dim_cuda_templateIiEESt5tupleIJNSH_6TensorESM_SM_EERKSM_lbbbEUlllE0_EEPmJS6_EEE10hipError_tPvRmT3_T4_T5_T6_T7_T9_mT8_P12ihipStream_tbDpT10_ENKUlT_T0_E_clISt17integral_constantIbLb1EES1C_EEDaS17_S18_EUlS17_E_NS1_11comp_targetILNS1_3genE9ELNS1_11target_archE1100ELNS1_3gpuE3ELNS1_3repE0EEENS1_30default_config_static_selectorELNS0_4arch9wavefront6targetE1EEEvT1_.num_named_barrier, 0
	.set _ZN7rocprim17ROCPRIM_400000_NS6detail17trampoline_kernelINS0_14default_configENS1_25partition_config_selectorILNS1_17partition_subalgoE8ElNS0_10empty_typeEbEEZZNS1_14partition_implILS5_8ELb0ES3_jPlPS6_PKS6_NS0_5tupleIJS9_S6_EEENSD_IJSA_SA_EEENS0_18inequality_wrapperIZN2at6native12_GLOBAL__N_124unique_dim_cuda_templateIiEESt5tupleIJNSH_6TensorESM_SM_EERKSM_lbbbEUlllE0_EEPmJS6_EEE10hipError_tPvRmT3_T4_T5_T6_T7_T9_mT8_P12ihipStream_tbDpT10_ENKUlT_T0_E_clISt17integral_constantIbLb1EES1C_EEDaS17_S18_EUlS17_E_NS1_11comp_targetILNS1_3genE9ELNS1_11target_archE1100ELNS1_3gpuE3ELNS1_3repE0EEENS1_30default_config_static_selectorELNS0_4arch9wavefront6targetE1EEEvT1_.private_seg_size, 0
	.set _ZN7rocprim17ROCPRIM_400000_NS6detail17trampoline_kernelINS0_14default_configENS1_25partition_config_selectorILNS1_17partition_subalgoE8ElNS0_10empty_typeEbEEZZNS1_14partition_implILS5_8ELb0ES3_jPlPS6_PKS6_NS0_5tupleIJS9_S6_EEENSD_IJSA_SA_EEENS0_18inequality_wrapperIZN2at6native12_GLOBAL__N_124unique_dim_cuda_templateIiEESt5tupleIJNSH_6TensorESM_SM_EERKSM_lbbbEUlllE0_EEPmJS6_EEE10hipError_tPvRmT3_T4_T5_T6_T7_T9_mT8_P12ihipStream_tbDpT10_ENKUlT_T0_E_clISt17integral_constantIbLb1EES1C_EEDaS17_S18_EUlS17_E_NS1_11comp_targetILNS1_3genE9ELNS1_11target_archE1100ELNS1_3gpuE3ELNS1_3repE0EEENS1_30default_config_static_selectorELNS0_4arch9wavefront6targetE1EEEvT1_.uses_vcc, 0
	.set _ZN7rocprim17ROCPRIM_400000_NS6detail17trampoline_kernelINS0_14default_configENS1_25partition_config_selectorILNS1_17partition_subalgoE8ElNS0_10empty_typeEbEEZZNS1_14partition_implILS5_8ELb0ES3_jPlPS6_PKS6_NS0_5tupleIJS9_S6_EEENSD_IJSA_SA_EEENS0_18inequality_wrapperIZN2at6native12_GLOBAL__N_124unique_dim_cuda_templateIiEESt5tupleIJNSH_6TensorESM_SM_EERKSM_lbbbEUlllE0_EEPmJS6_EEE10hipError_tPvRmT3_T4_T5_T6_T7_T9_mT8_P12ihipStream_tbDpT10_ENKUlT_T0_E_clISt17integral_constantIbLb1EES1C_EEDaS17_S18_EUlS17_E_NS1_11comp_targetILNS1_3genE9ELNS1_11target_archE1100ELNS1_3gpuE3ELNS1_3repE0EEENS1_30default_config_static_selectorELNS0_4arch9wavefront6targetE1EEEvT1_.uses_flat_scratch, 0
	.set _ZN7rocprim17ROCPRIM_400000_NS6detail17trampoline_kernelINS0_14default_configENS1_25partition_config_selectorILNS1_17partition_subalgoE8ElNS0_10empty_typeEbEEZZNS1_14partition_implILS5_8ELb0ES3_jPlPS6_PKS6_NS0_5tupleIJS9_S6_EEENSD_IJSA_SA_EEENS0_18inequality_wrapperIZN2at6native12_GLOBAL__N_124unique_dim_cuda_templateIiEESt5tupleIJNSH_6TensorESM_SM_EERKSM_lbbbEUlllE0_EEPmJS6_EEE10hipError_tPvRmT3_T4_T5_T6_T7_T9_mT8_P12ihipStream_tbDpT10_ENKUlT_T0_E_clISt17integral_constantIbLb1EES1C_EEDaS17_S18_EUlS17_E_NS1_11comp_targetILNS1_3genE9ELNS1_11target_archE1100ELNS1_3gpuE3ELNS1_3repE0EEENS1_30default_config_static_selectorELNS0_4arch9wavefront6targetE1EEEvT1_.has_dyn_sized_stack, 0
	.set _ZN7rocprim17ROCPRIM_400000_NS6detail17trampoline_kernelINS0_14default_configENS1_25partition_config_selectorILNS1_17partition_subalgoE8ElNS0_10empty_typeEbEEZZNS1_14partition_implILS5_8ELb0ES3_jPlPS6_PKS6_NS0_5tupleIJS9_S6_EEENSD_IJSA_SA_EEENS0_18inequality_wrapperIZN2at6native12_GLOBAL__N_124unique_dim_cuda_templateIiEESt5tupleIJNSH_6TensorESM_SM_EERKSM_lbbbEUlllE0_EEPmJS6_EEE10hipError_tPvRmT3_T4_T5_T6_T7_T9_mT8_P12ihipStream_tbDpT10_ENKUlT_T0_E_clISt17integral_constantIbLb1EES1C_EEDaS17_S18_EUlS17_E_NS1_11comp_targetILNS1_3genE9ELNS1_11target_archE1100ELNS1_3gpuE3ELNS1_3repE0EEENS1_30default_config_static_selectorELNS0_4arch9wavefront6targetE1EEEvT1_.has_recursion, 0
	.set _ZN7rocprim17ROCPRIM_400000_NS6detail17trampoline_kernelINS0_14default_configENS1_25partition_config_selectorILNS1_17partition_subalgoE8ElNS0_10empty_typeEbEEZZNS1_14partition_implILS5_8ELb0ES3_jPlPS6_PKS6_NS0_5tupleIJS9_S6_EEENSD_IJSA_SA_EEENS0_18inequality_wrapperIZN2at6native12_GLOBAL__N_124unique_dim_cuda_templateIiEESt5tupleIJNSH_6TensorESM_SM_EERKSM_lbbbEUlllE0_EEPmJS6_EEE10hipError_tPvRmT3_T4_T5_T6_T7_T9_mT8_P12ihipStream_tbDpT10_ENKUlT_T0_E_clISt17integral_constantIbLb1EES1C_EEDaS17_S18_EUlS17_E_NS1_11comp_targetILNS1_3genE9ELNS1_11target_archE1100ELNS1_3gpuE3ELNS1_3repE0EEENS1_30default_config_static_selectorELNS0_4arch9wavefront6targetE1EEEvT1_.has_indirect_call, 0
	.section	.AMDGPU.csdata,"",@progbits
; Kernel info:
; codeLenInByte = 0
; TotalNumSgprs: 6
; NumVgprs: 0
; NumAgprs: 0
; TotalNumVgprs: 0
; ScratchSize: 0
; MemoryBound: 0
; FloatMode: 240
; IeeeMode: 1
; LDSByteSize: 0 bytes/workgroup (compile time only)
; SGPRBlocks: 0
; VGPRBlocks: 0
; NumSGPRsForWavesPerEU: 6
; NumVGPRsForWavesPerEU: 1
; AccumOffset: 4
; Occupancy: 8
; WaveLimiterHint : 0
; COMPUTE_PGM_RSRC2:SCRATCH_EN: 0
; COMPUTE_PGM_RSRC2:USER_SGPR: 2
; COMPUTE_PGM_RSRC2:TRAP_HANDLER: 0
; COMPUTE_PGM_RSRC2:TGID_X_EN: 1
; COMPUTE_PGM_RSRC2:TGID_Y_EN: 0
; COMPUTE_PGM_RSRC2:TGID_Z_EN: 0
; COMPUTE_PGM_RSRC2:TIDIG_COMP_CNT: 0
; COMPUTE_PGM_RSRC3_GFX90A:ACCUM_OFFSET: 0
; COMPUTE_PGM_RSRC3_GFX90A:TG_SPLIT: 0
	.section	.text._ZN7rocprim17ROCPRIM_400000_NS6detail17trampoline_kernelINS0_14default_configENS1_25partition_config_selectorILNS1_17partition_subalgoE8ElNS0_10empty_typeEbEEZZNS1_14partition_implILS5_8ELb0ES3_jPlPS6_PKS6_NS0_5tupleIJS9_S6_EEENSD_IJSA_SA_EEENS0_18inequality_wrapperIZN2at6native12_GLOBAL__N_124unique_dim_cuda_templateIiEESt5tupleIJNSH_6TensorESM_SM_EERKSM_lbbbEUlllE0_EEPmJS6_EEE10hipError_tPvRmT3_T4_T5_T6_T7_T9_mT8_P12ihipStream_tbDpT10_ENKUlT_T0_E_clISt17integral_constantIbLb1EES1C_EEDaS17_S18_EUlS17_E_NS1_11comp_targetILNS1_3genE8ELNS1_11target_archE1030ELNS1_3gpuE2ELNS1_3repE0EEENS1_30default_config_static_selectorELNS0_4arch9wavefront6targetE1EEEvT1_,"axG",@progbits,_ZN7rocprim17ROCPRIM_400000_NS6detail17trampoline_kernelINS0_14default_configENS1_25partition_config_selectorILNS1_17partition_subalgoE8ElNS0_10empty_typeEbEEZZNS1_14partition_implILS5_8ELb0ES3_jPlPS6_PKS6_NS0_5tupleIJS9_S6_EEENSD_IJSA_SA_EEENS0_18inequality_wrapperIZN2at6native12_GLOBAL__N_124unique_dim_cuda_templateIiEESt5tupleIJNSH_6TensorESM_SM_EERKSM_lbbbEUlllE0_EEPmJS6_EEE10hipError_tPvRmT3_T4_T5_T6_T7_T9_mT8_P12ihipStream_tbDpT10_ENKUlT_T0_E_clISt17integral_constantIbLb1EES1C_EEDaS17_S18_EUlS17_E_NS1_11comp_targetILNS1_3genE8ELNS1_11target_archE1030ELNS1_3gpuE2ELNS1_3repE0EEENS1_30default_config_static_selectorELNS0_4arch9wavefront6targetE1EEEvT1_,comdat
	.globl	_ZN7rocprim17ROCPRIM_400000_NS6detail17trampoline_kernelINS0_14default_configENS1_25partition_config_selectorILNS1_17partition_subalgoE8ElNS0_10empty_typeEbEEZZNS1_14partition_implILS5_8ELb0ES3_jPlPS6_PKS6_NS0_5tupleIJS9_S6_EEENSD_IJSA_SA_EEENS0_18inequality_wrapperIZN2at6native12_GLOBAL__N_124unique_dim_cuda_templateIiEESt5tupleIJNSH_6TensorESM_SM_EERKSM_lbbbEUlllE0_EEPmJS6_EEE10hipError_tPvRmT3_T4_T5_T6_T7_T9_mT8_P12ihipStream_tbDpT10_ENKUlT_T0_E_clISt17integral_constantIbLb1EES1C_EEDaS17_S18_EUlS17_E_NS1_11comp_targetILNS1_3genE8ELNS1_11target_archE1030ELNS1_3gpuE2ELNS1_3repE0EEENS1_30default_config_static_selectorELNS0_4arch9wavefront6targetE1EEEvT1_ ; -- Begin function _ZN7rocprim17ROCPRIM_400000_NS6detail17trampoline_kernelINS0_14default_configENS1_25partition_config_selectorILNS1_17partition_subalgoE8ElNS0_10empty_typeEbEEZZNS1_14partition_implILS5_8ELb0ES3_jPlPS6_PKS6_NS0_5tupleIJS9_S6_EEENSD_IJSA_SA_EEENS0_18inequality_wrapperIZN2at6native12_GLOBAL__N_124unique_dim_cuda_templateIiEESt5tupleIJNSH_6TensorESM_SM_EERKSM_lbbbEUlllE0_EEPmJS6_EEE10hipError_tPvRmT3_T4_T5_T6_T7_T9_mT8_P12ihipStream_tbDpT10_ENKUlT_T0_E_clISt17integral_constantIbLb1EES1C_EEDaS17_S18_EUlS17_E_NS1_11comp_targetILNS1_3genE8ELNS1_11target_archE1030ELNS1_3gpuE2ELNS1_3repE0EEENS1_30default_config_static_selectorELNS0_4arch9wavefront6targetE1EEEvT1_
	.p2align	8
	.type	_ZN7rocprim17ROCPRIM_400000_NS6detail17trampoline_kernelINS0_14default_configENS1_25partition_config_selectorILNS1_17partition_subalgoE8ElNS0_10empty_typeEbEEZZNS1_14partition_implILS5_8ELb0ES3_jPlPS6_PKS6_NS0_5tupleIJS9_S6_EEENSD_IJSA_SA_EEENS0_18inequality_wrapperIZN2at6native12_GLOBAL__N_124unique_dim_cuda_templateIiEESt5tupleIJNSH_6TensorESM_SM_EERKSM_lbbbEUlllE0_EEPmJS6_EEE10hipError_tPvRmT3_T4_T5_T6_T7_T9_mT8_P12ihipStream_tbDpT10_ENKUlT_T0_E_clISt17integral_constantIbLb1EES1C_EEDaS17_S18_EUlS17_E_NS1_11comp_targetILNS1_3genE8ELNS1_11target_archE1030ELNS1_3gpuE2ELNS1_3repE0EEENS1_30default_config_static_selectorELNS0_4arch9wavefront6targetE1EEEvT1_,@function
_ZN7rocprim17ROCPRIM_400000_NS6detail17trampoline_kernelINS0_14default_configENS1_25partition_config_selectorILNS1_17partition_subalgoE8ElNS0_10empty_typeEbEEZZNS1_14partition_implILS5_8ELb0ES3_jPlPS6_PKS6_NS0_5tupleIJS9_S6_EEENSD_IJSA_SA_EEENS0_18inequality_wrapperIZN2at6native12_GLOBAL__N_124unique_dim_cuda_templateIiEESt5tupleIJNSH_6TensorESM_SM_EERKSM_lbbbEUlllE0_EEPmJS6_EEE10hipError_tPvRmT3_T4_T5_T6_T7_T9_mT8_P12ihipStream_tbDpT10_ENKUlT_T0_E_clISt17integral_constantIbLb1EES1C_EEDaS17_S18_EUlS17_E_NS1_11comp_targetILNS1_3genE8ELNS1_11target_archE1030ELNS1_3gpuE2ELNS1_3repE0EEENS1_30default_config_static_selectorELNS0_4arch9wavefront6targetE1EEEvT1_: ; @_ZN7rocprim17ROCPRIM_400000_NS6detail17trampoline_kernelINS0_14default_configENS1_25partition_config_selectorILNS1_17partition_subalgoE8ElNS0_10empty_typeEbEEZZNS1_14partition_implILS5_8ELb0ES3_jPlPS6_PKS6_NS0_5tupleIJS9_S6_EEENSD_IJSA_SA_EEENS0_18inequality_wrapperIZN2at6native12_GLOBAL__N_124unique_dim_cuda_templateIiEESt5tupleIJNSH_6TensorESM_SM_EERKSM_lbbbEUlllE0_EEPmJS6_EEE10hipError_tPvRmT3_T4_T5_T6_T7_T9_mT8_P12ihipStream_tbDpT10_ENKUlT_T0_E_clISt17integral_constantIbLb1EES1C_EEDaS17_S18_EUlS17_E_NS1_11comp_targetILNS1_3genE8ELNS1_11target_archE1030ELNS1_3gpuE2ELNS1_3repE0EEENS1_30default_config_static_selectorELNS0_4arch9wavefront6targetE1EEEvT1_
; %bb.0:
	.section	.rodata,"a",@progbits
	.p2align	6, 0x0
	.amdhsa_kernel _ZN7rocprim17ROCPRIM_400000_NS6detail17trampoline_kernelINS0_14default_configENS1_25partition_config_selectorILNS1_17partition_subalgoE8ElNS0_10empty_typeEbEEZZNS1_14partition_implILS5_8ELb0ES3_jPlPS6_PKS6_NS0_5tupleIJS9_S6_EEENSD_IJSA_SA_EEENS0_18inequality_wrapperIZN2at6native12_GLOBAL__N_124unique_dim_cuda_templateIiEESt5tupleIJNSH_6TensorESM_SM_EERKSM_lbbbEUlllE0_EEPmJS6_EEE10hipError_tPvRmT3_T4_T5_T6_T7_T9_mT8_P12ihipStream_tbDpT10_ENKUlT_T0_E_clISt17integral_constantIbLb1EES1C_EEDaS17_S18_EUlS17_E_NS1_11comp_targetILNS1_3genE8ELNS1_11target_archE1030ELNS1_3gpuE2ELNS1_3repE0EEENS1_30default_config_static_selectorELNS0_4arch9wavefront6targetE1EEEvT1_
		.amdhsa_group_segment_fixed_size 0
		.amdhsa_private_segment_fixed_size 0
		.amdhsa_kernarg_size 136
		.amdhsa_user_sgpr_count 2
		.amdhsa_user_sgpr_dispatch_ptr 0
		.amdhsa_user_sgpr_queue_ptr 0
		.amdhsa_user_sgpr_kernarg_segment_ptr 1
		.amdhsa_user_sgpr_dispatch_id 0
		.amdhsa_user_sgpr_kernarg_preload_length 0
		.amdhsa_user_sgpr_kernarg_preload_offset 0
		.amdhsa_user_sgpr_private_segment_size 0
		.amdhsa_uses_dynamic_stack 0
		.amdhsa_enable_private_segment 0
		.amdhsa_system_sgpr_workgroup_id_x 1
		.amdhsa_system_sgpr_workgroup_id_y 0
		.amdhsa_system_sgpr_workgroup_id_z 0
		.amdhsa_system_sgpr_workgroup_info 0
		.amdhsa_system_vgpr_workitem_id 0
		.amdhsa_next_free_vgpr 1
		.amdhsa_next_free_sgpr 0
		.amdhsa_accum_offset 4
		.amdhsa_reserve_vcc 0
		.amdhsa_float_round_mode_32 0
		.amdhsa_float_round_mode_16_64 0
		.amdhsa_float_denorm_mode_32 3
		.amdhsa_float_denorm_mode_16_64 3
		.amdhsa_dx10_clamp 1
		.amdhsa_ieee_mode 1
		.amdhsa_fp16_overflow 0
		.amdhsa_tg_split 0
		.amdhsa_exception_fp_ieee_invalid_op 0
		.amdhsa_exception_fp_denorm_src 0
		.amdhsa_exception_fp_ieee_div_zero 0
		.amdhsa_exception_fp_ieee_overflow 0
		.amdhsa_exception_fp_ieee_underflow 0
		.amdhsa_exception_fp_ieee_inexact 0
		.amdhsa_exception_int_div_zero 0
	.end_amdhsa_kernel
	.section	.text._ZN7rocprim17ROCPRIM_400000_NS6detail17trampoline_kernelINS0_14default_configENS1_25partition_config_selectorILNS1_17partition_subalgoE8ElNS0_10empty_typeEbEEZZNS1_14partition_implILS5_8ELb0ES3_jPlPS6_PKS6_NS0_5tupleIJS9_S6_EEENSD_IJSA_SA_EEENS0_18inequality_wrapperIZN2at6native12_GLOBAL__N_124unique_dim_cuda_templateIiEESt5tupleIJNSH_6TensorESM_SM_EERKSM_lbbbEUlllE0_EEPmJS6_EEE10hipError_tPvRmT3_T4_T5_T6_T7_T9_mT8_P12ihipStream_tbDpT10_ENKUlT_T0_E_clISt17integral_constantIbLb1EES1C_EEDaS17_S18_EUlS17_E_NS1_11comp_targetILNS1_3genE8ELNS1_11target_archE1030ELNS1_3gpuE2ELNS1_3repE0EEENS1_30default_config_static_selectorELNS0_4arch9wavefront6targetE1EEEvT1_,"axG",@progbits,_ZN7rocprim17ROCPRIM_400000_NS6detail17trampoline_kernelINS0_14default_configENS1_25partition_config_selectorILNS1_17partition_subalgoE8ElNS0_10empty_typeEbEEZZNS1_14partition_implILS5_8ELb0ES3_jPlPS6_PKS6_NS0_5tupleIJS9_S6_EEENSD_IJSA_SA_EEENS0_18inequality_wrapperIZN2at6native12_GLOBAL__N_124unique_dim_cuda_templateIiEESt5tupleIJNSH_6TensorESM_SM_EERKSM_lbbbEUlllE0_EEPmJS6_EEE10hipError_tPvRmT3_T4_T5_T6_T7_T9_mT8_P12ihipStream_tbDpT10_ENKUlT_T0_E_clISt17integral_constantIbLb1EES1C_EEDaS17_S18_EUlS17_E_NS1_11comp_targetILNS1_3genE8ELNS1_11target_archE1030ELNS1_3gpuE2ELNS1_3repE0EEENS1_30default_config_static_selectorELNS0_4arch9wavefront6targetE1EEEvT1_,comdat
.Lfunc_end456:
	.size	_ZN7rocprim17ROCPRIM_400000_NS6detail17trampoline_kernelINS0_14default_configENS1_25partition_config_selectorILNS1_17partition_subalgoE8ElNS0_10empty_typeEbEEZZNS1_14partition_implILS5_8ELb0ES3_jPlPS6_PKS6_NS0_5tupleIJS9_S6_EEENSD_IJSA_SA_EEENS0_18inequality_wrapperIZN2at6native12_GLOBAL__N_124unique_dim_cuda_templateIiEESt5tupleIJNSH_6TensorESM_SM_EERKSM_lbbbEUlllE0_EEPmJS6_EEE10hipError_tPvRmT3_T4_T5_T6_T7_T9_mT8_P12ihipStream_tbDpT10_ENKUlT_T0_E_clISt17integral_constantIbLb1EES1C_EEDaS17_S18_EUlS17_E_NS1_11comp_targetILNS1_3genE8ELNS1_11target_archE1030ELNS1_3gpuE2ELNS1_3repE0EEENS1_30default_config_static_selectorELNS0_4arch9wavefront6targetE1EEEvT1_, .Lfunc_end456-_ZN7rocprim17ROCPRIM_400000_NS6detail17trampoline_kernelINS0_14default_configENS1_25partition_config_selectorILNS1_17partition_subalgoE8ElNS0_10empty_typeEbEEZZNS1_14partition_implILS5_8ELb0ES3_jPlPS6_PKS6_NS0_5tupleIJS9_S6_EEENSD_IJSA_SA_EEENS0_18inequality_wrapperIZN2at6native12_GLOBAL__N_124unique_dim_cuda_templateIiEESt5tupleIJNSH_6TensorESM_SM_EERKSM_lbbbEUlllE0_EEPmJS6_EEE10hipError_tPvRmT3_T4_T5_T6_T7_T9_mT8_P12ihipStream_tbDpT10_ENKUlT_T0_E_clISt17integral_constantIbLb1EES1C_EEDaS17_S18_EUlS17_E_NS1_11comp_targetILNS1_3genE8ELNS1_11target_archE1030ELNS1_3gpuE2ELNS1_3repE0EEENS1_30default_config_static_selectorELNS0_4arch9wavefront6targetE1EEEvT1_
                                        ; -- End function
	.set _ZN7rocprim17ROCPRIM_400000_NS6detail17trampoline_kernelINS0_14default_configENS1_25partition_config_selectorILNS1_17partition_subalgoE8ElNS0_10empty_typeEbEEZZNS1_14partition_implILS5_8ELb0ES3_jPlPS6_PKS6_NS0_5tupleIJS9_S6_EEENSD_IJSA_SA_EEENS0_18inequality_wrapperIZN2at6native12_GLOBAL__N_124unique_dim_cuda_templateIiEESt5tupleIJNSH_6TensorESM_SM_EERKSM_lbbbEUlllE0_EEPmJS6_EEE10hipError_tPvRmT3_T4_T5_T6_T7_T9_mT8_P12ihipStream_tbDpT10_ENKUlT_T0_E_clISt17integral_constantIbLb1EES1C_EEDaS17_S18_EUlS17_E_NS1_11comp_targetILNS1_3genE8ELNS1_11target_archE1030ELNS1_3gpuE2ELNS1_3repE0EEENS1_30default_config_static_selectorELNS0_4arch9wavefront6targetE1EEEvT1_.num_vgpr, 0
	.set _ZN7rocprim17ROCPRIM_400000_NS6detail17trampoline_kernelINS0_14default_configENS1_25partition_config_selectorILNS1_17partition_subalgoE8ElNS0_10empty_typeEbEEZZNS1_14partition_implILS5_8ELb0ES3_jPlPS6_PKS6_NS0_5tupleIJS9_S6_EEENSD_IJSA_SA_EEENS0_18inequality_wrapperIZN2at6native12_GLOBAL__N_124unique_dim_cuda_templateIiEESt5tupleIJNSH_6TensorESM_SM_EERKSM_lbbbEUlllE0_EEPmJS6_EEE10hipError_tPvRmT3_T4_T5_T6_T7_T9_mT8_P12ihipStream_tbDpT10_ENKUlT_T0_E_clISt17integral_constantIbLb1EES1C_EEDaS17_S18_EUlS17_E_NS1_11comp_targetILNS1_3genE8ELNS1_11target_archE1030ELNS1_3gpuE2ELNS1_3repE0EEENS1_30default_config_static_selectorELNS0_4arch9wavefront6targetE1EEEvT1_.num_agpr, 0
	.set _ZN7rocprim17ROCPRIM_400000_NS6detail17trampoline_kernelINS0_14default_configENS1_25partition_config_selectorILNS1_17partition_subalgoE8ElNS0_10empty_typeEbEEZZNS1_14partition_implILS5_8ELb0ES3_jPlPS6_PKS6_NS0_5tupleIJS9_S6_EEENSD_IJSA_SA_EEENS0_18inequality_wrapperIZN2at6native12_GLOBAL__N_124unique_dim_cuda_templateIiEESt5tupleIJNSH_6TensorESM_SM_EERKSM_lbbbEUlllE0_EEPmJS6_EEE10hipError_tPvRmT3_T4_T5_T6_T7_T9_mT8_P12ihipStream_tbDpT10_ENKUlT_T0_E_clISt17integral_constantIbLb1EES1C_EEDaS17_S18_EUlS17_E_NS1_11comp_targetILNS1_3genE8ELNS1_11target_archE1030ELNS1_3gpuE2ELNS1_3repE0EEENS1_30default_config_static_selectorELNS0_4arch9wavefront6targetE1EEEvT1_.numbered_sgpr, 0
	.set _ZN7rocprim17ROCPRIM_400000_NS6detail17trampoline_kernelINS0_14default_configENS1_25partition_config_selectorILNS1_17partition_subalgoE8ElNS0_10empty_typeEbEEZZNS1_14partition_implILS5_8ELb0ES3_jPlPS6_PKS6_NS0_5tupleIJS9_S6_EEENSD_IJSA_SA_EEENS0_18inequality_wrapperIZN2at6native12_GLOBAL__N_124unique_dim_cuda_templateIiEESt5tupleIJNSH_6TensorESM_SM_EERKSM_lbbbEUlllE0_EEPmJS6_EEE10hipError_tPvRmT3_T4_T5_T6_T7_T9_mT8_P12ihipStream_tbDpT10_ENKUlT_T0_E_clISt17integral_constantIbLb1EES1C_EEDaS17_S18_EUlS17_E_NS1_11comp_targetILNS1_3genE8ELNS1_11target_archE1030ELNS1_3gpuE2ELNS1_3repE0EEENS1_30default_config_static_selectorELNS0_4arch9wavefront6targetE1EEEvT1_.num_named_barrier, 0
	.set _ZN7rocprim17ROCPRIM_400000_NS6detail17trampoline_kernelINS0_14default_configENS1_25partition_config_selectorILNS1_17partition_subalgoE8ElNS0_10empty_typeEbEEZZNS1_14partition_implILS5_8ELb0ES3_jPlPS6_PKS6_NS0_5tupleIJS9_S6_EEENSD_IJSA_SA_EEENS0_18inequality_wrapperIZN2at6native12_GLOBAL__N_124unique_dim_cuda_templateIiEESt5tupleIJNSH_6TensorESM_SM_EERKSM_lbbbEUlllE0_EEPmJS6_EEE10hipError_tPvRmT3_T4_T5_T6_T7_T9_mT8_P12ihipStream_tbDpT10_ENKUlT_T0_E_clISt17integral_constantIbLb1EES1C_EEDaS17_S18_EUlS17_E_NS1_11comp_targetILNS1_3genE8ELNS1_11target_archE1030ELNS1_3gpuE2ELNS1_3repE0EEENS1_30default_config_static_selectorELNS0_4arch9wavefront6targetE1EEEvT1_.private_seg_size, 0
	.set _ZN7rocprim17ROCPRIM_400000_NS6detail17trampoline_kernelINS0_14default_configENS1_25partition_config_selectorILNS1_17partition_subalgoE8ElNS0_10empty_typeEbEEZZNS1_14partition_implILS5_8ELb0ES3_jPlPS6_PKS6_NS0_5tupleIJS9_S6_EEENSD_IJSA_SA_EEENS0_18inequality_wrapperIZN2at6native12_GLOBAL__N_124unique_dim_cuda_templateIiEESt5tupleIJNSH_6TensorESM_SM_EERKSM_lbbbEUlllE0_EEPmJS6_EEE10hipError_tPvRmT3_T4_T5_T6_T7_T9_mT8_P12ihipStream_tbDpT10_ENKUlT_T0_E_clISt17integral_constantIbLb1EES1C_EEDaS17_S18_EUlS17_E_NS1_11comp_targetILNS1_3genE8ELNS1_11target_archE1030ELNS1_3gpuE2ELNS1_3repE0EEENS1_30default_config_static_selectorELNS0_4arch9wavefront6targetE1EEEvT1_.uses_vcc, 0
	.set _ZN7rocprim17ROCPRIM_400000_NS6detail17trampoline_kernelINS0_14default_configENS1_25partition_config_selectorILNS1_17partition_subalgoE8ElNS0_10empty_typeEbEEZZNS1_14partition_implILS5_8ELb0ES3_jPlPS6_PKS6_NS0_5tupleIJS9_S6_EEENSD_IJSA_SA_EEENS0_18inequality_wrapperIZN2at6native12_GLOBAL__N_124unique_dim_cuda_templateIiEESt5tupleIJNSH_6TensorESM_SM_EERKSM_lbbbEUlllE0_EEPmJS6_EEE10hipError_tPvRmT3_T4_T5_T6_T7_T9_mT8_P12ihipStream_tbDpT10_ENKUlT_T0_E_clISt17integral_constantIbLb1EES1C_EEDaS17_S18_EUlS17_E_NS1_11comp_targetILNS1_3genE8ELNS1_11target_archE1030ELNS1_3gpuE2ELNS1_3repE0EEENS1_30default_config_static_selectorELNS0_4arch9wavefront6targetE1EEEvT1_.uses_flat_scratch, 0
	.set _ZN7rocprim17ROCPRIM_400000_NS6detail17trampoline_kernelINS0_14default_configENS1_25partition_config_selectorILNS1_17partition_subalgoE8ElNS0_10empty_typeEbEEZZNS1_14partition_implILS5_8ELb0ES3_jPlPS6_PKS6_NS0_5tupleIJS9_S6_EEENSD_IJSA_SA_EEENS0_18inequality_wrapperIZN2at6native12_GLOBAL__N_124unique_dim_cuda_templateIiEESt5tupleIJNSH_6TensorESM_SM_EERKSM_lbbbEUlllE0_EEPmJS6_EEE10hipError_tPvRmT3_T4_T5_T6_T7_T9_mT8_P12ihipStream_tbDpT10_ENKUlT_T0_E_clISt17integral_constantIbLb1EES1C_EEDaS17_S18_EUlS17_E_NS1_11comp_targetILNS1_3genE8ELNS1_11target_archE1030ELNS1_3gpuE2ELNS1_3repE0EEENS1_30default_config_static_selectorELNS0_4arch9wavefront6targetE1EEEvT1_.has_dyn_sized_stack, 0
	.set _ZN7rocprim17ROCPRIM_400000_NS6detail17trampoline_kernelINS0_14default_configENS1_25partition_config_selectorILNS1_17partition_subalgoE8ElNS0_10empty_typeEbEEZZNS1_14partition_implILS5_8ELb0ES3_jPlPS6_PKS6_NS0_5tupleIJS9_S6_EEENSD_IJSA_SA_EEENS0_18inequality_wrapperIZN2at6native12_GLOBAL__N_124unique_dim_cuda_templateIiEESt5tupleIJNSH_6TensorESM_SM_EERKSM_lbbbEUlllE0_EEPmJS6_EEE10hipError_tPvRmT3_T4_T5_T6_T7_T9_mT8_P12ihipStream_tbDpT10_ENKUlT_T0_E_clISt17integral_constantIbLb1EES1C_EEDaS17_S18_EUlS17_E_NS1_11comp_targetILNS1_3genE8ELNS1_11target_archE1030ELNS1_3gpuE2ELNS1_3repE0EEENS1_30default_config_static_selectorELNS0_4arch9wavefront6targetE1EEEvT1_.has_recursion, 0
	.set _ZN7rocprim17ROCPRIM_400000_NS6detail17trampoline_kernelINS0_14default_configENS1_25partition_config_selectorILNS1_17partition_subalgoE8ElNS0_10empty_typeEbEEZZNS1_14partition_implILS5_8ELb0ES3_jPlPS6_PKS6_NS0_5tupleIJS9_S6_EEENSD_IJSA_SA_EEENS0_18inequality_wrapperIZN2at6native12_GLOBAL__N_124unique_dim_cuda_templateIiEESt5tupleIJNSH_6TensorESM_SM_EERKSM_lbbbEUlllE0_EEPmJS6_EEE10hipError_tPvRmT3_T4_T5_T6_T7_T9_mT8_P12ihipStream_tbDpT10_ENKUlT_T0_E_clISt17integral_constantIbLb1EES1C_EEDaS17_S18_EUlS17_E_NS1_11comp_targetILNS1_3genE8ELNS1_11target_archE1030ELNS1_3gpuE2ELNS1_3repE0EEENS1_30default_config_static_selectorELNS0_4arch9wavefront6targetE1EEEvT1_.has_indirect_call, 0
	.section	.AMDGPU.csdata,"",@progbits
; Kernel info:
; codeLenInByte = 0
; TotalNumSgprs: 6
; NumVgprs: 0
; NumAgprs: 0
; TotalNumVgprs: 0
; ScratchSize: 0
; MemoryBound: 0
; FloatMode: 240
; IeeeMode: 1
; LDSByteSize: 0 bytes/workgroup (compile time only)
; SGPRBlocks: 0
; VGPRBlocks: 0
; NumSGPRsForWavesPerEU: 6
; NumVGPRsForWavesPerEU: 1
; AccumOffset: 4
; Occupancy: 8
; WaveLimiterHint : 0
; COMPUTE_PGM_RSRC2:SCRATCH_EN: 0
; COMPUTE_PGM_RSRC2:USER_SGPR: 2
; COMPUTE_PGM_RSRC2:TRAP_HANDLER: 0
; COMPUTE_PGM_RSRC2:TGID_X_EN: 1
; COMPUTE_PGM_RSRC2:TGID_Y_EN: 0
; COMPUTE_PGM_RSRC2:TGID_Z_EN: 0
; COMPUTE_PGM_RSRC2:TIDIG_COMP_CNT: 0
; COMPUTE_PGM_RSRC3_GFX90A:ACCUM_OFFSET: 0
; COMPUTE_PGM_RSRC3_GFX90A:TG_SPLIT: 0
	.section	.text._ZN7rocprim17ROCPRIM_400000_NS6detail17trampoline_kernelINS0_14default_configENS1_25partition_config_selectorILNS1_17partition_subalgoE8ElNS0_10empty_typeEbEEZZNS1_14partition_implILS5_8ELb0ES3_jPlPS6_PKS6_NS0_5tupleIJS9_S6_EEENSD_IJSA_SA_EEENS0_18inequality_wrapperIZN2at6native12_GLOBAL__N_124unique_dim_cuda_templateIiEESt5tupleIJNSH_6TensorESM_SM_EERKSM_lbbbEUlllE0_EEPmJS6_EEE10hipError_tPvRmT3_T4_T5_T6_T7_T9_mT8_P12ihipStream_tbDpT10_ENKUlT_T0_E_clISt17integral_constantIbLb1EES1B_IbLb0EEEEDaS17_S18_EUlS17_E_NS1_11comp_targetILNS1_3genE0ELNS1_11target_archE4294967295ELNS1_3gpuE0ELNS1_3repE0EEENS1_30default_config_static_selectorELNS0_4arch9wavefront6targetE1EEEvT1_,"axG",@progbits,_ZN7rocprim17ROCPRIM_400000_NS6detail17trampoline_kernelINS0_14default_configENS1_25partition_config_selectorILNS1_17partition_subalgoE8ElNS0_10empty_typeEbEEZZNS1_14partition_implILS5_8ELb0ES3_jPlPS6_PKS6_NS0_5tupleIJS9_S6_EEENSD_IJSA_SA_EEENS0_18inequality_wrapperIZN2at6native12_GLOBAL__N_124unique_dim_cuda_templateIiEESt5tupleIJNSH_6TensorESM_SM_EERKSM_lbbbEUlllE0_EEPmJS6_EEE10hipError_tPvRmT3_T4_T5_T6_T7_T9_mT8_P12ihipStream_tbDpT10_ENKUlT_T0_E_clISt17integral_constantIbLb1EES1B_IbLb0EEEEDaS17_S18_EUlS17_E_NS1_11comp_targetILNS1_3genE0ELNS1_11target_archE4294967295ELNS1_3gpuE0ELNS1_3repE0EEENS1_30default_config_static_selectorELNS0_4arch9wavefront6targetE1EEEvT1_,comdat
	.globl	_ZN7rocprim17ROCPRIM_400000_NS6detail17trampoline_kernelINS0_14default_configENS1_25partition_config_selectorILNS1_17partition_subalgoE8ElNS0_10empty_typeEbEEZZNS1_14partition_implILS5_8ELb0ES3_jPlPS6_PKS6_NS0_5tupleIJS9_S6_EEENSD_IJSA_SA_EEENS0_18inequality_wrapperIZN2at6native12_GLOBAL__N_124unique_dim_cuda_templateIiEESt5tupleIJNSH_6TensorESM_SM_EERKSM_lbbbEUlllE0_EEPmJS6_EEE10hipError_tPvRmT3_T4_T5_T6_T7_T9_mT8_P12ihipStream_tbDpT10_ENKUlT_T0_E_clISt17integral_constantIbLb1EES1B_IbLb0EEEEDaS17_S18_EUlS17_E_NS1_11comp_targetILNS1_3genE0ELNS1_11target_archE4294967295ELNS1_3gpuE0ELNS1_3repE0EEENS1_30default_config_static_selectorELNS0_4arch9wavefront6targetE1EEEvT1_ ; -- Begin function _ZN7rocprim17ROCPRIM_400000_NS6detail17trampoline_kernelINS0_14default_configENS1_25partition_config_selectorILNS1_17partition_subalgoE8ElNS0_10empty_typeEbEEZZNS1_14partition_implILS5_8ELb0ES3_jPlPS6_PKS6_NS0_5tupleIJS9_S6_EEENSD_IJSA_SA_EEENS0_18inequality_wrapperIZN2at6native12_GLOBAL__N_124unique_dim_cuda_templateIiEESt5tupleIJNSH_6TensorESM_SM_EERKSM_lbbbEUlllE0_EEPmJS6_EEE10hipError_tPvRmT3_T4_T5_T6_T7_T9_mT8_P12ihipStream_tbDpT10_ENKUlT_T0_E_clISt17integral_constantIbLb1EES1B_IbLb0EEEEDaS17_S18_EUlS17_E_NS1_11comp_targetILNS1_3genE0ELNS1_11target_archE4294967295ELNS1_3gpuE0ELNS1_3repE0EEENS1_30default_config_static_selectorELNS0_4arch9wavefront6targetE1EEEvT1_
	.p2align	8
	.type	_ZN7rocprim17ROCPRIM_400000_NS6detail17trampoline_kernelINS0_14default_configENS1_25partition_config_selectorILNS1_17partition_subalgoE8ElNS0_10empty_typeEbEEZZNS1_14partition_implILS5_8ELb0ES3_jPlPS6_PKS6_NS0_5tupleIJS9_S6_EEENSD_IJSA_SA_EEENS0_18inequality_wrapperIZN2at6native12_GLOBAL__N_124unique_dim_cuda_templateIiEESt5tupleIJNSH_6TensorESM_SM_EERKSM_lbbbEUlllE0_EEPmJS6_EEE10hipError_tPvRmT3_T4_T5_T6_T7_T9_mT8_P12ihipStream_tbDpT10_ENKUlT_T0_E_clISt17integral_constantIbLb1EES1B_IbLb0EEEEDaS17_S18_EUlS17_E_NS1_11comp_targetILNS1_3genE0ELNS1_11target_archE4294967295ELNS1_3gpuE0ELNS1_3repE0EEENS1_30default_config_static_selectorELNS0_4arch9wavefront6targetE1EEEvT1_,@function
_ZN7rocprim17ROCPRIM_400000_NS6detail17trampoline_kernelINS0_14default_configENS1_25partition_config_selectorILNS1_17partition_subalgoE8ElNS0_10empty_typeEbEEZZNS1_14partition_implILS5_8ELb0ES3_jPlPS6_PKS6_NS0_5tupleIJS9_S6_EEENSD_IJSA_SA_EEENS0_18inequality_wrapperIZN2at6native12_GLOBAL__N_124unique_dim_cuda_templateIiEESt5tupleIJNSH_6TensorESM_SM_EERKSM_lbbbEUlllE0_EEPmJS6_EEE10hipError_tPvRmT3_T4_T5_T6_T7_T9_mT8_P12ihipStream_tbDpT10_ENKUlT_T0_E_clISt17integral_constantIbLb1EES1B_IbLb0EEEEDaS17_S18_EUlS17_E_NS1_11comp_targetILNS1_3genE0ELNS1_11target_archE4294967295ELNS1_3gpuE0ELNS1_3repE0EEENS1_30default_config_static_selectorELNS0_4arch9wavefront6targetE1EEEvT1_: ; @_ZN7rocprim17ROCPRIM_400000_NS6detail17trampoline_kernelINS0_14default_configENS1_25partition_config_selectorILNS1_17partition_subalgoE8ElNS0_10empty_typeEbEEZZNS1_14partition_implILS5_8ELb0ES3_jPlPS6_PKS6_NS0_5tupleIJS9_S6_EEENSD_IJSA_SA_EEENS0_18inequality_wrapperIZN2at6native12_GLOBAL__N_124unique_dim_cuda_templateIiEESt5tupleIJNSH_6TensorESM_SM_EERKSM_lbbbEUlllE0_EEPmJS6_EEE10hipError_tPvRmT3_T4_T5_T6_T7_T9_mT8_P12ihipStream_tbDpT10_ENKUlT_T0_E_clISt17integral_constantIbLb1EES1B_IbLb0EEEEDaS17_S18_EUlS17_E_NS1_11comp_targetILNS1_3genE0ELNS1_11target_archE4294967295ELNS1_3gpuE0ELNS1_3repE0EEENS1_30default_config_static_selectorELNS0_4arch9wavefront6targetE1EEEvT1_
; %bb.0:
	s_endpgm
	.section	.rodata,"a",@progbits
	.p2align	6, 0x0
	.amdhsa_kernel _ZN7rocprim17ROCPRIM_400000_NS6detail17trampoline_kernelINS0_14default_configENS1_25partition_config_selectorILNS1_17partition_subalgoE8ElNS0_10empty_typeEbEEZZNS1_14partition_implILS5_8ELb0ES3_jPlPS6_PKS6_NS0_5tupleIJS9_S6_EEENSD_IJSA_SA_EEENS0_18inequality_wrapperIZN2at6native12_GLOBAL__N_124unique_dim_cuda_templateIiEESt5tupleIJNSH_6TensorESM_SM_EERKSM_lbbbEUlllE0_EEPmJS6_EEE10hipError_tPvRmT3_T4_T5_T6_T7_T9_mT8_P12ihipStream_tbDpT10_ENKUlT_T0_E_clISt17integral_constantIbLb1EES1B_IbLb0EEEEDaS17_S18_EUlS17_E_NS1_11comp_targetILNS1_3genE0ELNS1_11target_archE4294967295ELNS1_3gpuE0ELNS1_3repE0EEENS1_30default_config_static_selectorELNS0_4arch9wavefront6targetE1EEEvT1_
		.amdhsa_group_segment_fixed_size 0
		.amdhsa_private_segment_fixed_size 0
		.amdhsa_kernarg_size 120
		.amdhsa_user_sgpr_count 2
		.amdhsa_user_sgpr_dispatch_ptr 0
		.amdhsa_user_sgpr_queue_ptr 0
		.amdhsa_user_sgpr_kernarg_segment_ptr 1
		.amdhsa_user_sgpr_dispatch_id 0
		.amdhsa_user_sgpr_kernarg_preload_length 0
		.amdhsa_user_sgpr_kernarg_preload_offset 0
		.amdhsa_user_sgpr_private_segment_size 0
		.amdhsa_uses_dynamic_stack 0
		.amdhsa_enable_private_segment 0
		.amdhsa_system_sgpr_workgroup_id_x 1
		.amdhsa_system_sgpr_workgroup_id_y 0
		.amdhsa_system_sgpr_workgroup_id_z 0
		.amdhsa_system_sgpr_workgroup_info 0
		.amdhsa_system_vgpr_workitem_id 0
		.amdhsa_next_free_vgpr 1
		.amdhsa_next_free_sgpr 0
		.amdhsa_accum_offset 4
		.amdhsa_reserve_vcc 0
		.amdhsa_float_round_mode_32 0
		.amdhsa_float_round_mode_16_64 0
		.amdhsa_float_denorm_mode_32 3
		.amdhsa_float_denorm_mode_16_64 3
		.amdhsa_dx10_clamp 1
		.amdhsa_ieee_mode 1
		.amdhsa_fp16_overflow 0
		.amdhsa_tg_split 0
		.amdhsa_exception_fp_ieee_invalid_op 0
		.amdhsa_exception_fp_denorm_src 0
		.amdhsa_exception_fp_ieee_div_zero 0
		.amdhsa_exception_fp_ieee_overflow 0
		.amdhsa_exception_fp_ieee_underflow 0
		.amdhsa_exception_fp_ieee_inexact 0
		.amdhsa_exception_int_div_zero 0
	.end_amdhsa_kernel
	.section	.text._ZN7rocprim17ROCPRIM_400000_NS6detail17trampoline_kernelINS0_14default_configENS1_25partition_config_selectorILNS1_17partition_subalgoE8ElNS0_10empty_typeEbEEZZNS1_14partition_implILS5_8ELb0ES3_jPlPS6_PKS6_NS0_5tupleIJS9_S6_EEENSD_IJSA_SA_EEENS0_18inequality_wrapperIZN2at6native12_GLOBAL__N_124unique_dim_cuda_templateIiEESt5tupleIJNSH_6TensorESM_SM_EERKSM_lbbbEUlllE0_EEPmJS6_EEE10hipError_tPvRmT3_T4_T5_T6_T7_T9_mT8_P12ihipStream_tbDpT10_ENKUlT_T0_E_clISt17integral_constantIbLb1EES1B_IbLb0EEEEDaS17_S18_EUlS17_E_NS1_11comp_targetILNS1_3genE0ELNS1_11target_archE4294967295ELNS1_3gpuE0ELNS1_3repE0EEENS1_30default_config_static_selectorELNS0_4arch9wavefront6targetE1EEEvT1_,"axG",@progbits,_ZN7rocprim17ROCPRIM_400000_NS6detail17trampoline_kernelINS0_14default_configENS1_25partition_config_selectorILNS1_17partition_subalgoE8ElNS0_10empty_typeEbEEZZNS1_14partition_implILS5_8ELb0ES3_jPlPS6_PKS6_NS0_5tupleIJS9_S6_EEENSD_IJSA_SA_EEENS0_18inequality_wrapperIZN2at6native12_GLOBAL__N_124unique_dim_cuda_templateIiEESt5tupleIJNSH_6TensorESM_SM_EERKSM_lbbbEUlllE0_EEPmJS6_EEE10hipError_tPvRmT3_T4_T5_T6_T7_T9_mT8_P12ihipStream_tbDpT10_ENKUlT_T0_E_clISt17integral_constantIbLb1EES1B_IbLb0EEEEDaS17_S18_EUlS17_E_NS1_11comp_targetILNS1_3genE0ELNS1_11target_archE4294967295ELNS1_3gpuE0ELNS1_3repE0EEENS1_30default_config_static_selectorELNS0_4arch9wavefront6targetE1EEEvT1_,comdat
.Lfunc_end457:
	.size	_ZN7rocprim17ROCPRIM_400000_NS6detail17trampoline_kernelINS0_14default_configENS1_25partition_config_selectorILNS1_17partition_subalgoE8ElNS0_10empty_typeEbEEZZNS1_14partition_implILS5_8ELb0ES3_jPlPS6_PKS6_NS0_5tupleIJS9_S6_EEENSD_IJSA_SA_EEENS0_18inequality_wrapperIZN2at6native12_GLOBAL__N_124unique_dim_cuda_templateIiEESt5tupleIJNSH_6TensorESM_SM_EERKSM_lbbbEUlllE0_EEPmJS6_EEE10hipError_tPvRmT3_T4_T5_T6_T7_T9_mT8_P12ihipStream_tbDpT10_ENKUlT_T0_E_clISt17integral_constantIbLb1EES1B_IbLb0EEEEDaS17_S18_EUlS17_E_NS1_11comp_targetILNS1_3genE0ELNS1_11target_archE4294967295ELNS1_3gpuE0ELNS1_3repE0EEENS1_30default_config_static_selectorELNS0_4arch9wavefront6targetE1EEEvT1_, .Lfunc_end457-_ZN7rocprim17ROCPRIM_400000_NS6detail17trampoline_kernelINS0_14default_configENS1_25partition_config_selectorILNS1_17partition_subalgoE8ElNS0_10empty_typeEbEEZZNS1_14partition_implILS5_8ELb0ES3_jPlPS6_PKS6_NS0_5tupleIJS9_S6_EEENSD_IJSA_SA_EEENS0_18inequality_wrapperIZN2at6native12_GLOBAL__N_124unique_dim_cuda_templateIiEESt5tupleIJNSH_6TensorESM_SM_EERKSM_lbbbEUlllE0_EEPmJS6_EEE10hipError_tPvRmT3_T4_T5_T6_T7_T9_mT8_P12ihipStream_tbDpT10_ENKUlT_T0_E_clISt17integral_constantIbLb1EES1B_IbLb0EEEEDaS17_S18_EUlS17_E_NS1_11comp_targetILNS1_3genE0ELNS1_11target_archE4294967295ELNS1_3gpuE0ELNS1_3repE0EEENS1_30default_config_static_selectorELNS0_4arch9wavefront6targetE1EEEvT1_
                                        ; -- End function
	.set _ZN7rocprim17ROCPRIM_400000_NS6detail17trampoline_kernelINS0_14default_configENS1_25partition_config_selectorILNS1_17partition_subalgoE8ElNS0_10empty_typeEbEEZZNS1_14partition_implILS5_8ELb0ES3_jPlPS6_PKS6_NS0_5tupleIJS9_S6_EEENSD_IJSA_SA_EEENS0_18inequality_wrapperIZN2at6native12_GLOBAL__N_124unique_dim_cuda_templateIiEESt5tupleIJNSH_6TensorESM_SM_EERKSM_lbbbEUlllE0_EEPmJS6_EEE10hipError_tPvRmT3_T4_T5_T6_T7_T9_mT8_P12ihipStream_tbDpT10_ENKUlT_T0_E_clISt17integral_constantIbLb1EES1B_IbLb0EEEEDaS17_S18_EUlS17_E_NS1_11comp_targetILNS1_3genE0ELNS1_11target_archE4294967295ELNS1_3gpuE0ELNS1_3repE0EEENS1_30default_config_static_selectorELNS0_4arch9wavefront6targetE1EEEvT1_.num_vgpr, 0
	.set _ZN7rocprim17ROCPRIM_400000_NS6detail17trampoline_kernelINS0_14default_configENS1_25partition_config_selectorILNS1_17partition_subalgoE8ElNS0_10empty_typeEbEEZZNS1_14partition_implILS5_8ELb0ES3_jPlPS6_PKS6_NS0_5tupleIJS9_S6_EEENSD_IJSA_SA_EEENS0_18inequality_wrapperIZN2at6native12_GLOBAL__N_124unique_dim_cuda_templateIiEESt5tupleIJNSH_6TensorESM_SM_EERKSM_lbbbEUlllE0_EEPmJS6_EEE10hipError_tPvRmT3_T4_T5_T6_T7_T9_mT8_P12ihipStream_tbDpT10_ENKUlT_T0_E_clISt17integral_constantIbLb1EES1B_IbLb0EEEEDaS17_S18_EUlS17_E_NS1_11comp_targetILNS1_3genE0ELNS1_11target_archE4294967295ELNS1_3gpuE0ELNS1_3repE0EEENS1_30default_config_static_selectorELNS0_4arch9wavefront6targetE1EEEvT1_.num_agpr, 0
	.set _ZN7rocprim17ROCPRIM_400000_NS6detail17trampoline_kernelINS0_14default_configENS1_25partition_config_selectorILNS1_17partition_subalgoE8ElNS0_10empty_typeEbEEZZNS1_14partition_implILS5_8ELb0ES3_jPlPS6_PKS6_NS0_5tupleIJS9_S6_EEENSD_IJSA_SA_EEENS0_18inequality_wrapperIZN2at6native12_GLOBAL__N_124unique_dim_cuda_templateIiEESt5tupleIJNSH_6TensorESM_SM_EERKSM_lbbbEUlllE0_EEPmJS6_EEE10hipError_tPvRmT3_T4_T5_T6_T7_T9_mT8_P12ihipStream_tbDpT10_ENKUlT_T0_E_clISt17integral_constantIbLb1EES1B_IbLb0EEEEDaS17_S18_EUlS17_E_NS1_11comp_targetILNS1_3genE0ELNS1_11target_archE4294967295ELNS1_3gpuE0ELNS1_3repE0EEENS1_30default_config_static_selectorELNS0_4arch9wavefront6targetE1EEEvT1_.numbered_sgpr, 0
	.set _ZN7rocprim17ROCPRIM_400000_NS6detail17trampoline_kernelINS0_14default_configENS1_25partition_config_selectorILNS1_17partition_subalgoE8ElNS0_10empty_typeEbEEZZNS1_14partition_implILS5_8ELb0ES3_jPlPS6_PKS6_NS0_5tupleIJS9_S6_EEENSD_IJSA_SA_EEENS0_18inequality_wrapperIZN2at6native12_GLOBAL__N_124unique_dim_cuda_templateIiEESt5tupleIJNSH_6TensorESM_SM_EERKSM_lbbbEUlllE0_EEPmJS6_EEE10hipError_tPvRmT3_T4_T5_T6_T7_T9_mT8_P12ihipStream_tbDpT10_ENKUlT_T0_E_clISt17integral_constantIbLb1EES1B_IbLb0EEEEDaS17_S18_EUlS17_E_NS1_11comp_targetILNS1_3genE0ELNS1_11target_archE4294967295ELNS1_3gpuE0ELNS1_3repE0EEENS1_30default_config_static_selectorELNS0_4arch9wavefront6targetE1EEEvT1_.num_named_barrier, 0
	.set _ZN7rocprim17ROCPRIM_400000_NS6detail17trampoline_kernelINS0_14default_configENS1_25partition_config_selectorILNS1_17partition_subalgoE8ElNS0_10empty_typeEbEEZZNS1_14partition_implILS5_8ELb0ES3_jPlPS6_PKS6_NS0_5tupleIJS9_S6_EEENSD_IJSA_SA_EEENS0_18inequality_wrapperIZN2at6native12_GLOBAL__N_124unique_dim_cuda_templateIiEESt5tupleIJNSH_6TensorESM_SM_EERKSM_lbbbEUlllE0_EEPmJS6_EEE10hipError_tPvRmT3_T4_T5_T6_T7_T9_mT8_P12ihipStream_tbDpT10_ENKUlT_T0_E_clISt17integral_constantIbLb1EES1B_IbLb0EEEEDaS17_S18_EUlS17_E_NS1_11comp_targetILNS1_3genE0ELNS1_11target_archE4294967295ELNS1_3gpuE0ELNS1_3repE0EEENS1_30default_config_static_selectorELNS0_4arch9wavefront6targetE1EEEvT1_.private_seg_size, 0
	.set _ZN7rocprim17ROCPRIM_400000_NS6detail17trampoline_kernelINS0_14default_configENS1_25partition_config_selectorILNS1_17partition_subalgoE8ElNS0_10empty_typeEbEEZZNS1_14partition_implILS5_8ELb0ES3_jPlPS6_PKS6_NS0_5tupleIJS9_S6_EEENSD_IJSA_SA_EEENS0_18inequality_wrapperIZN2at6native12_GLOBAL__N_124unique_dim_cuda_templateIiEESt5tupleIJNSH_6TensorESM_SM_EERKSM_lbbbEUlllE0_EEPmJS6_EEE10hipError_tPvRmT3_T4_T5_T6_T7_T9_mT8_P12ihipStream_tbDpT10_ENKUlT_T0_E_clISt17integral_constantIbLb1EES1B_IbLb0EEEEDaS17_S18_EUlS17_E_NS1_11comp_targetILNS1_3genE0ELNS1_11target_archE4294967295ELNS1_3gpuE0ELNS1_3repE0EEENS1_30default_config_static_selectorELNS0_4arch9wavefront6targetE1EEEvT1_.uses_vcc, 0
	.set _ZN7rocprim17ROCPRIM_400000_NS6detail17trampoline_kernelINS0_14default_configENS1_25partition_config_selectorILNS1_17partition_subalgoE8ElNS0_10empty_typeEbEEZZNS1_14partition_implILS5_8ELb0ES3_jPlPS6_PKS6_NS0_5tupleIJS9_S6_EEENSD_IJSA_SA_EEENS0_18inequality_wrapperIZN2at6native12_GLOBAL__N_124unique_dim_cuda_templateIiEESt5tupleIJNSH_6TensorESM_SM_EERKSM_lbbbEUlllE0_EEPmJS6_EEE10hipError_tPvRmT3_T4_T5_T6_T7_T9_mT8_P12ihipStream_tbDpT10_ENKUlT_T0_E_clISt17integral_constantIbLb1EES1B_IbLb0EEEEDaS17_S18_EUlS17_E_NS1_11comp_targetILNS1_3genE0ELNS1_11target_archE4294967295ELNS1_3gpuE0ELNS1_3repE0EEENS1_30default_config_static_selectorELNS0_4arch9wavefront6targetE1EEEvT1_.uses_flat_scratch, 0
	.set _ZN7rocprim17ROCPRIM_400000_NS6detail17trampoline_kernelINS0_14default_configENS1_25partition_config_selectorILNS1_17partition_subalgoE8ElNS0_10empty_typeEbEEZZNS1_14partition_implILS5_8ELb0ES3_jPlPS6_PKS6_NS0_5tupleIJS9_S6_EEENSD_IJSA_SA_EEENS0_18inequality_wrapperIZN2at6native12_GLOBAL__N_124unique_dim_cuda_templateIiEESt5tupleIJNSH_6TensorESM_SM_EERKSM_lbbbEUlllE0_EEPmJS6_EEE10hipError_tPvRmT3_T4_T5_T6_T7_T9_mT8_P12ihipStream_tbDpT10_ENKUlT_T0_E_clISt17integral_constantIbLb1EES1B_IbLb0EEEEDaS17_S18_EUlS17_E_NS1_11comp_targetILNS1_3genE0ELNS1_11target_archE4294967295ELNS1_3gpuE0ELNS1_3repE0EEENS1_30default_config_static_selectorELNS0_4arch9wavefront6targetE1EEEvT1_.has_dyn_sized_stack, 0
	.set _ZN7rocprim17ROCPRIM_400000_NS6detail17trampoline_kernelINS0_14default_configENS1_25partition_config_selectorILNS1_17partition_subalgoE8ElNS0_10empty_typeEbEEZZNS1_14partition_implILS5_8ELb0ES3_jPlPS6_PKS6_NS0_5tupleIJS9_S6_EEENSD_IJSA_SA_EEENS0_18inequality_wrapperIZN2at6native12_GLOBAL__N_124unique_dim_cuda_templateIiEESt5tupleIJNSH_6TensorESM_SM_EERKSM_lbbbEUlllE0_EEPmJS6_EEE10hipError_tPvRmT3_T4_T5_T6_T7_T9_mT8_P12ihipStream_tbDpT10_ENKUlT_T0_E_clISt17integral_constantIbLb1EES1B_IbLb0EEEEDaS17_S18_EUlS17_E_NS1_11comp_targetILNS1_3genE0ELNS1_11target_archE4294967295ELNS1_3gpuE0ELNS1_3repE0EEENS1_30default_config_static_selectorELNS0_4arch9wavefront6targetE1EEEvT1_.has_recursion, 0
	.set _ZN7rocprim17ROCPRIM_400000_NS6detail17trampoline_kernelINS0_14default_configENS1_25partition_config_selectorILNS1_17partition_subalgoE8ElNS0_10empty_typeEbEEZZNS1_14partition_implILS5_8ELb0ES3_jPlPS6_PKS6_NS0_5tupleIJS9_S6_EEENSD_IJSA_SA_EEENS0_18inequality_wrapperIZN2at6native12_GLOBAL__N_124unique_dim_cuda_templateIiEESt5tupleIJNSH_6TensorESM_SM_EERKSM_lbbbEUlllE0_EEPmJS6_EEE10hipError_tPvRmT3_T4_T5_T6_T7_T9_mT8_P12ihipStream_tbDpT10_ENKUlT_T0_E_clISt17integral_constantIbLb1EES1B_IbLb0EEEEDaS17_S18_EUlS17_E_NS1_11comp_targetILNS1_3genE0ELNS1_11target_archE4294967295ELNS1_3gpuE0ELNS1_3repE0EEENS1_30default_config_static_selectorELNS0_4arch9wavefront6targetE1EEEvT1_.has_indirect_call, 0
	.section	.AMDGPU.csdata,"",@progbits
; Kernel info:
; codeLenInByte = 4
; TotalNumSgprs: 6
; NumVgprs: 0
; NumAgprs: 0
; TotalNumVgprs: 0
; ScratchSize: 0
; MemoryBound: 0
; FloatMode: 240
; IeeeMode: 1
; LDSByteSize: 0 bytes/workgroup (compile time only)
; SGPRBlocks: 0
; VGPRBlocks: 0
; NumSGPRsForWavesPerEU: 6
; NumVGPRsForWavesPerEU: 1
; AccumOffset: 4
; Occupancy: 8
; WaveLimiterHint : 0
; COMPUTE_PGM_RSRC2:SCRATCH_EN: 0
; COMPUTE_PGM_RSRC2:USER_SGPR: 2
; COMPUTE_PGM_RSRC2:TRAP_HANDLER: 0
; COMPUTE_PGM_RSRC2:TGID_X_EN: 1
; COMPUTE_PGM_RSRC2:TGID_Y_EN: 0
; COMPUTE_PGM_RSRC2:TGID_Z_EN: 0
; COMPUTE_PGM_RSRC2:TIDIG_COMP_CNT: 0
; COMPUTE_PGM_RSRC3_GFX90A:ACCUM_OFFSET: 0
; COMPUTE_PGM_RSRC3_GFX90A:TG_SPLIT: 0
	.section	.text._ZN7rocprim17ROCPRIM_400000_NS6detail17trampoline_kernelINS0_14default_configENS1_25partition_config_selectorILNS1_17partition_subalgoE8ElNS0_10empty_typeEbEEZZNS1_14partition_implILS5_8ELb0ES3_jPlPS6_PKS6_NS0_5tupleIJS9_S6_EEENSD_IJSA_SA_EEENS0_18inequality_wrapperIZN2at6native12_GLOBAL__N_124unique_dim_cuda_templateIiEESt5tupleIJNSH_6TensorESM_SM_EERKSM_lbbbEUlllE0_EEPmJS6_EEE10hipError_tPvRmT3_T4_T5_T6_T7_T9_mT8_P12ihipStream_tbDpT10_ENKUlT_T0_E_clISt17integral_constantIbLb1EES1B_IbLb0EEEEDaS17_S18_EUlS17_E_NS1_11comp_targetILNS1_3genE5ELNS1_11target_archE942ELNS1_3gpuE9ELNS1_3repE0EEENS1_30default_config_static_selectorELNS0_4arch9wavefront6targetE1EEEvT1_,"axG",@progbits,_ZN7rocprim17ROCPRIM_400000_NS6detail17trampoline_kernelINS0_14default_configENS1_25partition_config_selectorILNS1_17partition_subalgoE8ElNS0_10empty_typeEbEEZZNS1_14partition_implILS5_8ELb0ES3_jPlPS6_PKS6_NS0_5tupleIJS9_S6_EEENSD_IJSA_SA_EEENS0_18inequality_wrapperIZN2at6native12_GLOBAL__N_124unique_dim_cuda_templateIiEESt5tupleIJNSH_6TensorESM_SM_EERKSM_lbbbEUlllE0_EEPmJS6_EEE10hipError_tPvRmT3_T4_T5_T6_T7_T9_mT8_P12ihipStream_tbDpT10_ENKUlT_T0_E_clISt17integral_constantIbLb1EES1B_IbLb0EEEEDaS17_S18_EUlS17_E_NS1_11comp_targetILNS1_3genE5ELNS1_11target_archE942ELNS1_3gpuE9ELNS1_3repE0EEENS1_30default_config_static_selectorELNS0_4arch9wavefront6targetE1EEEvT1_,comdat
	.globl	_ZN7rocprim17ROCPRIM_400000_NS6detail17trampoline_kernelINS0_14default_configENS1_25partition_config_selectorILNS1_17partition_subalgoE8ElNS0_10empty_typeEbEEZZNS1_14partition_implILS5_8ELb0ES3_jPlPS6_PKS6_NS0_5tupleIJS9_S6_EEENSD_IJSA_SA_EEENS0_18inequality_wrapperIZN2at6native12_GLOBAL__N_124unique_dim_cuda_templateIiEESt5tupleIJNSH_6TensorESM_SM_EERKSM_lbbbEUlllE0_EEPmJS6_EEE10hipError_tPvRmT3_T4_T5_T6_T7_T9_mT8_P12ihipStream_tbDpT10_ENKUlT_T0_E_clISt17integral_constantIbLb1EES1B_IbLb0EEEEDaS17_S18_EUlS17_E_NS1_11comp_targetILNS1_3genE5ELNS1_11target_archE942ELNS1_3gpuE9ELNS1_3repE0EEENS1_30default_config_static_selectorELNS0_4arch9wavefront6targetE1EEEvT1_ ; -- Begin function _ZN7rocprim17ROCPRIM_400000_NS6detail17trampoline_kernelINS0_14default_configENS1_25partition_config_selectorILNS1_17partition_subalgoE8ElNS0_10empty_typeEbEEZZNS1_14partition_implILS5_8ELb0ES3_jPlPS6_PKS6_NS0_5tupleIJS9_S6_EEENSD_IJSA_SA_EEENS0_18inequality_wrapperIZN2at6native12_GLOBAL__N_124unique_dim_cuda_templateIiEESt5tupleIJNSH_6TensorESM_SM_EERKSM_lbbbEUlllE0_EEPmJS6_EEE10hipError_tPvRmT3_T4_T5_T6_T7_T9_mT8_P12ihipStream_tbDpT10_ENKUlT_T0_E_clISt17integral_constantIbLb1EES1B_IbLb0EEEEDaS17_S18_EUlS17_E_NS1_11comp_targetILNS1_3genE5ELNS1_11target_archE942ELNS1_3gpuE9ELNS1_3repE0EEENS1_30default_config_static_selectorELNS0_4arch9wavefront6targetE1EEEvT1_
	.p2align	8
	.type	_ZN7rocprim17ROCPRIM_400000_NS6detail17trampoline_kernelINS0_14default_configENS1_25partition_config_selectorILNS1_17partition_subalgoE8ElNS0_10empty_typeEbEEZZNS1_14partition_implILS5_8ELb0ES3_jPlPS6_PKS6_NS0_5tupleIJS9_S6_EEENSD_IJSA_SA_EEENS0_18inequality_wrapperIZN2at6native12_GLOBAL__N_124unique_dim_cuda_templateIiEESt5tupleIJNSH_6TensorESM_SM_EERKSM_lbbbEUlllE0_EEPmJS6_EEE10hipError_tPvRmT3_T4_T5_T6_T7_T9_mT8_P12ihipStream_tbDpT10_ENKUlT_T0_E_clISt17integral_constantIbLb1EES1B_IbLb0EEEEDaS17_S18_EUlS17_E_NS1_11comp_targetILNS1_3genE5ELNS1_11target_archE942ELNS1_3gpuE9ELNS1_3repE0EEENS1_30default_config_static_selectorELNS0_4arch9wavefront6targetE1EEEvT1_,@function
_ZN7rocprim17ROCPRIM_400000_NS6detail17trampoline_kernelINS0_14default_configENS1_25partition_config_selectorILNS1_17partition_subalgoE8ElNS0_10empty_typeEbEEZZNS1_14partition_implILS5_8ELb0ES3_jPlPS6_PKS6_NS0_5tupleIJS9_S6_EEENSD_IJSA_SA_EEENS0_18inequality_wrapperIZN2at6native12_GLOBAL__N_124unique_dim_cuda_templateIiEESt5tupleIJNSH_6TensorESM_SM_EERKSM_lbbbEUlllE0_EEPmJS6_EEE10hipError_tPvRmT3_T4_T5_T6_T7_T9_mT8_P12ihipStream_tbDpT10_ENKUlT_T0_E_clISt17integral_constantIbLb1EES1B_IbLb0EEEEDaS17_S18_EUlS17_E_NS1_11comp_targetILNS1_3genE5ELNS1_11target_archE942ELNS1_3gpuE9ELNS1_3repE0EEENS1_30default_config_static_selectorELNS0_4arch9wavefront6targetE1EEEvT1_: ; @_ZN7rocprim17ROCPRIM_400000_NS6detail17trampoline_kernelINS0_14default_configENS1_25partition_config_selectorILNS1_17partition_subalgoE8ElNS0_10empty_typeEbEEZZNS1_14partition_implILS5_8ELb0ES3_jPlPS6_PKS6_NS0_5tupleIJS9_S6_EEENSD_IJSA_SA_EEENS0_18inequality_wrapperIZN2at6native12_GLOBAL__N_124unique_dim_cuda_templateIiEESt5tupleIJNSH_6TensorESM_SM_EERKSM_lbbbEUlllE0_EEPmJS6_EEE10hipError_tPvRmT3_T4_T5_T6_T7_T9_mT8_P12ihipStream_tbDpT10_ENKUlT_T0_E_clISt17integral_constantIbLb1EES1B_IbLb0EEEEDaS17_S18_EUlS17_E_NS1_11comp_targetILNS1_3genE5ELNS1_11target_archE942ELNS1_3gpuE9ELNS1_3repE0EEENS1_30default_config_static_selectorELNS0_4arch9wavefront6targetE1EEEvT1_
; %bb.0:
	.section	.rodata,"a",@progbits
	.p2align	6, 0x0
	.amdhsa_kernel _ZN7rocprim17ROCPRIM_400000_NS6detail17trampoline_kernelINS0_14default_configENS1_25partition_config_selectorILNS1_17partition_subalgoE8ElNS0_10empty_typeEbEEZZNS1_14partition_implILS5_8ELb0ES3_jPlPS6_PKS6_NS0_5tupleIJS9_S6_EEENSD_IJSA_SA_EEENS0_18inequality_wrapperIZN2at6native12_GLOBAL__N_124unique_dim_cuda_templateIiEESt5tupleIJNSH_6TensorESM_SM_EERKSM_lbbbEUlllE0_EEPmJS6_EEE10hipError_tPvRmT3_T4_T5_T6_T7_T9_mT8_P12ihipStream_tbDpT10_ENKUlT_T0_E_clISt17integral_constantIbLb1EES1B_IbLb0EEEEDaS17_S18_EUlS17_E_NS1_11comp_targetILNS1_3genE5ELNS1_11target_archE942ELNS1_3gpuE9ELNS1_3repE0EEENS1_30default_config_static_selectorELNS0_4arch9wavefront6targetE1EEEvT1_
		.amdhsa_group_segment_fixed_size 0
		.amdhsa_private_segment_fixed_size 0
		.amdhsa_kernarg_size 120
		.amdhsa_user_sgpr_count 2
		.amdhsa_user_sgpr_dispatch_ptr 0
		.amdhsa_user_sgpr_queue_ptr 0
		.amdhsa_user_sgpr_kernarg_segment_ptr 1
		.amdhsa_user_sgpr_dispatch_id 0
		.amdhsa_user_sgpr_kernarg_preload_length 0
		.amdhsa_user_sgpr_kernarg_preload_offset 0
		.amdhsa_user_sgpr_private_segment_size 0
		.amdhsa_uses_dynamic_stack 0
		.amdhsa_enable_private_segment 0
		.amdhsa_system_sgpr_workgroup_id_x 1
		.amdhsa_system_sgpr_workgroup_id_y 0
		.amdhsa_system_sgpr_workgroup_id_z 0
		.amdhsa_system_sgpr_workgroup_info 0
		.amdhsa_system_vgpr_workitem_id 0
		.amdhsa_next_free_vgpr 1
		.amdhsa_next_free_sgpr 0
		.amdhsa_accum_offset 4
		.amdhsa_reserve_vcc 0
		.amdhsa_float_round_mode_32 0
		.amdhsa_float_round_mode_16_64 0
		.amdhsa_float_denorm_mode_32 3
		.amdhsa_float_denorm_mode_16_64 3
		.amdhsa_dx10_clamp 1
		.amdhsa_ieee_mode 1
		.amdhsa_fp16_overflow 0
		.amdhsa_tg_split 0
		.amdhsa_exception_fp_ieee_invalid_op 0
		.amdhsa_exception_fp_denorm_src 0
		.amdhsa_exception_fp_ieee_div_zero 0
		.amdhsa_exception_fp_ieee_overflow 0
		.amdhsa_exception_fp_ieee_underflow 0
		.amdhsa_exception_fp_ieee_inexact 0
		.amdhsa_exception_int_div_zero 0
	.end_amdhsa_kernel
	.section	.text._ZN7rocprim17ROCPRIM_400000_NS6detail17trampoline_kernelINS0_14default_configENS1_25partition_config_selectorILNS1_17partition_subalgoE8ElNS0_10empty_typeEbEEZZNS1_14partition_implILS5_8ELb0ES3_jPlPS6_PKS6_NS0_5tupleIJS9_S6_EEENSD_IJSA_SA_EEENS0_18inequality_wrapperIZN2at6native12_GLOBAL__N_124unique_dim_cuda_templateIiEESt5tupleIJNSH_6TensorESM_SM_EERKSM_lbbbEUlllE0_EEPmJS6_EEE10hipError_tPvRmT3_T4_T5_T6_T7_T9_mT8_P12ihipStream_tbDpT10_ENKUlT_T0_E_clISt17integral_constantIbLb1EES1B_IbLb0EEEEDaS17_S18_EUlS17_E_NS1_11comp_targetILNS1_3genE5ELNS1_11target_archE942ELNS1_3gpuE9ELNS1_3repE0EEENS1_30default_config_static_selectorELNS0_4arch9wavefront6targetE1EEEvT1_,"axG",@progbits,_ZN7rocprim17ROCPRIM_400000_NS6detail17trampoline_kernelINS0_14default_configENS1_25partition_config_selectorILNS1_17partition_subalgoE8ElNS0_10empty_typeEbEEZZNS1_14partition_implILS5_8ELb0ES3_jPlPS6_PKS6_NS0_5tupleIJS9_S6_EEENSD_IJSA_SA_EEENS0_18inequality_wrapperIZN2at6native12_GLOBAL__N_124unique_dim_cuda_templateIiEESt5tupleIJNSH_6TensorESM_SM_EERKSM_lbbbEUlllE0_EEPmJS6_EEE10hipError_tPvRmT3_T4_T5_T6_T7_T9_mT8_P12ihipStream_tbDpT10_ENKUlT_T0_E_clISt17integral_constantIbLb1EES1B_IbLb0EEEEDaS17_S18_EUlS17_E_NS1_11comp_targetILNS1_3genE5ELNS1_11target_archE942ELNS1_3gpuE9ELNS1_3repE0EEENS1_30default_config_static_selectorELNS0_4arch9wavefront6targetE1EEEvT1_,comdat
.Lfunc_end458:
	.size	_ZN7rocprim17ROCPRIM_400000_NS6detail17trampoline_kernelINS0_14default_configENS1_25partition_config_selectorILNS1_17partition_subalgoE8ElNS0_10empty_typeEbEEZZNS1_14partition_implILS5_8ELb0ES3_jPlPS6_PKS6_NS0_5tupleIJS9_S6_EEENSD_IJSA_SA_EEENS0_18inequality_wrapperIZN2at6native12_GLOBAL__N_124unique_dim_cuda_templateIiEESt5tupleIJNSH_6TensorESM_SM_EERKSM_lbbbEUlllE0_EEPmJS6_EEE10hipError_tPvRmT3_T4_T5_T6_T7_T9_mT8_P12ihipStream_tbDpT10_ENKUlT_T0_E_clISt17integral_constantIbLb1EES1B_IbLb0EEEEDaS17_S18_EUlS17_E_NS1_11comp_targetILNS1_3genE5ELNS1_11target_archE942ELNS1_3gpuE9ELNS1_3repE0EEENS1_30default_config_static_selectorELNS0_4arch9wavefront6targetE1EEEvT1_, .Lfunc_end458-_ZN7rocprim17ROCPRIM_400000_NS6detail17trampoline_kernelINS0_14default_configENS1_25partition_config_selectorILNS1_17partition_subalgoE8ElNS0_10empty_typeEbEEZZNS1_14partition_implILS5_8ELb0ES3_jPlPS6_PKS6_NS0_5tupleIJS9_S6_EEENSD_IJSA_SA_EEENS0_18inequality_wrapperIZN2at6native12_GLOBAL__N_124unique_dim_cuda_templateIiEESt5tupleIJNSH_6TensorESM_SM_EERKSM_lbbbEUlllE0_EEPmJS6_EEE10hipError_tPvRmT3_T4_T5_T6_T7_T9_mT8_P12ihipStream_tbDpT10_ENKUlT_T0_E_clISt17integral_constantIbLb1EES1B_IbLb0EEEEDaS17_S18_EUlS17_E_NS1_11comp_targetILNS1_3genE5ELNS1_11target_archE942ELNS1_3gpuE9ELNS1_3repE0EEENS1_30default_config_static_selectorELNS0_4arch9wavefront6targetE1EEEvT1_
                                        ; -- End function
	.set _ZN7rocprim17ROCPRIM_400000_NS6detail17trampoline_kernelINS0_14default_configENS1_25partition_config_selectorILNS1_17partition_subalgoE8ElNS0_10empty_typeEbEEZZNS1_14partition_implILS5_8ELb0ES3_jPlPS6_PKS6_NS0_5tupleIJS9_S6_EEENSD_IJSA_SA_EEENS0_18inequality_wrapperIZN2at6native12_GLOBAL__N_124unique_dim_cuda_templateIiEESt5tupleIJNSH_6TensorESM_SM_EERKSM_lbbbEUlllE0_EEPmJS6_EEE10hipError_tPvRmT3_T4_T5_T6_T7_T9_mT8_P12ihipStream_tbDpT10_ENKUlT_T0_E_clISt17integral_constantIbLb1EES1B_IbLb0EEEEDaS17_S18_EUlS17_E_NS1_11comp_targetILNS1_3genE5ELNS1_11target_archE942ELNS1_3gpuE9ELNS1_3repE0EEENS1_30default_config_static_selectorELNS0_4arch9wavefront6targetE1EEEvT1_.num_vgpr, 0
	.set _ZN7rocprim17ROCPRIM_400000_NS6detail17trampoline_kernelINS0_14default_configENS1_25partition_config_selectorILNS1_17partition_subalgoE8ElNS0_10empty_typeEbEEZZNS1_14partition_implILS5_8ELb0ES3_jPlPS6_PKS6_NS0_5tupleIJS9_S6_EEENSD_IJSA_SA_EEENS0_18inequality_wrapperIZN2at6native12_GLOBAL__N_124unique_dim_cuda_templateIiEESt5tupleIJNSH_6TensorESM_SM_EERKSM_lbbbEUlllE0_EEPmJS6_EEE10hipError_tPvRmT3_T4_T5_T6_T7_T9_mT8_P12ihipStream_tbDpT10_ENKUlT_T0_E_clISt17integral_constantIbLb1EES1B_IbLb0EEEEDaS17_S18_EUlS17_E_NS1_11comp_targetILNS1_3genE5ELNS1_11target_archE942ELNS1_3gpuE9ELNS1_3repE0EEENS1_30default_config_static_selectorELNS0_4arch9wavefront6targetE1EEEvT1_.num_agpr, 0
	.set _ZN7rocprim17ROCPRIM_400000_NS6detail17trampoline_kernelINS0_14default_configENS1_25partition_config_selectorILNS1_17partition_subalgoE8ElNS0_10empty_typeEbEEZZNS1_14partition_implILS5_8ELb0ES3_jPlPS6_PKS6_NS0_5tupleIJS9_S6_EEENSD_IJSA_SA_EEENS0_18inequality_wrapperIZN2at6native12_GLOBAL__N_124unique_dim_cuda_templateIiEESt5tupleIJNSH_6TensorESM_SM_EERKSM_lbbbEUlllE0_EEPmJS6_EEE10hipError_tPvRmT3_T4_T5_T6_T7_T9_mT8_P12ihipStream_tbDpT10_ENKUlT_T0_E_clISt17integral_constantIbLb1EES1B_IbLb0EEEEDaS17_S18_EUlS17_E_NS1_11comp_targetILNS1_3genE5ELNS1_11target_archE942ELNS1_3gpuE9ELNS1_3repE0EEENS1_30default_config_static_selectorELNS0_4arch9wavefront6targetE1EEEvT1_.numbered_sgpr, 0
	.set _ZN7rocprim17ROCPRIM_400000_NS6detail17trampoline_kernelINS0_14default_configENS1_25partition_config_selectorILNS1_17partition_subalgoE8ElNS0_10empty_typeEbEEZZNS1_14partition_implILS5_8ELb0ES3_jPlPS6_PKS6_NS0_5tupleIJS9_S6_EEENSD_IJSA_SA_EEENS0_18inequality_wrapperIZN2at6native12_GLOBAL__N_124unique_dim_cuda_templateIiEESt5tupleIJNSH_6TensorESM_SM_EERKSM_lbbbEUlllE0_EEPmJS6_EEE10hipError_tPvRmT3_T4_T5_T6_T7_T9_mT8_P12ihipStream_tbDpT10_ENKUlT_T0_E_clISt17integral_constantIbLb1EES1B_IbLb0EEEEDaS17_S18_EUlS17_E_NS1_11comp_targetILNS1_3genE5ELNS1_11target_archE942ELNS1_3gpuE9ELNS1_3repE0EEENS1_30default_config_static_selectorELNS0_4arch9wavefront6targetE1EEEvT1_.num_named_barrier, 0
	.set _ZN7rocprim17ROCPRIM_400000_NS6detail17trampoline_kernelINS0_14default_configENS1_25partition_config_selectorILNS1_17partition_subalgoE8ElNS0_10empty_typeEbEEZZNS1_14partition_implILS5_8ELb0ES3_jPlPS6_PKS6_NS0_5tupleIJS9_S6_EEENSD_IJSA_SA_EEENS0_18inequality_wrapperIZN2at6native12_GLOBAL__N_124unique_dim_cuda_templateIiEESt5tupleIJNSH_6TensorESM_SM_EERKSM_lbbbEUlllE0_EEPmJS6_EEE10hipError_tPvRmT3_T4_T5_T6_T7_T9_mT8_P12ihipStream_tbDpT10_ENKUlT_T0_E_clISt17integral_constantIbLb1EES1B_IbLb0EEEEDaS17_S18_EUlS17_E_NS1_11comp_targetILNS1_3genE5ELNS1_11target_archE942ELNS1_3gpuE9ELNS1_3repE0EEENS1_30default_config_static_selectorELNS0_4arch9wavefront6targetE1EEEvT1_.private_seg_size, 0
	.set _ZN7rocprim17ROCPRIM_400000_NS6detail17trampoline_kernelINS0_14default_configENS1_25partition_config_selectorILNS1_17partition_subalgoE8ElNS0_10empty_typeEbEEZZNS1_14partition_implILS5_8ELb0ES3_jPlPS6_PKS6_NS0_5tupleIJS9_S6_EEENSD_IJSA_SA_EEENS0_18inequality_wrapperIZN2at6native12_GLOBAL__N_124unique_dim_cuda_templateIiEESt5tupleIJNSH_6TensorESM_SM_EERKSM_lbbbEUlllE0_EEPmJS6_EEE10hipError_tPvRmT3_T4_T5_T6_T7_T9_mT8_P12ihipStream_tbDpT10_ENKUlT_T0_E_clISt17integral_constantIbLb1EES1B_IbLb0EEEEDaS17_S18_EUlS17_E_NS1_11comp_targetILNS1_3genE5ELNS1_11target_archE942ELNS1_3gpuE9ELNS1_3repE0EEENS1_30default_config_static_selectorELNS0_4arch9wavefront6targetE1EEEvT1_.uses_vcc, 0
	.set _ZN7rocprim17ROCPRIM_400000_NS6detail17trampoline_kernelINS0_14default_configENS1_25partition_config_selectorILNS1_17partition_subalgoE8ElNS0_10empty_typeEbEEZZNS1_14partition_implILS5_8ELb0ES3_jPlPS6_PKS6_NS0_5tupleIJS9_S6_EEENSD_IJSA_SA_EEENS0_18inequality_wrapperIZN2at6native12_GLOBAL__N_124unique_dim_cuda_templateIiEESt5tupleIJNSH_6TensorESM_SM_EERKSM_lbbbEUlllE0_EEPmJS6_EEE10hipError_tPvRmT3_T4_T5_T6_T7_T9_mT8_P12ihipStream_tbDpT10_ENKUlT_T0_E_clISt17integral_constantIbLb1EES1B_IbLb0EEEEDaS17_S18_EUlS17_E_NS1_11comp_targetILNS1_3genE5ELNS1_11target_archE942ELNS1_3gpuE9ELNS1_3repE0EEENS1_30default_config_static_selectorELNS0_4arch9wavefront6targetE1EEEvT1_.uses_flat_scratch, 0
	.set _ZN7rocprim17ROCPRIM_400000_NS6detail17trampoline_kernelINS0_14default_configENS1_25partition_config_selectorILNS1_17partition_subalgoE8ElNS0_10empty_typeEbEEZZNS1_14partition_implILS5_8ELb0ES3_jPlPS6_PKS6_NS0_5tupleIJS9_S6_EEENSD_IJSA_SA_EEENS0_18inequality_wrapperIZN2at6native12_GLOBAL__N_124unique_dim_cuda_templateIiEESt5tupleIJNSH_6TensorESM_SM_EERKSM_lbbbEUlllE0_EEPmJS6_EEE10hipError_tPvRmT3_T4_T5_T6_T7_T9_mT8_P12ihipStream_tbDpT10_ENKUlT_T0_E_clISt17integral_constantIbLb1EES1B_IbLb0EEEEDaS17_S18_EUlS17_E_NS1_11comp_targetILNS1_3genE5ELNS1_11target_archE942ELNS1_3gpuE9ELNS1_3repE0EEENS1_30default_config_static_selectorELNS0_4arch9wavefront6targetE1EEEvT1_.has_dyn_sized_stack, 0
	.set _ZN7rocprim17ROCPRIM_400000_NS6detail17trampoline_kernelINS0_14default_configENS1_25partition_config_selectorILNS1_17partition_subalgoE8ElNS0_10empty_typeEbEEZZNS1_14partition_implILS5_8ELb0ES3_jPlPS6_PKS6_NS0_5tupleIJS9_S6_EEENSD_IJSA_SA_EEENS0_18inequality_wrapperIZN2at6native12_GLOBAL__N_124unique_dim_cuda_templateIiEESt5tupleIJNSH_6TensorESM_SM_EERKSM_lbbbEUlllE0_EEPmJS6_EEE10hipError_tPvRmT3_T4_T5_T6_T7_T9_mT8_P12ihipStream_tbDpT10_ENKUlT_T0_E_clISt17integral_constantIbLb1EES1B_IbLb0EEEEDaS17_S18_EUlS17_E_NS1_11comp_targetILNS1_3genE5ELNS1_11target_archE942ELNS1_3gpuE9ELNS1_3repE0EEENS1_30default_config_static_selectorELNS0_4arch9wavefront6targetE1EEEvT1_.has_recursion, 0
	.set _ZN7rocprim17ROCPRIM_400000_NS6detail17trampoline_kernelINS0_14default_configENS1_25partition_config_selectorILNS1_17partition_subalgoE8ElNS0_10empty_typeEbEEZZNS1_14partition_implILS5_8ELb0ES3_jPlPS6_PKS6_NS0_5tupleIJS9_S6_EEENSD_IJSA_SA_EEENS0_18inequality_wrapperIZN2at6native12_GLOBAL__N_124unique_dim_cuda_templateIiEESt5tupleIJNSH_6TensorESM_SM_EERKSM_lbbbEUlllE0_EEPmJS6_EEE10hipError_tPvRmT3_T4_T5_T6_T7_T9_mT8_P12ihipStream_tbDpT10_ENKUlT_T0_E_clISt17integral_constantIbLb1EES1B_IbLb0EEEEDaS17_S18_EUlS17_E_NS1_11comp_targetILNS1_3genE5ELNS1_11target_archE942ELNS1_3gpuE9ELNS1_3repE0EEENS1_30default_config_static_selectorELNS0_4arch9wavefront6targetE1EEEvT1_.has_indirect_call, 0
	.section	.AMDGPU.csdata,"",@progbits
; Kernel info:
; codeLenInByte = 0
; TotalNumSgprs: 6
; NumVgprs: 0
; NumAgprs: 0
; TotalNumVgprs: 0
; ScratchSize: 0
; MemoryBound: 0
; FloatMode: 240
; IeeeMode: 1
; LDSByteSize: 0 bytes/workgroup (compile time only)
; SGPRBlocks: 0
; VGPRBlocks: 0
; NumSGPRsForWavesPerEU: 6
; NumVGPRsForWavesPerEU: 1
; AccumOffset: 4
; Occupancy: 8
; WaveLimiterHint : 0
; COMPUTE_PGM_RSRC2:SCRATCH_EN: 0
; COMPUTE_PGM_RSRC2:USER_SGPR: 2
; COMPUTE_PGM_RSRC2:TRAP_HANDLER: 0
; COMPUTE_PGM_RSRC2:TGID_X_EN: 1
; COMPUTE_PGM_RSRC2:TGID_Y_EN: 0
; COMPUTE_PGM_RSRC2:TGID_Z_EN: 0
; COMPUTE_PGM_RSRC2:TIDIG_COMP_CNT: 0
; COMPUTE_PGM_RSRC3_GFX90A:ACCUM_OFFSET: 0
; COMPUTE_PGM_RSRC3_GFX90A:TG_SPLIT: 0
	.section	.text._ZN7rocprim17ROCPRIM_400000_NS6detail17trampoline_kernelINS0_14default_configENS1_25partition_config_selectorILNS1_17partition_subalgoE8ElNS0_10empty_typeEbEEZZNS1_14partition_implILS5_8ELb0ES3_jPlPS6_PKS6_NS0_5tupleIJS9_S6_EEENSD_IJSA_SA_EEENS0_18inequality_wrapperIZN2at6native12_GLOBAL__N_124unique_dim_cuda_templateIiEESt5tupleIJNSH_6TensorESM_SM_EERKSM_lbbbEUlllE0_EEPmJS6_EEE10hipError_tPvRmT3_T4_T5_T6_T7_T9_mT8_P12ihipStream_tbDpT10_ENKUlT_T0_E_clISt17integral_constantIbLb1EES1B_IbLb0EEEEDaS17_S18_EUlS17_E_NS1_11comp_targetILNS1_3genE4ELNS1_11target_archE910ELNS1_3gpuE8ELNS1_3repE0EEENS1_30default_config_static_selectorELNS0_4arch9wavefront6targetE1EEEvT1_,"axG",@progbits,_ZN7rocprim17ROCPRIM_400000_NS6detail17trampoline_kernelINS0_14default_configENS1_25partition_config_selectorILNS1_17partition_subalgoE8ElNS0_10empty_typeEbEEZZNS1_14partition_implILS5_8ELb0ES3_jPlPS6_PKS6_NS0_5tupleIJS9_S6_EEENSD_IJSA_SA_EEENS0_18inequality_wrapperIZN2at6native12_GLOBAL__N_124unique_dim_cuda_templateIiEESt5tupleIJNSH_6TensorESM_SM_EERKSM_lbbbEUlllE0_EEPmJS6_EEE10hipError_tPvRmT3_T4_T5_T6_T7_T9_mT8_P12ihipStream_tbDpT10_ENKUlT_T0_E_clISt17integral_constantIbLb1EES1B_IbLb0EEEEDaS17_S18_EUlS17_E_NS1_11comp_targetILNS1_3genE4ELNS1_11target_archE910ELNS1_3gpuE8ELNS1_3repE0EEENS1_30default_config_static_selectorELNS0_4arch9wavefront6targetE1EEEvT1_,comdat
	.globl	_ZN7rocprim17ROCPRIM_400000_NS6detail17trampoline_kernelINS0_14default_configENS1_25partition_config_selectorILNS1_17partition_subalgoE8ElNS0_10empty_typeEbEEZZNS1_14partition_implILS5_8ELb0ES3_jPlPS6_PKS6_NS0_5tupleIJS9_S6_EEENSD_IJSA_SA_EEENS0_18inequality_wrapperIZN2at6native12_GLOBAL__N_124unique_dim_cuda_templateIiEESt5tupleIJNSH_6TensorESM_SM_EERKSM_lbbbEUlllE0_EEPmJS6_EEE10hipError_tPvRmT3_T4_T5_T6_T7_T9_mT8_P12ihipStream_tbDpT10_ENKUlT_T0_E_clISt17integral_constantIbLb1EES1B_IbLb0EEEEDaS17_S18_EUlS17_E_NS1_11comp_targetILNS1_3genE4ELNS1_11target_archE910ELNS1_3gpuE8ELNS1_3repE0EEENS1_30default_config_static_selectorELNS0_4arch9wavefront6targetE1EEEvT1_ ; -- Begin function _ZN7rocprim17ROCPRIM_400000_NS6detail17trampoline_kernelINS0_14default_configENS1_25partition_config_selectorILNS1_17partition_subalgoE8ElNS0_10empty_typeEbEEZZNS1_14partition_implILS5_8ELb0ES3_jPlPS6_PKS6_NS0_5tupleIJS9_S6_EEENSD_IJSA_SA_EEENS0_18inequality_wrapperIZN2at6native12_GLOBAL__N_124unique_dim_cuda_templateIiEESt5tupleIJNSH_6TensorESM_SM_EERKSM_lbbbEUlllE0_EEPmJS6_EEE10hipError_tPvRmT3_T4_T5_T6_T7_T9_mT8_P12ihipStream_tbDpT10_ENKUlT_T0_E_clISt17integral_constantIbLb1EES1B_IbLb0EEEEDaS17_S18_EUlS17_E_NS1_11comp_targetILNS1_3genE4ELNS1_11target_archE910ELNS1_3gpuE8ELNS1_3repE0EEENS1_30default_config_static_selectorELNS0_4arch9wavefront6targetE1EEEvT1_
	.p2align	8
	.type	_ZN7rocprim17ROCPRIM_400000_NS6detail17trampoline_kernelINS0_14default_configENS1_25partition_config_selectorILNS1_17partition_subalgoE8ElNS0_10empty_typeEbEEZZNS1_14partition_implILS5_8ELb0ES3_jPlPS6_PKS6_NS0_5tupleIJS9_S6_EEENSD_IJSA_SA_EEENS0_18inequality_wrapperIZN2at6native12_GLOBAL__N_124unique_dim_cuda_templateIiEESt5tupleIJNSH_6TensorESM_SM_EERKSM_lbbbEUlllE0_EEPmJS6_EEE10hipError_tPvRmT3_T4_T5_T6_T7_T9_mT8_P12ihipStream_tbDpT10_ENKUlT_T0_E_clISt17integral_constantIbLb1EES1B_IbLb0EEEEDaS17_S18_EUlS17_E_NS1_11comp_targetILNS1_3genE4ELNS1_11target_archE910ELNS1_3gpuE8ELNS1_3repE0EEENS1_30default_config_static_selectorELNS0_4arch9wavefront6targetE1EEEvT1_,@function
_ZN7rocprim17ROCPRIM_400000_NS6detail17trampoline_kernelINS0_14default_configENS1_25partition_config_selectorILNS1_17partition_subalgoE8ElNS0_10empty_typeEbEEZZNS1_14partition_implILS5_8ELb0ES3_jPlPS6_PKS6_NS0_5tupleIJS9_S6_EEENSD_IJSA_SA_EEENS0_18inequality_wrapperIZN2at6native12_GLOBAL__N_124unique_dim_cuda_templateIiEESt5tupleIJNSH_6TensorESM_SM_EERKSM_lbbbEUlllE0_EEPmJS6_EEE10hipError_tPvRmT3_T4_T5_T6_T7_T9_mT8_P12ihipStream_tbDpT10_ENKUlT_T0_E_clISt17integral_constantIbLb1EES1B_IbLb0EEEEDaS17_S18_EUlS17_E_NS1_11comp_targetILNS1_3genE4ELNS1_11target_archE910ELNS1_3gpuE8ELNS1_3repE0EEENS1_30default_config_static_selectorELNS0_4arch9wavefront6targetE1EEEvT1_: ; @_ZN7rocprim17ROCPRIM_400000_NS6detail17trampoline_kernelINS0_14default_configENS1_25partition_config_selectorILNS1_17partition_subalgoE8ElNS0_10empty_typeEbEEZZNS1_14partition_implILS5_8ELb0ES3_jPlPS6_PKS6_NS0_5tupleIJS9_S6_EEENSD_IJSA_SA_EEENS0_18inequality_wrapperIZN2at6native12_GLOBAL__N_124unique_dim_cuda_templateIiEESt5tupleIJNSH_6TensorESM_SM_EERKSM_lbbbEUlllE0_EEPmJS6_EEE10hipError_tPvRmT3_T4_T5_T6_T7_T9_mT8_P12ihipStream_tbDpT10_ENKUlT_T0_E_clISt17integral_constantIbLb1EES1B_IbLb0EEEEDaS17_S18_EUlS17_E_NS1_11comp_targetILNS1_3genE4ELNS1_11target_archE910ELNS1_3gpuE8ELNS1_3repE0EEENS1_30default_config_static_selectorELNS0_4arch9wavefront6targetE1EEEvT1_
; %bb.0:
	.section	.rodata,"a",@progbits
	.p2align	6, 0x0
	.amdhsa_kernel _ZN7rocprim17ROCPRIM_400000_NS6detail17trampoline_kernelINS0_14default_configENS1_25partition_config_selectorILNS1_17partition_subalgoE8ElNS0_10empty_typeEbEEZZNS1_14partition_implILS5_8ELb0ES3_jPlPS6_PKS6_NS0_5tupleIJS9_S6_EEENSD_IJSA_SA_EEENS0_18inequality_wrapperIZN2at6native12_GLOBAL__N_124unique_dim_cuda_templateIiEESt5tupleIJNSH_6TensorESM_SM_EERKSM_lbbbEUlllE0_EEPmJS6_EEE10hipError_tPvRmT3_T4_T5_T6_T7_T9_mT8_P12ihipStream_tbDpT10_ENKUlT_T0_E_clISt17integral_constantIbLb1EES1B_IbLb0EEEEDaS17_S18_EUlS17_E_NS1_11comp_targetILNS1_3genE4ELNS1_11target_archE910ELNS1_3gpuE8ELNS1_3repE0EEENS1_30default_config_static_selectorELNS0_4arch9wavefront6targetE1EEEvT1_
		.amdhsa_group_segment_fixed_size 0
		.amdhsa_private_segment_fixed_size 0
		.amdhsa_kernarg_size 120
		.amdhsa_user_sgpr_count 2
		.amdhsa_user_sgpr_dispatch_ptr 0
		.amdhsa_user_sgpr_queue_ptr 0
		.amdhsa_user_sgpr_kernarg_segment_ptr 1
		.amdhsa_user_sgpr_dispatch_id 0
		.amdhsa_user_sgpr_kernarg_preload_length 0
		.amdhsa_user_sgpr_kernarg_preload_offset 0
		.amdhsa_user_sgpr_private_segment_size 0
		.amdhsa_uses_dynamic_stack 0
		.amdhsa_enable_private_segment 0
		.amdhsa_system_sgpr_workgroup_id_x 1
		.amdhsa_system_sgpr_workgroup_id_y 0
		.amdhsa_system_sgpr_workgroup_id_z 0
		.amdhsa_system_sgpr_workgroup_info 0
		.amdhsa_system_vgpr_workitem_id 0
		.amdhsa_next_free_vgpr 1
		.amdhsa_next_free_sgpr 0
		.amdhsa_accum_offset 4
		.amdhsa_reserve_vcc 0
		.amdhsa_float_round_mode_32 0
		.amdhsa_float_round_mode_16_64 0
		.amdhsa_float_denorm_mode_32 3
		.amdhsa_float_denorm_mode_16_64 3
		.amdhsa_dx10_clamp 1
		.amdhsa_ieee_mode 1
		.amdhsa_fp16_overflow 0
		.amdhsa_tg_split 0
		.amdhsa_exception_fp_ieee_invalid_op 0
		.amdhsa_exception_fp_denorm_src 0
		.amdhsa_exception_fp_ieee_div_zero 0
		.amdhsa_exception_fp_ieee_overflow 0
		.amdhsa_exception_fp_ieee_underflow 0
		.amdhsa_exception_fp_ieee_inexact 0
		.amdhsa_exception_int_div_zero 0
	.end_amdhsa_kernel
	.section	.text._ZN7rocprim17ROCPRIM_400000_NS6detail17trampoline_kernelINS0_14default_configENS1_25partition_config_selectorILNS1_17partition_subalgoE8ElNS0_10empty_typeEbEEZZNS1_14partition_implILS5_8ELb0ES3_jPlPS6_PKS6_NS0_5tupleIJS9_S6_EEENSD_IJSA_SA_EEENS0_18inequality_wrapperIZN2at6native12_GLOBAL__N_124unique_dim_cuda_templateIiEESt5tupleIJNSH_6TensorESM_SM_EERKSM_lbbbEUlllE0_EEPmJS6_EEE10hipError_tPvRmT3_T4_T5_T6_T7_T9_mT8_P12ihipStream_tbDpT10_ENKUlT_T0_E_clISt17integral_constantIbLb1EES1B_IbLb0EEEEDaS17_S18_EUlS17_E_NS1_11comp_targetILNS1_3genE4ELNS1_11target_archE910ELNS1_3gpuE8ELNS1_3repE0EEENS1_30default_config_static_selectorELNS0_4arch9wavefront6targetE1EEEvT1_,"axG",@progbits,_ZN7rocprim17ROCPRIM_400000_NS6detail17trampoline_kernelINS0_14default_configENS1_25partition_config_selectorILNS1_17partition_subalgoE8ElNS0_10empty_typeEbEEZZNS1_14partition_implILS5_8ELb0ES3_jPlPS6_PKS6_NS0_5tupleIJS9_S6_EEENSD_IJSA_SA_EEENS0_18inequality_wrapperIZN2at6native12_GLOBAL__N_124unique_dim_cuda_templateIiEESt5tupleIJNSH_6TensorESM_SM_EERKSM_lbbbEUlllE0_EEPmJS6_EEE10hipError_tPvRmT3_T4_T5_T6_T7_T9_mT8_P12ihipStream_tbDpT10_ENKUlT_T0_E_clISt17integral_constantIbLb1EES1B_IbLb0EEEEDaS17_S18_EUlS17_E_NS1_11comp_targetILNS1_3genE4ELNS1_11target_archE910ELNS1_3gpuE8ELNS1_3repE0EEENS1_30default_config_static_selectorELNS0_4arch9wavefront6targetE1EEEvT1_,comdat
.Lfunc_end459:
	.size	_ZN7rocprim17ROCPRIM_400000_NS6detail17trampoline_kernelINS0_14default_configENS1_25partition_config_selectorILNS1_17partition_subalgoE8ElNS0_10empty_typeEbEEZZNS1_14partition_implILS5_8ELb0ES3_jPlPS6_PKS6_NS0_5tupleIJS9_S6_EEENSD_IJSA_SA_EEENS0_18inequality_wrapperIZN2at6native12_GLOBAL__N_124unique_dim_cuda_templateIiEESt5tupleIJNSH_6TensorESM_SM_EERKSM_lbbbEUlllE0_EEPmJS6_EEE10hipError_tPvRmT3_T4_T5_T6_T7_T9_mT8_P12ihipStream_tbDpT10_ENKUlT_T0_E_clISt17integral_constantIbLb1EES1B_IbLb0EEEEDaS17_S18_EUlS17_E_NS1_11comp_targetILNS1_3genE4ELNS1_11target_archE910ELNS1_3gpuE8ELNS1_3repE0EEENS1_30default_config_static_selectorELNS0_4arch9wavefront6targetE1EEEvT1_, .Lfunc_end459-_ZN7rocprim17ROCPRIM_400000_NS6detail17trampoline_kernelINS0_14default_configENS1_25partition_config_selectorILNS1_17partition_subalgoE8ElNS0_10empty_typeEbEEZZNS1_14partition_implILS5_8ELb0ES3_jPlPS6_PKS6_NS0_5tupleIJS9_S6_EEENSD_IJSA_SA_EEENS0_18inequality_wrapperIZN2at6native12_GLOBAL__N_124unique_dim_cuda_templateIiEESt5tupleIJNSH_6TensorESM_SM_EERKSM_lbbbEUlllE0_EEPmJS6_EEE10hipError_tPvRmT3_T4_T5_T6_T7_T9_mT8_P12ihipStream_tbDpT10_ENKUlT_T0_E_clISt17integral_constantIbLb1EES1B_IbLb0EEEEDaS17_S18_EUlS17_E_NS1_11comp_targetILNS1_3genE4ELNS1_11target_archE910ELNS1_3gpuE8ELNS1_3repE0EEENS1_30default_config_static_selectorELNS0_4arch9wavefront6targetE1EEEvT1_
                                        ; -- End function
	.set _ZN7rocprim17ROCPRIM_400000_NS6detail17trampoline_kernelINS0_14default_configENS1_25partition_config_selectorILNS1_17partition_subalgoE8ElNS0_10empty_typeEbEEZZNS1_14partition_implILS5_8ELb0ES3_jPlPS6_PKS6_NS0_5tupleIJS9_S6_EEENSD_IJSA_SA_EEENS0_18inequality_wrapperIZN2at6native12_GLOBAL__N_124unique_dim_cuda_templateIiEESt5tupleIJNSH_6TensorESM_SM_EERKSM_lbbbEUlllE0_EEPmJS6_EEE10hipError_tPvRmT3_T4_T5_T6_T7_T9_mT8_P12ihipStream_tbDpT10_ENKUlT_T0_E_clISt17integral_constantIbLb1EES1B_IbLb0EEEEDaS17_S18_EUlS17_E_NS1_11comp_targetILNS1_3genE4ELNS1_11target_archE910ELNS1_3gpuE8ELNS1_3repE0EEENS1_30default_config_static_selectorELNS0_4arch9wavefront6targetE1EEEvT1_.num_vgpr, 0
	.set _ZN7rocprim17ROCPRIM_400000_NS6detail17trampoline_kernelINS0_14default_configENS1_25partition_config_selectorILNS1_17partition_subalgoE8ElNS0_10empty_typeEbEEZZNS1_14partition_implILS5_8ELb0ES3_jPlPS6_PKS6_NS0_5tupleIJS9_S6_EEENSD_IJSA_SA_EEENS0_18inequality_wrapperIZN2at6native12_GLOBAL__N_124unique_dim_cuda_templateIiEESt5tupleIJNSH_6TensorESM_SM_EERKSM_lbbbEUlllE0_EEPmJS6_EEE10hipError_tPvRmT3_T4_T5_T6_T7_T9_mT8_P12ihipStream_tbDpT10_ENKUlT_T0_E_clISt17integral_constantIbLb1EES1B_IbLb0EEEEDaS17_S18_EUlS17_E_NS1_11comp_targetILNS1_3genE4ELNS1_11target_archE910ELNS1_3gpuE8ELNS1_3repE0EEENS1_30default_config_static_selectorELNS0_4arch9wavefront6targetE1EEEvT1_.num_agpr, 0
	.set _ZN7rocprim17ROCPRIM_400000_NS6detail17trampoline_kernelINS0_14default_configENS1_25partition_config_selectorILNS1_17partition_subalgoE8ElNS0_10empty_typeEbEEZZNS1_14partition_implILS5_8ELb0ES3_jPlPS6_PKS6_NS0_5tupleIJS9_S6_EEENSD_IJSA_SA_EEENS0_18inequality_wrapperIZN2at6native12_GLOBAL__N_124unique_dim_cuda_templateIiEESt5tupleIJNSH_6TensorESM_SM_EERKSM_lbbbEUlllE0_EEPmJS6_EEE10hipError_tPvRmT3_T4_T5_T6_T7_T9_mT8_P12ihipStream_tbDpT10_ENKUlT_T0_E_clISt17integral_constantIbLb1EES1B_IbLb0EEEEDaS17_S18_EUlS17_E_NS1_11comp_targetILNS1_3genE4ELNS1_11target_archE910ELNS1_3gpuE8ELNS1_3repE0EEENS1_30default_config_static_selectorELNS0_4arch9wavefront6targetE1EEEvT1_.numbered_sgpr, 0
	.set _ZN7rocprim17ROCPRIM_400000_NS6detail17trampoline_kernelINS0_14default_configENS1_25partition_config_selectorILNS1_17partition_subalgoE8ElNS0_10empty_typeEbEEZZNS1_14partition_implILS5_8ELb0ES3_jPlPS6_PKS6_NS0_5tupleIJS9_S6_EEENSD_IJSA_SA_EEENS0_18inequality_wrapperIZN2at6native12_GLOBAL__N_124unique_dim_cuda_templateIiEESt5tupleIJNSH_6TensorESM_SM_EERKSM_lbbbEUlllE0_EEPmJS6_EEE10hipError_tPvRmT3_T4_T5_T6_T7_T9_mT8_P12ihipStream_tbDpT10_ENKUlT_T0_E_clISt17integral_constantIbLb1EES1B_IbLb0EEEEDaS17_S18_EUlS17_E_NS1_11comp_targetILNS1_3genE4ELNS1_11target_archE910ELNS1_3gpuE8ELNS1_3repE0EEENS1_30default_config_static_selectorELNS0_4arch9wavefront6targetE1EEEvT1_.num_named_barrier, 0
	.set _ZN7rocprim17ROCPRIM_400000_NS6detail17trampoline_kernelINS0_14default_configENS1_25partition_config_selectorILNS1_17partition_subalgoE8ElNS0_10empty_typeEbEEZZNS1_14partition_implILS5_8ELb0ES3_jPlPS6_PKS6_NS0_5tupleIJS9_S6_EEENSD_IJSA_SA_EEENS0_18inequality_wrapperIZN2at6native12_GLOBAL__N_124unique_dim_cuda_templateIiEESt5tupleIJNSH_6TensorESM_SM_EERKSM_lbbbEUlllE0_EEPmJS6_EEE10hipError_tPvRmT3_T4_T5_T6_T7_T9_mT8_P12ihipStream_tbDpT10_ENKUlT_T0_E_clISt17integral_constantIbLb1EES1B_IbLb0EEEEDaS17_S18_EUlS17_E_NS1_11comp_targetILNS1_3genE4ELNS1_11target_archE910ELNS1_3gpuE8ELNS1_3repE0EEENS1_30default_config_static_selectorELNS0_4arch9wavefront6targetE1EEEvT1_.private_seg_size, 0
	.set _ZN7rocprim17ROCPRIM_400000_NS6detail17trampoline_kernelINS0_14default_configENS1_25partition_config_selectorILNS1_17partition_subalgoE8ElNS0_10empty_typeEbEEZZNS1_14partition_implILS5_8ELb0ES3_jPlPS6_PKS6_NS0_5tupleIJS9_S6_EEENSD_IJSA_SA_EEENS0_18inequality_wrapperIZN2at6native12_GLOBAL__N_124unique_dim_cuda_templateIiEESt5tupleIJNSH_6TensorESM_SM_EERKSM_lbbbEUlllE0_EEPmJS6_EEE10hipError_tPvRmT3_T4_T5_T6_T7_T9_mT8_P12ihipStream_tbDpT10_ENKUlT_T0_E_clISt17integral_constantIbLb1EES1B_IbLb0EEEEDaS17_S18_EUlS17_E_NS1_11comp_targetILNS1_3genE4ELNS1_11target_archE910ELNS1_3gpuE8ELNS1_3repE0EEENS1_30default_config_static_selectorELNS0_4arch9wavefront6targetE1EEEvT1_.uses_vcc, 0
	.set _ZN7rocprim17ROCPRIM_400000_NS6detail17trampoline_kernelINS0_14default_configENS1_25partition_config_selectorILNS1_17partition_subalgoE8ElNS0_10empty_typeEbEEZZNS1_14partition_implILS5_8ELb0ES3_jPlPS6_PKS6_NS0_5tupleIJS9_S6_EEENSD_IJSA_SA_EEENS0_18inequality_wrapperIZN2at6native12_GLOBAL__N_124unique_dim_cuda_templateIiEESt5tupleIJNSH_6TensorESM_SM_EERKSM_lbbbEUlllE0_EEPmJS6_EEE10hipError_tPvRmT3_T4_T5_T6_T7_T9_mT8_P12ihipStream_tbDpT10_ENKUlT_T0_E_clISt17integral_constantIbLb1EES1B_IbLb0EEEEDaS17_S18_EUlS17_E_NS1_11comp_targetILNS1_3genE4ELNS1_11target_archE910ELNS1_3gpuE8ELNS1_3repE0EEENS1_30default_config_static_selectorELNS0_4arch9wavefront6targetE1EEEvT1_.uses_flat_scratch, 0
	.set _ZN7rocprim17ROCPRIM_400000_NS6detail17trampoline_kernelINS0_14default_configENS1_25partition_config_selectorILNS1_17partition_subalgoE8ElNS0_10empty_typeEbEEZZNS1_14partition_implILS5_8ELb0ES3_jPlPS6_PKS6_NS0_5tupleIJS9_S6_EEENSD_IJSA_SA_EEENS0_18inequality_wrapperIZN2at6native12_GLOBAL__N_124unique_dim_cuda_templateIiEESt5tupleIJNSH_6TensorESM_SM_EERKSM_lbbbEUlllE0_EEPmJS6_EEE10hipError_tPvRmT3_T4_T5_T6_T7_T9_mT8_P12ihipStream_tbDpT10_ENKUlT_T0_E_clISt17integral_constantIbLb1EES1B_IbLb0EEEEDaS17_S18_EUlS17_E_NS1_11comp_targetILNS1_3genE4ELNS1_11target_archE910ELNS1_3gpuE8ELNS1_3repE0EEENS1_30default_config_static_selectorELNS0_4arch9wavefront6targetE1EEEvT1_.has_dyn_sized_stack, 0
	.set _ZN7rocprim17ROCPRIM_400000_NS6detail17trampoline_kernelINS0_14default_configENS1_25partition_config_selectorILNS1_17partition_subalgoE8ElNS0_10empty_typeEbEEZZNS1_14partition_implILS5_8ELb0ES3_jPlPS6_PKS6_NS0_5tupleIJS9_S6_EEENSD_IJSA_SA_EEENS0_18inequality_wrapperIZN2at6native12_GLOBAL__N_124unique_dim_cuda_templateIiEESt5tupleIJNSH_6TensorESM_SM_EERKSM_lbbbEUlllE0_EEPmJS6_EEE10hipError_tPvRmT3_T4_T5_T6_T7_T9_mT8_P12ihipStream_tbDpT10_ENKUlT_T0_E_clISt17integral_constantIbLb1EES1B_IbLb0EEEEDaS17_S18_EUlS17_E_NS1_11comp_targetILNS1_3genE4ELNS1_11target_archE910ELNS1_3gpuE8ELNS1_3repE0EEENS1_30default_config_static_selectorELNS0_4arch9wavefront6targetE1EEEvT1_.has_recursion, 0
	.set _ZN7rocprim17ROCPRIM_400000_NS6detail17trampoline_kernelINS0_14default_configENS1_25partition_config_selectorILNS1_17partition_subalgoE8ElNS0_10empty_typeEbEEZZNS1_14partition_implILS5_8ELb0ES3_jPlPS6_PKS6_NS0_5tupleIJS9_S6_EEENSD_IJSA_SA_EEENS0_18inequality_wrapperIZN2at6native12_GLOBAL__N_124unique_dim_cuda_templateIiEESt5tupleIJNSH_6TensorESM_SM_EERKSM_lbbbEUlllE0_EEPmJS6_EEE10hipError_tPvRmT3_T4_T5_T6_T7_T9_mT8_P12ihipStream_tbDpT10_ENKUlT_T0_E_clISt17integral_constantIbLb1EES1B_IbLb0EEEEDaS17_S18_EUlS17_E_NS1_11comp_targetILNS1_3genE4ELNS1_11target_archE910ELNS1_3gpuE8ELNS1_3repE0EEENS1_30default_config_static_selectorELNS0_4arch9wavefront6targetE1EEEvT1_.has_indirect_call, 0
	.section	.AMDGPU.csdata,"",@progbits
; Kernel info:
; codeLenInByte = 0
; TotalNumSgprs: 6
; NumVgprs: 0
; NumAgprs: 0
; TotalNumVgprs: 0
; ScratchSize: 0
; MemoryBound: 0
; FloatMode: 240
; IeeeMode: 1
; LDSByteSize: 0 bytes/workgroup (compile time only)
; SGPRBlocks: 0
; VGPRBlocks: 0
; NumSGPRsForWavesPerEU: 6
; NumVGPRsForWavesPerEU: 1
; AccumOffset: 4
; Occupancy: 8
; WaveLimiterHint : 0
; COMPUTE_PGM_RSRC2:SCRATCH_EN: 0
; COMPUTE_PGM_RSRC2:USER_SGPR: 2
; COMPUTE_PGM_RSRC2:TRAP_HANDLER: 0
; COMPUTE_PGM_RSRC2:TGID_X_EN: 1
; COMPUTE_PGM_RSRC2:TGID_Y_EN: 0
; COMPUTE_PGM_RSRC2:TGID_Z_EN: 0
; COMPUTE_PGM_RSRC2:TIDIG_COMP_CNT: 0
; COMPUTE_PGM_RSRC3_GFX90A:ACCUM_OFFSET: 0
; COMPUTE_PGM_RSRC3_GFX90A:TG_SPLIT: 0
	.section	.text._ZN7rocprim17ROCPRIM_400000_NS6detail17trampoline_kernelINS0_14default_configENS1_25partition_config_selectorILNS1_17partition_subalgoE8ElNS0_10empty_typeEbEEZZNS1_14partition_implILS5_8ELb0ES3_jPlPS6_PKS6_NS0_5tupleIJS9_S6_EEENSD_IJSA_SA_EEENS0_18inequality_wrapperIZN2at6native12_GLOBAL__N_124unique_dim_cuda_templateIiEESt5tupleIJNSH_6TensorESM_SM_EERKSM_lbbbEUlllE0_EEPmJS6_EEE10hipError_tPvRmT3_T4_T5_T6_T7_T9_mT8_P12ihipStream_tbDpT10_ENKUlT_T0_E_clISt17integral_constantIbLb1EES1B_IbLb0EEEEDaS17_S18_EUlS17_E_NS1_11comp_targetILNS1_3genE3ELNS1_11target_archE908ELNS1_3gpuE7ELNS1_3repE0EEENS1_30default_config_static_selectorELNS0_4arch9wavefront6targetE1EEEvT1_,"axG",@progbits,_ZN7rocprim17ROCPRIM_400000_NS6detail17trampoline_kernelINS0_14default_configENS1_25partition_config_selectorILNS1_17partition_subalgoE8ElNS0_10empty_typeEbEEZZNS1_14partition_implILS5_8ELb0ES3_jPlPS6_PKS6_NS0_5tupleIJS9_S6_EEENSD_IJSA_SA_EEENS0_18inequality_wrapperIZN2at6native12_GLOBAL__N_124unique_dim_cuda_templateIiEESt5tupleIJNSH_6TensorESM_SM_EERKSM_lbbbEUlllE0_EEPmJS6_EEE10hipError_tPvRmT3_T4_T5_T6_T7_T9_mT8_P12ihipStream_tbDpT10_ENKUlT_T0_E_clISt17integral_constantIbLb1EES1B_IbLb0EEEEDaS17_S18_EUlS17_E_NS1_11comp_targetILNS1_3genE3ELNS1_11target_archE908ELNS1_3gpuE7ELNS1_3repE0EEENS1_30default_config_static_selectorELNS0_4arch9wavefront6targetE1EEEvT1_,comdat
	.globl	_ZN7rocprim17ROCPRIM_400000_NS6detail17trampoline_kernelINS0_14default_configENS1_25partition_config_selectorILNS1_17partition_subalgoE8ElNS0_10empty_typeEbEEZZNS1_14partition_implILS5_8ELb0ES3_jPlPS6_PKS6_NS0_5tupleIJS9_S6_EEENSD_IJSA_SA_EEENS0_18inequality_wrapperIZN2at6native12_GLOBAL__N_124unique_dim_cuda_templateIiEESt5tupleIJNSH_6TensorESM_SM_EERKSM_lbbbEUlllE0_EEPmJS6_EEE10hipError_tPvRmT3_T4_T5_T6_T7_T9_mT8_P12ihipStream_tbDpT10_ENKUlT_T0_E_clISt17integral_constantIbLb1EES1B_IbLb0EEEEDaS17_S18_EUlS17_E_NS1_11comp_targetILNS1_3genE3ELNS1_11target_archE908ELNS1_3gpuE7ELNS1_3repE0EEENS1_30default_config_static_selectorELNS0_4arch9wavefront6targetE1EEEvT1_ ; -- Begin function _ZN7rocprim17ROCPRIM_400000_NS6detail17trampoline_kernelINS0_14default_configENS1_25partition_config_selectorILNS1_17partition_subalgoE8ElNS0_10empty_typeEbEEZZNS1_14partition_implILS5_8ELb0ES3_jPlPS6_PKS6_NS0_5tupleIJS9_S6_EEENSD_IJSA_SA_EEENS0_18inequality_wrapperIZN2at6native12_GLOBAL__N_124unique_dim_cuda_templateIiEESt5tupleIJNSH_6TensorESM_SM_EERKSM_lbbbEUlllE0_EEPmJS6_EEE10hipError_tPvRmT3_T4_T5_T6_T7_T9_mT8_P12ihipStream_tbDpT10_ENKUlT_T0_E_clISt17integral_constantIbLb1EES1B_IbLb0EEEEDaS17_S18_EUlS17_E_NS1_11comp_targetILNS1_3genE3ELNS1_11target_archE908ELNS1_3gpuE7ELNS1_3repE0EEENS1_30default_config_static_selectorELNS0_4arch9wavefront6targetE1EEEvT1_
	.p2align	8
	.type	_ZN7rocprim17ROCPRIM_400000_NS6detail17trampoline_kernelINS0_14default_configENS1_25partition_config_selectorILNS1_17partition_subalgoE8ElNS0_10empty_typeEbEEZZNS1_14partition_implILS5_8ELb0ES3_jPlPS6_PKS6_NS0_5tupleIJS9_S6_EEENSD_IJSA_SA_EEENS0_18inequality_wrapperIZN2at6native12_GLOBAL__N_124unique_dim_cuda_templateIiEESt5tupleIJNSH_6TensorESM_SM_EERKSM_lbbbEUlllE0_EEPmJS6_EEE10hipError_tPvRmT3_T4_T5_T6_T7_T9_mT8_P12ihipStream_tbDpT10_ENKUlT_T0_E_clISt17integral_constantIbLb1EES1B_IbLb0EEEEDaS17_S18_EUlS17_E_NS1_11comp_targetILNS1_3genE3ELNS1_11target_archE908ELNS1_3gpuE7ELNS1_3repE0EEENS1_30default_config_static_selectorELNS0_4arch9wavefront6targetE1EEEvT1_,@function
_ZN7rocprim17ROCPRIM_400000_NS6detail17trampoline_kernelINS0_14default_configENS1_25partition_config_selectorILNS1_17partition_subalgoE8ElNS0_10empty_typeEbEEZZNS1_14partition_implILS5_8ELb0ES3_jPlPS6_PKS6_NS0_5tupleIJS9_S6_EEENSD_IJSA_SA_EEENS0_18inequality_wrapperIZN2at6native12_GLOBAL__N_124unique_dim_cuda_templateIiEESt5tupleIJNSH_6TensorESM_SM_EERKSM_lbbbEUlllE0_EEPmJS6_EEE10hipError_tPvRmT3_T4_T5_T6_T7_T9_mT8_P12ihipStream_tbDpT10_ENKUlT_T0_E_clISt17integral_constantIbLb1EES1B_IbLb0EEEEDaS17_S18_EUlS17_E_NS1_11comp_targetILNS1_3genE3ELNS1_11target_archE908ELNS1_3gpuE7ELNS1_3repE0EEENS1_30default_config_static_selectorELNS0_4arch9wavefront6targetE1EEEvT1_: ; @_ZN7rocprim17ROCPRIM_400000_NS6detail17trampoline_kernelINS0_14default_configENS1_25partition_config_selectorILNS1_17partition_subalgoE8ElNS0_10empty_typeEbEEZZNS1_14partition_implILS5_8ELb0ES3_jPlPS6_PKS6_NS0_5tupleIJS9_S6_EEENSD_IJSA_SA_EEENS0_18inequality_wrapperIZN2at6native12_GLOBAL__N_124unique_dim_cuda_templateIiEESt5tupleIJNSH_6TensorESM_SM_EERKSM_lbbbEUlllE0_EEPmJS6_EEE10hipError_tPvRmT3_T4_T5_T6_T7_T9_mT8_P12ihipStream_tbDpT10_ENKUlT_T0_E_clISt17integral_constantIbLb1EES1B_IbLb0EEEEDaS17_S18_EUlS17_E_NS1_11comp_targetILNS1_3genE3ELNS1_11target_archE908ELNS1_3gpuE7ELNS1_3repE0EEENS1_30default_config_static_selectorELNS0_4arch9wavefront6targetE1EEEvT1_
; %bb.0:
	.section	.rodata,"a",@progbits
	.p2align	6, 0x0
	.amdhsa_kernel _ZN7rocprim17ROCPRIM_400000_NS6detail17trampoline_kernelINS0_14default_configENS1_25partition_config_selectorILNS1_17partition_subalgoE8ElNS0_10empty_typeEbEEZZNS1_14partition_implILS5_8ELb0ES3_jPlPS6_PKS6_NS0_5tupleIJS9_S6_EEENSD_IJSA_SA_EEENS0_18inequality_wrapperIZN2at6native12_GLOBAL__N_124unique_dim_cuda_templateIiEESt5tupleIJNSH_6TensorESM_SM_EERKSM_lbbbEUlllE0_EEPmJS6_EEE10hipError_tPvRmT3_T4_T5_T6_T7_T9_mT8_P12ihipStream_tbDpT10_ENKUlT_T0_E_clISt17integral_constantIbLb1EES1B_IbLb0EEEEDaS17_S18_EUlS17_E_NS1_11comp_targetILNS1_3genE3ELNS1_11target_archE908ELNS1_3gpuE7ELNS1_3repE0EEENS1_30default_config_static_selectorELNS0_4arch9wavefront6targetE1EEEvT1_
		.amdhsa_group_segment_fixed_size 0
		.amdhsa_private_segment_fixed_size 0
		.amdhsa_kernarg_size 120
		.amdhsa_user_sgpr_count 2
		.amdhsa_user_sgpr_dispatch_ptr 0
		.amdhsa_user_sgpr_queue_ptr 0
		.amdhsa_user_sgpr_kernarg_segment_ptr 1
		.amdhsa_user_sgpr_dispatch_id 0
		.amdhsa_user_sgpr_kernarg_preload_length 0
		.amdhsa_user_sgpr_kernarg_preload_offset 0
		.amdhsa_user_sgpr_private_segment_size 0
		.amdhsa_uses_dynamic_stack 0
		.amdhsa_enable_private_segment 0
		.amdhsa_system_sgpr_workgroup_id_x 1
		.amdhsa_system_sgpr_workgroup_id_y 0
		.amdhsa_system_sgpr_workgroup_id_z 0
		.amdhsa_system_sgpr_workgroup_info 0
		.amdhsa_system_vgpr_workitem_id 0
		.amdhsa_next_free_vgpr 1
		.amdhsa_next_free_sgpr 0
		.amdhsa_accum_offset 4
		.amdhsa_reserve_vcc 0
		.amdhsa_float_round_mode_32 0
		.amdhsa_float_round_mode_16_64 0
		.amdhsa_float_denorm_mode_32 3
		.amdhsa_float_denorm_mode_16_64 3
		.amdhsa_dx10_clamp 1
		.amdhsa_ieee_mode 1
		.amdhsa_fp16_overflow 0
		.amdhsa_tg_split 0
		.amdhsa_exception_fp_ieee_invalid_op 0
		.amdhsa_exception_fp_denorm_src 0
		.amdhsa_exception_fp_ieee_div_zero 0
		.amdhsa_exception_fp_ieee_overflow 0
		.amdhsa_exception_fp_ieee_underflow 0
		.amdhsa_exception_fp_ieee_inexact 0
		.amdhsa_exception_int_div_zero 0
	.end_amdhsa_kernel
	.section	.text._ZN7rocprim17ROCPRIM_400000_NS6detail17trampoline_kernelINS0_14default_configENS1_25partition_config_selectorILNS1_17partition_subalgoE8ElNS0_10empty_typeEbEEZZNS1_14partition_implILS5_8ELb0ES3_jPlPS6_PKS6_NS0_5tupleIJS9_S6_EEENSD_IJSA_SA_EEENS0_18inequality_wrapperIZN2at6native12_GLOBAL__N_124unique_dim_cuda_templateIiEESt5tupleIJNSH_6TensorESM_SM_EERKSM_lbbbEUlllE0_EEPmJS6_EEE10hipError_tPvRmT3_T4_T5_T6_T7_T9_mT8_P12ihipStream_tbDpT10_ENKUlT_T0_E_clISt17integral_constantIbLb1EES1B_IbLb0EEEEDaS17_S18_EUlS17_E_NS1_11comp_targetILNS1_3genE3ELNS1_11target_archE908ELNS1_3gpuE7ELNS1_3repE0EEENS1_30default_config_static_selectorELNS0_4arch9wavefront6targetE1EEEvT1_,"axG",@progbits,_ZN7rocprim17ROCPRIM_400000_NS6detail17trampoline_kernelINS0_14default_configENS1_25partition_config_selectorILNS1_17partition_subalgoE8ElNS0_10empty_typeEbEEZZNS1_14partition_implILS5_8ELb0ES3_jPlPS6_PKS6_NS0_5tupleIJS9_S6_EEENSD_IJSA_SA_EEENS0_18inequality_wrapperIZN2at6native12_GLOBAL__N_124unique_dim_cuda_templateIiEESt5tupleIJNSH_6TensorESM_SM_EERKSM_lbbbEUlllE0_EEPmJS6_EEE10hipError_tPvRmT3_T4_T5_T6_T7_T9_mT8_P12ihipStream_tbDpT10_ENKUlT_T0_E_clISt17integral_constantIbLb1EES1B_IbLb0EEEEDaS17_S18_EUlS17_E_NS1_11comp_targetILNS1_3genE3ELNS1_11target_archE908ELNS1_3gpuE7ELNS1_3repE0EEENS1_30default_config_static_selectorELNS0_4arch9wavefront6targetE1EEEvT1_,comdat
.Lfunc_end460:
	.size	_ZN7rocprim17ROCPRIM_400000_NS6detail17trampoline_kernelINS0_14default_configENS1_25partition_config_selectorILNS1_17partition_subalgoE8ElNS0_10empty_typeEbEEZZNS1_14partition_implILS5_8ELb0ES3_jPlPS6_PKS6_NS0_5tupleIJS9_S6_EEENSD_IJSA_SA_EEENS0_18inequality_wrapperIZN2at6native12_GLOBAL__N_124unique_dim_cuda_templateIiEESt5tupleIJNSH_6TensorESM_SM_EERKSM_lbbbEUlllE0_EEPmJS6_EEE10hipError_tPvRmT3_T4_T5_T6_T7_T9_mT8_P12ihipStream_tbDpT10_ENKUlT_T0_E_clISt17integral_constantIbLb1EES1B_IbLb0EEEEDaS17_S18_EUlS17_E_NS1_11comp_targetILNS1_3genE3ELNS1_11target_archE908ELNS1_3gpuE7ELNS1_3repE0EEENS1_30default_config_static_selectorELNS0_4arch9wavefront6targetE1EEEvT1_, .Lfunc_end460-_ZN7rocprim17ROCPRIM_400000_NS6detail17trampoline_kernelINS0_14default_configENS1_25partition_config_selectorILNS1_17partition_subalgoE8ElNS0_10empty_typeEbEEZZNS1_14partition_implILS5_8ELb0ES3_jPlPS6_PKS6_NS0_5tupleIJS9_S6_EEENSD_IJSA_SA_EEENS0_18inequality_wrapperIZN2at6native12_GLOBAL__N_124unique_dim_cuda_templateIiEESt5tupleIJNSH_6TensorESM_SM_EERKSM_lbbbEUlllE0_EEPmJS6_EEE10hipError_tPvRmT3_T4_T5_T6_T7_T9_mT8_P12ihipStream_tbDpT10_ENKUlT_T0_E_clISt17integral_constantIbLb1EES1B_IbLb0EEEEDaS17_S18_EUlS17_E_NS1_11comp_targetILNS1_3genE3ELNS1_11target_archE908ELNS1_3gpuE7ELNS1_3repE0EEENS1_30default_config_static_selectorELNS0_4arch9wavefront6targetE1EEEvT1_
                                        ; -- End function
	.set _ZN7rocprim17ROCPRIM_400000_NS6detail17trampoline_kernelINS0_14default_configENS1_25partition_config_selectorILNS1_17partition_subalgoE8ElNS0_10empty_typeEbEEZZNS1_14partition_implILS5_8ELb0ES3_jPlPS6_PKS6_NS0_5tupleIJS9_S6_EEENSD_IJSA_SA_EEENS0_18inequality_wrapperIZN2at6native12_GLOBAL__N_124unique_dim_cuda_templateIiEESt5tupleIJNSH_6TensorESM_SM_EERKSM_lbbbEUlllE0_EEPmJS6_EEE10hipError_tPvRmT3_T4_T5_T6_T7_T9_mT8_P12ihipStream_tbDpT10_ENKUlT_T0_E_clISt17integral_constantIbLb1EES1B_IbLb0EEEEDaS17_S18_EUlS17_E_NS1_11comp_targetILNS1_3genE3ELNS1_11target_archE908ELNS1_3gpuE7ELNS1_3repE0EEENS1_30default_config_static_selectorELNS0_4arch9wavefront6targetE1EEEvT1_.num_vgpr, 0
	.set _ZN7rocprim17ROCPRIM_400000_NS6detail17trampoline_kernelINS0_14default_configENS1_25partition_config_selectorILNS1_17partition_subalgoE8ElNS0_10empty_typeEbEEZZNS1_14partition_implILS5_8ELb0ES3_jPlPS6_PKS6_NS0_5tupleIJS9_S6_EEENSD_IJSA_SA_EEENS0_18inequality_wrapperIZN2at6native12_GLOBAL__N_124unique_dim_cuda_templateIiEESt5tupleIJNSH_6TensorESM_SM_EERKSM_lbbbEUlllE0_EEPmJS6_EEE10hipError_tPvRmT3_T4_T5_T6_T7_T9_mT8_P12ihipStream_tbDpT10_ENKUlT_T0_E_clISt17integral_constantIbLb1EES1B_IbLb0EEEEDaS17_S18_EUlS17_E_NS1_11comp_targetILNS1_3genE3ELNS1_11target_archE908ELNS1_3gpuE7ELNS1_3repE0EEENS1_30default_config_static_selectorELNS0_4arch9wavefront6targetE1EEEvT1_.num_agpr, 0
	.set _ZN7rocprim17ROCPRIM_400000_NS6detail17trampoline_kernelINS0_14default_configENS1_25partition_config_selectorILNS1_17partition_subalgoE8ElNS0_10empty_typeEbEEZZNS1_14partition_implILS5_8ELb0ES3_jPlPS6_PKS6_NS0_5tupleIJS9_S6_EEENSD_IJSA_SA_EEENS0_18inequality_wrapperIZN2at6native12_GLOBAL__N_124unique_dim_cuda_templateIiEESt5tupleIJNSH_6TensorESM_SM_EERKSM_lbbbEUlllE0_EEPmJS6_EEE10hipError_tPvRmT3_T4_T5_T6_T7_T9_mT8_P12ihipStream_tbDpT10_ENKUlT_T0_E_clISt17integral_constantIbLb1EES1B_IbLb0EEEEDaS17_S18_EUlS17_E_NS1_11comp_targetILNS1_3genE3ELNS1_11target_archE908ELNS1_3gpuE7ELNS1_3repE0EEENS1_30default_config_static_selectorELNS0_4arch9wavefront6targetE1EEEvT1_.numbered_sgpr, 0
	.set _ZN7rocprim17ROCPRIM_400000_NS6detail17trampoline_kernelINS0_14default_configENS1_25partition_config_selectorILNS1_17partition_subalgoE8ElNS0_10empty_typeEbEEZZNS1_14partition_implILS5_8ELb0ES3_jPlPS6_PKS6_NS0_5tupleIJS9_S6_EEENSD_IJSA_SA_EEENS0_18inequality_wrapperIZN2at6native12_GLOBAL__N_124unique_dim_cuda_templateIiEESt5tupleIJNSH_6TensorESM_SM_EERKSM_lbbbEUlllE0_EEPmJS6_EEE10hipError_tPvRmT3_T4_T5_T6_T7_T9_mT8_P12ihipStream_tbDpT10_ENKUlT_T0_E_clISt17integral_constantIbLb1EES1B_IbLb0EEEEDaS17_S18_EUlS17_E_NS1_11comp_targetILNS1_3genE3ELNS1_11target_archE908ELNS1_3gpuE7ELNS1_3repE0EEENS1_30default_config_static_selectorELNS0_4arch9wavefront6targetE1EEEvT1_.num_named_barrier, 0
	.set _ZN7rocprim17ROCPRIM_400000_NS6detail17trampoline_kernelINS0_14default_configENS1_25partition_config_selectorILNS1_17partition_subalgoE8ElNS0_10empty_typeEbEEZZNS1_14partition_implILS5_8ELb0ES3_jPlPS6_PKS6_NS0_5tupleIJS9_S6_EEENSD_IJSA_SA_EEENS0_18inequality_wrapperIZN2at6native12_GLOBAL__N_124unique_dim_cuda_templateIiEESt5tupleIJNSH_6TensorESM_SM_EERKSM_lbbbEUlllE0_EEPmJS6_EEE10hipError_tPvRmT3_T4_T5_T6_T7_T9_mT8_P12ihipStream_tbDpT10_ENKUlT_T0_E_clISt17integral_constantIbLb1EES1B_IbLb0EEEEDaS17_S18_EUlS17_E_NS1_11comp_targetILNS1_3genE3ELNS1_11target_archE908ELNS1_3gpuE7ELNS1_3repE0EEENS1_30default_config_static_selectorELNS0_4arch9wavefront6targetE1EEEvT1_.private_seg_size, 0
	.set _ZN7rocprim17ROCPRIM_400000_NS6detail17trampoline_kernelINS0_14default_configENS1_25partition_config_selectorILNS1_17partition_subalgoE8ElNS0_10empty_typeEbEEZZNS1_14partition_implILS5_8ELb0ES3_jPlPS6_PKS6_NS0_5tupleIJS9_S6_EEENSD_IJSA_SA_EEENS0_18inequality_wrapperIZN2at6native12_GLOBAL__N_124unique_dim_cuda_templateIiEESt5tupleIJNSH_6TensorESM_SM_EERKSM_lbbbEUlllE0_EEPmJS6_EEE10hipError_tPvRmT3_T4_T5_T6_T7_T9_mT8_P12ihipStream_tbDpT10_ENKUlT_T0_E_clISt17integral_constantIbLb1EES1B_IbLb0EEEEDaS17_S18_EUlS17_E_NS1_11comp_targetILNS1_3genE3ELNS1_11target_archE908ELNS1_3gpuE7ELNS1_3repE0EEENS1_30default_config_static_selectorELNS0_4arch9wavefront6targetE1EEEvT1_.uses_vcc, 0
	.set _ZN7rocprim17ROCPRIM_400000_NS6detail17trampoline_kernelINS0_14default_configENS1_25partition_config_selectorILNS1_17partition_subalgoE8ElNS0_10empty_typeEbEEZZNS1_14partition_implILS5_8ELb0ES3_jPlPS6_PKS6_NS0_5tupleIJS9_S6_EEENSD_IJSA_SA_EEENS0_18inequality_wrapperIZN2at6native12_GLOBAL__N_124unique_dim_cuda_templateIiEESt5tupleIJNSH_6TensorESM_SM_EERKSM_lbbbEUlllE0_EEPmJS6_EEE10hipError_tPvRmT3_T4_T5_T6_T7_T9_mT8_P12ihipStream_tbDpT10_ENKUlT_T0_E_clISt17integral_constantIbLb1EES1B_IbLb0EEEEDaS17_S18_EUlS17_E_NS1_11comp_targetILNS1_3genE3ELNS1_11target_archE908ELNS1_3gpuE7ELNS1_3repE0EEENS1_30default_config_static_selectorELNS0_4arch9wavefront6targetE1EEEvT1_.uses_flat_scratch, 0
	.set _ZN7rocprim17ROCPRIM_400000_NS6detail17trampoline_kernelINS0_14default_configENS1_25partition_config_selectorILNS1_17partition_subalgoE8ElNS0_10empty_typeEbEEZZNS1_14partition_implILS5_8ELb0ES3_jPlPS6_PKS6_NS0_5tupleIJS9_S6_EEENSD_IJSA_SA_EEENS0_18inequality_wrapperIZN2at6native12_GLOBAL__N_124unique_dim_cuda_templateIiEESt5tupleIJNSH_6TensorESM_SM_EERKSM_lbbbEUlllE0_EEPmJS6_EEE10hipError_tPvRmT3_T4_T5_T6_T7_T9_mT8_P12ihipStream_tbDpT10_ENKUlT_T0_E_clISt17integral_constantIbLb1EES1B_IbLb0EEEEDaS17_S18_EUlS17_E_NS1_11comp_targetILNS1_3genE3ELNS1_11target_archE908ELNS1_3gpuE7ELNS1_3repE0EEENS1_30default_config_static_selectorELNS0_4arch9wavefront6targetE1EEEvT1_.has_dyn_sized_stack, 0
	.set _ZN7rocprim17ROCPRIM_400000_NS6detail17trampoline_kernelINS0_14default_configENS1_25partition_config_selectorILNS1_17partition_subalgoE8ElNS0_10empty_typeEbEEZZNS1_14partition_implILS5_8ELb0ES3_jPlPS6_PKS6_NS0_5tupleIJS9_S6_EEENSD_IJSA_SA_EEENS0_18inequality_wrapperIZN2at6native12_GLOBAL__N_124unique_dim_cuda_templateIiEESt5tupleIJNSH_6TensorESM_SM_EERKSM_lbbbEUlllE0_EEPmJS6_EEE10hipError_tPvRmT3_T4_T5_T6_T7_T9_mT8_P12ihipStream_tbDpT10_ENKUlT_T0_E_clISt17integral_constantIbLb1EES1B_IbLb0EEEEDaS17_S18_EUlS17_E_NS1_11comp_targetILNS1_3genE3ELNS1_11target_archE908ELNS1_3gpuE7ELNS1_3repE0EEENS1_30default_config_static_selectorELNS0_4arch9wavefront6targetE1EEEvT1_.has_recursion, 0
	.set _ZN7rocprim17ROCPRIM_400000_NS6detail17trampoline_kernelINS0_14default_configENS1_25partition_config_selectorILNS1_17partition_subalgoE8ElNS0_10empty_typeEbEEZZNS1_14partition_implILS5_8ELb0ES3_jPlPS6_PKS6_NS0_5tupleIJS9_S6_EEENSD_IJSA_SA_EEENS0_18inequality_wrapperIZN2at6native12_GLOBAL__N_124unique_dim_cuda_templateIiEESt5tupleIJNSH_6TensorESM_SM_EERKSM_lbbbEUlllE0_EEPmJS6_EEE10hipError_tPvRmT3_T4_T5_T6_T7_T9_mT8_P12ihipStream_tbDpT10_ENKUlT_T0_E_clISt17integral_constantIbLb1EES1B_IbLb0EEEEDaS17_S18_EUlS17_E_NS1_11comp_targetILNS1_3genE3ELNS1_11target_archE908ELNS1_3gpuE7ELNS1_3repE0EEENS1_30default_config_static_selectorELNS0_4arch9wavefront6targetE1EEEvT1_.has_indirect_call, 0
	.section	.AMDGPU.csdata,"",@progbits
; Kernel info:
; codeLenInByte = 0
; TotalNumSgprs: 6
; NumVgprs: 0
; NumAgprs: 0
; TotalNumVgprs: 0
; ScratchSize: 0
; MemoryBound: 0
; FloatMode: 240
; IeeeMode: 1
; LDSByteSize: 0 bytes/workgroup (compile time only)
; SGPRBlocks: 0
; VGPRBlocks: 0
; NumSGPRsForWavesPerEU: 6
; NumVGPRsForWavesPerEU: 1
; AccumOffset: 4
; Occupancy: 8
; WaveLimiterHint : 0
; COMPUTE_PGM_RSRC2:SCRATCH_EN: 0
; COMPUTE_PGM_RSRC2:USER_SGPR: 2
; COMPUTE_PGM_RSRC2:TRAP_HANDLER: 0
; COMPUTE_PGM_RSRC2:TGID_X_EN: 1
; COMPUTE_PGM_RSRC2:TGID_Y_EN: 0
; COMPUTE_PGM_RSRC2:TGID_Z_EN: 0
; COMPUTE_PGM_RSRC2:TIDIG_COMP_CNT: 0
; COMPUTE_PGM_RSRC3_GFX90A:ACCUM_OFFSET: 0
; COMPUTE_PGM_RSRC3_GFX90A:TG_SPLIT: 0
	.section	.text._ZN7rocprim17ROCPRIM_400000_NS6detail17trampoline_kernelINS0_14default_configENS1_25partition_config_selectorILNS1_17partition_subalgoE8ElNS0_10empty_typeEbEEZZNS1_14partition_implILS5_8ELb0ES3_jPlPS6_PKS6_NS0_5tupleIJS9_S6_EEENSD_IJSA_SA_EEENS0_18inequality_wrapperIZN2at6native12_GLOBAL__N_124unique_dim_cuda_templateIiEESt5tupleIJNSH_6TensorESM_SM_EERKSM_lbbbEUlllE0_EEPmJS6_EEE10hipError_tPvRmT3_T4_T5_T6_T7_T9_mT8_P12ihipStream_tbDpT10_ENKUlT_T0_E_clISt17integral_constantIbLb1EES1B_IbLb0EEEEDaS17_S18_EUlS17_E_NS1_11comp_targetILNS1_3genE2ELNS1_11target_archE906ELNS1_3gpuE6ELNS1_3repE0EEENS1_30default_config_static_selectorELNS0_4arch9wavefront6targetE1EEEvT1_,"axG",@progbits,_ZN7rocprim17ROCPRIM_400000_NS6detail17trampoline_kernelINS0_14default_configENS1_25partition_config_selectorILNS1_17partition_subalgoE8ElNS0_10empty_typeEbEEZZNS1_14partition_implILS5_8ELb0ES3_jPlPS6_PKS6_NS0_5tupleIJS9_S6_EEENSD_IJSA_SA_EEENS0_18inequality_wrapperIZN2at6native12_GLOBAL__N_124unique_dim_cuda_templateIiEESt5tupleIJNSH_6TensorESM_SM_EERKSM_lbbbEUlllE0_EEPmJS6_EEE10hipError_tPvRmT3_T4_T5_T6_T7_T9_mT8_P12ihipStream_tbDpT10_ENKUlT_T0_E_clISt17integral_constantIbLb1EES1B_IbLb0EEEEDaS17_S18_EUlS17_E_NS1_11comp_targetILNS1_3genE2ELNS1_11target_archE906ELNS1_3gpuE6ELNS1_3repE0EEENS1_30default_config_static_selectorELNS0_4arch9wavefront6targetE1EEEvT1_,comdat
	.globl	_ZN7rocprim17ROCPRIM_400000_NS6detail17trampoline_kernelINS0_14default_configENS1_25partition_config_selectorILNS1_17partition_subalgoE8ElNS0_10empty_typeEbEEZZNS1_14partition_implILS5_8ELb0ES3_jPlPS6_PKS6_NS0_5tupleIJS9_S6_EEENSD_IJSA_SA_EEENS0_18inequality_wrapperIZN2at6native12_GLOBAL__N_124unique_dim_cuda_templateIiEESt5tupleIJNSH_6TensorESM_SM_EERKSM_lbbbEUlllE0_EEPmJS6_EEE10hipError_tPvRmT3_T4_T5_T6_T7_T9_mT8_P12ihipStream_tbDpT10_ENKUlT_T0_E_clISt17integral_constantIbLb1EES1B_IbLb0EEEEDaS17_S18_EUlS17_E_NS1_11comp_targetILNS1_3genE2ELNS1_11target_archE906ELNS1_3gpuE6ELNS1_3repE0EEENS1_30default_config_static_selectorELNS0_4arch9wavefront6targetE1EEEvT1_ ; -- Begin function _ZN7rocprim17ROCPRIM_400000_NS6detail17trampoline_kernelINS0_14default_configENS1_25partition_config_selectorILNS1_17partition_subalgoE8ElNS0_10empty_typeEbEEZZNS1_14partition_implILS5_8ELb0ES3_jPlPS6_PKS6_NS0_5tupleIJS9_S6_EEENSD_IJSA_SA_EEENS0_18inequality_wrapperIZN2at6native12_GLOBAL__N_124unique_dim_cuda_templateIiEESt5tupleIJNSH_6TensorESM_SM_EERKSM_lbbbEUlllE0_EEPmJS6_EEE10hipError_tPvRmT3_T4_T5_T6_T7_T9_mT8_P12ihipStream_tbDpT10_ENKUlT_T0_E_clISt17integral_constantIbLb1EES1B_IbLb0EEEEDaS17_S18_EUlS17_E_NS1_11comp_targetILNS1_3genE2ELNS1_11target_archE906ELNS1_3gpuE6ELNS1_3repE0EEENS1_30default_config_static_selectorELNS0_4arch9wavefront6targetE1EEEvT1_
	.p2align	8
	.type	_ZN7rocprim17ROCPRIM_400000_NS6detail17trampoline_kernelINS0_14default_configENS1_25partition_config_selectorILNS1_17partition_subalgoE8ElNS0_10empty_typeEbEEZZNS1_14partition_implILS5_8ELb0ES3_jPlPS6_PKS6_NS0_5tupleIJS9_S6_EEENSD_IJSA_SA_EEENS0_18inequality_wrapperIZN2at6native12_GLOBAL__N_124unique_dim_cuda_templateIiEESt5tupleIJNSH_6TensorESM_SM_EERKSM_lbbbEUlllE0_EEPmJS6_EEE10hipError_tPvRmT3_T4_T5_T6_T7_T9_mT8_P12ihipStream_tbDpT10_ENKUlT_T0_E_clISt17integral_constantIbLb1EES1B_IbLb0EEEEDaS17_S18_EUlS17_E_NS1_11comp_targetILNS1_3genE2ELNS1_11target_archE906ELNS1_3gpuE6ELNS1_3repE0EEENS1_30default_config_static_selectorELNS0_4arch9wavefront6targetE1EEEvT1_,@function
_ZN7rocprim17ROCPRIM_400000_NS6detail17trampoline_kernelINS0_14default_configENS1_25partition_config_selectorILNS1_17partition_subalgoE8ElNS0_10empty_typeEbEEZZNS1_14partition_implILS5_8ELb0ES3_jPlPS6_PKS6_NS0_5tupleIJS9_S6_EEENSD_IJSA_SA_EEENS0_18inequality_wrapperIZN2at6native12_GLOBAL__N_124unique_dim_cuda_templateIiEESt5tupleIJNSH_6TensorESM_SM_EERKSM_lbbbEUlllE0_EEPmJS6_EEE10hipError_tPvRmT3_T4_T5_T6_T7_T9_mT8_P12ihipStream_tbDpT10_ENKUlT_T0_E_clISt17integral_constantIbLb1EES1B_IbLb0EEEEDaS17_S18_EUlS17_E_NS1_11comp_targetILNS1_3genE2ELNS1_11target_archE906ELNS1_3gpuE6ELNS1_3repE0EEENS1_30default_config_static_selectorELNS0_4arch9wavefront6targetE1EEEvT1_: ; @_ZN7rocprim17ROCPRIM_400000_NS6detail17trampoline_kernelINS0_14default_configENS1_25partition_config_selectorILNS1_17partition_subalgoE8ElNS0_10empty_typeEbEEZZNS1_14partition_implILS5_8ELb0ES3_jPlPS6_PKS6_NS0_5tupleIJS9_S6_EEENSD_IJSA_SA_EEENS0_18inequality_wrapperIZN2at6native12_GLOBAL__N_124unique_dim_cuda_templateIiEESt5tupleIJNSH_6TensorESM_SM_EERKSM_lbbbEUlllE0_EEPmJS6_EEE10hipError_tPvRmT3_T4_T5_T6_T7_T9_mT8_P12ihipStream_tbDpT10_ENKUlT_T0_E_clISt17integral_constantIbLb1EES1B_IbLb0EEEEDaS17_S18_EUlS17_E_NS1_11comp_targetILNS1_3genE2ELNS1_11target_archE906ELNS1_3gpuE6ELNS1_3repE0EEENS1_30default_config_static_selectorELNS0_4arch9wavefront6targetE1EEEvT1_
; %bb.0:
	.section	.rodata,"a",@progbits
	.p2align	6, 0x0
	.amdhsa_kernel _ZN7rocprim17ROCPRIM_400000_NS6detail17trampoline_kernelINS0_14default_configENS1_25partition_config_selectorILNS1_17partition_subalgoE8ElNS0_10empty_typeEbEEZZNS1_14partition_implILS5_8ELb0ES3_jPlPS6_PKS6_NS0_5tupleIJS9_S6_EEENSD_IJSA_SA_EEENS0_18inequality_wrapperIZN2at6native12_GLOBAL__N_124unique_dim_cuda_templateIiEESt5tupleIJNSH_6TensorESM_SM_EERKSM_lbbbEUlllE0_EEPmJS6_EEE10hipError_tPvRmT3_T4_T5_T6_T7_T9_mT8_P12ihipStream_tbDpT10_ENKUlT_T0_E_clISt17integral_constantIbLb1EES1B_IbLb0EEEEDaS17_S18_EUlS17_E_NS1_11comp_targetILNS1_3genE2ELNS1_11target_archE906ELNS1_3gpuE6ELNS1_3repE0EEENS1_30default_config_static_selectorELNS0_4arch9wavefront6targetE1EEEvT1_
		.amdhsa_group_segment_fixed_size 0
		.amdhsa_private_segment_fixed_size 0
		.amdhsa_kernarg_size 120
		.amdhsa_user_sgpr_count 2
		.amdhsa_user_sgpr_dispatch_ptr 0
		.amdhsa_user_sgpr_queue_ptr 0
		.amdhsa_user_sgpr_kernarg_segment_ptr 1
		.amdhsa_user_sgpr_dispatch_id 0
		.amdhsa_user_sgpr_kernarg_preload_length 0
		.amdhsa_user_sgpr_kernarg_preload_offset 0
		.amdhsa_user_sgpr_private_segment_size 0
		.amdhsa_uses_dynamic_stack 0
		.amdhsa_enable_private_segment 0
		.amdhsa_system_sgpr_workgroup_id_x 1
		.amdhsa_system_sgpr_workgroup_id_y 0
		.amdhsa_system_sgpr_workgroup_id_z 0
		.amdhsa_system_sgpr_workgroup_info 0
		.amdhsa_system_vgpr_workitem_id 0
		.amdhsa_next_free_vgpr 1
		.amdhsa_next_free_sgpr 0
		.amdhsa_accum_offset 4
		.amdhsa_reserve_vcc 0
		.amdhsa_float_round_mode_32 0
		.amdhsa_float_round_mode_16_64 0
		.amdhsa_float_denorm_mode_32 3
		.amdhsa_float_denorm_mode_16_64 3
		.amdhsa_dx10_clamp 1
		.amdhsa_ieee_mode 1
		.amdhsa_fp16_overflow 0
		.amdhsa_tg_split 0
		.amdhsa_exception_fp_ieee_invalid_op 0
		.amdhsa_exception_fp_denorm_src 0
		.amdhsa_exception_fp_ieee_div_zero 0
		.amdhsa_exception_fp_ieee_overflow 0
		.amdhsa_exception_fp_ieee_underflow 0
		.amdhsa_exception_fp_ieee_inexact 0
		.amdhsa_exception_int_div_zero 0
	.end_amdhsa_kernel
	.section	.text._ZN7rocprim17ROCPRIM_400000_NS6detail17trampoline_kernelINS0_14default_configENS1_25partition_config_selectorILNS1_17partition_subalgoE8ElNS0_10empty_typeEbEEZZNS1_14partition_implILS5_8ELb0ES3_jPlPS6_PKS6_NS0_5tupleIJS9_S6_EEENSD_IJSA_SA_EEENS0_18inequality_wrapperIZN2at6native12_GLOBAL__N_124unique_dim_cuda_templateIiEESt5tupleIJNSH_6TensorESM_SM_EERKSM_lbbbEUlllE0_EEPmJS6_EEE10hipError_tPvRmT3_T4_T5_T6_T7_T9_mT8_P12ihipStream_tbDpT10_ENKUlT_T0_E_clISt17integral_constantIbLb1EES1B_IbLb0EEEEDaS17_S18_EUlS17_E_NS1_11comp_targetILNS1_3genE2ELNS1_11target_archE906ELNS1_3gpuE6ELNS1_3repE0EEENS1_30default_config_static_selectorELNS0_4arch9wavefront6targetE1EEEvT1_,"axG",@progbits,_ZN7rocprim17ROCPRIM_400000_NS6detail17trampoline_kernelINS0_14default_configENS1_25partition_config_selectorILNS1_17partition_subalgoE8ElNS0_10empty_typeEbEEZZNS1_14partition_implILS5_8ELb0ES3_jPlPS6_PKS6_NS0_5tupleIJS9_S6_EEENSD_IJSA_SA_EEENS0_18inequality_wrapperIZN2at6native12_GLOBAL__N_124unique_dim_cuda_templateIiEESt5tupleIJNSH_6TensorESM_SM_EERKSM_lbbbEUlllE0_EEPmJS6_EEE10hipError_tPvRmT3_T4_T5_T6_T7_T9_mT8_P12ihipStream_tbDpT10_ENKUlT_T0_E_clISt17integral_constantIbLb1EES1B_IbLb0EEEEDaS17_S18_EUlS17_E_NS1_11comp_targetILNS1_3genE2ELNS1_11target_archE906ELNS1_3gpuE6ELNS1_3repE0EEENS1_30default_config_static_selectorELNS0_4arch9wavefront6targetE1EEEvT1_,comdat
.Lfunc_end461:
	.size	_ZN7rocprim17ROCPRIM_400000_NS6detail17trampoline_kernelINS0_14default_configENS1_25partition_config_selectorILNS1_17partition_subalgoE8ElNS0_10empty_typeEbEEZZNS1_14partition_implILS5_8ELb0ES3_jPlPS6_PKS6_NS0_5tupleIJS9_S6_EEENSD_IJSA_SA_EEENS0_18inequality_wrapperIZN2at6native12_GLOBAL__N_124unique_dim_cuda_templateIiEESt5tupleIJNSH_6TensorESM_SM_EERKSM_lbbbEUlllE0_EEPmJS6_EEE10hipError_tPvRmT3_T4_T5_T6_T7_T9_mT8_P12ihipStream_tbDpT10_ENKUlT_T0_E_clISt17integral_constantIbLb1EES1B_IbLb0EEEEDaS17_S18_EUlS17_E_NS1_11comp_targetILNS1_3genE2ELNS1_11target_archE906ELNS1_3gpuE6ELNS1_3repE0EEENS1_30default_config_static_selectorELNS0_4arch9wavefront6targetE1EEEvT1_, .Lfunc_end461-_ZN7rocprim17ROCPRIM_400000_NS6detail17trampoline_kernelINS0_14default_configENS1_25partition_config_selectorILNS1_17partition_subalgoE8ElNS0_10empty_typeEbEEZZNS1_14partition_implILS5_8ELb0ES3_jPlPS6_PKS6_NS0_5tupleIJS9_S6_EEENSD_IJSA_SA_EEENS0_18inequality_wrapperIZN2at6native12_GLOBAL__N_124unique_dim_cuda_templateIiEESt5tupleIJNSH_6TensorESM_SM_EERKSM_lbbbEUlllE0_EEPmJS6_EEE10hipError_tPvRmT3_T4_T5_T6_T7_T9_mT8_P12ihipStream_tbDpT10_ENKUlT_T0_E_clISt17integral_constantIbLb1EES1B_IbLb0EEEEDaS17_S18_EUlS17_E_NS1_11comp_targetILNS1_3genE2ELNS1_11target_archE906ELNS1_3gpuE6ELNS1_3repE0EEENS1_30default_config_static_selectorELNS0_4arch9wavefront6targetE1EEEvT1_
                                        ; -- End function
	.set _ZN7rocprim17ROCPRIM_400000_NS6detail17trampoline_kernelINS0_14default_configENS1_25partition_config_selectorILNS1_17partition_subalgoE8ElNS0_10empty_typeEbEEZZNS1_14partition_implILS5_8ELb0ES3_jPlPS6_PKS6_NS0_5tupleIJS9_S6_EEENSD_IJSA_SA_EEENS0_18inequality_wrapperIZN2at6native12_GLOBAL__N_124unique_dim_cuda_templateIiEESt5tupleIJNSH_6TensorESM_SM_EERKSM_lbbbEUlllE0_EEPmJS6_EEE10hipError_tPvRmT3_T4_T5_T6_T7_T9_mT8_P12ihipStream_tbDpT10_ENKUlT_T0_E_clISt17integral_constantIbLb1EES1B_IbLb0EEEEDaS17_S18_EUlS17_E_NS1_11comp_targetILNS1_3genE2ELNS1_11target_archE906ELNS1_3gpuE6ELNS1_3repE0EEENS1_30default_config_static_selectorELNS0_4arch9wavefront6targetE1EEEvT1_.num_vgpr, 0
	.set _ZN7rocprim17ROCPRIM_400000_NS6detail17trampoline_kernelINS0_14default_configENS1_25partition_config_selectorILNS1_17partition_subalgoE8ElNS0_10empty_typeEbEEZZNS1_14partition_implILS5_8ELb0ES3_jPlPS6_PKS6_NS0_5tupleIJS9_S6_EEENSD_IJSA_SA_EEENS0_18inequality_wrapperIZN2at6native12_GLOBAL__N_124unique_dim_cuda_templateIiEESt5tupleIJNSH_6TensorESM_SM_EERKSM_lbbbEUlllE0_EEPmJS6_EEE10hipError_tPvRmT3_T4_T5_T6_T7_T9_mT8_P12ihipStream_tbDpT10_ENKUlT_T0_E_clISt17integral_constantIbLb1EES1B_IbLb0EEEEDaS17_S18_EUlS17_E_NS1_11comp_targetILNS1_3genE2ELNS1_11target_archE906ELNS1_3gpuE6ELNS1_3repE0EEENS1_30default_config_static_selectorELNS0_4arch9wavefront6targetE1EEEvT1_.num_agpr, 0
	.set _ZN7rocprim17ROCPRIM_400000_NS6detail17trampoline_kernelINS0_14default_configENS1_25partition_config_selectorILNS1_17partition_subalgoE8ElNS0_10empty_typeEbEEZZNS1_14partition_implILS5_8ELb0ES3_jPlPS6_PKS6_NS0_5tupleIJS9_S6_EEENSD_IJSA_SA_EEENS0_18inequality_wrapperIZN2at6native12_GLOBAL__N_124unique_dim_cuda_templateIiEESt5tupleIJNSH_6TensorESM_SM_EERKSM_lbbbEUlllE0_EEPmJS6_EEE10hipError_tPvRmT3_T4_T5_T6_T7_T9_mT8_P12ihipStream_tbDpT10_ENKUlT_T0_E_clISt17integral_constantIbLb1EES1B_IbLb0EEEEDaS17_S18_EUlS17_E_NS1_11comp_targetILNS1_3genE2ELNS1_11target_archE906ELNS1_3gpuE6ELNS1_3repE0EEENS1_30default_config_static_selectorELNS0_4arch9wavefront6targetE1EEEvT1_.numbered_sgpr, 0
	.set _ZN7rocprim17ROCPRIM_400000_NS6detail17trampoline_kernelINS0_14default_configENS1_25partition_config_selectorILNS1_17partition_subalgoE8ElNS0_10empty_typeEbEEZZNS1_14partition_implILS5_8ELb0ES3_jPlPS6_PKS6_NS0_5tupleIJS9_S6_EEENSD_IJSA_SA_EEENS0_18inequality_wrapperIZN2at6native12_GLOBAL__N_124unique_dim_cuda_templateIiEESt5tupleIJNSH_6TensorESM_SM_EERKSM_lbbbEUlllE0_EEPmJS6_EEE10hipError_tPvRmT3_T4_T5_T6_T7_T9_mT8_P12ihipStream_tbDpT10_ENKUlT_T0_E_clISt17integral_constantIbLb1EES1B_IbLb0EEEEDaS17_S18_EUlS17_E_NS1_11comp_targetILNS1_3genE2ELNS1_11target_archE906ELNS1_3gpuE6ELNS1_3repE0EEENS1_30default_config_static_selectorELNS0_4arch9wavefront6targetE1EEEvT1_.num_named_barrier, 0
	.set _ZN7rocprim17ROCPRIM_400000_NS6detail17trampoline_kernelINS0_14default_configENS1_25partition_config_selectorILNS1_17partition_subalgoE8ElNS0_10empty_typeEbEEZZNS1_14partition_implILS5_8ELb0ES3_jPlPS6_PKS6_NS0_5tupleIJS9_S6_EEENSD_IJSA_SA_EEENS0_18inequality_wrapperIZN2at6native12_GLOBAL__N_124unique_dim_cuda_templateIiEESt5tupleIJNSH_6TensorESM_SM_EERKSM_lbbbEUlllE0_EEPmJS6_EEE10hipError_tPvRmT3_T4_T5_T6_T7_T9_mT8_P12ihipStream_tbDpT10_ENKUlT_T0_E_clISt17integral_constantIbLb1EES1B_IbLb0EEEEDaS17_S18_EUlS17_E_NS1_11comp_targetILNS1_3genE2ELNS1_11target_archE906ELNS1_3gpuE6ELNS1_3repE0EEENS1_30default_config_static_selectorELNS0_4arch9wavefront6targetE1EEEvT1_.private_seg_size, 0
	.set _ZN7rocprim17ROCPRIM_400000_NS6detail17trampoline_kernelINS0_14default_configENS1_25partition_config_selectorILNS1_17partition_subalgoE8ElNS0_10empty_typeEbEEZZNS1_14partition_implILS5_8ELb0ES3_jPlPS6_PKS6_NS0_5tupleIJS9_S6_EEENSD_IJSA_SA_EEENS0_18inequality_wrapperIZN2at6native12_GLOBAL__N_124unique_dim_cuda_templateIiEESt5tupleIJNSH_6TensorESM_SM_EERKSM_lbbbEUlllE0_EEPmJS6_EEE10hipError_tPvRmT3_T4_T5_T6_T7_T9_mT8_P12ihipStream_tbDpT10_ENKUlT_T0_E_clISt17integral_constantIbLb1EES1B_IbLb0EEEEDaS17_S18_EUlS17_E_NS1_11comp_targetILNS1_3genE2ELNS1_11target_archE906ELNS1_3gpuE6ELNS1_3repE0EEENS1_30default_config_static_selectorELNS0_4arch9wavefront6targetE1EEEvT1_.uses_vcc, 0
	.set _ZN7rocprim17ROCPRIM_400000_NS6detail17trampoline_kernelINS0_14default_configENS1_25partition_config_selectorILNS1_17partition_subalgoE8ElNS0_10empty_typeEbEEZZNS1_14partition_implILS5_8ELb0ES3_jPlPS6_PKS6_NS0_5tupleIJS9_S6_EEENSD_IJSA_SA_EEENS0_18inequality_wrapperIZN2at6native12_GLOBAL__N_124unique_dim_cuda_templateIiEESt5tupleIJNSH_6TensorESM_SM_EERKSM_lbbbEUlllE0_EEPmJS6_EEE10hipError_tPvRmT3_T4_T5_T6_T7_T9_mT8_P12ihipStream_tbDpT10_ENKUlT_T0_E_clISt17integral_constantIbLb1EES1B_IbLb0EEEEDaS17_S18_EUlS17_E_NS1_11comp_targetILNS1_3genE2ELNS1_11target_archE906ELNS1_3gpuE6ELNS1_3repE0EEENS1_30default_config_static_selectorELNS0_4arch9wavefront6targetE1EEEvT1_.uses_flat_scratch, 0
	.set _ZN7rocprim17ROCPRIM_400000_NS6detail17trampoline_kernelINS0_14default_configENS1_25partition_config_selectorILNS1_17partition_subalgoE8ElNS0_10empty_typeEbEEZZNS1_14partition_implILS5_8ELb0ES3_jPlPS6_PKS6_NS0_5tupleIJS9_S6_EEENSD_IJSA_SA_EEENS0_18inequality_wrapperIZN2at6native12_GLOBAL__N_124unique_dim_cuda_templateIiEESt5tupleIJNSH_6TensorESM_SM_EERKSM_lbbbEUlllE0_EEPmJS6_EEE10hipError_tPvRmT3_T4_T5_T6_T7_T9_mT8_P12ihipStream_tbDpT10_ENKUlT_T0_E_clISt17integral_constantIbLb1EES1B_IbLb0EEEEDaS17_S18_EUlS17_E_NS1_11comp_targetILNS1_3genE2ELNS1_11target_archE906ELNS1_3gpuE6ELNS1_3repE0EEENS1_30default_config_static_selectorELNS0_4arch9wavefront6targetE1EEEvT1_.has_dyn_sized_stack, 0
	.set _ZN7rocprim17ROCPRIM_400000_NS6detail17trampoline_kernelINS0_14default_configENS1_25partition_config_selectorILNS1_17partition_subalgoE8ElNS0_10empty_typeEbEEZZNS1_14partition_implILS5_8ELb0ES3_jPlPS6_PKS6_NS0_5tupleIJS9_S6_EEENSD_IJSA_SA_EEENS0_18inequality_wrapperIZN2at6native12_GLOBAL__N_124unique_dim_cuda_templateIiEESt5tupleIJNSH_6TensorESM_SM_EERKSM_lbbbEUlllE0_EEPmJS6_EEE10hipError_tPvRmT3_T4_T5_T6_T7_T9_mT8_P12ihipStream_tbDpT10_ENKUlT_T0_E_clISt17integral_constantIbLb1EES1B_IbLb0EEEEDaS17_S18_EUlS17_E_NS1_11comp_targetILNS1_3genE2ELNS1_11target_archE906ELNS1_3gpuE6ELNS1_3repE0EEENS1_30default_config_static_selectorELNS0_4arch9wavefront6targetE1EEEvT1_.has_recursion, 0
	.set _ZN7rocprim17ROCPRIM_400000_NS6detail17trampoline_kernelINS0_14default_configENS1_25partition_config_selectorILNS1_17partition_subalgoE8ElNS0_10empty_typeEbEEZZNS1_14partition_implILS5_8ELb0ES3_jPlPS6_PKS6_NS0_5tupleIJS9_S6_EEENSD_IJSA_SA_EEENS0_18inequality_wrapperIZN2at6native12_GLOBAL__N_124unique_dim_cuda_templateIiEESt5tupleIJNSH_6TensorESM_SM_EERKSM_lbbbEUlllE0_EEPmJS6_EEE10hipError_tPvRmT3_T4_T5_T6_T7_T9_mT8_P12ihipStream_tbDpT10_ENKUlT_T0_E_clISt17integral_constantIbLb1EES1B_IbLb0EEEEDaS17_S18_EUlS17_E_NS1_11comp_targetILNS1_3genE2ELNS1_11target_archE906ELNS1_3gpuE6ELNS1_3repE0EEENS1_30default_config_static_selectorELNS0_4arch9wavefront6targetE1EEEvT1_.has_indirect_call, 0
	.section	.AMDGPU.csdata,"",@progbits
; Kernel info:
; codeLenInByte = 0
; TotalNumSgprs: 6
; NumVgprs: 0
; NumAgprs: 0
; TotalNumVgprs: 0
; ScratchSize: 0
; MemoryBound: 0
; FloatMode: 240
; IeeeMode: 1
; LDSByteSize: 0 bytes/workgroup (compile time only)
; SGPRBlocks: 0
; VGPRBlocks: 0
; NumSGPRsForWavesPerEU: 6
; NumVGPRsForWavesPerEU: 1
; AccumOffset: 4
; Occupancy: 8
; WaveLimiterHint : 0
; COMPUTE_PGM_RSRC2:SCRATCH_EN: 0
; COMPUTE_PGM_RSRC2:USER_SGPR: 2
; COMPUTE_PGM_RSRC2:TRAP_HANDLER: 0
; COMPUTE_PGM_RSRC2:TGID_X_EN: 1
; COMPUTE_PGM_RSRC2:TGID_Y_EN: 0
; COMPUTE_PGM_RSRC2:TGID_Z_EN: 0
; COMPUTE_PGM_RSRC2:TIDIG_COMP_CNT: 0
; COMPUTE_PGM_RSRC3_GFX90A:ACCUM_OFFSET: 0
; COMPUTE_PGM_RSRC3_GFX90A:TG_SPLIT: 0
	.section	.text._ZN7rocprim17ROCPRIM_400000_NS6detail17trampoline_kernelINS0_14default_configENS1_25partition_config_selectorILNS1_17partition_subalgoE8ElNS0_10empty_typeEbEEZZNS1_14partition_implILS5_8ELb0ES3_jPlPS6_PKS6_NS0_5tupleIJS9_S6_EEENSD_IJSA_SA_EEENS0_18inequality_wrapperIZN2at6native12_GLOBAL__N_124unique_dim_cuda_templateIiEESt5tupleIJNSH_6TensorESM_SM_EERKSM_lbbbEUlllE0_EEPmJS6_EEE10hipError_tPvRmT3_T4_T5_T6_T7_T9_mT8_P12ihipStream_tbDpT10_ENKUlT_T0_E_clISt17integral_constantIbLb1EES1B_IbLb0EEEEDaS17_S18_EUlS17_E_NS1_11comp_targetILNS1_3genE10ELNS1_11target_archE1200ELNS1_3gpuE4ELNS1_3repE0EEENS1_30default_config_static_selectorELNS0_4arch9wavefront6targetE1EEEvT1_,"axG",@progbits,_ZN7rocprim17ROCPRIM_400000_NS6detail17trampoline_kernelINS0_14default_configENS1_25partition_config_selectorILNS1_17partition_subalgoE8ElNS0_10empty_typeEbEEZZNS1_14partition_implILS5_8ELb0ES3_jPlPS6_PKS6_NS0_5tupleIJS9_S6_EEENSD_IJSA_SA_EEENS0_18inequality_wrapperIZN2at6native12_GLOBAL__N_124unique_dim_cuda_templateIiEESt5tupleIJNSH_6TensorESM_SM_EERKSM_lbbbEUlllE0_EEPmJS6_EEE10hipError_tPvRmT3_T4_T5_T6_T7_T9_mT8_P12ihipStream_tbDpT10_ENKUlT_T0_E_clISt17integral_constantIbLb1EES1B_IbLb0EEEEDaS17_S18_EUlS17_E_NS1_11comp_targetILNS1_3genE10ELNS1_11target_archE1200ELNS1_3gpuE4ELNS1_3repE0EEENS1_30default_config_static_selectorELNS0_4arch9wavefront6targetE1EEEvT1_,comdat
	.globl	_ZN7rocprim17ROCPRIM_400000_NS6detail17trampoline_kernelINS0_14default_configENS1_25partition_config_selectorILNS1_17partition_subalgoE8ElNS0_10empty_typeEbEEZZNS1_14partition_implILS5_8ELb0ES3_jPlPS6_PKS6_NS0_5tupleIJS9_S6_EEENSD_IJSA_SA_EEENS0_18inequality_wrapperIZN2at6native12_GLOBAL__N_124unique_dim_cuda_templateIiEESt5tupleIJNSH_6TensorESM_SM_EERKSM_lbbbEUlllE0_EEPmJS6_EEE10hipError_tPvRmT3_T4_T5_T6_T7_T9_mT8_P12ihipStream_tbDpT10_ENKUlT_T0_E_clISt17integral_constantIbLb1EES1B_IbLb0EEEEDaS17_S18_EUlS17_E_NS1_11comp_targetILNS1_3genE10ELNS1_11target_archE1200ELNS1_3gpuE4ELNS1_3repE0EEENS1_30default_config_static_selectorELNS0_4arch9wavefront6targetE1EEEvT1_ ; -- Begin function _ZN7rocprim17ROCPRIM_400000_NS6detail17trampoline_kernelINS0_14default_configENS1_25partition_config_selectorILNS1_17partition_subalgoE8ElNS0_10empty_typeEbEEZZNS1_14partition_implILS5_8ELb0ES3_jPlPS6_PKS6_NS0_5tupleIJS9_S6_EEENSD_IJSA_SA_EEENS0_18inequality_wrapperIZN2at6native12_GLOBAL__N_124unique_dim_cuda_templateIiEESt5tupleIJNSH_6TensorESM_SM_EERKSM_lbbbEUlllE0_EEPmJS6_EEE10hipError_tPvRmT3_T4_T5_T6_T7_T9_mT8_P12ihipStream_tbDpT10_ENKUlT_T0_E_clISt17integral_constantIbLb1EES1B_IbLb0EEEEDaS17_S18_EUlS17_E_NS1_11comp_targetILNS1_3genE10ELNS1_11target_archE1200ELNS1_3gpuE4ELNS1_3repE0EEENS1_30default_config_static_selectorELNS0_4arch9wavefront6targetE1EEEvT1_
	.p2align	8
	.type	_ZN7rocprim17ROCPRIM_400000_NS6detail17trampoline_kernelINS0_14default_configENS1_25partition_config_selectorILNS1_17partition_subalgoE8ElNS0_10empty_typeEbEEZZNS1_14partition_implILS5_8ELb0ES3_jPlPS6_PKS6_NS0_5tupleIJS9_S6_EEENSD_IJSA_SA_EEENS0_18inequality_wrapperIZN2at6native12_GLOBAL__N_124unique_dim_cuda_templateIiEESt5tupleIJNSH_6TensorESM_SM_EERKSM_lbbbEUlllE0_EEPmJS6_EEE10hipError_tPvRmT3_T4_T5_T6_T7_T9_mT8_P12ihipStream_tbDpT10_ENKUlT_T0_E_clISt17integral_constantIbLb1EES1B_IbLb0EEEEDaS17_S18_EUlS17_E_NS1_11comp_targetILNS1_3genE10ELNS1_11target_archE1200ELNS1_3gpuE4ELNS1_3repE0EEENS1_30default_config_static_selectorELNS0_4arch9wavefront6targetE1EEEvT1_,@function
_ZN7rocprim17ROCPRIM_400000_NS6detail17trampoline_kernelINS0_14default_configENS1_25partition_config_selectorILNS1_17partition_subalgoE8ElNS0_10empty_typeEbEEZZNS1_14partition_implILS5_8ELb0ES3_jPlPS6_PKS6_NS0_5tupleIJS9_S6_EEENSD_IJSA_SA_EEENS0_18inequality_wrapperIZN2at6native12_GLOBAL__N_124unique_dim_cuda_templateIiEESt5tupleIJNSH_6TensorESM_SM_EERKSM_lbbbEUlllE0_EEPmJS6_EEE10hipError_tPvRmT3_T4_T5_T6_T7_T9_mT8_P12ihipStream_tbDpT10_ENKUlT_T0_E_clISt17integral_constantIbLb1EES1B_IbLb0EEEEDaS17_S18_EUlS17_E_NS1_11comp_targetILNS1_3genE10ELNS1_11target_archE1200ELNS1_3gpuE4ELNS1_3repE0EEENS1_30default_config_static_selectorELNS0_4arch9wavefront6targetE1EEEvT1_: ; @_ZN7rocprim17ROCPRIM_400000_NS6detail17trampoline_kernelINS0_14default_configENS1_25partition_config_selectorILNS1_17partition_subalgoE8ElNS0_10empty_typeEbEEZZNS1_14partition_implILS5_8ELb0ES3_jPlPS6_PKS6_NS0_5tupleIJS9_S6_EEENSD_IJSA_SA_EEENS0_18inequality_wrapperIZN2at6native12_GLOBAL__N_124unique_dim_cuda_templateIiEESt5tupleIJNSH_6TensorESM_SM_EERKSM_lbbbEUlllE0_EEPmJS6_EEE10hipError_tPvRmT3_T4_T5_T6_T7_T9_mT8_P12ihipStream_tbDpT10_ENKUlT_T0_E_clISt17integral_constantIbLb1EES1B_IbLb0EEEEDaS17_S18_EUlS17_E_NS1_11comp_targetILNS1_3genE10ELNS1_11target_archE1200ELNS1_3gpuE4ELNS1_3repE0EEENS1_30default_config_static_selectorELNS0_4arch9wavefront6targetE1EEEvT1_
; %bb.0:
	.section	.rodata,"a",@progbits
	.p2align	6, 0x0
	.amdhsa_kernel _ZN7rocprim17ROCPRIM_400000_NS6detail17trampoline_kernelINS0_14default_configENS1_25partition_config_selectorILNS1_17partition_subalgoE8ElNS0_10empty_typeEbEEZZNS1_14partition_implILS5_8ELb0ES3_jPlPS6_PKS6_NS0_5tupleIJS9_S6_EEENSD_IJSA_SA_EEENS0_18inequality_wrapperIZN2at6native12_GLOBAL__N_124unique_dim_cuda_templateIiEESt5tupleIJNSH_6TensorESM_SM_EERKSM_lbbbEUlllE0_EEPmJS6_EEE10hipError_tPvRmT3_T4_T5_T6_T7_T9_mT8_P12ihipStream_tbDpT10_ENKUlT_T0_E_clISt17integral_constantIbLb1EES1B_IbLb0EEEEDaS17_S18_EUlS17_E_NS1_11comp_targetILNS1_3genE10ELNS1_11target_archE1200ELNS1_3gpuE4ELNS1_3repE0EEENS1_30default_config_static_selectorELNS0_4arch9wavefront6targetE1EEEvT1_
		.amdhsa_group_segment_fixed_size 0
		.amdhsa_private_segment_fixed_size 0
		.amdhsa_kernarg_size 120
		.amdhsa_user_sgpr_count 2
		.amdhsa_user_sgpr_dispatch_ptr 0
		.amdhsa_user_sgpr_queue_ptr 0
		.amdhsa_user_sgpr_kernarg_segment_ptr 1
		.amdhsa_user_sgpr_dispatch_id 0
		.amdhsa_user_sgpr_kernarg_preload_length 0
		.amdhsa_user_sgpr_kernarg_preload_offset 0
		.amdhsa_user_sgpr_private_segment_size 0
		.amdhsa_uses_dynamic_stack 0
		.amdhsa_enable_private_segment 0
		.amdhsa_system_sgpr_workgroup_id_x 1
		.amdhsa_system_sgpr_workgroup_id_y 0
		.amdhsa_system_sgpr_workgroup_id_z 0
		.amdhsa_system_sgpr_workgroup_info 0
		.amdhsa_system_vgpr_workitem_id 0
		.amdhsa_next_free_vgpr 1
		.amdhsa_next_free_sgpr 0
		.amdhsa_accum_offset 4
		.amdhsa_reserve_vcc 0
		.amdhsa_float_round_mode_32 0
		.amdhsa_float_round_mode_16_64 0
		.amdhsa_float_denorm_mode_32 3
		.amdhsa_float_denorm_mode_16_64 3
		.amdhsa_dx10_clamp 1
		.amdhsa_ieee_mode 1
		.amdhsa_fp16_overflow 0
		.amdhsa_tg_split 0
		.amdhsa_exception_fp_ieee_invalid_op 0
		.amdhsa_exception_fp_denorm_src 0
		.amdhsa_exception_fp_ieee_div_zero 0
		.amdhsa_exception_fp_ieee_overflow 0
		.amdhsa_exception_fp_ieee_underflow 0
		.amdhsa_exception_fp_ieee_inexact 0
		.amdhsa_exception_int_div_zero 0
	.end_amdhsa_kernel
	.section	.text._ZN7rocprim17ROCPRIM_400000_NS6detail17trampoline_kernelINS0_14default_configENS1_25partition_config_selectorILNS1_17partition_subalgoE8ElNS0_10empty_typeEbEEZZNS1_14partition_implILS5_8ELb0ES3_jPlPS6_PKS6_NS0_5tupleIJS9_S6_EEENSD_IJSA_SA_EEENS0_18inequality_wrapperIZN2at6native12_GLOBAL__N_124unique_dim_cuda_templateIiEESt5tupleIJNSH_6TensorESM_SM_EERKSM_lbbbEUlllE0_EEPmJS6_EEE10hipError_tPvRmT3_T4_T5_T6_T7_T9_mT8_P12ihipStream_tbDpT10_ENKUlT_T0_E_clISt17integral_constantIbLb1EES1B_IbLb0EEEEDaS17_S18_EUlS17_E_NS1_11comp_targetILNS1_3genE10ELNS1_11target_archE1200ELNS1_3gpuE4ELNS1_3repE0EEENS1_30default_config_static_selectorELNS0_4arch9wavefront6targetE1EEEvT1_,"axG",@progbits,_ZN7rocprim17ROCPRIM_400000_NS6detail17trampoline_kernelINS0_14default_configENS1_25partition_config_selectorILNS1_17partition_subalgoE8ElNS0_10empty_typeEbEEZZNS1_14partition_implILS5_8ELb0ES3_jPlPS6_PKS6_NS0_5tupleIJS9_S6_EEENSD_IJSA_SA_EEENS0_18inequality_wrapperIZN2at6native12_GLOBAL__N_124unique_dim_cuda_templateIiEESt5tupleIJNSH_6TensorESM_SM_EERKSM_lbbbEUlllE0_EEPmJS6_EEE10hipError_tPvRmT3_T4_T5_T6_T7_T9_mT8_P12ihipStream_tbDpT10_ENKUlT_T0_E_clISt17integral_constantIbLb1EES1B_IbLb0EEEEDaS17_S18_EUlS17_E_NS1_11comp_targetILNS1_3genE10ELNS1_11target_archE1200ELNS1_3gpuE4ELNS1_3repE0EEENS1_30default_config_static_selectorELNS0_4arch9wavefront6targetE1EEEvT1_,comdat
.Lfunc_end462:
	.size	_ZN7rocprim17ROCPRIM_400000_NS6detail17trampoline_kernelINS0_14default_configENS1_25partition_config_selectorILNS1_17partition_subalgoE8ElNS0_10empty_typeEbEEZZNS1_14partition_implILS5_8ELb0ES3_jPlPS6_PKS6_NS0_5tupleIJS9_S6_EEENSD_IJSA_SA_EEENS0_18inequality_wrapperIZN2at6native12_GLOBAL__N_124unique_dim_cuda_templateIiEESt5tupleIJNSH_6TensorESM_SM_EERKSM_lbbbEUlllE0_EEPmJS6_EEE10hipError_tPvRmT3_T4_T5_T6_T7_T9_mT8_P12ihipStream_tbDpT10_ENKUlT_T0_E_clISt17integral_constantIbLb1EES1B_IbLb0EEEEDaS17_S18_EUlS17_E_NS1_11comp_targetILNS1_3genE10ELNS1_11target_archE1200ELNS1_3gpuE4ELNS1_3repE0EEENS1_30default_config_static_selectorELNS0_4arch9wavefront6targetE1EEEvT1_, .Lfunc_end462-_ZN7rocprim17ROCPRIM_400000_NS6detail17trampoline_kernelINS0_14default_configENS1_25partition_config_selectorILNS1_17partition_subalgoE8ElNS0_10empty_typeEbEEZZNS1_14partition_implILS5_8ELb0ES3_jPlPS6_PKS6_NS0_5tupleIJS9_S6_EEENSD_IJSA_SA_EEENS0_18inequality_wrapperIZN2at6native12_GLOBAL__N_124unique_dim_cuda_templateIiEESt5tupleIJNSH_6TensorESM_SM_EERKSM_lbbbEUlllE0_EEPmJS6_EEE10hipError_tPvRmT3_T4_T5_T6_T7_T9_mT8_P12ihipStream_tbDpT10_ENKUlT_T0_E_clISt17integral_constantIbLb1EES1B_IbLb0EEEEDaS17_S18_EUlS17_E_NS1_11comp_targetILNS1_3genE10ELNS1_11target_archE1200ELNS1_3gpuE4ELNS1_3repE0EEENS1_30default_config_static_selectorELNS0_4arch9wavefront6targetE1EEEvT1_
                                        ; -- End function
	.set _ZN7rocprim17ROCPRIM_400000_NS6detail17trampoline_kernelINS0_14default_configENS1_25partition_config_selectorILNS1_17partition_subalgoE8ElNS0_10empty_typeEbEEZZNS1_14partition_implILS5_8ELb0ES3_jPlPS6_PKS6_NS0_5tupleIJS9_S6_EEENSD_IJSA_SA_EEENS0_18inequality_wrapperIZN2at6native12_GLOBAL__N_124unique_dim_cuda_templateIiEESt5tupleIJNSH_6TensorESM_SM_EERKSM_lbbbEUlllE0_EEPmJS6_EEE10hipError_tPvRmT3_T4_T5_T6_T7_T9_mT8_P12ihipStream_tbDpT10_ENKUlT_T0_E_clISt17integral_constantIbLb1EES1B_IbLb0EEEEDaS17_S18_EUlS17_E_NS1_11comp_targetILNS1_3genE10ELNS1_11target_archE1200ELNS1_3gpuE4ELNS1_3repE0EEENS1_30default_config_static_selectorELNS0_4arch9wavefront6targetE1EEEvT1_.num_vgpr, 0
	.set _ZN7rocprim17ROCPRIM_400000_NS6detail17trampoline_kernelINS0_14default_configENS1_25partition_config_selectorILNS1_17partition_subalgoE8ElNS0_10empty_typeEbEEZZNS1_14partition_implILS5_8ELb0ES3_jPlPS6_PKS6_NS0_5tupleIJS9_S6_EEENSD_IJSA_SA_EEENS0_18inequality_wrapperIZN2at6native12_GLOBAL__N_124unique_dim_cuda_templateIiEESt5tupleIJNSH_6TensorESM_SM_EERKSM_lbbbEUlllE0_EEPmJS6_EEE10hipError_tPvRmT3_T4_T5_T6_T7_T9_mT8_P12ihipStream_tbDpT10_ENKUlT_T0_E_clISt17integral_constantIbLb1EES1B_IbLb0EEEEDaS17_S18_EUlS17_E_NS1_11comp_targetILNS1_3genE10ELNS1_11target_archE1200ELNS1_3gpuE4ELNS1_3repE0EEENS1_30default_config_static_selectorELNS0_4arch9wavefront6targetE1EEEvT1_.num_agpr, 0
	.set _ZN7rocprim17ROCPRIM_400000_NS6detail17trampoline_kernelINS0_14default_configENS1_25partition_config_selectorILNS1_17partition_subalgoE8ElNS0_10empty_typeEbEEZZNS1_14partition_implILS5_8ELb0ES3_jPlPS6_PKS6_NS0_5tupleIJS9_S6_EEENSD_IJSA_SA_EEENS0_18inequality_wrapperIZN2at6native12_GLOBAL__N_124unique_dim_cuda_templateIiEESt5tupleIJNSH_6TensorESM_SM_EERKSM_lbbbEUlllE0_EEPmJS6_EEE10hipError_tPvRmT3_T4_T5_T6_T7_T9_mT8_P12ihipStream_tbDpT10_ENKUlT_T0_E_clISt17integral_constantIbLb1EES1B_IbLb0EEEEDaS17_S18_EUlS17_E_NS1_11comp_targetILNS1_3genE10ELNS1_11target_archE1200ELNS1_3gpuE4ELNS1_3repE0EEENS1_30default_config_static_selectorELNS0_4arch9wavefront6targetE1EEEvT1_.numbered_sgpr, 0
	.set _ZN7rocprim17ROCPRIM_400000_NS6detail17trampoline_kernelINS0_14default_configENS1_25partition_config_selectorILNS1_17partition_subalgoE8ElNS0_10empty_typeEbEEZZNS1_14partition_implILS5_8ELb0ES3_jPlPS6_PKS6_NS0_5tupleIJS9_S6_EEENSD_IJSA_SA_EEENS0_18inequality_wrapperIZN2at6native12_GLOBAL__N_124unique_dim_cuda_templateIiEESt5tupleIJNSH_6TensorESM_SM_EERKSM_lbbbEUlllE0_EEPmJS6_EEE10hipError_tPvRmT3_T4_T5_T6_T7_T9_mT8_P12ihipStream_tbDpT10_ENKUlT_T0_E_clISt17integral_constantIbLb1EES1B_IbLb0EEEEDaS17_S18_EUlS17_E_NS1_11comp_targetILNS1_3genE10ELNS1_11target_archE1200ELNS1_3gpuE4ELNS1_3repE0EEENS1_30default_config_static_selectorELNS0_4arch9wavefront6targetE1EEEvT1_.num_named_barrier, 0
	.set _ZN7rocprim17ROCPRIM_400000_NS6detail17trampoline_kernelINS0_14default_configENS1_25partition_config_selectorILNS1_17partition_subalgoE8ElNS0_10empty_typeEbEEZZNS1_14partition_implILS5_8ELb0ES3_jPlPS6_PKS6_NS0_5tupleIJS9_S6_EEENSD_IJSA_SA_EEENS0_18inequality_wrapperIZN2at6native12_GLOBAL__N_124unique_dim_cuda_templateIiEESt5tupleIJNSH_6TensorESM_SM_EERKSM_lbbbEUlllE0_EEPmJS6_EEE10hipError_tPvRmT3_T4_T5_T6_T7_T9_mT8_P12ihipStream_tbDpT10_ENKUlT_T0_E_clISt17integral_constantIbLb1EES1B_IbLb0EEEEDaS17_S18_EUlS17_E_NS1_11comp_targetILNS1_3genE10ELNS1_11target_archE1200ELNS1_3gpuE4ELNS1_3repE0EEENS1_30default_config_static_selectorELNS0_4arch9wavefront6targetE1EEEvT1_.private_seg_size, 0
	.set _ZN7rocprim17ROCPRIM_400000_NS6detail17trampoline_kernelINS0_14default_configENS1_25partition_config_selectorILNS1_17partition_subalgoE8ElNS0_10empty_typeEbEEZZNS1_14partition_implILS5_8ELb0ES3_jPlPS6_PKS6_NS0_5tupleIJS9_S6_EEENSD_IJSA_SA_EEENS0_18inequality_wrapperIZN2at6native12_GLOBAL__N_124unique_dim_cuda_templateIiEESt5tupleIJNSH_6TensorESM_SM_EERKSM_lbbbEUlllE0_EEPmJS6_EEE10hipError_tPvRmT3_T4_T5_T6_T7_T9_mT8_P12ihipStream_tbDpT10_ENKUlT_T0_E_clISt17integral_constantIbLb1EES1B_IbLb0EEEEDaS17_S18_EUlS17_E_NS1_11comp_targetILNS1_3genE10ELNS1_11target_archE1200ELNS1_3gpuE4ELNS1_3repE0EEENS1_30default_config_static_selectorELNS0_4arch9wavefront6targetE1EEEvT1_.uses_vcc, 0
	.set _ZN7rocprim17ROCPRIM_400000_NS6detail17trampoline_kernelINS0_14default_configENS1_25partition_config_selectorILNS1_17partition_subalgoE8ElNS0_10empty_typeEbEEZZNS1_14partition_implILS5_8ELb0ES3_jPlPS6_PKS6_NS0_5tupleIJS9_S6_EEENSD_IJSA_SA_EEENS0_18inequality_wrapperIZN2at6native12_GLOBAL__N_124unique_dim_cuda_templateIiEESt5tupleIJNSH_6TensorESM_SM_EERKSM_lbbbEUlllE0_EEPmJS6_EEE10hipError_tPvRmT3_T4_T5_T6_T7_T9_mT8_P12ihipStream_tbDpT10_ENKUlT_T0_E_clISt17integral_constantIbLb1EES1B_IbLb0EEEEDaS17_S18_EUlS17_E_NS1_11comp_targetILNS1_3genE10ELNS1_11target_archE1200ELNS1_3gpuE4ELNS1_3repE0EEENS1_30default_config_static_selectorELNS0_4arch9wavefront6targetE1EEEvT1_.uses_flat_scratch, 0
	.set _ZN7rocprim17ROCPRIM_400000_NS6detail17trampoline_kernelINS0_14default_configENS1_25partition_config_selectorILNS1_17partition_subalgoE8ElNS0_10empty_typeEbEEZZNS1_14partition_implILS5_8ELb0ES3_jPlPS6_PKS6_NS0_5tupleIJS9_S6_EEENSD_IJSA_SA_EEENS0_18inequality_wrapperIZN2at6native12_GLOBAL__N_124unique_dim_cuda_templateIiEESt5tupleIJNSH_6TensorESM_SM_EERKSM_lbbbEUlllE0_EEPmJS6_EEE10hipError_tPvRmT3_T4_T5_T6_T7_T9_mT8_P12ihipStream_tbDpT10_ENKUlT_T0_E_clISt17integral_constantIbLb1EES1B_IbLb0EEEEDaS17_S18_EUlS17_E_NS1_11comp_targetILNS1_3genE10ELNS1_11target_archE1200ELNS1_3gpuE4ELNS1_3repE0EEENS1_30default_config_static_selectorELNS0_4arch9wavefront6targetE1EEEvT1_.has_dyn_sized_stack, 0
	.set _ZN7rocprim17ROCPRIM_400000_NS6detail17trampoline_kernelINS0_14default_configENS1_25partition_config_selectorILNS1_17partition_subalgoE8ElNS0_10empty_typeEbEEZZNS1_14partition_implILS5_8ELb0ES3_jPlPS6_PKS6_NS0_5tupleIJS9_S6_EEENSD_IJSA_SA_EEENS0_18inequality_wrapperIZN2at6native12_GLOBAL__N_124unique_dim_cuda_templateIiEESt5tupleIJNSH_6TensorESM_SM_EERKSM_lbbbEUlllE0_EEPmJS6_EEE10hipError_tPvRmT3_T4_T5_T6_T7_T9_mT8_P12ihipStream_tbDpT10_ENKUlT_T0_E_clISt17integral_constantIbLb1EES1B_IbLb0EEEEDaS17_S18_EUlS17_E_NS1_11comp_targetILNS1_3genE10ELNS1_11target_archE1200ELNS1_3gpuE4ELNS1_3repE0EEENS1_30default_config_static_selectorELNS0_4arch9wavefront6targetE1EEEvT1_.has_recursion, 0
	.set _ZN7rocprim17ROCPRIM_400000_NS6detail17trampoline_kernelINS0_14default_configENS1_25partition_config_selectorILNS1_17partition_subalgoE8ElNS0_10empty_typeEbEEZZNS1_14partition_implILS5_8ELb0ES3_jPlPS6_PKS6_NS0_5tupleIJS9_S6_EEENSD_IJSA_SA_EEENS0_18inequality_wrapperIZN2at6native12_GLOBAL__N_124unique_dim_cuda_templateIiEESt5tupleIJNSH_6TensorESM_SM_EERKSM_lbbbEUlllE0_EEPmJS6_EEE10hipError_tPvRmT3_T4_T5_T6_T7_T9_mT8_P12ihipStream_tbDpT10_ENKUlT_T0_E_clISt17integral_constantIbLb1EES1B_IbLb0EEEEDaS17_S18_EUlS17_E_NS1_11comp_targetILNS1_3genE10ELNS1_11target_archE1200ELNS1_3gpuE4ELNS1_3repE0EEENS1_30default_config_static_selectorELNS0_4arch9wavefront6targetE1EEEvT1_.has_indirect_call, 0
	.section	.AMDGPU.csdata,"",@progbits
; Kernel info:
; codeLenInByte = 0
; TotalNumSgprs: 6
; NumVgprs: 0
; NumAgprs: 0
; TotalNumVgprs: 0
; ScratchSize: 0
; MemoryBound: 0
; FloatMode: 240
; IeeeMode: 1
; LDSByteSize: 0 bytes/workgroup (compile time only)
; SGPRBlocks: 0
; VGPRBlocks: 0
; NumSGPRsForWavesPerEU: 6
; NumVGPRsForWavesPerEU: 1
; AccumOffset: 4
; Occupancy: 8
; WaveLimiterHint : 0
; COMPUTE_PGM_RSRC2:SCRATCH_EN: 0
; COMPUTE_PGM_RSRC2:USER_SGPR: 2
; COMPUTE_PGM_RSRC2:TRAP_HANDLER: 0
; COMPUTE_PGM_RSRC2:TGID_X_EN: 1
; COMPUTE_PGM_RSRC2:TGID_Y_EN: 0
; COMPUTE_PGM_RSRC2:TGID_Z_EN: 0
; COMPUTE_PGM_RSRC2:TIDIG_COMP_CNT: 0
; COMPUTE_PGM_RSRC3_GFX90A:ACCUM_OFFSET: 0
; COMPUTE_PGM_RSRC3_GFX90A:TG_SPLIT: 0
	.section	.text._ZN7rocprim17ROCPRIM_400000_NS6detail17trampoline_kernelINS0_14default_configENS1_25partition_config_selectorILNS1_17partition_subalgoE8ElNS0_10empty_typeEbEEZZNS1_14partition_implILS5_8ELb0ES3_jPlPS6_PKS6_NS0_5tupleIJS9_S6_EEENSD_IJSA_SA_EEENS0_18inequality_wrapperIZN2at6native12_GLOBAL__N_124unique_dim_cuda_templateIiEESt5tupleIJNSH_6TensorESM_SM_EERKSM_lbbbEUlllE0_EEPmJS6_EEE10hipError_tPvRmT3_T4_T5_T6_T7_T9_mT8_P12ihipStream_tbDpT10_ENKUlT_T0_E_clISt17integral_constantIbLb1EES1B_IbLb0EEEEDaS17_S18_EUlS17_E_NS1_11comp_targetILNS1_3genE9ELNS1_11target_archE1100ELNS1_3gpuE3ELNS1_3repE0EEENS1_30default_config_static_selectorELNS0_4arch9wavefront6targetE1EEEvT1_,"axG",@progbits,_ZN7rocprim17ROCPRIM_400000_NS6detail17trampoline_kernelINS0_14default_configENS1_25partition_config_selectorILNS1_17partition_subalgoE8ElNS0_10empty_typeEbEEZZNS1_14partition_implILS5_8ELb0ES3_jPlPS6_PKS6_NS0_5tupleIJS9_S6_EEENSD_IJSA_SA_EEENS0_18inequality_wrapperIZN2at6native12_GLOBAL__N_124unique_dim_cuda_templateIiEESt5tupleIJNSH_6TensorESM_SM_EERKSM_lbbbEUlllE0_EEPmJS6_EEE10hipError_tPvRmT3_T4_T5_T6_T7_T9_mT8_P12ihipStream_tbDpT10_ENKUlT_T0_E_clISt17integral_constantIbLb1EES1B_IbLb0EEEEDaS17_S18_EUlS17_E_NS1_11comp_targetILNS1_3genE9ELNS1_11target_archE1100ELNS1_3gpuE3ELNS1_3repE0EEENS1_30default_config_static_selectorELNS0_4arch9wavefront6targetE1EEEvT1_,comdat
	.globl	_ZN7rocprim17ROCPRIM_400000_NS6detail17trampoline_kernelINS0_14default_configENS1_25partition_config_selectorILNS1_17partition_subalgoE8ElNS0_10empty_typeEbEEZZNS1_14partition_implILS5_8ELb0ES3_jPlPS6_PKS6_NS0_5tupleIJS9_S6_EEENSD_IJSA_SA_EEENS0_18inequality_wrapperIZN2at6native12_GLOBAL__N_124unique_dim_cuda_templateIiEESt5tupleIJNSH_6TensorESM_SM_EERKSM_lbbbEUlllE0_EEPmJS6_EEE10hipError_tPvRmT3_T4_T5_T6_T7_T9_mT8_P12ihipStream_tbDpT10_ENKUlT_T0_E_clISt17integral_constantIbLb1EES1B_IbLb0EEEEDaS17_S18_EUlS17_E_NS1_11comp_targetILNS1_3genE9ELNS1_11target_archE1100ELNS1_3gpuE3ELNS1_3repE0EEENS1_30default_config_static_selectorELNS0_4arch9wavefront6targetE1EEEvT1_ ; -- Begin function _ZN7rocprim17ROCPRIM_400000_NS6detail17trampoline_kernelINS0_14default_configENS1_25partition_config_selectorILNS1_17partition_subalgoE8ElNS0_10empty_typeEbEEZZNS1_14partition_implILS5_8ELb0ES3_jPlPS6_PKS6_NS0_5tupleIJS9_S6_EEENSD_IJSA_SA_EEENS0_18inequality_wrapperIZN2at6native12_GLOBAL__N_124unique_dim_cuda_templateIiEESt5tupleIJNSH_6TensorESM_SM_EERKSM_lbbbEUlllE0_EEPmJS6_EEE10hipError_tPvRmT3_T4_T5_T6_T7_T9_mT8_P12ihipStream_tbDpT10_ENKUlT_T0_E_clISt17integral_constantIbLb1EES1B_IbLb0EEEEDaS17_S18_EUlS17_E_NS1_11comp_targetILNS1_3genE9ELNS1_11target_archE1100ELNS1_3gpuE3ELNS1_3repE0EEENS1_30default_config_static_selectorELNS0_4arch9wavefront6targetE1EEEvT1_
	.p2align	8
	.type	_ZN7rocprim17ROCPRIM_400000_NS6detail17trampoline_kernelINS0_14default_configENS1_25partition_config_selectorILNS1_17partition_subalgoE8ElNS0_10empty_typeEbEEZZNS1_14partition_implILS5_8ELb0ES3_jPlPS6_PKS6_NS0_5tupleIJS9_S6_EEENSD_IJSA_SA_EEENS0_18inequality_wrapperIZN2at6native12_GLOBAL__N_124unique_dim_cuda_templateIiEESt5tupleIJNSH_6TensorESM_SM_EERKSM_lbbbEUlllE0_EEPmJS6_EEE10hipError_tPvRmT3_T4_T5_T6_T7_T9_mT8_P12ihipStream_tbDpT10_ENKUlT_T0_E_clISt17integral_constantIbLb1EES1B_IbLb0EEEEDaS17_S18_EUlS17_E_NS1_11comp_targetILNS1_3genE9ELNS1_11target_archE1100ELNS1_3gpuE3ELNS1_3repE0EEENS1_30default_config_static_selectorELNS0_4arch9wavefront6targetE1EEEvT1_,@function
_ZN7rocprim17ROCPRIM_400000_NS6detail17trampoline_kernelINS0_14default_configENS1_25partition_config_selectorILNS1_17partition_subalgoE8ElNS0_10empty_typeEbEEZZNS1_14partition_implILS5_8ELb0ES3_jPlPS6_PKS6_NS0_5tupleIJS9_S6_EEENSD_IJSA_SA_EEENS0_18inequality_wrapperIZN2at6native12_GLOBAL__N_124unique_dim_cuda_templateIiEESt5tupleIJNSH_6TensorESM_SM_EERKSM_lbbbEUlllE0_EEPmJS6_EEE10hipError_tPvRmT3_T4_T5_T6_T7_T9_mT8_P12ihipStream_tbDpT10_ENKUlT_T0_E_clISt17integral_constantIbLb1EES1B_IbLb0EEEEDaS17_S18_EUlS17_E_NS1_11comp_targetILNS1_3genE9ELNS1_11target_archE1100ELNS1_3gpuE3ELNS1_3repE0EEENS1_30default_config_static_selectorELNS0_4arch9wavefront6targetE1EEEvT1_: ; @_ZN7rocprim17ROCPRIM_400000_NS6detail17trampoline_kernelINS0_14default_configENS1_25partition_config_selectorILNS1_17partition_subalgoE8ElNS0_10empty_typeEbEEZZNS1_14partition_implILS5_8ELb0ES3_jPlPS6_PKS6_NS0_5tupleIJS9_S6_EEENSD_IJSA_SA_EEENS0_18inequality_wrapperIZN2at6native12_GLOBAL__N_124unique_dim_cuda_templateIiEESt5tupleIJNSH_6TensorESM_SM_EERKSM_lbbbEUlllE0_EEPmJS6_EEE10hipError_tPvRmT3_T4_T5_T6_T7_T9_mT8_P12ihipStream_tbDpT10_ENKUlT_T0_E_clISt17integral_constantIbLb1EES1B_IbLb0EEEEDaS17_S18_EUlS17_E_NS1_11comp_targetILNS1_3genE9ELNS1_11target_archE1100ELNS1_3gpuE3ELNS1_3repE0EEENS1_30default_config_static_selectorELNS0_4arch9wavefront6targetE1EEEvT1_
; %bb.0:
	.section	.rodata,"a",@progbits
	.p2align	6, 0x0
	.amdhsa_kernel _ZN7rocprim17ROCPRIM_400000_NS6detail17trampoline_kernelINS0_14default_configENS1_25partition_config_selectorILNS1_17partition_subalgoE8ElNS0_10empty_typeEbEEZZNS1_14partition_implILS5_8ELb0ES3_jPlPS6_PKS6_NS0_5tupleIJS9_S6_EEENSD_IJSA_SA_EEENS0_18inequality_wrapperIZN2at6native12_GLOBAL__N_124unique_dim_cuda_templateIiEESt5tupleIJNSH_6TensorESM_SM_EERKSM_lbbbEUlllE0_EEPmJS6_EEE10hipError_tPvRmT3_T4_T5_T6_T7_T9_mT8_P12ihipStream_tbDpT10_ENKUlT_T0_E_clISt17integral_constantIbLb1EES1B_IbLb0EEEEDaS17_S18_EUlS17_E_NS1_11comp_targetILNS1_3genE9ELNS1_11target_archE1100ELNS1_3gpuE3ELNS1_3repE0EEENS1_30default_config_static_selectorELNS0_4arch9wavefront6targetE1EEEvT1_
		.amdhsa_group_segment_fixed_size 0
		.amdhsa_private_segment_fixed_size 0
		.amdhsa_kernarg_size 120
		.amdhsa_user_sgpr_count 2
		.amdhsa_user_sgpr_dispatch_ptr 0
		.amdhsa_user_sgpr_queue_ptr 0
		.amdhsa_user_sgpr_kernarg_segment_ptr 1
		.amdhsa_user_sgpr_dispatch_id 0
		.amdhsa_user_sgpr_kernarg_preload_length 0
		.amdhsa_user_sgpr_kernarg_preload_offset 0
		.amdhsa_user_sgpr_private_segment_size 0
		.amdhsa_uses_dynamic_stack 0
		.amdhsa_enable_private_segment 0
		.amdhsa_system_sgpr_workgroup_id_x 1
		.amdhsa_system_sgpr_workgroup_id_y 0
		.amdhsa_system_sgpr_workgroup_id_z 0
		.amdhsa_system_sgpr_workgroup_info 0
		.amdhsa_system_vgpr_workitem_id 0
		.amdhsa_next_free_vgpr 1
		.amdhsa_next_free_sgpr 0
		.amdhsa_accum_offset 4
		.amdhsa_reserve_vcc 0
		.amdhsa_float_round_mode_32 0
		.amdhsa_float_round_mode_16_64 0
		.amdhsa_float_denorm_mode_32 3
		.amdhsa_float_denorm_mode_16_64 3
		.amdhsa_dx10_clamp 1
		.amdhsa_ieee_mode 1
		.amdhsa_fp16_overflow 0
		.amdhsa_tg_split 0
		.amdhsa_exception_fp_ieee_invalid_op 0
		.amdhsa_exception_fp_denorm_src 0
		.amdhsa_exception_fp_ieee_div_zero 0
		.amdhsa_exception_fp_ieee_overflow 0
		.amdhsa_exception_fp_ieee_underflow 0
		.amdhsa_exception_fp_ieee_inexact 0
		.amdhsa_exception_int_div_zero 0
	.end_amdhsa_kernel
	.section	.text._ZN7rocprim17ROCPRIM_400000_NS6detail17trampoline_kernelINS0_14default_configENS1_25partition_config_selectorILNS1_17partition_subalgoE8ElNS0_10empty_typeEbEEZZNS1_14partition_implILS5_8ELb0ES3_jPlPS6_PKS6_NS0_5tupleIJS9_S6_EEENSD_IJSA_SA_EEENS0_18inequality_wrapperIZN2at6native12_GLOBAL__N_124unique_dim_cuda_templateIiEESt5tupleIJNSH_6TensorESM_SM_EERKSM_lbbbEUlllE0_EEPmJS6_EEE10hipError_tPvRmT3_T4_T5_T6_T7_T9_mT8_P12ihipStream_tbDpT10_ENKUlT_T0_E_clISt17integral_constantIbLb1EES1B_IbLb0EEEEDaS17_S18_EUlS17_E_NS1_11comp_targetILNS1_3genE9ELNS1_11target_archE1100ELNS1_3gpuE3ELNS1_3repE0EEENS1_30default_config_static_selectorELNS0_4arch9wavefront6targetE1EEEvT1_,"axG",@progbits,_ZN7rocprim17ROCPRIM_400000_NS6detail17trampoline_kernelINS0_14default_configENS1_25partition_config_selectorILNS1_17partition_subalgoE8ElNS0_10empty_typeEbEEZZNS1_14partition_implILS5_8ELb0ES3_jPlPS6_PKS6_NS0_5tupleIJS9_S6_EEENSD_IJSA_SA_EEENS0_18inequality_wrapperIZN2at6native12_GLOBAL__N_124unique_dim_cuda_templateIiEESt5tupleIJNSH_6TensorESM_SM_EERKSM_lbbbEUlllE0_EEPmJS6_EEE10hipError_tPvRmT3_T4_T5_T6_T7_T9_mT8_P12ihipStream_tbDpT10_ENKUlT_T0_E_clISt17integral_constantIbLb1EES1B_IbLb0EEEEDaS17_S18_EUlS17_E_NS1_11comp_targetILNS1_3genE9ELNS1_11target_archE1100ELNS1_3gpuE3ELNS1_3repE0EEENS1_30default_config_static_selectorELNS0_4arch9wavefront6targetE1EEEvT1_,comdat
.Lfunc_end463:
	.size	_ZN7rocprim17ROCPRIM_400000_NS6detail17trampoline_kernelINS0_14default_configENS1_25partition_config_selectorILNS1_17partition_subalgoE8ElNS0_10empty_typeEbEEZZNS1_14partition_implILS5_8ELb0ES3_jPlPS6_PKS6_NS0_5tupleIJS9_S6_EEENSD_IJSA_SA_EEENS0_18inequality_wrapperIZN2at6native12_GLOBAL__N_124unique_dim_cuda_templateIiEESt5tupleIJNSH_6TensorESM_SM_EERKSM_lbbbEUlllE0_EEPmJS6_EEE10hipError_tPvRmT3_T4_T5_T6_T7_T9_mT8_P12ihipStream_tbDpT10_ENKUlT_T0_E_clISt17integral_constantIbLb1EES1B_IbLb0EEEEDaS17_S18_EUlS17_E_NS1_11comp_targetILNS1_3genE9ELNS1_11target_archE1100ELNS1_3gpuE3ELNS1_3repE0EEENS1_30default_config_static_selectorELNS0_4arch9wavefront6targetE1EEEvT1_, .Lfunc_end463-_ZN7rocprim17ROCPRIM_400000_NS6detail17trampoline_kernelINS0_14default_configENS1_25partition_config_selectorILNS1_17partition_subalgoE8ElNS0_10empty_typeEbEEZZNS1_14partition_implILS5_8ELb0ES3_jPlPS6_PKS6_NS0_5tupleIJS9_S6_EEENSD_IJSA_SA_EEENS0_18inequality_wrapperIZN2at6native12_GLOBAL__N_124unique_dim_cuda_templateIiEESt5tupleIJNSH_6TensorESM_SM_EERKSM_lbbbEUlllE0_EEPmJS6_EEE10hipError_tPvRmT3_T4_T5_T6_T7_T9_mT8_P12ihipStream_tbDpT10_ENKUlT_T0_E_clISt17integral_constantIbLb1EES1B_IbLb0EEEEDaS17_S18_EUlS17_E_NS1_11comp_targetILNS1_3genE9ELNS1_11target_archE1100ELNS1_3gpuE3ELNS1_3repE0EEENS1_30default_config_static_selectorELNS0_4arch9wavefront6targetE1EEEvT1_
                                        ; -- End function
	.set _ZN7rocprim17ROCPRIM_400000_NS6detail17trampoline_kernelINS0_14default_configENS1_25partition_config_selectorILNS1_17partition_subalgoE8ElNS0_10empty_typeEbEEZZNS1_14partition_implILS5_8ELb0ES3_jPlPS6_PKS6_NS0_5tupleIJS9_S6_EEENSD_IJSA_SA_EEENS0_18inequality_wrapperIZN2at6native12_GLOBAL__N_124unique_dim_cuda_templateIiEESt5tupleIJNSH_6TensorESM_SM_EERKSM_lbbbEUlllE0_EEPmJS6_EEE10hipError_tPvRmT3_T4_T5_T6_T7_T9_mT8_P12ihipStream_tbDpT10_ENKUlT_T0_E_clISt17integral_constantIbLb1EES1B_IbLb0EEEEDaS17_S18_EUlS17_E_NS1_11comp_targetILNS1_3genE9ELNS1_11target_archE1100ELNS1_3gpuE3ELNS1_3repE0EEENS1_30default_config_static_selectorELNS0_4arch9wavefront6targetE1EEEvT1_.num_vgpr, 0
	.set _ZN7rocprim17ROCPRIM_400000_NS6detail17trampoline_kernelINS0_14default_configENS1_25partition_config_selectorILNS1_17partition_subalgoE8ElNS0_10empty_typeEbEEZZNS1_14partition_implILS5_8ELb0ES3_jPlPS6_PKS6_NS0_5tupleIJS9_S6_EEENSD_IJSA_SA_EEENS0_18inequality_wrapperIZN2at6native12_GLOBAL__N_124unique_dim_cuda_templateIiEESt5tupleIJNSH_6TensorESM_SM_EERKSM_lbbbEUlllE0_EEPmJS6_EEE10hipError_tPvRmT3_T4_T5_T6_T7_T9_mT8_P12ihipStream_tbDpT10_ENKUlT_T0_E_clISt17integral_constantIbLb1EES1B_IbLb0EEEEDaS17_S18_EUlS17_E_NS1_11comp_targetILNS1_3genE9ELNS1_11target_archE1100ELNS1_3gpuE3ELNS1_3repE0EEENS1_30default_config_static_selectorELNS0_4arch9wavefront6targetE1EEEvT1_.num_agpr, 0
	.set _ZN7rocprim17ROCPRIM_400000_NS6detail17trampoline_kernelINS0_14default_configENS1_25partition_config_selectorILNS1_17partition_subalgoE8ElNS0_10empty_typeEbEEZZNS1_14partition_implILS5_8ELb0ES3_jPlPS6_PKS6_NS0_5tupleIJS9_S6_EEENSD_IJSA_SA_EEENS0_18inequality_wrapperIZN2at6native12_GLOBAL__N_124unique_dim_cuda_templateIiEESt5tupleIJNSH_6TensorESM_SM_EERKSM_lbbbEUlllE0_EEPmJS6_EEE10hipError_tPvRmT3_T4_T5_T6_T7_T9_mT8_P12ihipStream_tbDpT10_ENKUlT_T0_E_clISt17integral_constantIbLb1EES1B_IbLb0EEEEDaS17_S18_EUlS17_E_NS1_11comp_targetILNS1_3genE9ELNS1_11target_archE1100ELNS1_3gpuE3ELNS1_3repE0EEENS1_30default_config_static_selectorELNS0_4arch9wavefront6targetE1EEEvT1_.numbered_sgpr, 0
	.set _ZN7rocprim17ROCPRIM_400000_NS6detail17trampoline_kernelINS0_14default_configENS1_25partition_config_selectorILNS1_17partition_subalgoE8ElNS0_10empty_typeEbEEZZNS1_14partition_implILS5_8ELb0ES3_jPlPS6_PKS6_NS0_5tupleIJS9_S6_EEENSD_IJSA_SA_EEENS0_18inequality_wrapperIZN2at6native12_GLOBAL__N_124unique_dim_cuda_templateIiEESt5tupleIJNSH_6TensorESM_SM_EERKSM_lbbbEUlllE0_EEPmJS6_EEE10hipError_tPvRmT3_T4_T5_T6_T7_T9_mT8_P12ihipStream_tbDpT10_ENKUlT_T0_E_clISt17integral_constantIbLb1EES1B_IbLb0EEEEDaS17_S18_EUlS17_E_NS1_11comp_targetILNS1_3genE9ELNS1_11target_archE1100ELNS1_3gpuE3ELNS1_3repE0EEENS1_30default_config_static_selectorELNS0_4arch9wavefront6targetE1EEEvT1_.num_named_barrier, 0
	.set _ZN7rocprim17ROCPRIM_400000_NS6detail17trampoline_kernelINS0_14default_configENS1_25partition_config_selectorILNS1_17partition_subalgoE8ElNS0_10empty_typeEbEEZZNS1_14partition_implILS5_8ELb0ES3_jPlPS6_PKS6_NS0_5tupleIJS9_S6_EEENSD_IJSA_SA_EEENS0_18inequality_wrapperIZN2at6native12_GLOBAL__N_124unique_dim_cuda_templateIiEESt5tupleIJNSH_6TensorESM_SM_EERKSM_lbbbEUlllE0_EEPmJS6_EEE10hipError_tPvRmT3_T4_T5_T6_T7_T9_mT8_P12ihipStream_tbDpT10_ENKUlT_T0_E_clISt17integral_constantIbLb1EES1B_IbLb0EEEEDaS17_S18_EUlS17_E_NS1_11comp_targetILNS1_3genE9ELNS1_11target_archE1100ELNS1_3gpuE3ELNS1_3repE0EEENS1_30default_config_static_selectorELNS0_4arch9wavefront6targetE1EEEvT1_.private_seg_size, 0
	.set _ZN7rocprim17ROCPRIM_400000_NS6detail17trampoline_kernelINS0_14default_configENS1_25partition_config_selectorILNS1_17partition_subalgoE8ElNS0_10empty_typeEbEEZZNS1_14partition_implILS5_8ELb0ES3_jPlPS6_PKS6_NS0_5tupleIJS9_S6_EEENSD_IJSA_SA_EEENS0_18inequality_wrapperIZN2at6native12_GLOBAL__N_124unique_dim_cuda_templateIiEESt5tupleIJNSH_6TensorESM_SM_EERKSM_lbbbEUlllE0_EEPmJS6_EEE10hipError_tPvRmT3_T4_T5_T6_T7_T9_mT8_P12ihipStream_tbDpT10_ENKUlT_T0_E_clISt17integral_constantIbLb1EES1B_IbLb0EEEEDaS17_S18_EUlS17_E_NS1_11comp_targetILNS1_3genE9ELNS1_11target_archE1100ELNS1_3gpuE3ELNS1_3repE0EEENS1_30default_config_static_selectorELNS0_4arch9wavefront6targetE1EEEvT1_.uses_vcc, 0
	.set _ZN7rocprim17ROCPRIM_400000_NS6detail17trampoline_kernelINS0_14default_configENS1_25partition_config_selectorILNS1_17partition_subalgoE8ElNS0_10empty_typeEbEEZZNS1_14partition_implILS5_8ELb0ES3_jPlPS6_PKS6_NS0_5tupleIJS9_S6_EEENSD_IJSA_SA_EEENS0_18inequality_wrapperIZN2at6native12_GLOBAL__N_124unique_dim_cuda_templateIiEESt5tupleIJNSH_6TensorESM_SM_EERKSM_lbbbEUlllE0_EEPmJS6_EEE10hipError_tPvRmT3_T4_T5_T6_T7_T9_mT8_P12ihipStream_tbDpT10_ENKUlT_T0_E_clISt17integral_constantIbLb1EES1B_IbLb0EEEEDaS17_S18_EUlS17_E_NS1_11comp_targetILNS1_3genE9ELNS1_11target_archE1100ELNS1_3gpuE3ELNS1_3repE0EEENS1_30default_config_static_selectorELNS0_4arch9wavefront6targetE1EEEvT1_.uses_flat_scratch, 0
	.set _ZN7rocprim17ROCPRIM_400000_NS6detail17trampoline_kernelINS0_14default_configENS1_25partition_config_selectorILNS1_17partition_subalgoE8ElNS0_10empty_typeEbEEZZNS1_14partition_implILS5_8ELb0ES3_jPlPS6_PKS6_NS0_5tupleIJS9_S6_EEENSD_IJSA_SA_EEENS0_18inequality_wrapperIZN2at6native12_GLOBAL__N_124unique_dim_cuda_templateIiEESt5tupleIJNSH_6TensorESM_SM_EERKSM_lbbbEUlllE0_EEPmJS6_EEE10hipError_tPvRmT3_T4_T5_T6_T7_T9_mT8_P12ihipStream_tbDpT10_ENKUlT_T0_E_clISt17integral_constantIbLb1EES1B_IbLb0EEEEDaS17_S18_EUlS17_E_NS1_11comp_targetILNS1_3genE9ELNS1_11target_archE1100ELNS1_3gpuE3ELNS1_3repE0EEENS1_30default_config_static_selectorELNS0_4arch9wavefront6targetE1EEEvT1_.has_dyn_sized_stack, 0
	.set _ZN7rocprim17ROCPRIM_400000_NS6detail17trampoline_kernelINS0_14default_configENS1_25partition_config_selectorILNS1_17partition_subalgoE8ElNS0_10empty_typeEbEEZZNS1_14partition_implILS5_8ELb0ES3_jPlPS6_PKS6_NS0_5tupleIJS9_S6_EEENSD_IJSA_SA_EEENS0_18inequality_wrapperIZN2at6native12_GLOBAL__N_124unique_dim_cuda_templateIiEESt5tupleIJNSH_6TensorESM_SM_EERKSM_lbbbEUlllE0_EEPmJS6_EEE10hipError_tPvRmT3_T4_T5_T6_T7_T9_mT8_P12ihipStream_tbDpT10_ENKUlT_T0_E_clISt17integral_constantIbLb1EES1B_IbLb0EEEEDaS17_S18_EUlS17_E_NS1_11comp_targetILNS1_3genE9ELNS1_11target_archE1100ELNS1_3gpuE3ELNS1_3repE0EEENS1_30default_config_static_selectorELNS0_4arch9wavefront6targetE1EEEvT1_.has_recursion, 0
	.set _ZN7rocprim17ROCPRIM_400000_NS6detail17trampoline_kernelINS0_14default_configENS1_25partition_config_selectorILNS1_17partition_subalgoE8ElNS0_10empty_typeEbEEZZNS1_14partition_implILS5_8ELb0ES3_jPlPS6_PKS6_NS0_5tupleIJS9_S6_EEENSD_IJSA_SA_EEENS0_18inequality_wrapperIZN2at6native12_GLOBAL__N_124unique_dim_cuda_templateIiEESt5tupleIJNSH_6TensorESM_SM_EERKSM_lbbbEUlllE0_EEPmJS6_EEE10hipError_tPvRmT3_T4_T5_T6_T7_T9_mT8_P12ihipStream_tbDpT10_ENKUlT_T0_E_clISt17integral_constantIbLb1EES1B_IbLb0EEEEDaS17_S18_EUlS17_E_NS1_11comp_targetILNS1_3genE9ELNS1_11target_archE1100ELNS1_3gpuE3ELNS1_3repE0EEENS1_30default_config_static_selectorELNS0_4arch9wavefront6targetE1EEEvT1_.has_indirect_call, 0
	.section	.AMDGPU.csdata,"",@progbits
; Kernel info:
; codeLenInByte = 0
; TotalNumSgprs: 6
; NumVgprs: 0
; NumAgprs: 0
; TotalNumVgprs: 0
; ScratchSize: 0
; MemoryBound: 0
; FloatMode: 240
; IeeeMode: 1
; LDSByteSize: 0 bytes/workgroup (compile time only)
; SGPRBlocks: 0
; VGPRBlocks: 0
; NumSGPRsForWavesPerEU: 6
; NumVGPRsForWavesPerEU: 1
; AccumOffset: 4
; Occupancy: 8
; WaveLimiterHint : 0
; COMPUTE_PGM_RSRC2:SCRATCH_EN: 0
; COMPUTE_PGM_RSRC2:USER_SGPR: 2
; COMPUTE_PGM_RSRC2:TRAP_HANDLER: 0
; COMPUTE_PGM_RSRC2:TGID_X_EN: 1
; COMPUTE_PGM_RSRC2:TGID_Y_EN: 0
; COMPUTE_PGM_RSRC2:TGID_Z_EN: 0
; COMPUTE_PGM_RSRC2:TIDIG_COMP_CNT: 0
; COMPUTE_PGM_RSRC3_GFX90A:ACCUM_OFFSET: 0
; COMPUTE_PGM_RSRC3_GFX90A:TG_SPLIT: 0
	.section	.text._ZN7rocprim17ROCPRIM_400000_NS6detail17trampoline_kernelINS0_14default_configENS1_25partition_config_selectorILNS1_17partition_subalgoE8ElNS0_10empty_typeEbEEZZNS1_14partition_implILS5_8ELb0ES3_jPlPS6_PKS6_NS0_5tupleIJS9_S6_EEENSD_IJSA_SA_EEENS0_18inequality_wrapperIZN2at6native12_GLOBAL__N_124unique_dim_cuda_templateIiEESt5tupleIJNSH_6TensorESM_SM_EERKSM_lbbbEUlllE0_EEPmJS6_EEE10hipError_tPvRmT3_T4_T5_T6_T7_T9_mT8_P12ihipStream_tbDpT10_ENKUlT_T0_E_clISt17integral_constantIbLb1EES1B_IbLb0EEEEDaS17_S18_EUlS17_E_NS1_11comp_targetILNS1_3genE8ELNS1_11target_archE1030ELNS1_3gpuE2ELNS1_3repE0EEENS1_30default_config_static_selectorELNS0_4arch9wavefront6targetE1EEEvT1_,"axG",@progbits,_ZN7rocprim17ROCPRIM_400000_NS6detail17trampoline_kernelINS0_14default_configENS1_25partition_config_selectorILNS1_17partition_subalgoE8ElNS0_10empty_typeEbEEZZNS1_14partition_implILS5_8ELb0ES3_jPlPS6_PKS6_NS0_5tupleIJS9_S6_EEENSD_IJSA_SA_EEENS0_18inequality_wrapperIZN2at6native12_GLOBAL__N_124unique_dim_cuda_templateIiEESt5tupleIJNSH_6TensorESM_SM_EERKSM_lbbbEUlllE0_EEPmJS6_EEE10hipError_tPvRmT3_T4_T5_T6_T7_T9_mT8_P12ihipStream_tbDpT10_ENKUlT_T0_E_clISt17integral_constantIbLb1EES1B_IbLb0EEEEDaS17_S18_EUlS17_E_NS1_11comp_targetILNS1_3genE8ELNS1_11target_archE1030ELNS1_3gpuE2ELNS1_3repE0EEENS1_30default_config_static_selectorELNS0_4arch9wavefront6targetE1EEEvT1_,comdat
	.globl	_ZN7rocprim17ROCPRIM_400000_NS6detail17trampoline_kernelINS0_14default_configENS1_25partition_config_selectorILNS1_17partition_subalgoE8ElNS0_10empty_typeEbEEZZNS1_14partition_implILS5_8ELb0ES3_jPlPS6_PKS6_NS0_5tupleIJS9_S6_EEENSD_IJSA_SA_EEENS0_18inequality_wrapperIZN2at6native12_GLOBAL__N_124unique_dim_cuda_templateIiEESt5tupleIJNSH_6TensorESM_SM_EERKSM_lbbbEUlllE0_EEPmJS6_EEE10hipError_tPvRmT3_T4_T5_T6_T7_T9_mT8_P12ihipStream_tbDpT10_ENKUlT_T0_E_clISt17integral_constantIbLb1EES1B_IbLb0EEEEDaS17_S18_EUlS17_E_NS1_11comp_targetILNS1_3genE8ELNS1_11target_archE1030ELNS1_3gpuE2ELNS1_3repE0EEENS1_30default_config_static_selectorELNS0_4arch9wavefront6targetE1EEEvT1_ ; -- Begin function _ZN7rocprim17ROCPRIM_400000_NS6detail17trampoline_kernelINS0_14default_configENS1_25partition_config_selectorILNS1_17partition_subalgoE8ElNS0_10empty_typeEbEEZZNS1_14partition_implILS5_8ELb0ES3_jPlPS6_PKS6_NS0_5tupleIJS9_S6_EEENSD_IJSA_SA_EEENS0_18inequality_wrapperIZN2at6native12_GLOBAL__N_124unique_dim_cuda_templateIiEESt5tupleIJNSH_6TensorESM_SM_EERKSM_lbbbEUlllE0_EEPmJS6_EEE10hipError_tPvRmT3_T4_T5_T6_T7_T9_mT8_P12ihipStream_tbDpT10_ENKUlT_T0_E_clISt17integral_constantIbLb1EES1B_IbLb0EEEEDaS17_S18_EUlS17_E_NS1_11comp_targetILNS1_3genE8ELNS1_11target_archE1030ELNS1_3gpuE2ELNS1_3repE0EEENS1_30default_config_static_selectorELNS0_4arch9wavefront6targetE1EEEvT1_
	.p2align	8
	.type	_ZN7rocprim17ROCPRIM_400000_NS6detail17trampoline_kernelINS0_14default_configENS1_25partition_config_selectorILNS1_17partition_subalgoE8ElNS0_10empty_typeEbEEZZNS1_14partition_implILS5_8ELb0ES3_jPlPS6_PKS6_NS0_5tupleIJS9_S6_EEENSD_IJSA_SA_EEENS0_18inequality_wrapperIZN2at6native12_GLOBAL__N_124unique_dim_cuda_templateIiEESt5tupleIJNSH_6TensorESM_SM_EERKSM_lbbbEUlllE0_EEPmJS6_EEE10hipError_tPvRmT3_T4_T5_T6_T7_T9_mT8_P12ihipStream_tbDpT10_ENKUlT_T0_E_clISt17integral_constantIbLb1EES1B_IbLb0EEEEDaS17_S18_EUlS17_E_NS1_11comp_targetILNS1_3genE8ELNS1_11target_archE1030ELNS1_3gpuE2ELNS1_3repE0EEENS1_30default_config_static_selectorELNS0_4arch9wavefront6targetE1EEEvT1_,@function
_ZN7rocprim17ROCPRIM_400000_NS6detail17trampoline_kernelINS0_14default_configENS1_25partition_config_selectorILNS1_17partition_subalgoE8ElNS0_10empty_typeEbEEZZNS1_14partition_implILS5_8ELb0ES3_jPlPS6_PKS6_NS0_5tupleIJS9_S6_EEENSD_IJSA_SA_EEENS0_18inequality_wrapperIZN2at6native12_GLOBAL__N_124unique_dim_cuda_templateIiEESt5tupleIJNSH_6TensorESM_SM_EERKSM_lbbbEUlllE0_EEPmJS6_EEE10hipError_tPvRmT3_T4_T5_T6_T7_T9_mT8_P12ihipStream_tbDpT10_ENKUlT_T0_E_clISt17integral_constantIbLb1EES1B_IbLb0EEEEDaS17_S18_EUlS17_E_NS1_11comp_targetILNS1_3genE8ELNS1_11target_archE1030ELNS1_3gpuE2ELNS1_3repE0EEENS1_30default_config_static_selectorELNS0_4arch9wavefront6targetE1EEEvT1_: ; @_ZN7rocprim17ROCPRIM_400000_NS6detail17trampoline_kernelINS0_14default_configENS1_25partition_config_selectorILNS1_17partition_subalgoE8ElNS0_10empty_typeEbEEZZNS1_14partition_implILS5_8ELb0ES3_jPlPS6_PKS6_NS0_5tupleIJS9_S6_EEENSD_IJSA_SA_EEENS0_18inequality_wrapperIZN2at6native12_GLOBAL__N_124unique_dim_cuda_templateIiEESt5tupleIJNSH_6TensorESM_SM_EERKSM_lbbbEUlllE0_EEPmJS6_EEE10hipError_tPvRmT3_T4_T5_T6_T7_T9_mT8_P12ihipStream_tbDpT10_ENKUlT_T0_E_clISt17integral_constantIbLb1EES1B_IbLb0EEEEDaS17_S18_EUlS17_E_NS1_11comp_targetILNS1_3genE8ELNS1_11target_archE1030ELNS1_3gpuE2ELNS1_3repE0EEENS1_30default_config_static_selectorELNS0_4arch9wavefront6targetE1EEEvT1_
; %bb.0:
	.section	.rodata,"a",@progbits
	.p2align	6, 0x0
	.amdhsa_kernel _ZN7rocprim17ROCPRIM_400000_NS6detail17trampoline_kernelINS0_14default_configENS1_25partition_config_selectorILNS1_17partition_subalgoE8ElNS0_10empty_typeEbEEZZNS1_14partition_implILS5_8ELb0ES3_jPlPS6_PKS6_NS0_5tupleIJS9_S6_EEENSD_IJSA_SA_EEENS0_18inequality_wrapperIZN2at6native12_GLOBAL__N_124unique_dim_cuda_templateIiEESt5tupleIJNSH_6TensorESM_SM_EERKSM_lbbbEUlllE0_EEPmJS6_EEE10hipError_tPvRmT3_T4_T5_T6_T7_T9_mT8_P12ihipStream_tbDpT10_ENKUlT_T0_E_clISt17integral_constantIbLb1EES1B_IbLb0EEEEDaS17_S18_EUlS17_E_NS1_11comp_targetILNS1_3genE8ELNS1_11target_archE1030ELNS1_3gpuE2ELNS1_3repE0EEENS1_30default_config_static_selectorELNS0_4arch9wavefront6targetE1EEEvT1_
		.amdhsa_group_segment_fixed_size 0
		.amdhsa_private_segment_fixed_size 0
		.amdhsa_kernarg_size 120
		.amdhsa_user_sgpr_count 2
		.amdhsa_user_sgpr_dispatch_ptr 0
		.amdhsa_user_sgpr_queue_ptr 0
		.amdhsa_user_sgpr_kernarg_segment_ptr 1
		.amdhsa_user_sgpr_dispatch_id 0
		.amdhsa_user_sgpr_kernarg_preload_length 0
		.amdhsa_user_sgpr_kernarg_preload_offset 0
		.amdhsa_user_sgpr_private_segment_size 0
		.amdhsa_uses_dynamic_stack 0
		.amdhsa_enable_private_segment 0
		.amdhsa_system_sgpr_workgroup_id_x 1
		.amdhsa_system_sgpr_workgroup_id_y 0
		.amdhsa_system_sgpr_workgroup_id_z 0
		.amdhsa_system_sgpr_workgroup_info 0
		.amdhsa_system_vgpr_workitem_id 0
		.amdhsa_next_free_vgpr 1
		.amdhsa_next_free_sgpr 0
		.amdhsa_accum_offset 4
		.amdhsa_reserve_vcc 0
		.amdhsa_float_round_mode_32 0
		.amdhsa_float_round_mode_16_64 0
		.amdhsa_float_denorm_mode_32 3
		.amdhsa_float_denorm_mode_16_64 3
		.amdhsa_dx10_clamp 1
		.amdhsa_ieee_mode 1
		.amdhsa_fp16_overflow 0
		.amdhsa_tg_split 0
		.amdhsa_exception_fp_ieee_invalid_op 0
		.amdhsa_exception_fp_denorm_src 0
		.amdhsa_exception_fp_ieee_div_zero 0
		.amdhsa_exception_fp_ieee_overflow 0
		.amdhsa_exception_fp_ieee_underflow 0
		.amdhsa_exception_fp_ieee_inexact 0
		.amdhsa_exception_int_div_zero 0
	.end_amdhsa_kernel
	.section	.text._ZN7rocprim17ROCPRIM_400000_NS6detail17trampoline_kernelINS0_14default_configENS1_25partition_config_selectorILNS1_17partition_subalgoE8ElNS0_10empty_typeEbEEZZNS1_14partition_implILS5_8ELb0ES3_jPlPS6_PKS6_NS0_5tupleIJS9_S6_EEENSD_IJSA_SA_EEENS0_18inequality_wrapperIZN2at6native12_GLOBAL__N_124unique_dim_cuda_templateIiEESt5tupleIJNSH_6TensorESM_SM_EERKSM_lbbbEUlllE0_EEPmJS6_EEE10hipError_tPvRmT3_T4_T5_T6_T7_T9_mT8_P12ihipStream_tbDpT10_ENKUlT_T0_E_clISt17integral_constantIbLb1EES1B_IbLb0EEEEDaS17_S18_EUlS17_E_NS1_11comp_targetILNS1_3genE8ELNS1_11target_archE1030ELNS1_3gpuE2ELNS1_3repE0EEENS1_30default_config_static_selectorELNS0_4arch9wavefront6targetE1EEEvT1_,"axG",@progbits,_ZN7rocprim17ROCPRIM_400000_NS6detail17trampoline_kernelINS0_14default_configENS1_25partition_config_selectorILNS1_17partition_subalgoE8ElNS0_10empty_typeEbEEZZNS1_14partition_implILS5_8ELb0ES3_jPlPS6_PKS6_NS0_5tupleIJS9_S6_EEENSD_IJSA_SA_EEENS0_18inequality_wrapperIZN2at6native12_GLOBAL__N_124unique_dim_cuda_templateIiEESt5tupleIJNSH_6TensorESM_SM_EERKSM_lbbbEUlllE0_EEPmJS6_EEE10hipError_tPvRmT3_T4_T5_T6_T7_T9_mT8_P12ihipStream_tbDpT10_ENKUlT_T0_E_clISt17integral_constantIbLb1EES1B_IbLb0EEEEDaS17_S18_EUlS17_E_NS1_11comp_targetILNS1_3genE8ELNS1_11target_archE1030ELNS1_3gpuE2ELNS1_3repE0EEENS1_30default_config_static_selectorELNS0_4arch9wavefront6targetE1EEEvT1_,comdat
.Lfunc_end464:
	.size	_ZN7rocprim17ROCPRIM_400000_NS6detail17trampoline_kernelINS0_14default_configENS1_25partition_config_selectorILNS1_17partition_subalgoE8ElNS0_10empty_typeEbEEZZNS1_14partition_implILS5_8ELb0ES3_jPlPS6_PKS6_NS0_5tupleIJS9_S6_EEENSD_IJSA_SA_EEENS0_18inequality_wrapperIZN2at6native12_GLOBAL__N_124unique_dim_cuda_templateIiEESt5tupleIJNSH_6TensorESM_SM_EERKSM_lbbbEUlllE0_EEPmJS6_EEE10hipError_tPvRmT3_T4_T5_T6_T7_T9_mT8_P12ihipStream_tbDpT10_ENKUlT_T0_E_clISt17integral_constantIbLb1EES1B_IbLb0EEEEDaS17_S18_EUlS17_E_NS1_11comp_targetILNS1_3genE8ELNS1_11target_archE1030ELNS1_3gpuE2ELNS1_3repE0EEENS1_30default_config_static_selectorELNS0_4arch9wavefront6targetE1EEEvT1_, .Lfunc_end464-_ZN7rocprim17ROCPRIM_400000_NS6detail17trampoline_kernelINS0_14default_configENS1_25partition_config_selectorILNS1_17partition_subalgoE8ElNS0_10empty_typeEbEEZZNS1_14partition_implILS5_8ELb0ES3_jPlPS6_PKS6_NS0_5tupleIJS9_S6_EEENSD_IJSA_SA_EEENS0_18inequality_wrapperIZN2at6native12_GLOBAL__N_124unique_dim_cuda_templateIiEESt5tupleIJNSH_6TensorESM_SM_EERKSM_lbbbEUlllE0_EEPmJS6_EEE10hipError_tPvRmT3_T4_T5_T6_T7_T9_mT8_P12ihipStream_tbDpT10_ENKUlT_T0_E_clISt17integral_constantIbLb1EES1B_IbLb0EEEEDaS17_S18_EUlS17_E_NS1_11comp_targetILNS1_3genE8ELNS1_11target_archE1030ELNS1_3gpuE2ELNS1_3repE0EEENS1_30default_config_static_selectorELNS0_4arch9wavefront6targetE1EEEvT1_
                                        ; -- End function
	.set _ZN7rocprim17ROCPRIM_400000_NS6detail17trampoline_kernelINS0_14default_configENS1_25partition_config_selectorILNS1_17partition_subalgoE8ElNS0_10empty_typeEbEEZZNS1_14partition_implILS5_8ELb0ES3_jPlPS6_PKS6_NS0_5tupleIJS9_S6_EEENSD_IJSA_SA_EEENS0_18inequality_wrapperIZN2at6native12_GLOBAL__N_124unique_dim_cuda_templateIiEESt5tupleIJNSH_6TensorESM_SM_EERKSM_lbbbEUlllE0_EEPmJS6_EEE10hipError_tPvRmT3_T4_T5_T6_T7_T9_mT8_P12ihipStream_tbDpT10_ENKUlT_T0_E_clISt17integral_constantIbLb1EES1B_IbLb0EEEEDaS17_S18_EUlS17_E_NS1_11comp_targetILNS1_3genE8ELNS1_11target_archE1030ELNS1_3gpuE2ELNS1_3repE0EEENS1_30default_config_static_selectorELNS0_4arch9wavefront6targetE1EEEvT1_.num_vgpr, 0
	.set _ZN7rocprim17ROCPRIM_400000_NS6detail17trampoline_kernelINS0_14default_configENS1_25partition_config_selectorILNS1_17partition_subalgoE8ElNS0_10empty_typeEbEEZZNS1_14partition_implILS5_8ELb0ES3_jPlPS6_PKS6_NS0_5tupleIJS9_S6_EEENSD_IJSA_SA_EEENS0_18inequality_wrapperIZN2at6native12_GLOBAL__N_124unique_dim_cuda_templateIiEESt5tupleIJNSH_6TensorESM_SM_EERKSM_lbbbEUlllE0_EEPmJS6_EEE10hipError_tPvRmT3_T4_T5_T6_T7_T9_mT8_P12ihipStream_tbDpT10_ENKUlT_T0_E_clISt17integral_constantIbLb1EES1B_IbLb0EEEEDaS17_S18_EUlS17_E_NS1_11comp_targetILNS1_3genE8ELNS1_11target_archE1030ELNS1_3gpuE2ELNS1_3repE0EEENS1_30default_config_static_selectorELNS0_4arch9wavefront6targetE1EEEvT1_.num_agpr, 0
	.set _ZN7rocprim17ROCPRIM_400000_NS6detail17trampoline_kernelINS0_14default_configENS1_25partition_config_selectorILNS1_17partition_subalgoE8ElNS0_10empty_typeEbEEZZNS1_14partition_implILS5_8ELb0ES3_jPlPS6_PKS6_NS0_5tupleIJS9_S6_EEENSD_IJSA_SA_EEENS0_18inequality_wrapperIZN2at6native12_GLOBAL__N_124unique_dim_cuda_templateIiEESt5tupleIJNSH_6TensorESM_SM_EERKSM_lbbbEUlllE0_EEPmJS6_EEE10hipError_tPvRmT3_T4_T5_T6_T7_T9_mT8_P12ihipStream_tbDpT10_ENKUlT_T0_E_clISt17integral_constantIbLb1EES1B_IbLb0EEEEDaS17_S18_EUlS17_E_NS1_11comp_targetILNS1_3genE8ELNS1_11target_archE1030ELNS1_3gpuE2ELNS1_3repE0EEENS1_30default_config_static_selectorELNS0_4arch9wavefront6targetE1EEEvT1_.numbered_sgpr, 0
	.set _ZN7rocprim17ROCPRIM_400000_NS6detail17trampoline_kernelINS0_14default_configENS1_25partition_config_selectorILNS1_17partition_subalgoE8ElNS0_10empty_typeEbEEZZNS1_14partition_implILS5_8ELb0ES3_jPlPS6_PKS6_NS0_5tupleIJS9_S6_EEENSD_IJSA_SA_EEENS0_18inequality_wrapperIZN2at6native12_GLOBAL__N_124unique_dim_cuda_templateIiEESt5tupleIJNSH_6TensorESM_SM_EERKSM_lbbbEUlllE0_EEPmJS6_EEE10hipError_tPvRmT3_T4_T5_T6_T7_T9_mT8_P12ihipStream_tbDpT10_ENKUlT_T0_E_clISt17integral_constantIbLb1EES1B_IbLb0EEEEDaS17_S18_EUlS17_E_NS1_11comp_targetILNS1_3genE8ELNS1_11target_archE1030ELNS1_3gpuE2ELNS1_3repE0EEENS1_30default_config_static_selectorELNS0_4arch9wavefront6targetE1EEEvT1_.num_named_barrier, 0
	.set _ZN7rocprim17ROCPRIM_400000_NS6detail17trampoline_kernelINS0_14default_configENS1_25partition_config_selectorILNS1_17partition_subalgoE8ElNS0_10empty_typeEbEEZZNS1_14partition_implILS5_8ELb0ES3_jPlPS6_PKS6_NS0_5tupleIJS9_S6_EEENSD_IJSA_SA_EEENS0_18inequality_wrapperIZN2at6native12_GLOBAL__N_124unique_dim_cuda_templateIiEESt5tupleIJNSH_6TensorESM_SM_EERKSM_lbbbEUlllE0_EEPmJS6_EEE10hipError_tPvRmT3_T4_T5_T6_T7_T9_mT8_P12ihipStream_tbDpT10_ENKUlT_T0_E_clISt17integral_constantIbLb1EES1B_IbLb0EEEEDaS17_S18_EUlS17_E_NS1_11comp_targetILNS1_3genE8ELNS1_11target_archE1030ELNS1_3gpuE2ELNS1_3repE0EEENS1_30default_config_static_selectorELNS0_4arch9wavefront6targetE1EEEvT1_.private_seg_size, 0
	.set _ZN7rocprim17ROCPRIM_400000_NS6detail17trampoline_kernelINS0_14default_configENS1_25partition_config_selectorILNS1_17partition_subalgoE8ElNS0_10empty_typeEbEEZZNS1_14partition_implILS5_8ELb0ES3_jPlPS6_PKS6_NS0_5tupleIJS9_S6_EEENSD_IJSA_SA_EEENS0_18inequality_wrapperIZN2at6native12_GLOBAL__N_124unique_dim_cuda_templateIiEESt5tupleIJNSH_6TensorESM_SM_EERKSM_lbbbEUlllE0_EEPmJS6_EEE10hipError_tPvRmT3_T4_T5_T6_T7_T9_mT8_P12ihipStream_tbDpT10_ENKUlT_T0_E_clISt17integral_constantIbLb1EES1B_IbLb0EEEEDaS17_S18_EUlS17_E_NS1_11comp_targetILNS1_3genE8ELNS1_11target_archE1030ELNS1_3gpuE2ELNS1_3repE0EEENS1_30default_config_static_selectorELNS0_4arch9wavefront6targetE1EEEvT1_.uses_vcc, 0
	.set _ZN7rocprim17ROCPRIM_400000_NS6detail17trampoline_kernelINS0_14default_configENS1_25partition_config_selectorILNS1_17partition_subalgoE8ElNS0_10empty_typeEbEEZZNS1_14partition_implILS5_8ELb0ES3_jPlPS6_PKS6_NS0_5tupleIJS9_S6_EEENSD_IJSA_SA_EEENS0_18inequality_wrapperIZN2at6native12_GLOBAL__N_124unique_dim_cuda_templateIiEESt5tupleIJNSH_6TensorESM_SM_EERKSM_lbbbEUlllE0_EEPmJS6_EEE10hipError_tPvRmT3_T4_T5_T6_T7_T9_mT8_P12ihipStream_tbDpT10_ENKUlT_T0_E_clISt17integral_constantIbLb1EES1B_IbLb0EEEEDaS17_S18_EUlS17_E_NS1_11comp_targetILNS1_3genE8ELNS1_11target_archE1030ELNS1_3gpuE2ELNS1_3repE0EEENS1_30default_config_static_selectorELNS0_4arch9wavefront6targetE1EEEvT1_.uses_flat_scratch, 0
	.set _ZN7rocprim17ROCPRIM_400000_NS6detail17trampoline_kernelINS0_14default_configENS1_25partition_config_selectorILNS1_17partition_subalgoE8ElNS0_10empty_typeEbEEZZNS1_14partition_implILS5_8ELb0ES3_jPlPS6_PKS6_NS0_5tupleIJS9_S6_EEENSD_IJSA_SA_EEENS0_18inequality_wrapperIZN2at6native12_GLOBAL__N_124unique_dim_cuda_templateIiEESt5tupleIJNSH_6TensorESM_SM_EERKSM_lbbbEUlllE0_EEPmJS6_EEE10hipError_tPvRmT3_T4_T5_T6_T7_T9_mT8_P12ihipStream_tbDpT10_ENKUlT_T0_E_clISt17integral_constantIbLb1EES1B_IbLb0EEEEDaS17_S18_EUlS17_E_NS1_11comp_targetILNS1_3genE8ELNS1_11target_archE1030ELNS1_3gpuE2ELNS1_3repE0EEENS1_30default_config_static_selectorELNS0_4arch9wavefront6targetE1EEEvT1_.has_dyn_sized_stack, 0
	.set _ZN7rocprim17ROCPRIM_400000_NS6detail17trampoline_kernelINS0_14default_configENS1_25partition_config_selectorILNS1_17partition_subalgoE8ElNS0_10empty_typeEbEEZZNS1_14partition_implILS5_8ELb0ES3_jPlPS6_PKS6_NS0_5tupleIJS9_S6_EEENSD_IJSA_SA_EEENS0_18inequality_wrapperIZN2at6native12_GLOBAL__N_124unique_dim_cuda_templateIiEESt5tupleIJNSH_6TensorESM_SM_EERKSM_lbbbEUlllE0_EEPmJS6_EEE10hipError_tPvRmT3_T4_T5_T6_T7_T9_mT8_P12ihipStream_tbDpT10_ENKUlT_T0_E_clISt17integral_constantIbLb1EES1B_IbLb0EEEEDaS17_S18_EUlS17_E_NS1_11comp_targetILNS1_3genE8ELNS1_11target_archE1030ELNS1_3gpuE2ELNS1_3repE0EEENS1_30default_config_static_selectorELNS0_4arch9wavefront6targetE1EEEvT1_.has_recursion, 0
	.set _ZN7rocprim17ROCPRIM_400000_NS6detail17trampoline_kernelINS0_14default_configENS1_25partition_config_selectorILNS1_17partition_subalgoE8ElNS0_10empty_typeEbEEZZNS1_14partition_implILS5_8ELb0ES3_jPlPS6_PKS6_NS0_5tupleIJS9_S6_EEENSD_IJSA_SA_EEENS0_18inequality_wrapperIZN2at6native12_GLOBAL__N_124unique_dim_cuda_templateIiEESt5tupleIJNSH_6TensorESM_SM_EERKSM_lbbbEUlllE0_EEPmJS6_EEE10hipError_tPvRmT3_T4_T5_T6_T7_T9_mT8_P12ihipStream_tbDpT10_ENKUlT_T0_E_clISt17integral_constantIbLb1EES1B_IbLb0EEEEDaS17_S18_EUlS17_E_NS1_11comp_targetILNS1_3genE8ELNS1_11target_archE1030ELNS1_3gpuE2ELNS1_3repE0EEENS1_30default_config_static_selectorELNS0_4arch9wavefront6targetE1EEEvT1_.has_indirect_call, 0
	.section	.AMDGPU.csdata,"",@progbits
; Kernel info:
; codeLenInByte = 0
; TotalNumSgprs: 6
; NumVgprs: 0
; NumAgprs: 0
; TotalNumVgprs: 0
; ScratchSize: 0
; MemoryBound: 0
; FloatMode: 240
; IeeeMode: 1
; LDSByteSize: 0 bytes/workgroup (compile time only)
; SGPRBlocks: 0
; VGPRBlocks: 0
; NumSGPRsForWavesPerEU: 6
; NumVGPRsForWavesPerEU: 1
; AccumOffset: 4
; Occupancy: 8
; WaveLimiterHint : 0
; COMPUTE_PGM_RSRC2:SCRATCH_EN: 0
; COMPUTE_PGM_RSRC2:USER_SGPR: 2
; COMPUTE_PGM_RSRC2:TRAP_HANDLER: 0
; COMPUTE_PGM_RSRC2:TGID_X_EN: 1
; COMPUTE_PGM_RSRC2:TGID_Y_EN: 0
; COMPUTE_PGM_RSRC2:TGID_Z_EN: 0
; COMPUTE_PGM_RSRC2:TIDIG_COMP_CNT: 0
; COMPUTE_PGM_RSRC3_GFX90A:ACCUM_OFFSET: 0
; COMPUTE_PGM_RSRC3_GFX90A:TG_SPLIT: 0
	.section	.text._ZN7rocprim17ROCPRIM_400000_NS6detail17trampoline_kernelINS0_14default_configENS1_25partition_config_selectorILNS1_17partition_subalgoE8ElNS0_10empty_typeEbEEZZNS1_14partition_implILS5_8ELb0ES3_jPlPS6_PKS6_NS0_5tupleIJS9_S6_EEENSD_IJSA_SA_EEENS0_18inequality_wrapperIZN2at6native12_GLOBAL__N_124unique_dim_cuda_templateIiEESt5tupleIJNSH_6TensorESM_SM_EERKSM_lbbbEUlllE0_EEPmJS6_EEE10hipError_tPvRmT3_T4_T5_T6_T7_T9_mT8_P12ihipStream_tbDpT10_ENKUlT_T0_E_clISt17integral_constantIbLb0EES1B_IbLb1EEEEDaS17_S18_EUlS17_E_NS1_11comp_targetILNS1_3genE0ELNS1_11target_archE4294967295ELNS1_3gpuE0ELNS1_3repE0EEENS1_30default_config_static_selectorELNS0_4arch9wavefront6targetE1EEEvT1_,"axG",@progbits,_ZN7rocprim17ROCPRIM_400000_NS6detail17trampoline_kernelINS0_14default_configENS1_25partition_config_selectorILNS1_17partition_subalgoE8ElNS0_10empty_typeEbEEZZNS1_14partition_implILS5_8ELb0ES3_jPlPS6_PKS6_NS0_5tupleIJS9_S6_EEENSD_IJSA_SA_EEENS0_18inequality_wrapperIZN2at6native12_GLOBAL__N_124unique_dim_cuda_templateIiEESt5tupleIJNSH_6TensorESM_SM_EERKSM_lbbbEUlllE0_EEPmJS6_EEE10hipError_tPvRmT3_T4_T5_T6_T7_T9_mT8_P12ihipStream_tbDpT10_ENKUlT_T0_E_clISt17integral_constantIbLb0EES1B_IbLb1EEEEDaS17_S18_EUlS17_E_NS1_11comp_targetILNS1_3genE0ELNS1_11target_archE4294967295ELNS1_3gpuE0ELNS1_3repE0EEENS1_30default_config_static_selectorELNS0_4arch9wavefront6targetE1EEEvT1_,comdat
	.globl	_ZN7rocprim17ROCPRIM_400000_NS6detail17trampoline_kernelINS0_14default_configENS1_25partition_config_selectorILNS1_17partition_subalgoE8ElNS0_10empty_typeEbEEZZNS1_14partition_implILS5_8ELb0ES3_jPlPS6_PKS6_NS0_5tupleIJS9_S6_EEENSD_IJSA_SA_EEENS0_18inequality_wrapperIZN2at6native12_GLOBAL__N_124unique_dim_cuda_templateIiEESt5tupleIJNSH_6TensorESM_SM_EERKSM_lbbbEUlllE0_EEPmJS6_EEE10hipError_tPvRmT3_T4_T5_T6_T7_T9_mT8_P12ihipStream_tbDpT10_ENKUlT_T0_E_clISt17integral_constantIbLb0EES1B_IbLb1EEEEDaS17_S18_EUlS17_E_NS1_11comp_targetILNS1_3genE0ELNS1_11target_archE4294967295ELNS1_3gpuE0ELNS1_3repE0EEENS1_30default_config_static_selectorELNS0_4arch9wavefront6targetE1EEEvT1_ ; -- Begin function _ZN7rocprim17ROCPRIM_400000_NS6detail17trampoline_kernelINS0_14default_configENS1_25partition_config_selectorILNS1_17partition_subalgoE8ElNS0_10empty_typeEbEEZZNS1_14partition_implILS5_8ELb0ES3_jPlPS6_PKS6_NS0_5tupleIJS9_S6_EEENSD_IJSA_SA_EEENS0_18inequality_wrapperIZN2at6native12_GLOBAL__N_124unique_dim_cuda_templateIiEESt5tupleIJNSH_6TensorESM_SM_EERKSM_lbbbEUlllE0_EEPmJS6_EEE10hipError_tPvRmT3_T4_T5_T6_T7_T9_mT8_P12ihipStream_tbDpT10_ENKUlT_T0_E_clISt17integral_constantIbLb0EES1B_IbLb1EEEEDaS17_S18_EUlS17_E_NS1_11comp_targetILNS1_3genE0ELNS1_11target_archE4294967295ELNS1_3gpuE0ELNS1_3repE0EEENS1_30default_config_static_selectorELNS0_4arch9wavefront6targetE1EEEvT1_
	.p2align	8
	.type	_ZN7rocprim17ROCPRIM_400000_NS6detail17trampoline_kernelINS0_14default_configENS1_25partition_config_selectorILNS1_17partition_subalgoE8ElNS0_10empty_typeEbEEZZNS1_14partition_implILS5_8ELb0ES3_jPlPS6_PKS6_NS0_5tupleIJS9_S6_EEENSD_IJSA_SA_EEENS0_18inequality_wrapperIZN2at6native12_GLOBAL__N_124unique_dim_cuda_templateIiEESt5tupleIJNSH_6TensorESM_SM_EERKSM_lbbbEUlllE0_EEPmJS6_EEE10hipError_tPvRmT3_T4_T5_T6_T7_T9_mT8_P12ihipStream_tbDpT10_ENKUlT_T0_E_clISt17integral_constantIbLb0EES1B_IbLb1EEEEDaS17_S18_EUlS17_E_NS1_11comp_targetILNS1_3genE0ELNS1_11target_archE4294967295ELNS1_3gpuE0ELNS1_3repE0EEENS1_30default_config_static_selectorELNS0_4arch9wavefront6targetE1EEEvT1_,@function
_ZN7rocprim17ROCPRIM_400000_NS6detail17trampoline_kernelINS0_14default_configENS1_25partition_config_selectorILNS1_17partition_subalgoE8ElNS0_10empty_typeEbEEZZNS1_14partition_implILS5_8ELb0ES3_jPlPS6_PKS6_NS0_5tupleIJS9_S6_EEENSD_IJSA_SA_EEENS0_18inequality_wrapperIZN2at6native12_GLOBAL__N_124unique_dim_cuda_templateIiEESt5tupleIJNSH_6TensorESM_SM_EERKSM_lbbbEUlllE0_EEPmJS6_EEE10hipError_tPvRmT3_T4_T5_T6_T7_T9_mT8_P12ihipStream_tbDpT10_ENKUlT_T0_E_clISt17integral_constantIbLb0EES1B_IbLb1EEEEDaS17_S18_EUlS17_E_NS1_11comp_targetILNS1_3genE0ELNS1_11target_archE4294967295ELNS1_3gpuE0ELNS1_3repE0EEENS1_30default_config_static_selectorELNS0_4arch9wavefront6targetE1EEEvT1_: ; @_ZN7rocprim17ROCPRIM_400000_NS6detail17trampoline_kernelINS0_14default_configENS1_25partition_config_selectorILNS1_17partition_subalgoE8ElNS0_10empty_typeEbEEZZNS1_14partition_implILS5_8ELb0ES3_jPlPS6_PKS6_NS0_5tupleIJS9_S6_EEENSD_IJSA_SA_EEENS0_18inequality_wrapperIZN2at6native12_GLOBAL__N_124unique_dim_cuda_templateIiEESt5tupleIJNSH_6TensorESM_SM_EERKSM_lbbbEUlllE0_EEPmJS6_EEE10hipError_tPvRmT3_T4_T5_T6_T7_T9_mT8_P12ihipStream_tbDpT10_ENKUlT_T0_E_clISt17integral_constantIbLb0EES1B_IbLb1EEEEDaS17_S18_EUlS17_E_NS1_11comp_targetILNS1_3genE0ELNS1_11target_archE4294967295ELNS1_3gpuE0ELNS1_3repE0EEENS1_30default_config_static_selectorELNS0_4arch9wavefront6targetE1EEEvT1_
; %bb.0:
	s_load_dwordx2 s[34:35], s[0:1], 0x28
	s_load_dwordx8 s[20:27], s[0:1], 0x40
	s_load_dwordx4 s[28:31], s[0:1], 0x60
	v_cmp_ne_u32_e64 s[2:3], 0, v0
	v_cmp_eq_u32_e64 s[18:19], 0, v0
	s_and_saveexec_b64 s[4:5], s[18:19]
	s_cbranch_execz .LBB465_4
; %bb.1:
	s_mov_b64 s[8:9], exec
	v_mbcnt_lo_u32_b32 v1, s8, 0
	v_mbcnt_hi_u32_b32 v1, s9, v1
	v_cmp_eq_u32_e32 vcc, 0, v1
                                        ; implicit-def: $vgpr2
	s_and_saveexec_b64 s[6:7], vcc
	s_cbranch_execz .LBB465_3
; %bb.2:
	s_load_dwordx2 s[10:11], s[0:1], 0x78
	s_bcnt1_i32_b64 s8, s[8:9]
	v_mov_b32_e32 v2, 0
	v_mov_b32_e32 v3, s8
	s_waitcnt lgkmcnt(0)
	global_atomic_add v2, v2, v3, s[10:11] sc0
.LBB465_3:
	s_or_b64 exec, exec, s[6:7]
	s_waitcnt vmcnt(0)
	v_readfirstlane_b32 s6, v2
	v_mov_b32_e32 v2, 0
	s_nop 0
	v_add_u32_e32 v1, s6, v1
	ds_write_b32 v2, v1
.LBB465_4:
	s_or_b64 exec, exec, s[4:5]
	v_mov_b32_e32 v3, 0
	s_load_dwordx4 s[4:7], s[0:1], 0x8
	s_load_dword s8, s[0:1], 0x70
	s_waitcnt lgkmcnt(0)
	s_barrier
	ds_read_b32 v1, v3
	s_waitcnt lgkmcnt(0)
	s_barrier
	global_load_dwordx2 v[4:5], v3, s[22:23]
	s_lshl_b64 s[10:11], s[6:7], 3
	s_mul_i32 s9, s8, 0xe00
	s_add_u32 s4, s4, s10
	s_addc_u32 s5, s5, s11
	s_add_i32 s10, s8, -1
	s_add_i32 s8, s9, s6
	s_sub_i32 s50, s24, s8
	s_add_u32 s8, s6, s9
	s_addc_u32 s9, s7, 0
	v_readfirstlane_b32 s33, v1
	v_mov_b64_e32 v[6:7], s[8:9]
	s_cmp_eq_u32 s33, s10
	s_movk_i32 s12, 0xe00
	v_cmp_le_u64_e32 vcc, s[24:25], v[6:7]
	s_cselect_b64 s[24:25], -1, 0
	v_mul_lo_u32 v2, v1, s12
	s_and_b64 s[8:9], vcc, s[24:25]
	v_lshlrev_b64 v[6:7], 3, v[2:3]
	s_xor_b64 s[36:37], s[8:9], -1
	s_mov_b64 s[0:1], -1
	v_lshlrev_b32_e32 v18, 3, v0
	v_lshl_add_u64 v[20:21], s[4:5], 0, v[6:7]
	s_and_b64 vcc, exec, s[36:37]
	s_waitcnt vmcnt(0)
	v_readfirstlane_b32 s22, v4
	v_readfirstlane_b32 s23, v5
	s_cbranch_vccz .LBB465_6
; %bb.5:
	v_lshlrev_b32_e32 v2, 3, v0
	v_lshl_add_u64 v[4:5], v[20:21], 0, v[2:3]
	v_add_co_u32_e32 v8, vcc, 0x1000, v4
	v_readfirstlane_b32 s0, v20
	s_nop 0
	v_addc_co_u32_e32 v9, vcc, 0, v5, vcc
	v_add_co_u32_e32 v10, vcc, 0x2000, v4
	v_readfirstlane_b32 s1, v21
	s_nop 0
	v_addc_co_u32_e32 v11, vcc, 0, v5, vcc
	v_add_co_u32_e32 v12, vcc, 0x3000, v4
	s_nop 1
	v_addc_co_u32_e32 v13, vcc, 0, v5, vcc
	v_add_co_u32_e32 v14, vcc, 0x4000, v4
	global_load_dwordx2 v[6:7], v2, s[0:1]
	s_nop 0
	v_addc_co_u32_e32 v15, vcc, 0, v5, vcc
	global_load_dwordx2 v[16:17], v[8:9], off
	global_load_dwordx2 v[22:23], v[10:11], off
	;; [unrolled: 1-line block ×4, first 2 shown]
	v_add_co_u32_e32 v8, vcc, 0x5000, v4
	s_mov_b64 s[0:1], 0
	s_nop 0
	v_addc_co_u32_e32 v9, vcc, 0, v5, vcc
	v_add_co_u32_e32 v4, vcc, 0x6000, v4
	s_nop 1
	v_addc_co_u32_e32 v5, vcc, 0, v5, vcc
	global_load_dwordx2 v[10:11], v[8:9], off
	global_load_dwordx2 v[12:13], v[4:5], off
	s_waitcnt vmcnt(5)
	ds_write2st64_b64 v2, v[6:7], v[16:17] offset1:8
	s_waitcnt vmcnt(3)
	ds_write2st64_b64 v2, v[22:23], v[24:25] offset0:16 offset1:24
	s_waitcnt vmcnt(1)
	ds_write2st64_b64 v2, v[26:27], v[10:11] offset0:32 offset1:40
	s_waitcnt vmcnt(0)
	ds_write_b64 v2, v[12:13] offset:24576
	s_waitcnt lgkmcnt(0)
	s_barrier
.LBB465_6:
	s_andn2_b64 vcc, exec, s[0:1]
	s_addk_i32 s50, 0xe00
	s_cbranch_vccnz .LBB465_22
; %bb.7:
	v_mov_b32_e32 v2, 0
	v_cmp_gt_u32_e32 vcc, s50, v0
	v_mov_b32_e32 v3, v2
	v_mov_b32_e32 v4, v2
	;; [unrolled: 1-line block ×13, first 2 shown]
	s_and_saveexec_b64 s[0:1], vcc
	s_cbranch_execz .LBB465_9
; %bb.8:
	v_lshlrev_b32_e32 v1, 3, v0
	v_readfirstlane_b32 s4, v20
	v_readfirstlane_b32 s5, v21
	v_mov_b32_e32 v6, v2
	v_mov_b32_e32 v7, v2
	;; [unrolled: 1-line block ×5, first 2 shown]
	global_load_dwordx2 v[4:5], v1, s[4:5]
	v_mov_b32_e32 v11, v2
	v_mov_b32_e32 v12, v2
	;; [unrolled: 1-line block ×7, first 2 shown]
	s_waitcnt vmcnt(0)
	v_mov_b64_e32 v[2:3], v[4:5]
	v_mov_b64_e32 v[4:5], v[6:7]
	;; [unrolled: 1-line block ×8, first 2 shown]
.LBB465_9:
	s_or_b64 exec, exec, s[0:1]
	v_or_b32_e32 v1, 0x200, v0
	v_cmp_gt_u32_e32 vcc, s50, v1
	s_and_saveexec_b64 s[0:1], vcc
	s_cbranch_execz .LBB465_11
; %bb.10:
	v_lshlrev_b32_e32 v1, 3, v1
	v_readfirstlane_b32 s4, v20
	v_readfirstlane_b32 s5, v21
	s_nop 4
	global_load_dwordx2 v[4:5], v1, s[4:5]
.LBB465_11:
	s_or_b64 exec, exec, s[0:1]
	v_or_b32_e32 v1, 0x400, v0
	v_cmp_gt_u32_e32 vcc, s50, v1
	s_and_saveexec_b64 s[0:1], vcc
	s_cbranch_execz .LBB465_13
; %bb.12:
	v_lshlrev_b32_e32 v1, 3, v1
	v_readfirstlane_b32 s4, v20
	v_readfirstlane_b32 s5, v21
	s_nop 4
	global_load_dwordx2 v[6:7], v1, s[4:5]
.LBB465_13:
	;; [unrolled: 12-line block ×6, first 2 shown]
	s_or_b64 exec, exec, s[0:1]
	v_lshlrev_b32_e32 v1, 3, v0
	s_waitcnt vmcnt(0)
	ds_write2st64_b64 v1, v[2:3], v[4:5] offset1:8
	ds_write2st64_b64 v1, v[6:7], v[8:9] offset0:16 offset1:24
	ds_write2st64_b64 v1, v[10:11], v[12:13] offset0:32 offset1:40
	ds_write_b64 v1, v[14:15] offset:24576
	s_waitcnt lgkmcnt(0)
	s_barrier
.LBB465_22:
	v_mul_u32_u24_e32 v1, 7, v0
	v_lshlrev_b32_e32 v26, 3, v1
	ds_read2_b64 v[10:13], v26 offset1:1
	ds_read2_b64 v[6:9], v26 offset0:2 offset1:3
	ds_read2_b64 v[2:5], v26 offset0:4 offset1:5
	ds_read_b64 v[14:15], v26 offset:48
	s_cmp_lg_u32 s33, 0
	s_cselect_b64 s[16:17], -1, 0
	s_cmp_lg_u64 s[6:7], 0
	s_cselect_b64 s[0:1], -1, 0
	s_or_b64 s[0:1], s[0:1], s[16:17]
	s_mov_b64 s[10:11], 0
	s_and_b64 vcc, exec, s[0:1]
	v_cmp_gt_i64_e64 s[4:5], s[26:27], 0
	s_waitcnt lgkmcnt(0)
	s_barrier
	s_cbranch_vccz .LBB465_38
; %bb.23:
	global_load_dwordx2 v[20:21], v[20:21], off offset:-8
	v_cndmask_b32_e64 v16, 0, 1, s[4:5]
	v_lshlrev_b32_e32 v27, 3, v0
	s_mov_b64 s[0:1], 0
	s_and_b64 vcc, exec, s[36:37]
	v_cmp_ne_u32_e64 s[4:5], 1, v16
	ds_write_b64 v27, v[14:15]
	s_cbranch_vccz .LBB465_40
; %bb.24:
	s_and_b64 vcc, exec, s[4:5]
	s_cbranch_vccnz .LBB465_41
; %bb.25:
	v_mul_lo_u32 v19, v5, s26
	v_mul_lo_u32 v22, v4, s27
	v_mad_u64_u32 v[16:17], s[0:1], v4, s26, 0
	v_add3_u32 v17, v17, v22, v19
	v_mul_lo_u32 v19, v15, s26
	v_mul_lo_u32 v24, v14, s27
	v_mad_u64_u32 v[22:23], s[0:1], v14, s26, 0
	s_add_u32 s10, s26, -1
	v_lshl_add_u64 v[16:17], v[16:17], 2, s[28:29]
	v_add3_u32 v23, v23, v24, v19
	s_addc_u32 s11, s27, -1
	v_lshl_add_u64 v[22:23], v[22:23], 2, s[28:29]
	s_mov_b64 s[12:13], 0
	s_mov_b64 s[14:15], s[10:11]
	v_mov_b64_e32 v[24:25], v[16:17]
                                        ; implicit-def: $sgpr6_sgpr7
.LBB465_26:                             ; =>This Inner Loop Header: Depth=1
	global_load_dword v19, v[24:25], off
	global_load_dword v28, v[22:23], off
	s_add_u32 s0, s14, -1
	s_addc_u32 s1, s15, -1
	s_cmp_eq_u64 s[14:15], 0
	s_mov_b64 s[14:15], s[0:1]
	s_cselect_b64 s[38:39], -1, 0
	v_lshl_add_u64 v[24:25], v[24:25], 0, 4
	v_lshl_add_u64 v[22:23], v[22:23], 0, 4
	s_waitcnt vmcnt(0)
	v_cmp_ne_u32_e64 s[0:1], v19, v28
	s_or_b64 s[0:1], s[0:1], s[38:39]
	s_and_b64 s[0:1], exec, s[0:1]
	v_cmp_eq_u32_e32 vcc, v19, v28
	s_or_b64 s[12:13], s[0:1], s[12:13]
	s_andn2_b64 s[0:1], s[6:7], exec
	s_and_b64 s[6:7], vcc, exec
	s_or_b64 s[6:7], s[0:1], s[6:7]
	s_andn2_b64 exec, exec, s[12:13]
	s_cbranch_execnz .LBB465_26
; %bb.27:
	s_or_b64 exec, exec, s[12:13]
	v_mul_lo_u32 v19, v3, s26
	v_mul_lo_u32 v24, v2, s27
	v_mad_u64_u32 v[22:23], s[0:1], v2, s26, 0
	v_add3_u32 v23, v23, v24, v19
	v_lshl_add_u64 v[22:23], v[22:23], 2, s[28:29]
	s_mov_b64 s[14:15], 0
	s_mov_b64 s[38:39], s[10:11]
	v_mov_b64_e32 v[24:25], v[22:23]
                                        ; implicit-def: $sgpr12_sgpr13
.LBB465_28:                             ; =>This Inner Loop Header: Depth=1
	global_load_dword v19, v[24:25], off
	global_load_dword v28, v[16:17], off
	s_add_u32 s0, s38, -1
	s_addc_u32 s1, s39, -1
	s_cmp_eq_u64 s[38:39], 0
	s_mov_b64 s[38:39], s[0:1]
	s_cselect_b64 s[40:41], -1, 0
	v_lshl_add_u64 v[24:25], v[24:25], 0, 4
	v_lshl_add_u64 v[16:17], v[16:17], 0, 4
	s_waitcnt vmcnt(0)
	v_cmp_ne_u32_e64 s[0:1], v19, v28
	s_or_b64 s[0:1], s[0:1], s[40:41]
	s_and_b64 s[0:1], exec, s[0:1]
	v_cmp_eq_u32_e32 vcc, v19, v28
	s_or_b64 s[14:15], s[0:1], s[14:15]
	s_andn2_b64 s[0:1], s[12:13], exec
	s_and_b64 s[12:13], vcc, exec
	s_or_b64 s[12:13], s[0:1], s[12:13]
	s_andn2_b64 exec, exec, s[14:15]
	s_cbranch_execnz .LBB465_28
; %bb.29:
	s_or_b64 exec, exec, s[14:15]
	v_mul_lo_u32 v19, v9, s26
	v_mul_lo_u32 v24, v8, s27
	v_mad_u64_u32 v[16:17], s[0:1], v8, s26, 0
	v_add3_u32 v17, v17, v24, v19
	v_lshl_add_u64 v[16:17], v[16:17], 2, s[28:29]
	s_mov_b64 s[38:39], 0
	s_mov_b64 s[40:41], s[10:11]
	v_mov_b64_e32 v[24:25], v[16:17]
                                        ; implicit-def: $sgpr14_sgpr15
.LBB465_30:                             ; =>This Inner Loop Header: Depth=1
	global_load_dword v19, v[24:25], off
	global_load_dword v28, v[22:23], off
	s_add_u32 s0, s40, -1
	s_addc_u32 s1, s41, -1
	s_cmp_eq_u64 s[40:41], 0
	s_mov_b64 s[40:41], s[0:1]
	s_cselect_b64 s[42:43], -1, 0
	v_lshl_add_u64 v[24:25], v[24:25], 0, 4
	v_lshl_add_u64 v[22:23], v[22:23], 0, 4
	s_waitcnt vmcnt(0)
	v_cmp_ne_u32_e64 s[0:1], v19, v28
	s_or_b64 s[0:1], s[0:1], s[42:43]
	s_and_b64 s[0:1], exec, s[0:1]
	v_cmp_eq_u32_e32 vcc, v19, v28
	s_or_b64 s[38:39], s[0:1], s[38:39]
	s_andn2_b64 s[0:1], s[14:15], exec
	s_and_b64 s[14:15], vcc, exec
	s_or_b64 s[14:15], s[0:1], s[14:15]
	s_andn2_b64 exec, exec, s[38:39]
	s_cbranch_execnz .LBB465_30
; %bb.31:
	s_or_b64 exec, exec, s[38:39]
	v_mul_lo_u32 v19, v7, s26
	v_mul_lo_u32 v24, v6, s27
	v_mad_u64_u32 v[22:23], s[0:1], v6, s26, 0
	v_add3_u32 v23, v23, v24, v19
	v_lshl_add_u64 v[22:23], v[22:23], 2, s[28:29]
	s_mov_b64 s[40:41], 0
	s_mov_b64 s[42:43], s[10:11]
	v_mov_b64_e32 v[24:25], v[22:23]
                                        ; implicit-def: $sgpr38_sgpr39
.LBB465_32:                             ; =>This Inner Loop Header: Depth=1
	global_load_dword v19, v[24:25], off
	global_load_dword v28, v[16:17], off
	s_add_u32 s0, s42, -1
	s_addc_u32 s1, s43, -1
	s_cmp_eq_u64 s[42:43], 0
	s_mov_b64 s[42:43], s[0:1]
	s_cselect_b64 s[44:45], -1, 0
	v_lshl_add_u64 v[24:25], v[24:25], 0, 4
	v_lshl_add_u64 v[16:17], v[16:17], 0, 4
	s_waitcnt vmcnt(0)
	v_cmp_ne_u32_e64 s[0:1], v19, v28
	s_or_b64 s[0:1], s[0:1], s[44:45]
	s_and_b64 s[0:1], exec, s[0:1]
	v_cmp_eq_u32_e32 vcc, v19, v28
	s_or_b64 s[40:41], s[0:1], s[40:41]
	s_andn2_b64 s[0:1], s[38:39], exec
	s_and_b64 s[38:39], vcc, exec
	s_or_b64 s[38:39], s[0:1], s[38:39]
	s_andn2_b64 exec, exec, s[40:41]
	s_cbranch_execnz .LBB465_32
; %bb.33:
	s_or_b64 exec, exec, s[40:41]
	v_mul_lo_u32 v19, v13, s26
	v_mul_lo_u32 v24, v12, s27
	v_mad_u64_u32 v[16:17], s[0:1], v12, s26, 0
	v_add3_u32 v17, v17, v24, v19
	v_lshl_add_u64 v[16:17], v[16:17], 2, s[28:29]
	s_mov_b64 s[42:43], 0
	s_mov_b64 s[44:45], s[10:11]
	v_mov_b64_e32 v[24:25], v[16:17]
                                        ; implicit-def: $sgpr40_sgpr41
.LBB465_34:                             ; =>This Inner Loop Header: Depth=1
	global_load_dword v19, v[24:25], off
	global_load_dword v28, v[22:23], off
	s_add_u32 s0, s44, -1
	s_addc_u32 s1, s45, -1
	s_cmp_eq_u64 s[44:45], 0
	s_mov_b64 s[44:45], s[0:1]
	s_cselect_b64 s[46:47], -1, 0
	v_lshl_add_u64 v[24:25], v[24:25], 0, 4
	v_lshl_add_u64 v[22:23], v[22:23], 0, 4
	s_waitcnt vmcnt(0)
	v_cmp_ne_u32_e64 s[0:1], v19, v28
	s_or_b64 s[0:1], s[0:1], s[46:47]
	s_and_b64 s[0:1], exec, s[0:1]
	v_cmp_eq_u32_e32 vcc, v19, v28
	s_or_b64 s[42:43], s[0:1], s[42:43]
	s_andn2_b64 s[0:1], s[40:41], exec
	s_and_b64 s[40:41], vcc, exec
	s_or_b64 s[40:41], s[0:1], s[40:41]
	s_andn2_b64 exec, exec, s[42:43]
	s_cbranch_execnz .LBB465_34
; %bb.35:
	s_or_b64 exec, exec, s[42:43]
	v_mul_lo_u32 v19, v11, s26
	v_mul_lo_u32 v24, v10, s27
	v_mad_u64_u32 v[22:23], s[0:1], v10, s26, 0
	v_add3_u32 v23, v23, v24, v19
	v_lshl_add_u64 v[22:23], v[22:23], 2, s[28:29]
	s_mov_b64 s[44:45], 0
                                        ; implicit-def: $sgpr42_sgpr43
.LBB465_36:                             ; =>This Inner Loop Header: Depth=1
	global_load_dword v19, v[22:23], off
	global_load_dword v24, v[16:17], off
	s_add_u32 s0, s10, -1
	s_addc_u32 s1, s11, -1
	s_cmp_eq_u64 s[10:11], 0
	s_mov_b64 s[10:11], s[0:1]
	s_cselect_b64 s[46:47], -1, 0
	v_lshl_add_u64 v[22:23], v[22:23], 0, 4
	v_lshl_add_u64 v[16:17], v[16:17], 0, 4
	s_waitcnt vmcnt(0)
	v_cmp_ne_u32_e64 s[0:1], v19, v24
	s_or_b64 s[0:1], s[0:1], s[46:47]
	s_and_b64 s[0:1], exec, s[0:1]
	v_cmp_eq_u32_e32 vcc, v19, v24
	s_or_b64 s[44:45], s[0:1], s[44:45]
	s_andn2_b64 s[0:1], s[42:43], exec
	s_and_b64 s[42:43], vcc, exec
	s_or_b64 s[42:43], s[0:1], s[42:43]
	s_andn2_b64 exec, exec, s[44:45]
	s_cbranch_execnz .LBB465_36
; %bb.37:
	s_or_b64 exec, exec, s[44:45]
	s_xor_b64 s[0:1], s[12:13], -1
	v_cndmask_b32_e64 v40, 0, 1, s[0:1]
	s_xor_b64 s[0:1], s[38:39], -1
	v_cndmask_b32_e64 v16, 0, 1, s[0:1]
	v_lshlrev_b16_e32 v16, 8, v16
	s_xor_b64 s[0:1], s[6:7], -1
	v_lshrrev_b32_e32 v16, 8, v16
	v_mov_b32_e32 v22, 1
	s_xor_b64 s[6:7], s[40:41], -1
	v_cndmask_b32_e64 v19, 0, 1, s[0:1]
	s_xor_b64 s[0:1], s[14:15], -1
	v_and_b32_sdwa v16, v16, v22 dst_sel:BYTE_1 dst_unused:UNUSED_PAD src0_sel:DWORD src1_sel:DWORD
	v_cndmask_b32_e64 v22, 0, 1, s[6:7]
	v_cndmask_b32_e64 v17, 0, 1, s[0:1]
	s_xor_b64 s[0:1], s[42:43], -1
	v_or_b32_sdwa v24, v22, v16 dst_sel:WORD_1 dst_unused:UNUSED_PAD src0_sel:DWORD src1_sel:DWORD
	s_branch .LBB465_42
.LBB465_38:
                                        ; implicit-def: $sgpr0_sgpr1
                                        ; implicit-def: $vgpr19
                                        ; implicit-def: $vgpr40
                                        ; implicit-def: $vgpr17
                                        ; implicit-def: $vgpr22
	s_branch .LBB465_95
.LBB465_39:
                                        ; implicit-def: $vgpr42
                                        ; implicit-def: $vgpr41
                                        ; implicit-def: $vgpr20
	s_branch .LBB465_164
.LBB465_40:
                                        ; implicit-def: $sgpr0_sgpr1
                                        ; implicit-def: $vgpr19
                                        ; implicit-def: $vgpr40
                                        ; implicit-def: $vgpr17
                                        ; implicit-def: $vgpr22
	s_cbranch_execnz .LBB465_49
	s_branch .LBB465_94
.LBB465_41:
	v_mov_b32_e32 v24, 0
	v_mov_b32_e32 v19, 0
	;; [unrolled: 1-line block ×4, first 2 shown]
.LBB465_42:
	s_waitcnt vmcnt(0)
	v_mov_b64_e32 v[22:23], v[20:21]
	s_waitcnt lgkmcnt(0)
	s_barrier
	s_and_saveexec_b64 s[6:7], s[2:3]
; %bb.43:
	v_add_u32_e32 v16, -8, v27
	ds_read_b64 v[22:23], v16
; %bb.44:
	s_or_b64 exec, exec, s[6:7]
	v_cndmask_b32_e64 v25, 0, 1, s[0:1]
	v_lshrrev_b32_e32 v16, 16, v24
	s_mov_b32 s0, 0xc0c0304
	v_perm_b32 v16, v16, v24, s0
	v_lshlrev_b16_e32 v25, 8, v25
	s_movk_i32 s0, 0xff
	v_bitop3_b16 v24, v24, v25, s0 bitop3:0xec
	v_and_b32_e32 v28, 0xffff, v24
	s_mov_b64 s[6:7], 0
	s_and_b64 vcc, exec, s[4:5]
	s_mov_b64 s[0:1], 0
	s_cbranch_vccnz .LBB465_48
; %bb.45:
	s_waitcnt lgkmcnt(0)
	v_mul_lo_u32 v24, v23, s26
	v_mul_lo_u32 v25, v22, s27
	v_mad_u64_u32 v[22:23], s[0:1], v22, s26, 0
	v_add3_u32 v23, v23, v25, v24
	v_mul_lo_u32 v29, v11, s26
	v_mul_lo_u32 v30, v10, s27
	v_mad_u64_u32 v[24:25], s[0:1], v10, s26, 0
	v_add3_u32 v25, v25, v30, v29
	s_add_u32 s14, s26, -1
	v_lshl_add_u64 v[22:23], v[22:23], 2, s[28:29]
	v_lshl_add_u64 v[24:25], v[24:25], 2, s[28:29]
	s_addc_u32 s15, s27, -1
	s_mov_b64 s[10:11], 0
                                        ; implicit-def: $sgpr12_sgpr13
.LBB465_46:                             ; =>This Inner Loop Header: Depth=1
	global_load_dword v29, v[22:23], off
	global_load_dword v30, v[24:25], off
	s_add_u32 s0, s14, -1
	s_addc_u32 s1, s15, -1
	s_cmp_eq_u64 s[14:15], 0
	s_mov_b64 s[14:15], s[0:1]
	s_cselect_b64 s[38:39], -1, 0
	v_lshl_add_u64 v[22:23], v[22:23], 0, 4
	v_lshl_add_u64 v[24:25], v[24:25], 0, 4
	s_waitcnt vmcnt(0)
	v_cmp_ne_u32_e64 s[0:1], v29, v30
	s_or_b64 s[0:1], s[0:1], s[38:39]
	s_and_b64 s[0:1], exec, s[0:1]
	v_cmp_eq_u32_e32 vcc, v29, v30
	s_or_b64 s[10:11], s[0:1], s[10:11]
	s_andn2_b64 s[0:1], s[12:13], exec
	s_and_b64 s[12:13], vcc, exec
	s_or_b64 s[12:13], s[0:1], s[12:13]
	s_andn2_b64 exec, exec, s[10:11]
	s_cbranch_execnz .LBB465_46
; %bb.47:
	s_or_b64 exec, exec, s[10:11]
	s_xor_b64 s[0:1], s[12:13], -1
.LBB465_48:
	s_waitcnt lgkmcnt(0)
	v_lshl_or_b32 v22, v16, 16, v28
	s_and_b64 vcc, exec, s[6:7]
	s_cbranch_vccz .LBB465_94
.LBB465_49:
	v_add_u32_e32 v16, 6, v1
	v_cmp_gt_u32_e32 vcc, s50, v16
	s_mov_b64 s[10:11], 0
	s_mov_b64 s[6:7], 0
	s_and_saveexec_b64 s[12:13], vcc
	s_cbranch_execz .LBB465_55
; %bb.50:
	s_and_b64 vcc, exec, s[4:5]
	s_mov_b64 s[0:1], 0
	s_cbranch_vccnz .LBB465_54
; %bb.51:
	v_mul_lo_u32 v19, v5, s26
	v_mul_lo_u32 v22, v4, s27
	v_mad_u64_u32 v[16:17], s[0:1], v4, s26, 0
	v_add3_u32 v17, v17, v22, v19
	v_mul_lo_u32 v19, v15, s26
	v_mul_lo_u32 v24, v14, s27
	v_mad_u64_u32 v[22:23], s[0:1], v14, s26, 0
	v_add3_u32 v23, v23, v24, v19
	s_add_u32 s38, s26, -1
	v_lshl_add_u64 v[16:17], v[16:17], 2, s[28:29]
	v_lshl_add_u64 v[22:23], v[22:23], 2, s[28:29]
	s_addc_u32 s39, s27, -1
                                        ; implicit-def: $sgpr14_sgpr15
.LBB465_52:                             ; =>This Inner Loop Header: Depth=1
	global_load_dword v19, v[16:17], off
	global_load_dword v24, v[22:23], off
	s_add_u32 s0, s38, -1
	s_addc_u32 s1, s39, -1
	s_cmp_eq_u64 s[38:39], 0
	s_mov_b64 s[38:39], s[0:1]
	s_cselect_b64 s[40:41], -1, 0
	v_lshl_add_u64 v[16:17], v[16:17], 0, 4
	v_lshl_add_u64 v[22:23], v[22:23], 0, 4
	s_waitcnt vmcnt(0)
	v_cmp_ne_u32_e64 s[0:1], v19, v24
	s_or_b64 s[0:1], s[0:1], s[40:41]
	s_and_b64 s[0:1], exec, s[0:1]
	v_cmp_eq_u32_e32 vcc, v19, v24
	s_or_b64 s[6:7], s[0:1], s[6:7]
	s_andn2_b64 s[0:1], s[14:15], exec
	s_and_b64 s[14:15], vcc, exec
	s_or_b64 s[14:15], s[0:1], s[14:15]
	s_andn2_b64 exec, exec, s[6:7]
	s_cbranch_execnz .LBB465_52
; %bb.53:
	s_or_b64 exec, exec, s[6:7]
	s_xor_b64 s[0:1], s[14:15], -1
.LBB465_54:
	s_and_b64 s[6:7], s[0:1], exec
.LBB465_55:
	s_or_b64 exec, exec, s[12:13]
	v_add_u32_e32 v16, 5, v1
	v_cmp_gt_u32_e32 vcc, s50, v16
	s_and_saveexec_b64 s[12:13], vcc
	s_cbranch_execz .LBB465_61
; %bb.56:
	s_and_b64 vcc, exec, s[4:5]
	s_mov_b64 s[0:1], 0
	s_cbranch_vccnz .LBB465_60
; %bb.57:
	v_mul_lo_u32 v19, v3, s26
	v_mul_lo_u32 v22, v2, s27
	v_mad_u64_u32 v[16:17], s[0:1], v2, s26, 0
	v_add3_u32 v17, v17, v22, v19
	v_mul_lo_u32 v19, v5, s26
	v_mul_lo_u32 v24, v4, s27
	v_mad_u64_u32 v[22:23], s[0:1], v4, s26, 0
	v_add3_u32 v23, v23, v24, v19
	s_add_u32 s38, s26, -1
	v_lshl_add_u64 v[16:17], v[16:17], 2, s[28:29]
	v_lshl_add_u64 v[22:23], v[22:23], 2, s[28:29]
	s_addc_u32 s39, s27, -1
	s_mov_b64 s[10:11], 0
                                        ; implicit-def: $sgpr14_sgpr15
.LBB465_58:                             ; =>This Inner Loop Header: Depth=1
	global_load_dword v19, v[16:17], off
	global_load_dword v24, v[22:23], off
	s_add_u32 s0, s38, -1
	s_addc_u32 s1, s39, -1
	s_cmp_eq_u64 s[38:39], 0
	s_mov_b64 s[38:39], s[0:1]
	s_cselect_b64 s[40:41], -1, 0
	v_lshl_add_u64 v[16:17], v[16:17], 0, 4
	v_lshl_add_u64 v[22:23], v[22:23], 0, 4
	s_waitcnt vmcnt(0)
	v_cmp_ne_u32_e64 s[0:1], v19, v24
	s_or_b64 s[0:1], s[0:1], s[40:41]
	s_and_b64 s[0:1], exec, s[0:1]
	v_cmp_eq_u32_e32 vcc, v19, v24
	s_or_b64 s[10:11], s[0:1], s[10:11]
	s_andn2_b64 s[0:1], s[14:15], exec
	s_and_b64 s[14:15], vcc, exec
	s_or_b64 s[14:15], s[0:1], s[14:15]
	s_andn2_b64 exec, exec, s[10:11]
	s_cbranch_execnz .LBB465_58
; %bb.59:
	s_or_b64 exec, exec, s[10:11]
	s_xor_b64 s[0:1], s[14:15], -1
.LBB465_60:
	s_and_b64 s[10:11], s[0:1], exec
.LBB465_61:
	s_or_b64 exec, exec, s[12:13]
	v_add_u32_e32 v16, 4, v1
	v_cmp_gt_u32_e32 vcc, s50, v16
	s_mov_b64 s[14:15], 0
	s_mov_b64 s[12:13], 0
	s_and_saveexec_b64 s[38:39], vcc
	s_cbranch_execz .LBB465_67
; %bb.62:
	s_and_b64 vcc, exec, s[4:5]
	s_mov_b64 s[0:1], 0
	s_cbranch_vccnz .LBB465_66
; %bb.63:
	v_mul_lo_u32 v19, v9, s26
	v_mul_lo_u32 v22, v8, s27
	v_mad_u64_u32 v[16:17], s[0:1], v8, s26, 0
	v_add3_u32 v17, v17, v22, v19
	v_mul_lo_u32 v19, v3, s26
	v_mul_lo_u32 v24, v2, s27
	v_mad_u64_u32 v[22:23], s[0:1], v2, s26, 0
	v_add3_u32 v23, v23, v24, v19
	s_add_u32 s42, s26, -1
	v_lshl_add_u64 v[16:17], v[16:17], 2, s[28:29]
	v_lshl_add_u64 v[22:23], v[22:23], 2, s[28:29]
	s_addc_u32 s43, s27, -1
                                        ; implicit-def: $sgpr40_sgpr41
.LBB465_64:                             ; =>This Inner Loop Header: Depth=1
	global_load_dword v19, v[16:17], off
	global_load_dword v24, v[22:23], off
	s_add_u32 s0, s42, -1
	s_addc_u32 s1, s43, -1
	s_cmp_eq_u64 s[42:43], 0
	s_mov_b64 s[42:43], s[0:1]
	s_cselect_b64 s[44:45], -1, 0
	v_lshl_add_u64 v[16:17], v[16:17], 0, 4
	v_lshl_add_u64 v[22:23], v[22:23], 0, 4
	s_waitcnt vmcnt(0)
	v_cmp_ne_u32_e64 s[0:1], v19, v24
	s_or_b64 s[0:1], s[0:1], s[44:45]
	s_and_b64 s[0:1], exec, s[0:1]
	v_cmp_eq_u32_e32 vcc, v19, v24
	s_or_b64 s[12:13], s[0:1], s[12:13]
	s_andn2_b64 s[0:1], s[40:41], exec
	s_and_b64 s[40:41], vcc, exec
	s_or_b64 s[40:41], s[0:1], s[40:41]
	s_andn2_b64 exec, exec, s[12:13]
	s_cbranch_execnz .LBB465_64
; %bb.65:
	s_or_b64 exec, exec, s[12:13]
	s_xor_b64 s[0:1], s[40:41], -1
.LBB465_66:
	s_and_b64 s[12:13], s[0:1], exec
.LBB465_67:
	s_or_b64 exec, exec, s[38:39]
	v_add_u32_e32 v16, 3, v1
	v_cmp_gt_u32_e32 vcc, s50, v16
	s_and_saveexec_b64 s[38:39], vcc
	s_cbranch_execz .LBB465_73
; %bb.68:
	s_and_b64 vcc, exec, s[4:5]
	s_mov_b64 s[0:1], 0
	s_cbranch_vccnz .LBB465_72
; %bb.69:
	v_mul_lo_u32 v19, v7, s26
	v_mul_lo_u32 v22, v6, s27
	v_mad_u64_u32 v[16:17], s[0:1], v6, s26, 0
	v_add3_u32 v17, v17, v22, v19
	v_mul_lo_u32 v19, v9, s26
	v_mul_lo_u32 v24, v8, s27
	v_mad_u64_u32 v[22:23], s[0:1], v8, s26, 0
	v_add3_u32 v23, v23, v24, v19
	s_add_u32 s42, s26, -1
	v_lshl_add_u64 v[16:17], v[16:17], 2, s[28:29]
	v_lshl_add_u64 v[22:23], v[22:23], 2, s[28:29]
	s_addc_u32 s43, s27, -1
	s_mov_b64 s[14:15], 0
                                        ; implicit-def: $sgpr40_sgpr41
.LBB465_70:                             ; =>This Inner Loop Header: Depth=1
	global_load_dword v19, v[16:17], off
	global_load_dword v24, v[22:23], off
	s_add_u32 s0, s42, -1
	s_addc_u32 s1, s43, -1
	s_cmp_eq_u64 s[42:43], 0
	s_mov_b64 s[42:43], s[0:1]
	s_cselect_b64 s[44:45], -1, 0
	v_lshl_add_u64 v[16:17], v[16:17], 0, 4
	v_lshl_add_u64 v[22:23], v[22:23], 0, 4
	s_waitcnt vmcnt(0)
	v_cmp_ne_u32_e64 s[0:1], v19, v24
	s_or_b64 s[0:1], s[0:1], s[44:45]
	s_and_b64 s[0:1], exec, s[0:1]
	v_cmp_eq_u32_e32 vcc, v19, v24
	s_or_b64 s[14:15], s[0:1], s[14:15]
	s_andn2_b64 s[0:1], s[40:41], exec
	s_and_b64 s[40:41], vcc, exec
	s_or_b64 s[40:41], s[0:1], s[40:41]
	s_andn2_b64 exec, exec, s[14:15]
	s_cbranch_execnz .LBB465_70
; %bb.71:
	s_or_b64 exec, exec, s[14:15]
	s_xor_b64 s[0:1], s[40:41], -1
.LBB465_72:
	s_and_b64 s[14:15], s[0:1], exec
.LBB465_73:
	s_or_b64 exec, exec, s[38:39]
	v_add_u32_e32 v16, 2, v1
	v_cmp_gt_u32_e32 vcc, s50, v16
	s_mov_b64 s[38:39], 0
	s_mov_b64 s[40:41], 0
	s_and_saveexec_b64 s[42:43], vcc
	s_cbranch_execz .LBB465_79
; %bb.74:
	s_and_b64 vcc, exec, s[4:5]
	s_mov_b64 s[0:1], 0
	s_cbranch_vccnz .LBB465_78
; %bb.75:
	v_mul_lo_u32 v19, v13, s26
	v_mul_lo_u32 v22, v12, s27
	v_mad_u64_u32 v[16:17], s[0:1], v12, s26, 0
	v_add3_u32 v17, v17, v22, v19
	v_mul_lo_u32 v19, v7, s26
	v_mul_lo_u32 v24, v6, s27
	v_mad_u64_u32 v[22:23], s[0:1], v6, s26, 0
	v_add3_u32 v23, v23, v24, v19
	s_add_u32 s46, s26, -1
	v_lshl_add_u64 v[16:17], v[16:17], 2, s[28:29]
	v_lshl_add_u64 v[22:23], v[22:23], 2, s[28:29]
	s_addc_u32 s47, s27, -1
                                        ; implicit-def: $sgpr44_sgpr45
.LBB465_76:                             ; =>This Inner Loop Header: Depth=1
	global_load_dword v19, v[16:17], off
	global_load_dword v24, v[22:23], off
	s_add_u32 s0, s46, -1
	s_addc_u32 s1, s47, -1
	s_cmp_eq_u64 s[46:47], 0
	s_mov_b64 s[46:47], s[0:1]
	s_cselect_b64 s[48:49], -1, 0
	v_lshl_add_u64 v[16:17], v[16:17], 0, 4
	v_lshl_add_u64 v[22:23], v[22:23], 0, 4
	s_waitcnt vmcnt(0)
	v_cmp_ne_u32_e64 s[0:1], v19, v24
	s_or_b64 s[0:1], s[0:1], s[48:49]
	s_and_b64 s[0:1], exec, s[0:1]
	v_cmp_eq_u32_e32 vcc, v19, v24
	s_or_b64 s[40:41], s[0:1], s[40:41]
	s_andn2_b64 s[0:1], s[44:45], exec
	s_and_b64 s[44:45], vcc, exec
	s_or_b64 s[44:45], s[0:1], s[44:45]
	s_andn2_b64 exec, exec, s[40:41]
	s_cbranch_execnz .LBB465_76
; %bb.77:
	s_or_b64 exec, exec, s[40:41]
	s_xor_b64 s[0:1], s[44:45], -1
.LBB465_78:
	s_and_b64 s[40:41], s[0:1], exec
.LBB465_79:
	s_or_b64 exec, exec, s[42:43]
	v_add_u32_e32 v16, 1, v1
	v_cmp_gt_u32_e32 vcc, s50, v16
	s_and_saveexec_b64 s[42:43], vcc
	s_cbranch_execz .LBB465_85
; %bb.80:
	s_and_b64 vcc, exec, s[4:5]
	s_mov_b64 s[0:1], 0
	s_cbranch_vccnz .LBB465_84
; %bb.81:
	v_mul_lo_u32 v19, v11, s26
	v_mul_lo_u32 v22, v10, s27
	v_mad_u64_u32 v[16:17], s[0:1], v10, s26, 0
	v_add3_u32 v17, v17, v22, v19
	v_mul_lo_u32 v19, v13, s26
	v_mul_lo_u32 v24, v12, s27
	v_mad_u64_u32 v[22:23], s[0:1], v12, s26, 0
	v_add3_u32 v23, v23, v24, v19
	s_add_u32 s46, s26, -1
	v_lshl_add_u64 v[16:17], v[16:17], 2, s[28:29]
	v_lshl_add_u64 v[22:23], v[22:23], 2, s[28:29]
	s_addc_u32 s47, s27, -1
	s_mov_b64 s[38:39], 0
                                        ; implicit-def: $sgpr44_sgpr45
.LBB465_82:                             ; =>This Inner Loop Header: Depth=1
	global_load_dword v19, v[16:17], off
	global_load_dword v24, v[22:23], off
	s_add_u32 s0, s46, -1
	s_addc_u32 s1, s47, -1
	s_cmp_eq_u64 s[46:47], 0
	s_mov_b64 s[46:47], s[0:1]
	s_cselect_b64 s[48:49], -1, 0
	v_lshl_add_u64 v[16:17], v[16:17], 0, 4
	v_lshl_add_u64 v[22:23], v[22:23], 0, 4
	s_waitcnt vmcnt(0)
	v_cmp_ne_u32_e64 s[0:1], v19, v24
	s_or_b64 s[0:1], s[0:1], s[48:49]
	s_and_b64 s[0:1], exec, s[0:1]
	v_cmp_eq_u32_e32 vcc, v19, v24
	s_or_b64 s[38:39], s[0:1], s[38:39]
	s_andn2_b64 s[0:1], s[44:45], exec
	s_and_b64 s[44:45], vcc, exec
	s_or_b64 s[44:45], s[0:1], s[44:45]
	s_andn2_b64 exec, exec, s[38:39]
	s_cbranch_execnz .LBB465_82
; %bb.83:
	s_or_b64 exec, exec, s[38:39]
	s_xor_b64 s[0:1], s[44:45], -1
.LBB465_84:
	s_and_b64 s[38:39], s[0:1], exec
.LBB465_85:
	s_or_b64 exec, exec, s[42:43]
	s_waitcnt lgkmcnt(0)
	s_barrier
	s_and_saveexec_b64 s[0:1], s[2:3]
	s_cbranch_execz .LBB465_87
; %bb.86:
	v_add_u32_e32 v16, -8, v27
	s_waitcnt vmcnt(0)
	ds_read_b64 v[20:21], v16
.LBB465_87:
	s_or_b64 exec, exec, s[0:1]
	v_cndmask_b32_e64 v17, 0, 1, s[14:15]
	v_cndmask_b32_e64 v16, 0, 1, s[40:41]
	;; [unrolled: 1-line block ×3, first 2 shown]
	v_lshlrev_b16_e32 v17, 8, v17
	v_cmp_gt_u32_e32 vcc, s50, v1
	v_lshlrev_b16_e32 v22, 8, v19
	v_or_b32_sdwa v23, v16, v17 dst_sel:WORD_1 dst_unused:UNUSED_PAD src0_sel:DWORD src1_sel:DWORD
	s_mov_b64 s[0:1], 0
	s_and_saveexec_b64 s[14:15], vcc
	s_cbranch_execz .LBB465_93
; %bb.88:
	s_and_b64 vcc, exec, s[4:5]
	s_cbranch_vccnz .LBB465_92
; %bb.89:
	s_waitcnt vmcnt(0) lgkmcnt(0)
	v_mul_lo_u32 v19, v21, s26
	v_mul_lo_u32 v21, v20, s27
	v_mad_u64_u32 v[16:17], s[0:1], v20, s26, 0
	v_add3_u32 v17, v17, v21, v19
	v_mul_lo_u32 v19, v11, s26
	v_mul_lo_u32 v24, v10, s27
	v_mad_u64_u32 v[20:21], s[0:1], v10, s26, 0
	v_add3_u32 v21, v21, v24, v19
	s_add_u32 s40, s26, -1
	v_lshl_add_u64 v[16:17], v[16:17], 2, s[28:29]
	v_lshl_add_u64 v[20:21], v[20:21], 2, s[28:29]
	s_addc_u32 s41, s27, -1
	s_mov_b64 s[4:5], 0
                                        ; implicit-def: $sgpr38_sgpr39
.LBB465_90:                             ; =>This Inner Loop Header: Depth=1
	global_load_dword v19, v[16:17], off
	global_load_dword v24, v[20:21], off
	s_add_u32 s0, s40, -1
	s_addc_u32 s1, s41, -1
	s_cmp_eq_u64 s[40:41], 0
	s_mov_b64 s[40:41], s[0:1]
	s_cselect_b64 s[42:43], -1, 0
	v_lshl_add_u64 v[16:17], v[16:17], 0, 4
	v_lshl_add_u64 v[20:21], v[20:21], 0, 4
	s_waitcnt vmcnt(0)
	v_cmp_ne_u32_e64 s[0:1], v19, v24
	s_or_b64 s[0:1], s[0:1], s[42:43]
	s_and_b64 s[0:1], exec, s[0:1]
	v_cmp_eq_u32_e32 vcc, v19, v24
	s_or_b64 s[4:5], s[0:1], s[4:5]
	s_andn2_b64 s[0:1], s[38:39], exec
	s_and_b64 s[38:39], vcc, exec
	s_or_b64 s[38:39], s[0:1], s[38:39]
	s_andn2_b64 exec, exec, s[4:5]
	s_cbranch_execnz .LBB465_90
; %bb.91:
	s_or_b64 exec, exec, s[4:5]
	s_xor_b64 s[0:1], s[38:39], -1
.LBB465_92:
	s_and_b64 s[0:1], s[0:1], exec
.LBB465_93:
	s_or_b64 exec, exec, s[14:15]
	v_cndmask_b32_e64 v17, 0, 1, s[12:13]
	v_cndmask_b32_e64 v40, 0, 1, s[10:11]
	;; [unrolled: 1-line block ×3, first 2 shown]
	v_or_b32_e32 v22, v22, v23
.LBB465_94:
	s_mov_b64 s[10:11], -1
	s_cbranch_execnz .LBB465_39
.LBB465_95:
	s_movk_i32 s0, 0xffd0
	v_mad_i32_i24 v26, v0, s0, v26
	s_mov_b64 s[0:1], 0
	v_cmp_gt_i64_e64 s[6:7], s[26:27], 0
	s_and_b64 vcc, exec, s[36:37]
	ds_write_b64 v26, v[14:15]
	s_cbranch_vccz .LBB465_110
; %bb.96:
	v_cndmask_b32_e64 v16, 0, 1, s[6:7]
	v_cmp_ne_u32_e64 s[4:5], 1, v16
	s_andn2_b64 vcc, exec, s[6:7]
	s_cbranch_vccnz .LBB465_111
; %bb.97:
	v_mul_lo_u32 v19, v5, s26
	s_waitcnt vmcnt(0) lgkmcnt(1)
	v_mul_lo_u32 v20, v4, s27
	v_mad_u64_u32 v[16:17], s[0:1], v4, s26, 0
	v_add3_u32 v17, v17, v20, v19
	v_mul_lo_u32 v19, v15, s26
	v_mul_lo_u32 v22, v14, s27
	v_mad_u64_u32 v[20:21], s[0:1], v14, s26, 0
	s_add_u32 s14, s26, -1
	v_lshl_add_u64 v[16:17], v[16:17], 2, s[28:29]
	v_add3_u32 v21, v21, v22, v19
	s_addc_u32 s15, s27, -1
	v_lshl_add_u64 v[20:21], v[20:21], 2, s[28:29]
	s_mov_b64 s[38:39], 0
	s_mov_b64 s[40:41], s[14:15]
	v_mov_b64_e32 v[22:23], v[16:17]
                                        ; implicit-def: $sgpr12_sgpr13
.LBB465_98:                             ; =>This Inner Loop Header: Depth=1
	global_load_dword v19, v[22:23], off
	global_load_dword v24, v[20:21], off
	s_add_u32 s0, s40, -1
	s_addc_u32 s1, s41, -1
	s_cmp_eq_u64 s[40:41], 0
	s_mov_b64 s[40:41], s[0:1]
	s_cselect_b64 s[42:43], -1, 0
	v_lshl_add_u64 v[22:23], v[22:23], 0, 4
	v_lshl_add_u64 v[20:21], v[20:21], 0, 4
	s_waitcnt vmcnt(0)
	v_cmp_ne_u32_e64 s[0:1], v19, v24
	s_or_b64 s[0:1], s[0:1], s[42:43]
	s_and_b64 s[0:1], exec, s[0:1]
	v_cmp_eq_u32_e32 vcc, v19, v24
	s_or_b64 s[38:39], s[0:1], s[38:39]
	s_andn2_b64 s[0:1], s[12:13], exec
	s_and_b64 s[12:13], vcc, exec
	s_or_b64 s[12:13], s[0:1], s[12:13]
	s_andn2_b64 exec, exec, s[38:39]
	s_cbranch_execnz .LBB465_98
; %bb.99:
	s_or_b64 exec, exec, s[38:39]
	v_mul_lo_u32 v19, v3, s26
	v_mul_lo_u32 v22, v2, s27
	v_mad_u64_u32 v[20:21], s[0:1], v2, s26, 0
	v_add3_u32 v21, v21, v22, v19
	v_lshl_add_u64 v[20:21], v[20:21], 2, s[28:29]
	s_mov_b64 s[40:41], 0
	s_mov_b64 s[42:43], s[14:15]
	v_mov_b64_e32 v[22:23], v[20:21]
                                        ; implicit-def: $sgpr38_sgpr39
.LBB465_100:                            ; =>This Inner Loop Header: Depth=1
	global_load_dword v19, v[22:23], off
	global_load_dword v24, v[16:17], off
	s_add_u32 s0, s42, -1
	s_addc_u32 s1, s43, -1
	s_cmp_eq_u64 s[42:43], 0
	s_mov_b64 s[42:43], s[0:1]
	s_cselect_b64 s[44:45], -1, 0
	v_lshl_add_u64 v[22:23], v[22:23], 0, 4
	v_lshl_add_u64 v[16:17], v[16:17], 0, 4
	s_waitcnt vmcnt(0)
	v_cmp_ne_u32_e64 s[0:1], v19, v24
	s_or_b64 s[0:1], s[0:1], s[44:45]
	s_and_b64 s[0:1], exec, s[0:1]
	v_cmp_eq_u32_e32 vcc, v19, v24
	s_or_b64 s[40:41], s[0:1], s[40:41]
	s_andn2_b64 s[0:1], s[38:39], exec
	s_and_b64 s[38:39], vcc, exec
	s_or_b64 s[38:39], s[0:1], s[38:39]
	s_andn2_b64 exec, exec, s[40:41]
	s_cbranch_execnz .LBB465_100
; %bb.101:
	s_or_b64 exec, exec, s[40:41]
	v_mul_lo_u32 v19, v9, s26
	v_mul_lo_u32 v22, v8, s27
	v_mad_u64_u32 v[16:17], s[0:1], v8, s26, 0
	v_add3_u32 v17, v17, v22, v19
	v_lshl_add_u64 v[16:17], v[16:17], 2, s[28:29]
	s_mov_b64 s[42:43], 0
	s_mov_b64 s[44:45], s[14:15]
	v_mov_b64_e32 v[22:23], v[16:17]
                                        ; implicit-def: $sgpr40_sgpr41
.LBB465_102:                            ; =>This Inner Loop Header: Depth=1
	global_load_dword v19, v[22:23], off
	global_load_dword v24, v[20:21], off
	s_add_u32 s0, s44, -1
	s_addc_u32 s1, s45, -1
	s_cmp_eq_u64 s[44:45], 0
	s_mov_b64 s[44:45], s[0:1]
	s_cselect_b64 s[46:47], -1, 0
	v_lshl_add_u64 v[22:23], v[22:23], 0, 4
	v_lshl_add_u64 v[20:21], v[20:21], 0, 4
	s_waitcnt vmcnt(0)
	v_cmp_ne_u32_e64 s[0:1], v19, v24
	s_or_b64 s[0:1], s[0:1], s[46:47]
	s_and_b64 s[0:1], exec, s[0:1]
	v_cmp_eq_u32_e32 vcc, v19, v24
	s_or_b64 s[42:43], s[0:1], s[42:43]
	s_andn2_b64 s[0:1], s[40:41], exec
	s_and_b64 s[40:41], vcc, exec
	s_or_b64 s[40:41], s[0:1], s[40:41]
	s_andn2_b64 exec, exec, s[42:43]
	s_cbranch_execnz .LBB465_102
; %bb.103:
	s_or_b64 exec, exec, s[42:43]
	v_mul_lo_u32 v19, v7, s26
	v_mul_lo_u32 v22, v6, s27
	v_mad_u64_u32 v[20:21], s[0:1], v6, s26, 0
	v_add3_u32 v21, v21, v22, v19
	v_lshl_add_u64 v[20:21], v[20:21], 2, s[28:29]
	s_mov_b64 s[44:45], 0
	s_mov_b64 s[46:47], s[14:15]
	v_mov_b64_e32 v[22:23], v[20:21]
                                        ; implicit-def: $sgpr42_sgpr43
.LBB465_104:                            ; =>This Inner Loop Header: Depth=1
	global_load_dword v19, v[22:23], off
	global_load_dword v24, v[16:17], off
	s_add_u32 s0, s46, -1
	s_addc_u32 s1, s47, -1
	s_cmp_eq_u64 s[46:47], 0
	s_mov_b64 s[46:47], s[0:1]
	s_cselect_b64 s[48:49], -1, 0
	v_lshl_add_u64 v[22:23], v[22:23], 0, 4
	v_lshl_add_u64 v[16:17], v[16:17], 0, 4
	s_waitcnt vmcnt(0)
	v_cmp_ne_u32_e64 s[0:1], v19, v24
	s_or_b64 s[0:1], s[0:1], s[48:49]
	s_and_b64 s[0:1], exec, s[0:1]
	v_cmp_eq_u32_e32 vcc, v19, v24
	s_or_b64 s[44:45], s[0:1], s[44:45]
	s_andn2_b64 s[0:1], s[42:43], exec
	s_and_b64 s[42:43], vcc, exec
	s_or_b64 s[42:43], s[0:1], s[42:43]
	s_andn2_b64 exec, exec, s[44:45]
	s_cbranch_execnz .LBB465_104
; %bb.105:
	s_or_b64 exec, exec, s[44:45]
	v_mul_lo_u32 v19, v13, s26
	v_mul_lo_u32 v22, v12, s27
	v_mad_u64_u32 v[16:17], s[0:1], v12, s26, 0
	v_add3_u32 v17, v17, v22, v19
	v_lshl_add_u64 v[16:17], v[16:17], 2, s[28:29]
	s_mov_b64 s[46:47], 0
	s_mov_b64 s[48:49], s[14:15]
	v_mov_b64_e32 v[22:23], v[16:17]
                                        ; implicit-def: $sgpr44_sgpr45
.LBB465_106:                            ; =>This Inner Loop Header: Depth=1
	global_load_dword v19, v[22:23], off
	global_load_dword v24, v[20:21], off
	s_add_u32 s0, s48, -1
	s_addc_u32 s1, s49, -1
	s_cmp_eq_u64 s[48:49], 0
	s_mov_b64 s[48:49], s[0:1]
	s_cselect_b64 s[52:53], -1, 0
	v_lshl_add_u64 v[22:23], v[22:23], 0, 4
	v_lshl_add_u64 v[20:21], v[20:21], 0, 4
	s_waitcnt vmcnt(0)
	v_cmp_ne_u32_e64 s[0:1], v19, v24
	s_or_b64 s[0:1], s[0:1], s[52:53]
	s_and_b64 s[0:1], exec, s[0:1]
	v_cmp_eq_u32_e32 vcc, v19, v24
	s_or_b64 s[46:47], s[0:1], s[46:47]
	s_andn2_b64 s[0:1], s[44:45], exec
	s_and_b64 s[44:45], vcc, exec
	s_or_b64 s[44:45], s[0:1], s[44:45]
	s_andn2_b64 exec, exec, s[46:47]
	s_cbranch_execnz .LBB465_106
; %bb.107:
	s_or_b64 exec, exec, s[46:47]
	v_mul_lo_u32 v19, v11, s26
	v_mul_lo_u32 v22, v10, s27
	v_mad_u64_u32 v[20:21], s[0:1], v10, s26, 0
	v_add3_u32 v21, v21, v22, v19
	v_lshl_add_u64 v[20:21], v[20:21], 2, s[28:29]
	s_mov_b64 s[48:49], 0
                                        ; implicit-def: $sgpr46_sgpr47
.LBB465_108:                            ; =>This Inner Loop Header: Depth=1
	global_load_dword v19, v[20:21], off
	global_load_dword v22, v[16:17], off
	s_add_u32 s0, s14, -1
	s_addc_u32 s1, s15, -1
	s_cmp_eq_u64 s[14:15], 0
	s_mov_b64 s[14:15], s[0:1]
	s_cselect_b64 s[52:53], -1, 0
	v_lshl_add_u64 v[20:21], v[20:21], 0, 4
	v_lshl_add_u64 v[16:17], v[16:17], 0, 4
	s_waitcnt vmcnt(0)
	v_cmp_ne_u32_e64 s[0:1], v19, v22
	s_or_b64 s[0:1], s[0:1], s[52:53]
	s_and_b64 s[0:1], exec, s[0:1]
	v_cmp_eq_u32_e32 vcc, v19, v22
	s_or_b64 s[48:49], s[0:1], s[48:49]
	s_andn2_b64 s[0:1], s[46:47], exec
	s_and_b64 s[46:47], vcc, exec
	s_or_b64 s[46:47], s[0:1], s[46:47]
	s_andn2_b64 exec, exec, s[48:49]
	s_cbranch_execnz .LBB465_108
; %bb.109:
	s_or_b64 exec, exec, s[48:49]
	s_xor_b64 s[0:1], s[38:39], -1
	v_cndmask_b32_e64 v40, 0, 1, s[0:1]
	s_xor_b64 s[0:1], s[42:43], -1
	v_cndmask_b32_e64 v16, 0, 1, s[0:1]
	v_lshlrev_b16_e32 v16, 8, v16
	s_xor_b64 s[0:1], s[12:13], -1
	v_lshrrev_b32_e32 v16, 8, v16
	v_mov_b32_e32 v20, 1
	s_xor_b64 s[12:13], s[44:45], -1
	v_cndmask_b32_e64 v19, 0, 1, s[0:1]
	s_xor_b64 s[0:1], s[40:41], -1
	v_and_b32_sdwa v16, v16, v20 dst_sel:BYTE_1 dst_unused:UNUSED_PAD src0_sel:DWORD src1_sel:DWORD
	v_cndmask_b32_e64 v20, 0, 1, s[12:13]
	v_cndmask_b32_e64 v17, 0, 1, s[0:1]
	s_xor_b64 s[0:1], s[46:47], -1
	v_or_b32_sdwa v16, v20, v16 dst_sel:WORD_1 dst_unused:UNUSED_PAD src0_sel:DWORD src1_sel:DWORD
	s_branch .LBB465_112
.LBB465_110:
                                        ; implicit-def: $sgpr0_sgpr1
                                        ; implicit-def: $vgpr19
                                        ; implicit-def: $vgpr40
                                        ; implicit-def: $vgpr17
                                        ; implicit-def: $vgpr22
                                        ; implicit-def: $vgpr42
                                        ; implicit-def: $vgpr41
                                        ; implicit-def: $vgpr20
	s_cbranch_execnz .LBB465_119
	s_branch .LBB465_164
.LBB465_111:
	v_mov_b32_e32 v16, 0
	v_mov_b32_e32 v19, 0
	;; [unrolled: 1-line block ×4, first 2 shown]
.LBB465_112:
	v_lshrrev_b32_e32 v41, 16, v16
	s_waitcnt vmcnt(0) lgkmcnt(1)
	v_lshrrev_b32_e32 v20, 24, v16
	v_cndmask_b32_e64 v42, 0, 1, s[0:1]
	v_mov_b32_e32 v16, 1
	s_waitcnt lgkmcnt(0)
	s_barrier
                                        ; implicit-def: $sgpr0_sgpr1
                                        ; implicit-def: $vgpr22
	s_and_saveexec_b64 s[12:13], s[2:3]
	s_xor_b64 s[12:13], exec, s[12:13]
	s_cbranch_execz .LBB465_118
; %bb.113:
	v_lshlrev_b16_e32 v21, 8, v20
	s_movk_i32 s0, 0xff
	v_bitop3_b16 v21, v41, v21, s0 bitop3:0xec
	v_lshlrev_b16_e32 v22, 8, v42
	v_lshlrev_b32_e32 v21, 16, v21
	v_or_b32_e32 v22, 1, v22
	v_or_b32_sdwa v21, v22, v21 dst_sel:DWORD dst_unused:UNUSED_PAD src0_sel:WORD_0 src1_sel:DWORD
	s_mov_b32 s40, 0x3020104
	s_and_b64 vcc, exec, s[4:5]
	s_mov_b64 s[0:1], 0
	s_cbranch_vccnz .LBB465_117
; %bb.114:
	v_add_u32_e32 v22, -8, v26
	ds_read_b64 v[22:23], v22
	v_mul_lo_u32 v27, v11, s26
	v_mul_lo_u32 v28, v10, s27
	s_add_u32 s38, s26, -1
	s_addc_u32 s39, s27, -1
	s_waitcnt lgkmcnt(0)
	v_mul_lo_u32 v24, v23, s26
	v_mul_lo_u32 v25, v22, s27
	v_mad_u64_u32 v[22:23], s[0:1], v22, s26, 0
	v_add3_u32 v23, v23, v25, v24
	v_mad_u64_u32 v[24:25], s[0:1], v10, s26, 0
	v_add3_u32 v25, v25, v28, v27
	v_lshl_add_u64 v[22:23], v[22:23], 2, s[28:29]
	v_lshl_add_u64 v[24:25], v[24:25], 2, s[28:29]
	s_mov_b64 s[4:5], 0
                                        ; implicit-def: $sgpr14_sgpr15
.LBB465_115:                            ; =>This Inner Loop Header: Depth=1
	global_load_dword v27, v[22:23], off
	global_load_dword v28, v[24:25], off
	s_add_u32 s0, s38, -1
	s_addc_u32 s1, s39, -1
	s_cmp_eq_u64 s[38:39], 0
	s_mov_b64 s[38:39], s[0:1]
	s_cselect_b64 s[42:43], -1, 0
	v_lshl_add_u64 v[22:23], v[22:23], 0, 4
	v_lshl_add_u64 v[24:25], v[24:25], 0, 4
	s_waitcnt vmcnt(0)
	v_cmp_ne_u32_e64 s[0:1], v27, v28
	s_or_b64 s[0:1], s[0:1], s[42:43]
	s_and_b64 s[0:1], exec, s[0:1]
	v_cmp_eq_u32_e32 vcc, v27, v28
	s_or_b64 s[4:5], s[0:1], s[4:5]
	s_andn2_b64 s[0:1], s[14:15], exec
	s_and_b64 s[14:15], vcc, exec
	s_or_b64 s[14:15], s[0:1], s[14:15]
	s_andn2_b64 exec, exec, s[4:5]
	s_cbranch_execnz .LBB465_115
; %bb.116:
	s_or_b64 exec, exec, s[4:5]
	s_xor_b64 s[0:1], s[14:15], -1
.LBB465_117:
	v_perm_b32 v22, v21, v21, s40
	s_or_b64 s[10:11], s[10:11], exec
.LBB465_118:
	s_or_b64 exec, exec, s[12:13]
	s_branch .LBB465_164
.LBB465_119:
	v_add_u32_e32 v16, 6, v1
	v_cmp_gt_u32_e32 vcc, s50, v16
	s_mov_b64 s[12:13], 0
	s_mov_b64 s[4:5], 0
	s_and_saveexec_b64 s[14:15], vcc
	s_cbranch_execz .LBB465_125
; %bb.120:
	s_andn2_b64 vcc, exec, s[6:7]
	s_mov_b64 s[0:1], 0
	s_cbranch_vccnz .LBB465_124
; %bb.121:
	v_mul_lo_u32 v19, v5, s26
	s_waitcnt vmcnt(0) lgkmcnt(1)
	v_mul_lo_u32 v20, v4, s27
	v_mad_u64_u32 v[16:17], s[0:1], v4, s26, 0
	v_add3_u32 v17, v17, v20, v19
	v_mul_lo_u32 v19, v15, s26
	v_mul_lo_u32 v22, v14, s27
	v_mad_u64_u32 v[20:21], s[0:1], v14, s26, 0
	v_add3_u32 v21, v21, v22, v19
	s_add_u32 s40, s26, -1
	v_lshl_add_u64 v[16:17], v[16:17], 2, s[28:29]
	v_lshl_add_u64 v[20:21], v[20:21], 2, s[28:29]
	s_addc_u32 s41, s27, -1
                                        ; implicit-def: $sgpr38_sgpr39
.LBB465_122:                            ; =>This Inner Loop Header: Depth=1
	global_load_dword v19, v[16:17], off
	global_load_dword v22, v[20:21], off
	s_add_u32 s0, s40, -1
	s_addc_u32 s1, s41, -1
	s_cmp_eq_u64 s[40:41], 0
	s_mov_b64 s[40:41], s[0:1]
	s_cselect_b64 s[42:43], -1, 0
	v_lshl_add_u64 v[16:17], v[16:17], 0, 4
	v_lshl_add_u64 v[20:21], v[20:21], 0, 4
	s_waitcnt vmcnt(0)
	v_cmp_ne_u32_e64 s[0:1], v19, v22
	s_or_b64 s[0:1], s[0:1], s[42:43]
	s_and_b64 s[0:1], exec, s[0:1]
	v_cmp_eq_u32_e32 vcc, v19, v22
	s_or_b64 s[4:5], s[0:1], s[4:5]
	s_andn2_b64 s[0:1], s[38:39], exec
	s_and_b64 s[38:39], vcc, exec
	s_or_b64 s[38:39], s[0:1], s[38:39]
	s_andn2_b64 exec, exec, s[4:5]
	s_cbranch_execnz .LBB465_122
; %bb.123:
	s_or_b64 exec, exec, s[4:5]
	s_xor_b64 s[0:1], s[38:39], -1
.LBB465_124:
	s_and_b64 s[4:5], s[0:1], exec
.LBB465_125:
	s_or_b64 exec, exec, s[14:15]
	v_add_u32_e32 v16, 5, v1
	v_cmp_gt_u32_e32 vcc, s50, v16
	s_and_saveexec_b64 s[14:15], vcc
	s_cbranch_execz .LBB465_131
; %bb.126:
	s_andn2_b64 vcc, exec, s[6:7]
	s_mov_b64 s[0:1], 0
	s_cbranch_vccnz .LBB465_130
; %bb.127:
	v_mul_lo_u32 v19, v3, s26
	s_waitcnt vmcnt(0) lgkmcnt(1)
	v_mul_lo_u32 v20, v2, s27
	v_mad_u64_u32 v[16:17], s[0:1], v2, s26, 0
	v_add3_u32 v17, v17, v20, v19
	v_mul_lo_u32 v19, v5, s26
	v_mul_lo_u32 v22, v4, s27
	v_mad_u64_u32 v[20:21], s[0:1], v4, s26, 0
	v_add3_u32 v21, v21, v22, v19
	s_add_u32 s40, s26, -1
	v_lshl_add_u64 v[16:17], v[16:17], 2, s[28:29]
	v_lshl_add_u64 v[20:21], v[20:21], 2, s[28:29]
	s_addc_u32 s41, s27, -1
	s_mov_b64 s[12:13], 0
                                        ; implicit-def: $sgpr38_sgpr39
.LBB465_128:                            ; =>This Inner Loop Header: Depth=1
	global_load_dword v19, v[16:17], off
	global_load_dword v22, v[20:21], off
	s_add_u32 s0, s40, -1
	s_addc_u32 s1, s41, -1
	s_cmp_eq_u64 s[40:41], 0
	s_mov_b64 s[40:41], s[0:1]
	s_cselect_b64 s[42:43], -1, 0
	v_lshl_add_u64 v[16:17], v[16:17], 0, 4
	v_lshl_add_u64 v[20:21], v[20:21], 0, 4
	s_waitcnt vmcnt(0)
	v_cmp_ne_u32_e64 s[0:1], v19, v22
	s_or_b64 s[0:1], s[0:1], s[42:43]
	s_and_b64 s[0:1], exec, s[0:1]
	v_cmp_eq_u32_e32 vcc, v19, v22
	s_or_b64 s[12:13], s[0:1], s[12:13]
	s_andn2_b64 s[0:1], s[38:39], exec
	s_and_b64 s[38:39], vcc, exec
	s_or_b64 s[38:39], s[0:1], s[38:39]
	s_andn2_b64 exec, exec, s[12:13]
	s_cbranch_execnz .LBB465_128
; %bb.129:
	s_or_b64 exec, exec, s[12:13]
	s_xor_b64 s[0:1], s[38:39], -1
.LBB465_130:
	s_and_b64 s[12:13], s[0:1], exec
.LBB465_131:
	s_or_b64 exec, exec, s[14:15]
	v_add_u32_e32 v16, 4, v1
	v_cmp_gt_u32_e32 vcc, s50, v16
	s_mov_b64 s[14:15], 0
	s_mov_b64 s[38:39], 0
	s_and_saveexec_b64 s[40:41], vcc
	s_cbranch_execz .LBB465_137
; %bb.132:
	s_andn2_b64 vcc, exec, s[6:7]
	s_mov_b64 s[0:1], 0
	s_cbranch_vccnz .LBB465_136
; %bb.133:
	v_mul_lo_u32 v19, v9, s26
	s_waitcnt vmcnt(0) lgkmcnt(1)
	v_mul_lo_u32 v20, v8, s27
	v_mad_u64_u32 v[16:17], s[0:1], v8, s26, 0
	v_add3_u32 v17, v17, v20, v19
	v_mul_lo_u32 v19, v3, s26
	v_mul_lo_u32 v22, v2, s27
	v_mad_u64_u32 v[20:21], s[0:1], v2, s26, 0
	v_add3_u32 v21, v21, v22, v19
	s_add_u32 s44, s26, -1
	v_lshl_add_u64 v[16:17], v[16:17], 2, s[28:29]
	v_lshl_add_u64 v[20:21], v[20:21], 2, s[28:29]
	s_addc_u32 s45, s27, -1
                                        ; implicit-def: $sgpr42_sgpr43
.LBB465_134:                            ; =>This Inner Loop Header: Depth=1
	global_load_dword v19, v[16:17], off
	global_load_dword v22, v[20:21], off
	s_add_u32 s0, s44, -1
	s_addc_u32 s1, s45, -1
	s_cmp_eq_u64 s[44:45], 0
	s_mov_b64 s[44:45], s[0:1]
	s_cselect_b64 s[46:47], -1, 0
	v_lshl_add_u64 v[16:17], v[16:17], 0, 4
	v_lshl_add_u64 v[20:21], v[20:21], 0, 4
	s_waitcnt vmcnt(0)
	v_cmp_ne_u32_e64 s[0:1], v19, v22
	s_or_b64 s[0:1], s[0:1], s[46:47]
	s_and_b64 s[0:1], exec, s[0:1]
	v_cmp_eq_u32_e32 vcc, v19, v22
	s_or_b64 s[38:39], s[0:1], s[38:39]
	s_andn2_b64 s[0:1], s[42:43], exec
	s_and_b64 s[42:43], vcc, exec
	s_or_b64 s[42:43], s[0:1], s[42:43]
	s_andn2_b64 exec, exec, s[38:39]
	s_cbranch_execnz .LBB465_134
; %bb.135:
	s_or_b64 exec, exec, s[38:39]
	s_xor_b64 s[0:1], s[42:43], -1
.LBB465_136:
	s_and_b64 s[38:39], s[0:1], exec
.LBB465_137:
	s_or_b64 exec, exec, s[40:41]
	v_add_u32_e32 v16, 3, v1
	v_cmp_gt_u32_e32 vcc, s50, v16
	s_and_saveexec_b64 s[40:41], vcc
	s_cbranch_execz .LBB465_143
; %bb.138:
	s_andn2_b64 vcc, exec, s[6:7]
	s_mov_b64 s[0:1], 0
	s_cbranch_vccnz .LBB465_142
; %bb.139:
	v_mul_lo_u32 v19, v7, s26
	s_waitcnt vmcnt(0) lgkmcnt(1)
	v_mul_lo_u32 v20, v6, s27
	v_mad_u64_u32 v[16:17], s[0:1], v6, s26, 0
	v_add3_u32 v17, v17, v20, v19
	v_mul_lo_u32 v19, v9, s26
	v_mul_lo_u32 v22, v8, s27
	v_mad_u64_u32 v[20:21], s[0:1], v8, s26, 0
	v_add3_u32 v21, v21, v22, v19
	s_add_u32 s44, s26, -1
	v_lshl_add_u64 v[16:17], v[16:17], 2, s[28:29]
	v_lshl_add_u64 v[20:21], v[20:21], 2, s[28:29]
	s_addc_u32 s45, s27, -1
	s_mov_b64 s[14:15], 0
                                        ; implicit-def: $sgpr42_sgpr43
.LBB465_140:                            ; =>This Inner Loop Header: Depth=1
	global_load_dword v19, v[16:17], off
	global_load_dword v22, v[20:21], off
	s_add_u32 s0, s44, -1
	s_addc_u32 s1, s45, -1
	s_cmp_eq_u64 s[44:45], 0
	s_mov_b64 s[44:45], s[0:1]
	s_cselect_b64 s[46:47], -1, 0
	v_lshl_add_u64 v[16:17], v[16:17], 0, 4
	v_lshl_add_u64 v[20:21], v[20:21], 0, 4
	s_waitcnt vmcnt(0)
	v_cmp_ne_u32_e64 s[0:1], v19, v22
	s_or_b64 s[0:1], s[0:1], s[46:47]
	s_and_b64 s[0:1], exec, s[0:1]
	v_cmp_eq_u32_e32 vcc, v19, v22
	s_or_b64 s[14:15], s[0:1], s[14:15]
	s_andn2_b64 s[0:1], s[42:43], exec
	s_and_b64 s[42:43], vcc, exec
	s_or_b64 s[42:43], s[0:1], s[42:43]
	s_andn2_b64 exec, exec, s[14:15]
	s_cbranch_execnz .LBB465_140
; %bb.141:
	s_or_b64 exec, exec, s[14:15]
	s_xor_b64 s[0:1], s[42:43], -1
.LBB465_142:
	s_and_b64 s[14:15], s[0:1], exec
.LBB465_143:
	s_or_b64 exec, exec, s[40:41]
	v_add_u32_e32 v16, 2, v1
	v_cmp_gt_u32_e32 vcc, s50, v16
	s_mov_b64 s[40:41], 0
	s_mov_b64 s[42:43], 0
	s_and_saveexec_b64 s[44:45], vcc
	s_cbranch_execz .LBB465_149
; %bb.144:
	s_andn2_b64 vcc, exec, s[6:7]
	s_mov_b64 s[0:1], 0
	s_cbranch_vccnz .LBB465_148
; %bb.145:
	v_mul_lo_u32 v19, v13, s26
	s_waitcnt vmcnt(0) lgkmcnt(1)
	v_mul_lo_u32 v20, v12, s27
	v_mad_u64_u32 v[16:17], s[0:1], v12, s26, 0
	v_add3_u32 v17, v17, v20, v19
	v_mul_lo_u32 v19, v7, s26
	v_mul_lo_u32 v22, v6, s27
	v_mad_u64_u32 v[20:21], s[0:1], v6, s26, 0
	v_add3_u32 v21, v21, v22, v19
	s_add_u32 s48, s26, -1
	v_lshl_add_u64 v[16:17], v[16:17], 2, s[28:29]
	v_lshl_add_u64 v[20:21], v[20:21], 2, s[28:29]
	s_addc_u32 s49, s27, -1
                                        ; implicit-def: $sgpr46_sgpr47
.LBB465_146:                            ; =>This Inner Loop Header: Depth=1
	global_load_dword v19, v[16:17], off
	global_load_dword v22, v[20:21], off
	s_add_u32 s0, s48, -1
	s_addc_u32 s1, s49, -1
	s_cmp_eq_u64 s[48:49], 0
	s_mov_b64 s[48:49], s[0:1]
	s_cselect_b64 s[52:53], -1, 0
	v_lshl_add_u64 v[16:17], v[16:17], 0, 4
	v_lshl_add_u64 v[20:21], v[20:21], 0, 4
	s_waitcnt vmcnt(0)
	v_cmp_ne_u32_e64 s[0:1], v19, v22
	s_or_b64 s[0:1], s[0:1], s[52:53]
	s_and_b64 s[0:1], exec, s[0:1]
	v_cmp_eq_u32_e32 vcc, v19, v22
	s_or_b64 s[42:43], s[0:1], s[42:43]
	s_andn2_b64 s[0:1], s[46:47], exec
	s_and_b64 s[46:47], vcc, exec
	s_or_b64 s[46:47], s[0:1], s[46:47]
	s_andn2_b64 exec, exec, s[42:43]
	s_cbranch_execnz .LBB465_146
; %bb.147:
	s_or_b64 exec, exec, s[42:43]
	s_xor_b64 s[0:1], s[46:47], -1
.LBB465_148:
	s_and_b64 s[42:43], s[0:1], exec
.LBB465_149:
	s_or_b64 exec, exec, s[44:45]
	v_add_u32_e32 v16, 1, v1
	v_cmp_gt_u32_e32 vcc, s50, v16
	s_and_saveexec_b64 s[44:45], vcc
	s_cbranch_execz .LBB465_155
; %bb.150:
	s_andn2_b64 vcc, exec, s[6:7]
	s_mov_b64 s[0:1], 0
	s_cbranch_vccnz .LBB465_154
; %bb.151:
	v_mul_lo_u32 v19, v11, s26
	s_waitcnt vmcnt(0) lgkmcnt(1)
	v_mul_lo_u32 v20, v10, s27
	v_mad_u64_u32 v[16:17], s[0:1], v10, s26, 0
	v_add3_u32 v17, v17, v20, v19
	v_mul_lo_u32 v19, v13, s26
	v_mul_lo_u32 v22, v12, s27
	v_mad_u64_u32 v[20:21], s[0:1], v12, s26, 0
	v_add3_u32 v21, v21, v22, v19
	s_add_u32 s48, s26, -1
	v_lshl_add_u64 v[16:17], v[16:17], 2, s[28:29]
	v_lshl_add_u64 v[20:21], v[20:21], 2, s[28:29]
	s_addc_u32 s49, s27, -1
	s_mov_b64 s[40:41], 0
                                        ; implicit-def: $sgpr46_sgpr47
.LBB465_152:                            ; =>This Inner Loop Header: Depth=1
	global_load_dword v19, v[16:17], off
	global_load_dword v22, v[20:21], off
	s_add_u32 s0, s48, -1
	s_addc_u32 s1, s49, -1
	s_cmp_eq_u64 s[48:49], 0
	s_mov_b64 s[48:49], s[0:1]
	s_cselect_b64 s[52:53], -1, 0
	v_lshl_add_u64 v[16:17], v[16:17], 0, 4
	v_lshl_add_u64 v[20:21], v[20:21], 0, 4
	s_waitcnt vmcnt(0)
	v_cmp_ne_u32_e64 s[0:1], v19, v22
	s_or_b64 s[0:1], s[0:1], s[52:53]
	s_and_b64 s[0:1], exec, s[0:1]
	v_cmp_eq_u32_e32 vcc, v19, v22
	s_or_b64 s[40:41], s[0:1], s[40:41]
	s_andn2_b64 s[0:1], s[46:47], exec
	s_and_b64 s[46:47], vcc, exec
	s_or_b64 s[46:47], s[0:1], s[46:47]
	s_andn2_b64 exec, exec, s[40:41]
	s_cbranch_execnz .LBB465_152
; %bb.153:
	s_or_b64 exec, exec, s[40:41]
	s_xor_b64 s[0:1], s[46:47], -1
.LBB465_154:
	s_and_b64 s[40:41], s[0:1], exec
.LBB465_155:
	s_or_b64 exec, exec, s[44:45]
	v_cndmask_b32_e64 v17, 0, 1, s[38:39]
	v_cndmask_b32_e64 v40, 0, 1, s[12:13]
	;; [unrolled: 1-line block ×4, first 2 shown]
	s_waitcnt vmcnt(0) lgkmcnt(1)
	v_cndmask_b32_e64 v20, 0, 1, s[14:15]
	v_cndmask_b32_e64 v42, 0, 1, s[40:41]
	v_mov_b32_e32 v16, 1
	s_waitcnt lgkmcnt(0)
	s_barrier
                                        ; implicit-def: $sgpr0_sgpr1
                                        ; implicit-def: $vgpr22
	s_and_saveexec_b64 s[4:5], s[2:3]
	s_cbranch_execz .LBB465_163
; %bb.156:
	v_lshlrev_b16_e32 v21, 8, v42
	v_lshlrev_b16_e32 v22, 8, v20
	v_or_b32_e32 v21, 1, v21
	v_or_b32_sdwa v22, v41, v22 dst_sel:WORD_1 dst_unused:UNUSED_PAD src0_sel:DWORD src1_sel:DWORD
	v_cmp_gt_u32_e32 vcc, s50, v1
	v_or_b32_sdwa v21, v21, v22 dst_sel:DWORD dst_unused:UNUSED_PAD src0_sel:WORD_0 src1_sel:DWORD
	s_mov_b32 s38, 0x3020104
	s_mov_b64 s[0:1], 0
	s_and_saveexec_b64 s[2:3], vcc
	s_cbranch_execz .LBB465_162
; %bb.157:
	s_andn2_b64 vcc, exec, s[6:7]
	s_cbranch_vccnz .LBB465_161
; %bb.158:
	v_add_u32_e32 v22, -8, v26
	ds_read_b64 v[22:23], v22
	v_mul_lo_u32 v26, v11, s26
	v_mul_lo_u32 v27, v10, s27
	s_add_u32 s14, s26, -1
	s_addc_u32 s15, s27, -1
	s_waitcnt lgkmcnt(0)
	v_mul_lo_u32 v24, v23, s26
	v_mul_lo_u32 v25, v22, s27
	v_mad_u64_u32 v[22:23], s[0:1], v22, s26, 0
	v_add3_u32 v23, v23, v25, v24
	v_mad_u64_u32 v[24:25], s[0:1], v10, s26, 0
	v_add3_u32 v25, v25, v27, v26
	v_lshl_add_u64 v[22:23], v[22:23], 2, s[28:29]
	v_lshl_add_u64 v[24:25], v[24:25], 2, s[28:29]
	s_mov_b64 s[6:7], 0
                                        ; implicit-def: $sgpr12_sgpr13
.LBB465_159:                            ; =>This Inner Loop Header: Depth=1
	global_load_dword v26, v[22:23], off
	global_load_dword v27, v[24:25], off
	s_add_u32 s0, s14, -1
	s_addc_u32 s1, s15, -1
	s_cmp_eq_u64 s[14:15], 0
	s_mov_b64 s[14:15], s[0:1]
	s_cselect_b64 s[26:27], -1, 0
	v_lshl_add_u64 v[22:23], v[22:23], 0, 4
	v_lshl_add_u64 v[24:25], v[24:25], 0, 4
	s_waitcnt vmcnt(0)
	v_cmp_ne_u32_e64 s[0:1], v26, v27
	s_or_b64 s[0:1], s[0:1], s[26:27]
	s_and_b64 s[0:1], exec, s[0:1]
	v_cmp_eq_u32_e32 vcc, v26, v27
	s_or_b64 s[6:7], s[0:1], s[6:7]
	s_andn2_b64 s[0:1], s[12:13], exec
	s_and_b64 s[12:13], vcc, exec
	s_or_b64 s[12:13], s[0:1], s[12:13]
	s_andn2_b64 exec, exec, s[6:7]
	s_cbranch_execnz .LBB465_159
; %bb.160:
	s_or_b64 exec, exec, s[6:7]
	s_xor_b64 s[0:1], s[12:13], -1
.LBB465_161:
	s_and_b64 s[0:1], s[0:1], exec
.LBB465_162:
	s_or_b64 exec, exec, s[2:3]
	v_perm_b32 v22, v21, v21, s38
	s_or_b64 s[10:11], s[10:11], exec
.LBB465_163:
	s_or_b64 exec, exec, s[4:5]
.LBB465_164:
	s_and_saveexec_b64 s[2:3], s[10:11]
	s_cbranch_execz .LBB465_166
; %bb.165:
	s_waitcnt vmcnt(0) lgkmcnt(0)
	v_lshrrev_b32_e32 v20, 24, v22
	v_lshrrev_b32_e32 v41, 16, v22
	;; [unrolled: 1-line block ×3, first 2 shown]
	v_cndmask_b32_e64 v16, 0, 1, s[0:1]
.LBB465_166:
	s_or_b64 exec, exec, s[2:3]
	s_andn2_b64 vcc, exec, s[8:9]
	s_cbranch_vccnz .LBB465_170
; %bb.167:
	s_mov_b32 s0, 0xc0c0004
	s_waitcnt vmcnt(0) lgkmcnt(0)
	v_perm_b32 v20, v41, v20, s0
	v_perm_b32 v16, v16, v42, s0
	v_lshlrev_b32_e32 v20, 16, v20
	v_or_b32_e32 v16, v16, v20
	v_cmp_gt_u32_e32 vcc, s50, v1
	v_add_u32_e32 v22, 1, v1
	v_perm_b32 v17, v17, v40, s0
	v_cndmask_b32_e32 v20, v20, v16, vcc
	v_and_b32_e32 v20, 0xffff00ff, v20
	v_cmp_gt_u32_e32 vcc, s50, v22
	v_add_u32_e32 v22, 2, v1
	s_mov_b32 s0, 0x40c0100
	v_cndmask_b32_e32 v20, v20, v16, vcc
	v_lshrrev_b32_e32 v23, 24, v20
	v_and_b32_e32 v19, 0xff, v19
	v_perm_b32 v20, v23, v20, s0
	v_cmp_gt_u32_e32 vcc, s50, v22
	v_lshlrev_b32_e32 v19, 16, v19
	v_add_u32_e32 v22, 3, v1
	v_cndmask_b32_e32 v20, v20, v16, vcc
	s_mov_b32 s0, 0xffff00
	v_or_b32_e32 v21, v17, v19
	v_and_b32_e32 v20, 0xffffff, v20
	v_cmp_gt_u32_e32 vcc, s50, v22
	v_bitop3_b32 v17, v17, s0, v19 bitop3:0xc8
	v_add_u32_e32 v19, 4, v1
	v_cndmask_b32_e32 v20, v20, v16, vcc
	v_cmp_gt_u32_e32 vcc, s50, v19
	v_add_u32_e32 v19, 5, v1
	v_cmp_gt_u32_e64 s[0:1], s50, v19
	v_cndmask_b32_e32 v17, v17, v21, vcc
	v_and_b32_e32 v17, 0xffff00ff, v17
	s_or_b64 vcc, s[0:1], vcc
	v_cndmask_b32_e64 v17, v17, v21, s[0:1]
	v_cndmask_b32_e32 v16, v20, v16, vcc
	v_add_u32_e32 v1, 6, v1
	v_lshrrev_b32_e32 v41, 16, v16
	v_lshrrev_b32_e32 v42, 8, v16
	v_lshrrev_b64 v[20:21], 24, v[16:17]
	v_lshrrev_b32_e32 v19, 16, v17
	v_lshrrev_b32_e32 v40, 8, v17
	v_cmp_le_u32_e32 vcc, s50, v1
	s_and_saveexec_b64 s[0:1], vcc
; %bb.168:
	v_mov_b32_e32 v19, 0
; %bb.169:
	s_or_b64 exec, exec, s[0:1]
.LBB465_170:
	v_and_b32_e32 v1, 0xff, v16
	s_waitcnt vmcnt(0) lgkmcnt(0)
	v_and_b32_e32 v21, 0xff, v42
	v_and_b32_e32 v33, 0xff, v41
	;; [unrolled: 1-line block ×4, first 2 shown]
	v_add3_u32 v23, v21, v1, v33
	v_and_b32_e32 v39, 0xff, v40
	v_and_b32_e32 v22, 0xff, v19
	v_add3_u32 v23, v23, v35, v37
	v_add3_u32 v45, v23, v39, v22
	v_mbcnt_lo_u32_b32 v22, -1, 0
	v_mbcnt_hi_u32_b32 v43, -1, v22
	v_and_b32_e32 v22, 15, v43
	v_cmp_eq_u32_e64 s[14:15], 0, v22
	v_cmp_lt_u32_e64 s[12:13], 1, v22
	v_cmp_lt_u32_e64 s[10:11], 3, v22
	;; [unrolled: 1-line block ×3, first 2 shown]
	v_and_b32_e32 v22, 16, v43
	v_cmp_eq_u32_e64 s[6:7], 0, v22
	v_or_b32_e32 v22, 63, v0
	v_cmp_lt_u32_e64 s[2:3], 31, v43
	v_lshrrev_b32_e32 v44, 6, v0
	v_cmp_eq_u32_e64 s[4:5], v0, v22
	s_and_b64 vcc, exec, s[16:17]
	s_barrier
	s_cbranch_vccz .LBB465_192
; %bb.171:
	v_mov_b32_dpp v22, v45 row_shr:1 row_mask:0xf bank_mask:0xf
	v_cndmask_b32_e64 v22, v22, 0, s[14:15]
	v_add_u32_e32 v22, v22, v45
	s_nop 1
	v_mov_b32_dpp v23, v22 row_shr:2 row_mask:0xf bank_mask:0xf
	v_cndmask_b32_e64 v23, 0, v23, s[12:13]
	v_add_u32_e32 v22, v22, v23
	s_nop 1
	;; [unrolled: 4-line block ×4, first 2 shown]
	v_mov_b32_dpp v23, v22 row_bcast:15 row_mask:0xf bank_mask:0xf
	v_cndmask_b32_e64 v23, v23, 0, s[6:7]
	v_add_u32_e32 v22, v22, v23
	s_nop 1
	v_mov_b32_dpp v23, v22 row_bcast:31 row_mask:0xf bank_mask:0xf
	v_cndmask_b32_e64 v23, 0, v23, s[2:3]
	v_add_u32_e32 v22, v22, v23
	s_and_saveexec_b64 s[0:1], s[4:5]
; %bb.172:
	v_lshlrev_b32_e32 v23, 2, v44
	ds_write_b32 v23, v22
; %bb.173:
	s_or_b64 exec, exec, s[0:1]
	v_cmp_gt_u32_e32 vcc, 8, v0
	s_waitcnt lgkmcnt(0)
	s_barrier
	s_and_saveexec_b64 s[0:1], vcc
	s_cbranch_execz .LBB465_175
; %bb.174:
	v_lshlrev_b32_e32 v23, 2, v0
	ds_read_b32 v24, v23
	v_and_b32_e32 v25, 7, v43
	v_cmp_ne_u32_e32 vcc, 0, v25
	s_waitcnt lgkmcnt(0)
	v_mov_b32_dpp v26, v24 row_shr:1 row_mask:0xf bank_mask:0xf
	v_cndmask_b32_e32 v26, 0, v26, vcc
	v_add_u32_e32 v24, v26, v24
	v_cmp_lt_u32_e32 vcc, 1, v25
	s_nop 0
	v_mov_b32_dpp v26, v24 row_shr:2 row_mask:0xf bank_mask:0xf
	v_cndmask_b32_e32 v26, 0, v26, vcc
	v_add_u32_e32 v24, v24, v26
	v_cmp_lt_u32_e32 vcc, 3, v25
	s_nop 0
	v_mov_b32_dpp v26, v24 row_shr:4 row_mask:0xf bank_mask:0xf
	v_cndmask_b32_e32 v25, 0, v26, vcc
	v_add_u32_e32 v24, v24, v25
	ds_write_b32 v23, v24
.LBB465_175:
	s_or_b64 exec, exec, s[0:1]
	v_cmp_gt_u32_e32 vcc, 64, v0
	v_cmp_lt_u32_e64 s[0:1], 63, v0
	s_waitcnt lgkmcnt(0)
	s_barrier
                                        ; implicit-def: $vgpr32
	s_and_saveexec_b64 s[16:17], s[0:1]
	s_cbranch_execz .LBB465_177
; %bb.176:
	v_lshl_add_u32 v23, v44, 2, -4
	ds_read_b32 v32, v23
	s_waitcnt lgkmcnt(0)
	v_add_u32_e32 v22, v32, v22
.LBB465_177:
	s_or_b64 exec, exec, s[16:17]
	v_subrev_co_u32_e64 v23, s[16:17], 1, v43
	v_and_b32_e32 v24, 64, v43
	v_cmp_lt_i32_e64 s[0:1], v23, v24
	s_nop 1
	v_cndmask_b32_e64 v23, v23, v43, s[0:1]
	v_lshlrev_b32_e32 v23, 2, v23
	ds_bpermute_b32 v34, v23, v22
	s_and_saveexec_b64 s[0:1], vcc
	s_cbranch_execz .LBB465_197
; %bb.178:
	v_mov_b32_e32 v29, 0
	ds_read_b32 v22, v29 offset:28
	s_and_saveexec_b64 s[26:27], s[16:17]
	s_cbranch_execz .LBB465_180
; %bb.179:
	s_add_i32 s28, s33, 64
	s_mov_b32 s29, 0
	s_lshl_b64 s[28:29], s[28:29], 3
	s_add_u32 s28, s30, s28
	v_mov_b32_e32 v23, 1
	s_addc_u32 s29, s31, s29
	s_waitcnt lgkmcnt(0)
	global_store_dwordx2 v29, v[22:23], s[28:29] sc1
.LBB465_180:
	s_or_b64 exec, exec, s[26:27]
	v_xad_u32 v24, v43, -1, s33
	v_add_u32_e32 v28, 64, v24
	v_lshl_add_u64 v[30:31], v[28:29], 3, s[30:31]
	global_load_dwordx2 v[26:27], v[30:31], off sc1
	s_waitcnt vmcnt(0)
	v_cmp_eq_u16_sdwa s[28:29], v27, v29 src0_sel:BYTE_0 src1_sel:DWORD
	s_and_saveexec_b64 s[26:27], s[28:29]
	s_cbranch_execz .LBB465_184
; %bb.181:
	s_mov_b64 s[28:29], 0
	v_mov_b32_e32 v23, 0
.LBB465_182:                            ; =>This Inner Loop Header: Depth=1
	global_load_dwordx2 v[26:27], v[30:31], off sc1
	s_waitcnt vmcnt(0)
	v_cmp_ne_u16_sdwa s[38:39], v27, v23 src0_sel:BYTE_0 src1_sel:DWORD
	s_or_b64 s[28:29], s[38:39], s[28:29]
	s_andn2_b64 exec, exec, s[28:29]
	s_cbranch_execnz .LBB465_182
; %bb.183:
	s_or_b64 exec, exec, s[28:29]
.LBB465_184:
	s_or_b64 exec, exec, s[26:27]
	v_and_b32_e32 v38, 63, v43
	v_mov_b32_e32 v36, 2
	v_cmp_ne_u32_e32 vcc, 63, v38
	v_cmp_eq_u16_sdwa s[26:27], v27, v36 src0_sel:BYTE_0 src1_sel:DWORD
	v_lshlrev_b64 v[28:29], v43, -1
	v_addc_co_u32_e32 v30, vcc, 0, v43, vcc
	v_and_b32_e32 v23, s27, v29
	v_lshlrev_b32_e32 v46, 2, v30
	v_or_b32_e32 v23, 0x80000000, v23
	ds_bpermute_b32 v30, v46, v26
	v_and_b32_e32 v25, s26, v28
	v_ffbl_b32_e32 v23, v23
	v_add_u32_e32 v23, 32, v23
	v_ffbl_b32_e32 v25, v25
	v_min_u32_e32 v23, v25, v23
	v_cmp_lt_u32_e32 vcc, v38, v23
	v_add_u32_e32 v48, 2, v38
	v_add_u32_e32 v50, 4, v38
	s_waitcnt lgkmcnt(0)
	v_cndmask_b32_e32 v25, 0, v30, vcc
	v_cmp_gt_u32_e32 vcc, 62, v38
	v_add_u32_e32 v25, v25, v26
	v_add_u32_e32 v52, 8, v38
	v_cndmask_b32_e64 v26, 0, 2, vcc
	v_add_lshl_u32 v47, v26, v43, 2
	ds_bpermute_b32 v26, v47, v25
	v_cmp_le_u32_e32 vcc, v48, v23
	v_add_u32_e32 v54, 16, v38
	v_add_u32_e32 v56, 32, v38
	s_waitcnt lgkmcnt(0)
	v_cndmask_b32_e32 v26, 0, v26, vcc
	v_cmp_gt_u32_e32 vcc, 60, v38
	v_add_u32_e32 v25, v25, v26
	s_nop 0
	v_cndmask_b32_e64 v26, 0, 4, vcc
	v_add_lshl_u32 v49, v26, v43, 2
	ds_bpermute_b32 v26, v49, v25
	v_cmp_le_u32_e32 vcc, v50, v23
	s_waitcnt lgkmcnt(0)
	s_nop 0
	v_cndmask_b32_e32 v26, 0, v26, vcc
	v_cmp_gt_u32_e32 vcc, 56, v38
	v_add_u32_e32 v25, v25, v26
	s_nop 0
	v_cndmask_b32_e64 v26, 0, 8, vcc
	v_add_lshl_u32 v51, v26, v43, 2
	ds_bpermute_b32 v26, v51, v25
	v_cmp_le_u32_e32 vcc, v52, v23
	s_waitcnt lgkmcnt(0)
	s_nop 0
	;; [unrolled: 10-line block ×3, first 2 shown]
	v_cndmask_b32_e32 v26, 0, v26, vcc
	v_add_u32_e32 v25, v25, v26
	v_mov_b32_e32 v26, 0x80
	v_lshl_or_b32 v55, v43, 2, v26
	ds_bpermute_b32 v26, v55, v25
	v_cmp_le_u32_e32 vcc, v56, v23
	s_waitcnt lgkmcnt(0)
	s_nop 0
	v_cndmask_b32_e32 v23, 0, v26, vcc
	v_add_u32_e32 v26, v25, v23
	v_mov_b32_e32 v25, 0
	s_branch .LBB465_187
.LBB465_185:                            ;   in Loop: Header=BB465_187 Depth=1
	s_or_b64 exec, exec, s[26:27]
	v_cmp_eq_u16_sdwa s[26:27], v27, v36 src0_sel:BYTE_0 src1_sel:DWORD
	ds_bpermute_b32 v57, v46, v26
	v_subrev_u32_e32 v24, 64, v24
	v_and_b32_e32 v30, s27, v29
	v_or_b32_e32 v30, 0x80000000, v30
	v_and_b32_e32 v31, s26, v28
	v_ffbl_b32_e32 v30, v30
	v_add_u32_e32 v30, 32, v30
	v_ffbl_b32_e32 v31, v31
	v_min_u32_e32 v30, v31, v30
	v_cmp_lt_u32_e32 vcc, v38, v30
	s_mov_b64 s[26:27], 0
	s_waitcnt lgkmcnt(0)
	v_cndmask_b32_e32 v31, 0, v57, vcc
	v_add_u32_e32 v26, v31, v26
	ds_bpermute_b32 v31, v47, v26
	v_cmp_le_u32_e32 vcc, v48, v30
	s_waitcnt lgkmcnt(0)
	s_nop 0
	v_cndmask_b32_e32 v31, 0, v31, vcc
	v_add_u32_e32 v26, v26, v31
	ds_bpermute_b32 v31, v49, v26
	v_cmp_le_u32_e32 vcc, v50, v30
	s_waitcnt lgkmcnt(0)
	s_nop 0
	;; [unrolled: 6-line block ×5, first 2 shown]
	v_cndmask_b32_e32 v30, 0, v31, vcc
	v_add3_u32 v26, v30, v23, v26
.LBB465_186:                            ;   in Loop: Header=BB465_187 Depth=1
	s_and_b64 vcc, exec, s[26:27]
	s_cbranch_vccnz .LBB465_193
.LBB465_187:                            ; =>This Loop Header: Depth=1
                                        ;     Child Loop BB465_190 Depth 2
	v_cmp_ne_u16_sdwa s[26:27], v27, v36 src0_sel:BYTE_0 src1_sel:DWORD
	v_mov_b32_e32 v23, v26
	s_cmp_lg_u64 s[26:27], exec
	s_mov_b64 s[26:27], -1
                                        ; implicit-def: $vgpr26
                                        ; implicit-def: $vgpr27
	s_cbranch_scc1 .LBB465_186
; %bb.188:                              ;   in Loop: Header=BB465_187 Depth=1
	v_lshl_add_u64 v[30:31], v[24:25], 3, s[30:31]
	global_load_dwordx2 v[26:27], v[30:31], off sc1
	s_waitcnt vmcnt(0)
	v_cmp_eq_u16_sdwa s[28:29], v27, v25 src0_sel:BYTE_0 src1_sel:DWORD
	s_and_saveexec_b64 s[26:27], s[28:29]
	s_cbranch_execz .LBB465_185
; %bb.189:                              ;   in Loop: Header=BB465_187 Depth=1
	s_mov_b64 s[28:29], 0
.LBB465_190:                            ;   Parent Loop BB465_187 Depth=1
                                        ; =>  This Inner Loop Header: Depth=2
	global_load_dwordx2 v[26:27], v[30:31], off sc1
	s_waitcnt vmcnt(0)
	v_cmp_ne_u16_sdwa s[38:39], v27, v25 src0_sel:BYTE_0 src1_sel:DWORD
	s_or_b64 s[28:29], s[38:39], s[28:29]
	s_andn2_b64 exec, exec, s[28:29]
	s_cbranch_execnz .LBB465_190
; %bb.191:                              ;   in Loop: Header=BB465_187 Depth=1
	s_or_b64 exec, exec, s[28:29]
	s_branch .LBB465_185
.LBB465_192:
                                        ; implicit-def: $vgpr26
                                        ; implicit-def: $vgpr28
                                        ; implicit-def: $vgpr30
                                        ; implicit-def: $vgpr32
                                        ; implicit-def: $vgpr34
                                        ; implicit-def: $vgpr36
                                        ; implicit-def: $vgpr38
                                        ; implicit-def: $vgpr24
                                        ; implicit-def: $vgpr22
	s_cbranch_execnz .LBB465_198
	s_branch .LBB465_207
.LBB465_193:
	s_and_saveexec_b64 s[26:27], s[16:17]
	s_cbranch_execz .LBB465_195
; %bb.194:
	s_add_i32 s28, s33, 64
	s_mov_b32 s29, 0
	s_lshl_b64 s[28:29], s[28:29], 3
	s_add_u32 s28, s30, s28
	v_add_u32_e32 v24, v23, v22
	v_mov_b32_e32 v25, 2
	s_addc_u32 s29, s31, s29
	v_mov_b32_e32 v26, 0
	global_store_dwordx2 v26, v[24:25], s[28:29] sc1
	ds_write_b64 v26, v[22:23] offset:28672
.LBB465_195:
	s_or_b64 exec, exec, s[26:27]
	s_and_b64 exec, exec, s[18:19]
; %bb.196:
	v_mov_b32_e32 v22, 0
	ds_write_b32 v22, v23 offset:28
.LBB465_197:
	s_or_b64 exec, exec, s[0:1]
	v_mov_b32_e32 v22, 0
	s_waitcnt lgkmcnt(0)
	s_barrier
	ds_read_b32 v23, v22 offset:28
	v_cndmask_b32_e64 v24, v34, v32, s[16:17]
	v_cndmask_b32_e64 v24, v24, 0, s[18:19]
	s_waitcnt lgkmcnt(0)
	s_barrier
	v_add_u32_e32 v38, v23, v24
	v_add_u32_e32 v36, v38, v1
	ds_read_b64 v[22:23], v22 offset:28672
	v_add_u32_e32 v34, v36, v21
	v_add_u32_e32 v32, v34, v33
	v_add_u32_e32 v30, v32, v35
	v_add_u32_e32 v28, v30, v37
	v_add_u32_e32 v26, v28, v39
	s_waitcnt lgkmcnt(0)
	v_mov_b32_e32 v24, v23
	s_branch .LBB465_207
.LBB465_198:
	v_mov_b32_dpp v22, v45 row_shr:1 row_mask:0xf bank_mask:0xf
	v_cndmask_b32_e64 v22, v22, 0, s[14:15]
	v_add_u32_e32 v22, v22, v45
	s_nop 1
	v_mov_b32_dpp v23, v22 row_shr:2 row_mask:0xf bank_mask:0xf
	v_cndmask_b32_e64 v23, 0, v23, s[12:13]
	v_add_u32_e32 v22, v22, v23
	s_nop 1
	;; [unrolled: 4-line block ×4, first 2 shown]
	v_mov_b32_dpp v23, v22 row_bcast:15 row_mask:0xf bank_mask:0xf
	v_cndmask_b32_e64 v23, v23, 0, s[6:7]
	v_add_u32_e32 v22, v22, v23
	s_nop 1
	v_mov_b32_dpp v23, v22 row_bcast:31 row_mask:0xf bank_mask:0xf
	v_cndmask_b32_e64 v23, 0, v23, s[2:3]
	v_add_u32_e32 v22, v22, v23
	s_and_saveexec_b64 s[0:1], s[4:5]
; %bb.199:
	v_lshlrev_b32_e32 v23, 2, v44
	ds_write_b32 v23, v22
; %bb.200:
	s_or_b64 exec, exec, s[0:1]
	v_cmp_gt_u32_e32 vcc, 8, v0
	s_waitcnt lgkmcnt(0)
	s_barrier
	s_and_saveexec_b64 s[0:1], vcc
	s_cbranch_execz .LBB465_202
; %bb.201:
	v_lshlrev_b32_e32 v23, 2, v0
	ds_read_b32 v24, v23
	v_and_b32_e32 v25, 7, v43
	v_cmp_ne_u32_e32 vcc, 0, v25
	s_waitcnt lgkmcnt(0)
	v_mov_b32_dpp v26, v24 row_shr:1 row_mask:0xf bank_mask:0xf
	v_cndmask_b32_e32 v26, 0, v26, vcc
	v_add_u32_e32 v24, v26, v24
	v_cmp_lt_u32_e32 vcc, 1, v25
	s_nop 0
	v_mov_b32_dpp v26, v24 row_shr:2 row_mask:0xf bank_mask:0xf
	v_cndmask_b32_e32 v26, 0, v26, vcc
	v_add_u32_e32 v24, v24, v26
	v_cmp_lt_u32_e32 vcc, 3, v25
	s_nop 0
	v_mov_b32_dpp v26, v24 row_shr:4 row_mask:0xf bank_mask:0xf
	v_cndmask_b32_e32 v25, 0, v26, vcc
	v_add_u32_e32 v24, v24, v25
	ds_write_b32 v23, v24
.LBB465_202:
	s_or_b64 exec, exec, s[0:1]
	v_cmp_lt_u32_e32 vcc, 63, v0
	v_mov_b32_e32 v23, 0
	v_mov_b32_e32 v24, 0
	s_waitcnt lgkmcnt(0)
	s_barrier
	s_and_saveexec_b64 s[0:1], vcc
; %bb.203:
	v_lshl_add_u32 v24, v44, 2, -4
	ds_read_b32 v24, v24
; %bb.204:
	s_or_b64 exec, exec, s[0:1]
	v_subrev_co_u32_e32 v25, vcc, 1, v43
	v_and_b32_e32 v26, 64, v43
	v_cmp_lt_i32_e64 s[0:1], v25, v26
	s_waitcnt lgkmcnt(0)
	v_add_u32_e32 v22, v24, v22
	v_cndmask_b32_e64 v25, v25, v43, s[0:1]
	v_lshlrev_b32_e32 v25, 2, v25
	ds_bpermute_b32 v25, v25, v22
	ds_read_b32 v22, v23 offset:28
	s_and_saveexec_b64 s[0:1], s[18:19]
	s_cbranch_execz .LBB465_206
; %bb.205:
	v_mov_b32_e32 v26, 0
	v_mov_b32_e32 v23, 2
	s_waitcnt lgkmcnt(0)
	global_store_dwordx2 v26, v[22:23], s[30:31] offset:512 sc1
.LBB465_206:
	s_or_b64 exec, exec, s[0:1]
	s_waitcnt lgkmcnt(1)
	v_cndmask_b32_e32 v23, v25, v24, vcc
	v_cndmask_b32_e64 v38, v23, 0, s[18:19]
	v_add_u32_e32 v36, v38, v1
	v_add_u32_e32 v34, v36, v21
	;; [unrolled: 1-line block ×6, first 2 shown]
	s_waitcnt lgkmcnt(0)
	s_barrier
	v_mov_b32_e32 v24, 0
.LBB465_207:
	s_movk_i32 s0, 0x201
	v_cmp_gt_u32_e32 vcc, s0, v22
	v_and_b32_e32 v1, 1, v16
	s_mov_b64 s[2:3], -1
	v_cmp_eq_u32_e64 s[0:1], 1, v1
	s_cbranch_vccnz .LBB465_211
; %bb.208:
	s_and_b64 vcc, exec, s[2:3]
	s_cbranch_vccnz .LBB465_226
.LBB465_209:
	s_and_b64 s[0:1], s[18:19], s[24:25]
	s_and_saveexec_b64 s[2:3], s[0:1]
	s_cbranch_execnz .LBB465_243
.LBB465_210:
	s_endpgm
.LBB465_211:
	v_add_u32_e32 v16, v24, v22
	v_cmp_lt_u32_e32 vcc, v38, v16
	s_or_b64 s[2:3], s[36:37], vcc
	s_and_b64 s[2:3], s[2:3], s[0:1]
	s_and_saveexec_b64 s[0:1], s[2:3]
	s_cbranch_execz .LBB465_213
; %bb.212:
	s_lshl_b64 s[2:3], s[22:23], 3
	s_add_u32 s2, s34, s2
	s_addc_u32 s3, s35, s3
	v_mov_b32_e32 v39, 0
	v_lshl_add_u64 v[44:45], v[38:39], 3, s[2:3]
	global_store_dwordx2 v[44:45], v[10:11], off
.LBB465_213:
	s_or_b64 exec, exec, s[0:1]
	v_cmp_lt_u32_e32 vcc, v36, v16
	v_and_b32_e32 v21, 1, v42
	s_or_b64 s[0:1], s[36:37], vcc
	v_cmp_eq_u32_e32 vcc, 1, v21
	s_and_b64 s[2:3], s[0:1], vcc
	s_and_saveexec_b64 s[0:1], s[2:3]
	s_cbranch_execz .LBB465_215
; %bb.214:
	s_lshl_b64 s[2:3], s[22:23], 3
	s_add_u32 s2, s34, s2
	s_addc_u32 s3, s35, s3
	v_mov_b32_e32 v37, 0
	v_lshl_add_u64 v[44:45], v[36:37], 3, s[2:3]
	global_store_dwordx2 v[44:45], v[12:13], off
.LBB465_215:
	s_or_b64 exec, exec, s[0:1]
	v_cmp_lt_u32_e32 vcc, v34, v16
	v_and_b32_e32 v21, 1, v41
	s_or_b64 s[0:1], s[36:37], vcc
	v_cmp_eq_u32_e32 vcc, 1, v21
	s_and_b64 s[2:3], s[0:1], vcc
	;; [unrolled: 16-line block ×6, first 2 shown]
	s_and_saveexec_b64 s[0:1], s[2:3]
	s_cbranch_execz .LBB465_225
; %bb.224:
	s_lshl_b64 s[2:3], s[22:23], 3
	s_add_u32 s2, s34, s2
	s_addc_u32 s3, s35, s3
	v_mov_b32_e32 v27, 0
	v_lshl_add_u64 v[44:45], v[26:27], 3, s[2:3]
	global_store_dwordx2 v[44:45], v[14:15], off
.LBB465_225:
	s_or_b64 exec, exec, s[0:1]
	s_branch .LBB465_209
.LBB465_226:
	v_cmp_eq_u32_e32 vcc, 1, v1
	s_and_saveexec_b64 s[0:1], vcc
; %bb.227:
	v_sub_u32_e32 v1, v38, v24
	v_lshlrev_b32_e32 v1, 3, v1
	ds_write_b64 v1, v[10:11]
; %bb.228:
	s_or_b64 exec, exec, s[0:1]
	v_and_b32_e32 v1, 1, v42
	v_cmp_eq_u32_e32 vcc, 1, v1
	s_and_saveexec_b64 s[0:1], vcc
; %bb.229:
	v_sub_u32_e32 v1, v36, v24
	v_lshlrev_b32_e32 v1, 3, v1
	ds_write_b64 v1, v[12:13]
; %bb.230:
	s_or_b64 exec, exec, s[0:1]
	v_and_b32_e32 v1, 1, v41
	;; [unrolled: 9-line block ×6, first 2 shown]
	v_cmp_eq_u32_e32 vcc, 1, v1
	s_and_saveexec_b64 s[0:1], vcc
; %bb.239:
	v_sub_u32_e32 v1, v26, v24
	v_lshlrev_b32_e32 v1, 3, v1
	ds_write_b64 v1, v[14:15]
; %bb.240:
	s_or_b64 exec, exec, s[0:1]
	v_mov_b32_e32 v25, 0
	s_lshl_b64 s[0:1], s[22:23], 3
	v_lshlrev_b64 v[2:3], 3, v[24:25]
	v_lshl_add_u64 v[2:3], s[0:1], 0, v[2:3]
	v_mov_b32_e32 v19, v25
	v_lshl_add_u64 v[2:3], s[34:35], 0, v[2:3]
	v_lshl_add_u64 v[2:3], v[2:3], 0, v[18:19]
	s_mov_b64 s[0:1], 0
	s_mov_b64 s[2:3], 0x1000
	s_waitcnt lgkmcnt(0)
	s_barrier
.LBB465_241:                            ; =>This Inner Loop Header: Depth=1
	ds_read_b64 v[4:5], v18
	v_add_u32_e32 v0, 0x200, v0
	v_cmp_ge_u32_e32 vcc, v0, v22
	v_add_u32_e32 v18, 0x1000, v18
	s_or_b64 s[0:1], vcc, s[0:1]
	s_waitcnt lgkmcnt(0)
	global_store_dwordx2 v[2:3], v[4:5], off
	v_lshl_add_u64 v[2:3], v[2:3], 0, s[2:3]
	s_andn2_b64 exec, exec, s[0:1]
	s_cbranch_execnz .LBB465_241
; %bb.242:
	s_or_b64 exec, exec, s[0:1]
	s_and_b64 s[0:1], s[18:19], s[24:25]
	s_and_saveexec_b64 s[2:3], s[0:1]
	s_cbranch_execz .LBB465_210
.LBB465_243:
	v_mov_b32_e32 v23, 0
	v_lshl_add_u64 v[0:1], s[22:23], 0, v[22:23]
	v_mov_b32_e32 v25, v23
	v_lshl_add_u64 v[0:1], v[0:1], 0, v[24:25]
	global_store_dwordx2 v23, v[0:1], s[20:21]
	s_endpgm
	.section	.rodata,"a",@progbits
	.p2align	6, 0x0
	.amdhsa_kernel _ZN7rocprim17ROCPRIM_400000_NS6detail17trampoline_kernelINS0_14default_configENS1_25partition_config_selectorILNS1_17partition_subalgoE8ElNS0_10empty_typeEbEEZZNS1_14partition_implILS5_8ELb0ES3_jPlPS6_PKS6_NS0_5tupleIJS9_S6_EEENSD_IJSA_SA_EEENS0_18inequality_wrapperIZN2at6native12_GLOBAL__N_124unique_dim_cuda_templateIiEESt5tupleIJNSH_6TensorESM_SM_EERKSM_lbbbEUlllE0_EEPmJS6_EEE10hipError_tPvRmT3_T4_T5_T6_T7_T9_mT8_P12ihipStream_tbDpT10_ENKUlT_T0_E_clISt17integral_constantIbLb0EES1B_IbLb1EEEEDaS17_S18_EUlS17_E_NS1_11comp_targetILNS1_3genE0ELNS1_11target_archE4294967295ELNS1_3gpuE0ELNS1_3repE0EEENS1_30default_config_static_selectorELNS0_4arch9wavefront6targetE1EEEvT1_
		.amdhsa_group_segment_fixed_size 28680
		.amdhsa_private_segment_fixed_size 0
		.amdhsa_kernarg_size 136
		.amdhsa_user_sgpr_count 2
		.amdhsa_user_sgpr_dispatch_ptr 0
		.amdhsa_user_sgpr_queue_ptr 0
		.amdhsa_user_sgpr_kernarg_segment_ptr 1
		.amdhsa_user_sgpr_dispatch_id 0
		.amdhsa_user_sgpr_kernarg_preload_length 0
		.amdhsa_user_sgpr_kernarg_preload_offset 0
		.amdhsa_user_sgpr_private_segment_size 0
		.amdhsa_uses_dynamic_stack 0
		.amdhsa_enable_private_segment 0
		.amdhsa_system_sgpr_workgroup_id_x 1
		.amdhsa_system_sgpr_workgroup_id_y 0
		.amdhsa_system_sgpr_workgroup_id_z 0
		.amdhsa_system_sgpr_workgroup_info 0
		.amdhsa_system_vgpr_workitem_id 0
		.amdhsa_next_free_vgpr 58
		.amdhsa_next_free_sgpr 54
		.amdhsa_accum_offset 60
		.amdhsa_reserve_vcc 1
		.amdhsa_float_round_mode_32 0
		.amdhsa_float_round_mode_16_64 0
		.amdhsa_float_denorm_mode_32 3
		.amdhsa_float_denorm_mode_16_64 3
		.amdhsa_dx10_clamp 1
		.amdhsa_ieee_mode 1
		.amdhsa_fp16_overflow 0
		.amdhsa_tg_split 0
		.amdhsa_exception_fp_ieee_invalid_op 0
		.amdhsa_exception_fp_denorm_src 0
		.amdhsa_exception_fp_ieee_div_zero 0
		.amdhsa_exception_fp_ieee_overflow 0
		.amdhsa_exception_fp_ieee_underflow 0
		.amdhsa_exception_fp_ieee_inexact 0
		.amdhsa_exception_int_div_zero 0
	.end_amdhsa_kernel
	.section	.text._ZN7rocprim17ROCPRIM_400000_NS6detail17trampoline_kernelINS0_14default_configENS1_25partition_config_selectorILNS1_17partition_subalgoE8ElNS0_10empty_typeEbEEZZNS1_14partition_implILS5_8ELb0ES3_jPlPS6_PKS6_NS0_5tupleIJS9_S6_EEENSD_IJSA_SA_EEENS0_18inequality_wrapperIZN2at6native12_GLOBAL__N_124unique_dim_cuda_templateIiEESt5tupleIJNSH_6TensorESM_SM_EERKSM_lbbbEUlllE0_EEPmJS6_EEE10hipError_tPvRmT3_T4_T5_T6_T7_T9_mT8_P12ihipStream_tbDpT10_ENKUlT_T0_E_clISt17integral_constantIbLb0EES1B_IbLb1EEEEDaS17_S18_EUlS17_E_NS1_11comp_targetILNS1_3genE0ELNS1_11target_archE4294967295ELNS1_3gpuE0ELNS1_3repE0EEENS1_30default_config_static_selectorELNS0_4arch9wavefront6targetE1EEEvT1_,"axG",@progbits,_ZN7rocprim17ROCPRIM_400000_NS6detail17trampoline_kernelINS0_14default_configENS1_25partition_config_selectorILNS1_17partition_subalgoE8ElNS0_10empty_typeEbEEZZNS1_14partition_implILS5_8ELb0ES3_jPlPS6_PKS6_NS0_5tupleIJS9_S6_EEENSD_IJSA_SA_EEENS0_18inequality_wrapperIZN2at6native12_GLOBAL__N_124unique_dim_cuda_templateIiEESt5tupleIJNSH_6TensorESM_SM_EERKSM_lbbbEUlllE0_EEPmJS6_EEE10hipError_tPvRmT3_T4_T5_T6_T7_T9_mT8_P12ihipStream_tbDpT10_ENKUlT_T0_E_clISt17integral_constantIbLb0EES1B_IbLb1EEEEDaS17_S18_EUlS17_E_NS1_11comp_targetILNS1_3genE0ELNS1_11target_archE4294967295ELNS1_3gpuE0ELNS1_3repE0EEENS1_30default_config_static_selectorELNS0_4arch9wavefront6targetE1EEEvT1_,comdat
.Lfunc_end465:
	.size	_ZN7rocprim17ROCPRIM_400000_NS6detail17trampoline_kernelINS0_14default_configENS1_25partition_config_selectorILNS1_17partition_subalgoE8ElNS0_10empty_typeEbEEZZNS1_14partition_implILS5_8ELb0ES3_jPlPS6_PKS6_NS0_5tupleIJS9_S6_EEENSD_IJSA_SA_EEENS0_18inequality_wrapperIZN2at6native12_GLOBAL__N_124unique_dim_cuda_templateIiEESt5tupleIJNSH_6TensorESM_SM_EERKSM_lbbbEUlllE0_EEPmJS6_EEE10hipError_tPvRmT3_T4_T5_T6_T7_T9_mT8_P12ihipStream_tbDpT10_ENKUlT_T0_E_clISt17integral_constantIbLb0EES1B_IbLb1EEEEDaS17_S18_EUlS17_E_NS1_11comp_targetILNS1_3genE0ELNS1_11target_archE4294967295ELNS1_3gpuE0ELNS1_3repE0EEENS1_30default_config_static_selectorELNS0_4arch9wavefront6targetE1EEEvT1_, .Lfunc_end465-_ZN7rocprim17ROCPRIM_400000_NS6detail17trampoline_kernelINS0_14default_configENS1_25partition_config_selectorILNS1_17partition_subalgoE8ElNS0_10empty_typeEbEEZZNS1_14partition_implILS5_8ELb0ES3_jPlPS6_PKS6_NS0_5tupleIJS9_S6_EEENSD_IJSA_SA_EEENS0_18inequality_wrapperIZN2at6native12_GLOBAL__N_124unique_dim_cuda_templateIiEESt5tupleIJNSH_6TensorESM_SM_EERKSM_lbbbEUlllE0_EEPmJS6_EEE10hipError_tPvRmT3_T4_T5_T6_T7_T9_mT8_P12ihipStream_tbDpT10_ENKUlT_T0_E_clISt17integral_constantIbLb0EES1B_IbLb1EEEEDaS17_S18_EUlS17_E_NS1_11comp_targetILNS1_3genE0ELNS1_11target_archE4294967295ELNS1_3gpuE0ELNS1_3repE0EEENS1_30default_config_static_selectorELNS0_4arch9wavefront6targetE1EEEvT1_
                                        ; -- End function
	.set _ZN7rocprim17ROCPRIM_400000_NS6detail17trampoline_kernelINS0_14default_configENS1_25partition_config_selectorILNS1_17partition_subalgoE8ElNS0_10empty_typeEbEEZZNS1_14partition_implILS5_8ELb0ES3_jPlPS6_PKS6_NS0_5tupleIJS9_S6_EEENSD_IJSA_SA_EEENS0_18inequality_wrapperIZN2at6native12_GLOBAL__N_124unique_dim_cuda_templateIiEESt5tupleIJNSH_6TensorESM_SM_EERKSM_lbbbEUlllE0_EEPmJS6_EEE10hipError_tPvRmT3_T4_T5_T6_T7_T9_mT8_P12ihipStream_tbDpT10_ENKUlT_T0_E_clISt17integral_constantIbLb0EES1B_IbLb1EEEEDaS17_S18_EUlS17_E_NS1_11comp_targetILNS1_3genE0ELNS1_11target_archE4294967295ELNS1_3gpuE0ELNS1_3repE0EEENS1_30default_config_static_selectorELNS0_4arch9wavefront6targetE1EEEvT1_.num_vgpr, 58
	.set _ZN7rocprim17ROCPRIM_400000_NS6detail17trampoline_kernelINS0_14default_configENS1_25partition_config_selectorILNS1_17partition_subalgoE8ElNS0_10empty_typeEbEEZZNS1_14partition_implILS5_8ELb0ES3_jPlPS6_PKS6_NS0_5tupleIJS9_S6_EEENSD_IJSA_SA_EEENS0_18inequality_wrapperIZN2at6native12_GLOBAL__N_124unique_dim_cuda_templateIiEESt5tupleIJNSH_6TensorESM_SM_EERKSM_lbbbEUlllE0_EEPmJS6_EEE10hipError_tPvRmT3_T4_T5_T6_T7_T9_mT8_P12ihipStream_tbDpT10_ENKUlT_T0_E_clISt17integral_constantIbLb0EES1B_IbLb1EEEEDaS17_S18_EUlS17_E_NS1_11comp_targetILNS1_3genE0ELNS1_11target_archE4294967295ELNS1_3gpuE0ELNS1_3repE0EEENS1_30default_config_static_selectorELNS0_4arch9wavefront6targetE1EEEvT1_.num_agpr, 0
	.set _ZN7rocprim17ROCPRIM_400000_NS6detail17trampoline_kernelINS0_14default_configENS1_25partition_config_selectorILNS1_17partition_subalgoE8ElNS0_10empty_typeEbEEZZNS1_14partition_implILS5_8ELb0ES3_jPlPS6_PKS6_NS0_5tupleIJS9_S6_EEENSD_IJSA_SA_EEENS0_18inequality_wrapperIZN2at6native12_GLOBAL__N_124unique_dim_cuda_templateIiEESt5tupleIJNSH_6TensorESM_SM_EERKSM_lbbbEUlllE0_EEPmJS6_EEE10hipError_tPvRmT3_T4_T5_T6_T7_T9_mT8_P12ihipStream_tbDpT10_ENKUlT_T0_E_clISt17integral_constantIbLb0EES1B_IbLb1EEEEDaS17_S18_EUlS17_E_NS1_11comp_targetILNS1_3genE0ELNS1_11target_archE4294967295ELNS1_3gpuE0ELNS1_3repE0EEENS1_30default_config_static_selectorELNS0_4arch9wavefront6targetE1EEEvT1_.numbered_sgpr, 54
	.set _ZN7rocprim17ROCPRIM_400000_NS6detail17trampoline_kernelINS0_14default_configENS1_25partition_config_selectorILNS1_17partition_subalgoE8ElNS0_10empty_typeEbEEZZNS1_14partition_implILS5_8ELb0ES3_jPlPS6_PKS6_NS0_5tupleIJS9_S6_EEENSD_IJSA_SA_EEENS0_18inequality_wrapperIZN2at6native12_GLOBAL__N_124unique_dim_cuda_templateIiEESt5tupleIJNSH_6TensorESM_SM_EERKSM_lbbbEUlllE0_EEPmJS6_EEE10hipError_tPvRmT3_T4_T5_T6_T7_T9_mT8_P12ihipStream_tbDpT10_ENKUlT_T0_E_clISt17integral_constantIbLb0EES1B_IbLb1EEEEDaS17_S18_EUlS17_E_NS1_11comp_targetILNS1_3genE0ELNS1_11target_archE4294967295ELNS1_3gpuE0ELNS1_3repE0EEENS1_30default_config_static_selectorELNS0_4arch9wavefront6targetE1EEEvT1_.num_named_barrier, 0
	.set _ZN7rocprim17ROCPRIM_400000_NS6detail17trampoline_kernelINS0_14default_configENS1_25partition_config_selectorILNS1_17partition_subalgoE8ElNS0_10empty_typeEbEEZZNS1_14partition_implILS5_8ELb0ES3_jPlPS6_PKS6_NS0_5tupleIJS9_S6_EEENSD_IJSA_SA_EEENS0_18inequality_wrapperIZN2at6native12_GLOBAL__N_124unique_dim_cuda_templateIiEESt5tupleIJNSH_6TensorESM_SM_EERKSM_lbbbEUlllE0_EEPmJS6_EEE10hipError_tPvRmT3_T4_T5_T6_T7_T9_mT8_P12ihipStream_tbDpT10_ENKUlT_T0_E_clISt17integral_constantIbLb0EES1B_IbLb1EEEEDaS17_S18_EUlS17_E_NS1_11comp_targetILNS1_3genE0ELNS1_11target_archE4294967295ELNS1_3gpuE0ELNS1_3repE0EEENS1_30default_config_static_selectorELNS0_4arch9wavefront6targetE1EEEvT1_.private_seg_size, 0
	.set _ZN7rocprim17ROCPRIM_400000_NS6detail17trampoline_kernelINS0_14default_configENS1_25partition_config_selectorILNS1_17partition_subalgoE8ElNS0_10empty_typeEbEEZZNS1_14partition_implILS5_8ELb0ES3_jPlPS6_PKS6_NS0_5tupleIJS9_S6_EEENSD_IJSA_SA_EEENS0_18inequality_wrapperIZN2at6native12_GLOBAL__N_124unique_dim_cuda_templateIiEESt5tupleIJNSH_6TensorESM_SM_EERKSM_lbbbEUlllE0_EEPmJS6_EEE10hipError_tPvRmT3_T4_T5_T6_T7_T9_mT8_P12ihipStream_tbDpT10_ENKUlT_T0_E_clISt17integral_constantIbLb0EES1B_IbLb1EEEEDaS17_S18_EUlS17_E_NS1_11comp_targetILNS1_3genE0ELNS1_11target_archE4294967295ELNS1_3gpuE0ELNS1_3repE0EEENS1_30default_config_static_selectorELNS0_4arch9wavefront6targetE1EEEvT1_.uses_vcc, 1
	.set _ZN7rocprim17ROCPRIM_400000_NS6detail17trampoline_kernelINS0_14default_configENS1_25partition_config_selectorILNS1_17partition_subalgoE8ElNS0_10empty_typeEbEEZZNS1_14partition_implILS5_8ELb0ES3_jPlPS6_PKS6_NS0_5tupleIJS9_S6_EEENSD_IJSA_SA_EEENS0_18inequality_wrapperIZN2at6native12_GLOBAL__N_124unique_dim_cuda_templateIiEESt5tupleIJNSH_6TensorESM_SM_EERKSM_lbbbEUlllE0_EEPmJS6_EEE10hipError_tPvRmT3_T4_T5_T6_T7_T9_mT8_P12ihipStream_tbDpT10_ENKUlT_T0_E_clISt17integral_constantIbLb0EES1B_IbLb1EEEEDaS17_S18_EUlS17_E_NS1_11comp_targetILNS1_3genE0ELNS1_11target_archE4294967295ELNS1_3gpuE0ELNS1_3repE0EEENS1_30default_config_static_selectorELNS0_4arch9wavefront6targetE1EEEvT1_.uses_flat_scratch, 0
	.set _ZN7rocprim17ROCPRIM_400000_NS6detail17trampoline_kernelINS0_14default_configENS1_25partition_config_selectorILNS1_17partition_subalgoE8ElNS0_10empty_typeEbEEZZNS1_14partition_implILS5_8ELb0ES3_jPlPS6_PKS6_NS0_5tupleIJS9_S6_EEENSD_IJSA_SA_EEENS0_18inequality_wrapperIZN2at6native12_GLOBAL__N_124unique_dim_cuda_templateIiEESt5tupleIJNSH_6TensorESM_SM_EERKSM_lbbbEUlllE0_EEPmJS6_EEE10hipError_tPvRmT3_T4_T5_T6_T7_T9_mT8_P12ihipStream_tbDpT10_ENKUlT_T0_E_clISt17integral_constantIbLb0EES1B_IbLb1EEEEDaS17_S18_EUlS17_E_NS1_11comp_targetILNS1_3genE0ELNS1_11target_archE4294967295ELNS1_3gpuE0ELNS1_3repE0EEENS1_30default_config_static_selectorELNS0_4arch9wavefront6targetE1EEEvT1_.has_dyn_sized_stack, 0
	.set _ZN7rocprim17ROCPRIM_400000_NS6detail17trampoline_kernelINS0_14default_configENS1_25partition_config_selectorILNS1_17partition_subalgoE8ElNS0_10empty_typeEbEEZZNS1_14partition_implILS5_8ELb0ES3_jPlPS6_PKS6_NS0_5tupleIJS9_S6_EEENSD_IJSA_SA_EEENS0_18inequality_wrapperIZN2at6native12_GLOBAL__N_124unique_dim_cuda_templateIiEESt5tupleIJNSH_6TensorESM_SM_EERKSM_lbbbEUlllE0_EEPmJS6_EEE10hipError_tPvRmT3_T4_T5_T6_T7_T9_mT8_P12ihipStream_tbDpT10_ENKUlT_T0_E_clISt17integral_constantIbLb0EES1B_IbLb1EEEEDaS17_S18_EUlS17_E_NS1_11comp_targetILNS1_3genE0ELNS1_11target_archE4294967295ELNS1_3gpuE0ELNS1_3repE0EEENS1_30default_config_static_selectorELNS0_4arch9wavefront6targetE1EEEvT1_.has_recursion, 0
	.set _ZN7rocprim17ROCPRIM_400000_NS6detail17trampoline_kernelINS0_14default_configENS1_25partition_config_selectorILNS1_17partition_subalgoE8ElNS0_10empty_typeEbEEZZNS1_14partition_implILS5_8ELb0ES3_jPlPS6_PKS6_NS0_5tupleIJS9_S6_EEENSD_IJSA_SA_EEENS0_18inequality_wrapperIZN2at6native12_GLOBAL__N_124unique_dim_cuda_templateIiEESt5tupleIJNSH_6TensorESM_SM_EERKSM_lbbbEUlllE0_EEPmJS6_EEE10hipError_tPvRmT3_T4_T5_T6_T7_T9_mT8_P12ihipStream_tbDpT10_ENKUlT_T0_E_clISt17integral_constantIbLb0EES1B_IbLb1EEEEDaS17_S18_EUlS17_E_NS1_11comp_targetILNS1_3genE0ELNS1_11target_archE4294967295ELNS1_3gpuE0ELNS1_3repE0EEENS1_30default_config_static_selectorELNS0_4arch9wavefront6targetE1EEEvT1_.has_indirect_call, 0
	.section	.AMDGPU.csdata,"",@progbits
; Kernel info:
; codeLenInByte = 11008
; TotalNumSgprs: 60
; NumVgprs: 58
; NumAgprs: 0
; TotalNumVgprs: 58
; ScratchSize: 0
; MemoryBound: 0
; FloatMode: 240
; IeeeMode: 1
; LDSByteSize: 28680 bytes/workgroup (compile time only)
; SGPRBlocks: 7
; VGPRBlocks: 7
; NumSGPRsForWavesPerEU: 60
; NumVGPRsForWavesPerEU: 58
; AccumOffset: 60
; Occupancy: 8
; WaveLimiterHint : 1
; COMPUTE_PGM_RSRC2:SCRATCH_EN: 0
; COMPUTE_PGM_RSRC2:USER_SGPR: 2
; COMPUTE_PGM_RSRC2:TRAP_HANDLER: 0
; COMPUTE_PGM_RSRC2:TGID_X_EN: 1
; COMPUTE_PGM_RSRC2:TGID_Y_EN: 0
; COMPUTE_PGM_RSRC2:TGID_Z_EN: 0
; COMPUTE_PGM_RSRC2:TIDIG_COMP_CNT: 0
; COMPUTE_PGM_RSRC3_GFX90A:ACCUM_OFFSET: 14
; COMPUTE_PGM_RSRC3_GFX90A:TG_SPLIT: 0
	.section	.text._ZN7rocprim17ROCPRIM_400000_NS6detail17trampoline_kernelINS0_14default_configENS1_25partition_config_selectorILNS1_17partition_subalgoE8ElNS0_10empty_typeEbEEZZNS1_14partition_implILS5_8ELb0ES3_jPlPS6_PKS6_NS0_5tupleIJS9_S6_EEENSD_IJSA_SA_EEENS0_18inequality_wrapperIZN2at6native12_GLOBAL__N_124unique_dim_cuda_templateIiEESt5tupleIJNSH_6TensorESM_SM_EERKSM_lbbbEUlllE0_EEPmJS6_EEE10hipError_tPvRmT3_T4_T5_T6_T7_T9_mT8_P12ihipStream_tbDpT10_ENKUlT_T0_E_clISt17integral_constantIbLb0EES1B_IbLb1EEEEDaS17_S18_EUlS17_E_NS1_11comp_targetILNS1_3genE5ELNS1_11target_archE942ELNS1_3gpuE9ELNS1_3repE0EEENS1_30default_config_static_selectorELNS0_4arch9wavefront6targetE1EEEvT1_,"axG",@progbits,_ZN7rocprim17ROCPRIM_400000_NS6detail17trampoline_kernelINS0_14default_configENS1_25partition_config_selectorILNS1_17partition_subalgoE8ElNS0_10empty_typeEbEEZZNS1_14partition_implILS5_8ELb0ES3_jPlPS6_PKS6_NS0_5tupleIJS9_S6_EEENSD_IJSA_SA_EEENS0_18inequality_wrapperIZN2at6native12_GLOBAL__N_124unique_dim_cuda_templateIiEESt5tupleIJNSH_6TensorESM_SM_EERKSM_lbbbEUlllE0_EEPmJS6_EEE10hipError_tPvRmT3_T4_T5_T6_T7_T9_mT8_P12ihipStream_tbDpT10_ENKUlT_T0_E_clISt17integral_constantIbLb0EES1B_IbLb1EEEEDaS17_S18_EUlS17_E_NS1_11comp_targetILNS1_3genE5ELNS1_11target_archE942ELNS1_3gpuE9ELNS1_3repE0EEENS1_30default_config_static_selectorELNS0_4arch9wavefront6targetE1EEEvT1_,comdat
	.globl	_ZN7rocprim17ROCPRIM_400000_NS6detail17trampoline_kernelINS0_14default_configENS1_25partition_config_selectorILNS1_17partition_subalgoE8ElNS0_10empty_typeEbEEZZNS1_14partition_implILS5_8ELb0ES3_jPlPS6_PKS6_NS0_5tupleIJS9_S6_EEENSD_IJSA_SA_EEENS0_18inequality_wrapperIZN2at6native12_GLOBAL__N_124unique_dim_cuda_templateIiEESt5tupleIJNSH_6TensorESM_SM_EERKSM_lbbbEUlllE0_EEPmJS6_EEE10hipError_tPvRmT3_T4_T5_T6_T7_T9_mT8_P12ihipStream_tbDpT10_ENKUlT_T0_E_clISt17integral_constantIbLb0EES1B_IbLb1EEEEDaS17_S18_EUlS17_E_NS1_11comp_targetILNS1_3genE5ELNS1_11target_archE942ELNS1_3gpuE9ELNS1_3repE0EEENS1_30default_config_static_selectorELNS0_4arch9wavefront6targetE1EEEvT1_ ; -- Begin function _ZN7rocprim17ROCPRIM_400000_NS6detail17trampoline_kernelINS0_14default_configENS1_25partition_config_selectorILNS1_17partition_subalgoE8ElNS0_10empty_typeEbEEZZNS1_14partition_implILS5_8ELb0ES3_jPlPS6_PKS6_NS0_5tupleIJS9_S6_EEENSD_IJSA_SA_EEENS0_18inequality_wrapperIZN2at6native12_GLOBAL__N_124unique_dim_cuda_templateIiEESt5tupleIJNSH_6TensorESM_SM_EERKSM_lbbbEUlllE0_EEPmJS6_EEE10hipError_tPvRmT3_T4_T5_T6_T7_T9_mT8_P12ihipStream_tbDpT10_ENKUlT_T0_E_clISt17integral_constantIbLb0EES1B_IbLb1EEEEDaS17_S18_EUlS17_E_NS1_11comp_targetILNS1_3genE5ELNS1_11target_archE942ELNS1_3gpuE9ELNS1_3repE0EEENS1_30default_config_static_selectorELNS0_4arch9wavefront6targetE1EEEvT1_
	.p2align	8
	.type	_ZN7rocprim17ROCPRIM_400000_NS6detail17trampoline_kernelINS0_14default_configENS1_25partition_config_selectorILNS1_17partition_subalgoE8ElNS0_10empty_typeEbEEZZNS1_14partition_implILS5_8ELb0ES3_jPlPS6_PKS6_NS0_5tupleIJS9_S6_EEENSD_IJSA_SA_EEENS0_18inequality_wrapperIZN2at6native12_GLOBAL__N_124unique_dim_cuda_templateIiEESt5tupleIJNSH_6TensorESM_SM_EERKSM_lbbbEUlllE0_EEPmJS6_EEE10hipError_tPvRmT3_T4_T5_T6_T7_T9_mT8_P12ihipStream_tbDpT10_ENKUlT_T0_E_clISt17integral_constantIbLb0EES1B_IbLb1EEEEDaS17_S18_EUlS17_E_NS1_11comp_targetILNS1_3genE5ELNS1_11target_archE942ELNS1_3gpuE9ELNS1_3repE0EEENS1_30default_config_static_selectorELNS0_4arch9wavefront6targetE1EEEvT1_,@function
_ZN7rocprim17ROCPRIM_400000_NS6detail17trampoline_kernelINS0_14default_configENS1_25partition_config_selectorILNS1_17partition_subalgoE8ElNS0_10empty_typeEbEEZZNS1_14partition_implILS5_8ELb0ES3_jPlPS6_PKS6_NS0_5tupleIJS9_S6_EEENSD_IJSA_SA_EEENS0_18inequality_wrapperIZN2at6native12_GLOBAL__N_124unique_dim_cuda_templateIiEESt5tupleIJNSH_6TensorESM_SM_EERKSM_lbbbEUlllE0_EEPmJS6_EEE10hipError_tPvRmT3_T4_T5_T6_T7_T9_mT8_P12ihipStream_tbDpT10_ENKUlT_T0_E_clISt17integral_constantIbLb0EES1B_IbLb1EEEEDaS17_S18_EUlS17_E_NS1_11comp_targetILNS1_3genE5ELNS1_11target_archE942ELNS1_3gpuE9ELNS1_3repE0EEENS1_30default_config_static_selectorELNS0_4arch9wavefront6targetE1EEEvT1_: ; @_ZN7rocprim17ROCPRIM_400000_NS6detail17trampoline_kernelINS0_14default_configENS1_25partition_config_selectorILNS1_17partition_subalgoE8ElNS0_10empty_typeEbEEZZNS1_14partition_implILS5_8ELb0ES3_jPlPS6_PKS6_NS0_5tupleIJS9_S6_EEENSD_IJSA_SA_EEENS0_18inequality_wrapperIZN2at6native12_GLOBAL__N_124unique_dim_cuda_templateIiEESt5tupleIJNSH_6TensorESM_SM_EERKSM_lbbbEUlllE0_EEPmJS6_EEE10hipError_tPvRmT3_T4_T5_T6_T7_T9_mT8_P12ihipStream_tbDpT10_ENKUlT_T0_E_clISt17integral_constantIbLb0EES1B_IbLb1EEEEDaS17_S18_EUlS17_E_NS1_11comp_targetILNS1_3genE5ELNS1_11target_archE942ELNS1_3gpuE9ELNS1_3repE0EEENS1_30default_config_static_selectorELNS0_4arch9wavefront6targetE1EEEvT1_
; %bb.0:
	.section	.rodata,"a",@progbits
	.p2align	6, 0x0
	.amdhsa_kernel _ZN7rocprim17ROCPRIM_400000_NS6detail17trampoline_kernelINS0_14default_configENS1_25partition_config_selectorILNS1_17partition_subalgoE8ElNS0_10empty_typeEbEEZZNS1_14partition_implILS5_8ELb0ES3_jPlPS6_PKS6_NS0_5tupleIJS9_S6_EEENSD_IJSA_SA_EEENS0_18inequality_wrapperIZN2at6native12_GLOBAL__N_124unique_dim_cuda_templateIiEESt5tupleIJNSH_6TensorESM_SM_EERKSM_lbbbEUlllE0_EEPmJS6_EEE10hipError_tPvRmT3_T4_T5_T6_T7_T9_mT8_P12ihipStream_tbDpT10_ENKUlT_T0_E_clISt17integral_constantIbLb0EES1B_IbLb1EEEEDaS17_S18_EUlS17_E_NS1_11comp_targetILNS1_3genE5ELNS1_11target_archE942ELNS1_3gpuE9ELNS1_3repE0EEENS1_30default_config_static_selectorELNS0_4arch9wavefront6targetE1EEEvT1_
		.amdhsa_group_segment_fixed_size 0
		.amdhsa_private_segment_fixed_size 0
		.amdhsa_kernarg_size 136
		.amdhsa_user_sgpr_count 2
		.amdhsa_user_sgpr_dispatch_ptr 0
		.amdhsa_user_sgpr_queue_ptr 0
		.amdhsa_user_sgpr_kernarg_segment_ptr 1
		.amdhsa_user_sgpr_dispatch_id 0
		.amdhsa_user_sgpr_kernarg_preload_length 0
		.amdhsa_user_sgpr_kernarg_preload_offset 0
		.amdhsa_user_sgpr_private_segment_size 0
		.amdhsa_uses_dynamic_stack 0
		.amdhsa_enable_private_segment 0
		.amdhsa_system_sgpr_workgroup_id_x 1
		.amdhsa_system_sgpr_workgroup_id_y 0
		.amdhsa_system_sgpr_workgroup_id_z 0
		.amdhsa_system_sgpr_workgroup_info 0
		.amdhsa_system_vgpr_workitem_id 0
		.amdhsa_next_free_vgpr 1
		.amdhsa_next_free_sgpr 0
		.amdhsa_accum_offset 4
		.amdhsa_reserve_vcc 0
		.amdhsa_float_round_mode_32 0
		.amdhsa_float_round_mode_16_64 0
		.amdhsa_float_denorm_mode_32 3
		.amdhsa_float_denorm_mode_16_64 3
		.amdhsa_dx10_clamp 1
		.amdhsa_ieee_mode 1
		.amdhsa_fp16_overflow 0
		.amdhsa_tg_split 0
		.amdhsa_exception_fp_ieee_invalid_op 0
		.amdhsa_exception_fp_denorm_src 0
		.amdhsa_exception_fp_ieee_div_zero 0
		.amdhsa_exception_fp_ieee_overflow 0
		.amdhsa_exception_fp_ieee_underflow 0
		.amdhsa_exception_fp_ieee_inexact 0
		.amdhsa_exception_int_div_zero 0
	.end_amdhsa_kernel
	.section	.text._ZN7rocprim17ROCPRIM_400000_NS6detail17trampoline_kernelINS0_14default_configENS1_25partition_config_selectorILNS1_17partition_subalgoE8ElNS0_10empty_typeEbEEZZNS1_14partition_implILS5_8ELb0ES3_jPlPS6_PKS6_NS0_5tupleIJS9_S6_EEENSD_IJSA_SA_EEENS0_18inequality_wrapperIZN2at6native12_GLOBAL__N_124unique_dim_cuda_templateIiEESt5tupleIJNSH_6TensorESM_SM_EERKSM_lbbbEUlllE0_EEPmJS6_EEE10hipError_tPvRmT3_T4_T5_T6_T7_T9_mT8_P12ihipStream_tbDpT10_ENKUlT_T0_E_clISt17integral_constantIbLb0EES1B_IbLb1EEEEDaS17_S18_EUlS17_E_NS1_11comp_targetILNS1_3genE5ELNS1_11target_archE942ELNS1_3gpuE9ELNS1_3repE0EEENS1_30default_config_static_selectorELNS0_4arch9wavefront6targetE1EEEvT1_,"axG",@progbits,_ZN7rocprim17ROCPRIM_400000_NS6detail17trampoline_kernelINS0_14default_configENS1_25partition_config_selectorILNS1_17partition_subalgoE8ElNS0_10empty_typeEbEEZZNS1_14partition_implILS5_8ELb0ES3_jPlPS6_PKS6_NS0_5tupleIJS9_S6_EEENSD_IJSA_SA_EEENS0_18inequality_wrapperIZN2at6native12_GLOBAL__N_124unique_dim_cuda_templateIiEESt5tupleIJNSH_6TensorESM_SM_EERKSM_lbbbEUlllE0_EEPmJS6_EEE10hipError_tPvRmT3_T4_T5_T6_T7_T9_mT8_P12ihipStream_tbDpT10_ENKUlT_T0_E_clISt17integral_constantIbLb0EES1B_IbLb1EEEEDaS17_S18_EUlS17_E_NS1_11comp_targetILNS1_3genE5ELNS1_11target_archE942ELNS1_3gpuE9ELNS1_3repE0EEENS1_30default_config_static_selectorELNS0_4arch9wavefront6targetE1EEEvT1_,comdat
.Lfunc_end466:
	.size	_ZN7rocprim17ROCPRIM_400000_NS6detail17trampoline_kernelINS0_14default_configENS1_25partition_config_selectorILNS1_17partition_subalgoE8ElNS0_10empty_typeEbEEZZNS1_14partition_implILS5_8ELb0ES3_jPlPS6_PKS6_NS0_5tupleIJS9_S6_EEENSD_IJSA_SA_EEENS0_18inequality_wrapperIZN2at6native12_GLOBAL__N_124unique_dim_cuda_templateIiEESt5tupleIJNSH_6TensorESM_SM_EERKSM_lbbbEUlllE0_EEPmJS6_EEE10hipError_tPvRmT3_T4_T5_T6_T7_T9_mT8_P12ihipStream_tbDpT10_ENKUlT_T0_E_clISt17integral_constantIbLb0EES1B_IbLb1EEEEDaS17_S18_EUlS17_E_NS1_11comp_targetILNS1_3genE5ELNS1_11target_archE942ELNS1_3gpuE9ELNS1_3repE0EEENS1_30default_config_static_selectorELNS0_4arch9wavefront6targetE1EEEvT1_, .Lfunc_end466-_ZN7rocprim17ROCPRIM_400000_NS6detail17trampoline_kernelINS0_14default_configENS1_25partition_config_selectorILNS1_17partition_subalgoE8ElNS0_10empty_typeEbEEZZNS1_14partition_implILS5_8ELb0ES3_jPlPS6_PKS6_NS0_5tupleIJS9_S6_EEENSD_IJSA_SA_EEENS0_18inequality_wrapperIZN2at6native12_GLOBAL__N_124unique_dim_cuda_templateIiEESt5tupleIJNSH_6TensorESM_SM_EERKSM_lbbbEUlllE0_EEPmJS6_EEE10hipError_tPvRmT3_T4_T5_T6_T7_T9_mT8_P12ihipStream_tbDpT10_ENKUlT_T0_E_clISt17integral_constantIbLb0EES1B_IbLb1EEEEDaS17_S18_EUlS17_E_NS1_11comp_targetILNS1_3genE5ELNS1_11target_archE942ELNS1_3gpuE9ELNS1_3repE0EEENS1_30default_config_static_selectorELNS0_4arch9wavefront6targetE1EEEvT1_
                                        ; -- End function
	.set _ZN7rocprim17ROCPRIM_400000_NS6detail17trampoline_kernelINS0_14default_configENS1_25partition_config_selectorILNS1_17partition_subalgoE8ElNS0_10empty_typeEbEEZZNS1_14partition_implILS5_8ELb0ES3_jPlPS6_PKS6_NS0_5tupleIJS9_S6_EEENSD_IJSA_SA_EEENS0_18inequality_wrapperIZN2at6native12_GLOBAL__N_124unique_dim_cuda_templateIiEESt5tupleIJNSH_6TensorESM_SM_EERKSM_lbbbEUlllE0_EEPmJS6_EEE10hipError_tPvRmT3_T4_T5_T6_T7_T9_mT8_P12ihipStream_tbDpT10_ENKUlT_T0_E_clISt17integral_constantIbLb0EES1B_IbLb1EEEEDaS17_S18_EUlS17_E_NS1_11comp_targetILNS1_3genE5ELNS1_11target_archE942ELNS1_3gpuE9ELNS1_3repE0EEENS1_30default_config_static_selectorELNS0_4arch9wavefront6targetE1EEEvT1_.num_vgpr, 0
	.set _ZN7rocprim17ROCPRIM_400000_NS6detail17trampoline_kernelINS0_14default_configENS1_25partition_config_selectorILNS1_17partition_subalgoE8ElNS0_10empty_typeEbEEZZNS1_14partition_implILS5_8ELb0ES3_jPlPS6_PKS6_NS0_5tupleIJS9_S6_EEENSD_IJSA_SA_EEENS0_18inequality_wrapperIZN2at6native12_GLOBAL__N_124unique_dim_cuda_templateIiEESt5tupleIJNSH_6TensorESM_SM_EERKSM_lbbbEUlllE0_EEPmJS6_EEE10hipError_tPvRmT3_T4_T5_T6_T7_T9_mT8_P12ihipStream_tbDpT10_ENKUlT_T0_E_clISt17integral_constantIbLb0EES1B_IbLb1EEEEDaS17_S18_EUlS17_E_NS1_11comp_targetILNS1_3genE5ELNS1_11target_archE942ELNS1_3gpuE9ELNS1_3repE0EEENS1_30default_config_static_selectorELNS0_4arch9wavefront6targetE1EEEvT1_.num_agpr, 0
	.set _ZN7rocprim17ROCPRIM_400000_NS6detail17trampoline_kernelINS0_14default_configENS1_25partition_config_selectorILNS1_17partition_subalgoE8ElNS0_10empty_typeEbEEZZNS1_14partition_implILS5_8ELb0ES3_jPlPS6_PKS6_NS0_5tupleIJS9_S6_EEENSD_IJSA_SA_EEENS0_18inequality_wrapperIZN2at6native12_GLOBAL__N_124unique_dim_cuda_templateIiEESt5tupleIJNSH_6TensorESM_SM_EERKSM_lbbbEUlllE0_EEPmJS6_EEE10hipError_tPvRmT3_T4_T5_T6_T7_T9_mT8_P12ihipStream_tbDpT10_ENKUlT_T0_E_clISt17integral_constantIbLb0EES1B_IbLb1EEEEDaS17_S18_EUlS17_E_NS1_11comp_targetILNS1_3genE5ELNS1_11target_archE942ELNS1_3gpuE9ELNS1_3repE0EEENS1_30default_config_static_selectorELNS0_4arch9wavefront6targetE1EEEvT1_.numbered_sgpr, 0
	.set _ZN7rocprim17ROCPRIM_400000_NS6detail17trampoline_kernelINS0_14default_configENS1_25partition_config_selectorILNS1_17partition_subalgoE8ElNS0_10empty_typeEbEEZZNS1_14partition_implILS5_8ELb0ES3_jPlPS6_PKS6_NS0_5tupleIJS9_S6_EEENSD_IJSA_SA_EEENS0_18inequality_wrapperIZN2at6native12_GLOBAL__N_124unique_dim_cuda_templateIiEESt5tupleIJNSH_6TensorESM_SM_EERKSM_lbbbEUlllE0_EEPmJS6_EEE10hipError_tPvRmT3_T4_T5_T6_T7_T9_mT8_P12ihipStream_tbDpT10_ENKUlT_T0_E_clISt17integral_constantIbLb0EES1B_IbLb1EEEEDaS17_S18_EUlS17_E_NS1_11comp_targetILNS1_3genE5ELNS1_11target_archE942ELNS1_3gpuE9ELNS1_3repE0EEENS1_30default_config_static_selectorELNS0_4arch9wavefront6targetE1EEEvT1_.num_named_barrier, 0
	.set _ZN7rocprim17ROCPRIM_400000_NS6detail17trampoline_kernelINS0_14default_configENS1_25partition_config_selectorILNS1_17partition_subalgoE8ElNS0_10empty_typeEbEEZZNS1_14partition_implILS5_8ELb0ES3_jPlPS6_PKS6_NS0_5tupleIJS9_S6_EEENSD_IJSA_SA_EEENS0_18inequality_wrapperIZN2at6native12_GLOBAL__N_124unique_dim_cuda_templateIiEESt5tupleIJNSH_6TensorESM_SM_EERKSM_lbbbEUlllE0_EEPmJS6_EEE10hipError_tPvRmT3_T4_T5_T6_T7_T9_mT8_P12ihipStream_tbDpT10_ENKUlT_T0_E_clISt17integral_constantIbLb0EES1B_IbLb1EEEEDaS17_S18_EUlS17_E_NS1_11comp_targetILNS1_3genE5ELNS1_11target_archE942ELNS1_3gpuE9ELNS1_3repE0EEENS1_30default_config_static_selectorELNS0_4arch9wavefront6targetE1EEEvT1_.private_seg_size, 0
	.set _ZN7rocprim17ROCPRIM_400000_NS6detail17trampoline_kernelINS0_14default_configENS1_25partition_config_selectorILNS1_17partition_subalgoE8ElNS0_10empty_typeEbEEZZNS1_14partition_implILS5_8ELb0ES3_jPlPS6_PKS6_NS0_5tupleIJS9_S6_EEENSD_IJSA_SA_EEENS0_18inequality_wrapperIZN2at6native12_GLOBAL__N_124unique_dim_cuda_templateIiEESt5tupleIJNSH_6TensorESM_SM_EERKSM_lbbbEUlllE0_EEPmJS6_EEE10hipError_tPvRmT3_T4_T5_T6_T7_T9_mT8_P12ihipStream_tbDpT10_ENKUlT_T0_E_clISt17integral_constantIbLb0EES1B_IbLb1EEEEDaS17_S18_EUlS17_E_NS1_11comp_targetILNS1_3genE5ELNS1_11target_archE942ELNS1_3gpuE9ELNS1_3repE0EEENS1_30default_config_static_selectorELNS0_4arch9wavefront6targetE1EEEvT1_.uses_vcc, 0
	.set _ZN7rocprim17ROCPRIM_400000_NS6detail17trampoline_kernelINS0_14default_configENS1_25partition_config_selectorILNS1_17partition_subalgoE8ElNS0_10empty_typeEbEEZZNS1_14partition_implILS5_8ELb0ES3_jPlPS6_PKS6_NS0_5tupleIJS9_S6_EEENSD_IJSA_SA_EEENS0_18inequality_wrapperIZN2at6native12_GLOBAL__N_124unique_dim_cuda_templateIiEESt5tupleIJNSH_6TensorESM_SM_EERKSM_lbbbEUlllE0_EEPmJS6_EEE10hipError_tPvRmT3_T4_T5_T6_T7_T9_mT8_P12ihipStream_tbDpT10_ENKUlT_T0_E_clISt17integral_constantIbLb0EES1B_IbLb1EEEEDaS17_S18_EUlS17_E_NS1_11comp_targetILNS1_3genE5ELNS1_11target_archE942ELNS1_3gpuE9ELNS1_3repE0EEENS1_30default_config_static_selectorELNS0_4arch9wavefront6targetE1EEEvT1_.uses_flat_scratch, 0
	.set _ZN7rocprim17ROCPRIM_400000_NS6detail17trampoline_kernelINS0_14default_configENS1_25partition_config_selectorILNS1_17partition_subalgoE8ElNS0_10empty_typeEbEEZZNS1_14partition_implILS5_8ELb0ES3_jPlPS6_PKS6_NS0_5tupleIJS9_S6_EEENSD_IJSA_SA_EEENS0_18inequality_wrapperIZN2at6native12_GLOBAL__N_124unique_dim_cuda_templateIiEESt5tupleIJNSH_6TensorESM_SM_EERKSM_lbbbEUlllE0_EEPmJS6_EEE10hipError_tPvRmT3_T4_T5_T6_T7_T9_mT8_P12ihipStream_tbDpT10_ENKUlT_T0_E_clISt17integral_constantIbLb0EES1B_IbLb1EEEEDaS17_S18_EUlS17_E_NS1_11comp_targetILNS1_3genE5ELNS1_11target_archE942ELNS1_3gpuE9ELNS1_3repE0EEENS1_30default_config_static_selectorELNS0_4arch9wavefront6targetE1EEEvT1_.has_dyn_sized_stack, 0
	.set _ZN7rocprim17ROCPRIM_400000_NS6detail17trampoline_kernelINS0_14default_configENS1_25partition_config_selectorILNS1_17partition_subalgoE8ElNS0_10empty_typeEbEEZZNS1_14partition_implILS5_8ELb0ES3_jPlPS6_PKS6_NS0_5tupleIJS9_S6_EEENSD_IJSA_SA_EEENS0_18inequality_wrapperIZN2at6native12_GLOBAL__N_124unique_dim_cuda_templateIiEESt5tupleIJNSH_6TensorESM_SM_EERKSM_lbbbEUlllE0_EEPmJS6_EEE10hipError_tPvRmT3_T4_T5_T6_T7_T9_mT8_P12ihipStream_tbDpT10_ENKUlT_T0_E_clISt17integral_constantIbLb0EES1B_IbLb1EEEEDaS17_S18_EUlS17_E_NS1_11comp_targetILNS1_3genE5ELNS1_11target_archE942ELNS1_3gpuE9ELNS1_3repE0EEENS1_30default_config_static_selectorELNS0_4arch9wavefront6targetE1EEEvT1_.has_recursion, 0
	.set _ZN7rocprim17ROCPRIM_400000_NS6detail17trampoline_kernelINS0_14default_configENS1_25partition_config_selectorILNS1_17partition_subalgoE8ElNS0_10empty_typeEbEEZZNS1_14partition_implILS5_8ELb0ES3_jPlPS6_PKS6_NS0_5tupleIJS9_S6_EEENSD_IJSA_SA_EEENS0_18inequality_wrapperIZN2at6native12_GLOBAL__N_124unique_dim_cuda_templateIiEESt5tupleIJNSH_6TensorESM_SM_EERKSM_lbbbEUlllE0_EEPmJS6_EEE10hipError_tPvRmT3_T4_T5_T6_T7_T9_mT8_P12ihipStream_tbDpT10_ENKUlT_T0_E_clISt17integral_constantIbLb0EES1B_IbLb1EEEEDaS17_S18_EUlS17_E_NS1_11comp_targetILNS1_3genE5ELNS1_11target_archE942ELNS1_3gpuE9ELNS1_3repE0EEENS1_30default_config_static_selectorELNS0_4arch9wavefront6targetE1EEEvT1_.has_indirect_call, 0
	.section	.AMDGPU.csdata,"",@progbits
; Kernel info:
; codeLenInByte = 0
; TotalNumSgprs: 6
; NumVgprs: 0
; NumAgprs: 0
; TotalNumVgprs: 0
; ScratchSize: 0
; MemoryBound: 0
; FloatMode: 240
; IeeeMode: 1
; LDSByteSize: 0 bytes/workgroup (compile time only)
; SGPRBlocks: 0
; VGPRBlocks: 0
; NumSGPRsForWavesPerEU: 6
; NumVGPRsForWavesPerEU: 1
; AccumOffset: 4
; Occupancy: 8
; WaveLimiterHint : 0
; COMPUTE_PGM_RSRC2:SCRATCH_EN: 0
; COMPUTE_PGM_RSRC2:USER_SGPR: 2
; COMPUTE_PGM_RSRC2:TRAP_HANDLER: 0
; COMPUTE_PGM_RSRC2:TGID_X_EN: 1
; COMPUTE_PGM_RSRC2:TGID_Y_EN: 0
; COMPUTE_PGM_RSRC2:TGID_Z_EN: 0
; COMPUTE_PGM_RSRC2:TIDIG_COMP_CNT: 0
; COMPUTE_PGM_RSRC3_GFX90A:ACCUM_OFFSET: 0
; COMPUTE_PGM_RSRC3_GFX90A:TG_SPLIT: 0
	.section	.text._ZN7rocprim17ROCPRIM_400000_NS6detail17trampoline_kernelINS0_14default_configENS1_25partition_config_selectorILNS1_17partition_subalgoE8ElNS0_10empty_typeEbEEZZNS1_14partition_implILS5_8ELb0ES3_jPlPS6_PKS6_NS0_5tupleIJS9_S6_EEENSD_IJSA_SA_EEENS0_18inequality_wrapperIZN2at6native12_GLOBAL__N_124unique_dim_cuda_templateIiEESt5tupleIJNSH_6TensorESM_SM_EERKSM_lbbbEUlllE0_EEPmJS6_EEE10hipError_tPvRmT3_T4_T5_T6_T7_T9_mT8_P12ihipStream_tbDpT10_ENKUlT_T0_E_clISt17integral_constantIbLb0EES1B_IbLb1EEEEDaS17_S18_EUlS17_E_NS1_11comp_targetILNS1_3genE4ELNS1_11target_archE910ELNS1_3gpuE8ELNS1_3repE0EEENS1_30default_config_static_selectorELNS0_4arch9wavefront6targetE1EEEvT1_,"axG",@progbits,_ZN7rocprim17ROCPRIM_400000_NS6detail17trampoline_kernelINS0_14default_configENS1_25partition_config_selectorILNS1_17partition_subalgoE8ElNS0_10empty_typeEbEEZZNS1_14partition_implILS5_8ELb0ES3_jPlPS6_PKS6_NS0_5tupleIJS9_S6_EEENSD_IJSA_SA_EEENS0_18inequality_wrapperIZN2at6native12_GLOBAL__N_124unique_dim_cuda_templateIiEESt5tupleIJNSH_6TensorESM_SM_EERKSM_lbbbEUlllE0_EEPmJS6_EEE10hipError_tPvRmT3_T4_T5_T6_T7_T9_mT8_P12ihipStream_tbDpT10_ENKUlT_T0_E_clISt17integral_constantIbLb0EES1B_IbLb1EEEEDaS17_S18_EUlS17_E_NS1_11comp_targetILNS1_3genE4ELNS1_11target_archE910ELNS1_3gpuE8ELNS1_3repE0EEENS1_30default_config_static_selectorELNS0_4arch9wavefront6targetE1EEEvT1_,comdat
	.globl	_ZN7rocprim17ROCPRIM_400000_NS6detail17trampoline_kernelINS0_14default_configENS1_25partition_config_selectorILNS1_17partition_subalgoE8ElNS0_10empty_typeEbEEZZNS1_14partition_implILS5_8ELb0ES3_jPlPS6_PKS6_NS0_5tupleIJS9_S6_EEENSD_IJSA_SA_EEENS0_18inequality_wrapperIZN2at6native12_GLOBAL__N_124unique_dim_cuda_templateIiEESt5tupleIJNSH_6TensorESM_SM_EERKSM_lbbbEUlllE0_EEPmJS6_EEE10hipError_tPvRmT3_T4_T5_T6_T7_T9_mT8_P12ihipStream_tbDpT10_ENKUlT_T0_E_clISt17integral_constantIbLb0EES1B_IbLb1EEEEDaS17_S18_EUlS17_E_NS1_11comp_targetILNS1_3genE4ELNS1_11target_archE910ELNS1_3gpuE8ELNS1_3repE0EEENS1_30default_config_static_selectorELNS0_4arch9wavefront6targetE1EEEvT1_ ; -- Begin function _ZN7rocprim17ROCPRIM_400000_NS6detail17trampoline_kernelINS0_14default_configENS1_25partition_config_selectorILNS1_17partition_subalgoE8ElNS0_10empty_typeEbEEZZNS1_14partition_implILS5_8ELb0ES3_jPlPS6_PKS6_NS0_5tupleIJS9_S6_EEENSD_IJSA_SA_EEENS0_18inequality_wrapperIZN2at6native12_GLOBAL__N_124unique_dim_cuda_templateIiEESt5tupleIJNSH_6TensorESM_SM_EERKSM_lbbbEUlllE0_EEPmJS6_EEE10hipError_tPvRmT3_T4_T5_T6_T7_T9_mT8_P12ihipStream_tbDpT10_ENKUlT_T0_E_clISt17integral_constantIbLb0EES1B_IbLb1EEEEDaS17_S18_EUlS17_E_NS1_11comp_targetILNS1_3genE4ELNS1_11target_archE910ELNS1_3gpuE8ELNS1_3repE0EEENS1_30default_config_static_selectorELNS0_4arch9wavefront6targetE1EEEvT1_
	.p2align	8
	.type	_ZN7rocprim17ROCPRIM_400000_NS6detail17trampoline_kernelINS0_14default_configENS1_25partition_config_selectorILNS1_17partition_subalgoE8ElNS0_10empty_typeEbEEZZNS1_14partition_implILS5_8ELb0ES3_jPlPS6_PKS6_NS0_5tupleIJS9_S6_EEENSD_IJSA_SA_EEENS0_18inequality_wrapperIZN2at6native12_GLOBAL__N_124unique_dim_cuda_templateIiEESt5tupleIJNSH_6TensorESM_SM_EERKSM_lbbbEUlllE0_EEPmJS6_EEE10hipError_tPvRmT3_T4_T5_T6_T7_T9_mT8_P12ihipStream_tbDpT10_ENKUlT_T0_E_clISt17integral_constantIbLb0EES1B_IbLb1EEEEDaS17_S18_EUlS17_E_NS1_11comp_targetILNS1_3genE4ELNS1_11target_archE910ELNS1_3gpuE8ELNS1_3repE0EEENS1_30default_config_static_selectorELNS0_4arch9wavefront6targetE1EEEvT1_,@function
_ZN7rocprim17ROCPRIM_400000_NS6detail17trampoline_kernelINS0_14default_configENS1_25partition_config_selectorILNS1_17partition_subalgoE8ElNS0_10empty_typeEbEEZZNS1_14partition_implILS5_8ELb0ES3_jPlPS6_PKS6_NS0_5tupleIJS9_S6_EEENSD_IJSA_SA_EEENS0_18inequality_wrapperIZN2at6native12_GLOBAL__N_124unique_dim_cuda_templateIiEESt5tupleIJNSH_6TensorESM_SM_EERKSM_lbbbEUlllE0_EEPmJS6_EEE10hipError_tPvRmT3_T4_T5_T6_T7_T9_mT8_P12ihipStream_tbDpT10_ENKUlT_T0_E_clISt17integral_constantIbLb0EES1B_IbLb1EEEEDaS17_S18_EUlS17_E_NS1_11comp_targetILNS1_3genE4ELNS1_11target_archE910ELNS1_3gpuE8ELNS1_3repE0EEENS1_30default_config_static_selectorELNS0_4arch9wavefront6targetE1EEEvT1_: ; @_ZN7rocprim17ROCPRIM_400000_NS6detail17trampoline_kernelINS0_14default_configENS1_25partition_config_selectorILNS1_17partition_subalgoE8ElNS0_10empty_typeEbEEZZNS1_14partition_implILS5_8ELb0ES3_jPlPS6_PKS6_NS0_5tupleIJS9_S6_EEENSD_IJSA_SA_EEENS0_18inequality_wrapperIZN2at6native12_GLOBAL__N_124unique_dim_cuda_templateIiEESt5tupleIJNSH_6TensorESM_SM_EERKSM_lbbbEUlllE0_EEPmJS6_EEE10hipError_tPvRmT3_T4_T5_T6_T7_T9_mT8_P12ihipStream_tbDpT10_ENKUlT_T0_E_clISt17integral_constantIbLb0EES1B_IbLb1EEEEDaS17_S18_EUlS17_E_NS1_11comp_targetILNS1_3genE4ELNS1_11target_archE910ELNS1_3gpuE8ELNS1_3repE0EEENS1_30default_config_static_selectorELNS0_4arch9wavefront6targetE1EEEvT1_
; %bb.0:
	.section	.rodata,"a",@progbits
	.p2align	6, 0x0
	.amdhsa_kernel _ZN7rocprim17ROCPRIM_400000_NS6detail17trampoline_kernelINS0_14default_configENS1_25partition_config_selectorILNS1_17partition_subalgoE8ElNS0_10empty_typeEbEEZZNS1_14partition_implILS5_8ELb0ES3_jPlPS6_PKS6_NS0_5tupleIJS9_S6_EEENSD_IJSA_SA_EEENS0_18inequality_wrapperIZN2at6native12_GLOBAL__N_124unique_dim_cuda_templateIiEESt5tupleIJNSH_6TensorESM_SM_EERKSM_lbbbEUlllE0_EEPmJS6_EEE10hipError_tPvRmT3_T4_T5_T6_T7_T9_mT8_P12ihipStream_tbDpT10_ENKUlT_T0_E_clISt17integral_constantIbLb0EES1B_IbLb1EEEEDaS17_S18_EUlS17_E_NS1_11comp_targetILNS1_3genE4ELNS1_11target_archE910ELNS1_3gpuE8ELNS1_3repE0EEENS1_30default_config_static_selectorELNS0_4arch9wavefront6targetE1EEEvT1_
		.amdhsa_group_segment_fixed_size 0
		.amdhsa_private_segment_fixed_size 0
		.amdhsa_kernarg_size 136
		.amdhsa_user_sgpr_count 2
		.amdhsa_user_sgpr_dispatch_ptr 0
		.amdhsa_user_sgpr_queue_ptr 0
		.amdhsa_user_sgpr_kernarg_segment_ptr 1
		.amdhsa_user_sgpr_dispatch_id 0
		.amdhsa_user_sgpr_kernarg_preload_length 0
		.amdhsa_user_sgpr_kernarg_preload_offset 0
		.amdhsa_user_sgpr_private_segment_size 0
		.amdhsa_uses_dynamic_stack 0
		.amdhsa_enable_private_segment 0
		.amdhsa_system_sgpr_workgroup_id_x 1
		.amdhsa_system_sgpr_workgroup_id_y 0
		.amdhsa_system_sgpr_workgroup_id_z 0
		.amdhsa_system_sgpr_workgroup_info 0
		.amdhsa_system_vgpr_workitem_id 0
		.amdhsa_next_free_vgpr 1
		.amdhsa_next_free_sgpr 0
		.amdhsa_accum_offset 4
		.amdhsa_reserve_vcc 0
		.amdhsa_float_round_mode_32 0
		.amdhsa_float_round_mode_16_64 0
		.amdhsa_float_denorm_mode_32 3
		.amdhsa_float_denorm_mode_16_64 3
		.amdhsa_dx10_clamp 1
		.amdhsa_ieee_mode 1
		.amdhsa_fp16_overflow 0
		.amdhsa_tg_split 0
		.amdhsa_exception_fp_ieee_invalid_op 0
		.amdhsa_exception_fp_denorm_src 0
		.amdhsa_exception_fp_ieee_div_zero 0
		.amdhsa_exception_fp_ieee_overflow 0
		.amdhsa_exception_fp_ieee_underflow 0
		.amdhsa_exception_fp_ieee_inexact 0
		.amdhsa_exception_int_div_zero 0
	.end_amdhsa_kernel
	.section	.text._ZN7rocprim17ROCPRIM_400000_NS6detail17trampoline_kernelINS0_14default_configENS1_25partition_config_selectorILNS1_17partition_subalgoE8ElNS0_10empty_typeEbEEZZNS1_14partition_implILS5_8ELb0ES3_jPlPS6_PKS6_NS0_5tupleIJS9_S6_EEENSD_IJSA_SA_EEENS0_18inequality_wrapperIZN2at6native12_GLOBAL__N_124unique_dim_cuda_templateIiEESt5tupleIJNSH_6TensorESM_SM_EERKSM_lbbbEUlllE0_EEPmJS6_EEE10hipError_tPvRmT3_T4_T5_T6_T7_T9_mT8_P12ihipStream_tbDpT10_ENKUlT_T0_E_clISt17integral_constantIbLb0EES1B_IbLb1EEEEDaS17_S18_EUlS17_E_NS1_11comp_targetILNS1_3genE4ELNS1_11target_archE910ELNS1_3gpuE8ELNS1_3repE0EEENS1_30default_config_static_selectorELNS0_4arch9wavefront6targetE1EEEvT1_,"axG",@progbits,_ZN7rocprim17ROCPRIM_400000_NS6detail17trampoline_kernelINS0_14default_configENS1_25partition_config_selectorILNS1_17partition_subalgoE8ElNS0_10empty_typeEbEEZZNS1_14partition_implILS5_8ELb0ES3_jPlPS6_PKS6_NS0_5tupleIJS9_S6_EEENSD_IJSA_SA_EEENS0_18inequality_wrapperIZN2at6native12_GLOBAL__N_124unique_dim_cuda_templateIiEESt5tupleIJNSH_6TensorESM_SM_EERKSM_lbbbEUlllE0_EEPmJS6_EEE10hipError_tPvRmT3_T4_T5_T6_T7_T9_mT8_P12ihipStream_tbDpT10_ENKUlT_T0_E_clISt17integral_constantIbLb0EES1B_IbLb1EEEEDaS17_S18_EUlS17_E_NS1_11comp_targetILNS1_3genE4ELNS1_11target_archE910ELNS1_3gpuE8ELNS1_3repE0EEENS1_30default_config_static_selectorELNS0_4arch9wavefront6targetE1EEEvT1_,comdat
.Lfunc_end467:
	.size	_ZN7rocprim17ROCPRIM_400000_NS6detail17trampoline_kernelINS0_14default_configENS1_25partition_config_selectorILNS1_17partition_subalgoE8ElNS0_10empty_typeEbEEZZNS1_14partition_implILS5_8ELb0ES3_jPlPS6_PKS6_NS0_5tupleIJS9_S6_EEENSD_IJSA_SA_EEENS0_18inequality_wrapperIZN2at6native12_GLOBAL__N_124unique_dim_cuda_templateIiEESt5tupleIJNSH_6TensorESM_SM_EERKSM_lbbbEUlllE0_EEPmJS6_EEE10hipError_tPvRmT3_T4_T5_T6_T7_T9_mT8_P12ihipStream_tbDpT10_ENKUlT_T0_E_clISt17integral_constantIbLb0EES1B_IbLb1EEEEDaS17_S18_EUlS17_E_NS1_11comp_targetILNS1_3genE4ELNS1_11target_archE910ELNS1_3gpuE8ELNS1_3repE0EEENS1_30default_config_static_selectorELNS0_4arch9wavefront6targetE1EEEvT1_, .Lfunc_end467-_ZN7rocprim17ROCPRIM_400000_NS6detail17trampoline_kernelINS0_14default_configENS1_25partition_config_selectorILNS1_17partition_subalgoE8ElNS0_10empty_typeEbEEZZNS1_14partition_implILS5_8ELb0ES3_jPlPS6_PKS6_NS0_5tupleIJS9_S6_EEENSD_IJSA_SA_EEENS0_18inequality_wrapperIZN2at6native12_GLOBAL__N_124unique_dim_cuda_templateIiEESt5tupleIJNSH_6TensorESM_SM_EERKSM_lbbbEUlllE0_EEPmJS6_EEE10hipError_tPvRmT3_T4_T5_T6_T7_T9_mT8_P12ihipStream_tbDpT10_ENKUlT_T0_E_clISt17integral_constantIbLb0EES1B_IbLb1EEEEDaS17_S18_EUlS17_E_NS1_11comp_targetILNS1_3genE4ELNS1_11target_archE910ELNS1_3gpuE8ELNS1_3repE0EEENS1_30default_config_static_selectorELNS0_4arch9wavefront6targetE1EEEvT1_
                                        ; -- End function
	.set _ZN7rocprim17ROCPRIM_400000_NS6detail17trampoline_kernelINS0_14default_configENS1_25partition_config_selectorILNS1_17partition_subalgoE8ElNS0_10empty_typeEbEEZZNS1_14partition_implILS5_8ELb0ES3_jPlPS6_PKS6_NS0_5tupleIJS9_S6_EEENSD_IJSA_SA_EEENS0_18inequality_wrapperIZN2at6native12_GLOBAL__N_124unique_dim_cuda_templateIiEESt5tupleIJNSH_6TensorESM_SM_EERKSM_lbbbEUlllE0_EEPmJS6_EEE10hipError_tPvRmT3_T4_T5_T6_T7_T9_mT8_P12ihipStream_tbDpT10_ENKUlT_T0_E_clISt17integral_constantIbLb0EES1B_IbLb1EEEEDaS17_S18_EUlS17_E_NS1_11comp_targetILNS1_3genE4ELNS1_11target_archE910ELNS1_3gpuE8ELNS1_3repE0EEENS1_30default_config_static_selectorELNS0_4arch9wavefront6targetE1EEEvT1_.num_vgpr, 0
	.set _ZN7rocprim17ROCPRIM_400000_NS6detail17trampoline_kernelINS0_14default_configENS1_25partition_config_selectorILNS1_17partition_subalgoE8ElNS0_10empty_typeEbEEZZNS1_14partition_implILS5_8ELb0ES3_jPlPS6_PKS6_NS0_5tupleIJS9_S6_EEENSD_IJSA_SA_EEENS0_18inequality_wrapperIZN2at6native12_GLOBAL__N_124unique_dim_cuda_templateIiEESt5tupleIJNSH_6TensorESM_SM_EERKSM_lbbbEUlllE0_EEPmJS6_EEE10hipError_tPvRmT3_T4_T5_T6_T7_T9_mT8_P12ihipStream_tbDpT10_ENKUlT_T0_E_clISt17integral_constantIbLb0EES1B_IbLb1EEEEDaS17_S18_EUlS17_E_NS1_11comp_targetILNS1_3genE4ELNS1_11target_archE910ELNS1_3gpuE8ELNS1_3repE0EEENS1_30default_config_static_selectorELNS0_4arch9wavefront6targetE1EEEvT1_.num_agpr, 0
	.set _ZN7rocprim17ROCPRIM_400000_NS6detail17trampoline_kernelINS0_14default_configENS1_25partition_config_selectorILNS1_17partition_subalgoE8ElNS0_10empty_typeEbEEZZNS1_14partition_implILS5_8ELb0ES3_jPlPS6_PKS6_NS0_5tupleIJS9_S6_EEENSD_IJSA_SA_EEENS0_18inequality_wrapperIZN2at6native12_GLOBAL__N_124unique_dim_cuda_templateIiEESt5tupleIJNSH_6TensorESM_SM_EERKSM_lbbbEUlllE0_EEPmJS6_EEE10hipError_tPvRmT3_T4_T5_T6_T7_T9_mT8_P12ihipStream_tbDpT10_ENKUlT_T0_E_clISt17integral_constantIbLb0EES1B_IbLb1EEEEDaS17_S18_EUlS17_E_NS1_11comp_targetILNS1_3genE4ELNS1_11target_archE910ELNS1_3gpuE8ELNS1_3repE0EEENS1_30default_config_static_selectorELNS0_4arch9wavefront6targetE1EEEvT1_.numbered_sgpr, 0
	.set _ZN7rocprim17ROCPRIM_400000_NS6detail17trampoline_kernelINS0_14default_configENS1_25partition_config_selectorILNS1_17partition_subalgoE8ElNS0_10empty_typeEbEEZZNS1_14partition_implILS5_8ELb0ES3_jPlPS6_PKS6_NS0_5tupleIJS9_S6_EEENSD_IJSA_SA_EEENS0_18inequality_wrapperIZN2at6native12_GLOBAL__N_124unique_dim_cuda_templateIiEESt5tupleIJNSH_6TensorESM_SM_EERKSM_lbbbEUlllE0_EEPmJS6_EEE10hipError_tPvRmT3_T4_T5_T6_T7_T9_mT8_P12ihipStream_tbDpT10_ENKUlT_T0_E_clISt17integral_constantIbLb0EES1B_IbLb1EEEEDaS17_S18_EUlS17_E_NS1_11comp_targetILNS1_3genE4ELNS1_11target_archE910ELNS1_3gpuE8ELNS1_3repE0EEENS1_30default_config_static_selectorELNS0_4arch9wavefront6targetE1EEEvT1_.num_named_barrier, 0
	.set _ZN7rocprim17ROCPRIM_400000_NS6detail17trampoline_kernelINS0_14default_configENS1_25partition_config_selectorILNS1_17partition_subalgoE8ElNS0_10empty_typeEbEEZZNS1_14partition_implILS5_8ELb0ES3_jPlPS6_PKS6_NS0_5tupleIJS9_S6_EEENSD_IJSA_SA_EEENS0_18inequality_wrapperIZN2at6native12_GLOBAL__N_124unique_dim_cuda_templateIiEESt5tupleIJNSH_6TensorESM_SM_EERKSM_lbbbEUlllE0_EEPmJS6_EEE10hipError_tPvRmT3_T4_T5_T6_T7_T9_mT8_P12ihipStream_tbDpT10_ENKUlT_T0_E_clISt17integral_constantIbLb0EES1B_IbLb1EEEEDaS17_S18_EUlS17_E_NS1_11comp_targetILNS1_3genE4ELNS1_11target_archE910ELNS1_3gpuE8ELNS1_3repE0EEENS1_30default_config_static_selectorELNS0_4arch9wavefront6targetE1EEEvT1_.private_seg_size, 0
	.set _ZN7rocprim17ROCPRIM_400000_NS6detail17trampoline_kernelINS0_14default_configENS1_25partition_config_selectorILNS1_17partition_subalgoE8ElNS0_10empty_typeEbEEZZNS1_14partition_implILS5_8ELb0ES3_jPlPS6_PKS6_NS0_5tupleIJS9_S6_EEENSD_IJSA_SA_EEENS0_18inequality_wrapperIZN2at6native12_GLOBAL__N_124unique_dim_cuda_templateIiEESt5tupleIJNSH_6TensorESM_SM_EERKSM_lbbbEUlllE0_EEPmJS6_EEE10hipError_tPvRmT3_T4_T5_T6_T7_T9_mT8_P12ihipStream_tbDpT10_ENKUlT_T0_E_clISt17integral_constantIbLb0EES1B_IbLb1EEEEDaS17_S18_EUlS17_E_NS1_11comp_targetILNS1_3genE4ELNS1_11target_archE910ELNS1_3gpuE8ELNS1_3repE0EEENS1_30default_config_static_selectorELNS0_4arch9wavefront6targetE1EEEvT1_.uses_vcc, 0
	.set _ZN7rocprim17ROCPRIM_400000_NS6detail17trampoline_kernelINS0_14default_configENS1_25partition_config_selectorILNS1_17partition_subalgoE8ElNS0_10empty_typeEbEEZZNS1_14partition_implILS5_8ELb0ES3_jPlPS6_PKS6_NS0_5tupleIJS9_S6_EEENSD_IJSA_SA_EEENS0_18inequality_wrapperIZN2at6native12_GLOBAL__N_124unique_dim_cuda_templateIiEESt5tupleIJNSH_6TensorESM_SM_EERKSM_lbbbEUlllE0_EEPmJS6_EEE10hipError_tPvRmT3_T4_T5_T6_T7_T9_mT8_P12ihipStream_tbDpT10_ENKUlT_T0_E_clISt17integral_constantIbLb0EES1B_IbLb1EEEEDaS17_S18_EUlS17_E_NS1_11comp_targetILNS1_3genE4ELNS1_11target_archE910ELNS1_3gpuE8ELNS1_3repE0EEENS1_30default_config_static_selectorELNS0_4arch9wavefront6targetE1EEEvT1_.uses_flat_scratch, 0
	.set _ZN7rocprim17ROCPRIM_400000_NS6detail17trampoline_kernelINS0_14default_configENS1_25partition_config_selectorILNS1_17partition_subalgoE8ElNS0_10empty_typeEbEEZZNS1_14partition_implILS5_8ELb0ES3_jPlPS6_PKS6_NS0_5tupleIJS9_S6_EEENSD_IJSA_SA_EEENS0_18inequality_wrapperIZN2at6native12_GLOBAL__N_124unique_dim_cuda_templateIiEESt5tupleIJNSH_6TensorESM_SM_EERKSM_lbbbEUlllE0_EEPmJS6_EEE10hipError_tPvRmT3_T4_T5_T6_T7_T9_mT8_P12ihipStream_tbDpT10_ENKUlT_T0_E_clISt17integral_constantIbLb0EES1B_IbLb1EEEEDaS17_S18_EUlS17_E_NS1_11comp_targetILNS1_3genE4ELNS1_11target_archE910ELNS1_3gpuE8ELNS1_3repE0EEENS1_30default_config_static_selectorELNS0_4arch9wavefront6targetE1EEEvT1_.has_dyn_sized_stack, 0
	.set _ZN7rocprim17ROCPRIM_400000_NS6detail17trampoline_kernelINS0_14default_configENS1_25partition_config_selectorILNS1_17partition_subalgoE8ElNS0_10empty_typeEbEEZZNS1_14partition_implILS5_8ELb0ES3_jPlPS6_PKS6_NS0_5tupleIJS9_S6_EEENSD_IJSA_SA_EEENS0_18inequality_wrapperIZN2at6native12_GLOBAL__N_124unique_dim_cuda_templateIiEESt5tupleIJNSH_6TensorESM_SM_EERKSM_lbbbEUlllE0_EEPmJS6_EEE10hipError_tPvRmT3_T4_T5_T6_T7_T9_mT8_P12ihipStream_tbDpT10_ENKUlT_T0_E_clISt17integral_constantIbLb0EES1B_IbLb1EEEEDaS17_S18_EUlS17_E_NS1_11comp_targetILNS1_3genE4ELNS1_11target_archE910ELNS1_3gpuE8ELNS1_3repE0EEENS1_30default_config_static_selectorELNS0_4arch9wavefront6targetE1EEEvT1_.has_recursion, 0
	.set _ZN7rocprim17ROCPRIM_400000_NS6detail17trampoline_kernelINS0_14default_configENS1_25partition_config_selectorILNS1_17partition_subalgoE8ElNS0_10empty_typeEbEEZZNS1_14partition_implILS5_8ELb0ES3_jPlPS6_PKS6_NS0_5tupleIJS9_S6_EEENSD_IJSA_SA_EEENS0_18inequality_wrapperIZN2at6native12_GLOBAL__N_124unique_dim_cuda_templateIiEESt5tupleIJNSH_6TensorESM_SM_EERKSM_lbbbEUlllE0_EEPmJS6_EEE10hipError_tPvRmT3_T4_T5_T6_T7_T9_mT8_P12ihipStream_tbDpT10_ENKUlT_T0_E_clISt17integral_constantIbLb0EES1B_IbLb1EEEEDaS17_S18_EUlS17_E_NS1_11comp_targetILNS1_3genE4ELNS1_11target_archE910ELNS1_3gpuE8ELNS1_3repE0EEENS1_30default_config_static_selectorELNS0_4arch9wavefront6targetE1EEEvT1_.has_indirect_call, 0
	.section	.AMDGPU.csdata,"",@progbits
; Kernel info:
; codeLenInByte = 0
; TotalNumSgprs: 6
; NumVgprs: 0
; NumAgprs: 0
; TotalNumVgprs: 0
; ScratchSize: 0
; MemoryBound: 0
; FloatMode: 240
; IeeeMode: 1
; LDSByteSize: 0 bytes/workgroup (compile time only)
; SGPRBlocks: 0
; VGPRBlocks: 0
; NumSGPRsForWavesPerEU: 6
; NumVGPRsForWavesPerEU: 1
; AccumOffset: 4
; Occupancy: 8
; WaveLimiterHint : 0
; COMPUTE_PGM_RSRC2:SCRATCH_EN: 0
; COMPUTE_PGM_RSRC2:USER_SGPR: 2
; COMPUTE_PGM_RSRC2:TRAP_HANDLER: 0
; COMPUTE_PGM_RSRC2:TGID_X_EN: 1
; COMPUTE_PGM_RSRC2:TGID_Y_EN: 0
; COMPUTE_PGM_RSRC2:TGID_Z_EN: 0
; COMPUTE_PGM_RSRC2:TIDIG_COMP_CNT: 0
; COMPUTE_PGM_RSRC3_GFX90A:ACCUM_OFFSET: 0
; COMPUTE_PGM_RSRC3_GFX90A:TG_SPLIT: 0
	.section	.text._ZN7rocprim17ROCPRIM_400000_NS6detail17trampoline_kernelINS0_14default_configENS1_25partition_config_selectorILNS1_17partition_subalgoE8ElNS0_10empty_typeEbEEZZNS1_14partition_implILS5_8ELb0ES3_jPlPS6_PKS6_NS0_5tupleIJS9_S6_EEENSD_IJSA_SA_EEENS0_18inequality_wrapperIZN2at6native12_GLOBAL__N_124unique_dim_cuda_templateIiEESt5tupleIJNSH_6TensorESM_SM_EERKSM_lbbbEUlllE0_EEPmJS6_EEE10hipError_tPvRmT3_T4_T5_T6_T7_T9_mT8_P12ihipStream_tbDpT10_ENKUlT_T0_E_clISt17integral_constantIbLb0EES1B_IbLb1EEEEDaS17_S18_EUlS17_E_NS1_11comp_targetILNS1_3genE3ELNS1_11target_archE908ELNS1_3gpuE7ELNS1_3repE0EEENS1_30default_config_static_selectorELNS0_4arch9wavefront6targetE1EEEvT1_,"axG",@progbits,_ZN7rocprim17ROCPRIM_400000_NS6detail17trampoline_kernelINS0_14default_configENS1_25partition_config_selectorILNS1_17partition_subalgoE8ElNS0_10empty_typeEbEEZZNS1_14partition_implILS5_8ELb0ES3_jPlPS6_PKS6_NS0_5tupleIJS9_S6_EEENSD_IJSA_SA_EEENS0_18inequality_wrapperIZN2at6native12_GLOBAL__N_124unique_dim_cuda_templateIiEESt5tupleIJNSH_6TensorESM_SM_EERKSM_lbbbEUlllE0_EEPmJS6_EEE10hipError_tPvRmT3_T4_T5_T6_T7_T9_mT8_P12ihipStream_tbDpT10_ENKUlT_T0_E_clISt17integral_constantIbLb0EES1B_IbLb1EEEEDaS17_S18_EUlS17_E_NS1_11comp_targetILNS1_3genE3ELNS1_11target_archE908ELNS1_3gpuE7ELNS1_3repE0EEENS1_30default_config_static_selectorELNS0_4arch9wavefront6targetE1EEEvT1_,comdat
	.globl	_ZN7rocprim17ROCPRIM_400000_NS6detail17trampoline_kernelINS0_14default_configENS1_25partition_config_selectorILNS1_17partition_subalgoE8ElNS0_10empty_typeEbEEZZNS1_14partition_implILS5_8ELb0ES3_jPlPS6_PKS6_NS0_5tupleIJS9_S6_EEENSD_IJSA_SA_EEENS0_18inequality_wrapperIZN2at6native12_GLOBAL__N_124unique_dim_cuda_templateIiEESt5tupleIJNSH_6TensorESM_SM_EERKSM_lbbbEUlllE0_EEPmJS6_EEE10hipError_tPvRmT3_T4_T5_T6_T7_T9_mT8_P12ihipStream_tbDpT10_ENKUlT_T0_E_clISt17integral_constantIbLb0EES1B_IbLb1EEEEDaS17_S18_EUlS17_E_NS1_11comp_targetILNS1_3genE3ELNS1_11target_archE908ELNS1_3gpuE7ELNS1_3repE0EEENS1_30default_config_static_selectorELNS0_4arch9wavefront6targetE1EEEvT1_ ; -- Begin function _ZN7rocprim17ROCPRIM_400000_NS6detail17trampoline_kernelINS0_14default_configENS1_25partition_config_selectorILNS1_17partition_subalgoE8ElNS0_10empty_typeEbEEZZNS1_14partition_implILS5_8ELb0ES3_jPlPS6_PKS6_NS0_5tupleIJS9_S6_EEENSD_IJSA_SA_EEENS0_18inequality_wrapperIZN2at6native12_GLOBAL__N_124unique_dim_cuda_templateIiEESt5tupleIJNSH_6TensorESM_SM_EERKSM_lbbbEUlllE0_EEPmJS6_EEE10hipError_tPvRmT3_T4_T5_T6_T7_T9_mT8_P12ihipStream_tbDpT10_ENKUlT_T0_E_clISt17integral_constantIbLb0EES1B_IbLb1EEEEDaS17_S18_EUlS17_E_NS1_11comp_targetILNS1_3genE3ELNS1_11target_archE908ELNS1_3gpuE7ELNS1_3repE0EEENS1_30default_config_static_selectorELNS0_4arch9wavefront6targetE1EEEvT1_
	.p2align	8
	.type	_ZN7rocprim17ROCPRIM_400000_NS6detail17trampoline_kernelINS0_14default_configENS1_25partition_config_selectorILNS1_17partition_subalgoE8ElNS0_10empty_typeEbEEZZNS1_14partition_implILS5_8ELb0ES3_jPlPS6_PKS6_NS0_5tupleIJS9_S6_EEENSD_IJSA_SA_EEENS0_18inequality_wrapperIZN2at6native12_GLOBAL__N_124unique_dim_cuda_templateIiEESt5tupleIJNSH_6TensorESM_SM_EERKSM_lbbbEUlllE0_EEPmJS6_EEE10hipError_tPvRmT3_T4_T5_T6_T7_T9_mT8_P12ihipStream_tbDpT10_ENKUlT_T0_E_clISt17integral_constantIbLb0EES1B_IbLb1EEEEDaS17_S18_EUlS17_E_NS1_11comp_targetILNS1_3genE3ELNS1_11target_archE908ELNS1_3gpuE7ELNS1_3repE0EEENS1_30default_config_static_selectorELNS0_4arch9wavefront6targetE1EEEvT1_,@function
_ZN7rocprim17ROCPRIM_400000_NS6detail17trampoline_kernelINS0_14default_configENS1_25partition_config_selectorILNS1_17partition_subalgoE8ElNS0_10empty_typeEbEEZZNS1_14partition_implILS5_8ELb0ES3_jPlPS6_PKS6_NS0_5tupleIJS9_S6_EEENSD_IJSA_SA_EEENS0_18inequality_wrapperIZN2at6native12_GLOBAL__N_124unique_dim_cuda_templateIiEESt5tupleIJNSH_6TensorESM_SM_EERKSM_lbbbEUlllE0_EEPmJS6_EEE10hipError_tPvRmT3_T4_T5_T6_T7_T9_mT8_P12ihipStream_tbDpT10_ENKUlT_T0_E_clISt17integral_constantIbLb0EES1B_IbLb1EEEEDaS17_S18_EUlS17_E_NS1_11comp_targetILNS1_3genE3ELNS1_11target_archE908ELNS1_3gpuE7ELNS1_3repE0EEENS1_30default_config_static_selectorELNS0_4arch9wavefront6targetE1EEEvT1_: ; @_ZN7rocprim17ROCPRIM_400000_NS6detail17trampoline_kernelINS0_14default_configENS1_25partition_config_selectorILNS1_17partition_subalgoE8ElNS0_10empty_typeEbEEZZNS1_14partition_implILS5_8ELb0ES3_jPlPS6_PKS6_NS0_5tupleIJS9_S6_EEENSD_IJSA_SA_EEENS0_18inequality_wrapperIZN2at6native12_GLOBAL__N_124unique_dim_cuda_templateIiEESt5tupleIJNSH_6TensorESM_SM_EERKSM_lbbbEUlllE0_EEPmJS6_EEE10hipError_tPvRmT3_T4_T5_T6_T7_T9_mT8_P12ihipStream_tbDpT10_ENKUlT_T0_E_clISt17integral_constantIbLb0EES1B_IbLb1EEEEDaS17_S18_EUlS17_E_NS1_11comp_targetILNS1_3genE3ELNS1_11target_archE908ELNS1_3gpuE7ELNS1_3repE0EEENS1_30default_config_static_selectorELNS0_4arch9wavefront6targetE1EEEvT1_
; %bb.0:
	.section	.rodata,"a",@progbits
	.p2align	6, 0x0
	.amdhsa_kernel _ZN7rocprim17ROCPRIM_400000_NS6detail17trampoline_kernelINS0_14default_configENS1_25partition_config_selectorILNS1_17partition_subalgoE8ElNS0_10empty_typeEbEEZZNS1_14partition_implILS5_8ELb0ES3_jPlPS6_PKS6_NS0_5tupleIJS9_S6_EEENSD_IJSA_SA_EEENS0_18inequality_wrapperIZN2at6native12_GLOBAL__N_124unique_dim_cuda_templateIiEESt5tupleIJNSH_6TensorESM_SM_EERKSM_lbbbEUlllE0_EEPmJS6_EEE10hipError_tPvRmT3_T4_T5_T6_T7_T9_mT8_P12ihipStream_tbDpT10_ENKUlT_T0_E_clISt17integral_constantIbLb0EES1B_IbLb1EEEEDaS17_S18_EUlS17_E_NS1_11comp_targetILNS1_3genE3ELNS1_11target_archE908ELNS1_3gpuE7ELNS1_3repE0EEENS1_30default_config_static_selectorELNS0_4arch9wavefront6targetE1EEEvT1_
		.amdhsa_group_segment_fixed_size 0
		.amdhsa_private_segment_fixed_size 0
		.amdhsa_kernarg_size 136
		.amdhsa_user_sgpr_count 2
		.amdhsa_user_sgpr_dispatch_ptr 0
		.amdhsa_user_sgpr_queue_ptr 0
		.amdhsa_user_sgpr_kernarg_segment_ptr 1
		.amdhsa_user_sgpr_dispatch_id 0
		.amdhsa_user_sgpr_kernarg_preload_length 0
		.amdhsa_user_sgpr_kernarg_preload_offset 0
		.amdhsa_user_sgpr_private_segment_size 0
		.amdhsa_uses_dynamic_stack 0
		.amdhsa_enable_private_segment 0
		.amdhsa_system_sgpr_workgroup_id_x 1
		.amdhsa_system_sgpr_workgroup_id_y 0
		.amdhsa_system_sgpr_workgroup_id_z 0
		.amdhsa_system_sgpr_workgroup_info 0
		.amdhsa_system_vgpr_workitem_id 0
		.amdhsa_next_free_vgpr 1
		.amdhsa_next_free_sgpr 0
		.amdhsa_accum_offset 4
		.amdhsa_reserve_vcc 0
		.amdhsa_float_round_mode_32 0
		.amdhsa_float_round_mode_16_64 0
		.amdhsa_float_denorm_mode_32 3
		.amdhsa_float_denorm_mode_16_64 3
		.amdhsa_dx10_clamp 1
		.amdhsa_ieee_mode 1
		.amdhsa_fp16_overflow 0
		.amdhsa_tg_split 0
		.amdhsa_exception_fp_ieee_invalid_op 0
		.amdhsa_exception_fp_denorm_src 0
		.amdhsa_exception_fp_ieee_div_zero 0
		.amdhsa_exception_fp_ieee_overflow 0
		.amdhsa_exception_fp_ieee_underflow 0
		.amdhsa_exception_fp_ieee_inexact 0
		.amdhsa_exception_int_div_zero 0
	.end_amdhsa_kernel
	.section	.text._ZN7rocprim17ROCPRIM_400000_NS6detail17trampoline_kernelINS0_14default_configENS1_25partition_config_selectorILNS1_17partition_subalgoE8ElNS0_10empty_typeEbEEZZNS1_14partition_implILS5_8ELb0ES3_jPlPS6_PKS6_NS0_5tupleIJS9_S6_EEENSD_IJSA_SA_EEENS0_18inequality_wrapperIZN2at6native12_GLOBAL__N_124unique_dim_cuda_templateIiEESt5tupleIJNSH_6TensorESM_SM_EERKSM_lbbbEUlllE0_EEPmJS6_EEE10hipError_tPvRmT3_T4_T5_T6_T7_T9_mT8_P12ihipStream_tbDpT10_ENKUlT_T0_E_clISt17integral_constantIbLb0EES1B_IbLb1EEEEDaS17_S18_EUlS17_E_NS1_11comp_targetILNS1_3genE3ELNS1_11target_archE908ELNS1_3gpuE7ELNS1_3repE0EEENS1_30default_config_static_selectorELNS0_4arch9wavefront6targetE1EEEvT1_,"axG",@progbits,_ZN7rocprim17ROCPRIM_400000_NS6detail17trampoline_kernelINS0_14default_configENS1_25partition_config_selectorILNS1_17partition_subalgoE8ElNS0_10empty_typeEbEEZZNS1_14partition_implILS5_8ELb0ES3_jPlPS6_PKS6_NS0_5tupleIJS9_S6_EEENSD_IJSA_SA_EEENS0_18inequality_wrapperIZN2at6native12_GLOBAL__N_124unique_dim_cuda_templateIiEESt5tupleIJNSH_6TensorESM_SM_EERKSM_lbbbEUlllE0_EEPmJS6_EEE10hipError_tPvRmT3_T4_T5_T6_T7_T9_mT8_P12ihipStream_tbDpT10_ENKUlT_T0_E_clISt17integral_constantIbLb0EES1B_IbLb1EEEEDaS17_S18_EUlS17_E_NS1_11comp_targetILNS1_3genE3ELNS1_11target_archE908ELNS1_3gpuE7ELNS1_3repE0EEENS1_30default_config_static_selectorELNS0_4arch9wavefront6targetE1EEEvT1_,comdat
.Lfunc_end468:
	.size	_ZN7rocprim17ROCPRIM_400000_NS6detail17trampoline_kernelINS0_14default_configENS1_25partition_config_selectorILNS1_17partition_subalgoE8ElNS0_10empty_typeEbEEZZNS1_14partition_implILS5_8ELb0ES3_jPlPS6_PKS6_NS0_5tupleIJS9_S6_EEENSD_IJSA_SA_EEENS0_18inequality_wrapperIZN2at6native12_GLOBAL__N_124unique_dim_cuda_templateIiEESt5tupleIJNSH_6TensorESM_SM_EERKSM_lbbbEUlllE0_EEPmJS6_EEE10hipError_tPvRmT3_T4_T5_T6_T7_T9_mT8_P12ihipStream_tbDpT10_ENKUlT_T0_E_clISt17integral_constantIbLb0EES1B_IbLb1EEEEDaS17_S18_EUlS17_E_NS1_11comp_targetILNS1_3genE3ELNS1_11target_archE908ELNS1_3gpuE7ELNS1_3repE0EEENS1_30default_config_static_selectorELNS0_4arch9wavefront6targetE1EEEvT1_, .Lfunc_end468-_ZN7rocprim17ROCPRIM_400000_NS6detail17trampoline_kernelINS0_14default_configENS1_25partition_config_selectorILNS1_17partition_subalgoE8ElNS0_10empty_typeEbEEZZNS1_14partition_implILS5_8ELb0ES3_jPlPS6_PKS6_NS0_5tupleIJS9_S6_EEENSD_IJSA_SA_EEENS0_18inequality_wrapperIZN2at6native12_GLOBAL__N_124unique_dim_cuda_templateIiEESt5tupleIJNSH_6TensorESM_SM_EERKSM_lbbbEUlllE0_EEPmJS6_EEE10hipError_tPvRmT3_T4_T5_T6_T7_T9_mT8_P12ihipStream_tbDpT10_ENKUlT_T0_E_clISt17integral_constantIbLb0EES1B_IbLb1EEEEDaS17_S18_EUlS17_E_NS1_11comp_targetILNS1_3genE3ELNS1_11target_archE908ELNS1_3gpuE7ELNS1_3repE0EEENS1_30default_config_static_selectorELNS0_4arch9wavefront6targetE1EEEvT1_
                                        ; -- End function
	.set _ZN7rocprim17ROCPRIM_400000_NS6detail17trampoline_kernelINS0_14default_configENS1_25partition_config_selectorILNS1_17partition_subalgoE8ElNS0_10empty_typeEbEEZZNS1_14partition_implILS5_8ELb0ES3_jPlPS6_PKS6_NS0_5tupleIJS9_S6_EEENSD_IJSA_SA_EEENS0_18inequality_wrapperIZN2at6native12_GLOBAL__N_124unique_dim_cuda_templateIiEESt5tupleIJNSH_6TensorESM_SM_EERKSM_lbbbEUlllE0_EEPmJS6_EEE10hipError_tPvRmT3_T4_T5_T6_T7_T9_mT8_P12ihipStream_tbDpT10_ENKUlT_T0_E_clISt17integral_constantIbLb0EES1B_IbLb1EEEEDaS17_S18_EUlS17_E_NS1_11comp_targetILNS1_3genE3ELNS1_11target_archE908ELNS1_3gpuE7ELNS1_3repE0EEENS1_30default_config_static_selectorELNS0_4arch9wavefront6targetE1EEEvT1_.num_vgpr, 0
	.set _ZN7rocprim17ROCPRIM_400000_NS6detail17trampoline_kernelINS0_14default_configENS1_25partition_config_selectorILNS1_17partition_subalgoE8ElNS0_10empty_typeEbEEZZNS1_14partition_implILS5_8ELb0ES3_jPlPS6_PKS6_NS0_5tupleIJS9_S6_EEENSD_IJSA_SA_EEENS0_18inequality_wrapperIZN2at6native12_GLOBAL__N_124unique_dim_cuda_templateIiEESt5tupleIJNSH_6TensorESM_SM_EERKSM_lbbbEUlllE0_EEPmJS6_EEE10hipError_tPvRmT3_T4_T5_T6_T7_T9_mT8_P12ihipStream_tbDpT10_ENKUlT_T0_E_clISt17integral_constantIbLb0EES1B_IbLb1EEEEDaS17_S18_EUlS17_E_NS1_11comp_targetILNS1_3genE3ELNS1_11target_archE908ELNS1_3gpuE7ELNS1_3repE0EEENS1_30default_config_static_selectorELNS0_4arch9wavefront6targetE1EEEvT1_.num_agpr, 0
	.set _ZN7rocprim17ROCPRIM_400000_NS6detail17trampoline_kernelINS0_14default_configENS1_25partition_config_selectorILNS1_17partition_subalgoE8ElNS0_10empty_typeEbEEZZNS1_14partition_implILS5_8ELb0ES3_jPlPS6_PKS6_NS0_5tupleIJS9_S6_EEENSD_IJSA_SA_EEENS0_18inequality_wrapperIZN2at6native12_GLOBAL__N_124unique_dim_cuda_templateIiEESt5tupleIJNSH_6TensorESM_SM_EERKSM_lbbbEUlllE0_EEPmJS6_EEE10hipError_tPvRmT3_T4_T5_T6_T7_T9_mT8_P12ihipStream_tbDpT10_ENKUlT_T0_E_clISt17integral_constantIbLb0EES1B_IbLb1EEEEDaS17_S18_EUlS17_E_NS1_11comp_targetILNS1_3genE3ELNS1_11target_archE908ELNS1_3gpuE7ELNS1_3repE0EEENS1_30default_config_static_selectorELNS0_4arch9wavefront6targetE1EEEvT1_.numbered_sgpr, 0
	.set _ZN7rocprim17ROCPRIM_400000_NS6detail17trampoline_kernelINS0_14default_configENS1_25partition_config_selectorILNS1_17partition_subalgoE8ElNS0_10empty_typeEbEEZZNS1_14partition_implILS5_8ELb0ES3_jPlPS6_PKS6_NS0_5tupleIJS9_S6_EEENSD_IJSA_SA_EEENS0_18inequality_wrapperIZN2at6native12_GLOBAL__N_124unique_dim_cuda_templateIiEESt5tupleIJNSH_6TensorESM_SM_EERKSM_lbbbEUlllE0_EEPmJS6_EEE10hipError_tPvRmT3_T4_T5_T6_T7_T9_mT8_P12ihipStream_tbDpT10_ENKUlT_T0_E_clISt17integral_constantIbLb0EES1B_IbLb1EEEEDaS17_S18_EUlS17_E_NS1_11comp_targetILNS1_3genE3ELNS1_11target_archE908ELNS1_3gpuE7ELNS1_3repE0EEENS1_30default_config_static_selectorELNS0_4arch9wavefront6targetE1EEEvT1_.num_named_barrier, 0
	.set _ZN7rocprim17ROCPRIM_400000_NS6detail17trampoline_kernelINS0_14default_configENS1_25partition_config_selectorILNS1_17partition_subalgoE8ElNS0_10empty_typeEbEEZZNS1_14partition_implILS5_8ELb0ES3_jPlPS6_PKS6_NS0_5tupleIJS9_S6_EEENSD_IJSA_SA_EEENS0_18inequality_wrapperIZN2at6native12_GLOBAL__N_124unique_dim_cuda_templateIiEESt5tupleIJNSH_6TensorESM_SM_EERKSM_lbbbEUlllE0_EEPmJS6_EEE10hipError_tPvRmT3_T4_T5_T6_T7_T9_mT8_P12ihipStream_tbDpT10_ENKUlT_T0_E_clISt17integral_constantIbLb0EES1B_IbLb1EEEEDaS17_S18_EUlS17_E_NS1_11comp_targetILNS1_3genE3ELNS1_11target_archE908ELNS1_3gpuE7ELNS1_3repE0EEENS1_30default_config_static_selectorELNS0_4arch9wavefront6targetE1EEEvT1_.private_seg_size, 0
	.set _ZN7rocprim17ROCPRIM_400000_NS6detail17trampoline_kernelINS0_14default_configENS1_25partition_config_selectorILNS1_17partition_subalgoE8ElNS0_10empty_typeEbEEZZNS1_14partition_implILS5_8ELb0ES3_jPlPS6_PKS6_NS0_5tupleIJS9_S6_EEENSD_IJSA_SA_EEENS0_18inequality_wrapperIZN2at6native12_GLOBAL__N_124unique_dim_cuda_templateIiEESt5tupleIJNSH_6TensorESM_SM_EERKSM_lbbbEUlllE0_EEPmJS6_EEE10hipError_tPvRmT3_T4_T5_T6_T7_T9_mT8_P12ihipStream_tbDpT10_ENKUlT_T0_E_clISt17integral_constantIbLb0EES1B_IbLb1EEEEDaS17_S18_EUlS17_E_NS1_11comp_targetILNS1_3genE3ELNS1_11target_archE908ELNS1_3gpuE7ELNS1_3repE0EEENS1_30default_config_static_selectorELNS0_4arch9wavefront6targetE1EEEvT1_.uses_vcc, 0
	.set _ZN7rocprim17ROCPRIM_400000_NS6detail17trampoline_kernelINS0_14default_configENS1_25partition_config_selectorILNS1_17partition_subalgoE8ElNS0_10empty_typeEbEEZZNS1_14partition_implILS5_8ELb0ES3_jPlPS6_PKS6_NS0_5tupleIJS9_S6_EEENSD_IJSA_SA_EEENS0_18inequality_wrapperIZN2at6native12_GLOBAL__N_124unique_dim_cuda_templateIiEESt5tupleIJNSH_6TensorESM_SM_EERKSM_lbbbEUlllE0_EEPmJS6_EEE10hipError_tPvRmT3_T4_T5_T6_T7_T9_mT8_P12ihipStream_tbDpT10_ENKUlT_T0_E_clISt17integral_constantIbLb0EES1B_IbLb1EEEEDaS17_S18_EUlS17_E_NS1_11comp_targetILNS1_3genE3ELNS1_11target_archE908ELNS1_3gpuE7ELNS1_3repE0EEENS1_30default_config_static_selectorELNS0_4arch9wavefront6targetE1EEEvT1_.uses_flat_scratch, 0
	.set _ZN7rocprim17ROCPRIM_400000_NS6detail17trampoline_kernelINS0_14default_configENS1_25partition_config_selectorILNS1_17partition_subalgoE8ElNS0_10empty_typeEbEEZZNS1_14partition_implILS5_8ELb0ES3_jPlPS6_PKS6_NS0_5tupleIJS9_S6_EEENSD_IJSA_SA_EEENS0_18inequality_wrapperIZN2at6native12_GLOBAL__N_124unique_dim_cuda_templateIiEESt5tupleIJNSH_6TensorESM_SM_EERKSM_lbbbEUlllE0_EEPmJS6_EEE10hipError_tPvRmT3_T4_T5_T6_T7_T9_mT8_P12ihipStream_tbDpT10_ENKUlT_T0_E_clISt17integral_constantIbLb0EES1B_IbLb1EEEEDaS17_S18_EUlS17_E_NS1_11comp_targetILNS1_3genE3ELNS1_11target_archE908ELNS1_3gpuE7ELNS1_3repE0EEENS1_30default_config_static_selectorELNS0_4arch9wavefront6targetE1EEEvT1_.has_dyn_sized_stack, 0
	.set _ZN7rocprim17ROCPRIM_400000_NS6detail17trampoline_kernelINS0_14default_configENS1_25partition_config_selectorILNS1_17partition_subalgoE8ElNS0_10empty_typeEbEEZZNS1_14partition_implILS5_8ELb0ES3_jPlPS6_PKS6_NS0_5tupleIJS9_S6_EEENSD_IJSA_SA_EEENS0_18inequality_wrapperIZN2at6native12_GLOBAL__N_124unique_dim_cuda_templateIiEESt5tupleIJNSH_6TensorESM_SM_EERKSM_lbbbEUlllE0_EEPmJS6_EEE10hipError_tPvRmT3_T4_T5_T6_T7_T9_mT8_P12ihipStream_tbDpT10_ENKUlT_T0_E_clISt17integral_constantIbLb0EES1B_IbLb1EEEEDaS17_S18_EUlS17_E_NS1_11comp_targetILNS1_3genE3ELNS1_11target_archE908ELNS1_3gpuE7ELNS1_3repE0EEENS1_30default_config_static_selectorELNS0_4arch9wavefront6targetE1EEEvT1_.has_recursion, 0
	.set _ZN7rocprim17ROCPRIM_400000_NS6detail17trampoline_kernelINS0_14default_configENS1_25partition_config_selectorILNS1_17partition_subalgoE8ElNS0_10empty_typeEbEEZZNS1_14partition_implILS5_8ELb0ES3_jPlPS6_PKS6_NS0_5tupleIJS9_S6_EEENSD_IJSA_SA_EEENS0_18inequality_wrapperIZN2at6native12_GLOBAL__N_124unique_dim_cuda_templateIiEESt5tupleIJNSH_6TensorESM_SM_EERKSM_lbbbEUlllE0_EEPmJS6_EEE10hipError_tPvRmT3_T4_T5_T6_T7_T9_mT8_P12ihipStream_tbDpT10_ENKUlT_T0_E_clISt17integral_constantIbLb0EES1B_IbLb1EEEEDaS17_S18_EUlS17_E_NS1_11comp_targetILNS1_3genE3ELNS1_11target_archE908ELNS1_3gpuE7ELNS1_3repE0EEENS1_30default_config_static_selectorELNS0_4arch9wavefront6targetE1EEEvT1_.has_indirect_call, 0
	.section	.AMDGPU.csdata,"",@progbits
; Kernel info:
; codeLenInByte = 0
; TotalNumSgprs: 6
; NumVgprs: 0
; NumAgprs: 0
; TotalNumVgprs: 0
; ScratchSize: 0
; MemoryBound: 0
; FloatMode: 240
; IeeeMode: 1
; LDSByteSize: 0 bytes/workgroup (compile time only)
; SGPRBlocks: 0
; VGPRBlocks: 0
; NumSGPRsForWavesPerEU: 6
; NumVGPRsForWavesPerEU: 1
; AccumOffset: 4
; Occupancy: 8
; WaveLimiterHint : 0
; COMPUTE_PGM_RSRC2:SCRATCH_EN: 0
; COMPUTE_PGM_RSRC2:USER_SGPR: 2
; COMPUTE_PGM_RSRC2:TRAP_HANDLER: 0
; COMPUTE_PGM_RSRC2:TGID_X_EN: 1
; COMPUTE_PGM_RSRC2:TGID_Y_EN: 0
; COMPUTE_PGM_RSRC2:TGID_Z_EN: 0
; COMPUTE_PGM_RSRC2:TIDIG_COMP_CNT: 0
; COMPUTE_PGM_RSRC3_GFX90A:ACCUM_OFFSET: 0
; COMPUTE_PGM_RSRC3_GFX90A:TG_SPLIT: 0
	.section	.text._ZN7rocprim17ROCPRIM_400000_NS6detail17trampoline_kernelINS0_14default_configENS1_25partition_config_selectorILNS1_17partition_subalgoE8ElNS0_10empty_typeEbEEZZNS1_14partition_implILS5_8ELb0ES3_jPlPS6_PKS6_NS0_5tupleIJS9_S6_EEENSD_IJSA_SA_EEENS0_18inequality_wrapperIZN2at6native12_GLOBAL__N_124unique_dim_cuda_templateIiEESt5tupleIJNSH_6TensorESM_SM_EERKSM_lbbbEUlllE0_EEPmJS6_EEE10hipError_tPvRmT3_T4_T5_T6_T7_T9_mT8_P12ihipStream_tbDpT10_ENKUlT_T0_E_clISt17integral_constantIbLb0EES1B_IbLb1EEEEDaS17_S18_EUlS17_E_NS1_11comp_targetILNS1_3genE2ELNS1_11target_archE906ELNS1_3gpuE6ELNS1_3repE0EEENS1_30default_config_static_selectorELNS0_4arch9wavefront6targetE1EEEvT1_,"axG",@progbits,_ZN7rocprim17ROCPRIM_400000_NS6detail17trampoline_kernelINS0_14default_configENS1_25partition_config_selectorILNS1_17partition_subalgoE8ElNS0_10empty_typeEbEEZZNS1_14partition_implILS5_8ELb0ES3_jPlPS6_PKS6_NS0_5tupleIJS9_S6_EEENSD_IJSA_SA_EEENS0_18inequality_wrapperIZN2at6native12_GLOBAL__N_124unique_dim_cuda_templateIiEESt5tupleIJNSH_6TensorESM_SM_EERKSM_lbbbEUlllE0_EEPmJS6_EEE10hipError_tPvRmT3_T4_T5_T6_T7_T9_mT8_P12ihipStream_tbDpT10_ENKUlT_T0_E_clISt17integral_constantIbLb0EES1B_IbLb1EEEEDaS17_S18_EUlS17_E_NS1_11comp_targetILNS1_3genE2ELNS1_11target_archE906ELNS1_3gpuE6ELNS1_3repE0EEENS1_30default_config_static_selectorELNS0_4arch9wavefront6targetE1EEEvT1_,comdat
	.globl	_ZN7rocprim17ROCPRIM_400000_NS6detail17trampoline_kernelINS0_14default_configENS1_25partition_config_selectorILNS1_17partition_subalgoE8ElNS0_10empty_typeEbEEZZNS1_14partition_implILS5_8ELb0ES3_jPlPS6_PKS6_NS0_5tupleIJS9_S6_EEENSD_IJSA_SA_EEENS0_18inequality_wrapperIZN2at6native12_GLOBAL__N_124unique_dim_cuda_templateIiEESt5tupleIJNSH_6TensorESM_SM_EERKSM_lbbbEUlllE0_EEPmJS6_EEE10hipError_tPvRmT3_T4_T5_T6_T7_T9_mT8_P12ihipStream_tbDpT10_ENKUlT_T0_E_clISt17integral_constantIbLb0EES1B_IbLb1EEEEDaS17_S18_EUlS17_E_NS1_11comp_targetILNS1_3genE2ELNS1_11target_archE906ELNS1_3gpuE6ELNS1_3repE0EEENS1_30default_config_static_selectorELNS0_4arch9wavefront6targetE1EEEvT1_ ; -- Begin function _ZN7rocprim17ROCPRIM_400000_NS6detail17trampoline_kernelINS0_14default_configENS1_25partition_config_selectorILNS1_17partition_subalgoE8ElNS0_10empty_typeEbEEZZNS1_14partition_implILS5_8ELb0ES3_jPlPS6_PKS6_NS0_5tupleIJS9_S6_EEENSD_IJSA_SA_EEENS0_18inequality_wrapperIZN2at6native12_GLOBAL__N_124unique_dim_cuda_templateIiEESt5tupleIJNSH_6TensorESM_SM_EERKSM_lbbbEUlllE0_EEPmJS6_EEE10hipError_tPvRmT3_T4_T5_T6_T7_T9_mT8_P12ihipStream_tbDpT10_ENKUlT_T0_E_clISt17integral_constantIbLb0EES1B_IbLb1EEEEDaS17_S18_EUlS17_E_NS1_11comp_targetILNS1_3genE2ELNS1_11target_archE906ELNS1_3gpuE6ELNS1_3repE0EEENS1_30default_config_static_selectorELNS0_4arch9wavefront6targetE1EEEvT1_
	.p2align	8
	.type	_ZN7rocprim17ROCPRIM_400000_NS6detail17trampoline_kernelINS0_14default_configENS1_25partition_config_selectorILNS1_17partition_subalgoE8ElNS0_10empty_typeEbEEZZNS1_14partition_implILS5_8ELb0ES3_jPlPS6_PKS6_NS0_5tupleIJS9_S6_EEENSD_IJSA_SA_EEENS0_18inequality_wrapperIZN2at6native12_GLOBAL__N_124unique_dim_cuda_templateIiEESt5tupleIJNSH_6TensorESM_SM_EERKSM_lbbbEUlllE0_EEPmJS6_EEE10hipError_tPvRmT3_T4_T5_T6_T7_T9_mT8_P12ihipStream_tbDpT10_ENKUlT_T0_E_clISt17integral_constantIbLb0EES1B_IbLb1EEEEDaS17_S18_EUlS17_E_NS1_11comp_targetILNS1_3genE2ELNS1_11target_archE906ELNS1_3gpuE6ELNS1_3repE0EEENS1_30default_config_static_selectorELNS0_4arch9wavefront6targetE1EEEvT1_,@function
_ZN7rocprim17ROCPRIM_400000_NS6detail17trampoline_kernelINS0_14default_configENS1_25partition_config_selectorILNS1_17partition_subalgoE8ElNS0_10empty_typeEbEEZZNS1_14partition_implILS5_8ELb0ES3_jPlPS6_PKS6_NS0_5tupleIJS9_S6_EEENSD_IJSA_SA_EEENS0_18inequality_wrapperIZN2at6native12_GLOBAL__N_124unique_dim_cuda_templateIiEESt5tupleIJNSH_6TensorESM_SM_EERKSM_lbbbEUlllE0_EEPmJS6_EEE10hipError_tPvRmT3_T4_T5_T6_T7_T9_mT8_P12ihipStream_tbDpT10_ENKUlT_T0_E_clISt17integral_constantIbLb0EES1B_IbLb1EEEEDaS17_S18_EUlS17_E_NS1_11comp_targetILNS1_3genE2ELNS1_11target_archE906ELNS1_3gpuE6ELNS1_3repE0EEENS1_30default_config_static_selectorELNS0_4arch9wavefront6targetE1EEEvT1_: ; @_ZN7rocprim17ROCPRIM_400000_NS6detail17trampoline_kernelINS0_14default_configENS1_25partition_config_selectorILNS1_17partition_subalgoE8ElNS0_10empty_typeEbEEZZNS1_14partition_implILS5_8ELb0ES3_jPlPS6_PKS6_NS0_5tupleIJS9_S6_EEENSD_IJSA_SA_EEENS0_18inequality_wrapperIZN2at6native12_GLOBAL__N_124unique_dim_cuda_templateIiEESt5tupleIJNSH_6TensorESM_SM_EERKSM_lbbbEUlllE0_EEPmJS6_EEE10hipError_tPvRmT3_T4_T5_T6_T7_T9_mT8_P12ihipStream_tbDpT10_ENKUlT_T0_E_clISt17integral_constantIbLb0EES1B_IbLb1EEEEDaS17_S18_EUlS17_E_NS1_11comp_targetILNS1_3genE2ELNS1_11target_archE906ELNS1_3gpuE6ELNS1_3repE0EEENS1_30default_config_static_selectorELNS0_4arch9wavefront6targetE1EEEvT1_
; %bb.0:
	.section	.rodata,"a",@progbits
	.p2align	6, 0x0
	.amdhsa_kernel _ZN7rocprim17ROCPRIM_400000_NS6detail17trampoline_kernelINS0_14default_configENS1_25partition_config_selectorILNS1_17partition_subalgoE8ElNS0_10empty_typeEbEEZZNS1_14partition_implILS5_8ELb0ES3_jPlPS6_PKS6_NS0_5tupleIJS9_S6_EEENSD_IJSA_SA_EEENS0_18inequality_wrapperIZN2at6native12_GLOBAL__N_124unique_dim_cuda_templateIiEESt5tupleIJNSH_6TensorESM_SM_EERKSM_lbbbEUlllE0_EEPmJS6_EEE10hipError_tPvRmT3_T4_T5_T6_T7_T9_mT8_P12ihipStream_tbDpT10_ENKUlT_T0_E_clISt17integral_constantIbLb0EES1B_IbLb1EEEEDaS17_S18_EUlS17_E_NS1_11comp_targetILNS1_3genE2ELNS1_11target_archE906ELNS1_3gpuE6ELNS1_3repE0EEENS1_30default_config_static_selectorELNS0_4arch9wavefront6targetE1EEEvT1_
		.amdhsa_group_segment_fixed_size 0
		.amdhsa_private_segment_fixed_size 0
		.amdhsa_kernarg_size 136
		.amdhsa_user_sgpr_count 2
		.amdhsa_user_sgpr_dispatch_ptr 0
		.amdhsa_user_sgpr_queue_ptr 0
		.amdhsa_user_sgpr_kernarg_segment_ptr 1
		.amdhsa_user_sgpr_dispatch_id 0
		.amdhsa_user_sgpr_kernarg_preload_length 0
		.amdhsa_user_sgpr_kernarg_preload_offset 0
		.amdhsa_user_sgpr_private_segment_size 0
		.amdhsa_uses_dynamic_stack 0
		.amdhsa_enable_private_segment 0
		.amdhsa_system_sgpr_workgroup_id_x 1
		.amdhsa_system_sgpr_workgroup_id_y 0
		.amdhsa_system_sgpr_workgroup_id_z 0
		.amdhsa_system_sgpr_workgroup_info 0
		.amdhsa_system_vgpr_workitem_id 0
		.amdhsa_next_free_vgpr 1
		.amdhsa_next_free_sgpr 0
		.amdhsa_accum_offset 4
		.amdhsa_reserve_vcc 0
		.amdhsa_float_round_mode_32 0
		.amdhsa_float_round_mode_16_64 0
		.amdhsa_float_denorm_mode_32 3
		.amdhsa_float_denorm_mode_16_64 3
		.amdhsa_dx10_clamp 1
		.amdhsa_ieee_mode 1
		.amdhsa_fp16_overflow 0
		.amdhsa_tg_split 0
		.amdhsa_exception_fp_ieee_invalid_op 0
		.amdhsa_exception_fp_denorm_src 0
		.amdhsa_exception_fp_ieee_div_zero 0
		.amdhsa_exception_fp_ieee_overflow 0
		.amdhsa_exception_fp_ieee_underflow 0
		.amdhsa_exception_fp_ieee_inexact 0
		.amdhsa_exception_int_div_zero 0
	.end_amdhsa_kernel
	.section	.text._ZN7rocprim17ROCPRIM_400000_NS6detail17trampoline_kernelINS0_14default_configENS1_25partition_config_selectorILNS1_17partition_subalgoE8ElNS0_10empty_typeEbEEZZNS1_14partition_implILS5_8ELb0ES3_jPlPS6_PKS6_NS0_5tupleIJS9_S6_EEENSD_IJSA_SA_EEENS0_18inequality_wrapperIZN2at6native12_GLOBAL__N_124unique_dim_cuda_templateIiEESt5tupleIJNSH_6TensorESM_SM_EERKSM_lbbbEUlllE0_EEPmJS6_EEE10hipError_tPvRmT3_T4_T5_T6_T7_T9_mT8_P12ihipStream_tbDpT10_ENKUlT_T0_E_clISt17integral_constantIbLb0EES1B_IbLb1EEEEDaS17_S18_EUlS17_E_NS1_11comp_targetILNS1_3genE2ELNS1_11target_archE906ELNS1_3gpuE6ELNS1_3repE0EEENS1_30default_config_static_selectorELNS0_4arch9wavefront6targetE1EEEvT1_,"axG",@progbits,_ZN7rocprim17ROCPRIM_400000_NS6detail17trampoline_kernelINS0_14default_configENS1_25partition_config_selectorILNS1_17partition_subalgoE8ElNS0_10empty_typeEbEEZZNS1_14partition_implILS5_8ELb0ES3_jPlPS6_PKS6_NS0_5tupleIJS9_S6_EEENSD_IJSA_SA_EEENS0_18inequality_wrapperIZN2at6native12_GLOBAL__N_124unique_dim_cuda_templateIiEESt5tupleIJNSH_6TensorESM_SM_EERKSM_lbbbEUlllE0_EEPmJS6_EEE10hipError_tPvRmT3_T4_T5_T6_T7_T9_mT8_P12ihipStream_tbDpT10_ENKUlT_T0_E_clISt17integral_constantIbLb0EES1B_IbLb1EEEEDaS17_S18_EUlS17_E_NS1_11comp_targetILNS1_3genE2ELNS1_11target_archE906ELNS1_3gpuE6ELNS1_3repE0EEENS1_30default_config_static_selectorELNS0_4arch9wavefront6targetE1EEEvT1_,comdat
.Lfunc_end469:
	.size	_ZN7rocprim17ROCPRIM_400000_NS6detail17trampoline_kernelINS0_14default_configENS1_25partition_config_selectorILNS1_17partition_subalgoE8ElNS0_10empty_typeEbEEZZNS1_14partition_implILS5_8ELb0ES3_jPlPS6_PKS6_NS0_5tupleIJS9_S6_EEENSD_IJSA_SA_EEENS0_18inequality_wrapperIZN2at6native12_GLOBAL__N_124unique_dim_cuda_templateIiEESt5tupleIJNSH_6TensorESM_SM_EERKSM_lbbbEUlllE0_EEPmJS6_EEE10hipError_tPvRmT3_T4_T5_T6_T7_T9_mT8_P12ihipStream_tbDpT10_ENKUlT_T0_E_clISt17integral_constantIbLb0EES1B_IbLb1EEEEDaS17_S18_EUlS17_E_NS1_11comp_targetILNS1_3genE2ELNS1_11target_archE906ELNS1_3gpuE6ELNS1_3repE0EEENS1_30default_config_static_selectorELNS0_4arch9wavefront6targetE1EEEvT1_, .Lfunc_end469-_ZN7rocprim17ROCPRIM_400000_NS6detail17trampoline_kernelINS0_14default_configENS1_25partition_config_selectorILNS1_17partition_subalgoE8ElNS0_10empty_typeEbEEZZNS1_14partition_implILS5_8ELb0ES3_jPlPS6_PKS6_NS0_5tupleIJS9_S6_EEENSD_IJSA_SA_EEENS0_18inequality_wrapperIZN2at6native12_GLOBAL__N_124unique_dim_cuda_templateIiEESt5tupleIJNSH_6TensorESM_SM_EERKSM_lbbbEUlllE0_EEPmJS6_EEE10hipError_tPvRmT3_T4_T5_T6_T7_T9_mT8_P12ihipStream_tbDpT10_ENKUlT_T0_E_clISt17integral_constantIbLb0EES1B_IbLb1EEEEDaS17_S18_EUlS17_E_NS1_11comp_targetILNS1_3genE2ELNS1_11target_archE906ELNS1_3gpuE6ELNS1_3repE0EEENS1_30default_config_static_selectorELNS0_4arch9wavefront6targetE1EEEvT1_
                                        ; -- End function
	.set _ZN7rocprim17ROCPRIM_400000_NS6detail17trampoline_kernelINS0_14default_configENS1_25partition_config_selectorILNS1_17partition_subalgoE8ElNS0_10empty_typeEbEEZZNS1_14partition_implILS5_8ELb0ES3_jPlPS6_PKS6_NS0_5tupleIJS9_S6_EEENSD_IJSA_SA_EEENS0_18inequality_wrapperIZN2at6native12_GLOBAL__N_124unique_dim_cuda_templateIiEESt5tupleIJNSH_6TensorESM_SM_EERKSM_lbbbEUlllE0_EEPmJS6_EEE10hipError_tPvRmT3_T4_T5_T6_T7_T9_mT8_P12ihipStream_tbDpT10_ENKUlT_T0_E_clISt17integral_constantIbLb0EES1B_IbLb1EEEEDaS17_S18_EUlS17_E_NS1_11comp_targetILNS1_3genE2ELNS1_11target_archE906ELNS1_3gpuE6ELNS1_3repE0EEENS1_30default_config_static_selectorELNS0_4arch9wavefront6targetE1EEEvT1_.num_vgpr, 0
	.set _ZN7rocprim17ROCPRIM_400000_NS6detail17trampoline_kernelINS0_14default_configENS1_25partition_config_selectorILNS1_17partition_subalgoE8ElNS0_10empty_typeEbEEZZNS1_14partition_implILS5_8ELb0ES3_jPlPS6_PKS6_NS0_5tupleIJS9_S6_EEENSD_IJSA_SA_EEENS0_18inequality_wrapperIZN2at6native12_GLOBAL__N_124unique_dim_cuda_templateIiEESt5tupleIJNSH_6TensorESM_SM_EERKSM_lbbbEUlllE0_EEPmJS6_EEE10hipError_tPvRmT3_T4_T5_T6_T7_T9_mT8_P12ihipStream_tbDpT10_ENKUlT_T0_E_clISt17integral_constantIbLb0EES1B_IbLb1EEEEDaS17_S18_EUlS17_E_NS1_11comp_targetILNS1_3genE2ELNS1_11target_archE906ELNS1_3gpuE6ELNS1_3repE0EEENS1_30default_config_static_selectorELNS0_4arch9wavefront6targetE1EEEvT1_.num_agpr, 0
	.set _ZN7rocprim17ROCPRIM_400000_NS6detail17trampoline_kernelINS0_14default_configENS1_25partition_config_selectorILNS1_17partition_subalgoE8ElNS0_10empty_typeEbEEZZNS1_14partition_implILS5_8ELb0ES3_jPlPS6_PKS6_NS0_5tupleIJS9_S6_EEENSD_IJSA_SA_EEENS0_18inequality_wrapperIZN2at6native12_GLOBAL__N_124unique_dim_cuda_templateIiEESt5tupleIJNSH_6TensorESM_SM_EERKSM_lbbbEUlllE0_EEPmJS6_EEE10hipError_tPvRmT3_T4_T5_T6_T7_T9_mT8_P12ihipStream_tbDpT10_ENKUlT_T0_E_clISt17integral_constantIbLb0EES1B_IbLb1EEEEDaS17_S18_EUlS17_E_NS1_11comp_targetILNS1_3genE2ELNS1_11target_archE906ELNS1_3gpuE6ELNS1_3repE0EEENS1_30default_config_static_selectorELNS0_4arch9wavefront6targetE1EEEvT1_.numbered_sgpr, 0
	.set _ZN7rocprim17ROCPRIM_400000_NS6detail17trampoline_kernelINS0_14default_configENS1_25partition_config_selectorILNS1_17partition_subalgoE8ElNS0_10empty_typeEbEEZZNS1_14partition_implILS5_8ELb0ES3_jPlPS6_PKS6_NS0_5tupleIJS9_S6_EEENSD_IJSA_SA_EEENS0_18inequality_wrapperIZN2at6native12_GLOBAL__N_124unique_dim_cuda_templateIiEESt5tupleIJNSH_6TensorESM_SM_EERKSM_lbbbEUlllE0_EEPmJS6_EEE10hipError_tPvRmT3_T4_T5_T6_T7_T9_mT8_P12ihipStream_tbDpT10_ENKUlT_T0_E_clISt17integral_constantIbLb0EES1B_IbLb1EEEEDaS17_S18_EUlS17_E_NS1_11comp_targetILNS1_3genE2ELNS1_11target_archE906ELNS1_3gpuE6ELNS1_3repE0EEENS1_30default_config_static_selectorELNS0_4arch9wavefront6targetE1EEEvT1_.num_named_barrier, 0
	.set _ZN7rocprim17ROCPRIM_400000_NS6detail17trampoline_kernelINS0_14default_configENS1_25partition_config_selectorILNS1_17partition_subalgoE8ElNS0_10empty_typeEbEEZZNS1_14partition_implILS5_8ELb0ES3_jPlPS6_PKS6_NS0_5tupleIJS9_S6_EEENSD_IJSA_SA_EEENS0_18inequality_wrapperIZN2at6native12_GLOBAL__N_124unique_dim_cuda_templateIiEESt5tupleIJNSH_6TensorESM_SM_EERKSM_lbbbEUlllE0_EEPmJS6_EEE10hipError_tPvRmT3_T4_T5_T6_T7_T9_mT8_P12ihipStream_tbDpT10_ENKUlT_T0_E_clISt17integral_constantIbLb0EES1B_IbLb1EEEEDaS17_S18_EUlS17_E_NS1_11comp_targetILNS1_3genE2ELNS1_11target_archE906ELNS1_3gpuE6ELNS1_3repE0EEENS1_30default_config_static_selectorELNS0_4arch9wavefront6targetE1EEEvT1_.private_seg_size, 0
	.set _ZN7rocprim17ROCPRIM_400000_NS6detail17trampoline_kernelINS0_14default_configENS1_25partition_config_selectorILNS1_17partition_subalgoE8ElNS0_10empty_typeEbEEZZNS1_14partition_implILS5_8ELb0ES3_jPlPS6_PKS6_NS0_5tupleIJS9_S6_EEENSD_IJSA_SA_EEENS0_18inequality_wrapperIZN2at6native12_GLOBAL__N_124unique_dim_cuda_templateIiEESt5tupleIJNSH_6TensorESM_SM_EERKSM_lbbbEUlllE0_EEPmJS6_EEE10hipError_tPvRmT3_T4_T5_T6_T7_T9_mT8_P12ihipStream_tbDpT10_ENKUlT_T0_E_clISt17integral_constantIbLb0EES1B_IbLb1EEEEDaS17_S18_EUlS17_E_NS1_11comp_targetILNS1_3genE2ELNS1_11target_archE906ELNS1_3gpuE6ELNS1_3repE0EEENS1_30default_config_static_selectorELNS0_4arch9wavefront6targetE1EEEvT1_.uses_vcc, 0
	.set _ZN7rocprim17ROCPRIM_400000_NS6detail17trampoline_kernelINS0_14default_configENS1_25partition_config_selectorILNS1_17partition_subalgoE8ElNS0_10empty_typeEbEEZZNS1_14partition_implILS5_8ELb0ES3_jPlPS6_PKS6_NS0_5tupleIJS9_S6_EEENSD_IJSA_SA_EEENS0_18inequality_wrapperIZN2at6native12_GLOBAL__N_124unique_dim_cuda_templateIiEESt5tupleIJNSH_6TensorESM_SM_EERKSM_lbbbEUlllE0_EEPmJS6_EEE10hipError_tPvRmT3_T4_T5_T6_T7_T9_mT8_P12ihipStream_tbDpT10_ENKUlT_T0_E_clISt17integral_constantIbLb0EES1B_IbLb1EEEEDaS17_S18_EUlS17_E_NS1_11comp_targetILNS1_3genE2ELNS1_11target_archE906ELNS1_3gpuE6ELNS1_3repE0EEENS1_30default_config_static_selectorELNS0_4arch9wavefront6targetE1EEEvT1_.uses_flat_scratch, 0
	.set _ZN7rocprim17ROCPRIM_400000_NS6detail17trampoline_kernelINS0_14default_configENS1_25partition_config_selectorILNS1_17partition_subalgoE8ElNS0_10empty_typeEbEEZZNS1_14partition_implILS5_8ELb0ES3_jPlPS6_PKS6_NS0_5tupleIJS9_S6_EEENSD_IJSA_SA_EEENS0_18inequality_wrapperIZN2at6native12_GLOBAL__N_124unique_dim_cuda_templateIiEESt5tupleIJNSH_6TensorESM_SM_EERKSM_lbbbEUlllE0_EEPmJS6_EEE10hipError_tPvRmT3_T4_T5_T6_T7_T9_mT8_P12ihipStream_tbDpT10_ENKUlT_T0_E_clISt17integral_constantIbLb0EES1B_IbLb1EEEEDaS17_S18_EUlS17_E_NS1_11comp_targetILNS1_3genE2ELNS1_11target_archE906ELNS1_3gpuE6ELNS1_3repE0EEENS1_30default_config_static_selectorELNS0_4arch9wavefront6targetE1EEEvT1_.has_dyn_sized_stack, 0
	.set _ZN7rocprim17ROCPRIM_400000_NS6detail17trampoline_kernelINS0_14default_configENS1_25partition_config_selectorILNS1_17partition_subalgoE8ElNS0_10empty_typeEbEEZZNS1_14partition_implILS5_8ELb0ES3_jPlPS6_PKS6_NS0_5tupleIJS9_S6_EEENSD_IJSA_SA_EEENS0_18inequality_wrapperIZN2at6native12_GLOBAL__N_124unique_dim_cuda_templateIiEESt5tupleIJNSH_6TensorESM_SM_EERKSM_lbbbEUlllE0_EEPmJS6_EEE10hipError_tPvRmT3_T4_T5_T6_T7_T9_mT8_P12ihipStream_tbDpT10_ENKUlT_T0_E_clISt17integral_constantIbLb0EES1B_IbLb1EEEEDaS17_S18_EUlS17_E_NS1_11comp_targetILNS1_3genE2ELNS1_11target_archE906ELNS1_3gpuE6ELNS1_3repE0EEENS1_30default_config_static_selectorELNS0_4arch9wavefront6targetE1EEEvT1_.has_recursion, 0
	.set _ZN7rocprim17ROCPRIM_400000_NS6detail17trampoline_kernelINS0_14default_configENS1_25partition_config_selectorILNS1_17partition_subalgoE8ElNS0_10empty_typeEbEEZZNS1_14partition_implILS5_8ELb0ES3_jPlPS6_PKS6_NS0_5tupleIJS9_S6_EEENSD_IJSA_SA_EEENS0_18inequality_wrapperIZN2at6native12_GLOBAL__N_124unique_dim_cuda_templateIiEESt5tupleIJNSH_6TensorESM_SM_EERKSM_lbbbEUlllE0_EEPmJS6_EEE10hipError_tPvRmT3_T4_T5_T6_T7_T9_mT8_P12ihipStream_tbDpT10_ENKUlT_T0_E_clISt17integral_constantIbLb0EES1B_IbLb1EEEEDaS17_S18_EUlS17_E_NS1_11comp_targetILNS1_3genE2ELNS1_11target_archE906ELNS1_3gpuE6ELNS1_3repE0EEENS1_30default_config_static_selectorELNS0_4arch9wavefront6targetE1EEEvT1_.has_indirect_call, 0
	.section	.AMDGPU.csdata,"",@progbits
; Kernel info:
; codeLenInByte = 0
; TotalNumSgprs: 6
; NumVgprs: 0
; NumAgprs: 0
; TotalNumVgprs: 0
; ScratchSize: 0
; MemoryBound: 0
; FloatMode: 240
; IeeeMode: 1
; LDSByteSize: 0 bytes/workgroup (compile time only)
; SGPRBlocks: 0
; VGPRBlocks: 0
; NumSGPRsForWavesPerEU: 6
; NumVGPRsForWavesPerEU: 1
; AccumOffset: 4
; Occupancy: 8
; WaveLimiterHint : 0
; COMPUTE_PGM_RSRC2:SCRATCH_EN: 0
; COMPUTE_PGM_RSRC2:USER_SGPR: 2
; COMPUTE_PGM_RSRC2:TRAP_HANDLER: 0
; COMPUTE_PGM_RSRC2:TGID_X_EN: 1
; COMPUTE_PGM_RSRC2:TGID_Y_EN: 0
; COMPUTE_PGM_RSRC2:TGID_Z_EN: 0
; COMPUTE_PGM_RSRC2:TIDIG_COMP_CNT: 0
; COMPUTE_PGM_RSRC3_GFX90A:ACCUM_OFFSET: 0
; COMPUTE_PGM_RSRC3_GFX90A:TG_SPLIT: 0
	.section	.text._ZN7rocprim17ROCPRIM_400000_NS6detail17trampoline_kernelINS0_14default_configENS1_25partition_config_selectorILNS1_17partition_subalgoE8ElNS0_10empty_typeEbEEZZNS1_14partition_implILS5_8ELb0ES3_jPlPS6_PKS6_NS0_5tupleIJS9_S6_EEENSD_IJSA_SA_EEENS0_18inequality_wrapperIZN2at6native12_GLOBAL__N_124unique_dim_cuda_templateIiEESt5tupleIJNSH_6TensorESM_SM_EERKSM_lbbbEUlllE0_EEPmJS6_EEE10hipError_tPvRmT3_T4_T5_T6_T7_T9_mT8_P12ihipStream_tbDpT10_ENKUlT_T0_E_clISt17integral_constantIbLb0EES1B_IbLb1EEEEDaS17_S18_EUlS17_E_NS1_11comp_targetILNS1_3genE10ELNS1_11target_archE1200ELNS1_3gpuE4ELNS1_3repE0EEENS1_30default_config_static_selectorELNS0_4arch9wavefront6targetE1EEEvT1_,"axG",@progbits,_ZN7rocprim17ROCPRIM_400000_NS6detail17trampoline_kernelINS0_14default_configENS1_25partition_config_selectorILNS1_17partition_subalgoE8ElNS0_10empty_typeEbEEZZNS1_14partition_implILS5_8ELb0ES3_jPlPS6_PKS6_NS0_5tupleIJS9_S6_EEENSD_IJSA_SA_EEENS0_18inequality_wrapperIZN2at6native12_GLOBAL__N_124unique_dim_cuda_templateIiEESt5tupleIJNSH_6TensorESM_SM_EERKSM_lbbbEUlllE0_EEPmJS6_EEE10hipError_tPvRmT3_T4_T5_T6_T7_T9_mT8_P12ihipStream_tbDpT10_ENKUlT_T0_E_clISt17integral_constantIbLb0EES1B_IbLb1EEEEDaS17_S18_EUlS17_E_NS1_11comp_targetILNS1_3genE10ELNS1_11target_archE1200ELNS1_3gpuE4ELNS1_3repE0EEENS1_30default_config_static_selectorELNS0_4arch9wavefront6targetE1EEEvT1_,comdat
	.globl	_ZN7rocprim17ROCPRIM_400000_NS6detail17trampoline_kernelINS0_14default_configENS1_25partition_config_selectorILNS1_17partition_subalgoE8ElNS0_10empty_typeEbEEZZNS1_14partition_implILS5_8ELb0ES3_jPlPS6_PKS6_NS0_5tupleIJS9_S6_EEENSD_IJSA_SA_EEENS0_18inequality_wrapperIZN2at6native12_GLOBAL__N_124unique_dim_cuda_templateIiEESt5tupleIJNSH_6TensorESM_SM_EERKSM_lbbbEUlllE0_EEPmJS6_EEE10hipError_tPvRmT3_T4_T5_T6_T7_T9_mT8_P12ihipStream_tbDpT10_ENKUlT_T0_E_clISt17integral_constantIbLb0EES1B_IbLb1EEEEDaS17_S18_EUlS17_E_NS1_11comp_targetILNS1_3genE10ELNS1_11target_archE1200ELNS1_3gpuE4ELNS1_3repE0EEENS1_30default_config_static_selectorELNS0_4arch9wavefront6targetE1EEEvT1_ ; -- Begin function _ZN7rocprim17ROCPRIM_400000_NS6detail17trampoline_kernelINS0_14default_configENS1_25partition_config_selectorILNS1_17partition_subalgoE8ElNS0_10empty_typeEbEEZZNS1_14partition_implILS5_8ELb0ES3_jPlPS6_PKS6_NS0_5tupleIJS9_S6_EEENSD_IJSA_SA_EEENS0_18inequality_wrapperIZN2at6native12_GLOBAL__N_124unique_dim_cuda_templateIiEESt5tupleIJNSH_6TensorESM_SM_EERKSM_lbbbEUlllE0_EEPmJS6_EEE10hipError_tPvRmT3_T4_T5_T6_T7_T9_mT8_P12ihipStream_tbDpT10_ENKUlT_T0_E_clISt17integral_constantIbLb0EES1B_IbLb1EEEEDaS17_S18_EUlS17_E_NS1_11comp_targetILNS1_3genE10ELNS1_11target_archE1200ELNS1_3gpuE4ELNS1_3repE0EEENS1_30default_config_static_selectorELNS0_4arch9wavefront6targetE1EEEvT1_
	.p2align	8
	.type	_ZN7rocprim17ROCPRIM_400000_NS6detail17trampoline_kernelINS0_14default_configENS1_25partition_config_selectorILNS1_17partition_subalgoE8ElNS0_10empty_typeEbEEZZNS1_14partition_implILS5_8ELb0ES3_jPlPS6_PKS6_NS0_5tupleIJS9_S6_EEENSD_IJSA_SA_EEENS0_18inequality_wrapperIZN2at6native12_GLOBAL__N_124unique_dim_cuda_templateIiEESt5tupleIJNSH_6TensorESM_SM_EERKSM_lbbbEUlllE0_EEPmJS6_EEE10hipError_tPvRmT3_T4_T5_T6_T7_T9_mT8_P12ihipStream_tbDpT10_ENKUlT_T0_E_clISt17integral_constantIbLb0EES1B_IbLb1EEEEDaS17_S18_EUlS17_E_NS1_11comp_targetILNS1_3genE10ELNS1_11target_archE1200ELNS1_3gpuE4ELNS1_3repE0EEENS1_30default_config_static_selectorELNS0_4arch9wavefront6targetE1EEEvT1_,@function
_ZN7rocprim17ROCPRIM_400000_NS6detail17trampoline_kernelINS0_14default_configENS1_25partition_config_selectorILNS1_17partition_subalgoE8ElNS0_10empty_typeEbEEZZNS1_14partition_implILS5_8ELb0ES3_jPlPS6_PKS6_NS0_5tupleIJS9_S6_EEENSD_IJSA_SA_EEENS0_18inequality_wrapperIZN2at6native12_GLOBAL__N_124unique_dim_cuda_templateIiEESt5tupleIJNSH_6TensorESM_SM_EERKSM_lbbbEUlllE0_EEPmJS6_EEE10hipError_tPvRmT3_T4_T5_T6_T7_T9_mT8_P12ihipStream_tbDpT10_ENKUlT_T0_E_clISt17integral_constantIbLb0EES1B_IbLb1EEEEDaS17_S18_EUlS17_E_NS1_11comp_targetILNS1_3genE10ELNS1_11target_archE1200ELNS1_3gpuE4ELNS1_3repE0EEENS1_30default_config_static_selectorELNS0_4arch9wavefront6targetE1EEEvT1_: ; @_ZN7rocprim17ROCPRIM_400000_NS6detail17trampoline_kernelINS0_14default_configENS1_25partition_config_selectorILNS1_17partition_subalgoE8ElNS0_10empty_typeEbEEZZNS1_14partition_implILS5_8ELb0ES3_jPlPS6_PKS6_NS0_5tupleIJS9_S6_EEENSD_IJSA_SA_EEENS0_18inequality_wrapperIZN2at6native12_GLOBAL__N_124unique_dim_cuda_templateIiEESt5tupleIJNSH_6TensorESM_SM_EERKSM_lbbbEUlllE0_EEPmJS6_EEE10hipError_tPvRmT3_T4_T5_T6_T7_T9_mT8_P12ihipStream_tbDpT10_ENKUlT_T0_E_clISt17integral_constantIbLb0EES1B_IbLb1EEEEDaS17_S18_EUlS17_E_NS1_11comp_targetILNS1_3genE10ELNS1_11target_archE1200ELNS1_3gpuE4ELNS1_3repE0EEENS1_30default_config_static_selectorELNS0_4arch9wavefront6targetE1EEEvT1_
; %bb.0:
	.section	.rodata,"a",@progbits
	.p2align	6, 0x0
	.amdhsa_kernel _ZN7rocprim17ROCPRIM_400000_NS6detail17trampoline_kernelINS0_14default_configENS1_25partition_config_selectorILNS1_17partition_subalgoE8ElNS0_10empty_typeEbEEZZNS1_14partition_implILS5_8ELb0ES3_jPlPS6_PKS6_NS0_5tupleIJS9_S6_EEENSD_IJSA_SA_EEENS0_18inequality_wrapperIZN2at6native12_GLOBAL__N_124unique_dim_cuda_templateIiEESt5tupleIJNSH_6TensorESM_SM_EERKSM_lbbbEUlllE0_EEPmJS6_EEE10hipError_tPvRmT3_T4_T5_T6_T7_T9_mT8_P12ihipStream_tbDpT10_ENKUlT_T0_E_clISt17integral_constantIbLb0EES1B_IbLb1EEEEDaS17_S18_EUlS17_E_NS1_11comp_targetILNS1_3genE10ELNS1_11target_archE1200ELNS1_3gpuE4ELNS1_3repE0EEENS1_30default_config_static_selectorELNS0_4arch9wavefront6targetE1EEEvT1_
		.amdhsa_group_segment_fixed_size 0
		.amdhsa_private_segment_fixed_size 0
		.amdhsa_kernarg_size 136
		.amdhsa_user_sgpr_count 2
		.amdhsa_user_sgpr_dispatch_ptr 0
		.amdhsa_user_sgpr_queue_ptr 0
		.amdhsa_user_sgpr_kernarg_segment_ptr 1
		.amdhsa_user_sgpr_dispatch_id 0
		.amdhsa_user_sgpr_kernarg_preload_length 0
		.amdhsa_user_sgpr_kernarg_preload_offset 0
		.amdhsa_user_sgpr_private_segment_size 0
		.amdhsa_uses_dynamic_stack 0
		.amdhsa_enable_private_segment 0
		.amdhsa_system_sgpr_workgroup_id_x 1
		.amdhsa_system_sgpr_workgroup_id_y 0
		.amdhsa_system_sgpr_workgroup_id_z 0
		.amdhsa_system_sgpr_workgroup_info 0
		.amdhsa_system_vgpr_workitem_id 0
		.amdhsa_next_free_vgpr 1
		.amdhsa_next_free_sgpr 0
		.amdhsa_accum_offset 4
		.amdhsa_reserve_vcc 0
		.amdhsa_float_round_mode_32 0
		.amdhsa_float_round_mode_16_64 0
		.amdhsa_float_denorm_mode_32 3
		.amdhsa_float_denorm_mode_16_64 3
		.amdhsa_dx10_clamp 1
		.amdhsa_ieee_mode 1
		.amdhsa_fp16_overflow 0
		.amdhsa_tg_split 0
		.amdhsa_exception_fp_ieee_invalid_op 0
		.amdhsa_exception_fp_denorm_src 0
		.amdhsa_exception_fp_ieee_div_zero 0
		.amdhsa_exception_fp_ieee_overflow 0
		.amdhsa_exception_fp_ieee_underflow 0
		.amdhsa_exception_fp_ieee_inexact 0
		.amdhsa_exception_int_div_zero 0
	.end_amdhsa_kernel
	.section	.text._ZN7rocprim17ROCPRIM_400000_NS6detail17trampoline_kernelINS0_14default_configENS1_25partition_config_selectorILNS1_17partition_subalgoE8ElNS0_10empty_typeEbEEZZNS1_14partition_implILS5_8ELb0ES3_jPlPS6_PKS6_NS0_5tupleIJS9_S6_EEENSD_IJSA_SA_EEENS0_18inequality_wrapperIZN2at6native12_GLOBAL__N_124unique_dim_cuda_templateIiEESt5tupleIJNSH_6TensorESM_SM_EERKSM_lbbbEUlllE0_EEPmJS6_EEE10hipError_tPvRmT3_T4_T5_T6_T7_T9_mT8_P12ihipStream_tbDpT10_ENKUlT_T0_E_clISt17integral_constantIbLb0EES1B_IbLb1EEEEDaS17_S18_EUlS17_E_NS1_11comp_targetILNS1_3genE10ELNS1_11target_archE1200ELNS1_3gpuE4ELNS1_3repE0EEENS1_30default_config_static_selectorELNS0_4arch9wavefront6targetE1EEEvT1_,"axG",@progbits,_ZN7rocprim17ROCPRIM_400000_NS6detail17trampoline_kernelINS0_14default_configENS1_25partition_config_selectorILNS1_17partition_subalgoE8ElNS0_10empty_typeEbEEZZNS1_14partition_implILS5_8ELb0ES3_jPlPS6_PKS6_NS0_5tupleIJS9_S6_EEENSD_IJSA_SA_EEENS0_18inequality_wrapperIZN2at6native12_GLOBAL__N_124unique_dim_cuda_templateIiEESt5tupleIJNSH_6TensorESM_SM_EERKSM_lbbbEUlllE0_EEPmJS6_EEE10hipError_tPvRmT3_T4_T5_T6_T7_T9_mT8_P12ihipStream_tbDpT10_ENKUlT_T0_E_clISt17integral_constantIbLb0EES1B_IbLb1EEEEDaS17_S18_EUlS17_E_NS1_11comp_targetILNS1_3genE10ELNS1_11target_archE1200ELNS1_3gpuE4ELNS1_3repE0EEENS1_30default_config_static_selectorELNS0_4arch9wavefront6targetE1EEEvT1_,comdat
.Lfunc_end470:
	.size	_ZN7rocprim17ROCPRIM_400000_NS6detail17trampoline_kernelINS0_14default_configENS1_25partition_config_selectorILNS1_17partition_subalgoE8ElNS0_10empty_typeEbEEZZNS1_14partition_implILS5_8ELb0ES3_jPlPS6_PKS6_NS0_5tupleIJS9_S6_EEENSD_IJSA_SA_EEENS0_18inequality_wrapperIZN2at6native12_GLOBAL__N_124unique_dim_cuda_templateIiEESt5tupleIJNSH_6TensorESM_SM_EERKSM_lbbbEUlllE0_EEPmJS6_EEE10hipError_tPvRmT3_T4_T5_T6_T7_T9_mT8_P12ihipStream_tbDpT10_ENKUlT_T0_E_clISt17integral_constantIbLb0EES1B_IbLb1EEEEDaS17_S18_EUlS17_E_NS1_11comp_targetILNS1_3genE10ELNS1_11target_archE1200ELNS1_3gpuE4ELNS1_3repE0EEENS1_30default_config_static_selectorELNS0_4arch9wavefront6targetE1EEEvT1_, .Lfunc_end470-_ZN7rocprim17ROCPRIM_400000_NS6detail17trampoline_kernelINS0_14default_configENS1_25partition_config_selectorILNS1_17partition_subalgoE8ElNS0_10empty_typeEbEEZZNS1_14partition_implILS5_8ELb0ES3_jPlPS6_PKS6_NS0_5tupleIJS9_S6_EEENSD_IJSA_SA_EEENS0_18inequality_wrapperIZN2at6native12_GLOBAL__N_124unique_dim_cuda_templateIiEESt5tupleIJNSH_6TensorESM_SM_EERKSM_lbbbEUlllE0_EEPmJS6_EEE10hipError_tPvRmT3_T4_T5_T6_T7_T9_mT8_P12ihipStream_tbDpT10_ENKUlT_T0_E_clISt17integral_constantIbLb0EES1B_IbLb1EEEEDaS17_S18_EUlS17_E_NS1_11comp_targetILNS1_3genE10ELNS1_11target_archE1200ELNS1_3gpuE4ELNS1_3repE0EEENS1_30default_config_static_selectorELNS0_4arch9wavefront6targetE1EEEvT1_
                                        ; -- End function
	.set _ZN7rocprim17ROCPRIM_400000_NS6detail17trampoline_kernelINS0_14default_configENS1_25partition_config_selectorILNS1_17partition_subalgoE8ElNS0_10empty_typeEbEEZZNS1_14partition_implILS5_8ELb0ES3_jPlPS6_PKS6_NS0_5tupleIJS9_S6_EEENSD_IJSA_SA_EEENS0_18inequality_wrapperIZN2at6native12_GLOBAL__N_124unique_dim_cuda_templateIiEESt5tupleIJNSH_6TensorESM_SM_EERKSM_lbbbEUlllE0_EEPmJS6_EEE10hipError_tPvRmT3_T4_T5_T6_T7_T9_mT8_P12ihipStream_tbDpT10_ENKUlT_T0_E_clISt17integral_constantIbLb0EES1B_IbLb1EEEEDaS17_S18_EUlS17_E_NS1_11comp_targetILNS1_3genE10ELNS1_11target_archE1200ELNS1_3gpuE4ELNS1_3repE0EEENS1_30default_config_static_selectorELNS0_4arch9wavefront6targetE1EEEvT1_.num_vgpr, 0
	.set _ZN7rocprim17ROCPRIM_400000_NS6detail17trampoline_kernelINS0_14default_configENS1_25partition_config_selectorILNS1_17partition_subalgoE8ElNS0_10empty_typeEbEEZZNS1_14partition_implILS5_8ELb0ES3_jPlPS6_PKS6_NS0_5tupleIJS9_S6_EEENSD_IJSA_SA_EEENS0_18inequality_wrapperIZN2at6native12_GLOBAL__N_124unique_dim_cuda_templateIiEESt5tupleIJNSH_6TensorESM_SM_EERKSM_lbbbEUlllE0_EEPmJS6_EEE10hipError_tPvRmT3_T4_T5_T6_T7_T9_mT8_P12ihipStream_tbDpT10_ENKUlT_T0_E_clISt17integral_constantIbLb0EES1B_IbLb1EEEEDaS17_S18_EUlS17_E_NS1_11comp_targetILNS1_3genE10ELNS1_11target_archE1200ELNS1_3gpuE4ELNS1_3repE0EEENS1_30default_config_static_selectorELNS0_4arch9wavefront6targetE1EEEvT1_.num_agpr, 0
	.set _ZN7rocprim17ROCPRIM_400000_NS6detail17trampoline_kernelINS0_14default_configENS1_25partition_config_selectorILNS1_17partition_subalgoE8ElNS0_10empty_typeEbEEZZNS1_14partition_implILS5_8ELb0ES3_jPlPS6_PKS6_NS0_5tupleIJS9_S6_EEENSD_IJSA_SA_EEENS0_18inequality_wrapperIZN2at6native12_GLOBAL__N_124unique_dim_cuda_templateIiEESt5tupleIJNSH_6TensorESM_SM_EERKSM_lbbbEUlllE0_EEPmJS6_EEE10hipError_tPvRmT3_T4_T5_T6_T7_T9_mT8_P12ihipStream_tbDpT10_ENKUlT_T0_E_clISt17integral_constantIbLb0EES1B_IbLb1EEEEDaS17_S18_EUlS17_E_NS1_11comp_targetILNS1_3genE10ELNS1_11target_archE1200ELNS1_3gpuE4ELNS1_3repE0EEENS1_30default_config_static_selectorELNS0_4arch9wavefront6targetE1EEEvT1_.numbered_sgpr, 0
	.set _ZN7rocprim17ROCPRIM_400000_NS6detail17trampoline_kernelINS0_14default_configENS1_25partition_config_selectorILNS1_17partition_subalgoE8ElNS0_10empty_typeEbEEZZNS1_14partition_implILS5_8ELb0ES3_jPlPS6_PKS6_NS0_5tupleIJS9_S6_EEENSD_IJSA_SA_EEENS0_18inequality_wrapperIZN2at6native12_GLOBAL__N_124unique_dim_cuda_templateIiEESt5tupleIJNSH_6TensorESM_SM_EERKSM_lbbbEUlllE0_EEPmJS6_EEE10hipError_tPvRmT3_T4_T5_T6_T7_T9_mT8_P12ihipStream_tbDpT10_ENKUlT_T0_E_clISt17integral_constantIbLb0EES1B_IbLb1EEEEDaS17_S18_EUlS17_E_NS1_11comp_targetILNS1_3genE10ELNS1_11target_archE1200ELNS1_3gpuE4ELNS1_3repE0EEENS1_30default_config_static_selectorELNS0_4arch9wavefront6targetE1EEEvT1_.num_named_barrier, 0
	.set _ZN7rocprim17ROCPRIM_400000_NS6detail17trampoline_kernelINS0_14default_configENS1_25partition_config_selectorILNS1_17partition_subalgoE8ElNS0_10empty_typeEbEEZZNS1_14partition_implILS5_8ELb0ES3_jPlPS6_PKS6_NS0_5tupleIJS9_S6_EEENSD_IJSA_SA_EEENS0_18inequality_wrapperIZN2at6native12_GLOBAL__N_124unique_dim_cuda_templateIiEESt5tupleIJNSH_6TensorESM_SM_EERKSM_lbbbEUlllE0_EEPmJS6_EEE10hipError_tPvRmT3_T4_T5_T6_T7_T9_mT8_P12ihipStream_tbDpT10_ENKUlT_T0_E_clISt17integral_constantIbLb0EES1B_IbLb1EEEEDaS17_S18_EUlS17_E_NS1_11comp_targetILNS1_3genE10ELNS1_11target_archE1200ELNS1_3gpuE4ELNS1_3repE0EEENS1_30default_config_static_selectorELNS0_4arch9wavefront6targetE1EEEvT1_.private_seg_size, 0
	.set _ZN7rocprim17ROCPRIM_400000_NS6detail17trampoline_kernelINS0_14default_configENS1_25partition_config_selectorILNS1_17partition_subalgoE8ElNS0_10empty_typeEbEEZZNS1_14partition_implILS5_8ELb0ES3_jPlPS6_PKS6_NS0_5tupleIJS9_S6_EEENSD_IJSA_SA_EEENS0_18inequality_wrapperIZN2at6native12_GLOBAL__N_124unique_dim_cuda_templateIiEESt5tupleIJNSH_6TensorESM_SM_EERKSM_lbbbEUlllE0_EEPmJS6_EEE10hipError_tPvRmT3_T4_T5_T6_T7_T9_mT8_P12ihipStream_tbDpT10_ENKUlT_T0_E_clISt17integral_constantIbLb0EES1B_IbLb1EEEEDaS17_S18_EUlS17_E_NS1_11comp_targetILNS1_3genE10ELNS1_11target_archE1200ELNS1_3gpuE4ELNS1_3repE0EEENS1_30default_config_static_selectorELNS0_4arch9wavefront6targetE1EEEvT1_.uses_vcc, 0
	.set _ZN7rocprim17ROCPRIM_400000_NS6detail17trampoline_kernelINS0_14default_configENS1_25partition_config_selectorILNS1_17partition_subalgoE8ElNS0_10empty_typeEbEEZZNS1_14partition_implILS5_8ELb0ES3_jPlPS6_PKS6_NS0_5tupleIJS9_S6_EEENSD_IJSA_SA_EEENS0_18inequality_wrapperIZN2at6native12_GLOBAL__N_124unique_dim_cuda_templateIiEESt5tupleIJNSH_6TensorESM_SM_EERKSM_lbbbEUlllE0_EEPmJS6_EEE10hipError_tPvRmT3_T4_T5_T6_T7_T9_mT8_P12ihipStream_tbDpT10_ENKUlT_T0_E_clISt17integral_constantIbLb0EES1B_IbLb1EEEEDaS17_S18_EUlS17_E_NS1_11comp_targetILNS1_3genE10ELNS1_11target_archE1200ELNS1_3gpuE4ELNS1_3repE0EEENS1_30default_config_static_selectorELNS0_4arch9wavefront6targetE1EEEvT1_.uses_flat_scratch, 0
	.set _ZN7rocprim17ROCPRIM_400000_NS6detail17trampoline_kernelINS0_14default_configENS1_25partition_config_selectorILNS1_17partition_subalgoE8ElNS0_10empty_typeEbEEZZNS1_14partition_implILS5_8ELb0ES3_jPlPS6_PKS6_NS0_5tupleIJS9_S6_EEENSD_IJSA_SA_EEENS0_18inequality_wrapperIZN2at6native12_GLOBAL__N_124unique_dim_cuda_templateIiEESt5tupleIJNSH_6TensorESM_SM_EERKSM_lbbbEUlllE0_EEPmJS6_EEE10hipError_tPvRmT3_T4_T5_T6_T7_T9_mT8_P12ihipStream_tbDpT10_ENKUlT_T0_E_clISt17integral_constantIbLb0EES1B_IbLb1EEEEDaS17_S18_EUlS17_E_NS1_11comp_targetILNS1_3genE10ELNS1_11target_archE1200ELNS1_3gpuE4ELNS1_3repE0EEENS1_30default_config_static_selectorELNS0_4arch9wavefront6targetE1EEEvT1_.has_dyn_sized_stack, 0
	.set _ZN7rocprim17ROCPRIM_400000_NS6detail17trampoline_kernelINS0_14default_configENS1_25partition_config_selectorILNS1_17partition_subalgoE8ElNS0_10empty_typeEbEEZZNS1_14partition_implILS5_8ELb0ES3_jPlPS6_PKS6_NS0_5tupleIJS9_S6_EEENSD_IJSA_SA_EEENS0_18inequality_wrapperIZN2at6native12_GLOBAL__N_124unique_dim_cuda_templateIiEESt5tupleIJNSH_6TensorESM_SM_EERKSM_lbbbEUlllE0_EEPmJS6_EEE10hipError_tPvRmT3_T4_T5_T6_T7_T9_mT8_P12ihipStream_tbDpT10_ENKUlT_T0_E_clISt17integral_constantIbLb0EES1B_IbLb1EEEEDaS17_S18_EUlS17_E_NS1_11comp_targetILNS1_3genE10ELNS1_11target_archE1200ELNS1_3gpuE4ELNS1_3repE0EEENS1_30default_config_static_selectorELNS0_4arch9wavefront6targetE1EEEvT1_.has_recursion, 0
	.set _ZN7rocprim17ROCPRIM_400000_NS6detail17trampoline_kernelINS0_14default_configENS1_25partition_config_selectorILNS1_17partition_subalgoE8ElNS0_10empty_typeEbEEZZNS1_14partition_implILS5_8ELb0ES3_jPlPS6_PKS6_NS0_5tupleIJS9_S6_EEENSD_IJSA_SA_EEENS0_18inequality_wrapperIZN2at6native12_GLOBAL__N_124unique_dim_cuda_templateIiEESt5tupleIJNSH_6TensorESM_SM_EERKSM_lbbbEUlllE0_EEPmJS6_EEE10hipError_tPvRmT3_T4_T5_T6_T7_T9_mT8_P12ihipStream_tbDpT10_ENKUlT_T0_E_clISt17integral_constantIbLb0EES1B_IbLb1EEEEDaS17_S18_EUlS17_E_NS1_11comp_targetILNS1_3genE10ELNS1_11target_archE1200ELNS1_3gpuE4ELNS1_3repE0EEENS1_30default_config_static_selectorELNS0_4arch9wavefront6targetE1EEEvT1_.has_indirect_call, 0
	.section	.AMDGPU.csdata,"",@progbits
; Kernel info:
; codeLenInByte = 0
; TotalNumSgprs: 6
; NumVgprs: 0
; NumAgprs: 0
; TotalNumVgprs: 0
; ScratchSize: 0
; MemoryBound: 0
; FloatMode: 240
; IeeeMode: 1
; LDSByteSize: 0 bytes/workgroup (compile time only)
; SGPRBlocks: 0
; VGPRBlocks: 0
; NumSGPRsForWavesPerEU: 6
; NumVGPRsForWavesPerEU: 1
; AccumOffset: 4
; Occupancy: 8
; WaveLimiterHint : 0
; COMPUTE_PGM_RSRC2:SCRATCH_EN: 0
; COMPUTE_PGM_RSRC2:USER_SGPR: 2
; COMPUTE_PGM_RSRC2:TRAP_HANDLER: 0
; COMPUTE_PGM_RSRC2:TGID_X_EN: 1
; COMPUTE_PGM_RSRC2:TGID_Y_EN: 0
; COMPUTE_PGM_RSRC2:TGID_Z_EN: 0
; COMPUTE_PGM_RSRC2:TIDIG_COMP_CNT: 0
; COMPUTE_PGM_RSRC3_GFX90A:ACCUM_OFFSET: 0
; COMPUTE_PGM_RSRC3_GFX90A:TG_SPLIT: 0
	.section	.text._ZN7rocprim17ROCPRIM_400000_NS6detail17trampoline_kernelINS0_14default_configENS1_25partition_config_selectorILNS1_17partition_subalgoE8ElNS0_10empty_typeEbEEZZNS1_14partition_implILS5_8ELb0ES3_jPlPS6_PKS6_NS0_5tupleIJS9_S6_EEENSD_IJSA_SA_EEENS0_18inequality_wrapperIZN2at6native12_GLOBAL__N_124unique_dim_cuda_templateIiEESt5tupleIJNSH_6TensorESM_SM_EERKSM_lbbbEUlllE0_EEPmJS6_EEE10hipError_tPvRmT3_T4_T5_T6_T7_T9_mT8_P12ihipStream_tbDpT10_ENKUlT_T0_E_clISt17integral_constantIbLb0EES1B_IbLb1EEEEDaS17_S18_EUlS17_E_NS1_11comp_targetILNS1_3genE9ELNS1_11target_archE1100ELNS1_3gpuE3ELNS1_3repE0EEENS1_30default_config_static_selectorELNS0_4arch9wavefront6targetE1EEEvT1_,"axG",@progbits,_ZN7rocprim17ROCPRIM_400000_NS6detail17trampoline_kernelINS0_14default_configENS1_25partition_config_selectorILNS1_17partition_subalgoE8ElNS0_10empty_typeEbEEZZNS1_14partition_implILS5_8ELb0ES3_jPlPS6_PKS6_NS0_5tupleIJS9_S6_EEENSD_IJSA_SA_EEENS0_18inequality_wrapperIZN2at6native12_GLOBAL__N_124unique_dim_cuda_templateIiEESt5tupleIJNSH_6TensorESM_SM_EERKSM_lbbbEUlllE0_EEPmJS6_EEE10hipError_tPvRmT3_T4_T5_T6_T7_T9_mT8_P12ihipStream_tbDpT10_ENKUlT_T0_E_clISt17integral_constantIbLb0EES1B_IbLb1EEEEDaS17_S18_EUlS17_E_NS1_11comp_targetILNS1_3genE9ELNS1_11target_archE1100ELNS1_3gpuE3ELNS1_3repE0EEENS1_30default_config_static_selectorELNS0_4arch9wavefront6targetE1EEEvT1_,comdat
	.globl	_ZN7rocprim17ROCPRIM_400000_NS6detail17trampoline_kernelINS0_14default_configENS1_25partition_config_selectorILNS1_17partition_subalgoE8ElNS0_10empty_typeEbEEZZNS1_14partition_implILS5_8ELb0ES3_jPlPS6_PKS6_NS0_5tupleIJS9_S6_EEENSD_IJSA_SA_EEENS0_18inequality_wrapperIZN2at6native12_GLOBAL__N_124unique_dim_cuda_templateIiEESt5tupleIJNSH_6TensorESM_SM_EERKSM_lbbbEUlllE0_EEPmJS6_EEE10hipError_tPvRmT3_T4_T5_T6_T7_T9_mT8_P12ihipStream_tbDpT10_ENKUlT_T0_E_clISt17integral_constantIbLb0EES1B_IbLb1EEEEDaS17_S18_EUlS17_E_NS1_11comp_targetILNS1_3genE9ELNS1_11target_archE1100ELNS1_3gpuE3ELNS1_3repE0EEENS1_30default_config_static_selectorELNS0_4arch9wavefront6targetE1EEEvT1_ ; -- Begin function _ZN7rocprim17ROCPRIM_400000_NS6detail17trampoline_kernelINS0_14default_configENS1_25partition_config_selectorILNS1_17partition_subalgoE8ElNS0_10empty_typeEbEEZZNS1_14partition_implILS5_8ELb0ES3_jPlPS6_PKS6_NS0_5tupleIJS9_S6_EEENSD_IJSA_SA_EEENS0_18inequality_wrapperIZN2at6native12_GLOBAL__N_124unique_dim_cuda_templateIiEESt5tupleIJNSH_6TensorESM_SM_EERKSM_lbbbEUlllE0_EEPmJS6_EEE10hipError_tPvRmT3_T4_T5_T6_T7_T9_mT8_P12ihipStream_tbDpT10_ENKUlT_T0_E_clISt17integral_constantIbLb0EES1B_IbLb1EEEEDaS17_S18_EUlS17_E_NS1_11comp_targetILNS1_3genE9ELNS1_11target_archE1100ELNS1_3gpuE3ELNS1_3repE0EEENS1_30default_config_static_selectorELNS0_4arch9wavefront6targetE1EEEvT1_
	.p2align	8
	.type	_ZN7rocprim17ROCPRIM_400000_NS6detail17trampoline_kernelINS0_14default_configENS1_25partition_config_selectorILNS1_17partition_subalgoE8ElNS0_10empty_typeEbEEZZNS1_14partition_implILS5_8ELb0ES3_jPlPS6_PKS6_NS0_5tupleIJS9_S6_EEENSD_IJSA_SA_EEENS0_18inequality_wrapperIZN2at6native12_GLOBAL__N_124unique_dim_cuda_templateIiEESt5tupleIJNSH_6TensorESM_SM_EERKSM_lbbbEUlllE0_EEPmJS6_EEE10hipError_tPvRmT3_T4_T5_T6_T7_T9_mT8_P12ihipStream_tbDpT10_ENKUlT_T0_E_clISt17integral_constantIbLb0EES1B_IbLb1EEEEDaS17_S18_EUlS17_E_NS1_11comp_targetILNS1_3genE9ELNS1_11target_archE1100ELNS1_3gpuE3ELNS1_3repE0EEENS1_30default_config_static_selectorELNS0_4arch9wavefront6targetE1EEEvT1_,@function
_ZN7rocprim17ROCPRIM_400000_NS6detail17trampoline_kernelINS0_14default_configENS1_25partition_config_selectorILNS1_17partition_subalgoE8ElNS0_10empty_typeEbEEZZNS1_14partition_implILS5_8ELb0ES3_jPlPS6_PKS6_NS0_5tupleIJS9_S6_EEENSD_IJSA_SA_EEENS0_18inequality_wrapperIZN2at6native12_GLOBAL__N_124unique_dim_cuda_templateIiEESt5tupleIJNSH_6TensorESM_SM_EERKSM_lbbbEUlllE0_EEPmJS6_EEE10hipError_tPvRmT3_T4_T5_T6_T7_T9_mT8_P12ihipStream_tbDpT10_ENKUlT_T0_E_clISt17integral_constantIbLb0EES1B_IbLb1EEEEDaS17_S18_EUlS17_E_NS1_11comp_targetILNS1_3genE9ELNS1_11target_archE1100ELNS1_3gpuE3ELNS1_3repE0EEENS1_30default_config_static_selectorELNS0_4arch9wavefront6targetE1EEEvT1_: ; @_ZN7rocprim17ROCPRIM_400000_NS6detail17trampoline_kernelINS0_14default_configENS1_25partition_config_selectorILNS1_17partition_subalgoE8ElNS0_10empty_typeEbEEZZNS1_14partition_implILS5_8ELb0ES3_jPlPS6_PKS6_NS0_5tupleIJS9_S6_EEENSD_IJSA_SA_EEENS0_18inequality_wrapperIZN2at6native12_GLOBAL__N_124unique_dim_cuda_templateIiEESt5tupleIJNSH_6TensorESM_SM_EERKSM_lbbbEUlllE0_EEPmJS6_EEE10hipError_tPvRmT3_T4_T5_T6_T7_T9_mT8_P12ihipStream_tbDpT10_ENKUlT_T0_E_clISt17integral_constantIbLb0EES1B_IbLb1EEEEDaS17_S18_EUlS17_E_NS1_11comp_targetILNS1_3genE9ELNS1_11target_archE1100ELNS1_3gpuE3ELNS1_3repE0EEENS1_30default_config_static_selectorELNS0_4arch9wavefront6targetE1EEEvT1_
; %bb.0:
	.section	.rodata,"a",@progbits
	.p2align	6, 0x0
	.amdhsa_kernel _ZN7rocprim17ROCPRIM_400000_NS6detail17trampoline_kernelINS0_14default_configENS1_25partition_config_selectorILNS1_17partition_subalgoE8ElNS0_10empty_typeEbEEZZNS1_14partition_implILS5_8ELb0ES3_jPlPS6_PKS6_NS0_5tupleIJS9_S6_EEENSD_IJSA_SA_EEENS0_18inequality_wrapperIZN2at6native12_GLOBAL__N_124unique_dim_cuda_templateIiEESt5tupleIJNSH_6TensorESM_SM_EERKSM_lbbbEUlllE0_EEPmJS6_EEE10hipError_tPvRmT3_T4_T5_T6_T7_T9_mT8_P12ihipStream_tbDpT10_ENKUlT_T0_E_clISt17integral_constantIbLb0EES1B_IbLb1EEEEDaS17_S18_EUlS17_E_NS1_11comp_targetILNS1_3genE9ELNS1_11target_archE1100ELNS1_3gpuE3ELNS1_3repE0EEENS1_30default_config_static_selectorELNS0_4arch9wavefront6targetE1EEEvT1_
		.amdhsa_group_segment_fixed_size 0
		.amdhsa_private_segment_fixed_size 0
		.amdhsa_kernarg_size 136
		.amdhsa_user_sgpr_count 2
		.amdhsa_user_sgpr_dispatch_ptr 0
		.amdhsa_user_sgpr_queue_ptr 0
		.amdhsa_user_sgpr_kernarg_segment_ptr 1
		.amdhsa_user_sgpr_dispatch_id 0
		.amdhsa_user_sgpr_kernarg_preload_length 0
		.amdhsa_user_sgpr_kernarg_preload_offset 0
		.amdhsa_user_sgpr_private_segment_size 0
		.amdhsa_uses_dynamic_stack 0
		.amdhsa_enable_private_segment 0
		.amdhsa_system_sgpr_workgroup_id_x 1
		.amdhsa_system_sgpr_workgroup_id_y 0
		.amdhsa_system_sgpr_workgroup_id_z 0
		.amdhsa_system_sgpr_workgroup_info 0
		.amdhsa_system_vgpr_workitem_id 0
		.amdhsa_next_free_vgpr 1
		.amdhsa_next_free_sgpr 0
		.amdhsa_accum_offset 4
		.amdhsa_reserve_vcc 0
		.amdhsa_float_round_mode_32 0
		.amdhsa_float_round_mode_16_64 0
		.amdhsa_float_denorm_mode_32 3
		.amdhsa_float_denorm_mode_16_64 3
		.amdhsa_dx10_clamp 1
		.amdhsa_ieee_mode 1
		.amdhsa_fp16_overflow 0
		.amdhsa_tg_split 0
		.amdhsa_exception_fp_ieee_invalid_op 0
		.amdhsa_exception_fp_denorm_src 0
		.amdhsa_exception_fp_ieee_div_zero 0
		.amdhsa_exception_fp_ieee_overflow 0
		.amdhsa_exception_fp_ieee_underflow 0
		.amdhsa_exception_fp_ieee_inexact 0
		.amdhsa_exception_int_div_zero 0
	.end_amdhsa_kernel
	.section	.text._ZN7rocprim17ROCPRIM_400000_NS6detail17trampoline_kernelINS0_14default_configENS1_25partition_config_selectorILNS1_17partition_subalgoE8ElNS0_10empty_typeEbEEZZNS1_14partition_implILS5_8ELb0ES3_jPlPS6_PKS6_NS0_5tupleIJS9_S6_EEENSD_IJSA_SA_EEENS0_18inequality_wrapperIZN2at6native12_GLOBAL__N_124unique_dim_cuda_templateIiEESt5tupleIJNSH_6TensorESM_SM_EERKSM_lbbbEUlllE0_EEPmJS6_EEE10hipError_tPvRmT3_T4_T5_T6_T7_T9_mT8_P12ihipStream_tbDpT10_ENKUlT_T0_E_clISt17integral_constantIbLb0EES1B_IbLb1EEEEDaS17_S18_EUlS17_E_NS1_11comp_targetILNS1_3genE9ELNS1_11target_archE1100ELNS1_3gpuE3ELNS1_3repE0EEENS1_30default_config_static_selectorELNS0_4arch9wavefront6targetE1EEEvT1_,"axG",@progbits,_ZN7rocprim17ROCPRIM_400000_NS6detail17trampoline_kernelINS0_14default_configENS1_25partition_config_selectorILNS1_17partition_subalgoE8ElNS0_10empty_typeEbEEZZNS1_14partition_implILS5_8ELb0ES3_jPlPS6_PKS6_NS0_5tupleIJS9_S6_EEENSD_IJSA_SA_EEENS0_18inequality_wrapperIZN2at6native12_GLOBAL__N_124unique_dim_cuda_templateIiEESt5tupleIJNSH_6TensorESM_SM_EERKSM_lbbbEUlllE0_EEPmJS6_EEE10hipError_tPvRmT3_T4_T5_T6_T7_T9_mT8_P12ihipStream_tbDpT10_ENKUlT_T0_E_clISt17integral_constantIbLb0EES1B_IbLb1EEEEDaS17_S18_EUlS17_E_NS1_11comp_targetILNS1_3genE9ELNS1_11target_archE1100ELNS1_3gpuE3ELNS1_3repE0EEENS1_30default_config_static_selectorELNS0_4arch9wavefront6targetE1EEEvT1_,comdat
.Lfunc_end471:
	.size	_ZN7rocprim17ROCPRIM_400000_NS6detail17trampoline_kernelINS0_14default_configENS1_25partition_config_selectorILNS1_17partition_subalgoE8ElNS0_10empty_typeEbEEZZNS1_14partition_implILS5_8ELb0ES3_jPlPS6_PKS6_NS0_5tupleIJS9_S6_EEENSD_IJSA_SA_EEENS0_18inequality_wrapperIZN2at6native12_GLOBAL__N_124unique_dim_cuda_templateIiEESt5tupleIJNSH_6TensorESM_SM_EERKSM_lbbbEUlllE0_EEPmJS6_EEE10hipError_tPvRmT3_T4_T5_T6_T7_T9_mT8_P12ihipStream_tbDpT10_ENKUlT_T0_E_clISt17integral_constantIbLb0EES1B_IbLb1EEEEDaS17_S18_EUlS17_E_NS1_11comp_targetILNS1_3genE9ELNS1_11target_archE1100ELNS1_3gpuE3ELNS1_3repE0EEENS1_30default_config_static_selectorELNS0_4arch9wavefront6targetE1EEEvT1_, .Lfunc_end471-_ZN7rocprim17ROCPRIM_400000_NS6detail17trampoline_kernelINS0_14default_configENS1_25partition_config_selectorILNS1_17partition_subalgoE8ElNS0_10empty_typeEbEEZZNS1_14partition_implILS5_8ELb0ES3_jPlPS6_PKS6_NS0_5tupleIJS9_S6_EEENSD_IJSA_SA_EEENS0_18inequality_wrapperIZN2at6native12_GLOBAL__N_124unique_dim_cuda_templateIiEESt5tupleIJNSH_6TensorESM_SM_EERKSM_lbbbEUlllE0_EEPmJS6_EEE10hipError_tPvRmT3_T4_T5_T6_T7_T9_mT8_P12ihipStream_tbDpT10_ENKUlT_T0_E_clISt17integral_constantIbLb0EES1B_IbLb1EEEEDaS17_S18_EUlS17_E_NS1_11comp_targetILNS1_3genE9ELNS1_11target_archE1100ELNS1_3gpuE3ELNS1_3repE0EEENS1_30default_config_static_selectorELNS0_4arch9wavefront6targetE1EEEvT1_
                                        ; -- End function
	.set _ZN7rocprim17ROCPRIM_400000_NS6detail17trampoline_kernelINS0_14default_configENS1_25partition_config_selectorILNS1_17partition_subalgoE8ElNS0_10empty_typeEbEEZZNS1_14partition_implILS5_8ELb0ES3_jPlPS6_PKS6_NS0_5tupleIJS9_S6_EEENSD_IJSA_SA_EEENS0_18inequality_wrapperIZN2at6native12_GLOBAL__N_124unique_dim_cuda_templateIiEESt5tupleIJNSH_6TensorESM_SM_EERKSM_lbbbEUlllE0_EEPmJS6_EEE10hipError_tPvRmT3_T4_T5_T6_T7_T9_mT8_P12ihipStream_tbDpT10_ENKUlT_T0_E_clISt17integral_constantIbLb0EES1B_IbLb1EEEEDaS17_S18_EUlS17_E_NS1_11comp_targetILNS1_3genE9ELNS1_11target_archE1100ELNS1_3gpuE3ELNS1_3repE0EEENS1_30default_config_static_selectorELNS0_4arch9wavefront6targetE1EEEvT1_.num_vgpr, 0
	.set _ZN7rocprim17ROCPRIM_400000_NS6detail17trampoline_kernelINS0_14default_configENS1_25partition_config_selectorILNS1_17partition_subalgoE8ElNS0_10empty_typeEbEEZZNS1_14partition_implILS5_8ELb0ES3_jPlPS6_PKS6_NS0_5tupleIJS9_S6_EEENSD_IJSA_SA_EEENS0_18inequality_wrapperIZN2at6native12_GLOBAL__N_124unique_dim_cuda_templateIiEESt5tupleIJNSH_6TensorESM_SM_EERKSM_lbbbEUlllE0_EEPmJS6_EEE10hipError_tPvRmT3_T4_T5_T6_T7_T9_mT8_P12ihipStream_tbDpT10_ENKUlT_T0_E_clISt17integral_constantIbLb0EES1B_IbLb1EEEEDaS17_S18_EUlS17_E_NS1_11comp_targetILNS1_3genE9ELNS1_11target_archE1100ELNS1_3gpuE3ELNS1_3repE0EEENS1_30default_config_static_selectorELNS0_4arch9wavefront6targetE1EEEvT1_.num_agpr, 0
	.set _ZN7rocprim17ROCPRIM_400000_NS6detail17trampoline_kernelINS0_14default_configENS1_25partition_config_selectorILNS1_17partition_subalgoE8ElNS0_10empty_typeEbEEZZNS1_14partition_implILS5_8ELb0ES3_jPlPS6_PKS6_NS0_5tupleIJS9_S6_EEENSD_IJSA_SA_EEENS0_18inequality_wrapperIZN2at6native12_GLOBAL__N_124unique_dim_cuda_templateIiEESt5tupleIJNSH_6TensorESM_SM_EERKSM_lbbbEUlllE0_EEPmJS6_EEE10hipError_tPvRmT3_T4_T5_T6_T7_T9_mT8_P12ihipStream_tbDpT10_ENKUlT_T0_E_clISt17integral_constantIbLb0EES1B_IbLb1EEEEDaS17_S18_EUlS17_E_NS1_11comp_targetILNS1_3genE9ELNS1_11target_archE1100ELNS1_3gpuE3ELNS1_3repE0EEENS1_30default_config_static_selectorELNS0_4arch9wavefront6targetE1EEEvT1_.numbered_sgpr, 0
	.set _ZN7rocprim17ROCPRIM_400000_NS6detail17trampoline_kernelINS0_14default_configENS1_25partition_config_selectorILNS1_17partition_subalgoE8ElNS0_10empty_typeEbEEZZNS1_14partition_implILS5_8ELb0ES3_jPlPS6_PKS6_NS0_5tupleIJS9_S6_EEENSD_IJSA_SA_EEENS0_18inequality_wrapperIZN2at6native12_GLOBAL__N_124unique_dim_cuda_templateIiEESt5tupleIJNSH_6TensorESM_SM_EERKSM_lbbbEUlllE0_EEPmJS6_EEE10hipError_tPvRmT3_T4_T5_T6_T7_T9_mT8_P12ihipStream_tbDpT10_ENKUlT_T0_E_clISt17integral_constantIbLb0EES1B_IbLb1EEEEDaS17_S18_EUlS17_E_NS1_11comp_targetILNS1_3genE9ELNS1_11target_archE1100ELNS1_3gpuE3ELNS1_3repE0EEENS1_30default_config_static_selectorELNS0_4arch9wavefront6targetE1EEEvT1_.num_named_barrier, 0
	.set _ZN7rocprim17ROCPRIM_400000_NS6detail17trampoline_kernelINS0_14default_configENS1_25partition_config_selectorILNS1_17partition_subalgoE8ElNS0_10empty_typeEbEEZZNS1_14partition_implILS5_8ELb0ES3_jPlPS6_PKS6_NS0_5tupleIJS9_S6_EEENSD_IJSA_SA_EEENS0_18inequality_wrapperIZN2at6native12_GLOBAL__N_124unique_dim_cuda_templateIiEESt5tupleIJNSH_6TensorESM_SM_EERKSM_lbbbEUlllE0_EEPmJS6_EEE10hipError_tPvRmT3_T4_T5_T6_T7_T9_mT8_P12ihipStream_tbDpT10_ENKUlT_T0_E_clISt17integral_constantIbLb0EES1B_IbLb1EEEEDaS17_S18_EUlS17_E_NS1_11comp_targetILNS1_3genE9ELNS1_11target_archE1100ELNS1_3gpuE3ELNS1_3repE0EEENS1_30default_config_static_selectorELNS0_4arch9wavefront6targetE1EEEvT1_.private_seg_size, 0
	.set _ZN7rocprim17ROCPRIM_400000_NS6detail17trampoline_kernelINS0_14default_configENS1_25partition_config_selectorILNS1_17partition_subalgoE8ElNS0_10empty_typeEbEEZZNS1_14partition_implILS5_8ELb0ES3_jPlPS6_PKS6_NS0_5tupleIJS9_S6_EEENSD_IJSA_SA_EEENS0_18inequality_wrapperIZN2at6native12_GLOBAL__N_124unique_dim_cuda_templateIiEESt5tupleIJNSH_6TensorESM_SM_EERKSM_lbbbEUlllE0_EEPmJS6_EEE10hipError_tPvRmT3_T4_T5_T6_T7_T9_mT8_P12ihipStream_tbDpT10_ENKUlT_T0_E_clISt17integral_constantIbLb0EES1B_IbLb1EEEEDaS17_S18_EUlS17_E_NS1_11comp_targetILNS1_3genE9ELNS1_11target_archE1100ELNS1_3gpuE3ELNS1_3repE0EEENS1_30default_config_static_selectorELNS0_4arch9wavefront6targetE1EEEvT1_.uses_vcc, 0
	.set _ZN7rocprim17ROCPRIM_400000_NS6detail17trampoline_kernelINS0_14default_configENS1_25partition_config_selectorILNS1_17partition_subalgoE8ElNS0_10empty_typeEbEEZZNS1_14partition_implILS5_8ELb0ES3_jPlPS6_PKS6_NS0_5tupleIJS9_S6_EEENSD_IJSA_SA_EEENS0_18inequality_wrapperIZN2at6native12_GLOBAL__N_124unique_dim_cuda_templateIiEESt5tupleIJNSH_6TensorESM_SM_EERKSM_lbbbEUlllE0_EEPmJS6_EEE10hipError_tPvRmT3_T4_T5_T6_T7_T9_mT8_P12ihipStream_tbDpT10_ENKUlT_T0_E_clISt17integral_constantIbLb0EES1B_IbLb1EEEEDaS17_S18_EUlS17_E_NS1_11comp_targetILNS1_3genE9ELNS1_11target_archE1100ELNS1_3gpuE3ELNS1_3repE0EEENS1_30default_config_static_selectorELNS0_4arch9wavefront6targetE1EEEvT1_.uses_flat_scratch, 0
	.set _ZN7rocprim17ROCPRIM_400000_NS6detail17trampoline_kernelINS0_14default_configENS1_25partition_config_selectorILNS1_17partition_subalgoE8ElNS0_10empty_typeEbEEZZNS1_14partition_implILS5_8ELb0ES3_jPlPS6_PKS6_NS0_5tupleIJS9_S6_EEENSD_IJSA_SA_EEENS0_18inequality_wrapperIZN2at6native12_GLOBAL__N_124unique_dim_cuda_templateIiEESt5tupleIJNSH_6TensorESM_SM_EERKSM_lbbbEUlllE0_EEPmJS6_EEE10hipError_tPvRmT3_T4_T5_T6_T7_T9_mT8_P12ihipStream_tbDpT10_ENKUlT_T0_E_clISt17integral_constantIbLb0EES1B_IbLb1EEEEDaS17_S18_EUlS17_E_NS1_11comp_targetILNS1_3genE9ELNS1_11target_archE1100ELNS1_3gpuE3ELNS1_3repE0EEENS1_30default_config_static_selectorELNS0_4arch9wavefront6targetE1EEEvT1_.has_dyn_sized_stack, 0
	.set _ZN7rocprim17ROCPRIM_400000_NS6detail17trampoline_kernelINS0_14default_configENS1_25partition_config_selectorILNS1_17partition_subalgoE8ElNS0_10empty_typeEbEEZZNS1_14partition_implILS5_8ELb0ES3_jPlPS6_PKS6_NS0_5tupleIJS9_S6_EEENSD_IJSA_SA_EEENS0_18inequality_wrapperIZN2at6native12_GLOBAL__N_124unique_dim_cuda_templateIiEESt5tupleIJNSH_6TensorESM_SM_EERKSM_lbbbEUlllE0_EEPmJS6_EEE10hipError_tPvRmT3_T4_T5_T6_T7_T9_mT8_P12ihipStream_tbDpT10_ENKUlT_T0_E_clISt17integral_constantIbLb0EES1B_IbLb1EEEEDaS17_S18_EUlS17_E_NS1_11comp_targetILNS1_3genE9ELNS1_11target_archE1100ELNS1_3gpuE3ELNS1_3repE0EEENS1_30default_config_static_selectorELNS0_4arch9wavefront6targetE1EEEvT1_.has_recursion, 0
	.set _ZN7rocprim17ROCPRIM_400000_NS6detail17trampoline_kernelINS0_14default_configENS1_25partition_config_selectorILNS1_17partition_subalgoE8ElNS0_10empty_typeEbEEZZNS1_14partition_implILS5_8ELb0ES3_jPlPS6_PKS6_NS0_5tupleIJS9_S6_EEENSD_IJSA_SA_EEENS0_18inequality_wrapperIZN2at6native12_GLOBAL__N_124unique_dim_cuda_templateIiEESt5tupleIJNSH_6TensorESM_SM_EERKSM_lbbbEUlllE0_EEPmJS6_EEE10hipError_tPvRmT3_T4_T5_T6_T7_T9_mT8_P12ihipStream_tbDpT10_ENKUlT_T0_E_clISt17integral_constantIbLb0EES1B_IbLb1EEEEDaS17_S18_EUlS17_E_NS1_11comp_targetILNS1_3genE9ELNS1_11target_archE1100ELNS1_3gpuE3ELNS1_3repE0EEENS1_30default_config_static_selectorELNS0_4arch9wavefront6targetE1EEEvT1_.has_indirect_call, 0
	.section	.AMDGPU.csdata,"",@progbits
; Kernel info:
; codeLenInByte = 0
; TotalNumSgprs: 6
; NumVgprs: 0
; NumAgprs: 0
; TotalNumVgprs: 0
; ScratchSize: 0
; MemoryBound: 0
; FloatMode: 240
; IeeeMode: 1
; LDSByteSize: 0 bytes/workgroup (compile time only)
; SGPRBlocks: 0
; VGPRBlocks: 0
; NumSGPRsForWavesPerEU: 6
; NumVGPRsForWavesPerEU: 1
; AccumOffset: 4
; Occupancy: 8
; WaveLimiterHint : 0
; COMPUTE_PGM_RSRC2:SCRATCH_EN: 0
; COMPUTE_PGM_RSRC2:USER_SGPR: 2
; COMPUTE_PGM_RSRC2:TRAP_HANDLER: 0
; COMPUTE_PGM_RSRC2:TGID_X_EN: 1
; COMPUTE_PGM_RSRC2:TGID_Y_EN: 0
; COMPUTE_PGM_RSRC2:TGID_Z_EN: 0
; COMPUTE_PGM_RSRC2:TIDIG_COMP_CNT: 0
; COMPUTE_PGM_RSRC3_GFX90A:ACCUM_OFFSET: 0
; COMPUTE_PGM_RSRC3_GFX90A:TG_SPLIT: 0
	.section	.text._ZN7rocprim17ROCPRIM_400000_NS6detail17trampoline_kernelINS0_14default_configENS1_25partition_config_selectorILNS1_17partition_subalgoE8ElNS0_10empty_typeEbEEZZNS1_14partition_implILS5_8ELb0ES3_jPlPS6_PKS6_NS0_5tupleIJS9_S6_EEENSD_IJSA_SA_EEENS0_18inequality_wrapperIZN2at6native12_GLOBAL__N_124unique_dim_cuda_templateIiEESt5tupleIJNSH_6TensorESM_SM_EERKSM_lbbbEUlllE0_EEPmJS6_EEE10hipError_tPvRmT3_T4_T5_T6_T7_T9_mT8_P12ihipStream_tbDpT10_ENKUlT_T0_E_clISt17integral_constantIbLb0EES1B_IbLb1EEEEDaS17_S18_EUlS17_E_NS1_11comp_targetILNS1_3genE8ELNS1_11target_archE1030ELNS1_3gpuE2ELNS1_3repE0EEENS1_30default_config_static_selectorELNS0_4arch9wavefront6targetE1EEEvT1_,"axG",@progbits,_ZN7rocprim17ROCPRIM_400000_NS6detail17trampoline_kernelINS0_14default_configENS1_25partition_config_selectorILNS1_17partition_subalgoE8ElNS0_10empty_typeEbEEZZNS1_14partition_implILS5_8ELb0ES3_jPlPS6_PKS6_NS0_5tupleIJS9_S6_EEENSD_IJSA_SA_EEENS0_18inequality_wrapperIZN2at6native12_GLOBAL__N_124unique_dim_cuda_templateIiEESt5tupleIJNSH_6TensorESM_SM_EERKSM_lbbbEUlllE0_EEPmJS6_EEE10hipError_tPvRmT3_T4_T5_T6_T7_T9_mT8_P12ihipStream_tbDpT10_ENKUlT_T0_E_clISt17integral_constantIbLb0EES1B_IbLb1EEEEDaS17_S18_EUlS17_E_NS1_11comp_targetILNS1_3genE8ELNS1_11target_archE1030ELNS1_3gpuE2ELNS1_3repE0EEENS1_30default_config_static_selectorELNS0_4arch9wavefront6targetE1EEEvT1_,comdat
	.globl	_ZN7rocprim17ROCPRIM_400000_NS6detail17trampoline_kernelINS0_14default_configENS1_25partition_config_selectorILNS1_17partition_subalgoE8ElNS0_10empty_typeEbEEZZNS1_14partition_implILS5_8ELb0ES3_jPlPS6_PKS6_NS0_5tupleIJS9_S6_EEENSD_IJSA_SA_EEENS0_18inequality_wrapperIZN2at6native12_GLOBAL__N_124unique_dim_cuda_templateIiEESt5tupleIJNSH_6TensorESM_SM_EERKSM_lbbbEUlllE0_EEPmJS6_EEE10hipError_tPvRmT3_T4_T5_T6_T7_T9_mT8_P12ihipStream_tbDpT10_ENKUlT_T0_E_clISt17integral_constantIbLb0EES1B_IbLb1EEEEDaS17_S18_EUlS17_E_NS1_11comp_targetILNS1_3genE8ELNS1_11target_archE1030ELNS1_3gpuE2ELNS1_3repE0EEENS1_30default_config_static_selectorELNS0_4arch9wavefront6targetE1EEEvT1_ ; -- Begin function _ZN7rocprim17ROCPRIM_400000_NS6detail17trampoline_kernelINS0_14default_configENS1_25partition_config_selectorILNS1_17partition_subalgoE8ElNS0_10empty_typeEbEEZZNS1_14partition_implILS5_8ELb0ES3_jPlPS6_PKS6_NS0_5tupleIJS9_S6_EEENSD_IJSA_SA_EEENS0_18inequality_wrapperIZN2at6native12_GLOBAL__N_124unique_dim_cuda_templateIiEESt5tupleIJNSH_6TensorESM_SM_EERKSM_lbbbEUlllE0_EEPmJS6_EEE10hipError_tPvRmT3_T4_T5_T6_T7_T9_mT8_P12ihipStream_tbDpT10_ENKUlT_T0_E_clISt17integral_constantIbLb0EES1B_IbLb1EEEEDaS17_S18_EUlS17_E_NS1_11comp_targetILNS1_3genE8ELNS1_11target_archE1030ELNS1_3gpuE2ELNS1_3repE0EEENS1_30default_config_static_selectorELNS0_4arch9wavefront6targetE1EEEvT1_
	.p2align	8
	.type	_ZN7rocprim17ROCPRIM_400000_NS6detail17trampoline_kernelINS0_14default_configENS1_25partition_config_selectorILNS1_17partition_subalgoE8ElNS0_10empty_typeEbEEZZNS1_14partition_implILS5_8ELb0ES3_jPlPS6_PKS6_NS0_5tupleIJS9_S6_EEENSD_IJSA_SA_EEENS0_18inequality_wrapperIZN2at6native12_GLOBAL__N_124unique_dim_cuda_templateIiEESt5tupleIJNSH_6TensorESM_SM_EERKSM_lbbbEUlllE0_EEPmJS6_EEE10hipError_tPvRmT3_T4_T5_T6_T7_T9_mT8_P12ihipStream_tbDpT10_ENKUlT_T0_E_clISt17integral_constantIbLb0EES1B_IbLb1EEEEDaS17_S18_EUlS17_E_NS1_11comp_targetILNS1_3genE8ELNS1_11target_archE1030ELNS1_3gpuE2ELNS1_3repE0EEENS1_30default_config_static_selectorELNS0_4arch9wavefront6targetE1EEEvT1_,@function
_ZN7rocprim17ROCPRIM_400000_NS6detail17trampoline_kernelINS0_14default_configENS1_25partition_config_selectorILNS1_17partition_subalgoE8ElNS0_10empty_typeEbEEZZNS1_14partition_implILS5_8ELb0ES3_jPlPS6_PKS6_NS0_5tupleIJS9_S6_EEENSD_IJSA_SA_EEENS0_18inequality_wrapperIZN2at6native12_GLOBAL__N_124unique_dim_cuda_templateIiEESt5tupleIJNSH_6TensorESM_SM_EERKSM_lbbbEUlllE0_EEPmJS6_EEE10hipError_tPvRmT3_T4_T5_T6_T7_T9_mT8_P12ihipStream_tbDpT10_ENKUlT_T0_E_clISt17integral_constantIbLb0EES1B_IbLb1EEEEDaS17_S18_EUlS17_E_NS1_11comp_targetILNS1_3genE8ELNS1_11target_archE1030ELNS1_3gpuE2ELNS1_3repE0EEENS1_30default_config_static_selectorELNS0_4arch9wavefront6targetE1EEEvT1_: ; @_ZN7rocprim17ROCPRIM_400000_NS6detail17trampoline_kernelINS0_14default_configENS1_25partition_config_selectorILNS1_17partition_subalgoE8ElNS0_10empty_typeEbEEZZNS1_14partition_implILS5_8ELb0ES3_jPlPS6_PKS6_NS0_5tupleIJS9_S6_EEENSD_IJSA_SA_EEENS0_18inequality_wrapperIZN2at6native12_GLOBAL__N_124unique_dim_cuda_templateIiEESt5tupleIJNSH_6TensorESM_SM_EERKSM_lbbbEUlllE0_EEPmJS6_EEE10hipError_tPvRmT3_T4_T5_T6_T7_T9_mT8_P12ihipStream_tbDpT10_ENKUlT_T0_E_clISt17integral_constantIbLb0EES1B_IbLb1EEEEDaS17_S18_EUlS17_E_NS1_11comp_targetILNS1_3genE8ELNS1_11target_archE1030ELNS1_3gpuE2ELNS1_3repE0EEENS1_30default_config_static_selectorELNS0_4arch9wavefront6targetE1EEEvT1_
; %bb.0:
	.section	.rodata,"a",@progbits
	.p2align	6, 0x0
	.amdhsa_kernel _ZN7rocprim17ROCPRIM_400000_NS6detail17trampoline_kernelINS0_14default_configENS1_25partition_config_selectorILNS1_17partition_subalgoE8ElNS0_10empty_typeEbEEZZNS1_14partition_implILS5_8ELb0ES3_jPlPS6_PKS6_NS0_5tupleIJS9_S6_EEENSD_IJSA_SA_EEENS0_18inequality_wrapperIZN2at6native12_GLOBAL__N_124unique_dim_cuda_templateIiEESt5tupleIJNSH_6TensorESM_SM_EERKSM_lbbbEUlllE0_EEPmJS6_EEE10hipError_tPvRmT3_T4_T5_T6_T7_T9_mT8_P12ihipStream_tbDpT10_ENKUlT_T0_E_clISt17integral_constantIbLb0EES1B_IbLb1EEEEDaS17_S18_EUlS17_E_NS1_11comp_targetILNS1_3genE8ELNS1_11target_archE1030ELNS1_3gpuE2ELNS1_3repE0EEENS1_30default_config_static_selectorELNS0_4arch9wavefront6targetE1EEEvT1_
		.amdhsa_group_segment_fixed_size 0
		.amdhsa_private_segment_fixed_size 0
		.amdhsa_kernarg_size 136
		.amdhsa_user_sgpr_count 2
		.amdhsa_user_sgpr_dispatch_ptr 0
		.amdhsa_user_sgpr_queue_ptr 0
		.amdhsa_user_sgpr_kernarg_segment_ptr 1
		.amdhsa_user_sgpr_dispatch_id 0
		.amdhsa_user_sgpr_kernarg_preload_length 0
		.amdhsa_user_sgpr_kernarg_preload_offset 0
		.amdhsa_user_sgpr_private_segment_size 0
		.amdhsa_uses_dynamic_stack 0
		.amdhsa_enable_private_segment 0
		.amdhsa_system_sgpr_workgroup_id_x 1
		.amdhsa_system_sgpr_workgroup_id_y 0
		.amdhsa_system_sgpr_workgroup_id_z 0
		.amdhsa_system_sgpr_workgroup_info 0
		.amdhsa_system_vgpr_workitem_id 0
		.amdhsa_next_free_vgpr 1
		.amdhsa_next_free_sgpr 0
		.amdhsa_accum_offset 4
		.amdhsa_reserve_vcc 0
		.amdhsa_float_round_mode_32 0
		.amdhsa_float_round_mode_16_64 0
		.amdhsa_float_denorm_mode_32 3
		.amdhsa_float_denorm_mode_16_64 3
		.amdhsa_dx10_clamp 1
		.amdhsa_ieee_mode 1
		.amdhsa_fp16_overflow 0
		.amdhsa_tg_split 0
		.amdhsa_exception_fp_ieee_invalid_op 0
		.amdhsa_exception_fp_denorm_src 0
		.amdhsa_exception_fp_ieee_div_zero 0
		.amdhsa_exception_fp_ieee_overflow 0
		.amdhsa_exception_fp_ieee_underflow 0
		.amdhsa_exception_fp_ieee_inexact 0
		.amdhsa_exception_int_div_zero 0
	.end_amdhsa_kernel
	.section	.text._ZN7rocprim17ROCPRIM_400000_NS6detail17trampoline_kernelINS0_14default_configENS1_25partition_config_selectorILNS1_17partition_subalgoE8ElNS0_10empty_typeEbEEZZNS1_14partition_implILS5_8ELb0ES3_jPlPS6_PKS6_NS0_5tupleIJS9_S6_EEENSD_IJSA_SA_EEENS0_18inequality_wrapperIZN2at6native12_GLOBAL__N_124unique_dim_cuda_templateIiEESt5tupleIJNSH_6TensorESM_SM_EERKSM_lbbbEUlllE0_EEPmJS6_EEE10hipError_tPvRmT3_T4_T5_T6_T7_T9_mT8_P12ihipStream_tbDpT10_ENKUlT_T0_E_clISt17integral_constantIbLb0EES1B_IbLb1EEEEDaS17_S18_EUlS17_E_NS1_11comp_targetILNS1_3genE8ELNS1_11target_archE1030ELNS1_3gpuE2ELNS1_3repE0EEENS1_30default_config_static_selectorELNS0_4arch9wavefront6targetE1EEEvT1_,"axG",@progbits,_ZN7rocprim17ROCPRIM_400000_NS6detail17trampoline_kernelINS0_14default_configENS1_25partition_config_selectorILNS1_17partition_subalgoE8ElNS0_10empty_typeEbEEZZNS1_14partition_implILS5_8ELb0ES3_jPlPS6_PKS6_NS0_5tupleIJS9_S6_EEENSD_IJSA_SA_EEENS0_18inequality_wrapperIZN2at6native12_GLOBAL__N_124unique_dim_cuda_templateIiEESt5tupleIJNSH_6TensorESM_SM_EERKSM_lbbbEUlllE0_EEPmJS6_EEE10hipError_tPvRmT3_T4_T5_T6_T7_T9_mT8_P12ihipStream_tbDpT10_ENKUlT_T0_E_clISt17integral_constantIbLb0EES1B_IbLb1EEEEDaS17_S18_EUlS17_E_NS1_11comp_targetILNS1_3genE8ELNS1_11target_archE1030ELNS1_3gpuE2ELNS1_3repE0EEENS1_30default_config_static_selectorELNS0_4arch9wavefront6targetE1EEEvT1_,comdat
.Lfunc_end472:
	.size	_ZN7rocprim17ROCPRIM_400000_NS6detail17trampoline_kernelINS0_14default_configENS1_25partition_config_selectorILNS1_17partition_subalgoE8ElNS0_10empty_typeEbEEZZNS1_14partition_implILS5_8ELb0ES3_jPlPS6_PKS6_NS0_5tupleIJS9_S6_EEENSD_IJSA_SA_EEENS0_18inequality_wrapperIZN2at6native12_GLOBAL__N_124unique_dim_cuda_templateIiEESt5tupleIJNSH_6TensorESM_SM_EERKSM_lbbbEUlllE0_EEPmJS6_EEE10hipError_tPvRmT3_T4_T5_T6_T7_T9_mT8_P12ihipStream_tbDpT10_ENKUlT_T0_E_clISt17integral_constantIbLb0EES1B_IbLb1EEEEDaS17_S18_EUlS17_E_NS1_11comp_targetILNS1_3genE8ELNS1_11target_archE1030ELNS1_3gpuE2ELNS1_3repE0EEENS1_30default_config_static_selectorELNS0_4arch9wavefront6targetE1EEEvT1_, .Lfunc_end472-_ZN7rocprim17ROCPRIM_400000_NS6detail17trampoline_kernelINS0_14default_configENS1_25partition_config_selectorILNS1_17partition_subalgoE8ElNS0_10empty_typeEbEEZZNS1_14partition_implILS5_8ELb0ES3_jPlPS6_PKS6_NS0_5tupleIJS9_S6_EEENSD_IJSA_SA_EEENS0_18inequality_wrapperIZN2at6native12_GLOBAL__N_124unique_dim_cuda_templateIiEESt5tupleIJNSH_6TensorESM_SM_EERKSM_lbbbEUlllE0_EEPmJS6_EEE10hipError_tPvRmT3_T4_T5_T6_T7_T9_mT8_P12ihipStream_tbDpT10_ENKUlT_T0_E_clISt17integral_constantIbLb0EES1B_IbLb1EEEEDaS17_S18_EUlS17_E_NS1_11comp_targetILNS1_3genE8ELNS1_11target_archE1030ELNS1_3gpuE2ELNS1_3repE0EEENS1_30default_config_static_selectorELNS0_4arch9wavefront6targetE1EEEvT1_
                                        ; -- End function
	.set _ZN7rocprim17ROCPRIM_400000_NS6detail17trampoline_kernelINS0_14default_configENS1_25partition_config_selectorILNS1_17partition_subalgoE8ElNS0_10empty_typeEbEEZZNS1_14partition_implILS5_8ELb0ES3_jPlPS6_PKS6_NS0_5tupleIJS9_S6_EEENSD_IJSA_SA_EEENS0_18inequality_wrapperIZN2at6native12_GLOBAL__N_124unique_dim_cuda_templateIiEESt5tupleIJNSH_6TensorESM_SM_EERKSM_lbbbEUlllE0_EEPmJS6_EEE10hipError_tPvRmT3_T4_T5_T6_T7_T9_mT8_P12ihipStream_tbDpT10_ENKUlT_T0_E_clISt17integral_constantIbLb0EES1B_IbLb1EEEEDaS17_S18_EUlS17_E_NS1_11comp_targetILNS1_3genE8ELNS1_11target_archE1030ELNS1_3gpuE2ELNS1_3repE0EEENS1_30default_config_static_selectorELNS0_4arch9wavefront6targetE1EEEvT1_.num_vgpr, 0
	.set _ZN7rocprim17ROCPRIM_400000_NS6detail17trampoline_kernelINS0_14default_configENS1_25partition_config_selectorILNS1_17partition_subalgoE8ElNS0_10empty_typeEbEEZZNS1_14partition_implILS5_8ELb0ES3_jPlPS6_PKS6_NS0_5tupleIJS9_S6_EEENSD_IJSA_SA_EEENS0_18inequality_wrapperIZN2at6native12_GLOBAL__N_124unique_dim_cuda_templateIiEESt5tupleIJNSH_6TensorESM_SM_EERKSM_lbbbEUlllE0_EEPmJS6_EEE10hipError_tPvRmT3_T4_T5_T6_T7_T9_mT8_P12ihipStream_tbDpT10_ENKUlT_T0_E_clISt17integral_constantIbLb0EES1B_IbLb1EEEEDaS17_S18_EUlS17_E_NS1_11comp_targetILNS1_3genE8ELNS1_11target_archE1030ELNS1_3gpuE2ELNS1_3repE0EEENS1_30default_config_static_selectorELNS0_4arch9wavefront6targetE1EEEvT1_.num_agpr, 0
	.set _ZN7rocprim17ROCPRIM_400000_NS6detail17trampoline_kernelINS0_14default_configENS1_25partition_config_selectorILNS1_17partition_subalgoE8ElNS0_10empty_typeEbEEZZNS1_14partition_implILS5_8ELb0ES3_jPlPS6_PKS6_NS0_5tupleIJS9_S6_EEENSD_IJSA_SA_EEENS0_18inequality_wrapperIZN2at6native12_GLOBAL__N_124unique_dim_cuda_templateIiEESt5tupleIJNSH_6TensorESM_SM_EERKSM_lbbbEUlllE0_EEPmJS6_EEE10hipError_tPvRmT3_T4_T5_T6_T7_T9_mT8_P12ihipStream_tbDpT10_ENKUlT_T0_E_clISt17integral_constantIbLb0EES1B_IbLb1EEEEDaS17_S18_EUlS17_E_NS1_11comp_targetILNS1_3genE8ELNS1_11target_archE1030ELNS1_3gpuE2ELNS1_3repE0EEENS1_30default_config_static_selectorELNS0_4arch9wavefront6targetE1EEEvT1_.numbered_sgpr, 0
	.set _ZN7rocprim17ROCPRIM_400000_NS6detail17trampoline_kernelINS0_14default_configENS1_25partition_config_selectorILNS1_17partition_subalgoE8ElNS0_10empty_typeEbEEZZNS1_14partition_implILS5_8ELb0ES3_jPlPS6_PKS6_NS0_5tupleIJS9_S6_EEENSD_IJSA_SA_EEENS0_18inequality_wrapperIZN2at6native12_GLOBAL__N_124unique_dim_cuda_templateIiEESt5tupleIJNSH_6TensorESM_SM_EERKSM_lbbbEUlllE0_EEPmJS6_EEE10hipError_tPvRmT3_T4_T5_T6_T7_T9_mT8_P12ihipStream_tbDpT10_ENKUlT_T0_E_clISt17integral_constantIbLb0EES1B_IbLb1EEEEDaS17_S18_EUlS17_E_NS1_11comp_targetILNS1_3genE8ELNS1_11target_archE1030ELNS1_3gpuE2ELNS1_3repE0EEENS1_30default_config_static_selectorELNS0_4arch9wavefront6targetE1EEEvT1_.num_named_barrier, 0
	.set _ZN7rocprim17ROCPRIM_400000_NS6detail17trampoline_kernelINS0_14default_configENS1_25partition_config_selectorILNS1_17partition_subalgoE8ElNS0_10empty_typeEbEEZZNS1_14partition_implILS5_8ELb0ES3_jPlPS6_PKS6_NS0_5tupleIJS9_S6_EEENSD_IJSA_SA_EEENS0_18inequality_wrapperIZN2at6native12_GLOBAL__N_124unique_dim_cuda_templateIiEESt5tupleIJNSH_6TensorESM_SM_EERKSM_lbbbEUlllE0_EEPmJS6_EEE10hipError_tPvRmT3_T4_T5_T6_T7_T9_mT8_P12ihipStream_tbDpT10_ENKUlT_T0_E_clISt17integral_constantIbLb0EES1B_IbLb1EEEEDaS17_S18_EUlS17_E_NS1_11comp_targetILNS1_3genE8ELNS1_11target_archE1030ELNS1_3gpuE2ELNS1_3repE0EEENS1_30default_config_static_selectorELNS0_4arch9wavefront6targetE1EEEvT1_.private_seg_size, 0
	.set _ZN7rocprim17ROCPRIM_400000_NS6detail17trampoline_kernelINS0_14default_configENS1_25partition_config_selectorILNS1_17partition_subalgoE8ElNS0_10empty_typeEbEEZZNS1_14partition_implILS5_8ELb0ES3_jPlPS6_PKS6_NS0_5tupleIJS9_S6_EEENSD_IJSA_SA_EEENS0_18inequality_wrapperIZN2at6native12_GLOBAL__N_124unique_dim_cuda_templateIiEESt5tupleIJNSH_6TensorESM_SM_EERKSM_lbbbEUlllE0_EEPmJS6_EEE10hipError_tPvRmT3_T4_T5_T6_T7_T9_mT8_P12ihipStream_tbDpT10_ENKUlT_T0_E_clISt17integral_constantIbLb0EES1B_IbLb1EEEEDaS17_S18_EUlS17_E_NS1_11comp_targetILNS1_3genE8ELNS1_11target_archE1030ELNS1_3gpuE2ELNS1_3repE0EEENS1_30default_config_static_selectorELNS0_4arch9wavefront6targetE1EEEvT1_.uses_vcc, 0
	.set _ZN7rocprim17ROCPRIM_400000_NS6detail17trampoline_kernelINS0_14default_configENS1_25partition_config_selectorILNS1_17partition_subalgoE8ElNS0_10empty_typeEbEEZZNS1_14partition_implILS5_8ELb0ES3_jPlPS6_PKS6_NS0_5tupleIJS9_S6_EEENSD_IJSA_SA_EEENS0_18inequality_wrapperIZN2at6native12_GLOBAL__N_124unique_dim_cuda_templateIiEESt5tupleIJNSH_6TensorESM_SM_EERKSM_lbbbEUlllE0_EEPmJS6_EEE10hipError_tPvRmT3_T4_T5_T6_T7_T9_mT8_P12ihipStream_tbDpT10_ENKUlT_T0_E_clISt17integral_constantIbLb0EES1B_IbLb1EEEEDaS17_S18_EUlS17_E_NS1_11comp_targetILNS1_3genE8ELNS1_11target_archE1030ELNS1_3gpuE2ELNS1_3repE0EEENS1_30default_config_static_selectorELNS0_4arch9wavefront6targetE1EEEvT1_.uses_flat_scratch, 0
	.set _ZN7rocprim17ROCPRIM_400000_NS6detail17trampoline_kernelINS0_14default_configENS1_25partition_config_selectorILNS1_17partition_subalgoE8ElNS0_10empty_typeEbEEZZNS1_14partition_implILS5_8ELb0ES3_jPlPS6_PKS6_NS0_5tupleIJS9_S6_EEENSD_IJSA_SA_EEENS0_18inequality_wrapperIZN2at6native12_GLOBAL__N_124unique_dim_cuda_templateIiEESt5tupleIJNSH_6TensorESM_SM_EERKSM_lbbbEUlllE0_EEPmJS6_EEE10hipError_tPvRmT3_T4_T5_T6_T7_T9_mT8_P12ihipStream_tbDpT10_ENKUlT_T0_E_clISt17integral_constantIbLb0EES1B_IbLb1EEEEDaS17_S18_EUlS17_E_NS1_11comp_targetILNS1_3genE8ELNS1_11target_archE1030ELNS1_3gpuE2ELNS1_3repE0EEENS1_30default_config_static_selectorELNS0_4arch9wavefront6targetE1EEEvT1_.has_dyn_sized_stack, 0
	.set _ZN7rocprim17ROCPRIM_400000_NS6detail17trampoline_kernelINS0_14default_configENS1_25partition_config_selectorILNS1_17partition_subalgoE8ElNS0_10empty_typeEbEEZZNS1_14partition_implILS5_8ELb0ES3_jPlPS6_PKS6_NS0_5tupleIJS9_S6_EEENSD_IJSA_SA_EEENS0_18inequality_wrapperIZN2at6native12_GLOBAL__N_124unique_dim_cuda_templateIiEESt5tupleIJNSH_6TensorESM_SM_EERKSM_lbbbEUlllE0_EEPmJS6_EEE10hipError_tPvRmT3_T4_T5_T6_T7_T9_mT8_P12ihipStream_tbDpT10_ENKUlT_T0_E_clISt17integral_constantIbLb0EES1B_IbLb1EEEEDaS17_S18_EUlS17_E_NS1_11comp_targetILNS1_3genE8ELNS1_11target_archE1030ELNS1_3gpuE2ELNS1_3repE0EEENS1_30default_config_static_selectorELNS0_4arch9wavefront6targetE1EEEvT1_.has_recursion, 0
	.set _ZN7rocprim17ROCPRIM_400000_NS6detail17trampoline_kernelINS0_14default_configENS1_25partition_config_selectorILNS1_17partition_subalgoE8ElNS0_10empty_typeEbEEZZNS1_14partition_implILS5_8ELb0ES3_jPlPS6_PKS6_NS0_5tupleIJS9_S6_EEENSD_IJSA_SA_EEENS0_18inequality_wrapperIZN2at6native12_GLOBAL__N_124unique_dim_cuda_templateIiEESt5tupleIJNSH_6TensorESM_SM_EERKSM_lbbbEUlllE0_EEPmJS6_EEE10hipError_tPvRmT3_T4_T5_T6_T7_T9_mT8_P12ihipStream_tbDpT10_ENKUlT_T0_E_clISt17integral_constantIbLb0EES1B_IbLb1EEEEDaS17_S18_EUlS17_E_NS1_11comp_targetILNS1_3genE8ELNS1_11target_archE1030ELNS1_3gpuE2ELNS1_3repE0EEENS1_30default_config_static_selectorELNS0_4arch9wavefront6targetE1EEEvT1_.has_indirect_call, 0
	.section	.AMDGPU.csdata,"",@progbits
; Kernel info:
; codeLenInByte = 0
; TotalNumSgprs: 6
; NumVgprs: 0
; NumAgprs: 0
; TotalNumVgprs: 0
; ScratchSize: 0
; MemoryBound: 0
; FloatMode: 240
; IeeeMode: 1
; LDSByteSize: 0 bytes/workgroup (compile time only)
; SGPRBlocks: 0
; VGPRBlocks: 0
; NumSGPRsForWavesPerEU: 6
; NumVGPRsForWavesPerEU: 1
; AccumOffset: 4
; Occupancy: 8
; WaveLimiterHint : 0
; COMPUTE_PGM_RSRC2:SCRATCH_EN: 0
; COMPUTE_PGM_RSRC2:USER_SGPR: 2
; COMPUTE_PGM_RSRC2:TRAP_HANDLER: 0
; COMPUTE_PGM_RSRC2:TGID_X_EN: 1
; COMPUTE_PGM_RSRC2:TGID_Y_EN: 0
; COMPUTE_PGM_RSRC2:TGID_Z_EN: 0
; COMPUTE_PGM_RSRC2:TIDIG_COMP_CNT: 0
; COMPUTE_PGM_RSRC3_GFX90A:ACCUM_OFFSET: 0
; COMPUTE_PGM_RSRC3_GFX90A:TG_SPLIT: 0
	.section	.text._ZN7rocprim17ROCPRIM_400000_NS6detail17trampoline_kernelINS0_14default_configENS1_25partition_config_selectorILNS1_17partition_subalgoE9EllbEEZZNS1_14partition_implILS5_9ELb0ES3_jPlS8_PNS0_10empty_typeENS0_5tupleIJS8_S9_EEENSB_IJS8_SA_EEENS0_18inequality_wrapperIZN2at6native12_GLOBAL__N_124unique_dim_cuda_templateIiEESt5tupleIJNSF_6TensorESK_SK_EERKSK_lbbbEUlllE0_EEPmJS9_EEE10hipError_tPvRmT3_T4_T5_T6_T7_T9_mT8_P12ihipStream_tbDpT10_ENKUlT_T0_E_clISt17integral_constantIbLb0EES1A_EEDaS15_S16_EUlS15_E_NS1_11comp_targetILNS1_3genE0ELNS1_11target_archE4294967295ELNS1_3gpuE0ELNS1_3repE0EEENS1_30default_config_static_selectorELNS0_4arch9wavefront6targetE1EEEvT1_,"axG",@progbits,_ZN7rocprim17ROCPRIM_400000_NS6detail17trampoline_kernelINS0_14default_configENS1_25partition_config_selectorILNS1_17partition_subalgoE9EllbEEZZNS1_14partition_implILS5_9ELb0ES3_jPlS8_PNS0_10empty_typeENS0_5tupleIJS8_S9_EEENSB_IJS8_SA_EEENS0_18inequality_wrapperIZN2at6native12_GLOBAL__N_124unique_dim_cuda_templateIiEESt5tupleIJNSF_6TensorESK_SK_EERKSK_lbbbEUlllE0_EEPmJS9_EEE10hipError_tPvRmT3_T4_T5_T6_T7_T9_mT8_P12ihipStream_tbDpT10_ENKUlT_T0_E_clISt17integral_constantIbLb0EES1A_EEDaS15_S16_EUlS15_E_NS1_11comp_targetILNS1_3genE0ELNS1_11target_archE4294967295ELNS1_3gpuE0ELNS1_3repE0EEENS1_30default_config_static_selectorELNS0_4arch9wavefront6targetE1EEEvT1_,comdat
	.globl	_ZN7rocprim17ROCPRIM_400000_NS6detail17trampoline_kernelINS0_14default_configENS1_25partition_config_selectorILNS1_17partition_subalgoE9EllbEEZZNS1_14partition_implILS5_9ELb0ES3_jPlS8_PNS0_10empty_typeENS0_5tupleIJS8_S9_EEENSB_IJS8_SA_EEENS0_18inequality_wrapperIZN2at6native12_GLOBAL__N_124unique_dim_cuda_templateIiEESt5tupleIJNSF_6TensorESK_SK_EERKSK_lbbbEUlllE0_EEPmJS9_EEE10hipError_tPvRmT3_T4_T5_T6_T7_T9_mT8_P12ihipStream_tbDpT10_ENKUlT_T0_E_clISt17integral_constantIbLb0EES1A_EEDaS15_S16_EUlS15_E_NS1_11comp_targetILNS1_3genE0ELNS1_11target_archE4294967295ELNS1_3gpuE0ELNS1_3repE0EEENS1_30default_config_static_selectorELNS0_4arch9wavefront6targetE1EEEvT1_ ; -- Begin function _ZN7rocprim17ROCPRIM_400000_NS6detail17trampoline_kernelINS0_14default_configENS1_25partition_config_selectorILNS1_17partition_subalgoE9EllbEEZZNS1_14partition_implILS5_9ELb0ES3_jPlS8_PNS0_10empty_typeENS0_5tupleIJS8_S9_EEENSB_IJS8_SA_EEENS0_18inequality_wrapperIZN2at6native12_GLOBAL__N_124unique_dim_cuda_templateIiEESt5tupleIJNSF_6TensorESK_SK_EERKSK_lbbbEUlllE0_EEPmJS9_EEE10hipError_tPvRmT3_T4_T5_T6_T7_T9_mT8_P12ihipStream_tbDpT10_ENKUlT_T0_E_clISt17integral_constantIbLb0EES1A_EEDaS15_S16_EUlS15_E_NS1_11comp_targetILNS1_3genE0ELNS1_11target_archE4294967295ELNS1_3gpuE0ELNS1_3repE0EEENS1_30default_config_static_selectorELNS0_4arch9wavefront6targetE1EEEvT1_
	.p2align	8
	.type	_ZN7rocprim17ROCPRIM_400000_NS6detail17trampoline_kernelINS0_14default_configENS1_25partition_config_selectorILNS1_17partition_subalgoE9EllbEEZZNS1_14partition_implILS5_9ELb0ES3_jPlS8_PNS0_10empty_typeENS0_5tupleIJS8_S9_EEENSB_IJS8_SA_EEENS0_18inequality_wrapperIZN2at6native12_GLOBAL__N_124unique_dim_cuda_templateIiEESt5tupleIJNSF_6TensorESK_SK_EERKSK_lbbbEUlllE0_EEPmJS9_EEE10hipError_tPvRmT3_T4_T5_T6_T7_T9_mT8_P12ihipStream_tbDpT10_ENKUlT_T0_E_clISt17integral_constantIbLb0EES1A_EEDaS15_S16_EUlS15_E_NS1_11comp_targetILNS1_3genE0ELNS1_11target_archE4294967295ELNS1_3gpuE0ELNS1_3repE0EEENS1_30default_config_static_selectorELNS0_4arch9wavefront6targetE1EEEvT1_,@function
_ZN7rocprim17ROCPRIM_400000_NS6detail17trampoline_kernelINS0_14default_configENS1_25partition_config_selectorILNS1_17partition_subalgoE9EllbEEZZNS1_14partition_implILS5_9ELb0ES3_jPlS8_PNS0_10empty_typeENS0_5tupleIJS8_S9_EEENSB_IJS8_SA_EEENS0_18inequality_wrapperIZN2at6native12_GLOBAL__N_124unique_dim_cuda_templateIiEESt5tupleIJNSF_6TensorESK_SK_EERKSK_lbbbEUlllE0_EEPmJS9_EEE10hipError_tPvRmT3_T4_T5_T6_T7_T9_mT8_P12ihipStream_tbDpT10_ENKUlT_T0_E_clISt17integral_constantIbLb0EES1A_EEDaS15_S16_EUlS15_E_NS1_11comp_targetILNS1_3genE0ELNS1_11target_archE4294967295ELNS1_3gpuE0ELNS1_3repE0EEENS1_30default_config_static_selectorELNS0_4arch9wavefront6targetE1EEEvT1_: ; @_ZN7rocprim17ROCPRIM_400000_NS6detail17trampoline_kernelINS0_14default_configENS1_25partition_config_selectorILNS1_17partition_subalgoE9EllbEEZZNS1_14partition_implILS5_9ELb0ES3_jPlS8_PNS0_10empty_typeENS0_5tupleIJS8_S9_EEENSB_IJS8_SA_EEENS0_18inequality_wrapperIZN2at6native12_GLOBAL__N_124unique_dim_cuda_templateIiEESt5tupleIJNSF_6TensorESK_SK_EERKSK_lbbbEUlllE0_EEPmJS9_EEE10hipError_tPvRmT3_T4_T5_T6_T7_T9_mT8_P12ihipStream_tbDpT10_ENKUlT_T0_E_clISt17integral_constantIbLb0EES1A_EEDaS15_S16_EUlS15_E_NS1_11comp_targetILNS1_3genE0ELNS1_11target_archE4294967295ELNS1_3gpuE0ELNS1_3repE0EEENS1_30default_config_static_selectorELNS0_4arch9wavefront6targetE1EEEvT1_
; %bb.0:
	s_load_dwordx4 s[4:7], s[0:1], 0x8
	s_load_dwordx2 s[10:11], s[0:1], 0x18
	s_load_dwordx8 s[24:31], s[0:1], 0x40
	s_load_dword s3, s[0:1], 0x70
	s_mul_i32 s12, s2, 0x280
	s_waitcnt lgkmcnt(0)
	s_lshl_b64 s[14:15], s[6:7], 3
	s_add_u32 s18, s4, s14
	s_addc_u32 s19, s5, s15
	s_mul_i32 s4, s3, 0x280
	s_add_i32 s8, s3, -1
	s_add_i32 s3, s4, s6
	s_sub_i32 s3, s28, s3
	s_addk_i32 s3, 0x280
	s_add_u32 s4, s6, s4
	s_addc_u32 s5, s7, 0
	v_mov_b64_e32 v[2:3], s[4:5]
	s_cmp_eq_u32 s2, s8
	s_load_dwordx2 s[26:27], s[26:27], 0x0
	v_cmp_le_u64_e32 vcc, s[28:29], v[2:3]
	s_cselect_b64 s[28:29], -1, 0
	s_mov_b32 s13, 0
	s_and_b64 s[8:9], s[28:29], vcc
	s_xor_b64 s[34:35], s[8:9], -1
	s_lshl_b64 s[16:17], s[12:13], 3
	s_add_u32 s12, s18, s16
	s_mov_b64 s[4:5], -1
	s_addc_u32 s13, s19, s17
	s_and_b64 vcc, exec, s[34:35]
	v_lshlrev_b32_e32 v1, 3, v0
	s_cbranch_vccz .LBB473_2
; %bb.1:
	v_lshlrev_b32_e32 v2, 3, v0
	v_mov_b32_e32 v3, 0
	v_lshl_add_u64 v[4:5], s[12:13], 0, v[2:3]
	v_add_co_u32_e32 v4, vcc, 0x1000, v4
	global_load_dwordx2 v[6:7], v2, s[12:13] offset:3072
	s_nop 0
	v_addc_co_u32_e32 v5, vcc, 0, v5, vcc
	global_load_dwordx2 v[8:9], v2, s[12:13]
	global_load_dwordx2 v[10:11], v2, s[12:13] offset:1024
	global_load_dwordx2 v[12:13], v2, s[12:13] offset:2048
	global_load_dwordx2 v[14:15], v[4:5], off
	s_mov_b64 s[4:5], 0
	s_waitcnt vmcnt(2)
	ds_write2st64_b64 v2, v[8:9], v[10:11] offset1:2
	s_waitcnt vmcnt(1)
	ds_write2st64_b64 v2, v[12:13], v[6:7] offset0:4 offset1:6
	s_waitcnt vmcnt(0)
	ds_write_b64 v2, v[14:15] offset:4096
	s_waitcnt lgkmcnt(0)
	s_barrier
.LBB473_2:
	s_load_dwordx4 s[20:23], s[0:1], 0x60
	s_andn2_b64 vcc, exec, s[4:5]
	v_cmp_gt_u32_e64 s[4:5], s3, v0
	s_cbranch_vccnz .LBB473_14
; %bb.3:
	v_mov_b32_e32 v2, 0
	v_mov_b32_e32 v3, v2
	;; [unrolled: 1-line block ×10, first 2 shown]
	s_and_saveexec_b64 s[18:19], s[4:5]
	s_cbranch_execz .LBB473_5
; %bb.4:
	v_lshlrev_b32_e32 v3, 3, v0
	global_load_dwordx2 v[4:5], v3, s[12:13]
	v_mov_b32_e32 v6, v2
	v_mov_b32_e32 v7, v2
	;; [unrolled: 1-line block ×8, first 2 shown]
	s_waitcnt vmcnt(0)
	v_mov_b64_e32 v[2:3], v[4:5]
	v_mov_b64_e32 v[4:5], v[6:7]
	;; [unrolled: 1-line block ×8, first 2 shown]
.LBB473_5:
	s_or_b64 exec, exec, s[18:19]
	v_or_b32_e32 v12, 0x80, v0
	v_cmp_gt_u32_e32 vcc, s3, v12
	s_and_saveexec_b64 s[4:5], vcc
	s_cbranch_execz .LBB473_7
; %bb.6:
	v_lshlrev_b32_e32 v4, 3, v0
	global_load_dwordx2 v[4:5], v4, s[12:13] offset:1024
.LBB473_7:
	s_or_b64 exec, exec, s[4:5]
	v_or_b32_e32 v12, 0x100, v0
	v_cmp_gt_u32_e32 vcc, s3, v12
	s_and_saveexec_b64 s[4:5], vcc
	s_cbranch_execz .LBB473_9
; %bb.8:
	v_lshlrev_b32_e32 v6, 3, v0
	global_load_dwordx2 v[6:7], v6, s[12:13] offset:2048
.LBB473_9:
	s_or_b64 exec, exec, s[4:5]
	v_or_b32_e32 v12, 0x180, v0
	v_cmp_gt_u32_e32 vcc, s3, v12
	s_and_saveexec_b64 s[4:5], vcc
	s_cbranch_execz .LBB473_11
; %bb.10:
	v_lshlrev_b32_e32 v8, 3, v0
	global_load_dwordx2 v[8:9], v8, s[12:13] offset:3072
.LBB473_11:
	s_or_b64 exec, exec, s[4:5]
	v_or_b32_e32 v12, 0x200, v0
	v_cmp_gt_u32_e32 vcc, s3, v12
	s_and_saveexec_b64 s[4:5], vcc
	s_cbranch_execz .LBB473_13
; %bb.12:
	v_lshlrev_b32_e32 v10, 3, v12
	global_load_dwordx2 v[10:11], v10, s[12:13]
.LBB473_13:
	s_or_b64 exec, exec, s[4:5]
	v_lshlrev_b32_e32 v12, 3, v0
	s_waitcnt vmcnt(0)
	ds_write2st64_b64 v12, v[2:3], v[4:5] offset1:2
	ds_write2st64_b64 v12, v[6:7], v[8:9] offset0:4 offset1:6
	ds_write_b64 v12, v[10:11] offset:4096
	s_waitcnt lgkmcnt(0)
	s_barrier
.LBB473_14:
	v_mul_u32_u24_e32 v22, 5, v0
	v_lshlrev_b32_e32 v20, 3, v22
	s_waitcnt lgkmcnt(0)
	ds_read2_b64 v[6:9], v20 offset1:1
	ds_read2_b64 v[2:5], v20 offset0:2 offset1:3
	ds_read_b64 v[12:13], v20 offset:32
	s_add_u32 s4, s10, s14
	s_addc_u32 s5, s11, s15
	s_add_u32 s4, s4, s16
	s_addc_u32 s5, s5, s17
	s_mov_b64 s[10:11], -1
	s_and_b64 vcc, exec, s[34:35]
	s_waitcnt lgkmcnt(0)
	s_barrier
	s_cbranch_vccz .LBB473_16
; %bb.15:
	v_lshlrev_b32_e32 v10, 3, v0
	v_mov_b32_e32 v11, 0
	v_lshl_add_u64 v[14:15], s[4:5], 0, v[10:11]
	v_add_co_u32_e32 v14, vcc, 0x1000, v14
	global_load_dwordx2 v[16:17], v10, s[4:5] offset:3072
	s_nop 0
	v_addc_co_u32_e32 v15, vcc, 0, v15, vcc
	global_load_dwordx2 v[18:19], v10, s[4:5]
	global_load_dwordx2 v[24:25], v10, s[4:5] offset:1024
	global_load_dwordx2 v[26:27], v10, s[4:5] offset:2048
	global_load_dwordx2 v[28:29], v[14:15], off
	s_mov_b64 s[10:11], 0
	s_waitcnt vmcnt(2)
	ds_write2st64_b64 v10, v[18:19], v[24:25] offset1:2
	s_waitcnt vmcnt(1)
	ds_write2st64_b64 v10, v[26:27], v[16:17] offset0:4 offset1:6
	s_waitcnt vmcnt(0)
	ds_write_b64 v10, v[28:29] offset:4096
	s_waitcnt lgkmcnt(0)
	s_barrier
.LBB473_16:
	s_andn2_b64 vcc, exec, s[10:11]
	s_cbranch_vccnz .LBB473_28
; %bb.17:
	v_cmp_gt_u32_e32 vcc, s3, v0
                                        ; implicit-def: $vgpr10_vgpr11
	s_and_saveexec_b64 s[10:11], vcc
	s_cbranch_execz .LBB473_19
; %bb.18:
	v_lshlrev_b32_e32 v10, 3, v0
	global_load_dwordx2 v[10:11], v10, s[4:5]
.LBB473_19:
	s_or_b64 exec, exec, s[10:11]
	v_or_b32_e32 v14, 0x80, v0
	v_cmp_gt_u32_e32 vcc, s3, v14
                                        ; implicit-def: $vgpr14_vgpr15
	s_and_saveexec_b64 s[10:11], vcc
	s_cbranch_execz .LBB473_21
; %bb.20:
	v_lshlrev_b32_e32 v14, 3, v0
	global_load_dwordx2 v[14:15], v14, s[4:5] offset:1024
.LBB473_21:
	s_or_b64 exec, exec, s[10:11]
	v_or_b32_e32 v16, 0x100, v0
	v_cmp_gt_u32_e32 vcc, s3, v16
                                        ; implicit-def: $vgpr16_vgpr17
	s_and_saveexec_b64 s[10:11], vcc
	s_cbranch_execz .LBB473_23
; %bb.22:
	v_lshlrev_b32_e32 v16, 3, v0
	global_load_dwordx2 v[16:17], v16, s[4:5] offset:2048
.LBB473_23:
	s_or_b64 exec, exec, s[10:11]
	v_or_b32_e32 v18, 0x180, v0
	v_cmp_gt_u32_e32 vcc, s3, v18
                                        ; implicit-def: $vgpr18_vgpr19
	s_and_saveexec_b64 s[10:11], vcc
	s_cbranch_execz .LBB473_25
; %bb.24:
	v_lshlrev_b32_e32 v18, 3, v0
	global_load_dwordx2 v[18:19], v18, s[4:5] offset:3072
.LBB473_25:
	s_or_b64 exec, exec, s[10:11]
	v_or_b32_e32 v21, 0x200, v0
	v_cmp_gt_u32_e32 vcc, s3, v21
                                        ; implicit-def: $vgpr24_vgpr25
	s_and_saveexec_b64 s[10:11], vcc
	s_cbranch_execz .LBB473_27
; %bb.26:
	v_lshlrev_b32_e32 v21, 3, v21
	global_load_dwordx2 v[24:25], v21, s[4:5]
.LBB473_27:
	s_or_b64 exec, exec, s[10:11]
	v_lshlrev_b32_e32 v21, 5, v0
	v_sub_u32_e32 v21, v20, v21
	s_waitcnt vmcnt(0)
	ds_write2st64_b64 v21, v[10:11], v[14:15] offset1:2
	ds_write2st64_b64 v21, v[16:17], v[18:19] offset0:4 offset1:6
	ds_write_b64 v21, v[24:25] offset:4096
	s_waitcnt lgkmcnt(0)
	s_barrier
.LBB473_28:
	ds_read_b64 v[10:11], v20 offset:32
	ds_read2_b64 v[52:55], v20 offset0:2 offset1:3
	ds_read2_b64 v[56:59], v20 offset1:1
	s_cmp_lg_u32 s2, 0
	s_cselect_b64 s[16:17], -1, 0
	s_cmp_lg_u64 s[6:7], 0
	s_cselect_b64 s[4:5], -1, 0
	s_or_b64 s[4:5], s[16:17], s[4:5]
	s_mov_b64 s[10:11], 0
	s_and_b64 vcc, exec, s[4:5]
	v_cmp_gt_i64_e64 s[4:5], s[30:31], 0
	s_waitcnt lgkmcnt(0)
	s_barrier
	s_cbranch_vccz .LBB473_40
; %bb.29:
	s_add_u32 s6, s12, -8
	s_addc_u32 s7, s13, -1
	s_load_dwordx2 s[10:11], s[6:7], 0x0
	v_cndmask_b32_e64 v14, 0, 1, s[4:5]
	v_lshlrev_b32_e32 v21, 3, v0
	s_mov_b64 s[6:7], 0
	s_and_b64 vcc, exec, s[34:35]
	v_cmp_ne_u32_e64 s[4:5], 1, v14
	ds_write_b64 v21, v[12:13]
	s_cbranch_vccz .LBB473_42
; %bb.30:
	s_and_b64 vcc, exec, s[4:5]
	s_cbranch_vccnz .LBB473_43
; %bb.31:
	v_mul_lo_u32 v16, v5, s30
	v_mul_lo_u32 v17, v4, s31
	v_mad_u64_u32 v[14:15], s[6:7], v4, s30, 0
	v_add3_u32 v15, v15, v17, v16
	v_mul_lo_u32 v18, v13, s30
	v_mul_lo_u32 v19, v12, s31
	v_mad_u64_u32 v[16:17], s[6:7], v12, s30, 0
	s_add_u32 s14, s30, -1
	v_lshl_add_u64 v[14:15], v[14:15], 2, s[20:21]
	v_add3_u32 v17, v17, v19, v18
	s_addc_u32 s15, s31, -1
	v_lshl_add_u64 v[16:17], v[16:17], 2, s[20:21]
	s_mov_b64 s[18:19], 0
	s_mov_b64 s[36:37], s[14:15]
	v_mov_b64_e32 v[18:19], v[14:15]
                                        ; implicit-def: $sgpr12_sgpr13
.LBB473_32:                             ; =>This Inner Loop Header: Depth=1
	global_load_dword v23, v[18:19], off
	global_load_dword v24, v[16:17], off
	s_add_u32 s6, s36, -1
	s_addc_u32 s7, s37, -1
	s_cmp_eq_u64 s[36:37], 0
	s_mov_b64 s[36:37], s[6:7]
	s_cselect_b64 s[38:39], -1, 0
	v_lshl_add_u64 v[18:19], v[18:19], 0, 4
	v_lshl_add_u64 v[16:17], v[16:17], 0, 4
	s_waitcnt vmcnt(0)
	v_cmp_ne_u32_e64 s[6:7], v23, v24
	s_or_b64 s[6:7], s[6:7], s[38:39]
	s_and_b64 s[6:7], exec, s[6:7]
	v_cmp_eq_u32_e32 vcc, v23, v24
	s_or_b64 s[18:19], s[6:7], s[18:19]
	s_andn2_b64 s[6:7], s[12:13], exec
	s_and_b64 s[12:13], vcc, exec
	s_or_b64 s[12:13], s[6:7], s[12:13]
	s_andn2_b64 exec, exec, s[18:19]
	s_cbranch_execnz .LBB473_32
; %bb.33:
	s_or_b64 exec, exec, s[18:19]
	v_mul_lo_u32 v18, v3, s30
	v_mul_lo_u32 v19, v2, s31
	v_mad_u64_u32 v[16:17], s[6:7], v2, s30, 0
	v_add3_u32 v17, v17, v19, v18
	v_lshl_add_u64 v[16:17], v[16:17], 2, s[20:21]
	s_mov_b64 s[36:37], 0
	s_mov_b64 s[38:39], s[14:15]
	v_mov_b64_e32 v[18:19], v[16:17]
                                        ; implicit-def: $sgpr18_sgpr19
.LBB473_34:                             ; =>This Inner Loop Header: Depth=1
	global_load_dword v23, v[18:19], off
	global_load_dword v24, v[14:15], off
	s_add_u32 s6, s38, -1
	s_addc_u32 s7, s39, -1
	s_cmp_eq_u64 s[38:39], 0
	s_mov_b64 s[38:39], s[6:7]
	s_cselect_b64 s[40:41], -1, 0
	v_lshl_add_u64 v[18:19], v[18:19], 0, 4
	v_lshl_add_u64 v[14:15], v[14:15], 0, 4
	s_waitcnt vmcnt(0)
	v_cmp_ne_u32_e64 s[6:7], v23, v24
	s_or_b64 s[6:7], s[6:7], s[40:41]
	s_and_b64 s[6:7], exec, s[6:7]
	v_cmp_eq_u32_e32 vcc, v23, v24
	s_or_b64 s[36:37], s[6:7], s[36:37]
	s_andn2_b64 s[6:7], s[18:19], exec
	s_and_b64 s[18:19], vcc, exec
	s_or_b64 s[18:19], s[6:7], s[18:19]
	s_andn2_b64 exec, exec, s[36:37]
	s_cbranch_execnz .LBB473_34
; %bb.35:
	s_or_b64 exec, exec, s[36:37]
	v_mul_lo_u32 v18, v9, s30
	v_mul_lo_u32 v19, v8, s31
	v_mad_u64_u32 v[14:15], s[6:7], v8, s30, 0
	v_add3_u32 v15, v15, v19, v18
	v_lshl_add_u64 v[14:15], v[14:15], 2, s[20:21]
	s_mov_b64 s[38:39], 0
	s_mov_b64 s[40:41], s[14:15]
	v_mov_b64_e32 v[18:19], v[14:15]
                                        ; implicit-def: $sgpr36_sgpr37
.LBB473_36:                             ; =>This Inner Loop Header: Depth=1
	global_load_dword v23, v[18:19], off
	global_load_dword v24, v[16:17], off
	s_add_u32 s6, s40, -1
	s_addc_u32 s7, s41, -1
	s_cmp_eq_u64 s[40:41], 0
	s_mov_b64 s[40:41], s[6:7]
	s_cselect_b64 s[42:43], -1, 0
	v_lshl_add_u64 v[18:19], v[18:19], 0, 4
	v_lshl_add_u64 v[16:17], v[16:17], 0, 4
	s_waitcnt vmcnt(0)
	v_cmp_ne_u32_e64 s[6:7], v23, v24
	s_or_b64 s[6:7], s[6:7], s[42:43]
	s_and_b64 s[6:7], exec, s[6:7]
	v_cmp_eq_u32_e32 vcc, v23, v24
	s_or_b64 s[38:39], s[6:7], s[38:39]
	s_andn2_b64 s[6:7], s[36:37], exec
	s_and_b64 s[36:37], vcc, exec
	s_or_b64 s[36:37], s[6:7], s[36:37]
	s_andn2_b64 exec, exec, s[38:39]
	s_cbranch_execnz .LBB473_36
; %bb.37:
	s_or_b64 exec, exec, s[38:39]
	v_mul_lo_u32 v18, v7, s30
	v_mul_lo_u32 v19, v6, s31
	v_mad_u64_u32 v[16:17], s[6:7], v6, s30, 0
	v_add3_u32 v17, v17, v19, v18
	v_lshl_add_u64 v[16:17], v[16:17], 2, s[20:21]
	s_mov_b64 s[40:41], 0
                                        ; implicit-def: $sgpr38_sgpr39
.LBB473_38:                             ; =>This Inner Loop Header: Depth=1
	global_load_dword v18, v[16:17], off
	global_load_dword v19, v[14:15], off
	s_add_u32 s6, s14, -1
	s_addc_u32 s7, s15, -1
	s_cmp_eq_u64 s[14:15], 0
	s_mov_b64 s[14:15], s[6:7]
	s_cselect_b64 s[42:43], -1, 0
	v_lshl_add_u64 v[16:17], v[16:17], 0, 4
	v_lshl_add_u64 v[14:15], v[14:15], 0, 4
	s_waitcnt vmcnt(0)
	v_cmp_ne_u32_e64 s[6:7], v18, v19
	s_or_b64 s[6:7], s[6:7], s[42:43]
	s_and_b64 s[6:7], exec, s[6:7]
	v_cmp_eq_u32_e32 vcc, v18, v19
	s_or_b64 s[40:41], s[6:7], s[40:41]
	s_andn2_b64 s[6:7], s[38:39], exec
	s_and_b64 s[38:39], vcc, exec
	s_or_b64 s[38:39], s[6:7], s[38:39]
	s_andn2_b64 exec, exec, s[40:41]
	s_cbranch_execnz .LBB473_38
; %bb.39:
	s_or_b64 exec, exec, s[40:41]
	s_xor_b64 s[6:7], s[12:13], -1
	v_cndmask_b32_e64 v32, 0, 1, s[6:7]
	s_xor_b64 s[6:7], s[18:19], -1
	v_cndmask_b32_e64 v14, 0, 1, s[6:7]
	v_lshlrev_b16_e32 v14, 8, v14
	v_mov_b32_e32 v15, 8
	s_xor_b64 s[12:13], s[36:37], -1
	v_lshrrev_b32_sdwa v14, v15, v14 dst_sel:BYTE_1 dst_unused:UNUSED_PAD src0_sel:DWORD src1_sel:DWORD
	v_cndmask_b32_e64 v15, 0, 1, s[12:13]
	s_xor_b64 s[6:7], s[38:39], -1
	v_or_b32_sdwa v16, v15, v14 dst_sel:WORD_1 dst_unused:UNUSED_PAD src0_sel:DWORD src1_sel:DWORD
	s_branch .LBB473_44
.LBB473_40:
                                        ; implicit-def: $sgpr6_sgpr7
                                        ; implicit-def: $vgpr32
                                        ; implicit-def: $vgpr15
	s_branch .LBB473_85
.LBB473_41:
                                        ; implicit-def: $vgpr16
                                        ; implicit-def: $vgpr34
                                        ; implicit-def: $vgpr33
                                        ; implicit-def: $vgpr14
	s_branch .LBB473_138
.LBB473_42:
                                        ; implicit-def: $sgpr6_sgpr7
                                        ; implicit-def: $vgpr32
                                        ; implicit-def: $vgpr15
	s_cbranch_execnz .LBB473_51
	s_branch .LBB473_84
.LBB473_43:
	v_mov_b32_e32 v16, 0
	v_mov_b32_e32 v32, 0
.LBB473_44:
	v_cmp_ne_u32_e32 vcc, 0, v0
	s_waitcnt lgkmcnt(0)
	v_mov_b64_e32 v[14:15], s[10:11]
	s_barrier
	s_and_saveexec_b64 s[12:13], vcc
; %bb.45:
	v_add_u32_e32 v14, -8, v21
	ds_read_b64 v[14:15], v14
; %bb.46:
	s_or_b64 exec, exec, s[12:13]
	v_cndmask_b32_e64 v17, 0, 1, s[6:7]
	v_lshrrev_b32_e32 v18, 16, v16
	s_mov_b32 s6, 0xc0c0304
	v_perm_b32 v18, v18, v16, s6
	v_lshlrev_b16_e32 v17, 8, v17
	s_movk_i32 s6, 0xff
	v_bitop3_b16 v16, v16, v17, s6 bitop3:0xec
	v_and_b32_e32 v19, 0xffff, v16
	s_mov_b64 s[12:13], 0
	s_and_b64 vcc, exec, s[4:5]
	s_mov_b64 s[6:7], 0
	s_cbranch_vccnz .LBB473_50
; %bb.47:
	s_waitcnt lgkmcnt(0)
	v_mul_lo_u32 v16, v15, s30
	v_mul_lo_u32 v17, v14, s31
	v_mad_u64_u32 v[14:15], s[6:7], v14, s30, 0
	v_add3_u32 v15, v15, v17, v16
	v_mul_lo_u32 v23, v7, s30
	v_mul_lo_u32 v24, v6, s31
	v_mad_u64_u32 v[16:17], s[6:7], v6, s30, 0
	v_add3_u32 v17, v17, v24, v23
	s_add_u32 s36, s30, -1
	v_lshl_add_u64 v[14:15], v[14:15], 2, s[20:21]
	v_lshl_add_u64 v[16:17], v[16:17], 2, s[20:21]
	s_addc_u32 s37, s31, -1
	s_mov_b64 s[14:15], 0
                                        ; implicit-def: $sgpr18_sgpr19
.LBB473_48:                             ; =>This Inner Loop Header: Depth=1
	global_load_dword v23, v[14:15], off
	global_load_dword v24, v[16:17], off
	s_add_u32 s6, s36, -1
	s_addc_u32 s7, s37, -1
	s_cmp_eq_u64 s[36:37], 0
	s_mov_b64 s[36:37], s[6:7]
	s_cselect_b64 s[38:39], -1, 0
	v_lshl_add_u64 v[14:15], v[14:15], 0, 4
	v_lshl_add_u64 v[16:17], v[16:17], 0, 4
	s_waitcnt vmcnt(0)
	v_cmp_ne_u32_e64 s[6:7], v23, v24
	s_or_b64 s[6:7], s[6:7], s[38:39]
	s_and_b64 s[6:7], exec, s[6:7]
	v_cmp_eq_u32_e32 vcc, v23, v24
	s_or_b64 s[14:15], s[6:7], s[14:15]
	s_andn2_b64 s[6:7], s[18:19], exec
	s_and_b64 s[18:19], vcc, exec
	s_or_b64 s[18:19], s[6:7], s[18:19]
	s_andn2_b64 exec, exec, s[14:15]
	s_cbranch_execnz .LBB473_48
; %bb.49:
	s_or_b64 exec, exec, s[14:15]
	s_xor_b64 s[6:7], s[18:19], -1
.LBB473_50:
	s_waitcnt lgkmcnt(0)
	v_lshl_or_b32 v15, v18, 16, v19
	s_and_b64 vcc, exec, s[12:13]
	s_cbranch_vccz .LBB473_84
.LBB473_51:
	v_add_u32_e32 v14, 4, v22
	v_cmp_gt_u32_e32 vcc, s3, v14
	s_mov_b64 s[14:15], 0
	s_mov_b64 s[12:13], 0
	s_and_saveexec_b64 s[18:19], vcc
	s_cbranch_execz .LBB473_57
; %bb.52:
	s_and_b64 vcc, exec, s[4:5]
	s_mov_b64 s[6:7], 0
	s_cbranch_vccnz .LBB473_56
; %bb.53:
	v_mul_lo_u32 v16, v5, s30
	v_mul_lo_u32 v17, v4, s31
	v_mad_u64_u32 v[14:15], s[6:7], v4, s30, 0
	v_add3_u32 v15, v15, v17, v16
	v_mul_lo_u32 v18, v13, s30
	v_mul_lo_u32 v19, v12, s31
	v_mad_u64_u32 v[16:17], s[6:7], v12, s30, 0
	v_add3_u32 v17, v17, v19, v18
	s_add_u32 s38, s30, -1
	v_lshl_add_u64 v[14:15], v[14:15], 2, s[20:21]
	v_lshl_add_u64 v[16:17], v[16:17], 2, s[20:21]
	s_addc_u32 s39, s31, -1
                                        ; implicit-def: $sgpr36_sgpr37
.LBB473_54:                             ; =>This Inner Loop Header: Depth=1
	global_load_dword v18, v[14:15], off
	global_load_dword v19, v[16:17], off
	s_add_u32 s6, s38, -1
	s_addc_u32 s7, s39, -1
	s_cmp_eq_u64 s[38:39], 0
	s_mov_b64 s[38:39], s[6:7]
	s_cselect_b64 s[40:41], -1, 0
	v_lshl_add_u64 v[14:15], v[14:15], 0, 4
	v_lshl_add_u64 v[16:17], v[16:17], 0, 4
	s_waitcnt vmcnt(0)
	v_cmp_ne_u32_e64 s[6:7], v18, v19
	s_or_b64 s[6:7], s[6:7], s[40:41]
	s_and_b64 s[6:7], exec, s[6:7]
	v_cmp_eq_u32_e32 vcc, v18, v19
	s_or_b64 s[12:13], s[6:7], s[12:13]
	s_andn2_b64 s[6:7], s[36:37], exec
	s_and_b64 s[36:37], vcc, exec
	s_or_b64 s[36:37], s[6:7], s[36:37]
	s_andn2_b64 exec, exec, s[12:13]
	s_cbranch_execnz .LBB473_54
; %bb.55:
	s_or_b64 exec, exec, s[12:13]
	s_xor_b64 s[6:7], s[36:37], -1
.LBB473_56:
	s_and_b64 s[12:13], s[6:7], exec
.LBB473_57:
	s_or_b64 exec, exec, s[18:19]
	v_add_u32_e32 v14, 3, v22
	v_cmp_gt_u32_e32 vcc, s3, v14
	s_and_saveexec_b64 s[18:19], vcc
	s_cbranch_execz .LBB473_63
; %bb.58:
	s_and_b64 vcc, exec, s[4:5]
	s_mov_b64 s[6:7], 0
	s_cbranch_vccnz .LBB473_62
; %bb.59:
	v_mul_lo_u32 v16, v3, s30
	v_mul_lo_u32 v17, v2, s31
	v_mad_u64_u32 v[14:15], s[6:7], v2, s30, 0
	v_add3_u32 v15, v15, v17, v16
	v_mul_lo_u32 v18, v5, s30
	v_mul_lo_u32 v19, v4, s31
	v_mad_u64_u32 v[16:17], s[6:7], v4, s30, 0
	v_add3_u32 v17, v17, v19, v18
	s_add_u32 s38, s30, -1
	v_lshl_add_u64 v[14:15], v[14:15], 2, s[20:21]
	v_lshl_add_u64 v[16:17], v[16:17], 2, s[20:21]
	s_addc_u32 s39, s31, -1
	s_mov_b64 s[14:15], 0
                                        ; implicit-def: $sgpr36_sgpr37
.LBB473_60:                             ; =>This Inner Loop Header: Depth=1
	global_load_dword v18, v[14:15], off
	global_load_dword v19, v[16:17], off
	s_add_u32 s6, s38, -1
	s_addc_u32 s7, s39, -1
	s_cmp_eq_u64 s[38:39], 0
	s_mov_b64 s[38:39], s[6:7]
	s_cselect_b64 s[40:41], -1, 0
	v_lshl_add_u64 v[14:15], v[14:15], 0, 4
	v_lshl_add_u64 v[16:17], v[16:17], 0, 4
	s_waitcnt vmcnt(0)
	v_cmp_ne_u32_e64 s[6:7], v18, v19
	s_or_b64 s[6:7], s[6:7], s[40:41]
	s_and_b64 s[6:7], exec, s[6:7]
	v_cmp_eq_u32_e32 vcc, v18, v19
	s_or_b64 s[14:15], s[6:7], s[14:15]
	s_andn2_b64 s[6:7], s[36:37], exec
	s_and_b64 s[36:37], vcc, exec
	s_or_b64 s[36:37], s[6:7], s[36:37]
	s_andn2_b64 exec, exec, s[14:15]
	s_cbranch_execnz .LBB473_60
; %bb.61:
	s_or_b64 exec, exec, s[14:15]
	s_xor_b64 s[6:7], s[36:37], -1
.LBB473_62:
	s_and_b64 s[14:15], s[6:7], exec
.LBB473_63:
	s_or_b64 exec, exec, s[18:19]
	v_add_u32_e32 v14, 2, v22
	v_cmp_gt_u32_e32 vcc, s3, v14
	s_mov_b64 s[18:19], 0
	s_mov_b64 s[36:37], 0
	s_and_saveexec_b64 s[38:39], vcc
	s_cbranch_execz .LBB473_69
; %bb.64:
	s_and_b64 vcc, exec, s[4:5]
	s_mov_b64 s[6:7], 0
	s_cbranch_vccnz .LBB473_68
; %bb.65:
	v_mul_lo_u32 v16, v9, s30
	v_mul_lo_u32 v17, v8, s31
	v_mad_u64_u32 v[14:15], s[6:7], v8, s30, 0
	v_add3_u32 v15, v15, v17, v16
	v_mul_lo_u32 v18, v3, s30
	v_mul_lo_u32 v19, v2, s31
	v_mad_u64_u32 v[16:17], s[6:7], v2, s30, 0
	v_add3_u32 v17, v17, v19, v18
	s_add_u32 s42, s30, -1
	v_lshl_add_u64 v[14:15], v[14:15], 2, s[20:21]
	v_lshl_add_u64 v[16:17], v[16:17], 2, s[20:21]
	s_addc_u32 s43, s31, -1
                                        ; implicit-def: $sgpr40_sgpr41
.LBB473_66:                             ; =>This Inner Loop Header: Depth=1
	global_load_dword v18, v[14:15], off
	global_load_dword v19, v[16:17], off
	s_add_u32 s6, s42, -1
	s_addc_u32 s7, s43, -1
	s_cmp_eq_u64 s[42:43], 0
	s_mov_b64 s[42:43], s[6:7]
	s_cselect_b64 s[44:45], -1, 0
	v_lshl_add_u64 v[14:15], v[14:15], 0, 4
	v_lshl_add_u64 v[16:17], v[16:17], 0, 4
	s_waitcnt vmcnt(0)
	v_cmp_ne_u32_e64 s[6:7], v18, v19
	s_or_b64 s[6:7], s[6:7], s[44:45]
	s_and_b64 s[6:7], exec, s[6:7]
	v_cmp_eq_u32_e32 vcc, v18, v19
	s_or_b64 s[36:37], s[6:7], s[36:37]
	s_andn2_b64 s[6:7], s[40:41], exec
	s_and_b64 s[40:41], vcc, exec
	s_or_b64 s[40:41], s[6:7], s[40:41]
	s_andn2_b64 exec, exec, s[36:37]
	s_cbranch_execnz .LBB473_66
; %bb.67:
	s_or_b64 exec, exec, s[36:37]
	s_xor_b64 s[6:7], s[40:41], -1
.LBB473_68:
	s_and_b64 s[36:37], s[6:7], exec
.LBB473_69:
	s_or_b64 exec, exec, s[38:39]
	v_add_u32_e32 v14, 1, v22
	v_cmp_gt_u32_e32 vcc, s3, v14
	s_and_saveexec_b64 s[38:39], vcc
	s_cbranch_execz .LBB473_75
; %bb.70:
	s_and_b64 vcc, exec, s[4:5]
	s_mov_b64 s[6:7], 0
	s_cbranch_vccnz .LBB473_74
; %bb.71:
	v_mul_lo_u32 v16, v7, s30
	v_mul_lo_u32 v17, v6, s31
	v_mad_u64_u32 v[14:15], s[6:7], v6, s30, 0
	v_add3_u32 v15, v15, v17, v16
	v_mul_lo_u32 v18, v9, s30
	v_mul_lo_u32 v19, v8, s31
	v_mad_u64_u32 v[16:17], s[6:7], v8, s30, 0
	v_add3_u32 v17, v17, v19, v18
	s_add_u32 s42, s30, -1
	v_lshl_add_u64 v[14:15], v[14:15], 2, s[20:21]
	v_lshl_add_u64 v[16:17], v[16:17], 2, s[20:21]
	s_addc_u32 s43, s31, -1
	s_mov_b64 s[18:19], 0
                                        ; implicit-def: $sgpr40_sgpr41
.LBB473_72:                             ; =>This Inner Loop Header: Depth=1
	global_load_dword v18, v[14:15], off
	global_load_dword v19, v[16:17], off
	s_add_u32 s6, s42, -1
	s_addc_u32 s7, s43, -1
	s_cmp_eq_u64 s[42:43], 0
	s_mov_b64 s[42:43], s[6:7]
	s_cselect_b64 s[44:45], -1, 0
	v_lshl_add_u64 v[14:15], v[14:15], 0, 4
	v_lshl_add_u64 v[16:17], v[16:17], 0, 4
	s_waitcnt vmcnt(0)
	v_cmp_ne_u32_e64 s[6:7], v18, v19
	s_or_b64 s[6:7], s[6:7], s[44:45]
	s_and_b64 s[6:7], exec, s[6:7]
	v_cmp_eq_u32_e32 vcc, v18, v19
	s_or_b64 s[18:19], s[6:7], s[18:19]
	s_andn2_b64 s[6:7], s[40:41], exec
	s_and_b64 s[40:41], vcc, exec
	s_or_b64 s[40:41], s[6:7], s[40:41]
	s_andn2_b64 exec, exec, s[18:19]
	s_cbranch_execnz .LBB473_72
; %bb.73:
	s_or_b64 exec, exec, s[18:19]
	s_xor_b64 s[6:7], s[40:41], -1
.LBB473_74:
	s_and_b64 s[18:19], s[6:7], exec
.LBB473_75:
	s_or_b64 exec, exec, s[38:39]
	v_cmp_ne_u32_e32 vcc, 0, v0
	s_waitcnt lgkmcnt(0)
	v_mov_b64_e32 v[14:15], s[10:11]
	s_barrier
	s_and_saveexec_b64 s[6:7], vcc
; %bb.76:
	v_add_u32_e32 v14, -8, v21
	ds_read_b64 v[14:15], v14
; %bb.77:
	s_or_b64 exec, exec, s[6:7]
	v_cndmask_b32_e64 v17, 0, 1, s[14:15]
	v_cndmask_b32_e64 v16, 0, 1, s[36:37]
	;; [unrolled: 1-line block ×3, first 2 shown]
	v_lshlrev_b16_e32 v17, 8, v17
	v_cmp_gt_u32_e32 vcc, s3, v22
	v_lshlrev_b16_e32 v18, 8, v18
	v_or_b32_sdwa v19, v16, v17 dst_sel:WORD_1 dst_unused:UNUSED_PAD src0_sel:DWORD src1_sel:DWORD
	s_mov_b64 s[6:7], 0
	s_and_saveexec_b64 s[10:11], vcc
	s_cbranch_execz .LBB473_83
; %bb.78:
	s_and_b64 vcc, exec, s[4:5]
	s_mov_b64 s[4:5], 0
	s_cbranch_vccnz .LBB473_82
; %bb.79:
	s_waitcnt lgkmcnt(0)
	v_mul_lo_u32 v16, v15, s30
	v_mul_lo_u32 v17, v14, s31
	v_mad_u64_u32 v[14:15], s[4:5], v14, s30, 0
	v_add3_u32 v15, v15, v17, v16
	v_mul_lo_u32 v21, v7, s30
	v_mul_lo_u32 v23, v6, s31
	v_mad_u64_u32 v[16:17], s[4:5], v6, s30, 0
	v_add3_u32 v17, v17, v23, v21
	s_add_u32 s18, s30, -1
	v_lshl_add_u64 v[14:15], v[14:15], 2, s[20:21]
	v_lshl_add_u64 v[16:17], v[16:17], 2, s[20:21]
	s_addc_u32 s19, s31, -1
                                        ; implicit-def: $sgpr14_sgpr15
.LBB473_80:                             ; =>This Inner Loop Header: Depth=1
	global_load_dword v21, v[14:15], off
	global_load_dword v23, v[16:17], off
	s_add_u32 s4, s18, -1
	s_addc_u32 s5, s19, -1
	s_cmp_eq_u64 s[18:19], 0
	s_mov_b64 s[18:19], s[4:5]
	s_cselect_b64 s[36:37], -1, 0
	v_lshl_add_u64 v[14:15], v[14:15], 0, 4
	v_lshl_add_u64 v[16:17], v[16:17], 0, 4
	s_waitcnt vmcnt(0)
	v_cmp_ne_u32_e64 s[4:5], v21, v23
	s_or_b64 s[4:5], s[4:5], s[36:37]
	s_and_b64 s[4:5], exec, s[4:5]
	v_cmp_eq_u32_e32 vcc, v21, v23
	s_or_b64 s[6:7], s[4:5], s[6:7]
	s_andn2_b64 s[4:5], s[14:15], exec
	s_and_b64 s[14:15], vcc, exec
	s_or_b64 s[14:15], s[4:5], s[14:15]
	s_andn2_b64 exec, exec, s[6:7]
	s_cbranch_execnz .LBB473_80
; %bb.81:
	s_or_b64 exec, exec, s[6:7]
	s_xor_b64 s[4:5], s[14:15], -1
.LBB473_82:
	s_and_b64 s[6:7], s[4:5], exec
.LBB473_83:
	s_or_b64 exec, exec, s[10:11]
	v_cndmask_b32_e64 v32, 0, 1, s[12:13]
	s_waitcnt lgkmcnt(0)
	v_or_b32_e32 v15, v18, v19
.LBB473_84:
	s_waitcnt lgkmcnt(0)
	s_mov_b64 s[10:11], -1
	s_cbranch_execnz .LBB473_41
.LBB473_85:
	v_lshlrev_b32_e32 v14, 5, v0
	v_sub_u32_e32 v23, v20, v14
	s_mov_b64 s[6:7], 0
	v_cmp_gt_i64_e64 s[12:13], s[30:31], 0
	s_and_b64 vcc, exec, s[34:35]
	ds_write_b64 v23, v[12:13]
	s_cbranch_vccz .LBB473_96
; %bb.86:
	v_cndmask_b32_e64 v14, 0, 1, s[12:13]
	v_cmp_ne_u32_e64 s[4:5], 1, v14
	s_andn2_b64 vcc, exec, s[12:13]
	s_cbranch_vccnz .LBB473_97
; %bb.87:
	v_mul_lo_u32 v16, v5, s30
	v_mul_lo_u32 v17, v4, s31
	v_mad_u64_u32 v[14:15], s[6:7], v4, s30, 0
	v_add3_u32 v15, v15, v17, v16
	v_mul_lo_u32 v18, v13, s30
	v_mul_lo_u32 v19, v12, s31
	v_mad_u64_u32 v[16:17], s[6:7], v12, s30, 0
	s_add_u32 s18, s30, -1
	v_lshl_add_u64 v[14:15], v[14:15], 2, s[20:21]
	v_add3_u32 v17, v17, v19, v18
	s_addc_u32 s19, s31, -1
	v_lshl_add_u64 v[16:17], v[16:17], 2, s[20:21]
	s_mov_b64 s[36:37], 0
	s_mov_b64 s[38:39], s[18:19]
	v_mov_b64_e32 v[18:19], v[14:15]
                                        ; implicit-def: $sgpr14_sgpr15
.LBB473_88:                             ; =>This Inner Loop Header: Depth=1
	global_load_dword v20, v[18:19], off
	global_load_dword v21, v[16:17], off
	s_add_u32 s6, s38, -1
	s_addc_u32 s7, s39, -1
	s_cmp_eq_u64 s[38:39], 0
	s_mov_b64 s[38:39], s[6:7]
	s_cselect_b64 s[40:41], -1, 0
	v_lshl_add_u64 v[18:19], v[18:19], 0, 4
	v_lshl_add_u64 v[16:17], v[16:17], 0, 4
	s_waitcnt vmcnt(0)
	v_cmp_ne_u32_e64 s[6:7], v20, v21
	s_or_b64 s[6:7], s[6:7], s[40:41]
	s_and_b64 s[6:7], exec, s[6:7]
	v_cmp_eq_u32_e32 vcc, v20, v21
	s_or_b64 s[36:37], s[6:7], s[36:37]
	s_andn2_b64 s[6:7], s[14:15], exec
	s_and_b64 s[14:15], vcc, exec
	s_or_b64 s[14:15], s[6:7], s[14:15]
	s_andn2_b64 exec, exec, s[36:37]
	s_cbranch_execnz .LBB473_88
; %bb.89:
	s_or_b64 exec, exec, s[36:37]
	v_mul_lo_u32 v18, v3, s30
	v_mul_lo_u32 v19, v2, s31
	v_mad_u64_u32 v[16:17], s[6:7], v2, s30, 0
	v_add3_u32 v17, v17, v19, v18
	v_lshl_add_u64 v[16:17], v[16:17], 2, s[20:21]
	s_mov_b64 s[38:39], 0
	s_mov_b64 s[40:41], s[18:19]
	v_mov_b64_e32 v[18:19], v[16:17]
                                        ; implicit-def: $sgpr36_sgpr37
.LBB473_90:                             ; =>This Inner Loop Header: Depth=1
	global_load_dword v20, v[18:19], off
	global_load_dword v21, v[14:15], off
	s_add_u32 s6, s40, -1
	s_addc_u32 s7, s41, -1
	s_cmp_eq_u64 s[40:41], 0
	s_mov_b64 s[40:41], s[6:7]
	s_cselect_b64 s[42:43], -1, 0
	v_lshl_add_u64 v[18:19], v[18:19], 0, 4
	v_lshl_add_u64 v[14:15], v[14:15], 0, 4
	s_waitcnt vmcnt(0)
	v_cmp_ne_u32_e64 s[6:7], v20, v21
	s_or_b64 s[6:7], s[6:7], s[42:43]
	s_and_b64 s[6:7], exec, s[6:7]
	v_cmp_eq_u32_e32 vcc, v20, v21
	s_or_b64 s[38:39], s[6:7], s[38:39]
	s_andn2_b64 s[6:7], s[36:37], exec
	s_and_b64 s[36:37], vcc, exec
	s_or_b64 s[36:37], s[6:7], s[36:37]
	s_andn2_b64 exec, exec, s[38:39]
	s_cbranch_execnz .LBB473_90
; %bb.91:
	s_or_b64 exec, exec, s[38:39]
	v_mul_lo_u32 v18, v9, s30
	v_mul_lo_u32 v19, v8, s31
	v_mad_u64_u32 v[14:15], s[6:7], v8, s30, 0
	v_add3_u32 v15, v15, v19, v18
	v_lshl_add_u64 v[14:15], v[14:15], 2, s[20:21]
	s_mov_b64 s[40:41], 0
	s_mov_b64 s[42:43], s[18:19]
	v_mov_b64_e32 v[18:19], v[14:15]
                                        ; implicit-def: $sgpr38_sgpr39
.LBB473_92:                             ; =>This Inner Loop Header: Depth=1
	global_load_dword v20, v[18:19], off
	global_load_dword v21, v[16:17], off
	s_add_u32 s6, s42, -1
	s_addc_u32 s7, s43, -1
	s_cmp_eq_u64 s[42:43], 0
	s_mov_b64 s[42:43], s[6:7]
	s_cselect_b64 s[44:45], -1, 0
	v_lshl_add_u64 v[18:19], v[18:19], 0, 4
	v_lshl_add_u64 v[16:17], v[16:17], 0, 4
	s_waitcnt vmcnt(0)
	v_cmp_ne_u32_e64 s[6:7], v20, v21
	s_or_b64 s[6:7], s[6:7], s[44:45]
	s_and_b64 s[6:7], exec, s[6:7]
	v_cmp_eq_u32_e32 vcc, v20, v21
	s_or_b64 s[40:41], s[6:7], s[40:41]
	s_andn2_b64 s[6:7], s[38:39], exec
	s_and_b64 s[38:39], vcc, exec
	s_or_b64 s[38:39], s[6:7], s[38:39]
	s_andn2_b64 exec, exec, s[40:41]
	s_cbranch_execnz .LBB473_92
; %bb.93:
	s_or_b64 exec, exec, s[40:41]
	v_mul_lo_u32 v18, v7, s30
	v_mul_lo_u32 v19, v6, s31
	v_mad_u64_u32 v[16:17], s[6:7], v6, s30, 0
	v_add3_u32 v17, v17, v19, v18
	v_lshl_add_u64 v[16:17], v[16:17], 2, s[20:21]
	s_mov_b64 s[42:43], 0
                                        ; implicit-def: $sgpr40_sgpr41
.LBB473_94:                             ; =>This Inner Loop Header: Depth=1
	global_load_dword v18, v[16:17], off
	global_load_dword v19, v[14:15], off
	s_add_u32 s6, s18, -1
	s_addc_u32 s7, s19, -1
	s_cmp_eq_u64 s[18:19], 0
	s_mov_b64 s[18:19], s[6:7]
	s_cselect_b64 s[44:45], -1, 0
	v_lshl_add_u64 v[16:17], v[16:17], 0, 4
	v_lshl_add_u64 v[14:15], v[14:15], 0, 4
	s_waitcnt vmcnt(0)
	v_cmp_ne_u32_e64 s[6:7], v18, v19
	s_or_b64 s[6:7], s[6:7], s[44:45]
	s_and_b64 s[6:7], exec, s[6:7]
	v_cmp_eq_u32_e32 vcc, v18, v19
	s_or_b64 s[42:43], s[6:7], s[42:43]
	s_andn2_b64 s[6:7], s[40:41], exec
	s_and_b64 s[40:41], vcc, exec
	s_or_b64 s[40:41], s[6:7], s[40:41]
	s_andn2_b64 exec, exec, s[42:43]
	s_cbranch_execnz .LBB473_94
; %bb.95:
	s_or_b64 exec, exec, s[42:43]
	s_xor_b64 s[6:7], s[14:15], -1
	v_cndmask_b32_e64 v32, 0, 1, s[6:7]
	s_xor_b64 s[6:7], s[36:37], -1
	v_cndmask_b32_e64 v14, 0, 1, s[6:7]
	v_lshlrev_b16_e32 v14, 8, v14
	v_mov_b32_e32 v15, 8
	s_xor_b64 s[14:15], s[38:39], -1
	v_lshrrev_b32_sdwa v14, v15, v14 dst_sel:BYTE_1 dst_unused:UNUSED_PAD src0_sel:DWORD src1_sel:DWORD
	v_cndmask_b32_e64 v15, 0, 1, s[14:15]
	s_xor_b64 s[6:7], s[40:41], -1
	v_or_b32_sdwa v14, v15, v14 dst_sel:WORD_1 dst_unused:UNUSED_PAD src0_sel:DWORD src1_sel:DWORD
	s_branch .LBB473_98
.LBB473_96:
                                        ; implicit-def: $sgpr6_sgpr7
                                        ; implicit-def: $vgpr32
                                        ; implicit-def: $vgpr15
                                        ; implicit-def: $vgpr16
                                        ; implicit-def: $vgpr34
                                        ; implicit-def: $vgpr33
                                        ; implicit-def: $vgpr14
	s_cbranch_execnz .LBB473_105
	s_branch .LBB473_138
.LBB473_97:
	v_mov_b32_e32 v14, 0
	v_mov_b32_e32 v32, 0
.LBB473_98:
	v_lshrrev_b32_e32 v33, 16, v14
	v_lshrrev_b32_e32 v14, 24, v14
	v_cndmask_b32_e64 v34, 0, 1, s[6:7]
	v_mov_b32_e32 v16, 1
	v_cmp_ne_u32_e32 vcc, 0, v0
	s_waitcnt lgkmcnt(0)
	s_barrier
                                        ; implicit-def: $sgpr6_sgpr7
                                        ; implicit-def: $vgpr15
	s_and_saveexec_b64 s[14:15], vcc
	s_xor_b64 s[14:15], exec, s[14:15]
	s_cbranch_execz .LBB473_104
; %bb.99:
	v_lshlrev_b16_e32 v15, 8, v14
	s_movk_i32 s6, 0xff
	v_bitop3_b16 v15, v33, v15, s6 bitop3:0xec
	v_lshlrev_b16_e32 v17, 8, v34
	v_lshlrev_b32_e32 v15, 16, v15
	v_or_b32_e32 v17, 1, v17
	v_or_b32_sdwa v15, v17, v15 dst_sel:DWORD dst_unused:UNUSED_PAD src0_sel:WORD_0 src1_sel:DWORD
	s_mov_b32 s33, 0x3020104
	s_and_b64 vcc, exec, s[4:5]
	s_mov_b64 s[6:7], 0
	s_cbranch_vccnz .LBB473_103
; %bb.100:
	v_add_u32_e32 v17, -8, v23
	ds_read_b64 v[18:19], v17
	v_mul_lo_u32 v17, v7, s30
	v_mul_lo_u32 v24, v6, s31
	s_add_u32 s36, s30, -1
	s_addc_u32 s37, s31, -1
	s_waitcnt lgkmcnt(0)
	v_mul_lo_u32 v20, v19, s30
	v_mul_lo_u32 v21, v18, s31
	v_mad_u64_u32 v[18:19], s[4:5], v18, s30, 0
	v_add3_u32 v19, v19, v21, v20
	v_mad_u64_u32 v[20:21], s[4:5], v6, s30, 0
	v_add3_u32 v21, v21, v24, v17
	v_lshl_add_u64 v[18:19], v[18:19], 2, s[20:21]
	v_lshl_add_u64 v[20:21], v[20:21], 2, s[20:21]
                                        ; implicit-def: $sgpr18_sgpr19
.LBB473_101:                            ; =>This Inner Loop Header: Depth=1
	global_load_dword v17, v[18:19], off
	global_load_dword v24, v[20:21], off
	s_add_u32 s4, s36, -1
	s_addc_u32 s5, s37, -1
	s_cmp_eq_u64 s[36:37], 0
	s_mov_b64 s[36:37], s[4:5]
	s_cselect_b64 s[38:39], -1, 0
	v_lshl_add_u64 v[18:19], v[18:19], 0, 4
	v_lshl_add_u64 v[20:21], v[20:21], 0, 4
	s_waitcnt vmcnt(0)
	v_cmp_ne_u32_e64 s[4:5], v17, v24
	s_or_b64 s[4:5], s[4:5], s[38:39]
	s_and_b64 s[4:5], exec, s[4:5]
	v_cmp_eq_u32_e32 vcc, v17, v24
	s_or_b64 s[6:7], s[4:5], s[6:7]
	s_andn2_b64 s[4:5], s[18:19], exec
	s_and_b64 s[18:19], vcc, exec
	s_or_b64 s[18:19], s[4:5], s[18:19]
	s_andn2_b64 exec, exec, s[6:7]
	s_cbranch_execnz .LBB473_101
; %bb.102:
	s_or_b64 exec, exec, s[6:7]
	s_xor_b64 s[6:7], s[18:19], -1
.LBB473_103:
	v_perm_b32 v15, v15, v15, s33
	s_or_b64 s[10:11], s[10:11], exec
.LBB473_104:
	s_or_b64 exec, exec, s[14:15]
	s_branch .LBB473_138
.LBB473_105:
	v_add_u32_e32 v14, 4, v22
	v_cmp_gt_u32_e32 vcc, s3, v14
	s_mov_b64 s[6:7], 0
	s_mov_b64 s[14:15], 0
	s_and_saveexec_b64 s[18:19], vcc
	s_cbranch_execz .LBB473_111
; %bb.106:
	s_andn2_b64 vcc, exec, s[12:13]
	s_mov_b64 s[4:5], 0
	s_cbranch_vccnz .LBB473_110
; %bb.107:
	v_mul_lo_u32 v16, v5, s30
	v_mul_lo_u32 v17, v4, s31
	v_mad_u64_u32 v[14:15], s[4:5], v4, s30, 0
	v_add3_u32 v15, v15, v17, v16
	v_mul_lo_u32 v18, v13, s30
	v_mul_lo_u32 v19, v12, s31
	v_mad_u64_u32 v[16:17], s[4:5], v12, s30, 0
	v_add3_u32 v17, v17, v19, v18
	s_add_u32 s38, s30, -1
	v_lshl_add_u64 v[14:15], v[14:15], 2, s[20:21]
	v_lshl_add_u64 v[16:17], v[16:17], 2, s[20:21]
	s_addc_u32 s39, s31, -1
                                        ; implicit-def: $sgpr36_sgpr37
.LBB473_108:                            ; =>This Inner Loop Header: Depth=1
	global_load_dword v18, v[14:15], off
	global_load_dword v19, v[16:17], off
	s_add_u32 s4, s38, -1
	s_addc_u32 s5, s39, -1
	s_cmp_eq_u64 s[38:39], 0
	s_mov_b64 s[38:39], s[4:5]
	s_cselect_b64 s[40:41], -1, 0
	v_lshl_add_u64 v[14:15], v[14:15], 0, 4
	v_lshl_add_u64 v[16:17], v[16:17], 0, 4
	s_waitcnt vmcnt(0)
	v_cmp_ne_u32_e64 s[4:5], v18, v19
	s_or_b64 s[4:5], s[4:5], s[40:41]
	s_and_b64 s[4:5], exec, s[4:5]
	v_cmp_eq_u32_e32 vcc, v18, v19
	s_or_b64 s[14:15], s[4:5], s[14:15]
	s_andn2_b64 s[4:5], s[36:37], exec
	s_and_b64 s[36:37], vcc, exec
	s_or_b64 s[36:37], s[4:5], s[36:37]
	s_andn2_b64 exec, exec, s[14:15]
	s_cbranch_execnz .LBB473_108
; %bb.109:
	s_or_b64 exec, exec, s[14:15]
	s_xor_b64 s[4:5], s[36:37], -1
.LBB473_110:
	s_and_b64 s[14:15], s[4:5], exec
.LBB473_111:
	s_or_b64 exec, exec, s[18:19]
	v_add_u32_e32 v14, 3, v22
	v_cmp_gt_u32_e32 vcc, s3, v14
	s_and_saveexec_b64 s[18:19], vcc
	s_cbranch_execz .LBB473_117
; %bb.112:
	s_andn2_b64 vcc, exec, s[12:13]
	s_mov_b64 s[4:5], 0
	s_cbranch_vccnz .LBB473_116
; %bb.113:
	v_mul_lo_u32 v16, v3, s30
	v_mul_lo_u32 v17, v2, s31
	v_mad_u64_u32 v[14:15], s[4:5], v2, s30, 0
	v_add3_u32 v15, v15, v17, v16
	v_mul_lo_u32 v18, v5, s30
	v_mul_lo_u32 v19, v4, s31
	v_mad_u64_u32 v[16:17], s[4:5], v4, s30, 0
	v_add3_u32 v17, v17, v19, v18
	s_add_u32 s38, s30, -1
	v_lshl_add_u64 v[14:15], v[14:15], 2, s[20:21]
	v_lshl_add_u64 v[16:17], v[16:17], 2, s[20:21]
	s_addc_u32 s39, s31, -1
	s_mov_b64 s[6:7], 0
                                        ; implicit-def: $sgpr36_sgpr37
.LBB473_114:                            ; =>This Inner Loop Header: Depth=1
	global_load_dword v18, v[14:15], off
	global_load_dword v19, v[16:17], off
	s_add_u32 s4, s38, -1
	s_addc_u32 s5, s39, -1
	s_cmp_eq_u64 s[38:39], 0
	s_mov_b64 s[38:39], s[4:5]
	s_cselect_b64 s[40:41], -1, 0
	v_lshl_add_u64 v[14:15], v[14:15], 0, 4
	v_lshl_add_u64 v[16:17], v[16:17], 0, 4
	s_waitcnt vmcnt(0)
	v_cmp_ne_u32_e64 s[4:5], v18, v19
	s_or_b64 s[4:5], s[4:5], s[40:41]
	s_and_b64 s[4:5], exec, s[4:5]
	v_cmp_eq_u32_e32 vcc, v18, v19
	s_or_b64 s[6:7], s[4:5], s[6:7]
	s_andn2_b64 s[4:5], s[36:37], exec
	s_and_b64 s[36:37], vcc, exec
	s_or_b64 s[36:37], s[4:5], s[36:37]
	s_andn2_b64 exec, exec, s[6:7]
	s_cbranch_execnz .LBB473_114
; %bb.115:
	s_or_b64 exec, exec, s[6:7]
	s_xor_b64 s[4:5], s[36:37], -1
.LBB473_116:
	s_and_b64 s[6:7], s[4:5], exec
.LBB473_117:
	s_or_b64 exec, exec, s[18:19]
	v_add_u32_e32 v14, 2, v22
	v_cmp_gt_u32_e32 vcc, s3, v14
	s_mov_b64 s[18:19], 0
	s_mov_b64 s[36:37], 0
	s_and_saveexec_b64 s[38:39], vcc
	s_cbranch_execz .LBB473_123
; %bb.118:
	s_andn2_b64 vcc, exec, s[12:13]
	s_mov_b64 s[4:5], 0
	s_cbranch_vccnz .LBB473_122
; %bb.119:
	v_mul_lo_u32 v16, v9, s30
	v_mul_lo_u32 v17, v8, s31
	v_mad_u64_u32 v[14:15], s[4:5], v8, s30, 0
	v_add3_u32 v15, v15, v17, v16
	v_mul_lo_u32 v18, v3, s30
	v_mul_lo_u32 v19, v2, s31
	v_mad_u64_u32 v[16:17], s[4:5], v2, s30, 0
	v_add3_u32 v17, v17, v19, v18
	s_add_u32 s42, s30, -1
	v_lshl_add_u64 v[14:15], v[14:15], 2, s[20:21]
	v_lshl_add_u64 v[16:17], v[16:17], 2, s[20:21]
	s_addc_u32 s43, s31, -1
                                        ; implicit-def: $sgpr40_sgpr41
.LBB473_120:                            ; =>This Inner Loop Header: Depth=1
	global_load_dword v18, v[14:15], off
	global_load_dword v19, v[16:17], off
	s_add_u32 s4, s42, -1
	s_addc_u32 s5, s43, -1
	s_cmp_eq_u64 s[42:43], 0
	s_mov_b64 s[42:43], s[4:5]
	s_cselect_b64 s[44:45], -1, 0
	v_lshl_add_u64 v[14:15], v[14:15], 0, 4
	v_lshl_add_u64 v[16:17], v[16:17], 0, 4
	s_waitcnt vmcnt(0)
	v_cmp_ne_u32_e64 s[4:5], v18, v19
	s_or_b64 s[4:5], s[4:5], s[44:45]
	s_and_b64 s[4:5], exec, s[4:5]
	v_cmp_eq_u32_e32 vcc, v18, v19
	s_or_b64 s[36:37], s[4:5], s[36:37]
	s_andn2_b64 s[4:5], s[40:41], exec
	s_and_b64 s[40:41], vcc, exec
	s_or_b64 s[40:41], s[4:5], s[40:41]
	s_andn2_b64 exec, exec, s[36:37]
	s_cbranch_execnz .LBB473_120
; %bb.121:
	s_or_b64 exec, exec, s[36:37]
	s_xor_b64 s[4:5], s[40:41], -1
.LBB473_122:
	s_and_b64 s[36:37], s[4:5], exec
.LBB473_123:
	s_or_b64 exec, exec, s[38:39]
	v_add_u32_e32 v14, 1, v22
	v_cmp_gt_u32_e32 vcc, s3, v14
	s_and_saveexec_b64 s[38:39], vcc
	s_cbranch_execz .LBB473_129
; %bb.124:
	s_andn2_b64 vcc, exec, s[12:13]
	s_mov_b64 s[4:5], 0
	s_cbranch_vccnz .LBB473_128
; %bb.125:
	v_mul_lo_u32 v16, v7, s30
	v_mul_lo_u32 v17, v6, s31
	v_mad_u64_u32 v[14:15], s[4:5], v6, s30, 0
	v_add3_u32 v15, v15, v17, v16
	v_mul_lo_u32 v18, v9, s30
	v_mul_lo_u32 v19, v8, s31
	v_mad_u64_u32 v[16:17], s[4:5], v8, s30, 0
	v_add3_u32 v17, v17, v19, v18
	s_add_u32 s42, s30, -1
	v_lshl_add_u64 v[14:15], v[14:15], 2, s[20:21]
	v_lshl_add_u64 v[16:17], v[16:17], 2, s[20:21]
	s_addc_u32 s43, s31, -1
	s_mov_b64 s[18:19], 0
                                        ; implicit-def: $sgpr40_sgpr41
.LBB473_126:                            ; =>This Inner Loop Header: Depth=1
	global_load_dword v18, v[14:15], off
	global_load_dword v19, v[16:17], off
	s_add_u32 s4, s42, -1
	s_addc_u32 s5, s43, -1
	s_cmp_eq_u64 s[42:43], 0
	s_mov_b64 s[42:43], s[4:5]
	s_cselect_b64 s[44:45], -1, 0
	v_lshl_add_u64 v[14:15], v[14:15], 0, 4
	v_lshl_add_u64 v[16:17], v[16:17], 0, 4
	s_waitcnt vmcnt(0)
	v_cmp_ne_u32_e64 s[4:5], v18, v19
	s_or_b64 s[4:5], s[4:5], s[44:45]
	s_and_b64 s[4:5], exec, s[4:5]
	v_cmp_eq_u32_e32 vcc, v18, v19
	s_or_b64 s[18:19], s[4:5], s[18:19]
	s_andn2_b64 s[4:5], s[40:41], exec
	s_and_b64 s[40:41], vcc, exec
	s_or_b64 s[40:41], s[4:5], s[40:41]
	s_andn2_b64 exec, exec, s[18:19]
	s_cbranch_execnz .LBB473_126
; %bb.127:
	s_or_b64 exec, exec, s[18:19]
	s_xor_b64 s[4:5], s[40:41], -1
.LBB473_128:
	s_and_b64 s[18:19], s[4:5], exec
.LBB473_129:
	s_or_b64 exec, exec, s[38:39]
	v_cndmask_b32_e64 v32, 0, 1, s[14:15]
	v_cndmask_b32_e64 v33, 0, 1, s[36:37]
	;; [unrolled: 1-line block ×4, first 2 shown]
	v_mov_b32_e32 v16, 1
	v_cmp_ne_u32_e32 vcc, 0, v0
	s_waitcnt lgkmcnt(0)
	s_barrier
                                        ; implicit-def: $sgpr6_sgpr7
                                        ; implicit-def: $vgpr15
	s_and_saveexec_b64 s[14:15], vcc
	s_cbranch_execz .LBB473_137
; %bb.130:
	v_lshlrev_b16_e32 v15, 8, v34
	v_lshlrev_b16_e32 v17, 8, v14
	v_or_b32_e32 v15, 1, v15
	v_or_b32_sdwa v17, v33, v17 dst_sel:WORD_1 dst_unused:UNUSED_PAD src0_sel:DWORD src1_sel:DWORD
	v_cmp_gt_u32_e32 vcc, s3, v22
	v_or_b32_sdwa v15, v15, v17 dst_sel:DWORD dst_unused:UNUSED_PAD src0_sel:WORD_0 src1_sel:DWORD
	s_mov_b32 s33, 0x3020104
	s_mov_b64 s[6:7], 0
	s_and_saveexec_b64 s[18:19], vcc
	s_cbranch_execz .LBB473_136
; %bb.131:
	s_andn2_b64 vcc, exec, s[12:13]
	s_mov_b64 s[4:5], 0
	s_cbranch_vccnz .LBB473_135
; %bb.132:
	v_add_u32_e32 v17, -8, v23
	ds_read_b64 v[18:19], v17
	v_mul_lo_u32 v17, v7, s30
	v_mul_lo_u32 v23, v6, s31
                                        ; implicit-def: $sgpr12_sgpr13
	s_waitcnt lgkmcnt(0)
	v_mul_lo_u32 v20, v19, s30
	v_mul_lo_u32 v21, v18, s31
	v_mad_u64_u32 v[18:19], s[4:5], v18, s30, 0
	v_add3_u32 v19, v19, v21, v20
	v_mad_u64_u32 v[20:21], s[4:5], v6, s30, 0
	v_add3_u32 v21, v21, v23, v17
	v_lshl_add_u64 v[18:19], v[18:19], 2, s[20:21]
	v_lshl_add_u64 v[20:21], v[20:21], 2, s[20:21]
	s_add_u32 s20, s30, -1
	s_addc_u32 s21, s31, -1
.LBB473_133:                            ; =>This Inner Loop Header: Depth=1
	global_load_dword v17, v[18:19], off
	global_load_dword v23, v[20:21], off
	s_add_u32 s4, s20, -1
	s_addc_u32 s5, s21, -1
	s_cmp_eq_u64 s[20:21], 0
	s_mov_b64 s[20:21], s[4:5]
	s_cselect_b64 s[30:31], -1, 0
	v_lshl_add_u64 v[18:19], v[18:19], 0, 4
	v_lshl_add_u64 v[20:21], v[20:21], 0, 4
	s_waitcnt vmcnt(0)
	v_cmp_ne_u32_e64 s[4:5], v17, v23
	s_or_b64 s[4:5], s[4:5], s[30:31]
	s_and_b64 s[4:5], exec, s[4:5]
	v_cmp_eq_u32_e32 vcc, v17, v23
	s_or_b64 s[6:7], s[4:5], s[6:7]
	s_andn2_b64 s[4:5], s[12:13], exec
	s_and_b64 s[12:13], vcc, exec
	s_or_b64 s[12:13], s[4:5], s[12:13]
	s_andn2_b64 exec, exec, s[6:7]
	s_cbranch_execnz .LBB473_133
; %bb.134:
	s_or_b64 exec, exec, s[6:7]
	s_xor_b64 s[4:5], s[12:13], -1
.LBB473_135:
	s_and_b64 s[6:7], s[4:5], exec
.LBB473_136:
	s_or_b64 exec, exec, s[18:19]
	v_perm_b32 v15, v15, v15, s33
	s_or_b64 s[10:11], s[10:11], exec
.LBB473_137:
	s_or_b64 exec, exec, s[14:15]
.LBB473_138:
	s_and_saveexec_b64 s[4:5], s[10:11]
; %bb.139:
	v_lshrrev_b32_e32 v14, 24, v15
	v_lshrrev_b32_e32 v33, 16, v15
	v_lshrrev_b32_e32 v34, 8, v15
	v_cndmask_b32_e64 v16, 0, 1, s[6:7]
; %bb.140:
	s_or_b64 exec, exec, s[4:5]
	s_andn2_b64 vcc, exec, s[8:9]
	s_cbranch_vccnz .LBB473_144
; %bb.141:
	s_mov_b32 s4, 0xc0c0004
	v_perm_b32 v14, v33, v14, s4
	v_perm_b32 v15, v16, v34, s4
	v_lshlrev_b32_e32 v14, 16, v14
	v_or_b32_e32 v15, v15, v14
	v_cmp_gt_u32_e32 vcc, s3, v22
	v_add_u32_e32 v16, 1, v22
	s_mov_b32 s4, 0x40c0100
	v_cndmask_b32_e32 v14, v14, v15, vcc
	v_and_b32_e32 v14, 0xffff00ff, v14
	v_cmp_gt_u32_e32 vcc, s3, v16
	v_add_u32_e32 v16, 2, v22
	v_and_b32_e32 v32, 0xff, v32
	v_cndmask_b32_e32 v14, v14, v15, vcc
	v_lshrrev_b32_e32 v18, 24, v14
	v_perm_b32 v14, v18, v14, s4
	v_cmp_gt_u32_e32 vcc, s3, v16
	v_add_u32_e32 v16, 3, v22
	v_and_b32_e32 v17, 0xffff, v32
	v_cndmask_b32_e32 v14, v14, v15, vcc
	v_and_b32_e32 v14, 0xffffff, v14
	v_cmp_gt_u32_e32 vcc, s3, v16
	s_nop 1
	v_cndmask_b32_e32 v16, v14, v15, vcc
	v_lshrrev_b64 v[14:15], 24, v[16:17]
	v_add_u32_e32 v15, 4, v22
	v_lshrrev_b32_e32 v33, 16, v16
	v_lshrrev_b32_e32 v34, 8, v16
	v_cmp_le_u32_e32 vcc, s3, v15
	s_and_saveexec_b64 s[4:5], vcc
; %bb.142:
	v_mov_b32_e32 v32, 0
; %bb.143:
	s_or_b64 exec, exec, s[4:5]
.LBB473_144:
	v_and_b32_e32 v15, 0xff, v16
	v_and_b32_e32 v17, 0xff, v34
	;; [unrolled: 1-line block ×5, first 2 shown]
	v_add3_u32 v19, v17, v15, v29
	v_add3_u32 v37, v19, v31, v18
	v_mbcnt_lo_u32_b32 v18, -1, 0
	v_mbcnt_hi_u32_b32 v35, -1, v18
	v_and_b32_e32 v18, 15, v35
	v_cmp_eq_u32_e64 s[14:15], 0, v18
	v_cmp_lt_u32_e64 s[12:13], 1, v18
	v_cmp_lt_u32_e64 s[10:11], 3, v18
	;; [unrolled: 1-line block ×3, first 2 shown]
	v_and_b32_e32 v18, 16, v35
	v_cmp_eq_u32_e64 s[6:7], 0, v18
	v_or_b32_e32 v18, 63, v0
	v_cmp_lt_u32_e64 s[18:19], 31, v35
	v_lshrrev_b32_e32 v36, 6, v0
	v_cmp_eq_u32_e64 s[4:5], v0, v18
	s_and_b64 vcc, exec, s[16:17]
	s_waitcnt lgkmcnt(0)
	s_barrier
	s_cbranch_vccz .LBB473_166
; %bb.145:
	v_mov_b32_dpp v18, v37 row_shr:1 row_mask:0xf bank_mask:0xf
	v_cndmask_b32_e64 v18, v18, 0, s[14:15]
	v_add_u32_e32 v18, v18, v37
	s_nop 1
	v_mov_b32_dpp v19, v18 row_shr:2 row_mask:0xf bank_mask:0xf
	v_cndmask_b32_e64 v19, 0, v19, s[12:13]
	v_add_u32_e32 v18, v18, v19
	s_nop 1
	;; [unrolled: 4-line block ×4, first 2 shown]
	v_mov_b32_dpp v19, v18 row_bcast:15 row_mask:0xf bank_mask:0xf
	v_cndmask_b32_e64 v19, v19, 0, s[6:7]
	v_add_u32_e32 v18, v18, v19
	s_nop 1
	v_mov_b32_dpp v19, v18 row_bcast:31 row_mask:0xf bank_mask:0xf
	v_cndmask_b32_e64 v19, 0, v19, s[18:19]
	v_add_u32_e32 v18, v18, v19
	s_and_saveexec_b64 s[16:17], s[4:5]
; %bb.146:
	v_lshlrev_b32_e32 v19, 2, v36
	ds_write_b32 v19, v18
; %bb.147:
	s_or_b64 exec, exec, s[16:17]
	v_cmp_gt_u32_e32 vcc, 2, v0
	s_waitcnt lgkmcnt(0)
	s_barrier
	s_and_saveexec_b64 s[16:17], vcc
	s_cbranch_execz .LBB473_149
; %bb.148:
	v_lshlrev_b32_e32 v19, 2, v0
	ds_read_b32 v20, v19
	v_bfe_i32 v21, v35, 0, 1
	s_waitcnt lgkmcnt(0)
	v_mov_b32_dpp v22, v20 row_shr:1 row_mask:0xf bank_mask:0xf
	v_and_b32_e32 v21, v21, v22
	v_add_u32_e32 v20, v21, v20
	ds_write_b32 v19, v20
.LBB473_149:
	s_or_b64 exec, exec, s[16:17]
	v_cmp_gt_u32_e32 vcc, 64, v0
	v_cmp_lt_u32_e64 s[16:17], 63, v0
	s_waitcnt lgkmcnt(0)
	s_barrier
                                        ; implicit-def: $vgpr28
	s_and_saveexec_b64 s[20:21], s[16:17]
	s_cbranch_execz .LBB473_151
; %bb.150:
	v_lshl_add_u32 v19, v36, 2, -4
	ds_read_b32 v28, v19
	s_waitcnt lgkmcnt(0)
	v_add_u32_e32 v18, v28, v18
.LBB473_151:
	s_or_b64 exec, exec, s[20:21]
	v_subrev_co_u32_e64 v19, s[16:17], 1, v35
	v_and_b32_e32 v20, 64, v35
	v_cmp_lt_i32_e64 s[20:21], v19, v20
	s_nop 1
	v_cndmask_b32_e64 v19, v19, v35, s[20:21]
	v_lshlrev_b32_e32 v19, 2, v19
	ds_bpermute_b32 v30, v19, v18
	s_and_saveexec_b64 s[20:21], vcc
	s_cbranch_execz .LBB473_171
; %bb.152:
	v_mov_b32_e32 v25, 0
	ds_read_b32 v18, v25 offset:4
	s_and_saveexec_b64 s[30:31], s[16:17]
	s_cbranch_execz .LBB473_154
; %bb.153:
	s_add_i32 s36, s2, 64
	s_mov_b32 s37, 0
	s_lshl_b64 s[36:37], s[36:37], 3
	s_add_u32 s36, s22, s36
	v_mov_b32_e32 v19, 1
	s_addc_u32 s37, s23, s37
	s_waitcnt lgkmcnt(0)
	global_store_dwordx2 v25, v[18:19], s[36:37] sc1
.LBB473_154:
	s_or_b64 exec, exec, s[30:31]
	v_xad_u32 v20, v35, -1, s2
	v_add_u32_e32 v24, 64, v20
	v_lshl_add_u64 v[26:27], v[24:25], 3, s[22:23]
	global_load_dwordx2 v[22:23], v[26:27], off sc1
	s_waitcnt vmcnt(0)
	v_cmp_eq_u16_sdwa s[36:37], v23, v25 src0_sel:BYTE_0 src1_sel:DWORD
	s_and_saveexec_b64 s[30:31], s[36:37]
	s_cbranch_execz .LBB473_158
; %bb.155:
	s_mov_b64 s[36:37], 0
	v_mov_b32_e32 v19, 0
.LBB473_156:                            ; =>This Inner Loop Header: Depth=1
	global_load_dwordx2 v[22:23], v[26:27], off sc1
	s_waitcnt vmcnt(0)
	v_cmp_ne_u16_sdwa s[38:39], v23, v19 src0_sel:BYTE_0 src1_sel:DWORD
	s_or_b64 s[36:37], s[38:39], s[36:37]
	s_andn2_b64 exec, exec, s[36:37]
	s_cbranch_execnz .LBB473_156
; %bb.157:
	s_or_b64 exec, exec, s[36:37]
.LBB473_158:
	s_or_b64 exec, exec, s[30:31]
	v_and_b32_e32 v39, 63, v35
	v_mov_b32_e32 v38, 2
	v_cmp_ne_u32_e32 vcc, 63, v39
	v_cmp_eq_u16_sdwa s[30:31], v23, v38 src0_sel:BYTE_0 src1_sel:DWORD
	v_lshlrev_b64 v[24:25], v35, -1
	v_addc_co_u32_e32 v26, vcc, 0, v35, vcc
	v_and_b32_e32 v19, s31, v25
	v_lshlrev_b32_e32 v40, 2, v26
	v_or_b32_e32 v19, 0x80000000, v19
	ds_bpermute_b32 v26, v40, v22
	v_and_b32_e32 v21, s30, v24
	v_ffbl_b32_e32 v19, v19
	v_add_u32_e32 v19, 32, v19
	v_ffbl_b32_e32 v21, v21
	v_min_u32_e32 v19, v21, v19
	v_cmp_lt_u32_e32 vcc, v39, v19
	v_add_u32_e32 v42, 2, v39
	v_add_u32_e32 v44, 4, v39
	s_waitcnt lgkmcnt(0)
	v_cndmask_b32_e32 v21, 0, v26, vcc
	v_cmp_gt_u32_e32 vcc, 62, v39
	v_add_u32_e32 v21, v21, v22
	v_add_u32_e32 v46, 8, v39
	v_cndmask_b32_e64 v22, 0, 2, vcc
	v_add_lshl_u32 v41, v22, v35, 2
	ds_bpermute_b32 v22, v41, v21
	v_cmp_le_u32_e32 vcc, v42, v19
	v_add_u32_e32 v48, 16, v39
	v_add_u32_e32 v50, 32, v39
	s_waitcnt lgkmcnt(0)
	v_cndmask_b32_e32 v22, 0, v22, vcc
	v_cmp_gt_u32_e32 vcc, 60, v39
	v_add_u32_e32 v21, v21, v22
	s_nop 0
	v_cndmask_b32_e64 v22, 0, 4, vcc
	v_add_lshl_u32 v43, v22, v35, 2
	ds_bpermute_b32 v22, v43, v21
	v_cmp_le_u32_e32 vcc, v44, v19
	s_waitcnt lgkmcnt(0)
	s_nop 0
	v_cndmask_b32_e32 v22, 0, v22, vcc
	v_cmp_gt_u32_e32 vcc, 56, v39
	v_add_u32_e32 v21, v21, v22
	s_nop 0
	v_cndmask_b32_e64 v22, 0, 8, vcc
	v_add_lshl_u32 v45, v22, v35, 2
	ds_bpermute_b32 v22, v45, v21
	v_cmp_le_u32_e32 vcc, v46, v19
	s_waitcnt lgkmcnt(0)
	s_nop 0
	;; [unrolled: 10-line block ×3, first 2 shown]
	v_cndmask_b32_e32 v22, 0, v22, vcc
	v_add_u32_e32 v21, v21, v22
	v_mov_b32_e32 v22, 0x80
	v_lshl_or_b32 v49, v35, 2, v22
	ds_bpermute_b32 v22, v49, v21
	v_cmp_le_u32_e32 vcc, v50, v19
	s_waitcnt lgkmcnt(0)
	s_nop 0
	v_cndmask_b32_e32 v19, 0, v22, vcc
	v_add_u32_e32 v22, v21, v19
	v_mov_b32_e32 v21, 0
	s_branch .LBB473_161
.LBB473_159:                            ;   in Loop: Header=BB473_161 Depth=1
	s_or_b64 exec, exec, s[30:31]
	v_cmp_eq_u16_sdwa s[30:31], v23, v38 src0_sel:BYTE_0 src1_sel:DWORD
	ds_bpermute_b32 v51, v40, v22
	v_subrev_u32_e32 v20, 64, v20
	v_and_b32_e32 v26, s31, v25
	v_or_b32_e32 v26, 0x80000000, v26
	v_and_b32_e32 v27, s30, v24
	v_ffbl_b32_e32 v26, v26
	v_add_u32_e32 v26, 32, v26
	v_ffbl_b32_e32 v27, v27
	v_min_u32_e32 v26, v27, v26
	v_cmp_lt_u32_e32 vcc, v39, v26
	s_mov_b64 s[30:31], 0
	s_waitcnt lgkmcnt(0)
	v_cndmask_b32_e32 v27, 0, v51, vcc
	v_add_u32_e32 v22, v27, v22
	ds_bpermute_b32 v27, v41, v22
	v_cmp_le_u32_e32 vcc, v42, v26
	s_waitcnt lgkmcnt(0)
	s_nop 0
	v_cndmask_b32_e32 v27, 0, v27, vcc
	v_add_u32_e32 v22, v22, v27
	ds_bpermute_b32 v27, v43, v22
	v_cmp_le_u32_e32 vcc, v44, v26
	s_waitcnt lgkmcnt(0)
	s_nop 0
	;; [unrolled: 6-line block ×5, first 2 shown]
	v_cndmask_b32_e32 v26, 0, v27, vcc
	v_add3_u32 v22, v26, v19, v22
.LBB473_160:                            ;   in Loop: Header=BB473_161 Depth=1
	s_and_b64 vcc, exec, s[30:31]
	s_cbranch_vccnz .LBB473_167
.LBB473_161:                            ; =>This Loop Header: Depth=1
                                        ;     Child Loop BB473_164 Depth 2
	v_cmp_ne_u16_sdwa s[30:31], v23, v38 src0_sel:BYTE_0 src1_sel:DWORD
	v_mov_b32_e32 v19, v22
	s_cmp_lg_u64 s[30:31], exec
	s_mov_b64 s[30:31], -1
                                        ; implicit-def: $vgpr22
                                        ; implicit-def: $vgpr23
	s_cbranch_scc1 .LBB473_160
; %bb.162:                              ;   in Loop: Header=BB473_161 Depth=1
	v_lshl_add_u64 v[26:27], v[20:21], 3, s[22:23]
	global_load_dwordx2 v[22:23], v[26:27], off sc1
	s_waitcnt vmcnt(0)
	v_cmp_eq_u16_sdwa s[36:37], v23, v21 src0_sel:BYTE_0 src1_sel:DWORD
	s_and_saveexec_b64 s[30:31], s[36:37]
	s_cbranch_execz .LBB473_159
; %bb.163:                              ;   in Loop: Header=BB473_161 Depth=1
	s_mov_b64 s[36:37], 0
.LBB473_164:                            ;   Parent Loop BB473_161 Depth=1
                                        ; =>  This Inner Loop Header: Depth=2
	global_load_dwordx2 v[22:23], v[26:27], off sc1
	s_waitcnt vmcnt(0)
	v_cmp_ne_u16_sdwa s[38:39], v23, v21 src0_sel:BYTE_0 src1_sel:DWORD
	s_or_b64 s[36:37], s[38:39], s[36:37]
	s_andn2_b64 exec, exec, s[36:37]
	s_cbranch_execnz .LBB473_164
; %bb.165:                              ;   in Loop: Header=BB473_161 Depth=1
	s_or_b64 exec, exec, s[36:37]
	s_branch .LBB473_159
.LBB473_166:
                                        ; implicit-def: $vgpr22
                                        ; implicit-def: $vgpr24
                                        ; implicit-def: $vgpr26
                                        ; implicit-def: $vgpr28
                                        ; implicit-def: $vgpr30
                                        ; implicit-def: $vgpr20
                                        ; implicit-def: $vgpr18
	s_cbranch_execnz .LBB473_172
	s_branch .LBB473_181
.LBB473_167:
	s_and_saveexec_b64 s[30:31], s[16:17]
	s_cbranch_execz .LBB473_169
; %bb.168:
	s_add_i32 s2, s2, 64
	s_mov_b32 s3, 0
	s_lshl_b64 s[2:3], s[2:3], 3
	s_add_u32 s2, s22, s2
	v_add_u32_e32 v20, v19, v18
	v_mov_b32_e32 v21, 2
	s_addc_u32 s3, s23, s3
	v_mov_b32_e32 v22, 0
	global_store_dwordx2 v22, v[20:21], s[2:3] sc1
	ds_write_b64 v22, v[18:19] offset:5120
.LBB473_169:
	s_or_b64 exec, exec, s[30:31]
	v_cmp_eq_u32_e32 vcc, 0, v0
	s_and_b64 exec, exec, vcc
; %bb.170:
	v_mov_b32_e32 v18, 0
	ds_write_b32 v18, v19 offset:4
.LBB473_171:
	s_or_b64 exec, exec, s[20:21]
	v_mov_b32_e32 v18, 0
	s_waitcnt lgkmcnt(0)
	s_barrier
	ds_read_b32 v19, v18 offset:4
	v_cndmask_b32_e64 v20, v30, v28, s[16:17]
	v_cmp_ne_u32_e32 vcc, 0, v0
	s_waitcnt lgkmcnt(0)
	s_barrier
	v_cndmask_b32_e32 v20, 0, v20, vcc
	v_add_u32_e32 v30, v19, v20
	ds_read_b64 v[18:19], v18 offset:5120
	v_add_u32_e32 v28, v30, v15
	v_add_u32_e32 v26, v28, v17
	;; [unrolled: 1-line block ×4, first 2 shown]
	s_waitcnt lgkmcnt(0)
	v_mov_b32_e32 v20, v19
	s_branch .LBB473_181
.LBB473_172:
	v_mov_b32_dpp v18, v37 row_shr:1 row_mask:0xf bank_mask:0xf
	v_cndmask_b32_e64 v18, v18, 0, s[14:15]
	v_add_u32_e32 v18, v18, v37
	s_nop 1
	v_mov_b32_dpp v19, v18 row_shr:2 row_mask:0xf bank_mask:0xf
	v_cndmask_b32_e64 v19, 0, v19, s[12:13]
	v_add_u32_e32 v18, v18, v19
	s_nop 1
	;; [unrolled: 4-line block ×4, first 2 shown]
	v_mov_b32_dpp v19, v18 row_bcast:15 row_mask:0xf bank_mask:0xf
	v_cndmask_b32_e64 v19, v19, 0, s[6:7]
	v_add_u32_e32 v18, v18, v19
	s_nop 1
	v_mov_b32_dpp v19, v18 row_bcast:31 row_mask:0xf bank_mask:0xf
	v_cndmask_b32_e64 v19, 0, v19, s[18:19]
	v_add_u32_e32 v18, v18, v19
	s_and_saveexec_b64 s[2:3], s[4:5]
; %bb.173:
	v_lshlrev_b32_e32 v19, 2, v36
	ds_write_b32 v19, v18
; %bb.174:
	s_or_b64 exec, exec, s[2:3]
	v_cmp_gt_u32_e32 vcc, 2, v0
	s_waitcnt lgkmcnt(0)
	s_barrier
	s_and_saveexec_b64 s[2:3], vcc
	s_cbranch_execz .LBB473_176
; %bb.175:
	v_lshlrev_b32_e32 v19, 2, v0
	ds_read_b32 v20, v19
	v_bfe_i32 v21, v35, 0, 1
	s_waitcnt lgkmcnt(0)
	v_mov_b32_dpp v22, v20 row_shr:1 row_mask:0xf bank_mask:0xf
	v_and_b32_e32 v21, v21, v22
	v_add_u32_e32 v20, v21, v20
	ds_write_b32 v19, v20
.LBB473_176:
	s_or_b64 exec, exec, s[2:3]
	v_cmp_lt_u32_e32 vcc, 63, v0
	v_mov_b32_e32 v19, 0
	v_mov_b32_e32 v20, 0
	s_waitcnt lgkmcnt(0)
	s_barrier
	s_and_saveexec_b64 s[2:3], vcc
; %bb.177:
	v_lshl_add_u32 v20, v36, 2, -4
	ds_read_b32 v20, v20
; %bb.178:
	s_or_b64 exec, exec, s[2:3]
	v_subrev_co_u32_e32 v21, vcc, 1, v35
	v_and_b32_e32 v22, 64, v35
	v_cmp_lt_i32_e64 s[2:3], v21, v22
	s_waitcnt lgkmcnt(0)
	v_add_u32_e32 v18, v20, v18
	v_cndmask_b32_e64 v21, v21, v35, s[2:3]
	v_lshlrev_b32_e32 v21, 2, v21
	ds_bpermute_b32 v21, v21, v18
	ds_read_b32 v18, v19 offset:4
	v_cmp_eq_u32_e64 s[2:3], 0, v0
	s_and_saveexec_b64 s[4:5], s[2:3]
	s_cbranch_execz .LBB473_180
; %bb.179:
	v_mov_b32_e32 v22, 0
	v_mov_b32_e32 v19, 2
	s_waitcnt lgkmcnt(0)
	global_store_dwordx2 v22, v[18:19], s[22:23] offset:512 sc1
.LBB473_180:
	s_or_b64 exec, exec, s[4:5]
	s_waitcnt lgkmcnt(1)
	v_cndmask_b32_e32 v19, v21, v20, vcc
	v_cndmask_b32_e64 v30, v19, 0, s[2:3]
	v_add_u32_e32 v28, v30, v15
	v_add_u32_e32 v26, v28, v17
	;; [unrolled: 1-line block ×4, first 2 shown]
	s_waitcnt lgkmcnt(0)
	s_barrier
	v_mov_b32_e32 v20, 0
.LBB473_181:
	s_load_dwordx4 s[8:11], s[0:1], 0x28
	s_movk_i32 s0, 0x81
	v_cmp_gt_u32_e64 s[0:1], s0, v18
	v_add_u32_e32 v17, v20, v18
	v_and_b32_e32 v15, 1, v16
	s_mov_b64 s[6:7], -1
	s_and_b64 vcc, exec, s[0:1]
	v_cmp_lt_u32_e64 s[2:3], v30, v17
	v_cmp_eq_u32_e64 s[4:5], 1, v15
	s_cbranch_vccz .LBB473_193
; %bb.182:
	s_or_b64 s[2:3], s[34:35], s[2:3]
	s_and_b64 s[4:5], s[2:3], s[4:5]
	s_and_saveexec_b64 s[2:3], s[4:5]
	s_cbranch_execz .LBB473_184
; %bb.183:
	s_lshl_b64 s[4:5], s[26:27], 3
	s_waitcnt lgkmcnt(0)
	s_add_u32 s4, s8, s4
	s_addc_u32 s5, s9, s5
	v_mov_b32_e32 v31, 0
	v_lshl_add_u64 v[36:37], v[30:31], 3, s[4:5]
	global_store_dwordx2 v[36:37], v[6:7], off
.LBB473_184:
	s_or_b64 exec, exec, s[2:3]
	v_cmp_lt_u32_e32 vcc, v28, v17
	v_and_b32_e32 v16, 1, v34
	s_or_b64 s[2:3], s[34:35], vcc
	v_cmp_eq_u32_e32 vcc, 1, v16
	s_and_b64 s[4:5], s[2:3], vcc
	s_and_saveexec_b64 s[2:3], s[4:5]
	s_cbranch_execz .LBB473_186
; %bb.185:
	s_lshl_b64 s[4:5], s[26:27], 3
	s_waitcnt lgkmcnt(0)
	s_add_u32 s4, s8, s4
	s_addc_u32 s5, s9, s5
	v_mov_b32_e32 v29, 0
	v_lshl_add_u64 v[36:37], v[28:29], 3, s[4:5]
	global_store_dwordx2 v[36:37], v[8:9], off
.LBB473_186:
	s_or_b64 exec, exec, s[2:3]
	v_cmp_lt_u32_e32 vcc, v26, v17
	v_and_b32_e32 v16, 1, v33
	s_or_b64 s[2:3], s[34:35], vcc
	v_cmp_eq_u32_e32 vcc, 1, v16
	s_and_b64 s[4:5], s[2:3], vcc
	;; [unrolled: 17-line block ×4, first 2 shown]
	s_and_saveexec_b64 s[2:3], s[4:5]
	s_cbranch_execz .LBB473_192
; %bb.191:
	s_lshl_b64 s[4:5], s[26:27], 3
	s_waitcnt lgkmcnt(0)
	s_add_u32 s4, s8, s4
	s_addc_u32 s5, s9, s5
	v_mov_b32_e32 v23, 0
	v_lshl_add_u64 v[36:37], v[22:23], 3, s[4:5]
	global_store_dwordx2 v[36:37], v[12:13], off
.LBB473_192:
	s_or_b64 exec, exec, s[2:3]
	s_mov_b64 s[6:7], 0
.LBB473_193:
	s_and_b64 vcc, exec, s[6:7]
	s_cbranch_vccz .LBB473_207
; %bb.194:
	v_cmp_eq_u32_e32 vcc, 1, v15
	s_and_saveexec_b64 s[2:3], vcc
; %bb.195:
	v_sub_u32_e32 v16, v30, v20
	v_lshlrev_b32_e32 v16, 3, v16
	ds_write_b64 v16, v[6:7]
; %bb.196:
	s_or_b64 exec, exec, s[2:3]
	v_and_b32_e32 v6, 1, v34
	v_cmp_eq_u32_e32 vcc, 1, v6
	s_and_saveexec_b64 s[2:3], vcc
; %bb.197:
	v_sub_u32_e32 v6, v28, v20
	v_lshlrev_b32_e32 v6, 3, v6
	ds_write_b64 v6, v[8:9]
; %bb.198:
	s_or_b64 exec, exec, s[2:3]
	v_and_b32_e32 v6, 1, v33
	;; [unrolled: 9-line block ×4, first 2 shown]
	v_cmp_eq_u32_e32 vcc, 1, v2
	s_and_saveexec_b64 s[2:3], vcc
; %bb.203:
	v_sub_u32_e32 v2, v22, v20
	v_lshlrev_b32_e32 v2, 3, v2
	ds_write_b64 v2, v[12:13]
; %bb.204:
	s_or_b64 exec, exec, s[2:3]
	v_mov_b32_e32 v3, 0
	v_mov_b32_e32 v21, v3
	v_lshlrev_b64 v[4:5], 3, v[20:21]
	s_waitcnt lgkmcnt(0)
	v_lshl_add_u64 v[4:5], s[8:9], 0, v[4:5]
	s_lshl_b64 s[2:3], s[26:27], 3
	v_lshl_add_u64 v[4:5], v[4:5], 0, s[2:3]
	v_lshlrev_b32_e32 v6, 3, v0
	s_mov_b64 s[2:3], 0
	v_mov_b32_e32 v2, v0
	s_barrier
.LBB473_205:                            ; =>This Inner Loop Header: Depth=1
	ds_read_b64 v[8:9], v6
	v_lshl_add_u64 v[12:13], v[2:3], 3, v[4:5]
	v_add_u32_e32 v2, 0x80, v2
	v_cmp_ge_u32_e32 vcc, v2, v18
	v_add_u32_e32 v6, 0x400, v6
	s_or_b64 s[2:3], vcc, s[2:3]
	s_waitcnt lgkmcnt(0)
	global_store_dwordx2 v[12:13], v[8:9], off
	s_andn2_b64 exec, exec, s[2:3]
	s_cbranch_execnz .LBB473_205
; %bb.206:
	s_or_b64 exec, exec, s[2:3]
.LBB473_207:
	s_mov_b64 s[2:3], -1
	s_and_b64 vcc, exec, s[0:1]
	s_waitcnt lgkmcnt(0)
	s_barrier
	s_cbranch_vccnz .LBB473_211
; %bb.208:
	s_and_b64 vcc, exec, s[2:3]
	s_cbranch_vccnz .LBB473_222
.LBB473_209:
	v_cmp_eq_u32_e32 vcc, 0, v0
	s_and_b64 s[0:1], vcc, s[28:29]
	s_and_saveexec_b64 s[2:3], s[0:1]
	s_cbranch_execnz .LBB473_235
.LBB473_210:
	s_endpgm
.LBB473_211:
	v_cmp_lt_u32_e32 vcc, v30, v17
	s_or_b64 s[0:1], s[34:35], vcc
	v_cmp_eq_u32_e32 vcc, 1, v15
	s_and_b64 s[2:3], s[0:1], vcc
	s_and_saveexec_b64 s[0:1], s[2:3]
	s_cbranch_execz .LBB473_213
; %bb.212:
	s_lshl_b64 s[2:3], s[26:27], 3
	s_add_u32 s2, s10, s2
	s_addc_u32 s3, s11, s3
	v_mov_b32_e32 v31, 0
	v_lshl_add_u64 v[2:3], v[30:31], 3, s[2:3]
	global_store_dwordx2 v[2:3], v[56:57], off
.LBB473_213:
	s_or_b64 exec, exec, s[0:1]
	v_cmp_lt_u32_e32 vcc, v28, v17
	v_and_b32_e32 v2, 1, v34
	s_or_b64 s[0:1], s[34:35], vcc
	v_cmp_eq_u32_e32 vcc, 1, v2
	s_and_b64 s[2:3], s[0:1], vcc
	s_and_saveexec_b64 s[0:1], s[2:3]
	s_cbranch_execz .LBB473_215
; %bb.214:
	s_lshl_b64 s[2:3], s[26:27], 3
	s_add_u32 s2, s10, s2
	s_addc_u32 s3, s11, s3
	v_mov_b32_e32 v29, 0
	v_lshl_add_u64 v[2:3], v[28:29], 3, s[2:3]
	global_store_dwordx2 v[2:3], v[58:59], off
.LBB473_215:
	s_or_b64 exec, exec, s[0:1]
	v_cmp_lt_u32_e32 vcc, v26, v17
	v_and_b32_e32 v2, 1, v33
	;; [unrolled: 16-line block ×4, first 2 shown]
	s_or_b64 s[0:1], s[34:35], vcc
	v_cmp_eq_u32_e32 vcc, 1, v2
	s_and_b64 s[2:3], s[0:1], vcc
	s_and_saveexec_b64 s[0:1], s[2:3]
	s_cbranch_execz .LBB473_221
; %bb.220:
	s_lshl_b64 s[2:3], s[26:27], 3
	s_add_u32 s2, s10, s2
	s_addc_u32 s3, s11, s3
	v_mov_b32_e32 v23, 0
	v_lshl_add_u64 v[2:3], v[22:23], 3, s[2:3]
	global_store_dwordx2 v[2:3], v[10:11], off
.LBB473_221:
	s_or_b64 exec, exec, s[0:1]
	s_branch .LBB473_209
.LBB473_222:
	v_cmp_eq_u32_e32 vcc, 1, v15
	s_and_saveexec_b64 s[0:1], vcc
; %bb.223:
	v_sub_u32_e32 v2, v30, v20
	v_lshlrev_b32_e32 v2, 3, v2
	ds_write_b64 v2, v[56:57]
; %bb.224:
	s_or_b64 exec, exec, s[0:1]
	v_and_b32_e32 v2, 1, v34
	v_cmp_eq_u32_e32 vcc, 1, v2
	s_and_saveexec_b64 s[0:1], vcc
; %bb.225:
	v_sub_u32_e32 v2, v28, v20
	v_lshlrev_b32_e32 v2, 3, v2
	ds_write_b64 v2, v[58:59]
; %bb.226:
	s_or_b64 exec, exec, s[0:1]
	v_and_b32_e32 v2, 1, v33
	;; [unrolled: 9-line block ×4, first 2 shown]
	v_cmp_eq_u32_e32 vcc, 1, v2
	s_and_saveexec_b64 s[0:1], vcc
; %bb.231:
	v_sub_u32_e32 v2, v22, v20
	v_lshlrev_b32_e32 v2, 3, v2
	ds_write_b64 v2, v[10:11]
; %bb.232:
	s_or_b64 exec, exec, s[0:1]
	v_mov_b32_e32 v3, 0
	v_mov_b32_e32 v21, v3
	v_lshlrev_b64 v[4:5], 3, v[20:21]
	v_lshl_add_u64 v[4:5], s[10:11], 0, v[4:5]
	s_lshl_b64 s[0:1], s[26:27], 3
	v_lshl_add_u64 v[4:5], v[4:5], 0, s[0:1]
	s_mov_b64 s[0:1], 0
	v_mov_b32_e32 v2, v0
	s_waitcnt lgkmcnt(0)
	s_barrier
.LBB473_233:                            ; =>This Inner Loop Header: Depth=1
	ds_read_b64 v[6:7], v1
	v_lshl_add_u64 v[8:9], v[2:3], 3, v[4:5]
	v_add_u32_e32 v2, 0x80, v2
	v_cmp_ge_u32_e32 vcc, v2, v18
	v_add_u32_e32 v1, 0x400, v1
	s_or_b64 s[0:1], vcc, s[0:1]
	s_waitcnt lgkmcnt(0)
	global_store_dwordx2 v[8:9], v[6:7], off
	s_andn2_b64 exec, exec, s[0:1]
	s_cbranch_execnz .LBB473_233
; %bb.234:
	s_or_b64 exec, exec, s[0:1]
	v_cmp_eq_u32_e32 vcc, 0, v0
	s_and_b64 s[0:1], vcc, s[28:29]
	s_and_saveexec_b64 s[2:3], s[0:1]
	s_cbranch_execz .LBB473_210
.LBB473_235:
	v_mov_b32_e32 v19, 0
	v_lshl_add_u64 v[0:1], s[26:27], 0, v[18:19]
	v_mov_b32_e32 v21, v19
	v_lshl_add_u64 v[0:1], v[0:1], 0, v[20:21]
	global_store_dwordx2 v19, v[0:1], s[24:25]
	s_endpgm
	.section	.rodata,"a",@progbits
	.p2align	6, 0x0
	.amdhsa_kernel _ZN7rocprim17ROCPRIM_400000_NS6detail17trampoline_kernelINS0_14default_configENS1_25partition_config_selectorILNS1_17partition_subalgoE9EllbEEZZNS1_14partition_implILS5_9ELb0ES3_jPlS8_PNS0_10empty_typeENS0_5tupleIJS8_S9_EEENSB_IJS8_SA_EEENS0_18inequality_wrapperIZN2at6native12_GLOBAL__N_124unique_dim_cuda_templateIiEESt5tupleIJNSF_6TensorESK_SK_EERKSK_lbbbEUlllE0_EEPmJS9_EEE10hipError_tPvRmT3_T4_T5_T6_T7_T9_mT8_P12ihipStream_tbDpT10_ENKUlT_T0_E_clISt17integral_constantIbLb0EES1A_EEDaS15_S16_EUlS15_E_NS1_11comp_targetILNS1_3genE0ELNS1_11target_archE4294967295ELNS1_3gpuE0ELNS1_3repE0EEENS1_30default_config_static_selectorELNS0_4arch9wavefront6targetE1EEEvT1_
		.amdhsa_group_segment_fixed_size 5128
		.amdhsa_private_segment_fixed_size 0
		.amdhsa_kernarg_size 120
		.amdhsa_user_sgpr_count 2
		.amdhsa_user_sgpr_dispatch_ptr 0
		.amdhsa_user_sgpr_queue_ptr 0
		.amdhsa_user_sgpr_kernarg_segment_ptr 1
		.amdhsa_user_sgpr_dispatch_id 0
		.amdhsa_user_sgpr_kernarg_preload_length 0
		.amdhsa_user_sgpr_kernarg_preload_offset 0
		.amdhsa_user_sgpr_private_segment_size 0
		.amdhsa_uses_dynamic_stack 0
		.amdhsa_enable_private_segment 0
		.amdhsa_system_sgpr_workgroup_id_x 1
		.amdhsa_system_sgpr_workgroup_id_y 0
		.amdhsa_system_sgpr_workgroup_id_z 0
		.amdhsa_system_sgpr_workgroup_info 0
		.amdhsa_system_vgpr_workitem_id 0
		.amdhsa_next_free_vgpr 60
		.amdhsa_next_free_sgpr 46
		.amdhsa_accum_offset 60
		.amdhsa_reserve_vcc 1
		.amdhsa_float_round_mode_32 0
		.amdhsa_float_round_mode_16_64 0
		.amdhsa_float_denorm_mode_32 3
		.amdhsa_float_denorm_mode_16_64 3
		.amdhsa_dx10_clamp 1
		.amdhsa_ieee_mode 1
		.amdhsa_fp16_overflow 0
		.amdhsa_tg_split 0
		.amdhsa_exception_fp_ieee_invalid_op 0
		.amdhsa_exception_fp_denorm_src 0
		.amdhsa_exception_fp_ieee_div_zero 0
		.amdhsa_exception_fp_ieee_overflow 0
		.amdhsa_exception_fp_ieee_underflow 0
		.amdhsa_exception_fp_ieee_inexact 0
		.amdhsa_exception_int_div_zero 0
	.end_amdhsa_kernel
	.section	.text._ZN7rocprim17ROCPRIM_400000_NS6detail17trampoline_kernelINS0_14default_configENS1_25partition_config_selectorILNS1_17partition_subalgoE9EllbEEZZNS1_14partition_implILS5_9ELb0ES3_jPlS8_PNS0_10empty_typeENS0_5tupleIJS8_S9_EEENSB_IJS8_SA_EEENS0_18inequality_wrapperIZN2at6native12_GLOBAL__N_124unique_dim_cuda_templateIiEESt5tupleIJNSF_6TensorESK_SK_EERKSK_lbbbEUlllE0_EEPmJS9_EEE10hipError_tPvRmT3_T4_T5_T6_T7_T9_mT8_P12ihipStream_tbDpT10_ENKUlT_T0_E_clISt17integral_constantIbLb0EES1A_EEDaS15_S16_EUlS15_E_NS1_11comp_targetILNS1_3genE0ELNS1_11target_archE4294967295ELNS1_3gpuE0ELNS1_3repE0EEENS1_30default_config_static_selectorELNS0_4arch9wavefront6targetE1EEEvT1_,"axG",@progbits,_ZN7rocprim17ROCPRIM_400000_NS6detail17trampoline_kernelINS0_14default_configENS1_25partition_config_selectorILNS1_17partition_subalgoE9EllbEEZZNS1_14partition_implILS5_9ELb0ES3_jPlS8_PNS0_10empty_typeENS0_5tupleIJS8_S9_EEENSB_IJS8_SA_EEENS0_18inequality_wrapperIZN2at6native12_GLOBAL__N_124unique_dim_cuda_templateIiEESt5tupleIJNSF_6TensorESK_SK_EERKSK_lbbbEUlllE0_EEPmJS9_EEE10hipError_tPvRmT3_T4_T5_T6_T7_T9_mT8_P12ihipStream_tbDpT10_ENKUlT_T0_E_clISt17integral_constantIbLb0EES1A_EEDaS15_S16_EUlS15_E_NS1_11comp_targetILNS1_3genE0ELNS1_11target_archE4294967295ELNS1_3gpuE0ELNS1_3repE0EEENS1_30default_config_static_selectorELNS0_4arch9wavefront6targetE1EEEvT1_,comdat
.Lfunc_end473:
	.size	_ZN7rocprim17ROCPRIM_400000_NS6detail17trampoline_kernelINS0_14default_configENS1_25partition_config_selectorILNS1_17partition_subalgoE9EllbEEZZNS1_14partition_implILS5_9ELb0ES3_jPlS8_PNS0_10empty_typeENS0_5tupleIJS8_S9_EEENSB_IJS8_SA_EEENS0_18inequality_wrapperIZN2at6native12_GLOBAL__N_124unique_dim_cuda_templateIiEESt5tupleIJNSF_6TensorESK_SK_EERKSK_lbbbEUlllE0_EEPmJS9_EEE10hipError_tPvRmT3_T4_T5_T6_T7_T9_mT8_P12ihipStream_tbDpT10_ENKUlT_T0_E_clISt17integral_constantIbLb0EES1A_EEDaS15_S16_EUlS15_E_NS1_11comp_targetILNS1_3genE0ELNS1_11target_archE4294967295ELNS1_3gpuE0ELNS1_3repE0EEENS1_30default_config_static_selectorELNS0_4arch9wavefront6targetE1EEEvT1_, .Lfunc_end473-_ZN7rocprim17ROCPRIM_400000_NS6detail17trampoline_kernelINS0_14default_configENS1_25partition_config_selectorILNS1_17partition_subalgoE9EllbEEZZNS1_14partition_implILS5_9ELb0ES3_jPlS8_PNS0_10empty_typeENS0_5tupleIJS8_S9_EEENSB_IJS8_SA_EEENS0_18inequality_wrapperIZN2at6native12_GLOBAL__N_124unique_dim_cuda_templateIiEESt5tupleIJNSF_6TensorESK_SK_EERKSK_lbbbEUlllE0_EEPmJS9_EEE10hipError_tPvRmT3_T4_T5_T6_T7_T9_mT8_P12ihipStream_tbDpT10_ENKUlT_T0_E_clISt17integral_constantIbLb0EES1A_EEDaS15_S16_EUlS15_E_NS1_11comp_targetILNS1_3genE0ELNS1_11target_archE4294967295ELNS1_3gpuE0ELNS1_3repE0EEENS1_30default_config_static_selectorELNS0_4arch9wavefront6targetE1EEEvT1_
                                        ; -- End function
	.set _ZN7rocprim17ROCPRIM_400000_NS6detail17trampoline_kernelINS0_14default_configENS1_25partition_config_selectorILNS1_17partition_subalgoE9EllbEEZZNS1_14partition_implILS5_9ELb0ES3_jPlS8_PNS0_10empty_typeENS0_5tupleIJS8_S9_EEENSB_IJS8_SA_EEENS0_18inequality_wrapperIZN2at6native12_GLOBAL__N_124unique_dim_cuda_templateIiEESt5tupleIJNSF_6TensorESK_SK_EERKSK_lbbbEUlllE0_EEPmJS9_EEE10hipError_tPvRmT3_T4_T5_T6_T7_T9_mT8_P12ihipStream_tbDpT10_ENKUlT_T0_E_clISt17integral_constantIbLb0EES1A_EEDaS15_S16_EUlS15_E_NS1_11comp_targetILNS1_3genE0ELNS1_11target_archE4294967295ELNS1_3gpuE0ELNS1_3repE0EEENS1_30default_config_static_selectorELNS0_4arch9wavefront6targetE1EEEvT1_.num_vgpr, 60
	.set _ZN7rocprim17ROCPRIM_400000_NS6detail17trampoline_kernelINS0_14default_configENS1_25partition_config_selectorILNS1_17partition_subalgoE9EllbEEZZNS1_14partition_implILS5_9ELb0ES3_jPlS8_PNS0_10empty_typeENS0_5tupleIJS8_S9_EEENSB_IJS8_SA_EEENS0_18inequality_wrapperIZN2at6native12_GLOBAL__N_124unique_dim_cuda_templateIiEESt5tupleIJNSF_6TensorESK_SK_EERKSK_lbbbEUlllE0_EEPmJS9_EEE10hipError_tPvRmT3_T4_T5_T6_T7_T9_mT8_P12ihipStream_tbDpT10_ENKUlT_T0_E_clISt17integral_constantIbLb0EES1A_EEDaS15_S16_EUlS15_E_NS1_11comp_targetILNS1_3genE0ELNS1_11target_archE4294967295ELNS1_3gpuE0ELNS1_3repE0EEENS1_30default_config_static_selectorELNS0_4arch9wavefront6targetE1EEEvT1_.num_agpr, 0
	.set _ZN7rocprim17ROCPRIM_400000_NS6detail17trampoline_kernelINS0_14default_configENS1_25partition_config_selectorILNS1_17partition_subalgoE9EllbEEZZNS1_14partition_implILS5_9ELb0ES3_jPlS8_PNS0_10empty_typeENS0_5tupleIJS8_S9_EEENSB_IJS8_SA_EEENS0_18inequality_wrapperIZN2at6native12_GLOBAL__N_124unique_dim_cuda_templateIiEESt5tupleIJNSF_6TensorESK_SK_EERKSK_lbbbEUlllE0_EEPmJS9_EEE10hipError_tPvRmT3_T4_T5_T6_T7_T9_mT8_P12ihipStream_tbDpT10_ENKUlT_T0_E_clISt17integral_constantIbLb0EES1A_EEDaS15_S16_EUlS15_E_NS1_11comp_targetILNS1_3genE0ELNS1_11target_archE4294967295ELNS1_3gpuE0ELNS1_3repE0EEENS1_30default_config_static_selectorELNS0_4arch9wavefront6targetE1EEEvT1_.numbered_sgpr, 46
	.set _ZN7rocprim17ROCPRIM_400000_NS6detail17trampoline_kernelINS0_14default_configENS1_25partition_config_selectorILNS1_17partition_subalgoE9EllbEEZZNS1_14partition_implILS5_9ELb0ES3_jPlS8_PNS0_10empty_typeENS0_5tupleIJS8_S9_EEENSB_IJS8_SA_EEENS0_18inequality_wrapperIZN2at6native12_GLOBAL__N_124unique_dim_cuda_templateIiEESt5tupleIJNSF_6TensorESK_SK_EERKSK_lbbbEUlllE0_EEPmJS9_EEE10hipError_tPvRmT3_T4_T5_T6_T7_T9_mT8_P12ihipStream_tbDpT10_ENKUlT_T0_E_clISt17integral_constantIbLb0EES1A_EEDaS15_S16_EUlS15_E_NS1_11comp_targetILNS1_3genE0ELNS1_11target_archE4294967295ELNS1_3gpuE0ELNS1_3repE0EEENS1_30default_config_static_selectorELNS0_4arch9wavefront6targetE1EEEvT1_.num_named_barrier, 0
	.set _ZN7rocprim17ROCPRIM_400000_NS6detail17trampoline_kernelINS0_14default_configENS1_25partition_config_selectorILNS1_17partition_subalgoE9EllbEEZZNS1_14partition_implILS5_9ELb0ES3_jPlS8_PNS0_10empty_typeENS0_5tupleIJS8_S9_EEENSB_IJS8_SA_EEENS0_18inequality_wrapperIZN2at6native12_GLOBAL__N_124unique_dim_cuda_templateIiEESt5tupleIJNSF_6TensorESK_SK_EERKSK_lbbbEUlllE0_EEPmJS9_EEE10hipError_tPvRmT3_T4_T5_T6_T7_T9_mT8_P12ihipStream_tbDpT10_ENKUlT_T0_E_clISt17integral_constantIbLb0EES1A_EEDaS15_S16_EUlS15_E_NS1_11comp_targetILNS1_3genE0ELNS1_11target_archE4294967295ELNS1_3gpuE0ELNS1_3repE0EEENS1_30default_config_static_selectorELNS0_4arch9wavefront6targetE1EEEvT1_.private_seg_size, 0
	.set _ZN7rocprim17ROCPRIM_400000_NS6detail17trampoline_kernelINS0_14default_configENS1_25partition_config_selectorILNS1_17partition_subalgoE9EllbEEZZNS1_14partition_implILS5_9ELb0ES3_jPlS8_PNS0_10empty_typeENS0_5tupleIJS8_S9_EEENSB_IJS8_SA_EEENS0_18inequality_wrapperIZN2at6native12_GLOBAL__N_124unique_dim_cuda_templateIiEESt5tupleIJNSF_6TensorESK_SK_EERKSK_lbbbEUlllE0_EEPmJS9_EEE10hipError_tPvRmT3_T4_T5_T6_T7_T9_mT8_P12ihipStream_tbDpT10_ENKUlT_T0_E_clISt17integral_constantIbLb0EES1A_EEDaS15_S16_EUlS15_E_NS1_11comp_targetILNS1_3genE0ELNS1_11target_archE4294967295ELNS1_3gpuE0ELNS1_3repE0EEENS1_30default_config_static_selectorELNS0_4arch9wavefront6targetE1EEEvT1_.uses_vcc, 1
	.set _ZN7rocprim17ROCPRIM_400000_NS6detail17trampoline_kernelINS0_14default_configENS1_25partition_config_selectorILNS1_17partition_subalgoE9EllbEEZZNS1_14partition_implILS5_9ELb0ES3_jPlS8_PNS0_10empty_typeENS0_5tupleIJS8_S9_EEENSB_IJS8_SA_EEENS0_18inequality_wrapperIZN2at6native12_GLOBAL__N_124unique_dim_cuda_templateIiEESt5tupleIJNSF_6TensorESK_SK_EERKSK_lbbbEUlllE0_EEPmJS9_EEE10hipError_tPvRmT3_T4_T5_T6_T7_T9_mT8_P12ihipStream_tbDpT10_ENKUlT_T0_E_clISt17integral_constantIbLb0EES1A_EEDaS15_S16_EUlS15_E_NS1_11comp_targetILNS1_3genE0ELNS1_11target_archE4294967295ELNS1_3gpuE0ELNS1_3repE0EEENS1_30default_config_static_selectorELNS0_4arch9wavefront6targetE1EEEvT1_.uses_flat_scratch, 0
	.set _ZN7rocprim17ROCPRIM_400000_NS6detail17trampoline_kernelINS0_14default_configENS1_25partition_config_selectorILNS1_17partition_subalgoE9EllbEEZZNS1_14partition_implILS5_9ELb0ES3_jPlS8_PNS0_10empty_typeENS0_5tupleIJS8_S9_EEENSB_IJS8_SA_EEENS0_18inequality_wrapperIZN2at6native12_GLOBAL__N_124unique_dim_cuda_templateIiEESt5tupleIJNSF_6TensorESK_SK_EERKSK_lbbbEUlllE0_EEPmJS9_EEE10hipError_tPvRmT3_T4_T5_T6_T7_T9_mT8_P12ihipStream_tbDpT10_ENKUlT_T0_E_clISt17integral_constantIbLb0EES1A_EEDaS15_S16_EUlS15_E_NS1_11comp_targetILNS1_3genE0ELNS1_11target_archE4294967295ELNS1_3gpuE0ELNS1_3repE0EEENS1_30default_config_static_selectorELNS0_4arch9wavefront6targetE1EEEvT1_.has_dyn_sized_stack, 0
	.set _ZN7rocprim17ROCPRIM_400000_NS6detail17trampoline_kernelINS0_14default_configENS1_25partition_config_selectorILNS1_17partition_subalgoE9EllbEEZZNS1_14partition_implILS5_9ELb0ES3_jPlS8_PNS0_10empty_typeENS0_5tupleIJS8_S9_EEENSB_IJS8_SA_EEENS0_18inequality_wrapperIZN2at6native12_GLOBAL__N_124unique_dim_cuda_templateIiEESt5tupleIJNSF_6TensorESK_SK_EERKSK_lbbbEUlllE0_EEPmJS9_EEE10hipError_tPvRmT3_T4_T5_T6_T7_T9_mT8_P12ihipStream_tbDpT10_ENKUlT_T0_E_clISt17integral_constantIbLb0EES1A_EEDaS15_S16_EUlS15_E_NS1_11comp_targetILNS1_3genE0ELNS1_11target_archE4294967295ELNS1_3gpuE0ELNS1_3repE0EEENS1_30default_config_static_selectorELNS0_4arch9wavefront6targetE1EEEvT1_.has_recursion, 0
	.set _ZN7rocprim17ROCPRIM_400000_NS6detail17trampoline_kernelINS0_14default_configENS1_25partition_config_selectorILNS1_17partition_subalgoE9EllbEEZZNS1_14partition_implILS5_9ELb0ES3_jPlS8_PNS0_10empty_typeENS0_5tupleIJS8_S9_EEENSB_IJS8_SA_EEENS0_18inequality_wrapperIZN2at6native12_GLOBAL__N_124unique_dim_cuda_templateIiEESt5tupleIJNSF_6TensorESK_SK_EERKSK_lbbbEUlllE0_EEPmJS9_EEE10hipError_tPvRmT3_T4_T5_T6_T7_T9_mT8_P12ihipStream_tbDpT10_ENKUlT_T0_E_clISt17integral_constantIbLb0EES1A_EEDaS15_S16_EUlS15_E_NS1_11comp_targetILNS1_3genE0ELNS1_11target_archE4294967295ELNS1_3gpuE0ELNS1_3repE0EEENS1_30default_config_static_selectorELNS0_4arch9wavefront6targetE1EEEvT1_.has_indirect_call, 0
	.section	.AMDGPU.csdata,"",@progbits
; Kernel info:
; codeLenInByte = 9496
; TotalNumSgprs: 52
; NumVgprs: 60
; NumAgprs: 0
; TotalNumVgprs: 60
; ScratchSize: 0
; MemoryBound: 0
; FloatMode: 240
; IeeeMode: 1
; LDSByteSize: 5128 bytes/workgroup (compile time only)
; SGPRBlocks: 6
; VGPRBlocks: 7
; NumSGPRsForWavesPerEU: 52
; NumVGPRsForWavesPerEU: 60
; AccumOffset: 60
; Occupancy: 8
; WaveLimiterHint : 1
; COMPUTE_PGM_RSRC2:SCRATCH_EN: 0
; COMPUTE_PGM_RSRC2:USER_SGPR: 2
; COMPUTE_PGM_RSRC2:TRAP_HANDLER: 0
; COMPUTE_PGM_RSRC2:TGID_X_EN: 1
; COMPUTE_PGM_RSRC2:TGID_Y_EN: 0
; COMPUTE_PGM_RSRC2:TGID_Z_EN: 0
; COMPUTE_PGM_RSRC2:TIDIG_COMP_CNT: 0
; COMPUTE_PGM_RSRC3_GFX90A:ACCUM_OFFSET: 14
; COMPUTE_PGM_RSRC3_GFX90A:TG_SPLIT: 0
	.section	.text._ZN7rocprim17ROCPRIM_400000_NS6detail17trampoline_kernelINS0_14default_configENS1_25partition_config_selectorILNS1_17partition_subalgoE9EllbEEZZNS1_14partition_implILS5_9ELb0ES3_jPlS8_PNS0_10empty_typeENS0_5tupleIJS8_S9_EEENSB_IJS8_SA_EEENS0_18inequality_wrapperIZN2at6native12_GLOBAL__N_124unique_dim_cuda_templateIiEESt5tupleIJNSF_6TensorESK_SK_EERKSK_lbbbEUlllE0_EEPmJS9_EEE10hipError_tPvRmT3_T4_T5_T6_T7_T9_mT8_P12ihipStream_tbDpT10_ENKUlT_T0_E_clISt17integral_constantIbLb0EES1A_EEDaS15_S16_EUlS15_E_NS1_11comp_targetILNS1_3genE5ELNS1_11target_archE942ELNS1_3gpuE9ELNS1_3repE0EEENS1_30default_config_static_selectorELNS0_4arch9wavefront6targetE1EEEvT1_,"axG",@progbits,_ZN7rocprim17ROCPRIM_400000_NS6detail17trampoline_kernelINS0_14default_configENS1_25partition_config_selectorILNS1_17partition_subalgoE9EllbEEZZNS1_14partition_implILS5_9ELb0ES3_jPlS8_PNS0_10empty_typeENS0_5tupleIJS8_S9_EEENSB_IJS8_SA_EEENS0_18inequality_wrapperIZN2at6native12_GLOBAL__N_124unique_dim_cuda_templateIiEESt5tupleIJNSF_6TensorESK_SK_EERKSK_lbbbEUlllE0_EEPmJS9_EEE10hipError_tPvRmT3_T4_T5_T6_T7_T9_mT8_P12ihipStream_tbDpT10_ENKUlT_T0_E_clISt17integral_constantIbLb0EES1A_EEDaS15_S16_EUlS15_E_NS1_11comp_targetILNS1_3genE5ELNS1_11target_archE942ELNS1_3gpuE9ELNS1_3repE0EEENS1_30default_config_static_selectorELNS0_4arch9wavefront6targetE1EEEvT1_,comdat
	.globl	_ZN7rocprim17ROCPRIM_400000_NS6detail17trampoline_kernelINS0_14default_configENS1_25partition_config_selectorILNS1_17partition_subalgoE9EllbEEZZNS1_14partition_implILS5_9ELb0ES3_jPlS8_PNS0_10empty_typeENS0_5tupleIJS8_S9_EEENSB_IJS8_SA_EEENS0_18inequality_wrapperIZN2at6native12_GLOBAL__N_124unique_dim_cuda_templateIiEESt5tupleIJNSF_6TensorESK_SK_EERKSK_lbbbEUlllE0_EEPmJS9_EEE10hipError_tPvRmT3_T4_T5_T6_T7_T9_mT8_P12ihipStream_tbDpT10_ENKUlT_T0_E_clISt17integral_constantIbLb0EES1A_EEDaS15_S16_EUlS15_E_NS1_11comp_targetILNS1_3genE5ELNS1_11target_archE942ELNS1_3gpuE9ELNS1_3repE0EEENS1_30default_config_static_selectorELNS0_4arch9wavefront6targetE1EEEvT1_ ; -- Begin function _ZN7rocprim17ROCPRIM_400000_NS6detail17trampoline_kernelINS0_14default_configENS1_25partition_config_selectorILNS1_17partition_subalgoE9EllbEEZZNS1_14partition_implILS5_9ELb0ES3_jPlS8_PNS0_10empty_typeENS0_5tupleIJS8_S9_EEENSB_IJS8_SA_EEENS0_18inequality_wrapperIZN2at6native12_GLOBAL__N_124unique_dim_cuda_templateIiEESt5tupleIJNSF_6TensorESK_SK_EERKSK_lbbbEUlllE0_EEPmJS9_EEE10hipError_tPvRmT3_T4_T5_T6_T7_T9_mT8_P12ihipStream_tbDpT10_ENKUlT_T0_E_clISt17integral_constantIbLb0EES1A_EEDaS15_S16_EUlS15_E_NS1_11comp_targetILNS1_3genE5ELNS1_11target_archE942ELNS1_3gpuE9ELNS1_3repE0EEENS1_30default_config_static_selectorELNS0_4arch9wavefront6targetE1EEEvT1_
	.p2align	8
	.type	_ZN7rocprim17ROCPRIM_400000_NS6detail17trampoline_kernelINS0_14default_configENS1_25partition_config_selectorILNS1_17partition_subalgoE9EllbEEZZNS1_14partition_implILS5_9ELb0ES3_jPlS8_PNS0_10empty_typeENS0_5tupleIJS8_S9_EEENSB_IJS8_SA_EEENS0_18inequality_wrapperIZN2at6native12_GLOBAL__N_124unique_dim_cuda_templateIiEESt5tupleIJNSF_6TensorESK_SK_EERKSK_lbbbEUlllE0_EEPmJS9_EEE10hipError_tPvRmT3_T4_T5_T6_T7_T9_mT8_P12ihipStream_tbDpT10_ENKUlT_T0_E_clISt17integral_constantIbLb0EES1A_EEDaS15_S16_EUlS15_E_NS1_11comp_targetILNS1_3genE5ELNS1_11target_archE942ELNS1_3gpuE9ELNS1_3repE0EEENS1_30default_config_static_selectorELNS0_4arch9wavefront6targetE1EEEvT1_,@function
_ZN7rocprim17ROCPRIM_400000_NS6detail17trampoline_kernelINS0_14default_configENS1_25partition_config_selectorILNS1_17partition_subalgoE9EllbEEZZNS1_14partition_implILS5_9ELb0ES3_jPlS8_PNS0_10empty_typeENS0_5tupleIJS8_S9_EEENSB_IJS8_SA_EEENS0_18inequality_wrapperIZN2at6native12_GLOBAL__N_124unique_dim_cuda_templateIiEESt5tupleIJNSF_6TensorESK_SK_EERKSK_lbbbEUlllE0_EEPmJS9_EEE10hipError_tPvRmT3_T4_T5_T6_T7_T9_mT8_P12ihipStream_tbDpT10_ENKUlT_T0_E_clISt17integral_constantIbLb0EES1A_EEDaS15_S16_EUlS15_E_NS1_11comp_targetILNS1_3genE5ELNS1_11target_archE942ELNS1_3gpuE9ELNS1_3repE0EEENS1_30default_config_static_selectorELNS0_4arch9wavefront6targetE1EEEvT1_: ; @_ZN7rocprim17ROCPRIM_400000_NS6detail17trampoline_kernelINS0_14default_configENS1_25partition_config_selectorILNS1_17partition_subalgoE9EllbEEZZNS1_14partition_implILS5_9ELb0ES3_jPlS8_PNS0_10empty_typeENS0_5tupleIJS8_S9_EEENSB_IJS8_SA_EEENS0_18inequality_wrapperIZN2at6native12_GLOBAL__N_124unique_dim_cuda_templateIiEESt5tupleIJNSF_6TensorESK_SK_EERKSK_lbbbEUlllE0_EEPmJS9_EEE10hipError_tPvRmT3_T4_T5_T6_T7_T9_mT8_P12ihipStream_tbDpT10_ENKUlT_T0_E_clISt17integral_constantIbLb0EES1A_EEDaS15_S16_EUlS15_E_NS1_11comp_targetILNS1_3genE5ELNS1_11target_archE942ELNS1_3gpuE9ELNS1_3repE0EEENS1_30default_config_static_selectorELNS0_4arch9wavefront6targetE1EEEvT1_
; %bb.0:
	.section	.rodata,"a",@progbits
	.p2align	6, 0x0
	.amdhsa_kernel _ZN7rocprim17ROCPRIM_400000_NS6detail17trampoline_kernelINS0_14default_configENS1_25partition_config_selectorILNS1_17partition_subalgoE9EllbEEZZNS1_14partition_implILS5_9ELb0ES3_jPlS8_PNS0_10empty_typeENS0_5tupleIJS8_S9_EEENSB_IJS8_SA_EEENS0_18inequality_wrapperIZN2at6native12_GLOBAL__N_124unique_dim_cuda_templateIiEESt5tupleIJNSF_6TensorESK_SK_EERKSK_lbbbEUlllE0_EEPmJS9_EEE10hipError_tPvRmT3_T4_T5_T6_T7_T9_mT8_P12ihipStream_tbDpT10_ENKUlT_T0_E_clISt17integral_constantIbLb0EES1A_EEDaS15_S16_EUlS15_E_NS1_11comp_targetILNS1_3genE5ELNS1_11target_archE942ELNS1_3gpuE9ELNS1_3repE0EEENS1_30default_config_static_selectorELNS0_4arch9wavefront6targetE1EEEvT1_
		.amdhsa_group_segment_fixed_size 0
		.amdhsa_private_segment_fixed_size 0
		.amdhsa_kernarg_size 120
		.amdhsa_user_sgpr_count 2
		.amdhsa_user_sgpr_dispatch_ptr 0
		.amdhsa_user_sgpr_queue_ptr 0
		.amdhsa_user_sgpr_kernarg_segment_ptr 1
		.amdhsa_user_sgpr_dispatch_id 0
		.amdhsa_user_sgpr_kernarg_preload_length 0
		.amdhsa_user_sgpr_kernarg_preload_offset 0
		.amdhsa_user_sgpr_private_segment_size 0
		.amdhsa_uses_dynamic_stack 0
		.amdhsa_enable_private_segment 0
		.amdhsa_system_sgpr_workgroup_id_x 1
		.amdhsa_system_sgpr_workgroup_id_y 0
		.amdhsa_system_sgpr_workgroup_id_z 0
		.amdhsa_system_sgpr_workgroup_info 0
		.amdhsa_system_vgpr_workitem_id 0
		.amdhsa_next_free_vgpr 1
		.amdhsa_next_free_sgpr 0
		.amdhsa_accum_offset 4
		.amdhsa_reserve_vcc 0
		.amdhsa_float_round_mode_32 0
		.amdhsa_float_round_mode_16_64 0
		.amdhsa_float_denorm_mode_32 3
		.amdhsa_float_denorm_mode_16_64 3
		.amdhsa_dx10_clamp 1
		.amdhsa_ieee_mode 1
		.amdhsa_fp16_overflow 0
		.amdhsa_tg_split 0
		.amdhsa_exception_fp_ieee_invalid_op 0
		.amdhsa_exception_fp_denorm_src 0
		.amdhsa_exception_fp_ieee_div_zero 0
		.amdhsa_exception_fp_ieee_overflow 0
		.amdhsa_exception_fp_ieee_underflow 0
		.amdhsa_exception_fp_ieee_inexact 0
		.amdhsa_exception_int_div_zero 0
	.end_amdhsa_kernel
	.section	.text._ZN7rocprim17ROCPRIM_400000_NS6detail17trampoline_kernelINS0_14default_configENS1_25partition_config_selectorILNS1_17partition_subalgoE9EllbEEZZNS1_14partition_implILS5_9ELb0ES3_jPlS8_PNS0_10empty_typeENS0_5tupleIJS8_S9_EEENSB_IJS8_SA_EEENS0_18inequality_wrapperIZN2at6native12_GLOBAL__N_124unique_dim_cuda_templateIiEESt5tupleIJNSF_6TensorESK_SK_EERKSK_lbbbEUlllE0_EEPmJS9_EEE10hipError_tPvRmT3_T4_T5_T6_T7_T9_mT8_P12ihipStream_tbDpT10_ENKUlT_T0_E_clISt17integral_constantIbLb0EES1A_EEDaS15_S16_EUlS15_E_NS1_11comp_targetILNS1_3genE5ELNS1_11target_archE942ELNS1_3gpuE9ELNS1_3repE0EEENS1_30default_config_static_selectorELNS0_4arch9wavefront6targetE1EEEvT1_,"axG",@progbits,_ZN7rocprim17ROCPRIM_400000_NS6detail17trampoline_kernelINS0_14default_configENS1_25partition_config_selectorILNS1_17partition_subalgoE9EllbEEZZNS1_14partition_implILS5_9ELb0ES3_jPlS8_PNS0_10empty_typeENS0_5tupleIJS8_S9_EEENSB_IJS8_SA_EEENS0_18inequality_wrapperIZN2at6native12_GLOBAL__N_124unique_dim_cuda_templateIiEESt5tupleIJNSF_6TensorESK_SK_EERKSK_lbbbEUlllE0_EEPmJS9_EEE10hipError_tPvRmT3_T4_T5_T6_T7_T9_mT8_P12ihipStream_tbDpT10_ENKUlT_T0_E_clISt17integral_constantIbLb0EES1A_EEDaS15_S16_EUlS15_E_NS1_11comp_targetILNS1_3genE5ELNS1_11target_archE942ELNS1_3gpuE9ELNS1_3repE0EEENS1_30default_config_static_selectorELNS0_4arch9wavefront6targetE1EEEvT1_,comdat
.Lfunc_end474:
	.size	_ZN7rocprim17ROCPRIM_400000_NS6detail17trampoline_kernelINS0_14default_configENS1_25partition_config_selectorILNS1_17partition_subalgoE9EllbEEZZNS1_14partition_implILS5_9ELb0ES3_jPlS8_PNS0_10empty_typeENS0_5tupleIJS8_S9_EEENSB_IJS8_SA_EEENS0_18inequality_wrapperIZN2at6native12_GLOBAL__N_124unique_dim_cuda_templateIiEESt5tupleIJNSF_6TensorESK_SK_EERKSK_lbbbEUlllE0_EEPmJS9_EEE10hipError_tPvRmT3_T4_T5_T6_T7_T9_mT8_P12ihipStream_tbDpT10_ENKUlT_T0_E_clISt17integral_constantIbLb0EES1A_EEDaS15_S16_EUlS15_E_NS1_11comp_targetILNS1_3genE5ELNS1_11target_archE942ELNS1_3gpuE9ELNS1_3repE0EEENS1_30default_config_static_selectorELNS0_4arch9wavefront6targetE1EEEvT1_, .Lfunc_end474-_ZN7rocprim17ROCPRIM_400000_NS6detail17trampoline_kernelINS0_14default_configENS1_25partition_config_selectorILNS1_17partition_subalgoE9EllbEEZZNS1_14partition_implILS5_9ELb0ES3_jPlS8_PNS0_10empty_typeENS0_5tupleIJS8_S9_EEENSB_IJS8_SA_EEENS0_18inequality_wrapperIZN2at6native12_GLOBAL__N_124unique_dim_cuda_templateIiEESt5tupleIJNSF_6TensorESK_SK_EERKSK_lbbbEUlllE0_EEPmJS9_EEE10hipError_tPvRmT3_T4_T5_T6_T7_T9_mT8_P12ihipStream_tbDpT10_ENKUlT_T0_E_clISt17integral_constantIbLb0EES1A_EEDaS15_S16_EUlS15_E_NS1_11comp_targetILNS1_3genE5ELNS1_11target_archE942ELNS1_3gpuE9ELNS1_3repE0EEENS1_30default_config_static_selectorELNS0_4arch9wavefront6targetE1EEEvT1_
                                        ; -- End function
	.set _ZN7rocprim17ROCPRIM_400000_NS6detail17trampoline_kernelINS0_14default_configENS1_25partition_config_selectorILNS1_17partition_subalgoE9EllbEEZZNS1_14partition_implILS5_9ELb0ES3_jPlS8_PNS0_10empty_typeENS0_5tupleIJS8_S9_EEENSB_IJS8_SA_EEENS0_18inequality_wrapperIZN2at6native12_GLOBAL__N_124unique_dim_cuda_templateIiEESt5tupleIJNSF_6TensorESK_SK_EERKSK_lbbbEUlllE0_EEPmJS9_EEE10hipError_tPvRmT3_T4_T5_T6_T7_T9_mT8_P12ihipStream_tbDpT10_ENKUlT_T0_E_clISt17integral_constantIbLb0EES1A_EEDaS15_S16_EUlS15_E_NS1_11comp_targetILNS1_3genE5ELNS1_11target_archE942ELNS1_3gpuE9ELNS1_3repE0EEENS1_30default_config_static_selectorELNS0_4arch9wavefront6targetE1EEEvT1_.num_vgpr, 0
	.set _ZN7rocprim17ROCPRIM_400000_NS6detail17trampoline_kernelINS0_14default_configENS1_25partition_config_selectorILNS1_17partition_subalgoE9EllbEEZZNS1_14partition_implILS5_9ELb0ES3_jPlS8_PNS0_10empty_typeENS0_5tupleIJS8_S9_EEENSB_IJS8_SA_EEENS0_18inequality_wrapperIZN2at6native12_GLOBAL__N_124unique_dim_cuda_templateIiEESt5tupleIJNSF_6TensorESK_SK_EERKSK_lbbbEUlllE0_EEPmJS9_EEE10hipError_tPvRmT3_T4_T5_T6_T7_T9_mT8_P12ihipStream_tbDpT10_ENKUlT_T0_E_clISt17integral_constantIbLb0EES1A_EEDaS15_S16_EUlS15_E_NS1_11comp_targetILNS1_3genE5ELNS1_11target_archE942ELNS1_3gpuE9ELNS1_3repE0EEENS1_30default_config_static_selectorELNS0_4arch9wavefront6targetE1EEEvT1_.num_agpr, 0
	.set _ZN7rocprim17ROCPRIM_400000_NS6detail17trampoline_kernelINS0_14default_configENS1_25partition_config_selectorILNS1_17partition_subalgoE9EllbEEZZNS1_14partition_implILS5_9ELb0ES3_jPlS8_PNS0_10empty_typeENS0_5tupleIJS8_S9_EEENSB_IJS8_SA_EEENS0_18inequality_wrapperIZN2at6native12_GLOBAL__N_124unique_dim_cuda_templateIiEESt5tupleIJNSF_6TensorESK_SK_EERKSK_lbbbEUlllE0_EEPmJS9_EEE10hipError_tPvRmT3_T4_T5_T6_T7_T9_mT8_P12ihipStream_tbDpT10_ENKUlT_T0_E_clISt17integral_constantIbLb0EES1A_EEDaS15_S16_EUlS15_E_NS1_11comp_targetILNS1_3genE5ELNS1_11target_archE942ELNS1_3gpuE9ELNS1_3repE0EEENS1_30default_config_static_selectorELNS0_4arch9wavefront6targetE1EEEvT1_.numbered_sgpr, 0
	.set _ZN7rocprim17ROCPRIM_400000_NS6detail17trampoline_kernelINS0_14default_configENS1_25partition_config_selectorILNS1_17partition_subalgoE9EllbEEZZNS1_14partition_implILS5_9ELb0ES3_jPlS8_PNS0_10empty_typeENS0_5tupleIJS8_S9_EEENSB_IJS8_SA_EEENS0_18inequality_wrapperIZN2at6native12_GLOBAL__N_124unique_dim_cuda_templateIiEESt5tupleIJNSF_6TensorESK_SK_EERKSK_lbbbEUlllE0_EEPmJS9_EEE10hipError_tPvRmT3_T4_T5_T6_T7_T9_mT8_P12ihipStream_tbDpT10_ENKUlT_T0_E_clISt17integral_constantIbLb0EES1A_EEDaS15_S16_EUlS15_E_NS1_11comp_targetILNS1_3genE5ELNS1_11target_archE942ELNS1_3gpuE9ELNS1_3repE0EEENS1_30default_config_static_selectorELNS0_4arch9wavefront6targetE1EEEvT1_.num_named_barrier, 0
	.set _ZN7rocprim17ROCPRIM_400000_NS6detail17trampoline_kernelINS0_14default_configENS1_25partition_config_selectorILNS1_17partition_subalgoE9EllbEEZZNS1_14partition_implILS5_9ELb0ES3_jPlS8_PNS0_10empty_typeENS0_5tupleIJS8_S9_EEENSB_IJS8_SA_EEENS0_18inequality_wrapperIZN2at6native12_GLOBAL__N_124unique_dim_cuda_templateIiEESt5tupleIJNSF_6TensorESK_SK_EERKSK_lbbbEUlllE0_EEPmJS9_EEE10hipError_tPvRmT3_T4_T5_T6_T7_T9_mT8_P12ihipStream_tbDpT10_ENKUlT_T0_E_clISt17integral_constantIbLb0EES1A_EEDaS15_S16_EUlS15_E_NS1_11comp_targetILNS1_3genE5ELNS1_11target_archE942ELNS1_3gpuE9ELNS1_3repE0EEENS1_30default_config_static_selectorELNS0_4arch9wavefront6targetE1EEEvT1_.private_seg_size, 0
	.set _ZN7rocprim17ROCPRIM_400000_NS6detail17trampoline_kernelINS0_14default_configENS1_25partition_config_selectorILNS1_17partition_subalgoE9EllbEEZZNS1_14partition_implILS5_9ELb0ES3_jPlS8_PNS0_10empty_typeENS0_5tupleIJS8_S9_EEENSB_IJS8_SA_EEENS0_18inequality_wrapperIZN2at6native12_GLOBAL__N_124unique_dim_cuda_templateIiEESt5tupleIJNSF_6TensorESK_SK_EERKSK_lbbbEUlllE0_EEPmJS9_EEE10hipError_tPvRmT3_T4_T5_T6_T7_T9_mT8_P12ihipStream_tbDpT10_ENKUlT_T0_E_clISt17integral_constantIbLb0EES1A_EEDaS15_S16_EUlS15_E_NS1_11comp_targetILNS1_3genE5ELNS1_11target_archE942ELNS1_3gpuE9ELNS1_3repE0EEENS1_30default_config_static_selectorELNS0_4arch9wavefront6targetE1EEEvT1_.uses_vcc, 0
	.set _ZN7rocprim17ROCPRIM_400000_NS6detail17trampoline_kernelINS0_14default_configENS1_25partition_config_selectorILNS1_17partition_subalgoE9EllbEEZZNS1_14partition_implILS5_9ELb0ES3_jPlS8_PNS0_10empty_typeENS0_5tupleIJS8_S9_EEENSB_IJS8_SA_EEENS0_18inequality_wrapperIZN2at6native12_GLOBAL__N_124unique_dim_cuda_templateIiEESt5tupleIJNSF_6TensorESK_SK_EERKSK_lbbbEUlllE0_EEPmJS9_EEE10hipError_tPvRmT3_T4_T5_T6_T7_T9_mT8_P12ihipStream_tbDpT10_ENKUlT_T0_E_clISt17integral_constantIbLb0EES1A_EEDaS15_S16_EUlS15_E_NS1_11comp_targetILNS1_3genE5ELNS1_11target_archE942ELNS1_3gpuE9ELNS1_3repE0EEENS1_30default_config_static_selectorELNS0_4arch9wavefront6targetE1EEEvT1_.uses_flat_scratch, 0
	.set _ZN7rocprim17ROCPRIM_400000_NS6detail17trampoline_kernelINS0_14default_configENS1_25partition_config_selectorILNS1_17partition_subalgoE9EllbEEZZNS1_14partition_implILS5_9ELb0ES3_jPlS8_PNS0_10empty_typeENS0_5tupleIJS8_S9_EEENSB_IJS8_SA_EEENS0_18inequality_wrapperIZN2at6native12_GLOBAL__N_124unique_dim_cuda_templateIiEESt5tupleIJNSF_6TensorESK_SK_EERKSK_lbbbEUlllE0_EEPmJS9_EEE10hipError_tPvRmT3_T4_T5_T6_T7_T9_mT8_P12ihipStream_tbDpT10_ENKUlT_T0_E_clISt17integral_constantIbLb0EES1A_EEDaS15_S16_EUlS15_E_NS1_11comp_targetILNS1_3genE5ELNS1_11target_archE942ELNS1_3gpuE9ELNS1_3repE0EEENS1_30default_config_static_selectorELNS0_4arch9wavefront6targetE1EEEvT1_.has_dyn_sized_stack, 0
	.set _ZN7rocprim17ROCPRIM_400000_NS6detail17trampoline_kernelINS0_14default_configENS1_25partition_config_selectorILNS1_17partition_subalgoE9EllbEEZZNS1_14partition_implILS5_9ELb0ES3_jPlS8_PNS0_10empty_typeENS0_5tupleIJS8_S9_EEENSB_IJS8_SA_EEENS0_18inequality_wrapperIZN2at6native12_GLOBAL__N_124unique_dim_cuda_templateIiEESt5tupleIJNSF_6TensorESK_SK_EERKSK_lbbbEUlllE0_EEPmJS9_EEE10hipError_tPvRmT3_T4_T5_T6_T7_T9_mT8_P12ihipStream_tbDpT10_ENKUlT_T0_E_clISt17integral_constantIbLb0EES1A_EEDaS15_S16_EUlS15_E_NS1_11comp_targetILNS1_3genE5ELNS1_11target_archE942ELNS1_3gpuE9ELNS1_3repE0EEENS1_30default_config_static_selectorELNS0_4arch9wavefront6targetE1EEEvT1_.has_recursion, 0
	.set _ZN7rocprim17ROCPRIM_400000_NS6detail17trampoline_kernelINS0_14default_configENS1_25partition_config_selectorILNS1_17partition_subalgoE9EllbEEZZNS1_14partition_implILS5_9ELb0ES3_jPlS8_PNS0_10empty_typeENS0_5tupleIJS8_S9_EEENSB_IJS8_SA_EEENS0_18inequality_wrapperIZN2at6native12_GLOBAL__N_124unique_dim_cuda_templateIiEESt5tupleIJNSF_6TensorESK_SK_EERKSK_lbbbEUlllE0_EEPmJS9_EEE10hipError_tPvRmT3_T4_T5_T6_T7_T9_mT8_P12ihipStream_tbDpT10_ENKUlT_T0_E_clISt17integral_constantIbLb0EES1A_EEDaS15_S16_EUlS15_E_NS1_11comp_targetILNS1_3genE5ELNS1_11target_archE942ELNS1_3gpuE9ELNS1_3repE0EEENS1_30default_config_static_selectorELNS0_4arch9wavefront6targetE1EEEvT1_.has_indirect_call, 0
	.section	.AMDGPU.csdata,"",@progbits
; Kernel info:
; codeLenInByte = 0
; TotalNumSgprs: 6
; NumVgprs: 0
; NumAgprs: 0
; TotalNumVgprs: 0
; ScratchSize: 0
; MemoryBound: 0
; FloatMode: 240
; IeeeMode: 1
; LDSByteSize: 0 bytes/workgroup (compile time only)
; SGPRBlocks: 0
; VGPRBlocks: 0
; NumSGPRsForWavesPerEU: 6
; NumVGPRsForWavesPerEU: 1
; AccumOffset: 4
; Occupancy: 8
; WaveLimiterHint : 0
; COMPUTE_PGM_RSRC2:SCRATCH_EN: 0
; COMPUTE_PGM_RSRC2:USER_SGPR: 2
; COMPUTE_PGM_RSRC2:TRAP_HANDLER: 0
; COMPUTE_PGM_RSRC2:TGID_X_EN: 1
; COMPUTE_PGM_RSRC2:TGID_Y_EN: 0
; COMPUTE_PGM_RSRC2:TGID_Z_EN: 0
; COMPUTE_PGM_RSRC2:TIDIG_COMP_CNT: 0
; COMPUTE_PGM_RSRC3_GFX90A:ACCUM_OFFSET: 0
; COMPUTE_PGM_RSRC3_GFX90A:TG_SPLIT: 0
	.section	.text._ZN7rocprim17ROCPRIM_400000_NS6detail17trampoline_kernelINS0_14default_configENS1_25partition_config_selectorILNS1_17partition_subalgoE9EllbEEZZNS1_14partition_implILS5_9ELb0ES3_jPlS8_PNS0_10empty_typeENS0_5tupleIJS8_S9_EEENSB_IJS8_SA_EEENS0_18inequality_wrapperIZN2at6native12_GLOBAL__N_124unique_dim_cuda_templateIiEESt5tupleIJNSF_6TensorESK_SK_EERKSK_lbbbEUlllE0_EEPmJS9_EEE10hipError_tPvRmT3_T4_T5_T6_T7_T9_mT8_P12ihipStream_tbDpT10_ENKUlT_T0_E_clISt17integral_constantIbLb0EES1A_EEDaS15_S16_EUlS15_E_NS1_11comp_targetILNS1_3genE4ELNS1_11target_archE910ELNS1_3gpuE8ELNS1_3repE0EEENS1_30default_config_static_selectorELNS0_4arch9wavefront6targetE1EEEvT1_,"axG",@progbits,_ZN7rocprim17ROCPRIM_400000_NS6detail17trampoline_kernelINS0_14default_configENS1_25partition_config_selectorILNS1_17partition_subalgoE9EllbEEZZNS1_14partition_implILS5_9ELb0ES3_jPlS8_PNS0_10empty_typeENS0_5tupleIJS8_S9_EEENSB_IJS8_SA_EEENS0_18inequality_wrapperIZN2at6native12_GLOBAL__N_124unique_dim_cuda_templateIiEESt5tupleIJNSF_6TensorESK_SK_EERKSK_lbbbEUlllE0_EEPmJS9_EEE10hipError_tPvRmT3_T4_T5_T6_T7_T9_mT8_P12ihipStream_tbDpT10_ENKUlT_T0_E_clISt17integral_constantIbLb0EES1A_EEDaS15_S16_EUlS15_E_NS1_11comp_targetILNS1_3genE4ELNS1_11target_archE910ELNS1_3gpuE8ELNS1_3repE0EEENS1_30default_config_static_selectorELNS0_4arch9wavefront6targetE1EEEvT1_,comdat
	.globl	_ZN7rocprim17ROCPRIM_400000_NS6detail17trampoline_kernelINS0_14default_configENS1_25partition_config_selectorILNS1_17partition_subalgoE9EllbEEZZNS1_14partition_implILS5_9ELb0ES3_jPlS8_PNS0_10empty_typeENS0_5tupleIJS8_S9_EEENSB_IJS8_SA_EEENS0_18inequality_wrapperIZN2at6native12_GLOBAL__N_124unique_dim_cuda_templateIiEESt5tupleIJNSF_6TensorESK_SK_EERKSK_lbbbEUlllE0_EEPmJS9_EEE10hipError_tPvRmT3_T4_T5_T6_T7_T9_mT8_P12ihipStream_tbDpT10_ENKUlT_T0_E_clISt17integral_constantIbLb0EES1A_EEDaS15_S16_EUlS15_E_NS1_11comp_targetILNS1_3genE4ELNS1_11target_archE910ELNS1_3gpuE8ELNS1_3repE0EEENS1_30default_config_static_selectorELNS0_4arch9wavefront6targetE1EEEvT1_ ; -- Begin function _ZN7rocprim17ROCPRIM_400000_NS6detail17trampoline_kernelINS0_14default_configENS1_25partition_config_selectorILNS1_17partition_subalgoE9EllbEEZZNS1_14partition_implILS5_9ELb0ES3_jPlS8_PNS0_10empty_typeENS0_5tupleIJS8_S9_EEENSB_IJS8_SA_EEENS0_18inequality_wrapperIZN2at6native12_GLOBAL__N_124unique_dim_cuda_templateIiEESt5tupleIJNSF_6TensorESK_SK_EERKSK_lbbbEUlllE0_EEPmJS9_EEE10hipError_tPvRmT3_T4_T5_T6_T7_T9_mT8_P12ihipStream_tbDpT10_ENKUlT_T0_E_clISt17integral_constantIbLb0EES1A_EEDaS15_S16_EUlS15_E_NS1_11comp_targetILNS1_3genE4ELNS1_11target_archE910ELNS1_3gpuE8ELNS1_3repE0EEENS1_30default_config_static_selectorELNS0_4arch9wavefront6targetE1EEEvT1_
	.p2align	8
	.type	_ZN7rocprim17ROCPRIM_400000_NS6detail17trampoline_kernelINS0_14default_configENS1_25partition_config_selectorILNS1_17partition_subalgoE9EllbEEZZNS1_14partition_implILS5_9ELb0ES3_jPlS8_PNS0_10empty_typeENS0_5tupleIJS8_S9_EEENSB_IJS8_SA_EEENS0_18inequality_wrapperIZN2at6native12_GLOBAL__N_124unique_dim_cuda_templateIiEESt5tupleIJNSF_6TensorESK_SK_EERKSK_lbbbEUlllE0_EEPmJS9_EEE10hipError_tPvRmT3_T4_T5_T6_T7_T9_mT8_P12ihipStream_tbDpT10_ENKUlT_T0_E_clISt17integral_constantIbLb0EES1A_EEDaS15_S16_EUlS15_E_NS1_11comp_targetILNS1_3genE4ELNS1_11target_archE910ELNS1_3gpuE8ELNS1_3repE0EEENS1_30default_config_static_selectorELNS0_4arch9wavefront6targetE1EEEvT1_,@function
_ZN7rocprim17ROCPRIM_400000_NS6detail17trampoline_kernelINS0_14default_configENS1_25partition_config_selectorILNS1_17partition_subalgoE9EllbEEZZNS1_14partition_implILS5_9ELb0ES3_jPlS8_PNS0_10empty_typeENS0_5tupleIJS8_S9_EEENSB_IJS8_SA_EEENS0_18inequality_wrapperIZN2at6native12_GLOBAL__N_124unique_dim_cuda_templateIiEESt5tupleIJNSF_6TensorESK_SK_EERKSK_lbbbEUlllE0_EEPmJS9_EEE10hipError_tPvRmT3_T4_T5_T6_T7_T9_mT8_P12ihipStream_tbDpT10_ENKUlT_T0_E_clISt17integral_constantIbLb0EES1A_EEDaS15_S16_EUlS15_E_NS1_11comp_targetILNS1_3genE4ELNS1_11target_archE910ELNS1_3gpuE8ELNS1_3repE0EEENS1_30default_config_static_selectorELNS0_4arch9wavefront6targetE1EEEvT1_: ; @_ZN7rocprim17ROCPRIM_400000_NS6detail17trampoline_kernelINS0_14default_configENS1_25partition_config_selectorILNS1_17partition_subalgoE9EllbEEZZNS1_14partition_implILS5_9ELb0ES3_jPlS8_PNS0_10empty_typeENS0_5tupleIJS8_S9_EEENSB_IJS8_SA_EEENS0_18inequality_wrapperIZN2at6native12_GLOBAL__N_124unique_dim_cuda_templateIiEESt5tupleIJNSF_6TensorESK_SK_EERKSK_lbbbEUlllE0_EEPmJS9_EEE10hipError_tPvRmT3_T4_T5_T6_T7_T9_mT8_P12ihipStream_tbDpT10_ENKUlT_T0_E_clISt17integral_constantIbLb0EES1A_EEDaS15_S16_EUlS15_E_NS1_11comp_targetILNS1_3genE4ELNS1_11target_archE910ELNS1_3gpuE8ELNS1_3repE0EEENS1_30default_config_static_selectorELNS0_4arch9wavefront6targetE1EEEvT1_
; %bb.0:
	.section	.rodata,"a",@progbits
	.p2align	6, 0x0
	.amdhsa_kernel _ZN7rocprim17ROCPRIM_400000_NS6detail17trampoline_kernelINS0_14default_configENS1_25partition_config_selectorILNS1_17partition_subalgoE9EllbEEZZNS1_14partition_implILS5_9ELb0ES3_jPlS8_PNS0_10empty_typeENS0_5tupleIJS8_S9_EEENSB_IJS8_SA_EEENS0_18inequality_wrapperIZN2at6native12_GLOBAL__N_124unique_dim_cuda_templateIiEESt5tupleIJNSF_6TensorESK_SK_EERKSK_lbbbEUlllE0_EEPmJS9_EEE10hipError_tPvRmT3_T4_T5_T6_T7_T9_mT8_P12ihipStream_tbDpT10_ENKUlT_T0_E_clISt17integral_constantIbLb0EES1A_EEDaS15_S16_EUlS15_E_NS1_11comp_targetILNS1_3genE4ELNS1_11target_archE910ELNS1_3gpuE8ELNS1_3repE0EEENS1_30default_config_static_selectorELNS0_4arch9wavefront6targetE1EEEvT1_
		.amdhsa_group_segment_fixed_size 0
		.amdhsa_private_segment_fixed_size 0
		.amdhsa_kernarg_size 120
		.amdhsa_user_sgpr_count 2
		.amdhsa_user_sgpr_dispatch_ptr 0
		.amdhsa_user_sgpr_queue_ptr 0
		.amdhsa_user_sgpr_kernarg_segment_ptr 1
		.amdhsa_user_sgpr_dispatch_id 0
		.amdhsa_user_sgpr_kernarg_preload_length 0
		.amdhsa_user_sgpr_kernarg_preload_offset 0
		.amdhsa_user_sgpr_private_segment_size 0
		.amdhsa_uses_dynamic_stack 0
		.amdhsa_enable_private_segment 0
		.amdhsa_system_sgpr_workgroup_id_x 1
		.amdhsa_system_sgpr_workgroup_id_y 0
		.amdhsa_system_sgpr_workgroup_id_z 0
		.amdhsa_system_sgpr_workgroup_info 0
		.amdhsa_system_vgpr_workitem_id 0
		.amdhsa_next_free_vgpr 1
		.amdhsa_next_free_sgpr 0
		.amdhsa_accum_offset 4
		.amdhsa_reserve_vcc 0
		.amdhsa_float_round_mode_32 0
		.amdhsa_float_round_mode_16_64 0
		.amdhsa_float_denorm_mode_32 3
		.amdhsa_float_denorm_mode_16_64 3
		.amdhsa_dx10_clamp 1
		.amdhsa_ieee_mode 1
		.amdhsa_fp16_overflow 0
		.amdhsa_tg_split 0
		.amdhsa_exception_fp_ieee_invalid_op 0
		.amdhsa_exception_fp_denorm_src 0
		.amdhsa_exception_fp_ieee_div_zero 0
		.amdhsa_exception_fp_ieee_overflow 0
		.amdhsa_exception_fp_ieee_underflow 0
		.amdhsa_exception_fp_ieee_inexact 0
		.amdhsa_exception_int_div_zero 0
	.end_amdhsa_kernel
	.section	.text._ZN7rocprim17ROCPRIM_400000_NS6detail17trampoline_kernelINS0_14default_configENS1_25partition_config_selectorILNS1_17partition_subalgoE9EllbEEZZNS1_14partition_implILS5_9ELb0ES3_jPlS8_PNS0_10empty_typeENS0_5tupleIJS8_S9_EEENSB_IJS8_SA_EEENS0_18inequality_wrapperIZN2at6native12_GLOBAL__N_124unique_dim_cuda_templateIiEESt5tupleIJNSF_6TensorESK_SK_EERKSK_lbbbEUlllE0_EEPmJS9_EEE10hipError_tPvRmT3_T4_T5_T6_T7_T9_mT8_P12ihipStream_tbDpT10_ENKUlT_T0_E_clISt17integral_constantIbLb0EES1A_EEDaS15_S16_EUlS15_E_NS1_11comp_targetILNS1_3genE4ELNS1_11target_archE910ELNS1_3gpuE8ELNS1_3repE0EEENS1_30default_config_static_selectorELNS0_4arch9wavefront6targetE1EEEvT1_,"axG",@progbits,_ZN7rocprim17ROCPRIM_400000_NS6detail17trampoline_kernelINS0_14default_configENS1_25partition_config_selectorILNS1_17partition_subalgoE9EllbEEZZNS1_14partition_implILS5_9ELb0ES3_jPlS8_PNS0_10empty_typeENS0_5tupleIJS8_S9_EEENSB_IJS8_SA_EEENS0_18inequality_wrapperIZN2at6native12_GLOBAL__N_124unique_dim_cuda_templateIiEESt5tupleIJNSF_6TensorESK_SK_EERKSK_lbbbEUlllE0_EEPmJS9_EEE10hipError_tPvRmT3_T4_T5_T6_T7_T9_mT8_P12ihipStream_tbDpT10_ENKUlT_T0_E_clISt17integral_constantIbLb0EES1A_EEDaS15_S16_EUlS15_E_NS1_11comp_targetILNS1_3genE4ELNS1_11target_archE910ELNS1_3gpuE8ELNS1_3repE0EEENS1_30default_config_static_selectorELNS0_4arch9wavefront6targetE1EEEvT1_,comdat
.Lfunc_end475:
	.size	_ZN7rocprim17ROCPRIM_400000_NS6detail17trampoline_kernelINS0_14default_configENS1_25partition_config_selectorILNS1_17partition_subalgoE9EllbEEZZNS1_14partition_implILS5_9ELb0ES3_jPlS8_PNS0_10empty_typeENS0_5tupleIJS8_S9_EEENSB_IJS8_SA_EEENS0_18inequality_wrapperIZN2at6native12_GLOBAL__N_124unique_dim_cuda_templateIiEESt5tupleIJNSF_6TensorESK_SK_EERKSK_lbbbEUlllE0_EEPmJS9_EEE10hipError_tPvRmT3_T4_T5_T6_T7_T9_mT8_P12ihipStream_tbDpT10_ENKUlT_T0_E_clISt17integral_constantIbLb0EES1A_EEDaS15_S16_EUlS15_E_NS1_11comp_targetILNS1_3genE4ELNS1_11target_archE910ELNS1_3gpuE8ELNS1_3repE0EEENS1_30default_config_static_selectorELNS0_4arch9wavefront6targetE1EEEvT1_, .Lfunc_end475-_ZN7rocprim17ROCPRIM_400000_NS6detail17trampoline_kernelINS0_14default_configENS1_25partition_config_selectorILNS1_17partition_subalgoE9EllbEEZZNS1_14partition_implILS5_9ELb0ES3_jPlS8_PNS0_10empty_typeENS0_5tupleIJS8_S9_EEENSB_IJS8_SA_EEENS0_18inequality_wrapperIZN2at6native12_GLOBAL__N_124unique_dim_cuda_templateIiEESt5tupleIJNSF_6TensorESK_SK_EERKSK_lbbbEUlllE0_EEPmJS9_EEE10hipError_tPvRmT3_T4_T5_T6_T7_T9_mT8_P12ihipStream_tbDpT10_ENKUlT_T0_E_clISt17integral_constantIbLb0EES1A_EEDaS15_S16_EUlS15_E_NS1_11comp_targetILNS1_3genE4ELNS1_11target_archE910ELNS1_3gpuE8ELNS1_3repE0EEENS1_30default_config_static_selectorELNS0_4arch9wavefront6targetE1EEEvT1_
                                        ; -- End function
	.set _ZN7rocprim17ROCPRIM_400000_NS6detail17trampoline_kernelINS0_14default_configENS1_25partition_config_selectorILNS1_17partition_subalgoE9EllbEEZZNS1_14partition_implILS5_9ELb0ES3_jPlS8_PNS0_10empty_typeENS0_5tupleIJS8_S9_EEENSB_IJS8_SA_EEENS0_18inequality_wrapperIZN2at6native12_GLOBAL__N_124unique_dim_cuda_templateIiEESt5tupleIJNSF_6TensorESK_SK_EERKSK_lbbbEUlllE0_EEPmJS9_EEE10hipError_tPvRmT3_T4_T5_T6_T7_T9_mT8_P12ihipStream_tbDpT10_ENKUlT_T0_E_clISt17integral_constantIbLb0EES1A_EEDaS15_S16_EUlS15_E_NS1_11comp_targetILNS1_3genE4ELNS1_11target_archE910ELNS1_3gpuE8ELNS1_3repE0EEENS1_30default_config_static_selectorELNS0_4arch9wavefront6targetE1EEEvT1_.num_vgpr, 0
	.set _ZN7rocprim17ROCPRIM_400000_NS6detail17trampoline_kernelINS0_14default_configENS1_25partition_config_selectorILNS1_17partition_subalgoE9EllbEEZZNS1_14partition_implILS5_9ELb0ES3_jPlS8_PNS0_10empty_typeENS0_5tupleIJS8_S9_EEENSB_IJS8_SA_EEENS0_18inequality_wrapperIZN2at6native12_GLOBAL__N_124unique_dim_cuda_templateIiEESt5tupleIJNSF_6TensorESK_SK_EERKSK_lbbbEUlllE0_EEPmJS9_EEE10hipError_tPvRmT3_T4_T5_T6_T7_T9_mT8_P12ihipStream_tbDpT10_ENKUlT_T0_E_clISt17integral_constantIbLb0EES1A_EEDaS15_S16_EUlS15_E_NS1_11comp_targetILNS1_3genE4ELNS1_11target_archE910ELNS1_3gpuE8ELNS1_3repE0EEENS1_30default_config_static_selectorELNS0_4arch9wavefront6targetE1EEEvT1_.num_agpr, 0
	.set _ZN7rocprim17ROCPRIM_400000_NS6detail17trampoline_kernelINS0_14default_configENS1_25partition_config_selectorILNS1_17partition_subalgoE9EllbEEZZNS1_14partition_implILS5_9ELb0ES3_jPlS8_PNS0_10empty_typeENS0_5tupleIJS8_S9_EEENSB_IJS8_SA_EEENS0_18inequality_wrapperIZN2at6native12_GLOBAL__N_124unique_dim_cuda_templateIiEESt5tupleIJNSF_6TensorESK_SK_EERKSK_lbbbEUlllE0_EEPmJS9_EEE10hipError_tPvRmT3_T4_T5_T6_T7_T9_mT8_P12ihipStream_tbDpT10_ENKUlT_T0_E_clISt17integral_constantIbLb0EES1A_EEDaS15_S16_EUlS15_E_NS1_11comp_targetILNS1_3genE4ELNS1_11target_archE910ELNS1_3gpuE8ELNS1_3repE0EEENS1_30default_config_static_selectorELNS0_4arch9wavefront6targetE1EEEvT1_.numbered_sgpr, 0
	.set _ZN7rocprim17ROCPRIM_400000_NS6detail17trampoline_kernelINS0_14default_configENS1_25partition_config_selectorILNS1_17partition_subalgoE9EllbEEZZNS1_14partition_implILS5_9ELb0ES3_jPlS8_PNS0_10empty_typeENS0_5tupleIJS8_S9_EEENSB_IJS8_SA_EEENS0_18inequality_wrapperIZN2at6native12_GLOBAL__N_124unique_dim_cuda_templateIiEESt5tupleIJNSF_6TensorESK_SK_EERKSK_lbbbEUlllE0_EEPmJS9_EEE10hipError_tPvRmT3_T4_T5_T6_T7_T9_mT8_P12ihipStream_tbDpT10_ENKUlT_T0_E_clISt17integral_constantIbLb0EES1A_EEDaS15_S16_EUlS15_E_NS1_11comp_targetILNS1_3genE4ELNS1_11target_archE910ELNS1_3gpuE8ELNS1_3repE0EEENS1_30default_config_static_selectorELNS0_4arch9wavefront6targetE1EEEvT1_.num_named_barrier, 0
	.set _ZN7rocprim17ROCPRIM_400000_NS6detail17trampoline_kernelINS0_14default_configENS1_25partition_config_selectorILNS1_17partition_subalgoE9EllbEEZZNS1_14partition_implILS5_9ELb0ES3_jPlS8_PNS0_10empty_typeENS0_5tupleIJS8_S9_EEENSB_IJS8_SA_EEENS0_18inequality_wrapperIZN2at6native12_GLOBAL__N_124unique_dim_cuda_templateIiEESt5tupleIJNSF_6TensorESK_SK_EERKSK_lbbbEUlllE0_EEPmJS9_EEE10hipError_tPvRmT3_T4_T5_T6_T7_T9_mT8_P12ihipStream_tbDpT10_ENKUlT_T0_E_clISt17integral_constantIbLb0EES1A_EEDaS15_S16_EUlS15_E_NS1_11comp_targetILNS1_3genE4ELNS1_11target_archE910ELNS1_3gpuE8ELNS1_3repE0EEENS1_30default_config_static_selectorELNS0_4arch9wavefront6targetE1EEEvT1_.private_seg_size, 0
	.set _ZN7rocprim17ROCPRIM_400000_NS6detail17trampoline_kernelINS0_14default_configENS1_25partition_config_selectorILNS1_17partition_subalgoE9EllbEEZZNS1_14partition_implILS5_9ELb0ES3_jPlS8_PNS0_10empty_typeENS0_5tupleIJS8_S9_EEENSB_IJS8_SA_EEENS0_18inequality_wrapperIZN2at6native12_GLOBAL__N_124unique_dim_cuda_templateIiEESt5tupleIJNSF_6TensorESK_SK_EERKSK_lbbbEUlllE0_EEPmJS9_EEE10hipError_tPvRmT3_T4_T5_T6_T7_T9_mT8_P12ihipStream_tbDpT10_ENKUlT_T0_E_clISt17integral_constantIbLb0EES1A_EEDaS15_S16_EUlS15_E_NS1_11comp_targetILNS1_3genE4ELNS1_11target_archE910ELNS1_3gpuE8ELNS1_3repE0EEENS1_30default_config_static_selectorELNS0_4arch9wavefront6targetE1EEEvT1_.uses_vcc, 0
	.set _ZN7rocprim17ROCPRIM_400000_NS6detail17trampoline_kernelINS0_14default_configENS1_25partition_config_selectorILNS1_17partition_subalgoE9EllbEEZZNS1_14partition_implILS5_9ELb0ES3_jPlS8_PNS0_10empty_typeENS0_5tupleIJS8_S9_EEENSB_IJS8_SA_EEENS0_18inequality_wrapperIZN2at6native12_GLOBAL__N_124unique_dim_cuda_templateIiEESt5tupleIJNSF_6TensorESK_SK_EERKSK_lbbbEUlllE0_EEPmJS9_EEE10hipError_tPvRmT3_T4_T5_T6_T7_T9_mT8_P12ihipStream_tbDpT10_ENKUlT_T0_E_clISt17integral_constantIbLb0EES1A_EEDaS15_S16_EUlS15_E_NS1_11comp_targetILNS1_3genE4ELNS1_11target_archE910ELNS1_3gpuE8ELNS1_3repE0EEENS1_30default_config_static_selectorELNS0_4arch9wavefront6targetE1EEEvT1_.uses_flat_scratch, 0
	.set _ZN7rocprim17ROCPRIM_400000_NS6detail17trampoline_kernelINS0_14default_configENS1_25partition_config_selectorILNS1_17partition_subalgoE9EllbEEZZNS1_14partition_implILS5_9ELb0ES3_jPlS8_PNS0_10empty_typeENS0_5tupleIJS8_S9_EEENSB_IJS8_SA_EEENS0_18inequality_wrapperIZN2at6native12_GLOBAL__N_124unique_dim_cuda_templateIiEESt5tupleIJNSF_6TensorESK_SK_EERKSK_lbbbEUlllE0_EEPmJS9_EEE10hipError_tPvRmT3_T4_T5_T6_T7_T9_mT8_P12ihipStream_tbDpT10_ENKUlT_T0_E_clISt17integral_constantIbLb0EES1A_EEDaS15_S16_EUlS15_E_NS1_11comp_targetILNS1_3genE4ELNS1_11target_archE910ELNS1_3gpuE8ELNS1_3repE0EEENS1_30default_config_static_selectorELNS0_4arch9wavefront6targetE1EEEvT1_.has_dyn_sized_stack, 0
	.set _ZN7rocprim17ROCPRIM_400000_NS6detail17trampoline_kernelINS0_14default_configENS1_25partition_config_selectorILNS1_17partition_subalgoE9EllbEEZZNS1_14partition_implILS5_9ELb0ES3_jPlS8_PNS0_10empty_typeENS0_5tupleIJS8_S9_EEENSB_IJS8_SA_EEENS0_18inequality_wrapperIZN2at6native12_GLOBAL__N_124unique_dim_cuda_templateIiEESt5tupleIJNSF_6TensorESK_SK_EERKSK_lbbbEUlllE0_EEPmJS9_EEE10hipError_tPvRmT3_T4_T5_T6_T7_T9_mT8_P12ihipStream_tbDpT10_ENKUlT_T0_E_clISt17integral_constantIbLb0EES1A_EEDaS15_S16_EUlS15_E_NS1_11comp_targetILNS1_3genE4ELNS1_11target_archE910ELNS1_3gpuE8ELNS1_3repE0EEENS1_30default_config_static_selectorELNS0_4arch9wavefront6targetE1EEEvT1_.has_recursion, 0
	.set _ZN7rocprim17ROCPRIM_400000_NS6detail17trampoline_kernelINS0_14default_configENS1_25partition_config_selectorILNS1_17partition_subalgoE9EllbEEZZNS1_14partition_implILS5_9ELb0ES3_jPlS8_PNS0_10empty_typeENS0_5tupleIJS8_S9_EEENSB_IJS8_SA_EEENS0_18inequality_wrapperIZN2at6native12_GLOBAL__N_124unique_dim_cuda_templateIiEESt5tupleIJNSF_6TensorESK_SK_EERKSK_lbbbEUlllE0_EEPmJS9_EEE10hipError_tPvRmT3_T4_T5_T6_T7_T9_mT8_P12ihipStream_tbDpT10_ENKUlT_T0_E_clISt17integral_constantIbLb0EES1A_EEDaS15_S16_EUlS15_E_NS1_11comp_targetILNS1_3genE4ELNS1_11target_archE910ELNS1_3gpuE8ELNS1_3repE0EEENS1_30default_config_static_selectorELNS0_4arch9wavefront6targetE1EEEvT1_.has_indirect_call, 0
	.section	.AMDGPU.csdata,"",@progbits
; Kernel info:
; codeLenInByte = 0
; TotalNumSgprs: 6
; NumVgprs: 0
; NumAgprs: 0
; TotalNumVgprs: 0
; ScratchSize: 0
; MemoryBound: 0
; FloatMode: 240
; IeeeMode: 1
; LDSByteSize: 0 bytes/workgroup (compile time only)
; SGPRBlocks: 0
; VGPRBlocks: 0
; NumSGPRsForWavesPerEU: 6
; NumVGPRsForWavesPerEU: 1
; AccumOffset: 4
; Occupancy: 8
; WaveLimiterHint : 0
; COMPUTE_PGM_RSRC2:SCRATCH_EN: 0
; COMPUTE_PGM_RSRC2:USER_SGPR: 2
; COMPUTE_PGM_RSRC2:TRAP_HANDLER: 0
; COMPUTE_PGM_RSRC2:TGID_X_EN: 1
; COMPUTE_PGM_RSRC2:TGID_Y_EN: 0
; COMPUTE_PGM_RSRC2:TGID_Z_EN: 0
; COMPUTE_PGM_RSRC2:TIDIG_COMP_CNT: 0
; COMPUTE_PGM_RSRC3_GFX90A:ACCUM_OFFSET: 0
; COMPUTE_PGM_RSRC3_GFX90A:TG_SPLIT: 0
	.section	.text._ZN7rocprim17ROCPRIM_400000_NS6detail17trampoline_kernelINS0_14default_configENS1_25partition_config_selectorILNS1_17partition_subalgoE9EllbEEZZNS1_14partition_implILS5_9ELb0ES3_jPlS8_PNS0_10empty_typeENS0_5tupleIJS8_S9_EEENSB_IJS8_SA_EEENS0_18inequality_wrapperIZN2at6native12_GLOBAL__N_124unique_dim_cuda_templateIiEESt5tupleIJNSF_6TensorESK_SK_EERKSK_lbbbEUlllE0_EEPmJS9_EEE10hipError_tPvRmT3_T4_T5_T6_T7_T9_mT8_P12ihipStream_tbDpT10_ENKUlT_T0_E_clISt17integral_constantIbLb0EES1A_EEDaS15_S16_EUlS15_E_NS1_11comp_targetILNS1_3genE3ELNS1_11target_archE908ELNS1_3gpuE7ELNS1_3repE0EEENS1_30default_config_static_selectorELNS0_4arch9wavefront6targetE1EEEvT1_,"axG",@progbits,_ZN7rocprim17ROCPRIM_400000_NS6detail17trampoline_kernelINS0_14default_configENS1_25partition_config_selectorILNS1_17partition_subalgoE9EllbEEZZNS1_14partition_implILS5_9ELb0ES3_jPlS8_PNS0_10empty_typeENS0_5tupleIJS8_S9_EEENSB_IJS8_SA_EEENS0_18inequality_wrapperIZN2at6native12_GLOBAL__N_124unique_dim_cuda_templateIiEESt5tupleIJNSF_6TensorESK_SK_EERKSK_lbbbEUlllE0_EEPmJS9_EEE10hipError_tPvRmT3_T4_T5_T6_T7_T9_mT8_P12ihipStream_tbDpT10_ENKUlT_T0_E_clISt17integral_constantIbLb0EES1A_EEDaS15_S16_EUlS15_E_NS1_11comp_targetILNS1_3genE3ELNS1_11target_archE908ELNS1_3gpuE7ELNS1_3repE0EEENS1_30default_config_static_selectorELNS0_4arch9wavefront6targetE1EEEvT1_,comdat
	.globl	_ZN7rocprim17ROCPRIM_400000_NS6detail17trampoline_kernelINS0_14default_configENS1_25partition_config_selectorILNS1_17partition_subalgoE9EllbEEZZNS1_14partition_implILS5_9ELb0ES3_jPlS8_PNS0_10empty_typeENS0_5tupleIJS8_S9_EEENSB_IJS8_SA_EEENS0_18inequality_wrapperIZN2at6native12_GLOBAL__N_124unique_dim_cuda_templateIiEESt5tupleIJNSF_6TensorESK_SK_EERKSK_lbbbEUlllE0_EEPmJS9_EEE10hipError_tPvRmT3_T4_T5_T6_T7_T9_mT8_P12ihipStream_tbDpT10_ENKUlT_T0_E_clISt17integral_constantIbLb0EES1A_EEDaS15_S16_EUlS15_E_NS1_11comp_targetILNS1_3genE3ELNS1_11target_archE908ELNS1_3gpuE7ELNS1_3repE0EEENS1_30default_config_static_selectorELNS0_4arch9wavefront6targetE1EEEvT1_ ; -- Begin function _ZN7rocprim17ROCPRIM_400000_NS6detail17trampoline_kernelINS0_14default_configENS1_25partition_config_selectorILNS1_17partition_subalgoE9EllbEEZZNS1_14partition_implILS5_9ELb0ES3_jPlS8_PNS0_10empty_typeENS0_5tupleIJS8_S9_EEENSB_IJS8_SA_EEENS0_18inequality_wrapperIZN2at6native12_GLOBAL__N_124unique_dim_cuda_templateIiEESt5tupleIJNSF_6TensorESK_SK_EERKSK_lbbbEUlllE0_EEPmJS9_EEE10hipError_tPvRmT3_T4_T5_T6_T7_T9_mT8_P12ihipStream_tbDpT10_ENKUlT_T0_E_clISt17integral_constantIbLb0EES1A_EEDaS15_S16_EUlS15_E_NS1_11comp_targetILNS1_3genE3ELNS1_11target_archE908ELNS1_3gpuE7ELNS1_3repE0EEENS1_30default_config_static_selectorELNS0_4arch9wavefront6targetE1EEEvT1_
	.p2align	8
	.type	_ZN7rocprim17ROCPRIM_400000_NS6detail17trampoline_kernelINS0_14default_configENS1_25partition_config_selectorILNS1_17partition_subalgoE9EllbEEZZNS1_14partition_implILS5_9ELb0ES3_jPlS8_PNS0_10empty_typeENS0_5tupleIJS8_S9_EEENSB_IJS8_SA_EEENS0_18inequality_wrapperIZN2at6native12_GLOBAL__N_124unique_dim_cuda_templateIiEESt5tupleIJNSF_6TensorESK_SK_EERKSK_lbbbEUlllE0_EEPmJS9_EEE10hipError_tPvRmT3_T4_T5_T6_T7_T9_mT8_P12ihipStream_tbDpT10_ENKUlT_T0_E_clISt17integral_constantIbLb0EES1A_EEDaS15_S16_EUlS15_E_NS1_11comp_targetILNS1_3genE3ELNS1_11target_archE908ELNS1_3gpuE7ELNS1_3repE0EEENS1_30default_config_static_selectorELNS0_4arch9wavefront6targetE1EEEvT1_,@function
_ZN7rocprim17ROCPRIM_400000_NS6detail17trampoline_kernelINS0_14default_configENS1_25partition_config_selectorILNS1_17partition_subalgoE9EllbEEZZNS1_14partition_implILS5_9ELb0ES3_jPlS8_PNS0_10empty_typeENS0_5tupleIJS8_S9_EEENSB_IJS8_SA_EEENS0_18inequality_wrapperIZN2at6native12_GLOBAL__N_124unique_dim_cuda_templateIiEESt5tupleIJNSF_6TensorESK_SK_EERKSK_lbbbEUlllE0_EEPmJS9_EEE10hipError_tPvRmT3_T4_T5_T6_T7_T9_mT8_P12ihipStream_tbDpT10_ENKUlT_T0_E_clISt17integral_constantIbLb0EES1A_EEDaS15_S16_EUlS15_E_NS1_11comp_targetILNS1_3genE3ELNS1_11target_archE908ELNS1_3gpuE7ELNS1_3repE0EEENS1_30default_config_static_selectorELNS0_4arch9wavefront6targetE1EEEvT1_: ; @_ZN7rocprim17ROCPRIM_400000_NS6detail17trampoline_kernelINS0_14default_configENS1_25partition_config_selectorILNS1_17partition_subalgoE9EllbEEZZNS1_14partition_implILS5_9ELb0ES3_jPlS8_PNS0_10empty_typeENS0_5tupleIJS8_S9_EEENSB_IJS8_SA_EEENS0_18inequality_wrapperIZN2at6native12_GLOBAL__N_124unique_dim_cuda_templateIiEESt5tupleIJNSF_6TensorESK_SK_EERKSK_lbbbEUlllE0_EEPmJS9_EEE10hipError_tPvRmT3_T4_T5_T6_T7_T9_mT8_P12ihipStream_tbDpT10_ENKUlT_T0_E_clISt17integral_constantIbLb0EES1A_EEDaS15_S16_EUlS15_E_NS1_11comp_targetILNS1_3genE3ELNS1_11target_archE908ELNS1_3gpuE7ELNS1_3repE0EEENS1_30default_config_static_selectorELNS0_4arch9wavefront6targetE1EEEvT1_
; %bb.0:
	.section	.rodata,"a",@progbits
	.p2align	6, 0x0
	.amdhsa_kernel _ZN7rocprim17ROCPRIM_400000_NS6detail17trampoline_kernelINS0_14default_configENS1_25partition_config_selectorILNS1_17partition_subalgoE9EllbEEZZNS1_14partition_implILS5_9ELb0ES3_jPlS8_PNS0_10empty_typeENS0_5tupleIJS8_S9_EEENSB_IJS8_SA_EEENS0_18inequality_wrapperIZN2at6native12_GLOBAL__N_124unique_dim_cuda_templateIiEESt5tupleIJNSF_6TensorESK_SK_EERKSK_lbbbEUlllE0_EEPmJS9_EEE10hipError_tPvRmT3_T4_T5_T6_T7_T9_mT8_P12ihipStream_tbDpT10_ENKUlT_T0_E_clISt17integral_constantIbLb0EES1A_EEDaS15_S16_EUlS15_E_NS1_11comp_targetILNS1_3genE3ELNS1_11target_archE908ELNS1_3gpuE7ELNS1_3repE0EEENS1_30default_config_static_selectorELNS0_4arch9wavefront6targetE1EEEvT1_
		.amdhsa_group_segment_fixed_size 0
		.amdhsa_private_segment_fixed_size 0
		.amdhsa_kernarg_size 120
		.amdhsa_user_sgpr_count 2
		.amdhsa_user_sgpr_dispatch_ptr 0
		.amdhsa_user_sgpr_queue_ptr 0
		.amdhsa_user_sgpr_kernarg_segment_ptr 1
		.amdhsa_user_sgpr_dispatch_id 0
		.amdhsa_user_sgpr_kernarg_preload_length 0
		.amdhsa_user_sgpr_kernarg_preload_offset 0
		.amdhsa_user_sgpr_private_segment_size 0
		.amdhsa_uses_dynamic_stack 0
		.amdhsa_enable_private_segment 0
		.amdhsa_system_sgpr_workgroup_id_x 1
		.amdhsa_system_sgpr_workgroup_id_y 0
		.amdhsa_system_sgpr_workgroup_id_z 0
		.amdhsa_system_sgpr_workgroup_info 0
		.amdhsa_system_vgpr_workitem_id 0
		.amdhsa_next_free_vgpr 1
		.amdhsa_next_free_sgpr 0
		.amdhsa_accum_offset 4
		.amdhsa_reserve_vcc 0
		.amdhsa_float_round_mode_32 0
		.amdhsa_float_round_mode_16_64 0
		.amdhsa_float_denorm_mode_32 3
		.amdhsa_float_denorm_mode_16_64 3
		.amdhsa_dx10_clamp 1
		.amdhsa_ieee_mode 1
		.amdhsa_fp16_overflow 0
		.amdhsa_tg_split 0
		.amdhsa_exception_fp_ieee_invalid_op 0
		.amdhsa_exception_fp_denorm_src 0
		.amdhsa_exception_fp_ieee_div_zero 0
		.amdhsa_exception_fp_ieee_overflow 0
		.amdhsa_exception_fp_ieee_underflow 0
		.amdhsa_exception_fp_ieee_inexact 0
		.amdhsa_exception_int_div_zero 0
	.end_amdhsa_kernel
	.section	.text._ZN7rocprim17ROCPRIM_400000_NS6detail17trampoline_kernelINS0_14default_configENS1_25partition_config_selectorILNS1_17partition_subalgoE9EllbEEZZNS1_14partition_implILS5_9ELb0ES3_jPlS8_PNS0_10empty_typeENS0_5tupleIJS8_S9_EEENSB_IJS8_SA_EEENS0_18inequality_wrapperIZN2at6native12_GLOBAL__N_124unique_dim_cuda_templateIiEESt5tupleIJNSF_6TensorESK_SK_EERKSK_lbbbEUlllE0_EEPmJS9_EEE10hipError_tPvRmT3_T4_T5_T6_T7_T9_mT8_P12ihipStream_tbDpT10_ENKUlT_T0_E_clISt17integral_constantIbLb0EES1A_EEDaS15_S16_EUlS15_E_NS1_11comp_targetILNS1_3genE3ELNS1_11target_archE908ELNS1_3gpuE7ELNS1_3repE0EEENS1_30default_config_static_selectorELNS0_4arch9wavefront6targetE1EEEvT1_,"axG",@progbits,_ZN7rocprim17ROCPRIM_400000_NS6detail17trampoline_kernelINS0_14default_configENS1_25partition_config_selectorILNS1_17partition_subalgoE9EllbEEZZNS1_14partition_implILS5_9ELb0ES3_jPlS8_PNS0_10empty_typeENS0_5tupleIJS8_S9_EEENSB_IJS8_SA_EEENS0_18inequality_wrapperIZN2at6native12_GLOBAL__N_124unique_dim_cuda_templateIiEESt5tupleIJNSF_6TensorESK_SK_EERKSK_lbbbEUlllE0_EEPmJS9_EEE10hipError_tPvRmT3_T4_T5_T6_T7_T9_mT8_P12ihipStream_tbDpT10_ENKUlT_T0_E_clISt17integral_constantIbLb0EES1A_EEDaS15_S16_EUlS15_E_NS1_11comp_targetILNS1_3genE3ELNS1_11target_archE908ELNS1_3gpuE7ELNS1_3repE0EEENS1_30default_config_static_selectorELNS0_4arch9wavefront6targetE1EEEvT1_,comdat
.Lfunc_end476:
	.size	_ZN7rocprim17ROCPRIM_400000_NS6detail17trampoline_kernelINS0_14default_configENS1_25partition_config_selectorILNS1_17partition_subalgoE9EllbEEZZNS1_14partition_implILS5_9ELb0ES3_jPlS8_PNS0_10empty_typeENS0_5tupleIJS8_S9_EEENSB_IJS8_SA_EEENS0_18inequality_wrapperIZN2at6native12_GLOBAL__N_124unique_dim_cuda_templateIiEESt5tupleIJNSF_6TensorESK_SK_EERKSK_lbbbEUlllE0_EEPmJS9_EEE10hipError_tPvRmT3_T4_T5_T6_T7_T9_mT8_P12ihipStream_tbDpT10_ENKUlT_T0_E_clISt17integral_constantIbLb0EES1A_EEDaS15_S16_EUlS15_E_NS1_11comp_targetILNS1_3genE3ELNS1_11target_archE908ELNS1_3gpuE7ELNS1_3repE0EEENS1_30default_config_static_selectorELNS0_4arch9wavefront6targetE1EEEvT1_, .Lfunc_end476-_ZN7rocprim17ROCPRIM_400000_NS6detail17trampoline_kernelINS0_14default_configENS1_25partition_config_selectorILNS1_17partition_subalgoE9EllbEEZZNS1_14partition_implILS5_9ELb0ES3_jPlS8_PNS0_10empty_typeENS0_5tupleIJS8_S9_EEENSB_IJS8_SA_EEENS0_18inequality_wrapperIZN2at6native12_GLOBAL__N_124unique_dim_cuda_templateIiEESt5tupleIJNSF_6TensorESK_SK_EERKSK_lbbbEUlllE0_EEPmJS9_EEE10hipError_tPvRmT3_T4_T5_T6_T7_T9_mT8_P12ihipStream_tbDpT10_ENKUlT_T0_E_clISt17integral_constantIbLb0EES1A_EEDaS15_S16_EUlS15_E_NS1_11comp_targetILNS1_3genE3ELNS1_11target_archE908ELNS1_3gpuE7ELNS1_3repE0EEENS1_30default_config_static_selectorELNS0_4arch9wavefront6targetE1EEEvT1_
                                        ; -- End function
	.set _ZN7rocprim17ROCPRIM_400000_NS6detail17trampoline_kernelINS0_14default_configENS1_25partition_config_selectorILNS1_17partition_subalgoE9EllbEEZZNS1_14partition_implILS5_9ELb0ES3_jPlS8_PNS0_10empty_typeENS0_5tupleIJS8_S9_EEENSB_IJS8_SA_EEENS0_18inequality_wrapperIZN2at6native12_GLOBAL__N_124unique_dim_cuda_templateIiEESt5tupleIJNSF_6TensorESK_SK_EERKSK_lbbbEUlllE0_EEPmJS9_EEE10hipError_tPvRmT3_T4_T5_T6_T7_T9_mT8_P12ihipStream_tbDpT10_ENKUlT_T0_E_clISt17integral_constantIbLb0EES1A_EEDaS15_S16_EUlS15_E_NS1_11comp_targetILNS1_3genE3ELNS1_11target_archE908ELNS1_3gpuE7ELNS1_3repE0EEENS1_30default_config_static_selectorELNS0_4arch9wavefront6targetE1EEEvT1_.num_vgpr, 0
	.set _ZN7rocprim17ROCPRIM_400000_NS6detail17trampoline_kernelINS0_14default_configENS1_25partition_config_selectorILNS1_17partition_subalgoE9EllbEEZZNS1_14partition_implILS5_9ELb0ES3_jPlS8_PNS0_10empty_typeENS0_5tupleIJS8_S9_EEENSB_IJS8_SA_EEENS0_18inequality_wrapperIZN2at6native12_GLOBAL__N_124unique_dim_cuda_templateIiEESt5tupleIJNSF_6TensorESK_SK_EERKSK_lbbbEUlllE0_EEPmJS9_EEE10hipError_tPvRmT3_T4_T5_T6_T7_T9_mT8_P12ihipStream_tbDpT10_ENKUlT_T0_E_clISt17integral_constantIbLb0EES1A_EEDaS15_S16_EUlS15_E_NS1_11comp_targetILNS1_3genE3ELNS1_11target_archE908ELNS1_3gpuE7ELNS1_3repE0EEENS1_30default_config_static_selectorELNS0_4arch9wavefront6targetE1EEEvT1_.num_agpr, 0
	.set _ZN7rocprim17ROCPRIM_400000_NS6detail17trampoline_kernelINS0_14default_configENS1_25partition_config_selectorILNS1_17partition_subalgoE9EllbEEZZNS1_14partition_implILS5_9ELb0ES3_jPlS8_PNS0_10empty_typeENS0_5tupleIJS8_S9_EEENSB_IJS8_SA_EEENS0_18inequality_wrapperIZN2at6native12_GLOBAL__N_124unique_dim_cuda_templateIiEESt5tupleIJNSF_6TensorESK_SK_EERKSK_lbbbEUlllE0_EEPmJS9_EEE10hipError_tPvRmT3_T4_T5_T6_T7_T9_mT8_P12ihipStream_tbDpT10_ENKUlT_T0_E_clISt17integral_constantIbLb0EES1A_EEDaS15_S16_EUlS15_E_NS1_11comp_targetILNS1_3genE3ELNS1_11target_archE908ELNS1_3gpuE7ELNS1_3repE0EEENS1_30default_config_static_selectorELNS0_4arch9wavefront6targetE1EEEvT1_.numbered_sgpr, 0
	.set _ZN7rocprim17ROCPRIM_400000_NS6detail17trampoline_kernelINS0_14default_configENS1_25partition_config_selectorILNS1_17partition_subalgoE9EllbEEZZNS1_14partition_implILS5_9ELb0ES3_jPlS8_PNS0_10empty_typeENS0_5tupleIJS8_S9_EEENSB_IJS8_SA_EEENS0_18inequality_wrapperIZN2at6native12_GLOBAL__N_124unique_dim_cuda_templateIiEESt5tupleIJNSF_6TensorESK_SK_EERKSK_lbbbEUlllE0_EEPmJS9_EEE10hipError_tPvRmT3_T4_T5_T6_T7_T9_mT8_P12ihipStream_tbDpT10_ENKUlT_T0_E_clISt17integral_constantIbLb0EES1A_EEDaS15_S16_EUlS15_E_NS1_11comp_targetILNS1_3genE3ELNS1_11target_archE908ELNS1_3gpuE7ELNS1_3repE0EEENS1_30default_config_static_selectorELNS0_4arch9wavefront6targetE1EEEvT1_.num_named_barrier, 0
	.set _ZN7rocprim17ROCPRIM_400000_NS6detail17trampoline_kernelINS0_14default_configENS1_25partition_config_selectorILNS1_17partition_subalgoE9EllbEEZZNS1_14partition_implILS5_9ELb0ES3_jPlS8_PNS0_10empty_typeENS0_5tupleIJS8_S9_EEENSB_IJS8_SA_EEENS0_18inequality_wrapperIZN2at6native12_GLOBAL__N_124unique_dim_cuda_templateIiEESt5tupleIJNSF_6TensorESK_SK_EERKSK_lbbbEUlllE0_EEPmJS9_EEE10hipError_tPvRmT3_T4_T5_T6_T7_T9_mT8_P12ihipStream_tbDpT10_ENKUlT_T0_E_clISt17integral_constantIbLb0EES1A_EEDaS15_S16_EUlS15_E_NS1_11comp_targetILNS1_3genE3ELNS1_11target_archE908ELNS1_3gpuE7ELNS1_3repE0EEENS1_30default_config_static_selectorELNS0_4arch9wavefront6targetE1EEEvT1_.private_seg_size, 0
	.set _ZN7rocprim17ROCPRIM_400000_NS6detail17trampoline_kernelINS0_14default_configENS1_25partition_config_selectorILNS1_17partition_subalgoE9EllbEEZZNS1_14partition_implILS5_9ELb0ES3_jPlS8_PNS0_10empty_typeENS0_5tupleIJS8_S9_EEENSB_IJS8_SA_EEENS0_18inequality_wrapperIZN2at6native12_GLOBAL__N_124unique_dim_cuda_templateIiEESt5tupleIJNSF_6TensorESK_SK_EERKSK_lbbbEUlllE0_EEPmJS9_EEE10hipError_tPvRmT3_T4_T5_T6_T7_T9_mT8_P12ihipStream_tbDpT10_ENKUlT_T0_E_clISt17integral_constantIbLb0EES1A_EEDaS15_S16_EUlS15_E_NS1_11comp_targetILNS1_3genE3ELNS1_11target_archE908ELNS1_3gpuE7ELNS1_3repE0EEENS1_30default_config_static_selectorELNS0_4arch9wavefront6targetE1EEEvT1_.uses_vcc, 0
	.set _ZN7rocprim17ROCPRIM_400000_NS6detail17trampoline_kernelINS0_14default_configENS1_25partition_config_selectorILNS1_17partition_subalgoE9EllbEEZZNS1_14partition_implILS5_9ELb0ES3_jPlS8_PNS0_10empty_typeENS0_5tupleIJS8_S9_EEENSB_IJS8_SA_EEENS0_18inequality_wrapperIZN2at6native12_GLOBAL__N_124unique_dim_cuda_templateIiEESt5tupleIJNSF_6TensorESK_SK_EERKSK_lbbbEUlllE0_EEPmJS9_EEE10hipError_tPvRmT3_T4_T5_T6_T7_T9_mT8_P12ihipStream_tbDpT10_ENKUlT_T0_E_clISt17integral_constantIbLb0EES1A_EEDaS15_S16_EUlS15_E_NS1_11comp_targetILNS1_3genE3ELNS1_11target_archE908ELNS1_3gpuE7ELNS1_3repE0EEENS1_30default_config_static_selectorELNS0_4arch9wavefront6targetE1EEEvT1_.uses_flat_scratch, 0
	.set _ZN7rocprim17ROCPRIM_400000_NS6detail17trampoline_kernelINS0_14default_configENS1_25partition_config_selectorILNS1_17partition_subalgoE9EllbEEZZNS1_14partition_implILS5_9ELb0ES3_jPlS8_PNS0_10empty_typeENS0_5tupleIJS8_S9_EEENSB_IJS8_SA_EEENS0_18inequality_wrapperIZN2at6native12_GLOBAL__N_124unique_dim_cuda_templateIiEESt5tupleIJNSF_6TensorESK_SK_EERKSK_lbbbEUlllE0_EEPmJS9_EEE10hipError_tPvRmT3_T4_T5_T6_T7_T9_mT8_P12ihipStream_tbDpT10_ENKUlT_T0_E_clISt17integral_constantIbLb0EES1A_EEDaS15_S16_EUlS15_E_NS1_11comp_targetILNS1_3genE3ELNS1_11target_archE908ELNS1_3gpuE7ELNS1_3repE0EEENS1_30default_config_static_selectorELNS0_4arch9wavefront6targetE1EEEvT1_.has_dyn_sized_stack, 0
	.set _ZN7rocprim17ROCPRIM_400000_NS6detail17trampoline_kernelINS0_14default_configENS1_25partition_config_selectorILNS1_17partition_subalgoE9EllbEEZZNS1_14partition_implILS5_9ELb0ES3_jPlS8_PNS0_10empty_typeENS0_5tupleIJS8_S9_EEENSB_IJS8_SA_EEENS0_18inequality_wrapperIZN2at6native12_GLOBAL__N_124unique_dim_cuda_templateIiEESt5tupleIJNSF_6TensorESK_SK_EERKSK_lbbbEUlllE0_EEPmJS9_EEE10hipError_tPvRmT3_T4_T5_T6_T7_T9_mT8_P12ihipStream_tbDpT10_ENKUlT_T0_E_clISt17integral_constantIbLb0EES1A_EEDaS15_S16_EUlS15_E_NS1_11comp_targetILNS1_3genE3ELNS1_11target_archE908ELNS1_3gpuE7ELNS1_3repE0EEENS1_30default_config_static_selectorELNS0_4arch9wavefront6targetE1EEEvT1_.has_recursion, 0
	.set _ZN7rocprim17ROCPRIM_400000_NS6detail17trampoline_kernelINS0_14default_configENS1_25partition_config_selectorILNS1_17partition_subalgoE9EllbEEZZNS1_14partition_implILS5_9ELb0ES3_jPlS8_PNS0_10empty_typeENS0_5tupleIJS8_S9_EEENSB_IJS8_SA_EEENS0_18inequality_wrapperIZN2at6native12_GLOBAL__N_124unique_dim_cuda_templateIiEESt5tupleIJNSF_6TensorESK_SK_EERKSK_lbbbEUlllE0_EEPmJS9_EEE10hipError_tPvRmT3_T4_T5_T6_T7_T9_mT8_P12ihipStream_tbDpT10_ENKUlT_T0_E_clISt17integral_constantIbLb0EES1A_EEDaS15_S16_EUlS15_E_NS1_11comp_targetILNS1_3genE3ELNS1_11target_archE908ELNS1_3gpuE7ELNS1_3repE0EEENS1_30default_config_static_selectorELNS0_4arch9wavefront6targetE1EEEvT1_.has_indirect_call, 0
	.section	.AMDGPU.csdata,"",@progbits
; Kernel info:
; codeLenInByte = 0
; TotalNumSgprs: 6
; NumVgprs: 0
; NumAgprs: 0
; TotalNumVgprs: 0
; ScratchSize: 0
; MemoryBound: 0
; FloatMode: 240
; IeeeMode: 1
; LDSByteSize: 0 bytes/workgroup (compile time only)
; SGPRBlocks: 0
; VGPRBlocks: 0
; NumSGPRsForWavesPerEU: 6
; NumVGPRsForWavesPerEU: 1
; AccumOffset: 4
; Occupancy: 8
; WaveLimiterHint : 0
; COMPUTE_PGM_RSRC2:SCRATCH_EN: 0
; COMPUTE_PGM_RSRC2:USER_SGPR: 2
; COMPUTE_PGM_RSRC2:TRAP_HANDLER: 0
; COMPUTE_PGM_RSRC2:TGID_X_EN: 1
; COMPUTE_PGM_RSRC2:TGID_Y_EN: 0
; COMPUTE_PGM_RSRC2:TGID_Z_EN: 0
; COMPUTE_PGM_RSRC2:TIDIG_COMP_CNT: 0
; COMPUTE_PGM_RSRC3_GFX90A:ACCUM_OFFSET: 0
; COMPUTE_PGM_RSRC3_GFX90A:TG_SPLIT: 0
	.section	.text._ZN7rocprim17ROCPRIM_400000_NS6detail17trampoline_kernelINS0_14default_configENS1_25partition_config_selectorILNS1_17partition_subalgoE9EllbEEZZNS1_14partition_implILS5_9ELb0ES3_jPlS8_PNS0_10empty_typeENS0_5tupleIJS8_S9_EEENSB_IJS8_SA_EEENS0_18inequality_wrapperIZN2at6native12_GLOBAL__N_124unique_dim_cuda_templateIiEESt5tupleIJNSF_6TensorESK_SK_EERKSK_lbbbEUlllE0_EEPmJS9_EEE10hipError_tPvRmT3_T4_T5_T6_T7_T9_mT8_P12ihipStream_tbDpT10_ENKUlT_T0_E_clISt17integral_constantIbLb0EES1A_EEDaS15_S16_EUlS15_E_NS1_11comp_targetILNS1_3genE2ELNS1_11target_archE906ELNS1_3gpuE6ELNS1_3repE0EEENS1_30default_config_static_selectorELNS0_4arch9wavefront6targetE1EEEvT1_,"axG",@progbits,_ZN7rocprim17ROCPRIM_400000_NS6detail17trampoline_kernelINS0_14default_configENS1_25partition_config_selectorILNS1_17partition_subalgoE9EllbEEZZNS1_14partition_implILS5_9ELb0ES3_jPlS8_PNS0_10empty_typeENS0_5tupleIJS8_S9_EEENSB_IJS8_SA_EEENS0_18inequality_wrapperIZN2at6native12_GLOBAL__N_124unique_dim_cuda_templateIiEESt5tupleIJNSF_6TensorESK_SK_EERKSK_lbbbEUlllE0_EEPmJS9_EEE10hipError_tPvRmT3_T4_T5_T6_T7_T9_mT8_P12ihipStream_tbDpT10_ENKUlT_T0_E_clISt17integral_constantIbLb0EES1A_EEDaS15_S16_EUlS15_E_NS1_11comp_targetILNS1_3genE2ELNS1_11target_archE906ELNS1_3gpuE6ELNS1_3repE0EEENS1_30default_config_static_selectorELNS0_4arch9wavefront6targetE1EEEvT1_,comdat
	.globl	_ZN7rocprim17ROCPRIM_400000_NS6detail17trampoline_kernelINS0_14default_configENS1_25partition_config_selectorILNS1_17partition_subalgoE9EllbEEZZNS1_14partition_implILS5_9ELb0ES3_jPlS8_PNS0_10empty_typeENS0_5tupleIJS8_S9_EEENSB_IJS8_SA_EEENS0_18inequality_wrapperIZN2at6native12_GLOBAL__N_124unique_dim_cuda_templateIiEESt5tupleIJNSF_6TensorESK_SK_EERKSK_lbbbEUlllE0_EEPmJS9_EEE10hipError_tPvRmT3_T4_T5_T6_T7_T9_mT8_P12ihipStream_tbDpT10_ENKUlT_T0_E_clISt17integral_constantIbLb0EES1A_EEDaS15_S16_EUlS15_E_NS1_11comp_targetILNS1_3genE2ELNS1_11target_archE906ELNS1_3gpuE6ELNS1_3repE0EEENS1_30default_config_static_selectorELNS0_4arch9wavefront6targetE1EEEvT1_ ; -- Begin function _ZN7rocprim17ROCPRIM_400000_NS6detail17trampoline_kernelINS0_14default_configENS1_25partition_config_selectorILNS1_17partition_subalgoE9EllbEEZZNS1_14partition_implILS5_9ELb0ES3_jPlS8_PNS0_10empty_typeENS0_5tupleIJS8_S9_EEENSB_IJS8_SA_EEENS0_18inequality_wrapperIZN2at6native12_GLOBAL__N_124unique_dim_cuda_templateIiEESt5tupleIJNSF_6TensorESK_SK_EERKSK_lbbbEUlllE0_EEPmJS9_EEE10hipError_tPvRmT3_T4_T5_T6_T7_T9_mT8_P12ihipStream_tbDpT10_ENKUlT_T0_E_clISt17integral_constantIbLb0EES1A_EEDaS15_S16_EUlS15_E_NS1_11comp_targetILNS1_3genE2ELNS1_11target_archE906ELNS1_3gpuE6ELNS1_3repE0EEENS1_30default_config_static_selectorELNS0_4arch9wavefront6targetE1EEEvT1_
	.p2align	8
	.type	_ZN7rocprim17ROCPRIM_400000_NS6detail17trampoline_kernelINS0_14default_configENS1_25partition_config_selectorILNS1_17partition_subalgoE9EllbEEZZNS1_14partition_implILS5_9ELb0ES3_jPlS8_PNS0_10empty_typeENS0_5tupleIJS8_S9_EEENSB_IJS8_SA_EEENS0_18inequality_wrapperIZN2at6native12_GLOBAL__N_124unique_dim_cuda_templateIiEESt5tupleIJNSF_6TensorESK_SK_EERKSK_lbbbEUlllE0_EEPmJS9_EEE10hipError_tPvRmT3_T4_T5_T6_T7_T9_mT8_P12ihipStream_tbDpT10_ENKUlT_T0_E_clISt17integral_constantIbLb0EES1A_EEDaS15_S16_EUlS15_E_NS1_11comp_targetILNS1_3genE2ELNS1_11target_archE906ELNS1_3gpuE6ELNS1_3repE0EEENS1_30default_config_static_selectorELNS0_4arch9wavefront6targetE1EEEvT1_,@function
_ZN7rocprim17ROCPRIM_400000_NS6detail17trampoline_kernelINS0_14default_configENS1_25partition_config_selectorILNS1_17partition_subalgoE9EllbEEZZNS1_14partition_implILS5_9ELb0ES3_jPlS8_PNS0_10empty_typeENS0_5tupleIJS8_S9_EEENSB_IJS8_SA_EEENS0_18inequality_wrapperIZN2at6native12_GLOBAL__N_124unique_dim_cuda_templateIiEESt5tupleIJNSF_6TensorESK_SK_EERKSK_lbbbEUlllE0_EEPmJS9_EEE10hipError_tPvRmT3_T4_T5_T6_T7_T9_mT8_P12ihipStream_tbDpT10_ENKUlT_T0_E_clISt17integral_constantIbLb0EES1A_EEDaS15_S16_EUlS15_E_NS1_11comp_targetILNS1_3genE2ELNS1_11target_archE906ELNS1_3gpuE6ELNS1_3repE0EEENS1_30default_config_static_selectorELNS0_4arch9wavefront6targetE1EEEvT1_: ; @_ZN7rocprim17ROCPRIM_400000_NS6detail17trampoline_kernelINS0_14default_configENS1_25partition_config_selectorILNS1_17partition_subalgoE9EllbEEZZNS1_14partition_implILS5_9ELb0ES3_jPlS8_PNS0_10empty_typeENS0_5tupleIJS8_S9_EEENSB_IJS8_SA_EEENS0_18inequality_wrapperIZN2at6native12_GLOBAL__N_124unique_dim_cuda_templateIiEESt5tupleIJNSF_6TensorESK_SK_EERKSK_lbbbEUlllE0_EEPmJS9_EEE10hipError_tPvRmT3_T4_T5_T6_T7_T9_mT8_P12ihipStream_tbDpT10_ENKUlT_T0_E_clISt17integral_constantIbLb0EES1A_EEDaS15_S16_EUlS15_E_NS1_11comp_targetILNS1_3genE2ELNS1_11target_archE906ELNS1_3gpuE6ELNS1_3repE0EEENS1_30default_config_static_selectorELNS0_4arch9wavefront6targetE1EEEvT1_
; %bb.0:
	.section	.rodata,"a",@progbits
	.p2align	6, 0x0
	.amdhsa_kernel _ZN7rocprim17ROCPRIM_400000_NS6detail17trampoline_kernelINS0_14default_configENS1_25partition_config_selectorILNS1_17partition_subalgoE9EllbEEZZNS1_14partition_implILS5_9ELb0ES3_jPlS8_PNS0_10empty_typeENS0_5tupleIJS8_S9_EEENSB_IJS8_SA_EEENS0_18inequality_wrapperIZN2at6native12_GLOBAL__N_124unique_dim_cuda_templateIiEESt5tupleIJNSF_6TensorESK_SK_EERKSK_lbbbEUlllE0_EEPmJS9_EEE10hipError_tPvRmT3_T4_T5_T6_T7_T9_mT8_P12ihipStream_tbDpT10_ENKUlT_T0_E_clISt17integral_constantIbLb0EES1A_EEDaS15_S16_EUlS15_E_NS1_11comp_targetILNS1_3genE2ELNS1_11target_archE906ELNS1_3gpuE6ELNS1_3repE0EEENS1_30default_config_static_selectorELNS0_4arch9wavefront6targetE1EEEvT1_
		.amdhsa_group_segment_fixed_size 0
		.amdhsa_private_segment_fixed_size 0
		.amdhsa_kernarg_size 120
		.amdhsa_user_sgpr_count 2
		.amdhsa_user_sgpr_dispatch_ptr 0
		.amdhsa_user_sgpr_queue_ptr 0
		.amdhsa_user_sgpr_kernarg_segment_ptr 1
		.amdhsa_user_sgpr_dispatch_id 0
		.amdhsa_user_sgpr_kernarg_preload_length 0
		.amdhsa_user_sgpr_kernarg_preload_offset 0
		.amdhsa_user_sgpr_private_segment_size 0
		.amdhsa_uses_dynamic_stack 0
		.amdhsa_enable_private_segment 0
		.amdhsa_system_sgpr_workgroup_id_x 1
		.amdhsa_system_sgpr_workgroup_id_y 0
		.amdhsa_system_sgpr_workgroup_id_z 0
		.amdhsa_system_sgpr_workgroup_info 0
		.amdhsa_system_vgpr_workitem_id 0
		.amdhsa_next_free_vgpr 1
		.amdhsa_next_free_sgpr 0
		.amdhsa_accum_offset 4
		.amdhsa_reserve_vcc 0
		.amdhsa_float_round_mode_32 0
		.amdhsa_float_round_mode_16_64 0
		.amdhsa_float_denorm_mode_32 3
		.amdhsa_float_denorm_mode_16_64 3
		.amdhsa_dx10_clamp 1
		.amdhsa_ieee_mode 1
		.amdhsa_fp16_overflow 0
		.amdhsa_tg_split 0
		.amdhsa_exception_fp_ieee_invalid_op 0
		.amdhsa_exception_fp_denorm_src 0
		.amdhsa_exception_fp_ieee_div_zero 0
		.amdhsa_exception_fp_ieee_overflow 0
		.amdhsa_exception_fp_ieee_underflow 0
		.amdhsa_exception_fp_ieee_inexact 0
		.amdhsa_exception_int_div_zero 0
	.end_amdhsa_kernel
	.section	.text._ZN7rocprim17ROCPRIM_400000_NS6detail17trampoline_kernelINS0_14default_configENS1_25partition_config_selectorILNS1_17partition_subalgoE9EllbEEZZNS1_14partition_implILS5_9ELb0ES3_jPlS8_PNS0_10empty_typeENS0_5tupleIJS8_S9_EEENSB_IJS8_SA_EEENS0_18inequality_wrapperIZN2at6native12_GLOBAL__N_124unique_dim_cuda_templateIiEESt5tupleIJNSF_6TensorESK_SK_EERKSK_lbbbEUlllE0_EEPmJS9_EEE10hipError_tPvRmT3_T4_T5_T6_T7_T9_mT8_P12ihipStream_tbDpT10_ENKUlT_T0_E_clISt17integral_constantIbLb0EES1A_EEDaS15_S16_EUlS15_E_NS1_11comp_targetILNS1_3genE2ELNS1_11target_archE906ELNS1_3gpuE6ELNS1_3repE0EEENS1_30default_config_static_selectorELNS0_4arch9wavefront6targetE1EEEvT1_,"axG",@progbits,_ZN7rocprim17ROCPRIM_400000_NS6detail17trampoline_kernelINS0_14default_configENS1_25partition_config_selectorILNS1_17partition_subalgoE9EllbEEZZNS1_14partition_implILS5_9ELb0ES3_jPlS8_PNS0_10empty_typeENS0_5tupleIJS8_S9_EEENSB_IJS8_SA_EEENS0_18inequality_wrapperIZN2at6native12_GLOBAL__N_124unique_dim_cuda_templateIiEESt5tupleIJNSF_6TensorESK_SK_EERKSK_lbbbEUlllE0_EEPmJS9_EEE10hipError_tPvRmT3_T4_T5_T6_T7_T9_mT8_P12ihipStream_tbDpT10_ENKUlT_T0_E_clISt17integral_constantIbLb0EES1A_EEDaS15_S16_EUlS15_E_NS1_11comp_targetILNS1_3genE2ELNS1_11target_archE906ELNS1_3gpuE6ELNS1_3repE0EEENS1_30default_config_static_selectorELNS0_4arch9wavefront6targetE1EEEvT1_,comdat
.Lfunc_end477:
	.size	_ZN7rocprim17ROCPRIM_400000_NS6detail17trampoline_kernelINS0_14default_configENS1_25partition_config_selectorILNS1_17partition_subalgoE9EllbEEZZNS1_14partition_implILS5_9ELb0ES3_jPlS8_PNS0_10empty_typeENS0_5tupleIJS8_S9_EEENSB_IJS8_SA_EEENS0_18inequality_wrapperIZN2at6native12_GLOBAL__N_124unique_dim_cuda_templateIiEESt5tupleIJNSF_6TensorESK_SK_EERKSK_lbbbEUlllE0_EEPmJS9_EEE10hipError_tPvRmT3_T4_T5_T6_T7_T9_mT8_P12ihipStream_tbDpT10_ENKUlT_T0_E_clISt17integral_constantIbLb0EES1A_EEDaS15_S16_EUlS15_E_NS1_11comp_targetILNS1_3genE2ELNS1_11target_archE906ELNS1_3gpuE6ELNS1_3repE0EEENS1_30default_config_static_selectorELNS0_4arch9wavefront6targetE1EEEvT1_, .Lfunc_end477-_ZN7rocprim17ROCPRIM_400000_NS6detail17trampoline_kernelINS0_14default_configENS1_25partition_config_selectorILNS1_17partition_subalgoE9EllbEEZZNS1_14partition_implILS5_9ELb0ES3_jPlS8_PNS0_10empty_typeENS0_5tupleIJS8_S9_EEENSB_IJS8_SA_EEENS0_18inequality_wrapperIZN2at6native12_GLOBAL__N_124unique_dim_cuda_templateIiEESt5tupleIJNSF_6TensorESK_SK_EERKSK_lbbbEUlllE0_EEPmJS9_EEE10hipError_tPvRmT3_T4_T5_T6_T7_T9_mT8_P12ihipStream_tbDpT10_ENKUlT_T0_E_clISt17integral_constantIbLb0EES1A_EEDaS15_S16_EUlS15_E_NS1_11comp_targetILNS1_3genE2ELNS1_11target_archE906ELNS1_3gpuE6ELNS1_3repE0EEENS1_30default_config_static_selectorELNS0_4arch9wavefront6targetE1EEEvT1_
                                        ; -- End function
	.set _ZN7rocprim17ROCPRIM_400000_NS6detail17trampoline_kernelINS0_14default_configENS1_25partition_config_selectorILNS1_17partition_subalgoE9EllbEEZZNS1_14partition_implILS5_9ELb0ES3_jPlS8_PNS0_10empty_typeENS0_5tupleIJS8_S9_EEENSB_IJS8_SA_EEENS0_18inequality_wrapperIZN2at6native12_GLOBAL__N_124unique_dim_cuda_templateIiEESt5tupleIJNSF_6TensorESK_SK_EERKSK_lbbbEUlllE0_EEPmJS9_EEE10hipError_tPvRmT3_T4_T5_T6_T7_T9_mT8_P12ihipStream_tbDpT10_ENKUlT_T0_E_clISt17integral_constantIbLb0EES1A_EEDaS15_S16_EUlS15_E_NS1_11comp_targetILNS1_3genE2ELNS1_11target_archE906ELNS1_3gpuE6ELNS1_3repE0EEENS1_30default_config_static_selectorELNS0_4arch9wavefront6targetE1EEEvT1_.num_vgpr, 0
	.set _ZN7rocprim17ROCPRIM_400000_NS6detail17trampoline_kernelINS0_14default_configENS1_25partition_config_selectorILNS1_17partition_subalgoE9EllbEEZZNS1_14partition_implILS5_9ELb0ES3_jPlS8_PNS0_10empty_typeENS0_5tupleIJS8_S9_EEENSB_IJS8_SA_EEENS0_18inequality_wrapperIZN2at6native12_GLOBAL__N_124unique_dim_cuda_templateIiEESt5tupleIJNSF_6TensorESK_SK_EERKSK_lbbbEUlllE0_EEPmJS9_EEE10hipError_tPvRmT3_T4_T5_T6_T7_T9_mT8_P12ihipStream_tbDpT10_ENKUlT_T0_E_clISt17integral_constantIbLb0EES1A_EEDaS15_S16_EUlS15_E_NS1_11comp_targetILNS1_3genE2ELNS1_11target_archE906ELNS1_3gpuE6ELNS1_3repE0EEENS1_30default_config_static_selectorELNS0_4arch9wavefront6targetE1EEEvT1_.num_agpr, 0
	.set _ZN7rocprim17ROCPRIM_400000_NS6detail17trampoline_kernelINS0_14default_configENS1_25partition_config_selectorILNS1_17partition_subalgoE9EllbEEZZNS1_14partition_implILS5_9ELb0ES3_jPlS8_PNS0_10empty_typeENS0_5tupleIJS8_S9_EEENSB_IJS8_SA_EEENS0_18inequality_wrapperIZN2at6native12_GLOBAL__N_124unique_dim_cuda_templateIiEESt5tupleIJNSF_6TensorESK_SK_EERKSK_lbbbEUlllE0_EEPmJS9_EEE10hipError_tPvRmT3_T4_T5_T6_T7_T9_mT8_P12ihipStream_tbDpT10_ENKUlT_T0_E_clISt17integral_constantIbLb0EES1A_EEDaS15_S16_EUlS15_E_NS1_11comp_targetILNS1_3genE2ELNS1_11target_archE906ELNS1_3gpuE6ELNS1_3repE0EEENS1_30default_config_static_selectorELNS0_4arch9wavefront6targetE1EEEvT1_.numbered_sgpr, 0
	.set _ZN7rocprim17ROCPRIM_400000_NS6detail17trampoline_kernelINS0_14default_configENS1_25partition_config_selectorILNS1_17partition_subalgoE9EllbEEZZNS1_14partition_implILS5_9ELb0ES3_jPlS8_PNS0_10empty_typeENS0_5tupleIJS8_S9_EEENSB_IJS8_SA_EEENS0_18inequality_wrapperIZN2at6native12_GLOBAL__N_124unique_dim_cuda_templateIiEESt5tupleIJNSF_6TensorESK_SK_EERKSK_lbbbEUlllE0_EEPmJS9_EEE10hipError_tPvRmT3_T4_T5_T6_T7_T9_mT8_P12ihipStream_tbDpT10_ENKUlT_T0_E_clISt17integral_constantIbLb0EES1A_EEDaS15_S16_EUlS15_E_NS1_11comp_targetILNS1_3genE2ELNS1_11target_archE906ELNS1_3gpuE6ELNS1_3repE0EEENS1_30default_config_static_selectorELNS0_4arch9wavefront6targetE1EEEvT1_.num_named_barrier, 0
	.set _ZN7rocprim17ROCPRIM_400000_NS6detail17trampoline_kernelINS0_14default_configENS1_25partition_config_selectorILNS1_17partition_subalgoE9EllbEEZZNS1_14partition_implILS5_9ELb0ES3_jPlS8_PNS0_10empty_typeENS0_5tupleIJS8_S9_EEENSB_IJS8_SA_EEENS0_18inequality_wrapperIZN2at6native12_GLOBAL__N_124unique_dim_cuda_templateIiEESt5tupleIJNSF_6TensorESK_SK_EERKSK_lbbbEUlllE0_EEPmJS9_EEE10hipError_tPvRmT3_T4_T5_T6_T7_T9_mT8_P12ihipStream_tbDpT10_ENKUlT_T0_E_clISt17integral_constantIbLb0EES1A_EEDaS15_S16_EUlS15_E_NS1_11comp_targetILNS1_3genE2ELNS1_11target_archE906ELNS1_3gpuE6ELNS1_3repE0EEENS1_30default_config_static_selectorELNS0_4arch9wavefront6targetE1EEEvT1_.private_seg_size, 0
	.set _ZN7rocprim17ROCPRIM_400000_NS6detail17trampoline_kernelINS0_14default_configENS1_25partition_config_selectorILNS1_17partition_subalgoE9EllbEEZZNS1_14partition_implILS5_9ELb0ES3_jPlS8_PNS0_10empty_typeENS0_5tupleIJS8_S9_EEENSB_IJS8_SA_EEENS0_18inequality_wrapperIZN2at6native12_GLOBAL__N_124unique_dim_cuda_templateIiEESt5tupleIJNSF_6TensorESK_SK_EERKSK_lbbbEUlllE0_EEPmJS9_EEE10hipError_tPvRmT3_T4_T5_T6_T7_T9_mT8_P12ihipStream_tbDpT10_ENKUlT_T0_E_clISt17integral_constantIbLb0EES1A_EEDaS15_S16_EUlS15_E_NS1_11comp_targetILNS1_3genE2ELNS1_11target_archE906ELNS1_3gpuE6ELNS1_3repE0EEENS1_30default_config_static_selectorELNS0_4arch9wavefront6targetE1EEEvT1_.uses_vcc, 0
	.set _ZN7rocprim17ROCPRIM_400000_NS6detail17trampoline_kernelINS0_14default_configENS1_25partition_config_selectorILNS1_17partition_subalgoE9EllbEEZZNS1_14partition_implILS5_9ELb0ES3_jPlS8_PNS0_10empty_typeENS0_5tupleIJS8_S9_EEENSB_IJS8_SA_EEENS0_18inequality_wrapperIZN2at6native12_GLOBAL__N_124unique_dim_cuda_templateIiEESt5tupleIJNSF_6TensorESK_SK_EERKSK_lbbbEUlllE0_EEPmJS9_EEE10hipError_tPvRmT3_T4_T5_T6_T7_T9_mT8_P12ihipStream_tbDpT10_ENKUlT_T0_E_clISt17integral_constantIbLb0EES1A_EEDaS15_S16_EUlS15_E_NS1_11comp_targetILNS1_3genE2ELNS1_11target_archE906ELNS1_3gpuE6ELNS1_3repE0EEENS1_30default_config_static_selectorELNS0_4arch9wavefront6targetE1EEEvT1_.uses_flat_scratch, 0
	.set _ZN7rocprim17ROCPRIM_400000_NS6detail17trampoline_kernelINS0_14default_configENS1_25partition_config_selectorILNS1_17partition_subalgoE9EllbEEZZNS1_14partition_implILS5_9ELb0ES3_jPlS8_PNS0_10empty_typeENS0_5tupleIJS8_S9_EEENSB_IJS8_SA_EEENS0_18inequality_wrapperIZN2at6native12_GLOBAL__N_124unique_dim_cuda_templateIiEESt5tupleIJNSF_6TensorESK_SK_EERKSK_lbbbEUlllE0_EEPmJS9_EEE10hipError_tPvRmT3_T4_T5_T6_T7_T9_mT8_P12ihipStream_tbDpT10_ENKUlT_T0_E_clISt17integral_constantIbLb0EES1A_EEDaS15_S16_EUlS15_E_NS1_11comp_targetILNS1_3genE2ELNS1_11target_archE906ELNS1_3gpuE6ELNS1_3repE0EEENS1_30default_config_static_selectorELNS0_4arch9wavefront6targetE1EEEvT1_.has_dyn_sized_stack, 0
	.set _ZN7rocprim17ROCPRIM_400000_NS6detail17trampoline_kernelINS0_14default_configENS1_25partition_config_selectorILNS1_17partition_subalgoE9EllbEEZZNS1_14partition_implILS5_9ELb0ES3_jPlS8_PNS0_10empty_typeENS0_5tupleIJS8_S9_EEENSB_IJS8_SA_EEENS0_18inequality_wrapperIZN2at6native12_GLOBAL__N_124unique_dim_cuda_templateIiEESt5tupleIJNSF_6TensorESK_SK_EERKSK_lbbbEUlllE0_EEPmJS9_EEE10hipError_tPvRmT3_T4_T5_T6_T7_T9_mT8_P12ihipStream_tbDpT10_ENKUlT_T0_E_clISt17integral_constantIbLb0EES1A_EEDaS15_S16_EUlS15_E_NS1_11comp_targetILNS1_3genE2ELNS1_11target_archE906ELNS1_3gpuE6ELNS1_3repE0EEENS1_30default_config_static_selectorELNS0_4arch9wavefront6targetE1EEEvT1_.has_recursion, 0
	.set _ZN7rocprim17ROCPRIM_400000_NS6detail17trampoline_kernelINS0_14default_configENS1_25partition_config_selectorILNS1_17partition_subalgoE9EllbEEZZNS1_14partition_implILS5_9ELb0ES3_jPlS8_PNS0_10empty_typeENS0_5tupleIJS8_S9_EEENSB_IJS8_SA_EEENS0_18inequality_wrapperIZN2at6native12_GLOBAL__N_124unique_dim_cuda_templateIiEESt5tupleIJNSF_6TensorESK_SK_EERKSK_lbbbEUlllE0_EEPmJS9_EEE10hipError_tPvRmT3_T4_T5_T6_T7_T9_mT8_P12ihipStream_tbDpT10_ENKUlT_T0_E_clISt17integral_constantIbLb0EES1A_EEDaS15_S16_EUlS15_E_NS1_11comp_targetILNS1_3genE2ELNS1_11target_archE906ELNS1_3gpuE6ELNS1_3repE0EEENS1_30default_config_static_selectorELNS0_4arch9wavefront6targetE1EEEvT1_.has_indirect_call, 0
	.section	.AMDGPU.csdata,"",@progbits
; Kernel info:
; codeLenInByte = 0
; TotalNumSgprs: 6
; NumVgprs: 0
; NumAgprs: 0
; TotalNumVgprs: 0
; ScratchSize: 0
; MemoryBound: 0
; FloatMode: 240
; IeeeMode: 1
; LDSByteSize: 0 bytes/workgroup (compile time only)
; SGPRBlocks: 0
; VGPRBlocks: 0
; NumSGPRsForWavesPerEU: 6
; NumVGPRsForWavesPerEU: 1
; AccumOffset: 4
; Occupancy: 8
; WaveLimiterHint : 0
; COMPUTE_PGM_RSRC2:SCRATCH_EN: 0
; COMPUTE_PGM_RSRC2:USER_SGPR: 2
; COMPUTE_PGM_RSRC2:TRAP_HANDLER: 0
; COMPUTE_PGM_RSRC2:TGID_X_EN: 1
; COMPUTE_PGM_RSRC2:TGID_Y_EN: 0
; COMPUTE_PGM_RSRC2:TGID_Z_EN: 0
; COMPUTE_PGM_RSRC2:TIDIG_COMP_CNT: 0
; COMPUTE_PGM_RSRC3_GFX90A:ACCUM_OFFSET: 0
; COMPUTE_PGM_RSRC3_GFX90A:TG_SPLIT: 0
	.section	.text._ZN7rocprim17ROCPRIM_400000_NS6detail17trampoline_kernelINS0_14default_configENS1_25partition_config_selectorILNS1_17partition_subalgoE9EllbEEZZNS1_14partition_implILS5_9ELb0ES3_jPlS8_PNS0_10empty_typeENS0_5tupleIJS8_S9_EEENSB_IJS8_SA_EEENS0_18inequality_wrapperIZN2at6native12_GLOBAL__N_124unique_dim_cuda_templateIiEESt5tupleIJNSF_6TensorESK_SK_EERKSK_lbbbEUlllE0_EEPmJS9_EEE10hipError_tPvRmT3_T4_T5_T6_T7_T9_mT8_P12ihipStream_tbDpT10_ENKUlT_T0_E_clISt17integral_constantIbLb0EES1A_EEDaS15_S16_EUlS15_E_NS1_11comp_targetILNS1_3genE10ELNS1_11target_archE1200ELNS1_3gpuE4ELNS1_3repE0EEENS1_30default_config_static_selectorELNS0_4arch9wavefront6targetE1EEEvT1_,"axG",@progbits,_ZN7rocprim17ROCPRIM_400000_NS6detail17trampoline_kernelINS0_14default_configENS1_25partition_config_selectorILNS1_17partition_subalgoE9EllbEEZZNS1_14partition_implILS5_9ELb0ES3_jPlS8_PNS0_10empty_typeENS0_5tupleIJS8_S9_EEENSB_IJS8_SA_EEENS0_18inequality_wrapperIZN2at6native12_GLOBAL__N_124unique_dim_cuda_templateIiEESt5tupleIJNSF_6TensorESK_SK_EERKSK_lbbbEUlllE0_EEPmJS9_EEE10hipError_tPvRmT3_T4_T5_T6_T7_T9_mT8_P12ihipStream_tbDpT10_ENKUlT_T0_E_clISt17integral_constantIbLb0EES1A_EEDaS15_S16_EUlS15_E_NS1_11comp_targetILNS1_3genE10ELNS1_11target_archE1200ELNS1_3gpuE4ELNS1_3repE0EEENS1_30default_config_static_selectorELNS0_4arch9wavefront6targetE1EEEvT1_,comdat
	.globl	_ZN7rocprim17ROCPRIM_400000_NS6detail17trampoline_kernelINS0_14default_configENS1_25partition_config_selectorILNS1_17partition_subalgoE9EllbEEZZNS1_14partition_implILS5_9ELb0ES3_jPlS8_PNS0_10empty_typeENS0_5tupleIJS8_S9_EEENSB_IJS8_SA_EEENS0_18inequality_wrapperIZN2at6native12_GLOBAL__N_124unique_dim_cuda_templateIiEESt5tupleIJNSF_6TensorESK_SK_EERKSK_lbbbEUlllE0_EEPmJS9_EEE10hipError_tPvRmT3_T4_T5_T6_T7_T9_mT8_P12ihipStream_tbDpT10_ENKUlT_T0_E_clISt17integral_constantIbLb0EES1A_EEDaS15_S16_EUlS15_E_NS1_11comp_targetILNS1_3genE10ELNS1_11target_archE1200ELNS1_3gpuE4ELNS1_3repE0EEENS1_30default_config_static_selectorELNS0_4arch9wavefront6targetE1EEEvT1_ ; -- Begin function _ZN7rocprim17ROCPRIM_400000_NS6detail17trampoline_kernelINS0_14default_configENS1_25partition_config_selectorILNS1_17partition_subalgoE9EllbEEZZNS1_14partition_implILS5_9ELb0ES3_jPlS8_PNS0_10empty_typeENS0_5tupleIJS8_S9_EEENSB_IJS8_SA_EEENS0_18inequality_wrapperIZN2at6native12_GLOBAL__N_124unique_dim_cuda_templateIiEESt5tupleIJNSF_6TensorESK_SK_EERKSK_lbbbEUlllE0_EEPmJS9_EEE10hipError_tPvRmT3_T4_T5_T6_T7_T9_mT8_P12ihipStream_tbDpT10_ENKUlT_T0_E_clISt17integral_constantIbLb0EES1A_EEDaS15_S16_EUlS15_E_NS1_11comp_targetILNS1_3genE10ELNS1_11target_archE1200ELNS1_3gpuE4ELNS1_3repE0EEENS1_30default_config_static_selectorELNS0_4arch9wavefront6targetE1EEEvT1_
	.p2align	8
	.type	_ZN7rocprim17ROCPRIM_400000_NS6detail17trampoline_kernelINS0_14default_configENS1_25partition_config_selectorILNS1_17partition_subalgoE9EllbEEZZNS1_14partition_implILS5_9ELb0ES3_jPlS8_PNS0_10empty_typeENS0_5tupleIJS8_S9_EEENSB_IJS8_SA_EEENS0_18inequality_wrapperIZN2at6native12_GLOBAL__N_124unique_dim_cuda_templateIiEESt5tupleIJNSF_6TensorESK_SK_EERKSK_lbbbEUlllE0_EEPmJS9_EEE10hipError_tPvRmT3_T4_T5_T6_T7_T9_mT8_P12ihipStream_tbDpT10_ENKUlT_T0_E_clISt17integral_constantIbLb0EES1A_EEDaS15_S16_EUlS15_E_NS1_11comp_targetILNS1_3genE10ELNS1_11target_archE1200ELNS1_3gpuE4ELNS1_3repE0EEENS1_30default_config_static_selectorELNS0_4arch9wavefront6targetE1EEEvT1_,@function
_ZN7rocprim17ROCPRIM_400000_NS6detail17trampoline_kernelINS0_14default_configENS1_25partition_config_selectorILNS1_17partition_subalgoE9EllbEEZZNS1_14partition_implILS5_9ELb0ES3_jPlS8_PNS0_10empty_typeENS0_5tupleIJS8_S9_EEENSB_IJS8_SA_EEENS0_18inequality_wrapperIZN2at6native12_GLOBAL__N_124unique_dim_cuda_templateIiEESt5tupleIJNSF_6TensorESK_SK_EERKSK_lbbbEUlllE0_EEPmJS9_EEE10hipError_tPvRmT3_T4_T5_T6_T7_T9_mT8_P12ihipStream_tbDpT10_ENKUlT_T0_E_clISt17integral_constantIbLb0EES1A_EEDaS15_S16_EUlS15_E_NS1_11comp_targetILNS1_3genE10ELNS1_11target_archE1200ELNS1_3gpuE4ELNS1_3repE0EEENS1_30default_config_static_selectorELNS0_4arch9wavefront6targetE1EEEvT1_: ; @_ZN7rocprim17ROCPRIM_400000_NS6detail17trampoline_kernelINS0_14default_configENS1_25partition_config_selectorILNS1_17partition_subalgoE9EllbEEZZNS1_14partition_implILS5_9ELb0ES3_jPlS8_PNS0_10empty_typeENS0_5tupleIJS8_S9_EEENSB_IJS8_SA_EEENS0_18inequality_wrapperIZN2at6native12_GLOBAL__N_124unique_dim_cuda_templateIiEESt5tupleIJNSF_6TensorESK_SK_EERKSK_lbbbEUlllE0_EEPmJS9_EEE10hipError_tPvRmT3_T4_T5_T6_T7_T9_mT8_P12ihipStream_tbDpT10_ENKUlT_T0_E_clISt17integral_constantIbLb0EES1A_EEDaS15_S16_EUlS15_E_NS1_11comp_targetILNS1_3genE10ELNS1_11target_archE1200ELNS1_3gpuE4ELNS1_3repE0EEENS1_30default_config_static_selectorELNS0_4arch9wavefront6targetE1EEEvT1_
; %bb.0:
	.section	.rodata,"a",@progbits
	.p2align	6, 0x0
	.amdhsa_kernel _ZN7rocprim17ROCPRIM_400000_NS6detail17trampoline_kernelINS0_14default_configENS1_25partition_config_selectorILNS1_17partition_subalgoE9EllbEEZZNS1_14partition_implILS5_9ELb0ES3_jPlS8_PNS0_10empty_typeENS0_5tupleIJS8_S9_EEENSB_IJS8_SA_EEENS0_18inequality_wrapperIZN2at6native12_GLOBAL__N_124unique_dim_cuda_templateIiEESt5tupleIJNSF_6TensorESK_SK_EERKSK_lbbbEUlllE0_EEPmJS9_EEE10hipError_tPvRmT3_T4_T5_T6_T7_T9_mT8_P12ihipStream_tbDpT10_ENKUlT_T0_E_clISt17integral_constantIbLb0EES1A_EEDaS15_S16_EUlS15_E_NS1_11comp_targetILNS1_3genE10ELNS1_11target_archE1200ELNS1_3gpuE4ELNS1_3repE0EEENS1_30default_config_static_selectorELNS0_4arch9wavefront6targetE1EEEvT1_
		.amdhsa_group_segment_fixed_size 0
		.amdhsa_private_segment_fixed_size 0
		.amdhsa_kernarg_size 120
		.amdhsa_user_sgpr_count 2
		.amdhsa_user_sgpr_dispatch_ptr 0
		.amdhsa_user_sgpr_queue_ptr 0
		.amdhsa_user_sgpr_kernarg_segment_ptr 1
		.amdhsa_user_sgpr_dispatch_id 0
		.amdhsa_user_sgpr_kernarg_preload_length 0
		.amdhsa_user_sgpr_kernarg_preload_offset 0
		.amdhsa_user_sgpr_private_segment_size 0
		.amdhsa_uses_dynamic_stack 0
		.amdhsa_enable_private_segment 0
		.amdhsa_system_sgpr_workgroup_id_x 1
		.amdhsa_system_sgpr_workgroup_id_y 0
		.amdhsa_system_sgpr_workgroup_id_z 0
		.amdhsa_system_sgpr_workgroup_info 0
		.amdhsa_system_vgpr_workitem_id 0
		.amdhsa_next_free_vgpr 1
		.amdhsa_next_free_sgpr 0
		.amdhsa_accum_offset 4
		.amdhsa_reserve_vcc 0
		.amdhsa_float_round_mode_32 0
		.amdhsa_float_round_mode_16_64 0
		.amdhsa_float_denorm_mode_32 3
		.amdhsa_float_denorm_mode_16_64 3
		.amdhsa_dx10_clamp 1
		.amdhsa_ieee_mode 1
		.amdhsa_fp16_overflow 0
		.amdhsa_tg_split 0
		.amdhsa_exception_fp_ieee_invalid_op 0
		.amdhsa_exception_fp_denorm_src 0
		.amdhsa_exception_fp_ieee_div_zero 0
		.amdhsa_exception_fp_ieee_overflow 0
		.amdhsa_exception_fp_ieee_underflow 0
		.amdhsa_exception_fp_ieee_inexact 0
		.amdhsa_exception_int_div_zero 0
	.end_amdhsa_kernel
	.section	.text._ZN7rocprim17ROCPRIM_400000_NS6detail17trampoline_kernelINS0_14default_configENS1_25partition_config_selectorILNS1_17partition_subalgoE9EllbEEZZNS1_14partition_implILS5_9ELb0ES3_jPlS8_PNS0_10empty_typeENS0_5tupleIJS8_S9_EEENSB_IJS8_SA_EEENS0_18inequality_wrapperIZN2at6native12_GLOBAL__N_124unique_dim_cuda_templateIiEESt5tupleIJNSF_6TensorESK_SK_EERKSK_lbbbEUlllE0_EEPmJS9_EEE10hipError_tPvRmT3_T4_T5_T6_T7_T9_mT8_P12ihipStream_tbDpT10_ENKUlT_T0_E_clISt17integral_constantIbLb0EES1A_EEDaS15_S16_EUlS15_E_NS1_11comp_targetILNS1_3genE10ELNS1_11target_archE1200ELNS1_3gpuE4ELNS1_3repE0EEENS1_30default_config_static_selectorELNS0_4arch9wavefront6targetE1EEEvT1_,"axG",@progbits,_ZN7rocprim17ROCPRIM_400000_NS6detail17trampoline_kernelINS0_14default_configENS1_25partition_config_selectorILNS1_17partition_subalgoE9EllbEEZZNS1_14partition_implILS5_9ELb0ES3_jPlS8_PNS0_10empty_typeENS0_5tupleIJS8_S9_EEENSB_IJS8_SA_EEENS0_18inequality_wrapperIZN2at6native12_GLOBAL__N_124unique_dim_cuda_templateIiEESt5tupleIJNSF_6TensorESK_SK_EERKSK_lbbbEUlllE0_EEPmJS9_EEE10hipError_tPvRmT3_T4_T5_T6_T7_T9_mT8_P12ihipStream_tbDpT10_ENKUlT_T0_E_clISt17integral_constantIbLb0EES1A_EEDaS15_S16_EUlS15_E_NS1_11comp_targetILNS1_3genE10ELNS1_11target_archE1200ELNS1_3gpuE4ELNS1_3repE0EEENS1_30default_config_static_selectorELNS0_4arch9wavefront6targetE1EEEvT1_,comdat
.Lfunc_end478:
	.size	_ZN7rocprim17ROCPRIM_400000_NS6detail17trampoline_kernelINS0_14default_configENS1_25partition_config_selectorILNS1_17partition_subalgoE9EllbEEZZNS1_14partition_implILS5_9ELb0ES3_jPlS8_PNS0_10empty_typeENS0_5tupleIJS8_S9_EEENSB_IJS8_SA_EEENS0_18inequality_wrapperIZN2at6native12_GLOBAL__N_124unique_dim_cuda_templateIiEESt5tupleIJNSF_6TensorESK_SK_EERKSK_lbbbEUlllE0_EEPmJS9_EEE10hipError_tPvRmT3_T4_T5_T6_T7_T9_mT8_P12ihipStream_tbDpT10_ENKUlT_T0_E_clISt17integral_constantIbLb0EES1A_EEDaS15_S16_EUlS15_E_NS1_11comp_targetILNS1_3genE10ELNS1_11target_archE1200ELNS1_3gpuE4ELNS1_3repE0EEENS1_30default_config_static_selectorELNS0_4arch9wavefront6targetE1EEEvT1_, .Lfunc_end478-_ZN7rocprim17ROCPRIM_400000_NS6detail17trampoline_kernelINS0_14default_configENS1_25partition_config_selectorILNS1_17partition_subalgoE9EllbEEZZNS1_14partition_implILS5_9ELb0ES3_jPlS8_PNS0_10empty_typeENS0_5tupleIJS8_S9_EEENSB_IJS8_SA_EEENS0_18inequality_wrapperIZN2at6native12_GLOBAL__N_124unique_dim_cuda_templateIiEESt5tupleIJNSF_6TensorESK_SK_EERKSK_lbbbEUlllE0_EEPmJS9_EEE10hipError_tPvRmT3_T4_T5_T6_T7_T9_mT8_P12ihipStream_tbDpT10_ENKUlT_T0_E_clISt17integral_constantIbLb0EES1A_EEDaS15_S16_EUlS15_E_NS1_11comp_targetILNS1_3genE10ELNS1_11target_archE1200ELNS1_3gpuE4ELNS1_3repE0EEENS1_30default_config_static_selectorELNS0_4arch9wavefront6targetE1EEEvT1_
                                        ; -- End function
	.set _ZN7rocprim17ROCPRIM_400000_NS6detail17trampoline_kernelINS0_14default_configENS1_25partition_config_selectorILNS1_17partition_subalgoE9EllbEEZZNS1_14partition_implILS5_9ELb0ES3_jPlS8_PNS0_10empty_typeENS0_5tupleIJS8_S9_EEENSB_IJS8_SA_EEENS0_18inequality_wrapperIZN2at6native12_GLOBAL__N_124unique_dim_cuda_templateIiEESt5tupleIJNSF_6TensorESK_SK_EERKSK_lbbbEUlllE0_EEPmJS9_EEE10hipError_tPvRmT3_T4_T5_T6_T7_T9_mT8_P12ihipStream_tbDpT10_ENKUlT_T0_E_clISt17integral_constantIbLb0EES1A_EEDaS15_S16_EUlS15_E_NS1_11comp_targetILNS1_3genE10ELNS1_11target_archE1200ELNS1_3gpuE4ELNS1_3repE0EEENS1_30default_config_static_selectorELNS0_4arch9wavefront6targetE1EEEvT1_.num_vgpr, 0
	.set _ZN7rocprim17ROCPRIM_400000_NS6detail17trampoline_kernelINS0_14default_configENS1_25partition_config_selectorILNS1_17partition_subalgoE9EllbEEZZNS1_14partition_implILS5_9ELb0ES3_jPlS8_PNS0_10empty_typeENS0_5tupleIJS8_S9_EEENSB_IJS8_SA_EEENS0_18inequality_wrapperIZN2at6native12_GLOBAL__N_124unique_dim_cuda_templateIiEESt5tupleIJNSF_6TensorESK_SK_EERKSK_lbbbEUlllE0_EEPmJS9_EEE10hipError_tPvRmT3_T4_T5_T6_T7_T9_mT8_P12ihipStream_tbDpT10_ENKUlT_T0_E_clISt17integral_constantIbLb0EES1A_EEDaS15_S16_EUlS15_E_NS1_11comp_targetILNS1_3genE10ELNS1_11target_archE1200ELNS1_3gpuE4ELNS1_3repE0EEENS1_30default_config_static_selectorELNS0_4arch9wavefront6targetE1EEEvT1_.num_agpr, 0
	.set _ZN7rocprim17ROCPRIM_400000_NS6detail17trampoline_kernelINS0_14default_configENS1_25partition_config_selectorILNS1_17partition_subalgoE9EllbEEZZNS1_14partition_implILS5_9ELb0ES3_jPlS8_PNS0_10empty_typeENS0_5tupleIJS8_S9_EEENSB_IJS8_SA_EEENS0_18inequality_wrapperIZN2at6native12_GLOBAL__N_124unique_dim_cuda_templateIiEESt5tupleIJNSF_6TensorESK_SK_EERKSK_lbbbEUlllE0_EEPmJS9_EEE10hipError_tPvRmT3_T4_T5_T6_T7_T9_mT8_P12ihipStream_tbDpT10_ENKUlT_T0_E_clISt17integral_constantIbLb0EES1A_EEDaS15_S16_EUlS15_E_NS1_11comp_targetILNS1_3genE10ELNS1_11target_archE1200ELNS1_3gpuE4ELNS1_3repE0EEENS1_30default_config_static_selectorELNS0_4arch9wavefront6targetE1EEEvT1_.numbered_sgpr, 0
	.set _ZN7rocprim17ROCPRIM_400000_NS6detail17trampoline_kernelINS0_14default_configENS1_25partition_config_selectorILNS1_17partition_subalgoE9EllbEEZZNS1_14partition_implILS5_9ELb0ES3_jPlS8_PNS0_10empty_typeENS0_5tupleIJS8_S9_EEENSB_IJS8_SA_EEENS0_18inequality_wrapperIZN2at6native12_GLOBAL__N_124unique_dim_cuda_templateIiEESt5tupleIJNSF_6TensorESK_SK_EERKSK_lbbbEUlllE0_EEPmJS9_EEE10hipError_tPvRmT3_T4_T5_T6_T7_T9_mT8_P12ihipStream_tbDpT10_ENKUlT_T0_E_clISt17integral_constantIbLb0EES1A_EEDaS15_S16_EUlS15_E_NS1_11comp_targetILNS1_3genE10ELNS1_11target_archE1200ELNS1_3gpuE4ELNS1_3repE0EEENS1_30default_config_static_selectorELNS0_4arch9wavefront6targetE1EEEvT1_.num_named_barrier, 0
	.set _ZN7rocprim17ROCPRIM_400000_NS6detail17trampoline_kernelINS0_14default_configENS1_25partition_config_selectorILNS1_17partition_subalgoE9EllbEEZZNS1_14partition_implILS5_9ELb0ES3_jPlS8_PNS0_10empty_typeENS0_5tupleIJS8_S9_EEENSB_IJS8_SA_EEENS0_18inequality_wrapperIZN2at6native12_GLOBAL__N_124unique_dim_cuda_templateIiEESt5tupleIJNSF_6TensorESK_SK_EERKSK_lbbbEUlllE0_EEPmJS9_EEE10hipError_tPvRmT3_T4_T5_T6_T7_T9_mT8_P12ihipStream_tbDpT10_ENKUlT_T0_E_clISt17integral_constantIbLb0EES1A_EEDaS15_S16_EUlS15_E_NS1_11comp_targetILNS1_3genE10ELNS1_11target_archE1200ELNS1_3gpuE4ELNS1_3repE0EEENS1_30default_config_static_selectorELNS0_4arch9wavefront6targetE1EEEvT1_.private_seg_size, 0
	.set _ZN7rocprim17ROCPRIM_400000_NS6detail17trampoline_kernelINS0_14default_configENS1_25partition_config_selectorILNS1_17partition_subalgoE9EllbEEZZNS1_14partition_implILS5_9ELb0ES3_jPlS8_PNS0_10empty_typeENS0_5tupleIJS8_S9_EEENSB_IJS8_SA_EEENS0_18inequality_wrapperIZN2at6native12_GLOBAL__N_124unique_dim_cuda_templateIiEESt5tupleIJNSF_6TensorESK_SK_EERKSK_lbbbEUlllE0_EEPmJS9_EEE10hipError_tPvRmT3_T4_T5_T6_T7_T9_mT8_P12ihipStream_tbDpT10_ENKUlT_T0_E_clISt17integral_constantIbLb0EES1A_EEDaS15_S16_EUlS15_E_NS1_11comp_targetILNS1_3genE10ELNS1_11target_archE1200ELNS1_3gpuE4ELNS1_3repE0EEENS1_30default_config_static_selectorELNS0_4arch9wavefront6targetE1EEEvT1_.uses_vcc, 0
	.set _ZN7rocprim17ROCPRIM_400000_NS6detail17trampoline_kernelINS0_14default_configENS1_25partition_config_selectorILNS1_17partition_subalgoE9EllbEEZZNS1_14partition_implILS5_9ELb0ES3_jPlS8_PNS0_10empty_typeENS0_5tupleIJS8_S9_EEENSB_IJS8_SA_EEENS0_18inequality_wrapperIZN2at6native12_GLOBAL__N_124unique_dim_cuda_templateIiEESt5tupleIJNSF_6TensorESK_SK_EERKSK_lbbbEUlllE0_EEPmJS9_EEE10hipError_tPvRmT3_T4_T5_T6_T7_T9_mT8_P12ihipStream_tbDpT10_ENKUlT_T0_E_clISt17integral_constantIbLb0EES1A_EEDaS15_S16_EUlS15_E_NS1_11comp_targetILNS1_3genE10ELNS1_11target_archE1200ELNS1_3gpuE4ELNS1_3repE0EEENS1_30default_config_static_selectorELNS0_4arch9wavefront6targetE1EEEvT1_.uses_flat_scratch, 0
	.set _ZN7rocprim17ROCPRIM_400000_NS6detail17trampoline_kernelINS0_14default_configENS1_25partition_config_selectorILNS1_17partition_subalgoE9EllbEEZZNS1_14partition_implILS5_9ELb0ES3_jPlS8_PNS0_10empty_typeENS0_5tupleIJS8_S9_EEENSB_IJS8_SA_EEENS0_18inequality_wrapperIZN2at6native12_GLOBAL__N_124unique_dim_cuda_templateIiEESt5tupleIJNSF_6TensorESK_SK_EERKSK_lbbbEUlllE0_EEPmJS9_EEE10hipError_tPvRmT3_T4_T5_T6_T7_T9_mT8_P12ihipStream_tbDpT10_ENKUlT_T0_E_clISt17integral_constantIbLb0EES1A_EEDaS15_S16_EUlS15_E_NS1_11comp_targetILNS1_3genE10ELNS1_11target_archE1200ELNS1_3gpuE4ELNS1_3repE0EEENS1_30default_config_static_selectorELNS0_4arch9wavefront6targetE1EEEvT1_.has_dyn_sized_stack, 0
	.set _ZN7rocprim17ROCPRIM_400000_NS6detail17trampoline_kernelINS0_14default_configENS1_25partition_config_selectorILNS1_17partition_subalgoE9EllbEEZZNS1_14partition_implILS5_9ELb0ES3_jPlS8_PNS0_10empty_typeENS0_5tupleIJS8_S9_EEENSB_IJS8_SA_EEENS0_18inequality_wrapperIZN2at6native12_GLOBAL__N_124unique_dim_cuda_templateIiEESt5tupleIJNSF_6TensorESK_SK_EERKSK_lbbbEUlllE0_EEPmJS9_EEE10hipError_tPvRmT3_T4_T5_T6_T7_T9_mT8_P12ihipStream_tbDpT10_ENKUlT_T0_E_clISt17integral_constantIbLb0EES1A_EEDaS15_S16_EUlS15_E_NS1_11comp_targetILNS1_3genE10ELNS1_11target_archE1200ELNS1_3gpuE4ELNS1_3repE0EEENS1_30default_config_static_selectorELNS0_4arch9wavefront6targetE1EEEvT1_.has_recursion, 0
	.set _ZN7rocprim17ROCPRIM_400000_NS6detail17trampoline_kernelINS0_14default_configENS1_25partition_config_selectorILNS1_17partition_subalgoE9EllbEEZZNS1_14partition_implILS5_9ELb0ES3_jPlS8_PNS0_10empty_typeENS0_5tupleIJS8_S9_EEENSB_IJS8_SA_EEENS0_18inequality_wrapperIZN2at6native12_GLOBAL__N_124unique_dim_cuda_templateIiEESt5tupleIJNSF_6TensorESK_SK_EERKSK_lbbbEUlllE0_EEPmJS9_EEE10hipError_tPvRmT3_T4_T5_T6_T7_T9_mT8_P12ihipStream_tbDpT10_ENKUlT_T0_E_clISt17integral_constantIbLb0EES1A_EEDaS15_S16_EUlS15_E_NS1_11comp_targetILNS1_3genE10ELNS1_11target_archE1200ELNS1_3gpuE4ELNS1_3repE0EEENS1_30default_config_static_selectorELNS0_4arch9wavefront6targetE1EEEvT1_.has_indirect_call, 0
	.section	.AMDGPU.csdata,"",@progbits
; Kernel info:
; codeLenInByte = 0
; TotalNumSgprs: 6
; NumVgprs: 0
; NumAgprs: 0
; TotalNumVgprs: 0
; ScratchSize: 0
; MemoryBound: 0
; FloatMode: 240
; IeeeMode: 1
; LDSByteSize: 0 bytes/workgroup (compile time only)
; SGPRBlocks: 0
; VGPRBlocks: 0
; NumSGPRsForWavesPerEU: 6
; NumVGPRsForWavesPerEU: 1
; AccumOffset: 4
; Occupancy: 8
; WaveLimiterHint : 0
; COMPUTE_PGM_RSRC2:SCRATCH_EN: 0
; COMPUTE_PGM_RSRC2:USER_SGPR: 2
; COMPUTE_PGM_RSRC2:TRAP_HANDLER: 0
; COMPUTE_PGM_RSRC2:TGID_X_EN: 1
; COMPUTE_PGM_RSRC2:TGID_Y_EN: 0
; COMPUTE_PGM_RSRC2:TGID_Z_EN: 0
; COMPUTE_PGM_RSRC2:TIDIG_COMP_CNT: 0
; COMPUTE_PGM_RSRC3_GFX90A:ACCUM_OFFSET: 0
; COMPUTE_PGM_RSRC3_GFX90A:TG_SPLIT: 0
	.section	.text._ZN7rocprim17ROCPRIM_400000_NS6detail17trampoline_kernelINS0_14default_configENS1_25partition_config_selectorILNS1_17partition_subalgoE9EllbEEZZNS1_14partition_implILS5_9ELb0ES3_jPlS8_PNS0_10empty_typeENS0_5tupleIJS8_S9_EEENSB_IJS8_SA_EEENS0_18inequality_wrapperIZN2at6native12_GLOBAL__N_124unique_dim_cuda_templateIiEESt5tupleIJNSF_6TensorESK_SK_EERKSK_lbbbEUlllE0_EEPmJS9_EEE10hipError_tPvRmT3_T4_T5_T6_T7_T9_mT8_P12ihipStream_tbDpT10_ENKUlT_T0_E_clISt17integral_constantIbLb0EES1A_EEDaS15_S16_EUlS15_E_NS1_11comp_targetILNS1_3genE9ELNS1_11target_archE1100ELNS1_3gpuE3ELNS1_3repE0EEENS1_30default_config_static_selectorELNS0_4arch9wavefront6targetE1EEEvT1_,"axG",@progbits,_ZN7rocprim17ROCPRIM_400000_NS6detail17trampoline_kernelINS0_14default_configENS1_25partition_config_selectorILNS1_17partition_subalgoE9EllbEEZZNS1_14partition_implILS5_9ELb0ES3_jPlS8_PNS0_10empty_typeENS0_5tupleIJS8_S9_EEENSB_IJS8_SA_EEENS0_18inequality_wrapperIZN2at6native12_GLOBAL__N_124unique_dim_cuda_templateIiEESt5tupleIJNSF_6TensorESK_SK_EERKSK_lbbbEUlllE0_EEPmJS9_EEE10hipError_tPvRmT3_T4_T5_T6_T7_T9_mT8_P12ihipStream_tbDpT10_ENKUlT_T0_E_clISt17integral_constantIbLb0EES1A_EEDaS15_S16_EUlS15_E_NS1_11comp_targetILNS1_3genE9ELNS1_11target_archE1100ELNS1_3gpuE3ELNS1_3repE0EEENS1_30default_config_static_selectorELNS0_4arch9wavefront6targetE1EEEvT1_,comdat
	.globl	_ZN7rocprim17ROCPRIM_400000_NS6detail17trampoline_kernelINS0_14default_configENS1_25partition_config_selectorILNS1_17partition_subalgoE9EllbEEZZNS1_14partition_implILS5_9ELb0ES3_jPlS8_PNS0_10empty_typeENS0_5tupleIJS8_S9_EEENSB_IJS8_SA_EEENS0_18inequality_wrapperIZN2at6native12_GLOBAL__N_124unique_dim_cuda_templateIiEESt5tupleIJNSF_6TensorESK_SK_EERKSK_lbbbEUlllE0_EEPmJS9_EEE10hipError_tPvRmT3_T4_T5_T6_T7_T9_mT8_P12ihipStream_tbDpT10_ENKUlT_T0_E_clISt17integral_constantIbLb0EES1A_EEDaS15_S16_EUlS15_E_NS1_11comp_targetILNS1_3genE9ELNS1_11target_archE1100ELNS1_3gpuE3ELNS1_3repE0EEENS1_30default_config_static_selectorELNS0_4arch9wavefront6targetE1EEEvT1_ ; -- Begin function _ZN7rocprim17ROCPRIM_400000_NS6detail17trampoline_kernelINS0_14default_configENS1_25partition_config_selectorILNS1_17partition_subalgoE9EllbEEZZNS1_14partition_implILS5_9ELb0ES3_jPlS8_PNS0_10empty_typeENS0_5tupleIJS8_S9_EEENSB_IJS8_SA_EEENS0_18inequality_wrapperIZN2at6native12_GLOBAL__N_124unique_dim_cuda_templateIiEESt5tupleIJNSF_6TensorESK_SK_EERKSK_lbbbEUlllE0_EEPmJS9_EEE10hipError_tPvRmT3_T4_T5_T6_T7_T9_mT8_P12ihipStream_tbDpT10_ENKUlT_T0_E_clISt17integral_constantIbLb0EES1A_EEDaS15_S16_EUlS15_E_NS1_11comp_targetILNS1_3genE9ELNS1_11target_archE1100ELNS1_3gpuE3ELNS1_3repE0EEENS1_30default_config_static_selectorELNS0_4arch9wavefront6targetE1EEEvT1_
	.p2align	8
	.type	_ZN7rocprim17ROCPRIM_400000_NS6detail17trampoline_kernelINS0_14default_configENS1_25partition_config_selectorILNS1_17partition_subalgoE9EllbEEZZNS1_14partition_implILS5_9ELb0ES3_jPlS8_PNS0_10empty_typeENS0_5tupleIJS8_S9_EEENSB_IJS8_SA_EEENS0_18inequality_wrapperIZN2at6native12_GLOBAL__N_124unique_dim_cuda_templateIiEESt5tupleIJNSF_6TensorESK_SK_EERKSK_lbbbEUlllE0_EEPmJS9_EEE10hipError_tPvRmT3_T4_T5_T6_T7_T9_mT8_P12ihipStream_tbDpT10_ENKUlT_T0_E_clISt17integral_constantIbLb0EES1A_EEDaS15_S16_EUlS15_E_NS1_11comp_targetILNS1_3genE9ELNS1_11target_archE1100ELNS1_3gpuE3ELNS1_3repE0EEENS1_30default_config_static_selectorELNS0_4arch9wavefront6targetE1EEEvT1_,@function
_ZN7rocprim17ROCPRIM_400000_NS6detail17trampoline_kernelINS0_14default_configENS1_25partition_config_selectorILNS1_17partition_subalgoE9EllbEEZZNS1_14partition_implILS5_9ELb0ES3_jPlS8_PNS0_10empty_typeENS0_5tupleIJS8_S9_EEENSB_IJS8_SA_EEENS0_18inequality_wrapperIZN2at6native12_GLOBAL__N_124unique_dim_cuda_templateIiEESt5tupleIJNSF_6TensorESK_SK_EERKSK_lbbbEUlllE0_EEPmJS9_EEE10hipError_tPvRmT3_T4_T5_T6_T7_T9_mT8_P12ihipStream_tbDpT10_ENKUlT_T0_E_clISt17integral_constantIbLb0EES1A_EEDaS15_S16_EUlS15_E_NS1_11comp_targetILNS1_3genE9ELNS1_11target_archE1100ELNS1_3gpuE3ELNS1_3repE0EEENS1_30default_config_static_selectorELNS0_4arch9wavefront6targetE1EEEvT1_: ; @_ZN7rocprim17ROCPRIM_400000_NS6detail17trampoline_kernelINS0_14default_configENS1_25partition_config_selectorILNS1_17partition_subalgoE9EllbEEZZNS1_14partition_implILS5_9ELb0ES3_jPlS8_PNS0_10empty_typeENS0_5tupleIJS8_S9_EEENSB_IJS8_SA_EEENS0_18inequality_wrapperIZN2at6native12_GLOBAL__N_124unique_dim_cuda_templateIiEESt5tupleIJNSF_6TensorESK_SK_EERKSK_lbbbEUlllE0_EEPmJS9_EEE10hipError_tPvRmT3_T4_T5_T6_T7_T9_mT8_P12ihipStream_tbDpT10_ENKUlT_T0_E_clISt17integral_constantIbLb0EES1A_EEDaS15_S16_EUlS15_E_NS1_11comp_targetILNS1_3genE9ELNS1_11target_archE1100ELNS1_3gpuE3ELNS1_3repE0EEENS1_30default_config_static_selectorELNS0_4arch9wavefront6targetE1EEEvT1_
; %bb.0:
	.section	.rodata,"a",@progbits
	.p2align	6, 0x0
	.amdhsa_kernel _ZN7rocprim17ROCPRIM_400000_NS6detail17trampoline_kernelINS0_14default_configENS1_25partition_config_selectorILNS1_17partition_subalgoE9EllbEEZZNS1_14partition_implILS5_9ELb0ES3_jPlS8_PNS0_10empty_typeENS0_5tupleIJS8_S9_EEENSB_IJS8_SA_EEENS0_18inequality_wrapperIZN2at6native12_GLOBAL__N_124unique_dim_cuda_templateIiEESt5tupleIJNSF_6TensorESK_SK_EERKSK_lbbbEUlllE0_EEPmJS9_EEE10hipError_tPvRmT3_T4_T5_T6_T7_T9_mT8_P12ihipStream_tbDpT10_ENKUlT_T0_E_clISt17integral_constantIbLb0EES1A_EEDaS15_S16_EUlS15_E_NS1_11comp_targetILNS1_3genE9ELNS1_11target_archE1100ELNS1_3gpuE3ELNS1_3repE0EEENS1_30default_config_static_selectorELNS0_4arch9wavefront6targetE1EEEvT1_
		.amdhsa_group_segment_fixed_size 0
		.amdhsa_private_segment_fixed_size 0
		.amdhsa_kernarg_size 120
		.amdhsa_user_sgpr_count 2
		.amdhsa_user_sgpr_dispatch_ptr 0
		.amdhsa_user_sgpr_queue_ptr 0
		.amdhsa_user_sgpr_kernarg_segment_ptr 1
		.amdhsa_user_sgpr_dispatch_id 0
		.amdhsa_user_sgpr_kernarg_preload_length 0
		.amdhsa_user_sgpr_kernarg_preload_offset 0
		.amdhsa_user_sgpr_private_segment_size 0
		.amdhsa_uses_dynamic_stack 0
		.amdhsa_enable_private_segment 0
		.amdhsa_system_sgpr_workgroup_id_x 1
		.amdhsa_system_sgpr_workgroup_id_y 0
		.amdhsa_system_sgpr_workgroup_id_z 0
		.amdhsa_system_sgpr_workgroup_info 0
		.amdhsa_system_vgpr_workitem_id 0
		.amdhsa_next_free_vgpr 1
		.amdhsa_next_free_sgpr 0
		.amdhsa_accum_offset 4
		.amdhsa_reserve_vcc 0
		.amdhsa_float_round_mode_32 0
		.amdhsa_float_round_mode_16_64 0
		.amdhsa_float_denorm_mode_32 3
		.amdhsa_float_denorm_mode_16_64 3
		.amdhsa_dx10_clamp 1
		.amdhsa_ieee_mode 1
		.amdhsa_fp16_overflow 0
		.amdhsa_tg_split 0
		.amdhsa_exception_fp_ieee_invalid_op 0
		.amdhsa_exception_fp_denorm_src 0
		.amdhsa_exception_fp_ieee_div_zero 0
		.amdhsa_exception_fp_ieee_overflow 0
		.amdhsa_exception_fp_ieee_underflow 0
		.amdhsa_exception_fp_ieee_inexact 0
		.amdhsa_exception_int_div_zero 0
	.end_amdhsa_kernel
	.section	.text._ZN7rocprim17ROCPRIM_400000_NS6detail17trampoline_kernelINS0_14default_configENS1_25partition_config_selectorILNS1_17partition_subalgoE9EllbEEZZNS1_14partition_implILS5_9ELb0ES3_jPlS8_PNS0_10empty_typeENS0_5tupleIJS8_S9_EEENSB_IJS8_SA_EEENS0_18inequality_wrapperIZN2at6native12_GLOBAL__N_124unique_dim_cuda_templateIiEESt5tupleIJNSF_6TensorESK_SK_EERKSK_lbbbEUlllE0_EEPmJS9_EEE10hipError_tPvRmT3_T4_T5_T6_T7_T9_mT8_P12ihipStream_tbDpT10_ENKUlT_T0_E_clISt17integral_constantIbLb0EES1A_EEDaS15_S16_EUlS15_E_NS1_11comp_targetILNS1_3genE9ELNS1_11target_archE1100ELNS1_3gpuE3ELNS1_3repE0EEENS1_30default_config_static_selectorELNS0_4arch9wavefront6targetE1EEEvT1_,"axG",@progbits,_ZN7rocprim17ROCPRIM_400000_NS6detail17trampoline_kernelINS0_14default_configENS1_25partition_config_selectorILNS1_17partition_subalgoE9EllbEEZZNS1_14partition_implILS5_9ELb0ES3_jPlS8_PNS0_10empty_typeENS0_5tupleIJS8_S9_EEENSB_IJS8_SA_EEENS0_18inequality_wrapperIZN2at6native12_GLOBAL__N_124unique_dim_cuda_templateIiEESt5tupleIJNSF_6TensorESK_SK_EERKSK_lbbbEUlllE0_EEPmJS9_EEE10hipError_tPvRmT3_T4_T5_T6_T7_T9_mT8_P12ihipStream_tbDpT10_ENKUlT_T0_E_clISt17integral_constantIbLb0EES1A_EEDaS15_S16_EUlS15_E_NS1_11comp_targetILNS1_3genE9ELNS1_11target_archE1100ELNS1_3gpuE3ELNS1_3repE0EEENS1_30default_config_static_selectorELNS0_4arch9wavefront6targetE1EEEvT1_,comdat
.Lfunc_end479:
	.size	_ZN7rocprim17ROCPRIM_400000_NS6detail17trampoline_kernelINS0_14default_configENS1_25partition_config_selectorILNS1_17partition_subalgoE9EllbEEZZNS1_14partition_implILS5_9ELb0ES3_jPlS8_PNS0_10empty_typeENS0_5tupleIJS8_S9_EEENSB_IJS8_SA_EEENS0_18inequality_wrapperIZN2at6native12_GLOBAL__N_124unique_dim_cuda_templateIiEESt5tupleIJNSF_6TensorESK_SK_EERKSK_lbbbEUlllE0_EEPmJS9_EEE10hipError_tPvRmT3_T4_T5_T6_T7_T9_mT8_P12ihipStream_tbDpT10_ENKUlT_T0_E_clISt17integral_constantIbLb0EES1A_EEDaS15_S16_EUlS15_E_NS1_11comp_targetILNS1_3genE9ELNS1_11target_archE1100ELNS1_3gpuE3ELNS1_3repE0EEENS1_30default_config_static_selectorELNS0_4arch9wavefront6targetE1EEEvT1_, .Lfunc_end479-_ZN7rocprim17ROCPRIM_400000_NS6detail17trampoline_kernelINS0_14default_configENS1_25partition_config_selectorILNS1_17partition_subalgoE9EllbEEZZNS1_14partition_implILS5_9ELb0ES3_jPlS8_PNS0_10empty_typeENS0_5tupleIJS8_S9_EEENSB_IJS8_SA_EEENS0_18inequality_wrapperIZN2at6native12_GLOBAL__N_124unique_dim_cuda_templateIiEESt5tupleIJNSF_6TensorESK_SK_EERKSK_lbbbEUlllE0_EEPmJS9_EEE10hipError_tPvRmT3_T4_T5_T6_T7_T9_mT8_P12ihipStream_tbDpT10_ENKUlT_T0_E_clISt17integral_constantIbLb0EES1A_EEDaS15_S16_EUlS15_E_NS1_11comp_targetILNS1_3genE9ELNS1_11target_archE1100ELNS1_3gpuE3ELNS1_3repE0EEENS1_30default_config_static_selectorELNS0_4arch9wavefront6targetE1EEEvT1_
                                        ; -- End function
	.set _ZN7rocprim17ROCPRIM_400000_NS6detail17trampoline_kernelINS0_14default_configENS1_25partition_config_selectorILNS1_17partition_subalgoE9EllbEEZZNS1_14partition_implILS5_9ELb0ES3_jPlS8_PNS0_10empty_typeENS0_5tupleIJS8_S9_EEENSB_IJS8_SA_EEENS0_18inequality_wrapperIZN2at6native12_GLOBAL__N_124unique_dim_cuda_templateIiEESt5tupleIJNSF_6TensorESK_SK_EERKSK_lbbbEUlllE0_EEPmJS9_EEE10hipError_tPvRmT3_T4_T5_T6_T7_T9_mT8_P12ihipStream_tbDpT10_ENKUlT_T0_E_clISt17integral_constantIbLb0EES1A_EEDaS15_S16_EUlS15_E_NS1_11comp_targetILNS1_3genE9ELNS1_11target_archE1100ELNS1_3gpuE3ELNS1_3repE0EEENS1_30default_config_static_selectorELNS0_4arch9wavefront6targetE1EEEvT1_.num_vgpr, 0
	.set _ZN7rocprim17ROCPRIM_400000_NS6detail17trampoline_kernelINS0_14default_configENS1_25partition_config_selectorILNS1_17partition_subalgoE9EllbEEZZNS1_14partition_implILS5_9ELb0ES3_jPlS8_PNS0_10empty_typeENS0_5tupleIJS8_S9_EEENSB_IJS8_SA_EEENS0_18inequality_wrapperIZN2at6native12_GLOBAL__N_124unique_dim_cuda_templateIiEESt5tupleIJNSF_6TensorESK_SK_EERKSK_lbbbEUlllE0_EEPmJS9_EEE10hipError_tPvRmT3_T4_T5_T6_T7_T9_mT8_P12ihipStream_tbDpT10_ENKUlT_T0_E_clISt17integral_constantIbLb0EES1A_EEDaS15_S16_EUlS15_E_NS1_11comp_targetILNS1_3genE9ELNS1_11target_archE1100ELNS1_3gpuE3ELNS1_3repE0EEENS1_30default_config_static_selectorELNS0_4arch9wavefront6targetE1EEEvT1_.num_agpr, 0
	.set _ZN7rocprim17ROCPRIM_400000_NS6detail17trampoline_kernelINS0_14default_configENS1_25partition_config_selectorILNS1_17partition_subalgoE9EllbEEZZNS1_14partition_implILS5_9ELb0ES3_jPlS8_PNS0_10empty_typeENS0_5tupleIJS8_S9_EEENSB_IJS8_SA_EEENS0_18inequality_wrapperIZN2at6native12_GLOBAL__N_124unique_dim_cuda_templateIiEESt5tupleIJNSF_6TensorESK_SK_EERKSK_lbbbEUlllE0_EEPmJS9_EEE10hipError_tPvRmT3_T4_T5_T6_T7_T9_mT8_P12ihipStream_tbDpT10_ENKUlT_T0_E_clISt17integral_constantIbLb0EES1A_EEDaS15_S16_EUlS15_E_NS1_11comp_targetILNS1_3genE9ELNS1_11target_archE1100ELNS1_3gpuE3ELNS1_3repE0EEENS1_30default_config_static_selectorELNS0_4arch9wavefront6targetE1EEEvT1_.numbered_sgpr, 0
	.set _ZN7rocprim17ROCPRIM_400000_NS6detail17trampoline_kernelINS0_14default_configENS1_25partition_config_selectorILNS1_17partition_subalgoE9EllbEEZZNS1_14partition_implILS5_9ELb0ES3_jPlS8_PNS0_10empty_typeENS0_5tupleIJS8_S9_EEENSB_IJS8_SA_EEENS0_18inequality_wrapperIZN2at6native12_GLOBAL__N_124unique_dim_cuda_templateIiEESt5tupleIJNSF_6TensorESK_SK_EERKSK_lbbbEUlllE0_EEPmJS9_EEE10hipError_tPvRmT3_T4_T5_T6_T7_T9_mT8_P12ihipStream_tbDpT10_ENKUlT_T0_E_clISt17integral_constantIbLb0EES1A_EEDaS15_S16_EUlS15_E_NS1_11comp_targetILNS1_3genE9ELNS1_11target_archE1100ELNS1_3gpuE3ELNS1_3repE0EEENS1_30default_config_static_selectorELNS0_4arch9wavefront6targetE1EEEvT1_.num_named_barrier, 0
	.set _ZN7rocprim17ROCPRIM_400000_NS6detail17trampoline_kernelINS0_14default_configENS1_25partition_config_selectorILNS1_17partition_subalgoE9EllbEEZZNS1_14partition_implILS5_9ELb0ES3_jPlS8_PNS0_10empty_typeENS0_5tupleIJS8_S9_EEENSB_IJS8_SA_EEENS0_18inequality_wrapperIZN2at6native12_GLOBAL__N_124unique_dim_cuda_templateIiEESt5tupleIJNSF_6TensorESK_SK_EERKSK_lbbbEUlllE0_EEPmJS9_EEE10hipError_tPvRmT3_T4_T5_T6_T7_T9_mT8_P12ihipStream_tbDpT10_ENKUlT_T0_E_clISt17integral_constantIbLb0EES1A_EEDaS15_S16_EUlS15_E_NS1_11comp_targetILNS1_3genE9ELNS1_11target_archE1100ELNS1_3gpuE3ELNS1_3repE0EEENS1_30default_config_static_selectorELNS0_4arch9wavefront6targetE1EEEvT1_.private_seg_size, 0
	.set _ZN7rocprim17ROCPRIM_400000_NS6detail17trampoline_kernelINS0_14default_configENS1_25partition_config_selectorILNS1_17partition_subalgoE9EllbEEZZNS1_14partition_implILS5_9ELb0ES3_jPlS8_PNS0_10empty_typeENS0_5tupleIJS8_S9_EEENSB_IJS8_SA_EEENS0_18inequality_wrapperIZN2at6native12_GLOBAL__N_124unique_dim_cuda_templateIiEESt5tupleIJNSF_6TensorESK_SK_EERKSK_lbbbEUlllE0_EEPmJS9_EEE10hipError_tPvRmT3_T4_T5_T6_T7_T9_mT8_P12ihipStream_tbDpT10_ENKUlT_T0_E_clISt17integral_constantIbLb0EES1A_EEDaS15_S16_EUlS15_E_NS1_11comp_targetILNS1_3genE9ELNS1_11target_archE1100ELNS1_3gpuE3ELNS1_3repE0EEENS1_30default_config_static_selectorELNS0_4arch9wavefront6targetE1EEEvT1_.uses_vcc, 0
	.set _ZN7rocprim17ROCPRIM_400000_NS6detail17trampoline_kernelINS0_14default_configENS1_25partition_config_selectorILNS1_17partition_subalgoE9EllbEEZZNS1_14partition_implILS5_9ELb0ES3_jPlS8_PNS0_10empty_typeENS0_5tupleIJS8_S9_EEENSB_IJS8_SA_EEENS0_18inequality_wrapperIZN2at6native12_GLOBAL__N_124unique_dim_cuda_templateIiEESt5tupleIJNSF_6TensorESK_SK_EERKSK_lbbbEUlllE0_EEPmJS9_EEE10hipError_tPvRmT3_T4_T5_T6_T7_T9_mT8_P12ihipStream_tbDpT10_ENKUlT_T0_E_clISt17integral_constantIbLb0EES1A_EEDaS15_S16_EUlS15_E_NS1_11comp_targetILNS1_3genE9ELNS1_11target_archE1100ELNS1_3gpuE3ELNS1_3repE0EEENS1_30default_config_static_selectorELNS0_4arch9wavefront6targetE1EEEvT1_.uses_flat_scratch, 0
	.set _ZN7rocprim17ROCPRIM_400000_NS6detail17trampoline_kernelINS0_14default_configENS1_25partition_config_selectorILNS1_17partition_subalgoE9EllbEEZZNS1_14partition_implILS5_9ELb0ES3_jPlS8_PNS0_10empty_typeENS0_5tupleIJS8_S9_EEENSB_IJS8_SA_EEENS0_18inequality_wrapperIZN2at6native12_GLOBAL__N_124unique_dim_cuda_templateIiEESt5tupleIJNSF_6TensorESK_SK_EERKSK_lbbbEUlllE0_EEPmJS9_EEE10hipError_tPvRmT3_T4_T5_T6_T7_T9_mT8_P12ihipStream_tbDpT10_ENKUlT_T0_E_clISt17integral_constantIbLb0EES1A_EEDaS15_S16_EUlS15_E_NS1_11comp_targetILNS1_3genE9ELNS1_11target_archE1100ELNS1_3gpuE3ELNS1_3repE0EEENS1_30default_config_static_selectorELNS0_4arch9wavefront6targetE1EEEvT1_.has_dyn_sized_stack, 0
	.set _ZN7rocprim17ROCPRIM_400000_NS6detail17trampoline_kernelINS0_14default_configENS1_25partition_config_selectorILNS1_17partition_subalgoE9EllbEEZZNS1_14partition_implILS5_9ELb0ES3_jPlS8_PNS0_10empty_typeENS0_5tupleIJS8_S9_EEENSB_IJS8_SA_EEENS0_18inequality_wrapperIZN2at6native12_GLOBAL__N_124unique_dim_cuda_templateIiEESt5tupleIJNSF_6TensorESK_SK_EERKSK_lbbbEUlllE0_EEPmJS9_EEE10hipError_tPvRmT3_T4_T5_T6_T7_T9_mT8_P12ihipStream_tbDpT10_ENKUlT_T0_E_clISt17integral_constantIbLb0EES1A_EEDaS15_S16_EUlS15_E_NS1_11comp_targetILNS1_3genE9ELNS1_11target_archE1100ELNS1_3gpuE3ELNS1_3repE0EEENS1_30default_config_static_selectorELNS0_4arch9wavefront6targetE1EEEvT1_.has_recursion, 0
	.set _ZN7rocprim17ROCPRIM_400000_NS6detail17trampoline_kernelINS0_14default_configENS1_25partition_config_selectorILNS1_17partition_subalgoE9EllbEEZZNS1_14partition_implILS5_9ELb0ES3_jPlS8_PNS0_10empty_typeENS0_5tupleIJS8_S9_EEENSB_IJS8_SA_EEENS0_18inequality_wrapperIZN2at6native12_GLOBAL__N_124unique_dim_cuda_templateIiEESt5tupleIJNSF_6TensorESK_SK_EERKSK_lbbbEUlllE0_EEPmJS9_EEE10hipError_tPvRmT3_T4_T5_T6_T7_T9_mT8_P12ihipStream_tbDpT10_ENKUlT_T0_E_clISt17integral_constantIbLb0EES1A_EEDaS15_S16_EUlS15_E_NS1_11comp_targetILNS1_3genE9ELNS1_11target_archE1100ELNS1_3gpuE3ELNS1_3repE0EEENS1_30default_config_static_selectorELNS0_4arch9wavefront6targetE1EEEvT1_.has_indirect_call, 0
	.section	.AMDGPU.csdata,"",@progbits
; Kernel info:
; codeLenInByte = 0
; TotalNumSgprs: 6
; NumVgprs: 0
; NumAgprs: 0
; TotalNumVgprs: 0
; ScratchSize: 0
; MemoryBound: 0
; FloatMode: 240
; IeeeMode: 1
; LDSByteSize: 0 bytes/workgroup (compile time only)
; SGPRBlocks: 0
; VGPRBlocks: 0
; NumSGPRsForWavesPerEU: 6
; NumVGPRsForWavesPerEU: 1
; AccumOffset: 4
; Occupancy: 8
; WaveLimiterHint : 0
; COMPUTE_PGM_RSRC2:SCRATCH_EN: 0
; COMPUTE_PGM_RSRC2:USER_SGPR: 2
; COMPUTE_PGM_RSRC2:TRAP_HANDLER: 0
; COMPUTE_PGM_RSRC2:TGID_X_EN: 1
; COMPUTE_PGM_RSRC2:TGID_Y_EN: 0
; COMPUTE_PGM_RSRC2:TGID_Z_EN: 0
; COMPUTE_PGM_RSRC2:TIDIG_COMP_CNT: 0
; COMPUTE_PGM_RSRC3_GFX90A:ACCUM_OFFSET: 0
; COMPUTE_PGM_RSRC3_GFX90A:TG_SPLIT: 0
	.section	.text._ZN7rocprim17ROCPRIM_400000_NS6detail17trampoline_kernelINS0_14default_configENS1_25partition_config_selectorILNS1_17partition_subalgoE9EllbEEZZNS1_14partition_implILS5_9ELb0ES3_jPlS8_PNS0_10empty_typeENS0_5tupleIJS8_S9_EEENSB_IJS8_SA_EEENS0_18inequality_wrapperIZN2at6native12_GLOBAL__N_124unique_dim_cuda_templateIiEESt5tupleIJNSF_6TensorESK_SK_EERKSK_lbbbEUlllE0_EEPmJS9_EEE10hipError_tPvRmT3_T4_T5_T6_T7_T9_mT8_P12ihipStream_tbDpT10_ENKUlT_T0_E_clISt17integral_constantIbLb0EES1A_EEDaS15_S16_EUlS15_E_NS1_11comp_targetILNS1_3genE8ELNS1_11target_archE1030ELNS1_3gpuE2ELNS1_3repE0EEENS1_30default_config_static_selectorELNS0_4arch9wavefront6targetE1EEEvT1_,"axG",@progbits,_ZN7rocprim17ROCPRIM_400000_NS6detail17trampoline_kernelINS0_14default_configENS1_25partition_config_selectorILNS1_17partition_subalgoE9EllbEEZZNS1_14partition_implILS5_9ELb0ES3_jPlS8_PNS0_10empty_typeENS0_5tupleIJS8_S9_EEENSB_IJS8_SA_EEENS0_18inequality_wrapperIZN2at6native12_GLOBAL__N_124unique_dim_cuda_templateIiEESt5tupleIJNSF_6TensorESK_SK_EERKSK_lbbbEUlllE0_EEPmJS9_EEE10hipError_tPvRmT3_T4_T5_T6_T7_T9_mT8_P12ihipStream_tbDpT10_ENKUlT_T0_E_clISt17integral_constantIbLb0EES1A_EEDaS15_S16_EUlS15_E_NS1_11comp_targetILNS1_3genE8ELNS1_11target_archE1030ELNS1_3gpuE2ELNS1_3repE0EEENS1_30default_config_static_selectorELNS0_4arch9wavefront6targetE1EEEvT1_,comdat
	.globl	_ZN7rocprim17ROCPRIM_400000_NS6detail17trampoline_kernelINS0_14default_configENS1_25partition_config_selectorILNS1_17partition_subalgoE9EllbEEZZNS1_14partition_implILS5_9ELb0ES3_jPlS8_PNS0_10empty_typeENS0_5tupleIJS8_S9_EEENSB_IJS8_SA_EEENS0_18inequality_wrapperIZN2at6native12_GLOBAL__N_124unique_dim_cuda_templateIiEESt5tupleIJNSF_6TensorESK_SK_EERKSK_lbbbEUlllE0_EEPmJS9_EEE10hipError_tPvRmT3_T4_T5_T6_T7_T9_mT8_P12ihipStream_tbDpT10_ENKUlT_T0_E_clISt17integral_constantIbLb0EES1A_EEDaS15_S16_EUlS15_E_NS1_11comp_targetILNS1_3genE8ELNS1_11target_archE1030ELNS1_3gpuE2ELNS1_3repE0EEENS1_30default_config_static_selectorELNS0_4arch9wavefront6targetE1EEEvT1_ ; -- Begin function _ZN7rocprim17ROCPRIM_400000_NS6detail17trampoline_kernelINS0_14default_configENS1_25partition_config_selectorILNS1_17partition_subalgoE9EllbEEZZNS1_14partition_implILS5_9ELb0ES3_jPlS8_PNS0_10empty_typeENS0_5tupleIJS8_S9_EEENSB_IJS8_SA_EEENS0_18inequality_wrapperIZN2at6native12_GLOBAL__N_124unique_dim_cuda_templateIiEESt5tupleIJNSF_6TensorESK_SK_EERKSK_lbbbEUlllE0_EEPmJS9_EEE10hipError_tPvRmT3_T4_T5_T6_T7_T9_mT8_P12ihipStream_tbDpT10_ENKUlT_T0_E_clISt17integral_constantIbLb0EES1A_EEDaS15_S16_EUlS15_E_NS1_11comp_targetILNS1_3genE8ELNS1_11target_archE1030ELNS1_3gpuE2ELNS1_3repE0EEENS1_30default_config_static_selectorELNS0_4arch9wavefront6targetE1EEEvT1_
	.p2align	8
	.type	_ZN7rocprim17ROCPRIM_400000_NS6detail17trampoline_kernelINS0_14default_configENS1_25partition_config_selectorILNS1_17partition_subalgoE9EllbEEZZNS1_14partition_implILS5_9ELb0ES3_jPlS8_PNS0_10empty_typeENS0_5tupleIJS8_S9_EEENSB_IJS8_SA_EEENS0_18inequality_wrapperIZN2at6native12_GLOBAL__N_124unique_dim_cuda_templateIiEESt5tupleIJNSF_6TensorESK_SK_EERKSK_lbbbEUlllE0_EEPmJS9_EEE10hipError_tPvRmT3_T4_T5_T6_T7_T9_mT8_P12ihipStream_tbDpT10_ENKUlT_T0_E_clISt17integral_constantIbLb0EES1A_EEDaS15_S16_EUlS15_E_NS1_11comp_targetILNS1_3genE8ELNS1_11target_archE1030ELNS1_3gpuE2ELNS1_3repE0EEENS1_30default_config_static_selectorELNS0_4arch9wavefront6targetE1EEEvT1_,@function
_ZN7rocprim17ROCPRIM_400000_NS6detail17trampoline_kernelINS0_14default_configENS1_25partition_config_selectorILNS1_17partition_subalgoE9EllbEEZZNS1_14partition_implILS5_9ELb0ES3_jPlS8_PNS0_10empty_typeENS0_5tupleIJS8_S9_EEENSB_IJS8_SA_EEENS0_18inequality_wrapperIZN2at6native12_GLOBAL__N_124unique_dim_cuda_templateIiEESt5tupleIJNSF_6TensorESK_SK_EERKSK_lbbbEUlllE0_EEPmJS9_EEE10hipError_tPvRmT3_T4_T5_T6_T7_T9_mT8_P12ihipStream_tbDpT10_ENKUlT_T0_E_clISt17integral_constantIbLb0EES1A_EEDaS15_S16_EUlS15_E_NS1_11comp_targetILNS1_3genE8ELNS1_11target_archE1030ELNS1_3gpuE2ELNS1_3repE0EEENS1_30default_config_static_selectorELNS0_4arch9wavefront6targetE1EEEvT1_: ; @_ZN7rocprim17ROCPRIM_400000_NS6detail17trampoline_kernelINS0_14default_configENS1_25partition_config_selectorILNS1_17partition_subalgoE9EllbEEZZNS1_14partition_implILS5_9ELb0ES3_jPlS8_PNS0_10empty_typeENS0_5tupleIJS8_S9_EEENSB_IJS8_SA_EEENS0_18inequality_wrapperIZN2at6native12_GLOBAL__N_124unique_dim_cuda_templateIiEESt5tupleIJNSF_6TensorESK_SK_EERKSK_lbbbEUlllE0_EEPmJS9_EEE10hipError_tPvRmT3_T4_T5_T6_T7_T9_mT8_P12ihipStream_tbDpT10_ENKUlT_T0_E_clISt17integral_constantIbLb0EES1A_EEDaS15_S16_EUlS15_E_NS1_11comp_targetILNS1_3genE8ELNS1_11target_archE1030ELNS1_3gpuE2ELNS1_3repE0EEENS1_30default_config_static_selectorELNS0_4arch9wavefront6targetE1EEEvT1_
; %bb.0:
	.section	.rodata,"a",@progbits
	.p2align	6, 0x0
	.amdhsa_kernel _ZN7rocprim17ROCPRIM_400000_NS6detail17trampoline_kernelINS0_14default_configENS1_25partition_config_selectorILNS1_17partition_subalgoE9EllbEEZZNS1_14partition_implILS5_9ELb0ES3_jPlS8_PNS0_10empty_typeENS0_5tupleIJS8_S9_EEENSB_IJS8_SA_EEENS0_18inequality_wrapperIZN2at6native12_GLOBAL__N_124unique_dim_cuda_templateIiEESt5tupleIJNSF_6TensorESK_SK_EERKSK_lbbbEUlllE0_EEPmJS9_EEE10hipError_tPvRmT3_T4_T5_T6_T7_T9_mT8_P12ihipStream_tbDpT10_ENKUlT_T0_E_clISt17integral_constantIbLb0EES1A_EEDaS15_S16_EUlS15_E_NS1_11comp_targetILNS1_3genE8ELNS1_11target_archE1030ELNS1_3gpuE2ELNS1_3repE0EEENS1_30default_config_static_selectorELNS0_4arch9wavefront6targetE1EEEvT1_
		.amdhsa_group_segment_fixed_size 0
		.amdhsa_private_segment_fixed_size 0
		.amdhsa_kernarg_size 120
		.amdhsa_user_sgpr_count 2
		.amdhsa_user_sgpr_dispatch_ptr 0
		.amdhsa_user_sgpr_queue_ptr 0
		.amdhsa_user_sgpr_kernarg_segment_ptr 1
		.amdhsa_user_sgpr_dispatch_id 0
		.amdhsa_user_sgpr_kernarg_preload_length 0
		.amdhsa_user_sgpr_kernarg_preload_offset 0
		.amdhsa_user_sgpr_private_segment_size 0
		.amdhsa_uses_dynamic_stack 0
		.amdhsa_enable_private_segment 0
		.amdhsa_system_sgpr_workgroup_id_x 1
		.amdhsa_system_sgpr_workgroup_id_y 0
		.amdhsa_system_sgpr_workgroup_id_z 0
		.amdhsa_system_sgpr_workgroup_info 0
		.amdhsa_system_vgpr_workitem_id 0
		.amdhsa_next_free_vgpr 1
		.amdhsa_next_free_sgpr 0
		.amdhsa_accum_offset 4
		.amdhsa_reserve_vcc 0
		.amdhsa_float_round_mode_32 0
		.amdhsa_float_round_mode_16_64 0
		.amdhsa_float_denorm_mode_32 3
		.amdhsa_float_denorm_mode_16_64 3
		.amdhsa_dx10_clamp 1
		.amdhsa_ieee_mode 1
		.amdhsa_fp16_overflow 0
		.amdhsa_tg_split 0
		.amdhsa_exception_fp_ieee_invalid_op 0
		.amdhsa_exception_fp_denorm_src 0
		.amdhsa_exception_fp_ieee_div_zero 0
		.amdhsa_exception_fp_ieee_overflow 0
		.amdhsa_exception_fp_ieee_underflow 0
		.amdhsa_exception_fp_ieee_inexact 0
		.amdhsa_exception_int_div_zero 0
	.end_amdhsa_kernel
	.section	.text._ZN7rocprim17ROCPRIM_400000_NS6detail17trampoline_kernelINS0_14default_configENS1_25partition_config_selectorILNS1_17partition_subalgoE9EllbEEZZNS1_14partition_implILS5_9ELb0ES3_jPlS8_PNS0_10empty_typeENS0_5tupleIJS8_S9_EEENSB_IJS8_SA_EEENS0_18inequality_wrapperIZN2at6native12_GLOBAL__N_124unique_dim_cuda_templateIiEESt5tupleIJNSF_6TensorESK_SK_EERKSK_lbbbEUlllE0_EEPmJS9_EEE10hipError_tPvRmT3_T4_T5_T6_T7_T9_mT8_P12ihipStream_tbDpT10_ENKUlT_T0_E_clISt17integral_constantIbLb0EES1A_EEDaS15_S16_EUlS15_E_NS1_11comp_targetILNS1_3genE8ELNS1_11target_archE1030ELNS1_3gpuE2ELNS1_3repE0EEENS1_30default_config_static_selectorELNS0_4arch9wavefront6targetE1EEEvT1_,"axG",@progbits,_ZN7rocprim17ROCPRIM_400000_NS6detail17trampoline_kernelINS0_14default_configENS1_25partition_config_selectorILNS1_17partition_subalgoE9EllbEEZZNS1_14partition_implILS5_9ELb0ES3_jPlS8_PNS0_10empty_typeENS0_5tupleIJS8_S9_EEENSB_IJS8_SA_EEENS0_18inequality_wrapperIZN2at6native12_GLOBAL__N_124unique_dim_cuda_templateIiEESt5tupleIJNSF_6TensorESK_SK_EERKSK_lbbbEUlllE0_EEPmJS9_EEE10hipError_tPvRmT3_T4_T5_T6_T7_T9_mT8_P12ihipStream_tbDpT10_ENKUlT_T0_E_clISt17integral_constantIbLb0EES1A_EEDaS15_S16_EUlS15_E_NS1_11comp_targetILNS1_3genE8ELNS1_11target_archE1030ELNS1_3gpuE2ELNS1_3repE0EEENS1_30default_config_static_selectorELNS0_4arch9wavefront6targetE1EEEvT1_,comdat
.Lfunc_end480:
	.size	_ZN7rocprim17ROCPRIM_400000_NS6detail17trampoline_kernelINS0_14default_configENS1_25partition_config_selectorILNS1_17partition_subalgoE9EllbEEZZNS1_14partition_implILS5_9ELb0ES3_jPlS8_PNS0_10empty_typeENS0_5tupleIJS8_S9_EEENSB_IJS8_SA_EEENS0_18inequality_wrapperIZN2at6native12_GLOBAL__N_124unique_dim_cuda_templateIiEESt5tupleIJNSF_6TensorESK_SK_EERKSK_lbbbEUlllE0_EEPmJS9_EEE10hipError_tPvRmT3_T4_T5_T6_T7_T9_mT8_P12ihipStream_tbDpT10_ENKUlT_T0_E_clISt17integral_constantIbLb0EES1A_EEDaS15_S16_EUlS15_E_NS1_11comp_targetILNS1_3genE8ELNS1_11target_archE1030ELNS1_3gpuE2ELNS1_3repE0EEENS1_30default_config_static_selectorELNS0_4arch9wavefront6targetE1EEEvT1_, .Lfunc_end480-_ZN7rocprim17ROCPRIM_400000_NS6detail17trampoline_kernelINS0_14default_configENS1_25partition_config_selectorILNS1_17partition_subalgoE9EllbEEZZNS1_14partition_implILS5_9ELb0ES3_jPlS8_PNS0_10empty_typeENS0_5tupleIJS8_S9_EEENSB_IJS8_SA_EEENS0_18inequality_wrapperIZN2at6native12_GLOBAL__N_124unique_dim_cuda_templateIiEESt5tupleIJNSF_6TensorESK_SK_EERKSK_lbbbEUlllE0_EEPmJS9_EEE10hipError_tPvRmT3_T4_T5_T6_T7_T9_mT8_P12ihipStream_tbDpT10_ENKUlT_T0_E_clISt17integral_constantIbLb0EES1A_EEDaS15_S16_EUlS15_E_NS1_11comp_targetILNS1_3genE8ELNS1_11target_archE1030ELNS1_3gpuE2ELNS1_3repE0EEENS1_30default_config_static_selectorELNS0_4arch9wavefront6targetE1EEEvT1_
                                        ; -- End function
	.set _ZN7rocprim17ROCPRIM_400000_NS6detail17trampoline_kernelINS0_14default_configENS1_25partition_config_selectorILNS1_17partition_subalgoE9EllbEEZZNS1_14partition_implILS5_9ELb0ES3_jPlS8_PNS0_10empty_typeENS0_5tupleIJS8_S9_EEENSB_IJS8_SA_EEENS0_18inequality_wrapperIZN2at6native12_GLOBAL__N_124unique_dim_cuda_templateIiEESt5tupleIJNSF_6TensorESK_SK_EERKSK_lbbbEUlllE0_EEPmJS9_EEE10hipError_tPvRmT3_T4_T5_T6_T7_T9_mT8_P12ihipStream_tbDpT10_ENKUlT_T0_E_clISt17integral_constantIbLb0EES1A_EEDaS15_S16_EUlS15_E_NS1_11comp_targetILNS1_3genE8ELNS1_11target_archE1030ELNS1_3gpuE2ELNS1_3repE0EEENS1_30default_config_static_selectorELNS0_4arch9wavefront6targetE1EEEvT1_.num_vgpr, 0
	.set _ZN7rocprim17ROCPRIM_400000_NS6detail17trampoline_kernelINS0_14default_configENS1_25partition_config_selectorILNS1_17partition_subalgoE9EllbEEZZNS1_14partition_implILS5_9ELb0ES3_jPlS8_PNS0_10empty_typeENS0_5tupleIJS8_S9_EEENSB_IJS8_SA_EEENS0_18inequality_wrapperIZN2at6native12_GLOBAL__N_124unique_dim_cuda_templateIiEESt5tupleIJNSF_6TensorESK_SK_EERKSK_lbbbEUlllE0_EEPmJS9_EEE10hipError_tPvRmT3_T4_T5_T6_T7_T9_mT8_P12ihipStream_tbDpT10_ENKUlT_T0_E_clISt17integral_constantIbLb0EES1A_EEDaS15_S16_EUlS15_E_NS1_11comp_targetILNS1_3genE8ELNS1_11target_archE1030ELNS1_3gpuE2ELNS1_3repE0EEENS1_30default_config_static_selectorELNS0_4arch9wavefront6targetE1EEEvT1_.num_agpr, 0
	.set _ZN7rocprim17ROCPRIM_400000_NS6detail17trampoline_kernelINS0_14default_configENS1_25partition_config_selectorILNS1_17partition_subalgoE9EllbEEZZNS1_14partition_implILS5_9ELb0ES3_jPlS8_PNS0_10empty_typeENS0_5tupleIJS8_S9_EEENSB_IJS8_SA_EEENS0_18inequality_wrapperIZN2at6native12_GLOBAL__N_124unique_dim_cuda_templateIiEESt5tupleIJNSF_6TensorESK_SK_EERKSK_lbbbEUlllE0_EEPmJS9_EEE10hipError_tPvRmT3_T4_T5_T6_T7_T9_mT8_P12ihipStream_tbDpT10_ENKUlT_T0_E_clISt17integral_constantIbLb0EES1A_EEDaS15_S16_EUlS15_E_NS1_11comp_targetILNS1_3genE8ELNS1_11target_archE1030ELNS1_3gpuE2ELNS1_3repE0EEENS1_30default_config_static_selectorELNS0_4arch9wavefront6targetE1EEEvT1_.numbered_sgpr, 0
	.set _ZN7rocprim17ROCPRIM_400000_NS6detail17trampoline_kernelINS0_14default_configENS1_25partition_config_selectorILNS1_17partition_subalgoE9EllbEEZZNS1_14partition_implILS5_9ELb0ES3_jPlS8_PNS0_10empty_typeENS0_5tupleIJS8_S9_EEENSB_IJS8_SA_EEENS0_18inequality_wrapperIZN2at6native12_GLOBAL__N_124unique_dim_cuda_templateIiEESt5tupleIJNSF_6TensorESK_SK_EERKSK_lbbbEUlllE0_EEPmJS9_EEE10hipError_tPvRmT3_T4_T5_T6_T7_T9_mT8_P12ihipStream_tbDpT10_ENKUlT_T0_E_clISt17integral_constantIbLb0EES1A_EEDaS15_S16_EUlS15_E_NS1_11comp_targetILNS1_3genE8ELNS1_11target_archE1030ELNS1_3gpuE2ELNS1_3repE0EEENS1_30default_config_static_selectorELNS0_4arch9wavefront6targetE1EEEvT1_.num_named_barrier, 0
	.set _ZN7rocprim17ROCPRIM_400000_NS6detail17trampoline_kernelINS0_14default_configENS1_25partition_config_selectorILNS1_17partition_subalgoE9EllbEEZZNS1_14partition_implILS5_9ELb0ES3_jPlS8_PNS0_10empty_typeENS0_5tupleIJS8_S9_EEENSB_IJS8_SA_EEENS0_18inequality_wrapperIZN2at6native12_GLOBAL__N_124unique_dim_cuda_templateIiEESt5tupleIJNSF_6TensorESK_SK_EERKSK_lbbbEUlllE0_EEPmJS9_EEE10hipError_tPvRmT3_T4_T5_T6_T7_T9_mT8_P12ihipStream_tbDpT10_ENKUlT_T0_E_clISt17integral_constantIbLb0EES1A_EEDaS15_S16_EUlS15_E_NS1_11comp_targetILNS1_3genE8ELNS1_11target_archE1030ELNS1_3gpuE2ELNS1_3repE0EEENS1_30default_config_static_selectorELNS0_4arch9wavefront6targetE1EEEvT1_.private_seg_size, 0
	.set _ZN7rocprim17ROCPRIM_400000_NS6detail17trampoline_kernelINS0_14default_configENS1_25partition_config_selectorILNS1_17partition_subalgoE9EllbEEZZNS1_14partition_implILS5_9ELb0ES3_jPlS8_PNS0_10empty_typeENS0_5tupleIJS8_S9_EEENSB_IJS8_SA_EEENS0_18inequality_wrapperIZN2at6native12_GLOBAL__N_124unique_dim_cuda_templateIiEESt5tupleIJNSF_6TensorESK_SK_EERKSK_lbbbEUlllE0_EEPmJS9_EEE10hipError_tPvRmT3_T4_T5_T6_T7_T9_mT8_P12ihipStream_tbDpT10_ENKUlT_T0_E_clISt17integral_constantIbLb0EES1A_EEDaS15_S16_EUlS15_E_NS1_11comp_targetILNS1_3genE8ELNS1_11target_archE1030ELNS1_3gpuE2ELNS1_3repE0EEENS1_30default_config_static_selectorELNS0_4arch9wavefront6targetE1EEEvT1_.uses_vcc, 0
	.set _ZN7rocprim17ROCPRIM_400000_NS6detail17trampoline_kernelINS0_14default_configENS1_25partition_config_selectorILNS1_17partition_subalgoE9EllbEEZZNS1_14partition_implILS5_9ELb0ES3_jPlS8_PNS0_10empty_typeENS0_5tupleIJS8_S9_EEENSB_IJS8_SA_EEENS0_18inequality_wrapperIZN2at6native12_GLOBAL__N_124unique_dim_cuda_templateIiEESt5tupleIJNSF_6TensorESK_SK_EERKSK_lbbbEUlllE0_EEPmJS9_EEE10hipError_tPvRmT3_T4_T5_T6_T7_T9_mT8_P12ihipStream_tbDpT10_ENKUlT_T0_E_clISt17integral_constantIbLb0EES1A_EEDaS15_S16_EUlS15_E_NS1_11comp_targetILNS1_3genE8ELNS1_11target_archE1030ELNS1_3gpuE2ELNS1_3repE0EEENS1_30default_config_static_selectorELNS0_4arch9wavefront6targetE1EEEvT1_.uses_flat_scratch, 0
	.set _ZN7rocprim17ROCPRIM_400000_NS6detail17trampoline_kernelINS0_14default_configENS1_25partition_config_selectorILNS1_17partition_subalgoE9EllbEEZZNS1_14partition_implILS5_9ELb0ES3_jPlS8_PNS0_10empty_typeENS0_5tupleIJS8_S9_EEENSB_IJS8_SA_EEENS0_18inequality_wrapperIZN2at6native12_GLOBAL__N_124unique_dim_cuda_templateIiEESt5tupleIJNSF_6TensorESK_SK_EERKSK_lbbbEUlllE0_EEPmJS9_EEE10hipError_tPvRmT3_T4_T5_T6_T7_T9_mT8_P12ihipStream_tbDpT10_ENKUlT_T0_E_clISt17integral_constantIbLb0EES1A_EEDaS15_S16_EUlS15_E_NS1_11comp_targetILNS1_3genE8ELNS1_11target_archE1030ELNS1_3gpuE2ELNS1_3repE0EEENS1_30default_config_static_selectorELNS0_4arch9wavefront6targetE1EEEvT1_.has_dyn_sized_stack, 0
	.set _ZN7rocprim17ROCPRIM_400000_NS6detail17trampoline_kernelINS0_14default_configENS1_25partition_config_selectorILNS1_17partition_subalgoE9EllbEEZZNS1_14partition_implILS5_9ELb0ES3_jPlS8_PNS0_10empty_typeENS0_5tupleIJS8_S9_EEENSB_IJS8_SA_EEENS0_18inequality_wrapperIZN2at6native12_GLOBAL__N_124unique_dim_cuda_templateIiEESt5tupleIJNSF_6TensorESK_SK_EERKSK_lbbbEUlllE0_EEPmJS9_EEE10hipError_tPvRmT3_T4_T5_T6_T7_T9_mT8_P12ihipStream_tbDpT10_ENKUlT_T0_E_clISt17integral_constantIbLb0EES1A_EEDaS15_S16_EUlS15_E_NS1_11comp_targetILNS1_3genE8ELNS1_11target_archE1030ELNS1_3gpuE2ELNS1_3repE0EEENS1_30default_config_static_selectorELNS0_4arch9wavefront6targetE1EEEvT1_.has_recursion, 0
	.set _ZN7rocprim17ROCPRIM_400000_NS6detail17trampoline_kernelINS0_14default_configENS1_25partition_config_selectorILNS1_17partition_subalgoE9EllbEEZZNS1_14partition_implILS5_9ELb0ES3_jPlS8_PNS0_10empty_typeENS0_5tupleIJS8_S9_EEENSB_IJS8_SA_EEENS0_18inequality_wrapperIZN2at6native12_GLOBAL__N_124unique_dim_cuda_templateIiEESt5tupleIJNSF_6TensorESK_SK_EERKSK_lbbbEUlllE0_EEPmJS9_EEE10hipError_tPvRmT3_T4_T5_T6_T7_T9_mT8_P12ihipStream_tbDpT10_ENKUlT_T0_E_clISt17integral_constantIbLb0EES1A_EEDaS15_S16_EUlS15_E_NS1_11comp_targetILNS1_3genE8ELNS1_11target_archE1030ELNS1_3gpuE2ELNS1_3repE0EEENS1_30default_config_static_selectorELNS0_4arch9wavefront6targetE1EEEvT1_.has_indirect_call, 0
	.section	.AMDGPU.csdata,"",@progbits
; Kernel info:
; codeLenInByte = 0
; TotalNumSgprs: 6
; NumVgprs: 0
; NumAgprs: 0
; TotalNumVgprs: 0
; ScratchSize: 0
; MemoryBound: 0
; FloatMode: 240
; IeeeMode: 1
; LDSByteSize: 0 bytes/workgroup (compile time only)
; SGPRBlocks: 0
; VGPRBlocks: 0
; NumSGPRsForWavesPerEU: 6
; NumVGPRsForWavesPerEU: 1
; AccumOffset: 4
; Occupancy: 8
; WaveLimiterHint : 0
; COMPUTE_PGM_RSRC2:SCRATCH_EN: 0
; COMPUTE_PGM_RSRC2:USER_SGPR: 2
; COMPUTE_PGM_RSRC2:TRAP_HANDLER: 0
; COMPUTE_PGM_RSRC2:TGID_X_EN: 1
; COMPUTE_PGM_RSRC2:TGID_Y_EN: 0
; COMPUTE_PGM_RSRC2:TGID_Z_EN: 0
; COMPUTE_PGM_RSRC2:TIDIG_COMP_CNT: 0
; COMPUTE_PGM_RSRC3_GFX90A:ACCUM_OFFSET: 0
; COMPUTE_PGM_RSRC3_GFX90A:TG_SPLIT: 0
	.section	.text._ZN7rocprim17ROCPRIM_400000_NS6detail17trampoline_kernelINS0_14default_configENS1_25partition_config_selectorILNS1_17partition_subalgoE9EllbEEZZNS1_14partition_implILS5_9ELb0ES3_jPlS8_PNS0_10empty_typeENS0_5tupleIJS8_S9_EEENSB_IJS8_SA_EEENS0_18inequality_wrapperIZN2at6native12_GLOBAL__N_124unique_dim_cuda_templateIiEESt5tupleIJNSF_6TensorESK_SK_EERKSK_lbbbEUlllE0_EEPmJS9_EEE10hipError_tPvRmT3_T4_T5_T6_T7_T9_mT8_P12ihipStream_tbDpT10_ENKUlT_T0_E_clISt17integral_constantIbLb1EES1A_EEDaS15_S16_EUlS15_E_NS1_11comp_targetILNS1_3genE0ELNS1_11target_archE4294967295ELNS1_3gpuE0ELNS1_3repE0EEENS1_30default_config_static_selectorELNS0_4arch9wavefront6targetE1EEEvT1_,"axG",@progbits,_ZN7rocprim17ROCPRIM_400000_NS6detail17trampoline_kernelINS0_14default_configENS1_25partition_config_selectorILNS1_17partition_subalgoE9EllbEEZZNS1_14partition_implILS5_9ELb0ES3_jPlS8_PNS0_10empty_typeENS0_5tupleIJS8_S9_EEENSB_IJS8_SA_EEENS0_18inequality_wrapperIZN2at6native12_GLOBAL__N_124unique_dim_cuda_templateIiEESt5tupleIJNSF_6TensorESK_SK_EERKSK_lbbbEUlllE0_EEPmJS9_EEE10hipError_tPvRmT3_T4_T5_T6_T7_T9_mT8_P12ihipStream_tbDpT10_ENKUlT_T0_E_clISt17integral_constantIbLb1EES1A_EEDaS15_S16_EUlS15_E_NS1_11comp_targetILNS1_3genE0ELNS1_11target_archE4294967295ELNS1_3gpuE0ELNS1_3repE0EEENS1_30default_config_static_selectorELNS0_4arch9wavefront6targetE1EEEvT1_,comdat
	.globl	_ZN7rocprim17ROCPRIM_400000_NS6detail17trampoline_kernelINS0_14default_configENS1_25partition_config_selectorILNS1_17partition_subalgoE9EllbEEZZNS1_14partition_implILS5_9ELb0ES3_jPlS8_PNS0_10empty_typeENS0_5tupleIJS8_S9_EEENSB_IJS8_SA_EEENS0_18inequality_wrapperIZN2at6native12_GLOBAL__N_124unique_dim_cuda_templateIiEESt5tupleIJNSF_6TensorESK_SK_EERKSK_lbbbEUlllE0_EEPmJS9_EEE10hipError_tPvRmT3_T4_T5_T6_T7_T9_mT8_P12ihipStream_tbDpT10_ENKUlT_T0_E_clISt17integral_constantIbLb1EES1A_EEDaS15_S16_EUlS15_E_NS1_11comp_targetILNS1_3genE0ELNS1_11target_archE4294967295ELNS1_3gpuE0ELNS1_3repE0EEENS1_30default_config_static_selectorELNS0_4arch9wavefront6targetE1EEEvT1_ ; -- Begin function _ZN7rocprim17ROCPRIM_400000_NS6detail17trampoline_kernelINS0_14default_configENS1_25partition_config_selectorILNS1_17partition_subalgoE9EllbEEZZNS1_14partition_implILS5_9ELb0ES3_jPlS8_PNS0_10empty_typeENS0_5tupleIJS8_S9_EEENSB_IJS8_SA_EEENS0_18inequality_wrapperIZN2at6native12_GLOBAL__N_124unique_dim_cuda_templateIiEESt5tupleIJNSF_6TensorESK_SK_EERKSK_lbbbEUlllE0_EEPmJS9_EEE10hipError_tPvRmT3_T4_T5_T6_T7_T9_mT8_P12ihipStream_tbDpT10_ENKUlT_T0_E_clISt17integral_constantIbLb1EES1A_EEDaS15_S16_EUlS15_E_NS1_11comp_targetILNS1_3genE0ELNS1_11target_archE4294967295ELNS1_3gpuE0ELNS1_3repE0EEENS1_30default_config_static_selectorELNS0_4arch9wavefront6targetE1EEEvT1_
	.p2align	8
	.type	_ZN7rocprim17ROCPRIM_400000_NS6detail17trampoline_kernelINS0_14default_configENS1_25partition_config_selectorILNS1_17partition_subalgoE9EllbEEZZNS1_14partition_implILS5_9ELb0ES3_jPlS8_PNS0_10empty_typeENS0_5tupleIJS8_S9_EEENSB_IJS8_SA_EEENS0_18inequality_wrapperIZN2at6native12_GLOBAL__N_124unique_dim_cuda_templateIiEESt5tupleIJNSF_6TensorESK_SK_EERKSK_lbbbEUlllE0_EEPmJS9_EEE10hipError_tPvRmT3_T4_T5_T6_T7_T9_mT8_P12ihipStream_tbDpT10_ENKUlT_T0_E_clISt17integral_constantIbLb1EES1A_EEDaS15_S16_EUlS15_E_NS1_11comp_targetILNS1_3genE0ELNS1_11target_archE4294967295ELNS1_3gpuE0ELNS1_3repE0EEENS1_30default_config_static_selectorELNS0_4arch9wavefront6targetE1EEEvT1_,@function
_ZN7rocprim17ROCPRIM_400000_NS6detail17trampoline_kernelINS0_14default_configENS1_25partition_config_selectorILNS1_17partition_subalgoE9EllbEEZZNS1_14partition_implILS5_9ELb0ES3_jPlS8_PNS0_10empty_typeENS0_5tupleIJS8_S9_EEENSB_IJS8_SA_EEENS0_18inequality_wrapperIZN2at6native12_GLOBAL__N_124unique_dim_cuda_templateIiEESt5tupleIJNSF_6TensorESK_SK_EERKSK_lbbbEUlllE0_EEPmJS9_EEE10hipError_tPvRmT3_T4_T5_T6_T7_T9_mT8_P12ihipStream_tbDpT10_ENKUlT_T0_E_clISt17integral_constantIbLb1EES1A_EEDaS15_S16_EUlS15_E_NS1_11comp_targetILNS1_3genE0ELNS1_11target_archE4294967295ELNS1_3gpuE0ELNS1_3repE0EEENS1_30default_config_static_selectorELNS0_4arch9wavefront6targetE1EEEvT1_: ; @_ZN7rocprim17ROCPRIM_400000_NS6detail17trampoline_kernelINS0_14default_configENS1_25partition_config_selectorILNS1_17partition_subalgoE9EllbEEZZNS1_14partition_implILS5_9ELb0ES3_jPlS8_PNS0_10empty_typeENS0_5tupleIJS8_S9_EEENSB_IJS8_SA_EEENS0_18inequality_wrapperIZN2at6native12_GLOBAL__N_124unique_dim_cuda_templateIiEESt5tupleIJNSF_6TensorESK_SK_EERKSK_lbbbEUlllE0_EEPmJS9_EEE10hipError_tPvRmT3_T4_T5_T6_T7_T9_mT8_P12ihipStream_tbDpT10_ENKUlT_T0_E_clISt17integral_constantIbLb1EES1A_EEDaS15_S16_EUlS15_E_NS1_11comp_targetILNS1_3genE0ELNS1_11target_archE4294967295ELNS1_3gpuE0ELNS1_3repE0EEENS1_30default_config_static_selectorELNS0_4arch9wavefront6targetE1EEEvT1_
; %bb.0:
	s_endpgm
	.section	.rodata,"a",@progbits
	.p2align	6, 0x0
	.amdhsa_kernel _ZN7rocprim17ROCPRIM_400000_NS6detail17trampoline_kernelINS0_14default_configENS1_25partition_config_selectorILNS1_17partition_subalgoE9EllbEEZZNS1_14partition_implILS5_9ELb0ES3_jPlS8_PNS0_10empty_typeENS0_5tupleIJS8_S9_EEENSB_IJS8_SA_EEENS0_18inequality_wrapperIZN2at6native12_GLOBAL__N_124unique_dim_cuda_templateIiEESt5tupleIJNSF_6TensorESK_SK_EERKSK_lbbbEUlllE0_EEPmJS9_EEE10hipError_tPvRmT3_T4_T5_T6_T7_T9_mT8_P12ihipStream_tbDpT10_ENKUlT_T0_E_clISt17integral_constantIbLb1EES1A_EEDaS15_S16_EUlS15_E_NS1_11comp_targetILNS1_3genE0ELNS1_11target_archE4294967295ELNS1_3gpuE0ELNS1_3repE0EEENS1_30default_config_static_selectorELNS0_4arch9wavefront6targetE1EEEvT1_
		.amdhsa_group_segment_fixed_size 0
		.amdhsa_private_segment_fixed_size 0
		.amdhsa_kernarg_size 136
		.amdhsa_user_sgpr_count 2
		.amdhsa_user_sgpr_dispatch_ptr 0
		.amdhsa_user_sgpr_queue_ptr 0
		.amdhsa_user_sgpr_kernarg_segment_ptr 1
		.amdhsa_user_sgpr_dispatch_id 0
		.amdhsa_user_sgpr_kernarg_preload_length 0
		.amdhsa_user_sgpr_kernarg_preload_offset 0
		.amdhsa_user_sgpr_private_segment_size 0
		.amdhsa_uses_dynamic_stack 0
		.amdhsa_enable_private_segment 0
		.amdhsa_system_sgpr_workgroup_id_x 1
		.amdhsa_system_sgpr_workgroup_id_y 0
		.amdhsa_system_sgpr_workgroup_id_z 0
		.amdhsa_system_sgpr_workgroup_info 0
		.amdhsa_system_vgpr_workitem_id 0
		.amdhsa_next_free_vgpr 1
		.amdhsa_next_free_sgpr 0
		.amdhsa_accum_offset 4
		.amdhsa_reserve_vcc 0
		.amdhsa_float_round_mode_32 0
		.amdhsa_float_round_mode_16_64 0
		.amdhsa_float_denorm_mode_32 3
		.amdhsa_float_denorm_mode_16_64 3
		.amdhsa_dx10_clamp 1
		.amdhsa_ieee_mode 1
		.amdhsa_fp16_overflow 0
		.amdhsa_tg_split 0
		.amdhsa_exception_fp_ieee_invalid_op 0
		.amdhsa_exception_fp_denorm_src 0
		.amdhsa_exception_fp_ieee_div_zero 0
		.amdhsa_exception_fp_ieee_overflow 0
		.amdhsa_exception_fp_ieee_underflow 0
		.amdhsa_exception_fp_ieee_inexact 0
		.amdhsa_exception_int_div_zero 0
	.end_amdhsa_kernel
	.section	.text._ZN7rocprim17ROCPRIM_400000_NS6detail17trampoline_kernelINS0_14default_configENS1_25partition_config_selectorILNS1_17partition_subalgoE9EllbEEZZNS1_14partition_implILS5_9ELb0ES3_jPlS8_PNS0_10empty_typeENS0_5tupleIJS8_S9_EEENSB_IJS8_SA_EEENS0_18inequality_wrapperIZN2at6native12_GLOBAL__N_124unique_dim_cuda_templateIiEESt5tupleIJNSF_6TensorESK_SK_EERKSK_lbbbEUlllE0_EEPmJS9_EEE10hipError_tPvRmT3_T4_T5_T6_T7_T9_mT8_P12ihipStream_tbDpT10_ENKUlT_T0_E_clISt17integral_constantIbLb1EES1A_EEDaS15_S16_EUlS15_E_NS1_11comp_targetILNS1_3genE0ELNS1_11target_archE4294967295ELNS1_3gpuE0ELNS1_3repE0EEENS1_30default_config_static_selectorELNS0_4arch9wavefront6targetE1EEEvT1_,"axG",@progbits,_ZN7rocprim17ROCPRIM_400000_NS6detail17trampoline_kernelINS0_14default_configENS1_25partition_config_selectorILNS1_17partition_subalgoE9EllbEEZZNS1_14partition_implILS5_9ELb0ES3_jPlS8_PNS0_10empty_typeENS0_5tupleIJS8_S9_EEENSB_IJS8_SA_EEENS0_18inequality_wrapperIZN2at6native12_GLOBAL__N_124unique_dim_cuda_templateIiEESt5tupleIJNSF_6TensorESK_SK_EERKSK_lbbbEUlllE0_EEPmJS9_EEE10hipError_tPvRmT3_T4_T5_T6_T7_T9_mT8_P12ihipStream_tbDpT10_ENKUlT_T0_E_clISt17integral_constantIbLb1EES1A_EEDaS15_S16_EUlS15_E_NS1_11comp_targetILNS1_3genE0ELNS1_11target_archE4294967295ELNS1_3gpuE0ELNS1_3repE0EEENS1_30default_config_static_selectorELNS0_4arch9wavefront6targetE1EEEvT1_,comdat
.Lfunc_end481:
	.size	_ZN7rocprim17ROCPRIM_400000_NS6detail17trampoline_kernelINS0_14default_configENS1_25partition_config_selectorILNS1_17partition_subalgoE9EllbEEZZNS1_14partition_implILS5_9ELb0ES3_jPlS8_PNS0_10empty_typeENS0_5tupleIJS8_S9_EEENSB_IJS8_SA_EEENS0_18inequality_wrapperIZN2at6native12_GLOBAL__N_124unique_dim_cuda_templateIiEESt5tupleIJNSF_6TensorESK_SK_EERKSK_lbbbEUlllE0_EEPmJS9_EEE10hipError_tPvRmT3_T4_T5_T6_T7_T9_mT8_P12ihipStream_tbDpT10_ENKUlT_T0_E_clISt17integral_constantIbLb1EES1A_EEDaS15_S16_EUlS15_E_NS1_11comp_targetILNS1_3genE0ELNS1_11target_archE4294967295ELNS1_3gpuE0ELNS1_3repE0EEENS1_30default_config_static_selectorELNS0_4arch9wavefront6targetE1EEEvT1_, .Lfunc_end481-_ZN7rocprim17ROCPRIM_400000_NS6detail17trampoline_kernelINS0_14default_configENS1_25partition_config_selectorILNS1_17partition_subalgoE9EllbEEZZNS1_14partition_implILS5_9ELb0ES3_jPlS8_PNS0_10empty_typeENS0_5tupleIJS8_S9_EEENSB_IJS8_SA_EEENS0_18inequality_wrapperIZN2at6native12_GLOBAL__N_124unique_dim_cuda_templateIiEESt5tupleIJNSF_6TensorESK_SK_EERKSK_lbbbEUlllE0_EEPmJS9_EEE10hipError_tPvRmT3_T4_T5_T6_T7_T9_mT8_P12ihipStream_tbDpT10_ENKUlT_T0_E_clISt17integral_constantIbLb1EES1A_EEDaS15_S16_EUlS15_E_NS1_11comp_targetILNS1_3genE0ELNS1_11target_archE4294967295ELNS1_3gpuE0ELNS1_3repE0EEENS1_30default_config_static_selectorELNS0_4arch9wavefront6targetE1EEEvT1_
                                        ; -- End function
	.set _ZN7rocprim17ROCPRIM_400000_NS6detail17trampoline_kernelINS0_14default_configENS1_25partition_config_selectorILNS1_17partition_subalgoE9EllbEEZZNS1_14partition_implILS5_9ELb0ES3_jPlS8_PNS0_10empty_typeENS0_5tupleIJS8_S9_EEENSB_IJS8_SA_EEENS0_18inequality_wrapperIZN2at6native12_GLOBAL__N_124unique_dim_cuda_templateIiEESt5tupleIJNSF_6TensorESK_SK_EERKSK_lbbbEUlllE0_EEPmJS9_EEE10hipError_tPvRmT3_T4_T5_T6_T7_T9_mT8_P12ihipStream_tbDpT10_ENKUlT_T0_E_clISt17integral_constantIbLb1EES1A_EEDaS15_S16_EUlS15_E_NS1_11comp_targetILNS1_3genE0ELNS1_11target_archE4294967295ELNS1_3gpuE0ELNS1_3repE0EEENS1_30default_config_static_selectorELNS0_4arch9wavefront6targetE1EEEvT1_.num_vgpr, 0
	.set _ZN7rocprim17ROCPRIM_400000_NS6detail17trampoline_kernelINS0_14default_configENS1_25partition_config_selectorILNS1_17partition_subalgoE9EllbEEZZNS1_14partition_implILS5_9ELb0ES3_jPlS8_PNS0_10empty_typeENS0_5tupleIJS8_S9_EEENSB_IJS8_SA_EEENS0_18inequality_wrapperIZN2at6native12_GLOBAL__N_124unique_dim_cuda_templateIiEESt5tupleIJNSF_6TensorESK_SK_EERKSK_lbbbEUlllE0_EEPmJS9_EEE10hipError_tPvRmT3_T4_T5_T6_T7_T9_mT8_P12ihipStream_tbDpT10_ENKUlT_T0_E_clISt17integral_constantIbLb1EES1A_EEDaS15_S16_EUlS15_E_NS1_11comp_targetILNS1_3genE0ELNS1_11target_archE4294967295ELNS1_3gpuE0ELNS1_3repE0EEENS1_30default_config_static_selectorELNS0_4arch9wavefront6targetE1EEEvT1_.num_agpr, 0
	.set _ZN7rocprim17ROCPRIM_400000_NS6detail17trampoline_kernelINS0_14default_configENS1_25partition_config_selectorILNS1_17partition_subalgoE9EllbEEZZNS1_14partition_implILS5_9ELb0ES3_jPlS8_PNS0_10empty_typeENS0_5tupleIJS8_S9_EEENSB_IJS8_SA_EEENS0_18inequality_wrapperIZN2at6native12_GLOBAL__N_124unique_dim_cuda_templateIiEESt5tupleIJNSF_6TensorESK_SK_EERKSK_lbbbEUlllE0_EEPmJS9_EEE10hipError_tPvRmT3_T4_T5_T6_T7_T9_mT8_P12ihipStream_tbDpT10_ENKUlT_T0_E_clISt17integral_constantIbLb1EES1A_EEDaS15_S16_EUlS15_E_NS1_11comp_targetILNS1_3genE0ELNS1_11target_archE4294967295ELNS1_3gpuE0ELNS1_3repE0EEENS1_30default_config_static_selectorELNS0_4arch9wavefront6targetE1EEEvT1_.numbered_sgpr, 0
	.set _ZN7rocprim17ROCPRIM_400000_NS6detail17trampoline_kernelINS0_14default_configENS1_25partition_config_selectorILNS1_17partition_subalgoE9EllbEEZZNS1_14partition_implILS5_9ELb0ES3_jPlS8_PNS0_10empty_typeENS0_5tupleIJS8_S9_EEENSB_IJS8_SA_EEENS0_18inequality_wrapperIZN2at6native12_GLOBAL__N_124unique_dim_cuda_templateIiEESt5tupleIJNSF_6TensorESK_SK_EERKSK_lbbbEUlllE0_EEPmJS9_EEE10hipError_tPvRmT3_T4_T5_T6_T7_T9_mT8_P12ihipStream_tbDpT10_ENKUlT_T0_E_clISt17integral_constantIbLb1EES1A_EEDaS15_S16_EUlS15_E_NS1_11comp_targetILNS1_3genE0ELNS1_11target_archE4294967295ELNS1_3gpuE0ELNS1_3repE0EEENS1_30default_config_static_selectorELNS0_4arch9wavefront6targetE1EEEvT1_.num_named_barrier, 0
	.set _ZN7rocprim17ROCPRIM_400000_NS6detail17trampoline_kernelINS0_14default_configENS1_25partition_config_selectorILNS1_17partition_subalgoE9EllbEEZZNS1_14partition_implILS5_9ELb0ES3_jPlS8_PNS0_10empty_typeENS0_5tupleIJS8_S9_EEENSB_IJS8_SA_EEENS0_18inequality_wrapperIZN2at6native12_GLOBAL__N_124unique_dim_cuda_templateIiEESt5tupleIJNSF_6TensorESK_SK_EERKSK_lbbbEUlllE0_EEPmJS9_EEE10hipError_tPvRmT3_T4_T5_T6_T7_T9_mT8_P12ihipStream_tbDpT10_ENKUlT_T0_E_clISt17integral_constantIbLb1EES1A_EEDaS15_S16_EUlS15_E_NS1_11comp_targetILNS1_3genE0ELNS1_11target_archE4294967295ELNS1_3gpuE0ELNS1_3repE0EEENS1_30default_config_static_selectorELNS0_4arch9wavefront6targetE1EEEvT1_.private_seg_size, 0
	.set _ZN7rocprim17ROCPRIM_400000_NS6detail17trampoline_kernelINS0_14default_configENS1_25partition_config_selectorILNS1_17partition_subalgoE9EllbEEZZNS1_14partition_implILS5_9ELb0ES3_jPlS8_PNS0_10empty_typeENS0_5tupleIJS8_S9_EEENSB_IJS8_SA_EEENS0_18inequality_wrapperIZN2at6native12_GLOBAL__N_124unique_dim_cuda_templateIiEESt5tupleIJNSF_6TensorESK_SK_EERKSK_lbbbEUlllE0_EEPmJS9_EEE10hipError_tPvRmT3_T4_T5_T6_T7_T9_mT8_P12ihipStream_tbDpT10_ENKUlT_T0_E_clISt17integral_constantIbLb1EES1A_EEDaS15_S16_EUlS15_E_NS1_11comp_targetILNS1_3genE0ELNS1_11target_archE4294967295ELNS1_3gpuE0ELNS1_3repE0EEENS1_30default_config_static_selectorELNS0_4arch9wavefront6targetE1EEEvT1_.uses_vcc, 0
	.set _ZN7rocprim17ROCPRIM_400000_NS6detail17trampoline_kernelINS0_14default_configENS1_25partition_config_selectorILNS1_17partition_subalgoE9EllbEEZZNS1_14partition_implILS5_9ELb0ES3_jPlS8_PNS0_10empty_typeENS0_5tupleIJS8_S9_EEENSB_IJS8_SA_EEENS0_18inequality_wrapperIZN2at6native12_GLOBAL__N_124unique_dim_cuda_templateIiEESt5tupleIJNSF_6TensorESK_SK_EERKSK_lbbbEUlllE0_EEPmJS9_EEE10hipError_tPvRmT3_T4_T5_T6_T7_T9_mT8_P12ihipStream_tbDpT10_ENKUlT_T0_E_clISt17integral_constantIbLb1EES1A_EEDaS15_S16_EUlS15_E_NS1_11comp_targetILNS1_3genE0ELNS1_11target_archE4294967295ELNS1_3gpuE0ELNS1_3repE0EEENS1_30default_config_static_selectorELNS0_4arch9wavefront6targetE1EEEvT1_.uses_flat_scratch, 0
	.set _ZN7rocprim17ROCPRIM_400000_NS6detail17trampoline_kernelINS0_14default_configENS1_25partition_config_selectorILNS1_17partition_subalgoE9EllbEEZZNS1_14partition_implILS5_9ELb0ES3_jPlS8_PNS0_10empty_typeENS0_5tupleIJS8_S9_EEENSB_IJS8_SA_EEENS0_18inequality_wrapperIZN2at6native12_GLOBAL__N_124unique_dim_cuda_templateIiEESt5tupleIJNSF_6TensorESK_SK_EERKSK_lbbbEUlllE0_EEPmJS9_EEE10hipError_tPvRmT3_T4_T5_T6_T7_T9_mT8_P12ihipStream_tbDpT10_ENKUlT_T0_E_clISt17integral_constantIbLb1EES1A_EEDaS15_S16_EUlS15_E_NS1_11comp_targetILNS1_3genE0ELNS1_11target_archE4294967295ELNS1_3gpuE0ELNS1_3repE0EEENS1_30default_config_static_selectorELNS0_4arch9wavefront6targetE1EEEvT1_.has_dyn_sized_stack, 0
	.set _ZN7rocprim17ROCPRIM_400000_NS6detail17trampoline_kernelINS0_14default_configENS1_25partition_config_selectorILNS1_17partition_subalgoE9EllbEEZZNS1_14partition_implILS5_9ELb0ES3_jPlS8_PNS0_10empty_typeENS0_5tupleIJS8_S9_EEENSB_IJS8_SA_EEENS0_18inequality_wrapperIZN2at6native12_GLOBAL__N_124unique_dim_cuda_templateIiEESt5tupleIJNSF_6TensorESK_SK_EERKSK_lbbbEUlllE0_EEPmJS9_EEE10hipError_tPvRmT3_T4_T5_T6_T7_T9_mT8_P12ihipStream_tbDpT10_ENKUlT_T0_E_clISt17integral_constantIbLb1EES1A_EEDaS15_S16_EUlS15_E_NS1_11comp_targetILNS1_3genE0ELNS1_11target_archE4294967295ELNS1_3gpuE0ELNS1_3repE0EEENS1_30default_config_static_selectorELNS0_4arch9wavefront6targetE1EEEvT1_.has_recursion, 0
	.set _ZN7rocprim17ROCPRIM_400000_NS6detail17trampoline_kernelINS0_14default_configENS1_25partition_config_selectorILNS1_17partition_subalgoE9EllbEEZZNS1_14partition_implILS5_9ELb0ES3_jPlS8_PNS0_10empty_typeENS0_5tupleIJS8_S9_EEENSB_IJS8_SA_EEENS0_18inequality_wrapperIZN2at6native12_GLOBAL__N_124unique_dim_cuda_templateIiEESt5tupleIJNSF_6TensorESK_SK_EERKSK_lbbbEUlllE0_EEPmJS9_EEE10hipError_tPvRmT3_T4_T5_T6_T7_T9_mT8_P12ihipStream_tbDpT10_ENKUlT_T0_E_clISt17integral_constantIbLb1EES1A_EEDaS15_S16_EUlS15_E_NS1_11comp_targetILNS1_3genE0ELNS1_11target_archE4294967295ELNS1_3gpuE0ELNS1_3repE0EEENS1_30default_config_static_selectorELNS0_4arch9wavefront6targetE1EEEvT1_.has_indirect_call, 0
	.section	.AMDGPU.csdata,"",@progbits
; Kernel info:
; codeLenInByte = 4
; TotalNumSgprs: 6
; NumVgprs: 0
; NumAgprs: 0
; TotalNumVgprs: 0
; ScratchSize: 0
; MemoryBound: 0
; FloatMode: 240
; IeeeMode: 1
; LDSByteSize: 0 bytes/workgroup (compile time only)
; SGPRBlocks: 0
; VGPRBlocks: 0
; NumSGPRsForWavesPerEU: 6
; NumVGPRsForWavesPerEU: 1
; AccumOffset: 4
; Occupancy: 8
; WaveLimiterHint : 0
; COMPUTE_PGM_RSRC2:SCRATCH_EN: 0
; COMPUTE_PGM_RSRC2:USER_SGPR: 2
; COMPUTE_PGM_RSRC2:TRAP_HANDLER: 0
; COMPUTE_PGM_RSRC2:TGID_X_EN: 1
; COMPUTE_PGM_RSRC2:TGID_Y_EN: 0
; COMPUTE_PGM_RSRC2:TGID_Z_EN: 0
; COMPUTE_PGM_RSRC2:TIDIG_COMP_CNT: 0
; COMPUTE_PGM_RSRC3_GFX90A:ACCUM_OFFSET: 0
; COMPUTE_PGM_RSRC3_GFX90A:TG_SPLIT: 0
	.section	.text._ZN7rocprim17ROCPRIM_400000_NS6detail17trampoline_kernelINS0_14default_configENS1_25partition_config_selectorILNS1_17partition_subalgoE9EllbEEZZNS1_14partition_implILS5_9ELb0ES3_jPlS8_PNS0_10empty_typeENS0_5tupleIJS8_S9_EEENSB_IJS8_SA_EEENS0_18inequality_wrapperIZN2at6native12_GLOBAL__N_124unique_dim_cuda_templateIiEESt5tupleIJNSF_6TensorESK_SK_EERKSK_lbbbEUlllE0_EEPmJS9_EEE10hipError_tPvRmT3_T4_T5_T6_T7_T9_mT8_P12ihipStream_tbDpT10_ENKUlT_T0_E_clISt17integral_constantIbLb1EES1A_EEDaS15_S16_EUlS15_E_NS1_11comp_targetILNS1_3genE5ELNS1_11target_archE942ELNS1_3gpuE9ELNS1_3repE0EEENS1_30default_config_static_selectorELNS0_4arch9wavefront6targetE1EEEvT1_,"axG",@progbits,_ZN7rocprim17ROCPRIM_400000_NS6detail17trampoline_kernelINS0_14default_configENS1_25partition_config_selectorILNS1_17partition_subalgoE9EllbEEZZNS1_14partition_implILS5_9ELb0ES3_jPlS8_PNS0_10empty_typeENS0_5tupleIJS8_S9_EEENSB_IJS8_SA_EEENS0_18inequality_wrapperIZN2at6native12_GLOBAL__N_124unique_dim_cuda_templateIiEESt5tupleIJNSF_6TensorESK_SK_EERKSK_lbbbEUlllE0_EEPmJS9_EEE10hipError_tPvRmT3_T4_T5_T6_T7_T9_mT8_P12ihipStream_tbDpT10_ENKUlT_T0_E_clISt17integral_constantIbLb1EES1A_EEDaS15_S16_EUlS15_E_NS1_11comp_targetILNS1_3genE5ELNS1_11target_archE942ELNS1_3gpuE9ELNS1_3repE0EEENS1_30default_config_static_selectorELNS0_4arch9wavefront6targetE1EEEvT1_,comdat
	.globl	_ZN7rocprim17ROCPRIM_400000_NS6detail17trampoline_kernelINS0_14default_configENS1_25partition_config_selectorILNS1_17partition_subalgoE9EllbEEZZNS1_14partition_implILS5_9ELb0ES3_jPlS8_PNS0_10empty_typeENS0_5tupleIJS8_S9_EEENSB_IJS8_SA_EEENS0_18inequality_wrapperIZN2at6native12_GLOBAL__N_124unique_dim_cuda_templateIiEESt5tupleIJNSF_6TensorESK_SK_EERKSK_lbbbEUlllE0_EEPmJS9_EEE10hipError_tPvRmT3_T4_T5_T6_T7_T9_mT8_P12ihipStream_tbDpT10_ENKUlT_T0_E_clISt17integral_constantIbLb1EES1A_EEDaS15_S16_EUlS15_E_NS1_11comp_targetILNS1_3genE5ELNS1_11target_archE942ELNS1_3gpuE9ELNS1_3repE0EEENS1_30default_config_static_selectorELNS0_4arch9wavefront6targetE1EEEvT1_ ; -- Begin function _ZN7rocprim17ROCPRIM_400000_NS6detail17trampoline_kernelINS0_14default_configENS1_25partition_config_selectorILNS1_17partition_subalgoE9EllbEEZZNS1_14partition_implILS5_9ELb0ES3_jPlS8_PNS0_10empty_typeENS0_5tupleIJS8_S9_EEENSB_IJS8_SA_EEENS0_18inequality_wrapperIZN2at6native12_GLOBAL__N_124unique_dim_cuda_templateIiEESt5tupleIJNSF_6TensorESK_SK_EERKSK_lbbbEUlllE0_EEPmJS9_EEE10hipError_tPvRmT3_T4_T5_T6_T7_T9_mT8_P12ihipStream_tbDpT10_ENKUlT_T0_E_clISt17integral_constantIbLb1EES1A_EEDaS15_S16_EUlS15_E_NS1_11comp_targetILNS1_3genE5ELNS1_11target_archE942ELNS1_3gpuE9ELNS1_3repE0EEENS1_30default_config_static_selectorELNS0_4arch9wavefront6targetE1EEEvT1_
	.p2align	8
	.type	_ZN7rocprim17ROCPRIM_400000_NS6detail17trampoline_kernelINS0_14default_configENS1_25partition_config_selectorILNS1_17partition_subalgoE9EllbEEZZNS1_14partition_implILS5_9ELb0ES3_jPlS8_PNS0_10empty_typeENS0_5tupleIJS8_S9_EEENSB_IJS8_SA_EEENS0_18inequality_wrapperIZN2at6native12_GLOBAL__N_124unique_dim_cuda_templateIiEESt5tupleIJNSF_6TensorESK_SK_EERKSK_lbbbEUlllE0_EEPmJS9_EEE10hipError_tPvRmT3_T4_T5_T6_T7_T9_mT8_P12ihipStream_tbDpT10_ENKUlT_T0_E_clISt17integral_constantIbLb1EES1A_EEDaS15_S16_EUlS15_E_NS1_11comp_targetILNS1_3genE5ELNS1_11target_archE942ELNS1_3gpuE9ELNS1_3repE0EEENS1_30default_config_static_selectorELNS0_4arch9wavefront6targetE1EEEvT1_,@function
_ZN7rocprim17ROCPRIM_400000_NS6detail17trampoline_kernelINS0_14default_configENS1_25partition_config_selectorILNS1_17partition_subalgoE9EllbEEZZNS1_14partition_implILS5_9ELb0ES3_jPlS8_PNS0_10empty_typeENS0_5tupleIJS8_S9_EEENSB_IJS8_SA_EEENS0_18inequality_wrapperIZN2at6native12_GLOBAL__N_124unique_dim_cuda_templateIiEESt5tupleIJNSF_6TensorESK_SK_EERKSK_lbbbEUlllE0_EEPmJS9_EEE10hipError_tPvRmT3_T4_T5_T6_T7_T9_mT8_P12ihipStream_tbDpT10_ENKUlT_T0_E_clISt17integral_constantIbLb1EES1A_EEDaS15_S16_EUlS15_E_NS1_11comp_targetILNS1_3genE5ELNS1_11target_archE942ELNS1_3gpuE9ELNS1_3repE0EEENS1_30default_config_static_selectorELNS0_4arch9wavefront6targetE1EEEvT1_: ; @_ZN7rocprim17ROCPRIM_400000_NS6detail17trampoline_kernelINS0_14default_configENS1_25partition_config_selectorILNS1_17partition_subalgoE9EllbEEZZNS1_14partition_implILS5_9ELb0ES3_jPlS8_PNS0_10empty_typeENS0_5tupleIJS8_S9_EEENSB_IJS8_SA_EEENS0_18inequality_wrapperIZN2at6native12_GLOBAL__N_124unique_dim_cuda_templateIiEESt5tupleIJNSF_6TensorESK_SK_EERKSK_lbbbEUlllE0_EEPmJS9_EEE10hipError_tPvRmT3_T4_T5_T6_T7_T9_mT8_P12ihipStream_tbDpT10_ENKUlT_T0_E_clISt17integral_constantIbLb1EES1A_EEDaS15_S16_EUlS15_E_NS1_11comp_targetILNS1_3genE5ELNS1_11target_archE942ELNS1_3gpuE9ELNS1_3repE0EEENS1_30default_config_static_selectorELNS0_4arch9wavefront6targetE1EEEvT1_
; %bb.0:
	.section	.rodata,"a",@progbits
	.p2align	6, 0x0
	.amdhsa_kernel _ZN7rocprim17ROCPRIM_400000_NS6detail17trampoline_kernelINS0_14default_configENS1_25partition_config_selectorILNS1_17partition_subalgoE9EllbEEZZNS1_14partition_implILS5_9ELb0ES3_jPlS8_PNS0_10empty_typeENS0_5tupleIJS8_S9_EEENSB_IJS8_SA_EEENS0_18inequality_wrapperIZN2at6native12_GLOBAL__N_124unique_dim_cuda_templateIiEESt5tupleIJNSF_6TensorESK_SK_EERKSK_lbbbEUlllE0_EEPmJS9_EEE10hipError_tPvRmT3_T4_T5_T6_T7_T9_mT8_P12ihipStream_tbDpT10_ENKUlT_T0_E_clISt17integral_constantIbLb1EES1A_EEDaS15_S16_EUlS15_E_NS1_11comp_targetILNS1_3genE5ELNS1_11target_archE942ELNS1_3gpuE9ELNS1_3repE0EEENS1_30default_config_static_selectorELNS0_4arch9wavefront6targetE1EEEvT1_
		.amdhsa_group_segment_fixed_size 0
		.amdhsa_private_segment_fixed_size 0
		.amdhsa_kernarg_size 136
		.amdhsa_user_sgpr_count 2
		.amdhsa_user_sgpr_dispatch_ptr 0
		.amdhsa_user_sgpr_queue_ptr 0
		.amdhsa_user_sgpr_kernarg_segment_ptr 1
		.amdhsa_user_sgpr_dispatch_id 0
		.amdhsa_user_sgpr_kernarg_preload_length 0
		.amdhsa_user_sgpr_kernarg_preload_offset 0
		.amdhsa_user_sgpr_private_segment_size 0
		.amdhsa_uses_dynamic_stack 0
		.amdhsa_enable_private_segment 0
		.amdhsa_system_sgpr_workgroup_id_x 1
		.amdhsa_system_sgpr_workgroup_id_y 0
		.amdhsa_system_sgpr_workgroup_id_z 0
		.amdhsa_system_sgpr_workgroup_info 0
		.amdhsa_system_vgpr_workitem_id 0
		.amdhsa_next_free_vgpr 1
		.amdhsa_next_free_sgpr 0
		.amdhsa_accum_offset 4
		.amdhsa_reserve_vcc 0
		.amdhsa_float_round_mode_32 0
		.amdhsa_float_round_mode_16_64 0
		.amdhsa_float_denorm_mode_32 3
		.amdhsa_float_denorm_mode_16_64 3
		.amdhsa_dx10_clamp 1
		.amdhsa_ieee_mode 1
		.amdhsa_fp16_overflow 0
		.amdhsa_tg_split 0
		.amdhsa_exception_fp_ieee_invalid_op 0
		.amdhsa_exception_fp_denorm_src 0
		.amdhsa_exception_fp_ieee_div_zero 0
		.amdhsa_exception_fp_ieee_overflow 0
		.amdhsa_exception_fp_ieee_underflow 0
		.amdhsa_exception_fp_ieee_inexact 0
		.amdhsa_exception_int_div_zero 0
	.end_amdhsa_kernel
	.section	.text._ZN7rocprim17ROCPRIM_400000_NS6detail17trampoline_kernelINS0_14default_configENS1_25partition_config_selectorILNS1_17partition_subalgoE9EllbEEZZNS1_14partition_implILS5_9ELb0ES3_jPlS8_PNS0_10empty_typeENS0_5tupleIJS8_S9_EEENSB_IJS8_SA_EEENS0_18inequality_wrapperIZN2at6native12_GLOBAL__N_124unique_dim_cuda_templateIiEESt5tupleIJNSF_6TensorESK_SK_EERKSK_lbbbEUlllE0_EEPmJS9_EEE10hipError_tPvRmT3_T4_T5_T6_T7_T9_mT8_P12ihipStream_tbDpT10_ENKUlT_T0_E_clISt17integral_constantIbLb1EES1A_EEDaS15_S16_EUlS15_E_NS1_11comp_targetILNS1_3genE5ELNS1_11target_archE942ELNS1_3gpuE9ELNS1_3repE0EEENS1_30default_config_static_selectorELNS0_4arch9wavefront6targetE1EEEvT1_,"axG",@progbits,_ZN7rocprim17ROCPRIM_400000_NS6detail17trampoline_kernelINS0_14default_configENS1_25partition_config_selectorILNS1_17partition_subalgoE9EllbEEZZNS1_14partition_implILS5_9ELb0ES3_jPlS8_PNS0_10empty_typeENS0_5tupleIJS8_S9_EEENSB_IJS8_SA_EEENS0_18inequality_wrapperIZN2at6native12_GLOBAL__N_124unique_dim_cuda_templateIiEESt5tupleIJNSF_6TensorESK_SK_EERKSK_lbbbEUlllE0_EEPmJS9_EEE10hipError_tPvRmT3_T4_T5_T6_T7_T9_mT8_P12ihipStream_tbDpT10_ENKUlT_T0_E_clISt17integral_constantIbLb1EES1A_EEDaS15_S16_EUlS15_E_NS1_11comp_targetILNS1_3genE5ELNS1_11target_archE942ELNS1_3gpuE9ELNS1_3repE0EEENS1_30default_config_static_selectorELNS0_4arch9wavefront6targetE1EEEvT1_,comdat
.Lfunc_end482:
	.size	_ZN7rocprim17ROCPRIM_400000_NS6detail17trampoline_kernelINS0_14default_configENS1_25partition_config_selectorILNS1_17partition_subalgoE9EllbEEZZNS1_14partition_implILS5_9ELb0ES3_jPlS8_PNS0_10empty_typeENS0_5tupleIJS8_S9_EEENSB_IJS8_SA_EEENS0_18inequality_wrapperIZN2at6native12_GLOBAL__N_124unique_dim_cuda_templateIiEESt5tupleIJNSF_6TensorESK_SK_EERKSK_lbbbEUlllE0_EEPmJS9_EEE10hipError_tPvRmT3_T4_T5_T6_T7_T9_mT8_P12ihipStream_tbDpT10_ENKUlT_T0_E_clISt17integral_constantIbLb1EES1A_EEDaS15_S16_EUlS15_E_NS1_11comp_targetILNS1_3genE5ELNS1_11target_archE942ELNS1_3gpuE9ELNS1_3repE0EEENS1_30default_config_static_selectorELNS0_4arch9wavefront6targetE1EEEvT1_, .Lfunc_end482-_ZN7rocprim17ROCPRIM_400000_NS6detail17trampoline_kernelINS0_14default_configENS1_25partition_config_selectorILNS1_17partition_subalgoE9EllbEEZZNS1_14partition_implILS5_9ELb0ES3_jPlS8_PNS0_10empty_typeENS0_5tupleIJS8_S9_EEENSB_IJS8_SA_EEENS0_18inequality_wrapperIZN2at6native12_GLOBAL__N_124unique_dim_cuda_templateIiEESt5tupleIJNSF_6TensorESK_SK_EERKSK_lbbbEUlllE0_EEPmJS9_EEE10hipError_tPvRmT3_T4_T5_T6_T7_T9_mT8_P12ihipStream_tbDpT10_ENKUlT_T0_E_clISt17integral_constantIbLb1EES1A_EEDaS15_S16_EUlS15_E_NS1_11comp_targetILNS1_3genE5ELNS1_11target_archE942ELNS1_3gpuE9ELNS1_3repE0EEENS1_30default_config_static_selectorELNS0_4arch9wavefront6targetE1EEEvT1_
                                        ; -- End function
	.set _ZN7rocprim17ROCPRIM_400000_NS6detail17trampoline_kernelINS0_14default_configENS1_25partition_config_selectorILNS1_17partition_subalgoE9EllbEEZZNS1_14partition_implILS5_9ELb0ES3_jPlS8_PNS0_10empty_typeENS0_5tupleIJS8_S9_EEENSB_IJS8_SA_EEENS0_18inequality_wrapperIZN2at6native12_GLOBAL__N_124unique_dim_cuda_templateIiEESt5tupleIJNSF_6TensorESK_SK_EERKSK_lbbbEUlllE0_EEPmJS9_EEE10hipError_tPvRmT3_T4_T5_T6_T7_T9_mT8_P12ihipStream_tbDpT10_ENKUlT_T0_E_clISt17integral_constantIbLb1EES1A_EEDaS15_S16_EUlS15_E_NS1_11comp_targetILNS1_3genE5ELNS1_11target_archE942ELNS1_3gpuE9ELNS1_3repE0EEENS1_30default_config_static_selectorELNS0_4arch9wavefront6targetE1EEEvT1_.num_vgpr, 0
	.set _ZN7rocprim17ROCPRIM_400000_NS6detail17trampoline_kernelINS0_14default_configENS1_25partition_config_selectorILNS1_17partition_subalgoE9EllbEEZZNS1_14partition_implILS5_9ELb0ES3_jPlS8_PNS0_10empty_typeENS0_5tupleIJS8_S9_EEENSB_IJS8_SA_EEENS0_18inequality_wrapperIZN2at6native12_GLOBAL__N_124unique_dim_cuda_templateIiEESt5tupleIJNSF_6TensorESK_SK_EERKSK_lbbbEUlllE0_EEPmJS9_EEE10hipError_tPvRmT3_T4_T5_T6_T7_T9_mT8_P12ihipStream_tbDpT10_ENKUlT_T0_E_clISt17integral_constantIbLb1EES1A_EEDaS15_S16_EUlS15_E_NS1_11comp_targetILNS1_3genE5ELNS1_11target_archE942ELNS1_3gpuE9ELNS1_3repE0EEENS1_30default_config_static_selectorELNS0_4arch9wavefront6targetE1EEEvT1_.num_agpr, 0
	.set _ZN7rocprim17ROCPRIM_400000_NS6detail17trampoline_kernelINS0_14default_configENS1_25partition_config_selectorILNS1_17partition_subalgoE9EllbEEZZNS1_14partition_implILS5_9ELb0ES3_jPlS8_PNS0_10empty_typeENS0_5tupleIJS8_S9_EEENSB_IJS8_SA_EEENS0_18inequality_wrapperIZN2at6native12_GLOBAL__N_124unique_dim_cuda_templateIiEESt5tupleIJNSF_6TensorESK_SK_EERKSK_lbbbEUlllE0_EEPmJS9_EEE10hipError_tPvRmT3_T4_T5_T6_T7_T9_mT8_P12ihipStream_tbDpT10_ENKUlT_T0_E_clISt17integral_constantIbLb1EES1A_EEDaS15_S16_EUlS15_E_NS1_11comp_targetILNS1_3genE5ELNS1_11target_archE942ELNS1_3gpuE9ELNS1_3repE0EEENS1_30default_config_static_selectorELNS0_4arch9wavefront6targetE1EEEvT1_.numbered_sgpr, 0
	.set _ZN7rocprim17ROCPRIM_400000_NS6detail17trampoline_kernelINS0_14default_configENS1_25partition_config_selectorILNS1_17partition_subalgoE9EllbEEZZNS1_14partition_implILS5_9ELb0ES3_jPlS8_PNS0_10empty_typeENS0_5tupleIJS8_S9_EEENSB_IJS8_SA_EEENS0_18inequality_wrapperIZN2at6native12_GLOBAL__N_124unique_dim_cuda_templateIiEESt5tupleIJNSF_6TensorESK_SK_EERKSK_lbbbEUlllE0_EEPmJS9_EEE10hipError_tPvRmT3_T4_T5_T6_T7_T9_mT8_P12ihipStream_tbDpT10_ENKUlT_T0_E_clISt17integral_constantIbLb1EES1A_EEDaS15_S16_EUlS15_E_NS1_11comp_targetILNS1_3genE5ELNS1_11target_archE942ELNS1_3gpuE9ELNS1_3repE0EEENS1_30default_config_static_selectorELNS0_4arch9wavefront6targetE1EEEvT1_.num_named_barrier, 0
	.set _ZN7rocprim17ROCPRIM_400000_NS6detail17trampoline_kernelINS0_14default_configENS1_25partition_config_selectorILNS1_17partition_subalgoE9EllbEEZZNS1_14partition_implILS5_9ELb0ES3_jPlS8_PNS0_10empty_typeENS0_5tupleIJS8_S9_EEENSB_IJS8_SA_EEENS0_18inequality_wrapperIZN2at6native12_GLOBAL__N_124unique_dim_cuda_templateIiEESt5tupleIJNSF_6TensorESK_SK_EERKSK_lbbbEUlllE0_EEPmJS9_EEE10hipError_tPvRmT3_T4_T5_T6_T7_T9_mT8_P12ihipStream_tbDpT10_ENKUlT_T0_E_clISt17integral_constantIbLb1EES1A_EEDaS15_S16_EUlS15_E_NS1_11comp_targetILNS1_3genE5ELNS1_11target_archE942ELNS1_3gpuE9ELNS1_3repE0EEENS1_30default_config_static_selectorELNS0_4arch9wavefront6targetE1EEEvT1_.private_seg_size, 0
	.set _ZN7rocprim17ROCPRIM_400000_NS6detail17trampoline_kernelINS0_14default_configENS1_25partition_config_selectorILNS1_17partition_subalgoE9EllbEEZZNS1_14partition_implILS5_9ELb0ES3_jPlS8_PNS0_10empty_typeENS0_5tupleIJS8_S9_EEENSB_IJS8_SA_EEENS0_18inequality_wrapperIZN2at6native12_GLOBAL__N_124unique_dim_cuda_templateIiEESt5tupleIJNSF_6TensorESK_SK_EERKSK_lbbbEUlllE0_EEPmJS9_EEE10hipError_tPvRmT3_T4_T5_T6_T7_T9_mT8_P12ihipStream_tbDpT10_ENKUlT_T0_E_clISt17integral_constantIbLb1EES1A_EEDaS15_S16_EUlS15_E_NS1_11comp_targetILNS1_3genE5ELNS1_11target_archE942ELNS1_3gpuE9ELNS1_3repE0EEENS1_30default_config_static_selectorELNS0_4arch9wavefront6targetE1EEEvT1_.uses_vcc, 0
	.set _ZN7rocprim17ROCPRIM_400000_NS6detail17trampoline_kernelINS0_14default_configENS1_25partition_config_selectorILNS1_17partition_subalgoE9EllbEEZZNS1_14partition_implILS5_9ELb0ES3_jPlS8_PNS0_10empty_typeENS0_5tupleIJS8_S9_EEENSB_IJS8_SA_EEENS0_18inequality_wrapperIZN2at6native12_GLOBAL__N_124unique_dim_cuda_templateIiEESt5tupleIJNSF_6TensorESK_SK_EERKSK_lbbbEUlllE0_EEPmJS9_EEE10hipError_tPvRmT3_T4_T5_T6_T7_T9_mT8_P12ihipStream_tbDpT10_ENKUlT_T0_E_clISt17integral_constantIbLb1EES1A_EEDaS15_S16_EUlS15_E_NS1_11comp_targetILNS1_3genE5ELNS1_11target_archE942ELNS1_3gpuE9ELNS1_3repE0EEENS1_30default_config_static_selectorELNS0_4arch9wavefront6targetE1EEEvT1_.uses_flat_scratch, 0
	.set _ZN7rocprim17ROCPRIM_400000_NS6detail17trampoline_kernelINS0_14default_configENS1_25partition_config_selectorILNS1_17partition_subalgoE9EllbEEZZNS1_14partition_implILS5_9ELb0ES3_jPlS8_PNS0_10empty_typeENS0_5tupleIJS8_S9_EEENSB_IJS8_SA_EEENS0_18inequality_wrapperIZN2at6native12_GLOBAL__N_124unique_dim_cuda_templateIiEESt5tupleIJNSF_6TensorESK_SK_EERKSK_lbbbEUlllE0_EEPmJS9_EEE10hipError_tPvRmT3_T4_T5_T6_T7_T9_mT8_P12ihipStream_tbDpT10_ENKUlT_T0_E_clISt17integral_constantIbLb1EES1A_EEDaS15_S16_EUlS15_E_NS1_11comp_targetILNS1_3genE5ELNS1_11target_archE942ELNS1_3gpuE9ELNS1_3repE0EEENS1_30default_config_static_selectorELNS0_4arch9wavefront6targetE1EEEvT1_.has_dyn_sized_stack, 0
	.set _ZN7rocprim17ROCPRIM_400000_NS6detail17trampoline_kernelINS0_14default_configENS1_25partition_config_selectorILNS1_17partition_subalgoE9EllbEEZZNS1_14partition_implILS5_9ELb0ES3_jPlS8_PNS0_10empty_typeENS0_5tupleIJS8_S9_EEENSB_IJS8_SA_EEENS0_18inequality_wrapperIZN2at6native12_GLOBAL__N_124unique_dim_cuda_templateIiEESt5tupleIJNSF_6TensorESK_SK_EERKSK_lbbbEUlllE0_EEPmJS9_EEE10hipError_tPvRmT3_T4_T5_T6_T7_T9_mT8_P12ihipStream_tbDpT10_ENKUlT_T0_E_clISt17integral_constantIbLb1EES1A_EEDaS15_S16_EUlS15_E_NS1_11comp_targetILNS1_3genE5ELNS1_11target_archE942ELNS1_3gpuE9ELNS1_3repE0EEENS1_30default_config_static_selectorELNS0_4arch9wavefront6targetE1EEEvT1_.has_recursion, 0
	.set _ZN7rocprim17ROCPRIM_400000_NS6detail17trampoline_kernelINS0_14default_configENS1_25partition_config_selectorILNS1_17partition_subalgoE9EllbEEZZNS1_14partition_implILS5_9ELb0ES3_jPlS8_PNS0_10empty_typeENS0_5tupleIJS8_S9_EEENSB_IJS8_SA_EEENS0_18inequality_wrapperIZN2at6native12_GLOBAL__N_124unique_dim_cuda_templateIiEESt5tupleIJNSF_6TensorESK_SK_EERKSK_lbbbEUlllE0_EEPmJS9_EEE10hipError_tPvRmT3_T4_T5_T6_T7_T9_mT8_P12ihipStream_tbDpT10_ENKUlT_T0_E_clISt17integral_constantIbLb1EES1A_EEDaS15_S16_EUlS15_E_NS1_11comp_targetILNS1_3genE5ELNS1_11target_archE942ELNS1_3gpuE9ELNS1_3repE0EEENS1_30default_config_static_selectorELNS0_4arch9wavefront6targetE1EEEvT1_.has_indirect_call, 0
	.section	.AMDGPU.csdata,"",@progbits
; Kernel info:
; codeLenInByte = 0
; TotalNumSgprs: 6
; NumVgprs: 0
; NumAgprs: 0
; TotalNumVgprs: 0
; ScratchSize: 0
; MemoryBound: 0
; FloatMode: 240
; IeeeMode: 1
; LDSByteSize: 0 bytes/workgroup (compile time only)
; SGPRBlocks: 0
; VGPRBlocks: 0
; NumSGPRsForWavesPerEU: 6
; NumVGPRsForWavesPerEU: 1
; AccumOffset: 4
; Occupancy: 8
; WaveLimiterHint : 0
; COMPUTE_PGM_RSRC2:SCRATCH_EN: 0
; COMPUTE_PGM_RSRC2:USER_SGPR: 2
; COMPUTE_PGM_RSRC2:TRAP_HANDLER: 0
; COMPUTE_PGM_RSRC2:TGID_X_EN: 1
; COMPUTE_PGM_RSRC2:TGID_Y_EN: 0
; COMPUTE_PGM_RSRC2:TGID_Z_EN: 0
; COMPUTE_PGM_RSRC2:TIDIG_COMP_CNT: 0
; COMPUTE_PGM_RSRC3_GFX90A:ACCUM_OFFSET: 0
; COMPUTE_PGM_RSRC3_GFX90A:TG_SPLIT: 0
	.section	.text._ZN7rocprim17ROCPRIM_400000_NS6detail17trampoline_kernelINS0_14default_configENS1_25partition_config_selectorILNS1_17partition_subalgoE9EllbEEZZNS1_14partition_implILS5_9ELb0ES3_jPlS8_PNS0_10empty_typeENS0_5tupleIJS8_S9_EEENSB_IJS8_SA_EEENS0_18inequality_wrapperIZN2at6native12_GLOBAL__N_124unique_dim_cuda_templateIiEESt5tupleIJNSF_6TensorESK_SK_EERKSK_lbbbEUlllE0_EEPmJS9_EEE10hipError_tPvRmT3_T4_T5_T6_T7_T9_mT8_P12ihipStream_tbDpT10_ENKUlT_T0_E_clISt17integral_constantIbLb1EES1A_EEDaS15_S16_EUlS15_E_NS1_11comp_targetILNS1_3genE4ELNS1_11target_archE910ELNS1_3gpuE8ELNS1_3repE0EEENS1_30default_config_static_selectorELNS0_4arch9wavefront6targetE1EEEvT1_,"axG",@progbits,_ZN7rocprim17ROCPRIM_400000_NS6detail17trampoline_kernelINS0_14default_configENS1_25partition_config_selectorILNS1_17partition_subalgoE9EllbEEZZNS1_14partition_implILS5_9ELb0ES3_jPlS8_PNS0_10empty_typeENS0_5tupleIJS8_S9_EEENSB_IJS8_SA_EEENS0_18inequality_wrapperIZN2at6native12_GLOBAL__N_124unique_dim_cuda_templateIiEESt5tupleIJNSF_6TensorESK_SK_EERKSK_lbbbEUlllE0_EEPmJS9_EEE10hipError_tPvRmT3_T4_T5_T6_T7_T9_mT8_P12ihipStream_tbDpT10_ENKUlT_T0_E_clISt17integral_constantIbLb1EES1A_EEDaS15_S16_EUlS15_E_NS1_11comp_targetILNS1_3genE4ELNS1_11target_archE910ELNS1_3gpuE8ELNS1_3repE0EEENS1_30default_config_static_selectorELNS0_4arch9wavefront6targetE1EEEvT1_,comdat
	.globl	_ZN7rocprim17ROCPRIM_400000_NS6detail17trampoline_kernelINS0_14default_configENS1_25partition_config_selectorILNS1_17partition_subalgoE9EllbEEZZNS1_14partition_implILS5_9ELb0ES3_jPlS8_PNS0_10empty_typeENS0_5tupleIJS8_S9_EEENSB_IJS8_SA_EEENS0_18inequality_wrapperIZN2at6native12_GLOBAL__N_124unique_dim_cuda_templateIiEESt5tupleIJNSF_6TensorESK_SK_EERKSK_lbbbEUlllE0_EEPmJS9_EEE10hipError_tPvRmT3_T4_T5_T6_T7_T9_mT8_P12ihipStream_tbDpT10_ENKUlT_T0_E_clISt17integral_constantIbLb1EES1A_EEDaS15_S16_EUlS15_E_NS1_11comp_targetILNS1_3genE4ELNS1_11target_archE910ELNS1_3gpuE8ELNS1_3repE0EEENS1_30default_config_static_selectorELNS0_4arch9wavefront6targetE1EEEvT1_ ; -- Begin function _ZN7rocprim17ROCPRIM_400000_NS6detail17trampoline_kernelINS0_14default_configENS1_25partition_config_selectorILNS1_17partition_subalgoE9EllbEEZZNS1_14partition_implILS5_9ELb0ES3_jPlS8_PNS0_10empty_typeENS0_5tupleIJS8_S9_EEENSB_IJS8_SA_EEENS0_18inequality_wrapperIZN2at6native12_GLOBAL__N_124unique_dim_cuda_templateIiEESt5tupleIJNSF_6TensorESK_SK_EERKSK_lbbbEUlllE0_EEPmJS9_EEE10hipError_tPvRmT3_T4_T5_T6_T7_T9_mT8_P12ihipStream_tbDpT10_ENKUlT_T0_E_clISt17integral_constantIbLb1EES1A_EEDaS15_S16_EUlS15_E_NS1_11comp_targetILNS1_3genE4ELNS1_11target_archE910ELNS1_3gpuE8ELNS1_3repE0EEENS1_30default_config_static_selectorELNS0_4arch9wavefront6targetE1EEEvT1_
	.p2align	8
	.type	_ZN7rocprim17ROCPRIM_400000_NS6detail17trampoline_kernelINS0_14default_configENS1_25partition_config_selectorILNS1_17partition_subalgoE9EllbEEZZNS1_14partition_implILS5_9ELb0ES3_jPlS8_PNS0_10empty_typeENS0_5tupleIJS8_S9_EEENSB_IJS8_SA_EEENS0_18inequality_wrapperIZN2at6native12_GLOBAL__N_124unique_dim_cuda_templateIiEESt5tupleIJNSF_6TensorESK_SK_EERKSK_lbbbEUlllE0_EEPmJS9_EEE10hipError_tPvRmT3_T4_T5_T6_T7_T9_mT8_P12ihipStream_tbDpT10_ENKUlT_T0_E_clISt17integral_constantIbLb1EES1A_EEDaS15_S16_EUlS15_E_NS1_11comp_targetILNS1_3genE4ELNS1_11target_archE910ELNS1_3gpuE8ELNS1_3repE0EEENS1_30default_config_static_selectorELNS0_4arch9wavefront6targetE1EEEvT1_,@function
_ZN7rocprim17ROCPRIM_400000_NS6detail17trampoline_kernelINS0_14default_configENS1_25partition_config_selectorILNS1_17partition_subalgoE9EllbEEZZNS1_14partition_implILS5_9ELb0ES3_jPlS8_PNS0_10empty_typeENS0_5tupleIJS8_S9_EEENSB_IJS8_SA_EEENS0_18inequality_wrapperIZN2at6native12_GLOBAL__N_124unique_dim_cuda_templateIiEESt5tupleIJNSF_6TensorESK_SK_EERKSK_lbbbEUlllE0_EEPmJS9_EEE10hipError_tPvRmT3_T4_T5_T6_T7_T9_mT8_P12ihipStream_tbDpT10_ENKUlT_T0_E_clISt17integral_constantIbLb1EES1A_EEDaS15_S16_EUlS15_E_NS1_11comp_targetILNS1_3genE4ELNS1_11target_archE910ELNS1_3gpuE8ELNS1_3repE0EEENS1_30default_config_static_selectorELNS0_4arch9wavefront6targetE1EEEvT1_: ; @_ZN7rocprim17ROCPRIM_400000_NS6detail17trampoline_kernelINS0_14default_configENS1_25partition_config_selectorILNS1_17partition_subalgoE9EllbEEZZNS1_14partition_implILS5_9ELb0ES3_jPlS8_PNS0_10empty_typeENS0_5tupleIJS8_S9_EEENSB_IJS8_SA_EEENS0_18inequality_wrapperIZN2at6native12_GLOBAL__N_124unique_dim_cuda_templateIiEESt5tupleIJNSF_6TensorESK_SK_EERKSK_lbbbEUlllE0_EEPmJS9_EEE10hipError_tPvRmT3_T4_T5_T6_T7_T9_mT8_P12ihipStream_tbDpT10_ENKUlT_T0_E_clISt17integral_constantIbLb1EES1A_EEDaS15_S16_EUlS15_E_NS1_11comp_targetILNS1_3genE4ELNS1_11target_archE910ELNS1_3gpuE8ELNS1_3repE0EEENS1_30default_config_static_selectorELNS0_4arch9wavefront6targetE1EEEvT1_
; %bb.0:
	.section	.rodata,"a",@progbits
	.p2align	6, 0x0
	.amdhsa_kernel _ZN7rocprim17ROCPRIM_400000_NS6detail17trampoline_kernelINS0_14default_configENS1_25partition_config_selectorILNS1_17partition_subalgoE9EllbEEZZNS1_14partition_implILS5_9ELb0ES3_jPlS8_PNS0_10empty_typeENS0_5tupleIJS8_S9_EEENSB_IJS8_SA_EEENS0_18inequality_wrapperIZN2at6native12_GLOBAL__N_124unique_dim_cuda_templateIiEESt5tupleIJNSF_6TensorESK_SK_EERKSK_lbbbEUlllE0_EEPmJS9_EEE10hipError_tPvRmT3_T4_T5_T6_T7_T9_mT8_P12ihipStream_tbDpT10_ENKUlT_T0_E_clISt17integral_constantIbLb1EES1A_EEDaS15_S16_EUlS15_E_NS1_11comp_targetILNS1_3genE4ELNS1_11target_archE910ELNS1_3gpuE8ELNS1_3repE0EEENS1_30default_config_static_selectorELNS0_4arch9wavefront6targetE1EEEvT1_
		.amdhsa_group_segment_fixed_size 0
		.amdhsa_private_segment_fixed_size 0
		.amdhsa_kernarg_size 136
		.amdhsa_user_sgpr_count 2
		.amdhsa_user_sgpr_dispatch_ptr 0
		.amdhsa_user_sgpr_queue_ptr 0
		.amdhsa_user_sgpr_kernarg_segment_ptr 1
		.amdhsa_user_sgpr_dispatch_id 0
		.amdhsa_user_sgpr_kernarg_preload_length 0
		.amdhsa_user_sgpr_kernarg_preload_offset 0
		.amdhsa_user_sgpr_private_segment_size 0
		.amdhsa_uses_dynamic_stack 0
		.amdhsa_enable_private_segment 0
		.amdhsa_system_sgpr_workgroup_id_x 1
		.amdhsa_system_sgpr_workgroup_id_y 0
		.amdhsa_system_sgpr_workgroup_id_z 0
		.amdhsa_system_sgpr_workgroup_info 0
		.amdhsa_system_vgpr_workitem_id 0
		.amdhsa_next_free_vgpr 1
		.amdhsa_next_free_sgpr 0
		.amdhsa_accum_offset 4
		.amdhsa_reserve_vcc 0
		.amdhsa_float_round_mode_32 0
		.amdhsa_float_round_mode_16_64 0
		.amdhsa_float_denorm_mode_32 3
		.amdhsa_float_denorm_mode_16_64 3
		.amdhsa_dx10_clamp 1
		.amdhsa_ieee_mode 1
		.amdhsa_fp16_overflow 0
		.amdhsa_tg_split 0
		.amdhsa_exception_fp_ieee_invalid_op 0
		.amdhsa_exception_fp_denorm_src 0
		.amdhsa_exception_fp_ieee_div_zero 0
		.amdhsa_exception_fp_ieee_overflow 0
		.amdhsa_exception_fp_ieee_underflow 0
		.amdhsa_exception_fp_ieee_inexact 0
		.amdhsa_exception_int_div_zero 0
	.end_amdhsa_kernel
	.section	.text._ZN7rocprim17ROCPRIM_400000_NS6detail17trampoline_kernelINS0_14default_configENS1_25partition_config_selectorILNS1_17partition_subalgoE9EllbEEZZNS1_14partition_implILS5_9ELb0ES3_jPlS8_PNS0_10empty_typeENS0_5tupleIJS8_S9_EEENSB_IJS8_SA_EEENS0_18inequality_wrapperIZN2at6native12_GLOBAL__N_124unique_dim_cuda_templateIiEESt5tupleIJNSF_6TensorESK_SK_EERKSK_lbbbEUlllE0_EEPmJS9_EEE10hipError_tPvRmT3_T4_T5_T6_T7_T9_mT8_P12ihipStream_tbDpT10_ENKUlT_T0_E_clISt17integral_constantIbLb1EES1A_EEDaS15_S16_EUlS15_E_NS1_11comp_targetILNS1_3genE4ELNS1_11target_archE910ELNS1_3gpuE8ELNS1_3repE0EEENS1_30default_config_static_selectorELNS0_4arch9wavefront6targetE1EEEvT1_,"axG",@progbits,_ZN7rocprim17ROCPRIM_400000_NS6detail17trampoline_kernelINS0_14default_configENS1_25partition_config_selectorILNS1_17partition_subalgoE9EllbEEZZNS1_14partition_implILS5_9ELb0ES3_jPlS8_PNS0_10empty_typeENS0_5tupleIJS8_S9_EEENSB_IJS8_SA_EEENS0_18inequality_wrapperIZN2at6native12_GLOBAL__N_124unique_dim_cuda_templateIiEESt5tupleIJNSF_6TensorESK_SK_EERKSK_lbbbEUlllE0_EEPmJS9_EEE10hipError_tPvRmT3_T4_T5_T6_T7_T9_mT8_P12ihipStream_tbDpT10_ENKUlT_T0_E_clISt17integral_constantIbLb1EES1A_EEDaS15_S16_EUlS15_E_NS1_11comp_targetILNS1_3genE4ELNS1_11target_archE910ELNS1_3gpuE8ELNS1_3repE0EEENS1_30default_config_static_selectorELNS0_4arch9wavefront6targetE1EEEvT1_,comdat
.Lfunc_end483:
	.size	_ZN7rocprim17ROCPRIM_400000_NS6detail17trampoline_kernelINS0_14default_configENS1_25partition_config_selectorILNS1_17partition_subalgoE9EllbEEZZNS1_14partition_implILS5_9ELb0ES3_jPlS8_PNS0_10empty_typeENS0_5tupleIJS8_S9_EEENSB_IJS8_SA_EEENS0_18inequality_wrapperIZN2at6native12_GLOBAL__N_124unique_dim_cuda_templateIiEESt5tupleIJNSF_6TensorESK_SK_EERKSK_lbbbEUlllE0_EEPmJS9_EEE10hipError_tPvRmT3_T4_T5_T6_T7_T9_mT8_P12ihipStream_tbDpT10_ENKUlT_T0_E_clISt17integral_constantIbLb1EES1A_EEDaS15_S16_EUlS15_E_NS1_11comp_targetILNS1_3genE4ELNS1_11target_archE910ELNS1_3gpuE8ELNS1_3repE0EEENS1_30default_config_static_selectorELNS0_4arch9wavefront6targetE1EEEvT1_, .Lfunc_end483-_ZN7rocprim17ROCPRIM_400000_NS6detail17trampoline_kernelINS0_14default_configENS1_25partition_config_selectorILNS1_17partition_subalgoE9EllbEEZZNS1_14partition_implILS5_9ELb0ES3_jPlS8_PNS0_10empty_typeENS0_5tupleIJS8_S9_EEENSB_IJS8_SA_EEENS0_18inequality_wrapperIZN2at6native12_GLOBAL__N_124unique_dim_cuda_templateIiEESt5tupleIJNSF_6TensorESK_SK_EERKSK_lbbbEUlllE0_EEPmJS9_EEE10hipError_tPvRmT3_T4_T5_T6_T7_T9_mT8_P12ihipStream_tbDpT10_ENKUlT_T0_E_clISt17integral_constantIbLb1EES1A_EEDaS15_S16_EUlS15_E_NS1_11comp_targetILNS1_3genE4ELNS1_11target_archE910ELNS1_3gpuE8ELNS1_3repE0EEENS1_30default_config_static_selectorELNS0_4arch9wavefront6targetE1EEEvT1_
                                        ; -- End function
	.set _ZN7rocprim17ROCPRIM_400000_NS6detail17trampoline_kernelINS0_14default_configENS1_25partition_config_selectorILNS1_17partition_subalgoE9EllbEEZZNS1_14partition_implILS5_9ELb0ES3_jPlS8_PNS0_10empty_typeENS0_5tupleIJS8_S9_EEENSB_IJS8_SA_EEENS0_18inequality_wrapperIZN2at6native12_GLOBAL__N_124unique_dim_cuda_templateIiEESt5tupleIJNSF_6TensorESK_SK_EERKSK_lbbbEUlllE0_EEPmJS9_EEE10hipError_tPvRmT3_T4_T5_T6_T7_T9_mT8_P12ihipStream_tbDpT10_ENKUlT_T0_E_clISt17integral_constantIbLb1EES1A_EEDaS15_S16_EUlS15_E_NS1_11comp_targetILNS1_3genE4ELNS1_11target_archE910ELNS1_3gpuE8ELNS1_3repE0EEENS1_30default_config_static_selectorELNS0_4arch9wavefront6targetE1EEEvT1_.num_vgpr, 0
	.set _ZN7rocprim17ROCPRIM_400000_NS6detail17trampoline_kernelINS0_14default_configENS1_25partition_config_selectorILNS1_17partition_subalgoE9EllbEEZZNS1_14partition_implILS5_9ELb0ES3_jPlS8_PNS0_10empty_typeENS0_5tupleIJS8_S9_EEENSB_IJS8_SA_EEENS0_18inequality_wrapperIZN2at6native12_GLOBAL__N_124unique_dim_cuda_templateIiEESt5tupleIJNSF_6TensorESK_SK_EERKSK_lbbbEUlllE0_EEPmJS9_EEE10hipError_tPvRmT3_T4_T5_T6_T7_T9_mT8_P12ihipStream_tbDpT10_ENKUlT_T0_E_clISt17integral_constantIbLb1EES1A_EEDaS15_S16_EUlS15_E_NS1_11comp_targetILNS1_3genE4ELNS1_11target_archE910ELNS1_3gpuE8ELNS1_3repE0EEENS1_30default_config_static_selectorELNS0_4arch9wavefront6targetE1EEEvT1_.num_agpr, 0
	.set _ZN7rocprim17ROCPRIM_400000_NS6detail17trampoline_kernelINS0_14default_configENS1_25partition_config_selectorILNS1_17partition_subalgoE9EllbEEZZNS1_14partition_implILS5_9ELb0ES3_jPlS8_PNS0_10empty_typeENS0_5tupleIJS8_S9_EEENSB_IJS8_SA_EEENS0_18inequality_wrapperIZN2at6native12_GLOBAL__N_124unique_dim_cuda_templateIiEESt5tupleIJNSF_6TensorESK_SK_EERKSK_lbbbEUlllE0_EEPmJS9_EEE10hipError_tPvRmT3_T4_T5_T6_T7_T9_mT8_P12ihipStream_tbDpT10_ENKUlT_T0_E_clISt17integral_constantIbLb1EES1A_EEDaS15_S16_EUlS15_E_NS1_11comp_targetILNS1_3genE4ELNS1_11target_archE910ELNS1_3gpuE8ELNS1_3repE0EEENS1_30default_config_static_selectorELNS0_4arch9wavefront6targetE1EEEvT1_.numbered_sgpr, 0
	.set _ZN7rocprim17ROCPRIM_400000_NS6detail17trampoline_kernelINS0_14default_configENS1_25partition_config_selectorILNS1_17partition_subalgoE9EllbEEZZNS1_14partition_implILS5_9ELb0ES3_jPlS8_PNS0_10empty_typeENS0_5tupleIJS8_S9_EEENSB_IJS8_SA_EEENS0_18inequality_wrapperIZN2at6native12_GLOBAL__N_124unique_dim_cuda_templateIiEESt5tupleIJNSF_6TensorESK_SK_EERKSK_lbbbEUlllE0_EEPmJS9_EEE10hipError_tPvRmT3_T4_T5_T6_T7_T9_mT8_P12ihipStream_tbDpT10_ENKUlT_T0_E_clISt17integral_constantIbLb1EES1A_EEDaS15_S16_EUlS15_E_NS1_11comp_targetILNS1_3genE4ELNS1_11target_archE910ELNS1_3gpuE8ELNS1_3repE0EEENS1_30default_config_static_selectorELNS0_4arch9wavefront6targetE1EEEvT1_.num_named_barrier, 0
	.set _ZN7rocprim17ROCPRIM_400000_NS6detail17trampoline_kernelINS0_14default_configENS1_25partition_config_selectorILNS1_17partition_subalgoE9EllbEEZZNS1_14partition_implILS5_9ELb0ES3_jPlS8_PNS0_10empty_typeENS0_5tupleIJS8_S9_EEENSB_IJS8_SA_EEENS0_18inequality_wrapperIZN2at6native12_GLOBAL__N_124unique_dim_cuda_templateIiEESt5tupleIJNSF_6TensorESK_SK_EERKSK_lbbbEUlllE0_EEPmJS9_EEE10hipError_tPvRmT3_T4_T5_T6_T7_T9_mT8_P12ihipStream_tbDpT10_ENKUlT_T0_E_clISt17integral_constantIbLb1EES1A_EEDaS15_S16_EUlS15_E_NS1_11comp_targetILNS1_3genE4ELNS1_11target_archE910ELNS1_3gpuE8ELNS1_3repE0EEENS1_30default_config_static_selectorELNS0_4arch9wavefront6targetE1EEEvT1_.private_seg_size, 0
	.set _ZN7rocprim17ROCPRIM_400000_NS6detail17trampoline_kernelINS0_14default_configENS1_25partition_config_selectorILNS1_17partition_subalgoE9EllbEEZZNS1_14partition_implILS5_9ELb0ES3_jPlS8_PNS0_10empty_typeENS0_5tupleIJS8_S9_EEENSB_IJS8_SA_EEENS0_18inequality_wrapperIZN2at6native12_GLOBAL__N_124unique_dim_cuda_templateIiEESt5tupleIJNSF_6TensorESK_SK_EERKSK_lbbbEUlllE0_EEPmJS9_EEE10hipError_tPvRmT3_T4_T5_T6_T7_T9_mT8_P12ihipStream_tbDpT10_ENKUlT_T0_E_clISt17integral_constantIbLb1EES1A_EEDaS15_S16_EUlS15_E_NS1_11comp_targetILNS1_3genE4ELNS1_11target_archE910ELNS1_3gpuE8ELNS1_3repE0EEENS1_30default_config_static_selectorELNS0_4arch9wavefront6targetE1EEEvT1_.uses_vcc, 0
	.set _ZN7rocprim17ROCPRIM_400000_NS6detail17trampoline_kernelINS0_14default_configENS1_25partition_config_selectorILNS1_17partition_subalgoE9EllbEEZZNS1_14partition_implILS5_9ELb0ES3_jPlS8_PNS0_10empty_typeENS0_5tupleIJS8_S9_EEENSB_IJS8_SA_EEENS0_18inequality_wrapperIZN2at6native12_GLOBAL__N_124unique_dim_cuda_templateIiEESt5tupleIJNSF_6TensorESK_SK_EERKSK_lbbbEUlllE0_EEPmJS9_EEE10hipError_tPvRmT3_T4_T5_T6_T7_T9_mT8_P12ihipStream_tbDpT10_ENKUlT_T0_E_clISt17integral_constantIbLb1EES1A_EEDaS15_S16_EUlS15_E_NS1_11comp_targetILNS1_3genE4ELNS1_11target_archE910ELNS1_3gpuE8ELNS1_3repE0EEENS1_30default_config_static_selectorELNS0_4arch9wavefront6targetE1EEEvT1_.uses_flat_scratch, 0
	.set _ZN7rocprim17ROCPRIM_400000_NS6detail17trampoline_kernelINS0_14default_configENS1_25partition_config_selectorILNS1_17partition_subalgoE9EllbEEZZNS1_14partition_implILS5_9ELb0ES3_jPlS8_PNS0_10empty_typeENS0_5tupleIJS8_S9_EEENSB_IJS8_SA_EEENS0_18inequality_wrapperIZN2at6native12_GLOBAL__N_124unique_dim_cuda_templateIiEESt5tupleIJNSF_6TensorESK_SK_EERKSK_lbbbEUlllE0_EEPmJS9_EEE10hipError_tPvRmT3_T4_T5_T6_T7_T9_mT8_P12ihipStream_tbDpT10_ENKUlT_T0_E_clISt17integral_constantIbLb1EES1A_EEDaS15_S16_EUlS15_E_NS1_11comp_targetILNS1_3genE4ELNS1_11target_archE910ELNS1_3gpuE8ELNS1_3repE0EEENS1_30default_config_static_selectorELNS0_4arch9wavefront6targetE1EEEvT1_.has_dyn_sized_stack, 0
	.set _ZN7rocprim17ROCPRIM_400000_NS6detail17trampoline_kernelINS0_14default_configENS1_25partition_config_selectorILNS1_17partition_subalgoE9EllbEEZZNS1_14partition_implILS5_9ELb0ES3_jPlS8_PNS0_10empty_typeENS0_5tupleIJS8_S9_EEENSB_IJS8_SA_EEENS0_18inequality_wrapperIZN2at6native12_GLOBAL__N_124unique_dim_cuda_templateIiEESt5tupleIJNSF_6TensorESK_SK_EERKSK_lbbbEUlllE0_EEPmJS9_EEE10hipError_tPvRmT3_T4_T5_T6_T7_T9_mT8_P12ihipStream_tbDpT10_ENKUlT_T0_E_clISt17integral_constantIbLb1EES1A_EEDaS15_S16_EUlS15_E_NS1_11comp_targetILNS1_3genE4ELNS1_11target_archE910ELNS1_3gpuE8ELNS1_3repE0EEENS1_30default_config_static_selectorELNS0_4arch9wavefront6targetE1EEEvT1_.has_recursion, 0
	.set _ZN7rocprim17ROCPRIM_400000_NS6detail17trampoline_kernelINS0_14default_configENS1_25partition_config_selectorILNS1_17partition_subalgoE9EllbEEZZNS1_14partition_implILS5_9ELb0ES3_jPlS8_PNS0_10empty_typeENS0_5tupleIJS8_S9_EEENSB_IJS8_SA_EEENS0_18inequality_wrapperIZN2at6native12_GLOBAL__N_124unique_dim_cuda_templateIiEESt5tupleIJNSF_6TensorESK_SK_EERKSK_lbbbEUlllE0_EEPmJS9_EEE10hipError_tPvRmT3_T4_T5_T6_T7_T9_mT8_P12ihipStream_tbDpT10_ENKUlT_T0_E_clISt17integral_constantIbLb1EES1A_EEDaS15_S16_EUlS15_E_NS1_11comp_targetILNS1_3genE4ELNS1_11target_archE910ELNS1_3gpuE8ELNS1_3repE0EEENS1_30default_config_static_selectorELNS0_4arch9wavefront6targetE1EEEvT1_.has_indirect_call, 0
	.section	.AMDGPU.csdata,"",@progbits
; Kernel info:
; codeLenInByte = 0
; TotalNumSgprs: 6
; NumVgprs: 0
; NumAgprs: 0
; TotalNumVgprs: 0
; ScratchSize: 0
; MemoryBound: 0
; FloatMode: 240
; IeeeMode: 1
; LDSByteSize: 0 bytes/workgroup (compile time only)
; SGPRBlocks: 0
; VGPRBlocks: 0
; NumSGPRsForWavesPerEU: 6
; NumVGPRsForWavesPerEU: 1
; AccumOffset: 4
; Occupancy: 8
; WaveLimiterHint : 0
; COMPUTE_PGM_RSRC2:SCRATCH_EN: 0
; COMPUTE_PGM_RSRC2:USER_SGPR: 2
; COMPUTE_PGM_RSRC2:TRAP_HANDLER: 0
; COMPUTE_PGM_RSRC2:TGID_X_EN: 1
; COMPUTE_PGM_RSRC2:TGID_Y_EN: 0
; COMPUTE_PGM_RSRC2:TGID_Z_EN: 0
; COMPUTE_PGM_RSRC2:TIDIG_COMP_CNT: 0
; COMPUTE_PGM_RSRC3_GFX90A:ACCUM_OFFSET: 0
; COMPUTE_PGM_RSRC3_GFX90A:TG_SPLIT: 0
	.section	.text._ZN7rocprim17ROCPRIM_400000_NS6detail17trampoline_kernelINS0_14default_configENS1_25partition_config_selectorILNS1_17partition_subalgoE9EllbEEZZNS1_14partition_implILS5_9ELb0ES3_jPlS8_PNS0_10empty_typeENS0_5tupleIJS8_S9_EEENSB_IJS8_SA_EEENS0_18inequality_wrapperIZN2at6native12_GLOBAL__N_124unique_dim_cuda_templateIiEESt5tupleIJNSF_6TensorESK_SK_EERKSK_lbbbEUlllE0_EEPmJS9_EEE10hipError_tPvRmT3_T4_T5_T6_T7_T9_mT8_P12ihipStream_tbDpT10_ENKUlT_T0_E_clISt17integral_constantIbLb1EES1A_EEDaS15_S16_EUlS15_E_NS1_11comp_targetILNS1_3genE3ELNS1_11target_archE908ELNS1_3gpuE7ELNS1_3repE0EEENS1_30default_config_static_selectorELNS0_4arch9wavefront6targetE1EEEvT1_,"axG",@progbits,_ZN7rocprim17ROCPRIM_400000_NS6detail17trampoline_kernelINS0_14default_configENS1_25partition_config_selectorILNS1_17partition_subalgoE9EllbEEZZNS1_14partition_implILS5_9ELb0ES3_jPlS8_PNS0_10empty_typeENS0_5tupleIJS8_S9_EEENSB_IJS8_SA_EEENS0_18inequality_wrapperIZN2at6native12_GLOBAL__N_124unique_dim_cuda_templateIiEESt5tupleIJNSF_6TensorESK_SK_EERKSK_lbbbEUlllE0_EEPmJS9_EEE10hipError_tPvRmT3_T4_T5_T6_T7_T9_mT8_P12ihipStream_tbDpT10_ENKUlT_T0_E_clISt17integral_constantIbLb1EES1A_EEDaS15_S16_EUlS15_E_NS1_11comp_targetILNS1_3genE3ELNS1_11target_archE908ELNS1_3gpuE7ELNS1_3repE0EEENS1_30default_config_static_selectorELNS0_4arch9wavefront6targetE1EEEvT1_,comdat
	.globl	_ZN7rocprim17ROCPRIM_400000_NS6detail17trampoline_kernelINS0_14default_configENS1_25partition_config_selectorILNS1_17partition_subalgoE9EllbEEZZNS1_14partition_implILS5_9ELb0ES3_jPlS8_PNS0_10empty_typeENS0_5tupleIJS8_S9_EEENSB_IJS8_SA_EEENS0_18inequality_wrapperIZN2at6native12_GLOBAL__N_124unique_dim_cuda_templateIiEESt5tupleIJNSF_6TensorESK_SK_EERKSK_lbbbEUlllE0_EEPmJS9_EEE10hipError_tPvRmT3_T4_T5_T6_T7_T9_mT8_P12ihipStream_tbDpT10_ENKUlT_T0_E_clISt17integral_constantIbLb1EES1A_EEDaS15_S16_EUlS15_E_NS1_11comp_targetILNS1_3genE3ELNS1_11target_archE908ELNS1_3gpuE7ELNS1_3repE0EEENS1_30default_config_static_selectorELNS0_4arch9wavefront6targetE1EEEvT1_ ; -- Begin function _ZN7rocprim17ROCPRIM_400000_NS6detail17trampoline_kernelINS0_14default_configENS1_25partition_config_selectorILNS1_17partition_subalgoE9EllbEEZZNS1_14partition_implILS5_9ELb0ES3_jPlS8_PNS0_10empty_typeENS0_5tupleIJS8_S9_EEENSB_IJS8_SA_EEENS0_18inequality_wrapperIZN2at6native12_GLOBAL__N_124unique_dim_cuda_templateIiEESt5tupleIJNSF_6TensorESK_SK_EERKSK_lbbbEUlllE0_EEPmJS9_EEE10hipError_tPvRmT3_T4_T5_T6_T7_T9_mT8_P12ihipStream_tbDpT10_ENKUlT_T0_E_clISt17integral_constantIbLb1EES1A_EEDaS15_S16_EUlS15_E_NS1_11comp_targetILNS1_3genE3ELNS1_11target_archE908ELNS1_3gpuE7ELNS1_3repE0EEENS1_30default_config_static_selectorELNS0_4arch9wavefront6targetE1EEEvT1_
	.p2align	8
	.type	_ZN7rocprim17ROCPRIM_400000_NS6detail17trampoline_kernelINS0_14default_configENS1_25partition_config_selectorILNS1_17partition_subalgoE9EllbEEZZNS1_14partition_implILS5_9ELb0ES3_jPlS8_PNS0_10empty_typeENS0_5tupleIJS8_S9_EEENSB_IJS8_SA_EEENS0_18inequality_wrapperIZN2at6native12_GLOBAL__N_124unique_dim_cuda_templateIiEESt5tupleIJNSF_6TensorESK_SK_EERKSK_lbbbEUlllE0_EEPmJS9_EEE10hipError_tPvRmT3_T4_T5_T6_T7_T9_mT8_P12ihipStream_tbDpT10_ENKUlT_T0_E_clISt17integral_constantIbLb1EES1A_EEDaS15_S16_EUlS15_E_NS1_11comp_targetILNS1_3genE3ELNS1_11target_archE908ELNS1_3gpuE7ELNS1_3repE0EEENS1_30default_config_static_selectorELNS0_4arch9wavefront6targetE1EEEvT1_,@function
_ZN7rocprim17ROCPRIM_400000_NS6detail17trampoline_kernelINS0_14default_configENS1_25partition_config_selectorILNS1_17partition_subalgoE9EllbEEZZNS1_14partition_implILS5_9ELb0ES3_jPlS8_PNS0_10empty_typeENS0_5tupleIJS8_S9_EEENSB_IJS8_SA_EEENS0_18inequality_wrapperIZN2at6native12_GLOBAL__N_124unique_dim_cuda_templateIiEESt5tupleIJNSF_6TensorESK_SK_EERKSK_lbbbEUlllE0_EEPmJS9_EEE10hipError_tPvRmT3_T4_T5_T6_T7_T9_mT8_P12ihipStream_tbDpT10_ENKUlT_T0_E_clISt17integral_constantIbLb1EES1A_EEDaS15_S16_EUlS15_E_NS1_11comp_targetILNS1_3genE3ELNS1_11target_archE908ELNS1_3gpuE7ELNS1_3repE0EEENS1_30default_config_static_selectorELNS0_4arch9wavefront6targetE1EEEvT1_: ; @_ZN7rocprim17ROCPRIM_400000_NS6detail17trampoline_kernelINS0_14default_configENS1_25partition_config_selectorILNS1_17partition_subalgoE9EllbEEZZNS1_14partition_implILS5_9ELb0ES3_jPlS8_PNS0_10empty_typeENS0_5tupleIJS8_S9_EEENSB_IJS8_SA_EEENS0_18inequality_wrapperIZN2at6native12_GLOBAL__N_124unique_dim_cuda_templateIiEESt5tupleIJNSF_6TensorESK_SK_EERKSK_lbbbEUlllE0_EEPmJS9_EEE10hipError_tPvRmT3_T4_T5_T6_T7_T9_mT8_P12ihipStream_tbDpT10_ENKUlT_T0_E_clISt17integral_constantIbLb1EES1A_EEDaS15_S16_EUlS15_E_NS1_11comp_targetILNS1_3genE3ELNS1_11target_archE908ELNS1_3gpuE7ELNS1_3repE0EEENS1_30default_config_static_selectorELNS0_4arch9wavefront6targetE1EEEvT1_
; %bb.0:
	.section	.rodata,"a",@progbits
	.p2align	6, 0x0
	.amdhsa_kernel _ZN7rocprim17ROCPRIM_400000_NS6detail17trampoline_kernelINS0_14default_configENS1_25partition_config_selectorILNS1_17partition_subalgoE9EllbEEZZNS1_14partition_implILS5_9ELb0ES3_jPlS8_PNS0_10empty_typeENS0_5tupleIJS8_S9_EEENSB_IJS8_SA_EEENS0_18inequality_wrapperIZN2at6native12_GLOBAL__N_124unique_dim_cuda_templateIiEESt5tupleIJNSF_6TensorESK_SK_EERKSK_lbbbEUlllE0_EEPmJS9_EEE10hipError_tPvRmT3_T4_T5_T6_T7_T9_mT8_P12ihipStream_tbDpT10_ENKUlT_T0_E_clISt17integral_constantIbLb1EES1A_EEDaS15_S16_EUlS15_E_NS1_11comp_targetILNS1_3genE3ELNS1_11target_archE908ELNS1_3gpuE7ELNS1_3repE0EEENS1_30default_config_static_selectorELNS0_4arch9wavefront6targetE1EEEvT1_
		.amdhsa_group_segment_fixed_size 0
		.amdhsa_private_segment_fixed_size 0
		.amdhsa_kernarg_size 136
		.amdhsa_user_sgpr_count 2
		.amdhsa_user_sgpr_dispatch_ptr 0
		.amdhsa_user_sgpr_queue_ptr 0
		.amdhsa_user_sgpr_kernarg_segment_ptr 1
		.amdhsa_user_sgpr_dispatch_id 0
		.amdhsa_user_sgpr_kernarg_preload_length 0
		.amdhsa_user_sgpr_kernarg_preload_offset 0
		.amdhsa_user_sgpr_private_segment_size 0
		.amdhsa_uses_dynamic_stack 0
		.amdhsa_enable_private_segment 0
		.amdhsa_system_sgpr_workgroup_id_x 1
		.amdhsa_system_sgpr_workgroup_id_y 0
		.amdhsa_system_sgpr_workgroup_id_z 0
		.amdhsa_system_sgpr_workgroup_info 0
		.amdhsa_system_vgpr_workitem_id 0
		.amdhsa_next_free_vgpr 1
		.amdhsa_next_free_sgpr 0
		.amdhsa_accum_offset 4
		.amdhsa_reserve_vcc 0
		.amdhsa_float_round_mode_32 0
		.amdhsa_float_round_mode_16_64 0
		.amdhsa_float_denorm_mode_32 3
		.amdhsa_float_denorm_mode_16_64 3
		.amdhsa_dx10_clamp 1
		.amdhsa_ieee_mode 1
		.amdhsa_fp16_overflow 0
		.amdhsa_tg_split 0
		.amdhsa_exception_fp_ieee_invalid_op 0
		.amdhsa_exception_fp_denorm_src 0
		.amdhsa_exception_fp_ieee_div_zero 0
		.amdhsa_exception_fp_ieee_overflow 0
		.amdhsa_exception_fp_ieee_underflow 0
		.amdhsa_exception_fp_ieee_inexact 0
		.amdhsa_exception_int_div_zero 0
	.end_amdhsa_kernel
	.section	.text._ZN7rocprim17ROCPRIM_400000_NS6detail17trampoline_kernelINS0_14default_configENS1_25partition_config_selectorILNS1_17partition_subalgoE9EllbEEZZNS1_14partition_implILS5_9ELb0ES3_jPlS8_PNS0_10empty_typeENS0_5tupleIJS8_S9_EEENSB_IJS8_SA_EEENS0_18inequality_wrapperIZN2at6native12_GLOBAL__N_124unique_dim_cuda_templateIiEESt5tupleIJNSF_6TensorESK_SK_EERKSK_lbbbEUlllE0_EEPmJS9_EEE10hipError_tPvRmT3_T4_T5_T6_T7_T9_mT8_P12ihipStream_tbDpT10_ENKUlT_T0_E_clISt17integral_constantIbLb1EES1A_EEDaS15_S16_EUlS15_E_NS1_11comp_targetILNS1_3genE3ELNS1_11target_archE908ELNS1_3gpuE7ELNS1_3repE0EEENS1_30default_config_static_selectorELNS0_4arch9wavefront6targetE1EEEvT1_,"axG",@progbits,_ZN7rocprim17ROCPRIM_400000_NS6detail17trampoline_kernelINS0_14default_configENS1_25partition_config_selectorILNS1_17partition_subalgoE9EllbEEZZNS1_14partition_implILS5_9ELb0ES3_jPlS8_PNS0_10empty_typeENS0_5tupleIJS8_S9_EEENSB_IJS8_SA_EEENS0_18inequality_wrapperIZN2at6native12_GLOBAL__N_124unique_dim_cuda_templateIiEESt5tupleIJNSF_6TensorESK_SK_EERKSK_lbbbEUlllE0_EEPmJS9_EEE10hipError_tPvRmT3_T4_T5_T6_T7_T9_mT8_P12ihipStream_tbDpT10_ENKUlT_T0_E_clISt17integral_constantIbLb1EES1A_EEDaS15_S16_EUlS15_E_NS1_11comp_targetILNS1_3genE3ELNS1_11target_archE908ELNS1_3gpuE7ELNS1_3repE0EEENS1_30default_config_static_selectorELNS0_4arch9wavefront6targetE1EEEvT1_,comdat
.Lfunc_end484:
	.size	_ZN7rocprim17ROCPRIM_400000_NS6detail17trampoline_kernelINS0_14default_configENS1_25partition_config_selectorILNS1_17partition_subalgoE9EllbEEZZNS1_14partition_implILS5_9ELb0ES3_jPlS8_PNS0_10empty_typeENS0_5tupleIJS8_S9_EEENSB_IJS8_SA_EEENS0_18inequality_wrapperIZN2at6native12_GLOBAL__N_124unique_dim_cuda_templateIiEESt5tupleIJNSF_6TensorESK_SK_EERKSK_lbbbEUlllE0_EEPmJS9_EEE10hipError_tPvRmT3_T4_T5_T6_T7_T9_mT8_P12ihipStream_tbDpT10_ENKUlT_T0_E_clISt17integral_constantIbLb1EES1A_EEDaS15_S16_EUlS15_E_NS1_11comp_targetILNS1_3genE3ELNS1_11target_archE908ELNS1_3gpuE7ELNS1_3repE0EEENS1_30default_config_static_selectorELNS0_4arch9wavefront6targetE1EEEvT1_, .Lfunc_end484-_ZN7rocprim17ROCPRIM_400000_NS6detail17trampoline_kernelINS0_14default_configENS1_25partition_config_selectorILNS1_17partition_subalgoE9EllbEEZZNS1_14partition_implILS5_9ELb0ES3_jPlS8_PNS0_10empty_typeENS0_5tupleIJS8_S9_EEENSB_IJS8_SA_EEENS0_18inequality_wrapperIZN2at6native12_GLOBAL__N_124unique_dim_cuda_templateIiEESt5tupleIJNSF_6TensorESK_SK_EERKSK_lbbbEUlllE0_EEPmJS9_EEE10hipError_tPvRmT3_T4_T5_T6_T7_T9_mT8_P12ihipStream_tbDpT10_ENKUlT_T0_E_clISt17integral_constantIbLb1EES1A_EEDaS15_S16_EUlS15_E_NS1_11comp_targetILNS1_3genE3ELNS1_11target_archE908ELNS1_3gpuE7ELNS1_3repE0EEENS1_30default_config_static_selectorELNS0_4arch9wavefront6targetE1EEEvT1_
                                        ; -- End function
	.set _ZN7rocprim17ROCPRIM_400000_NS6detail17trampoline_kernelINS0_14default_configENS1_25partition_config_selectorILNS1_17partition_subalgoE9EllbEEZZNS1_14partition_implILS5_9ELb0ES3_jPlS8_PNS0_10empty_typeENS0_5tupleIJS8_S9_EEENSB_IJS8_SA_EEENS0_18inequality_wrapperIZN2at6native12_GLOBAL__N_124unique_dim_cuda_templateIiEESt5tupleIJNSF_6TensorESK_SK_EERKSK_lbbbEUlllE0_EEPmJS9_EEE10hipError_tPvRmT3_T4_T5_T6_T7_T9_mT8_P12ihipStream_tbDpT10_ENKUlT_T0_E_clISt17integral_constantIbLb1EES1A_EEDaS15_S16_EUlS15_E_NS1_11comp_targetILNS1_3genE3ELNS1_11target_archE908ELNS1_3gpuE7ELNS1_3repE0EEENS1_30default_config_static_selectorELNS0_4arch9wavefront6targetE1EEEvT1_.num_vgpr, 0
	.set _ZN7rocprim17ROCPRIM_400000_NS6detail17trampoline_kernelINS0_14default_configENS1_25partition_config_selectorILNS1_17partition_subalgoE9EllbEEZZNS1_14partition_implILS5_9ELb0ES3_jPlS8_PNS0_10empty_typeENS0_5tupleIJS8_S9_EEENSB_IJS8_SA_EEENS0_18inequality_wrapperIZN2at6native12_GLOBAL__N_124unique_dim_cuda_templateIiEESt5tupleIJNSF_6TensorESK_SK_EERKSK_lbbbEUlllE0_EEPmJS9_EEE10hipError_tPvRmT3_T4_T5_T6_T7_T9_mT8_P12ihipStream_tbDpT10_ENKUlT_T0_E_clISt17integral_constantIbLb1EES1A_EEDaS15_S16_EUlS15_E_NS1_11comp_targetILNS1_3genE3ELNS1_11target_archE908ELNS1_3gpuE7ELNS1_3repE0EEENS1_30default_config_static_selectorELNS0_4arch9wavefront6targetE1EEEvT1_.num_agpr, 0
	.set _ZN7rocprim17ROCPRIM_400000_NS6detail17trampoline_kernelINS0_14default_configENS1_25partition_config_selectorILNS1_17partition_subalgoE9EllbEEZZNS1_14partition_implILS5_9ELb0ES3_jPlS8_PNS0_10empty_typeENS0_5tupleIJS8_S9_EEENSB_IJS8_SA_EEENS0_18inequality_wrapperIZN2at6native12_GLOBAL__N_124unique_dim_cuda_templateIiEESt5tupleIJNSF_6TensorESK_SK_EERKSK_lbbbEUlllE0_EEPmJS9_EEE10hipError_tPvRmT3_T4_T5_T6_T7_T9_mT8_P12ihipStream_tbDpT10_ENKUlT_T0_E_clISt17integral_constantIbLb1EES1A_EEDaS15_S16_EUlS15_E_NS1_11comp_targetILNS1_3genE3ELNS1_11target_archE908ELNS1_3gpuE7ELNS1_3repE0EEENS1_30default_config_static_selectorELNS0_4arch9wavefront6targetE1EEEvT1_.numbered_sgpr, 0
	.set _ZN7rocprim17ROCPRIM_400000_NS6detail17trampoline_kernelINS0_14default_configENS1_25partition_config_selectorILNS1_17partition_subalgoE9EllbEEZZNS1_14partition_implILS5_9ELb0ES3_jPlS8_PNS0_10empty_typeENS0_5tupleIJS8_S9_EEENSB_IJS8_SA_EEENS0_18inequality_wrapperIZN2at6native12_GLOBAL__N_124unique_dim_cuda_templateIiEESt5tupleIJNSF_6TensorESK_SK_EERKSK_lbbbEUlllE0_EEPmJS9_EEE10hipError_tPvRmT3_T4_T5_T6_T7_T9_mT8_P12ihipStream_tbDpT10_ENKUlT_T0_E_clISt17integral_constantIbLb1EES1A_EEDaS15_S16_EUlS15_E_NS1_11comp_targetILNS1_3genE3ELNS1_11target_archE908ELNS1_3gpuE7ELNS1_3repE0EEENS1_30default_config_static_selectorELNS0_4arch9wavefront6targetE1EEEvT1_.num_named_barrier, 0
	.set _ZN7rocprim17ROCPRIM_400000_NS6detail17trampoline_kernelINS0_14default_configENS1_25partition_config_selectorILNS1_17partition_subalgoE9EllbEEZZNS1_14partition_implILS5_9ELb0ES3_jPlS8_PNS0_10empty_typeENS0_5tupleIJS8_S9_EEENSB_IJS8_SA_EEENS0_18inequality_wrapperIZN2at6native12_GLOBAL__N_124unique_dim_cuda_templateIiEESt5tupleIJNSF_6TensorESK_SK_EERKSK_lbbbEUlllE0_EEPmJS9_EEE10hipError_tPvRmT3_T4_T5_T6_T7_T9_mT8_P12ihipStream_tbDpT10_ENKUlT_T0_E_clISt17integral_constantIbLb1EES1A_EEDaS15_S16_EUlS15_E_NS1_11comp_targetILNS1_3genE3ELNS1_11target_archE908ELNS1_3gpuE7ELNS1_3repE0EEENS1_30default_config_static_selectorELNS0_4arch9wavefront6targetE1EEEvT1_.private_seg_size, 0
	.set _ZN7rocprim17ROCPRIM_400000_NS6detail17trampoline_kernelINS0_14default_configENS1_25partition_config_selectorILNS1_17partition_subalgoE9EllbEEZZNS1_14partition_implILS5_9ELb0ES3_jPlS8_PNS0_10empty_typeENS0_5tupleIJS8_S9_EEENSB_IJS8_SA_EEENS0_18inequality_wrapperIZN2at6native12_GLOBAL__N_124unique_dim_cuda_templateIiEESt5tupleIJNSF_6TensorESK_SK_EERKSK_lbbbEUlllE0_EEPmJS9_EEE10hipError_tPvRmT3_T4_T5_T6_T7_T9_mT8_P12ihipStream_tbDpT10_ENKUlT_T0_E_clISt17integral_constantIbLb1EES1A_EEDaS15_S16_EUlS15_E_NS1_11comp_targetILNS1_3genE3ELNS1_11target_archE908ELNS1_3gpuE7ELNS1_3repE0EEENS1_30default_config_static_selectorELNS0_4arch9wavefront6targetE1EEEvT1_.uses_vcc, 0
	.set _ZN7rocprim17ROCPRIM_400000_NS6detail17trampoline_kernelINS0_14default_configENS1_25partition_config_selectorILNS1_17partition_subalgoE9EllbEEZZNS1_14partition_implILS5_9ELb0ES3_jPlS8_PNS0_10empty_typeENS0_5tupleIJS8_S9_EEENSB_IJS8_SA_EEENS0_18inequality_wrapperIZN2at6native12_GLOBAL__N_124unique_dim_cuda_templateIiEESt5tupleIJNSF_6TensorESK_SK_EERKSK_lbbbEUlllE0_EEPmJS9_EEE10hipError_tPvRmT3_T4_T5_T6_T7_T9_mT8_P12ihipStream_tbDpT10_ENKUlT_T0_E_clISt17integral_constantIbLb1EES1A_EEDaS15_S16_EUlS15_E_NS1_11comp_targetILNS1_3genE3ELNS1_11target_archE908ELNS1_3gpuE7ELNS1_3repE0EEENS1_30default_config_static_selectorELNS0_4arch9wavefront6targetE1EEEvT1_.uses_flat_scratch, 0
	.set _ZN7rocprim17ROCPRIM_400000_NS6detail17trampoline_kernelINS0_14default_configENS1_25partition_config_selectorILNS1_17partition_subalgoE9EllbEEZZNS1_14partition_implILS5_9ELb0ES3_jPlS8_PNS0_10empty_typeENS0_5tupleIJS8_S9_EEENSB_IJS8_SA_EEENS0_18inequality_wrapperIZN2at6native12_GLOBAL__N_124unique_dim_cuda_templateIiEESt5tupleIJNSF_6TensorESK_SK_EERKSK_lbbbEUlllE0_EEPmJS9_EEE10hipError_tPvRmT3_T4_T5_T6_T7_T9_mT8_P12ihipStream_tbDpT10_ENKUlT_T0_E_clISt17integral_constantIbLb1EES1A_EEDaS15_S16_EUlS15_E_NS1_11comp_targetILNS1_3genE3ELNS1_11target_archE908ELNS1_3gpuE7ELNS1_3repE0EEENS1_30default_config_static_selectorELNS0_4arch9wavefront6targetE1EEEvT1_.has_dyn_sized_stack, 0
	.set _ZN7rocprim17ROCPRIM_400000_NS6detail17trampoline_kernelINS0_14default_configENS1_25partition_config_selectorILNS1_17partition_subalgoE9EllbEEZZNS1_14partition_implILS5_9ELb0ES3_jPlS8_PNS0_10empty_typeENS0_5tupleIJS8_S9_EEENSB_IJS8_SA_EEENS0_18inequality_wrapperIZN2at6native12_GLOBAL__N_124unique_dim_cuda_templateIiEESt5tupleIJNSF_6TensorESK_SK_EERKSK_lbbbEUlllE0_EEPmJS9_EEE10hipError_tPvRmT3_T4_T5_T6_T7_T9_mT8_P12ihipStream_tbDpT10_ENKUlT_T0_E_clISt17integral_constantIbLb1EES1A_EEDaS15_S16_EUlS15_E_NS1_11comp_targetILNS1_3genE3ELNS1_11target_archE908ELNS1_3gpuE7ELNS1_3repE0EEENS1_30default_config_static_selectorELNS0_4arch9wavefront6targetE1EEEvT1_.has_recursion, 0
	.set _ZN7rocprim17ROCPRIM_400000_NS6detail17trampoline_kernelINS0_14default_configENS1_25partition_config_selectorILNS1_17partition_subalgoE9EllbEEZZNS1_14partition_implILS5_9ELb0ES3_jPlS8_PNS0_10empty_typeENS0_5tupleIJS8_S9_EEENSB_IJS8_SA_EEENS0_18inequality_wrapperIZN2at6native12_GLOBAL__N_124unique_dim_cuda_templateIiEESt5tupleIJNSF_6TensorESK_SK_EERKSK_lbbbEUlllE0_EEPmJS9_EEE10hipError_tPvRmT3_T4_T5_T6_T7_T9_mT8_P12ihipStream_tbDpT10_ENKUlT_T0_E_clISt17integral_constantIbLb1EES1A_EEDaS15_S16_EUlS15_E_NS1_11comp_targetILNS1_3genE3ELNS1_11target_archE908ELNS1_3gpuE7ELNS1_3repE0EEENS1_30default_config_static_selectorELNS0_4arch9wavefront6targetE1EEEvT1_.has_indirect_call, 0
	.section	.AMDGPU.csdata,"",@progbits
; Kernel info:
; codeLenInByte = 0
; TotalNumSgprs: 6
; NumVgprs: 0
; NumAgprs: 0
; TotalNumVgprs: 0
; ScratchSize: 0
; MemoryBound: 0
; FloatMode: 240
; IeeeMode: 1
; LDSByteSize: 0 bytes/workgroup (compile time only)
; SGPRBlocks: 0
; VGPRBlocks: 0
; NumSGPRsForWavesPerEU: 6
; NumVGPRsForWavesPerEU: 1
; AccumOffset: 4
; Occupancy: 8
; WaveLimiterHint : 0
; COMPUTE_PGM_RSRC2:SCRATCH_EN: 0
; COMPUTE_PGM_RSRC2:USER_SGPR: 2
; COMPUTE_PGM_RSRC2:TRAP_HANDLER: 0
; COMPUTE_PGM_RSRC2:TGID_X_EN: 1
; COMPUTE_PGM_RSRC2:TGID_Y_EN: 0
; COMPUTE_PGM_RSRC2:TGID_Z_EN: 0
; COMPUTE_PGM_RSRC2:TIDIG_COMP_CNT: 0
; COMPUTE_PGM_RSRC3_GFX90A:ACCUM_OFFSET: 0
; COMPUTE_PGM_RSRC3_GFX90A:TG_SPLIT: 0
	.section	.text._ZN7rocprim17ROCPRIM_400000_NS6detail17trampoline_kernelINS0_14default_configENS1_25partition_config_selectorILNS1_17partition_subalgoE9EllbEEZZNS1_14partition_implILS5_9ELb0ES3_jPlS8_PNS0_10empty_typeENS0_5tupleIJS8_S9_EEENSB_IJS8_SA_EEENS0_18inequality_wrapperIZN2at6native12_GLOBAL__N_124unique_dim_cuda_templateIiEESt5tupleIJNSF_6TensorESK_SK_EERKSK_lbbbEUlllE0_EEPmJS9_EEE10hipError_tPvRmT3_T4_T5_T6_T7_T9_mT8_P12ihipStream_tbDpT10_ENKUlT_T0_E_clISt17integral_constantIbLb1EES1A_EEDaS15_S16_EUlS15_E_NS1_11comp_targetILNS1_3genE2ELNS1_11target_archE906ELNS1_3gpuE6ELNS1_3repE0EEENS1_30default_config_static_selectorELNS0_4arch9wavefront6targetE1EEEvT1_,"axG",@progbits,_ZN7rocprim17ROCPRIM_400000_NS6detail17trampoline_kernelINS0_14default_configENS1_25partition_config_selectorILNS1_17partition_subalgoE9EllbEEZZNS1_14partition_implILS5_9ELb0ES3_jPlS8_PNS0_10empty_typeENS0_5tupleIJS8_S9_EEENSB_IJS8_SA_EEENS0_18inequality_wrapperIZN2at6native12_GLOBAL__N_124unique_dim_cuda_templateIiEESt5tupleIJNSF_6TensorESK_SK_EERKSK_lbbbEUlllE0_EEPmJS9_EEE10hipError_tPvRmT3_T4_T5_T6_T7_T9_mT8_P12ihipStream_tbDpT10_ENKUlT_T0_E_clISt17integral_constantIbLb1EES1A_EEDaS15_S16_EUlS15_E_NS1_11comp_targetILNS1_3genE2ELNS1_11target_archE906ELNS1_3gpuE6ELNS1_3repE0EEENS1_30default_config_static_selectorELNS0_4arch9wavefront6targetE1EEEvT1_,comdat
	.globl	_ZN7rocprim17ROCPRIM_400000_NS6detail17trampoline_kernelINS0_14default_configENS1_25partition_config_selectorILNS1_17partition_subalgoE9EllbEEZZNS1_14partition_implILS5_9ELb0ES3_jPlS8_PNS0_10empty_typeENS0_5tupleIJS8_S9_EEENSB_IJS8_SA_EEENS0_18inequality_wrapperIZN2at6native12_GLOBAL__N_124unique_dim_cuda_templateIiEESt5tupleIJNSF_6TensorESK_SK_EERKSK_lbbbEUlllE0_EEPmJS9_EEE10hipError_tPvRmT3_T4_T5_T6_T7_T9_mT8_P12ihipStream_tbDpT10_ENKUlT_T0_E_clISt17integral_constantIbLb1EES1A_EEDaS15_S16_EUlS15_E_NS1_11comp_targetILNS1_3genE2ELNS1_11target_archE906ELNS1_3gpuE6ELNS1_3repE0EEENS1_30default_config_static_selectorELNS0_4arch9wavefront6targetE1EEEvT1_ ; -- Begin function _ZN7rocprim17ROCPRIM_400000_NS6detail17trampoline_kernelINS0_14default_configENS1_25partition_config_selectorILNS1_17partition_subalgoE9EllbEEZZNS1_14partition_implILS5_9ELb0ES3_jPlS8_PNS0_10empty_typeENS0_5tupleIJS8_S9_EEENSB_IJS8_SA_EEENS0_18inequality_wrapperIZN2at6native12_GLOBAL__N_124unique_dim_cuda_templateIiEESt5tupleIJNSF_6TensorESK_SK_EERKSK_lbbbEUlllE0_EEPmJS9_EEE10hipError_tPvRmT3_T4_T5_T6_T7_T9_mT8_P12ihipStream_tbDpT10_ENKUlT_T0_E_clISt17integral_constantIbLb1EES1A_EEDaS15_S16_EUlS15_E_NS1_11comp_targetILNS1_3genE2ELNS1_11target_archE906ELNS1_3gpuE6ELNS1_3repE0EEENS1_30default_config_static_selectorELNS0_4arch9wavefront6targetE1EEEvT1_
	.p2align	8
	.type	_ZN7rocprim17ROCPRIM_400000_NS6detail17trampoline_kernelINS0_14default_configENS1_25partition_config_selectorILNS1_17partition_subalgoE9EllbEEZZNS1_14partition_implILS5_9ELb0ES3_jPlS8_PNS0_10empty_typeENS0_5tupleIJS8_S9_EEENSB_IJS8_SA_EEENS0_18inequality_wrapperIZN2at6native12_GLOBAL__N_124unique_dim_cuda_templateIiEESt5tupleIJNSF_6TensorESK_SK_EERKSK_lbbbEUlllE0_EEPmJS9_EEE10hipError_tPvRmT3_T4_T5_T6_T7_T9_mT8_P12ihipStream_tbDpT10_ENKUlT_T0_E_clISt17integral_constantIbLb1EES1A_EEDaS15_S16_EUlS15_E_NS1_11comp_targetILNS1_3genE2ELNS1_11target_archE906ELNS1_3gpuE6ELNS1_3repE0EEENS1_30default_config_static_selectorELNS0_4arch9wavefront6targetE1EEEvT1_,@function
_ZN7rocprim17ROCPRIM_400000_NS6detail17trampoline_kernelINS0_14default_configENS1_25partition_config_selectorILNS1_17partition_subalgoE9EllbEEZZNS1_14partition_implILS5_9ELb0ES3_jPlS8_PNS0_10empty_typeENS0_5tupleIJS8_S9_EEENSB_IJS8_SA_EEENS0_18inequality_wrapperIZN2at6native12_GLOBAL__N_124unique_dim_cuda_templateIiEESt5tupleIJNSF_6TensorESK_SK_EERKSK_lbbbEUlllE0_EEPmJS9_EEE10hipError_tPvRmT3_T4_T5_T6_T7_T9_mT8_P12ihipStream_tbDpT10_ENKUlT_T0_E_clISt17integral_constantIbLb1EES1A_EEDaS15_S16_EUlS15_E_NS1_11comp_targetILNS1_3genE2ELNS1_11target_archE906ELNS1_3gpuE6ELNS1_3repE0EEENS1_30default_config_static_selectorELNS0_4arch9wavefront6targetE1EEEvT1_: ; @_ZN7rocprim17ROCPRIM_400000_NS6detail17trampoline_kernelINS0_14default_configENS1_25partition_config_selectorILNS1_17partition_subalgoE9EllbEEZZNS1_14partition_implILS5_9ELb0ES3_jPlS8_PNS0_10empty_typeENS0_5tupleIJS8_S9_EEENSB_IJS8_SA_EEENS0_18inequality_wrapperIZN2at6native12_GLOBAL__N_124unique_dim_cuda_templateIiEESt5tupleIJNSF_6TensorESK_SK_EERKSK_lbbbEUlllE0_EEPmJS9_EEE10hipError_tPvRmT3_T4_T5_T6_T7_T9_mT8_P12ihipStream_tbDpT10_ENKUlT_T0_E_clISt17integral_constantIbLb1EES1A_EEDaS15_S16_EUlS15_E_NS1_11comp_targetILNS1_3genE2ELNS1_11target_archE906ELNS1_3gpuE6ELNS1_3repE0EEENS1_30default_config_static_selectorELNS0_4arch9wavefront6targetE1EEEvT1_
; %bb.0:
	.section	.rodata,"a",@progbits
	.p2align	6, 0x0
	.amdhsa_kernel _ZN7rocprim17ROCPRIM_400000_NS6detail17trampoline_kernelINS0_14default_configENS1_25partition_config_selectorILNS1_17partition_subalgoE9EllbEEZZNS1_14partition_implILS5_9ELb0ES3_jPlS8_PNS0_10empty_typeENS0_5tupleIJS8_S9_EEENSB_IJS8_SA_EEENS0_18inequality_wrapperIZN2at6native12_GLOBAL__N_124unique_dim_cuda_templateIiEESt5tupleIJNSF_6TensorESK_SK_EERKSK_lbbbEUlllE0_EEPmJS9_EEE10hipError_tPvRmT3_T4_T5_T6_T7_T9_mT8_P12ihipStream_tbDpT10_ENKUlT_T0_E_clISt17integral_constantIbLb1EES1A_EEDaS15_S16_EUlS15_E_NS1_11comp_targetILNS1_3genE2ELNS1_11target_archE906ELNS1_3gpuE6ELNS1_3repE0EEENS1_30default_config_static_selectorELNS0_4arch9wavefront6targetE1EEEvT1_
		.amdhsa_group_segment_fixed_size 0
		.amdhsa_private_segment_fixed_size 0
		.amdhsa_kernarg_size 136
		.amdhsa_user_sgpr_count 2
		.amdhsa_user_sgpr_dispatch_ptr 0
		.amdhsa_user_sgpr_queue_ptr 0
		.amdhsa_user_sgpr_kernarg_segment_ptr 1
		.amdhsa_user_sgpr_dispatch_id 0
		.amdhsa_user_sgpr_kernarg_preload_length 0
		.amdhsa_user_sgpr_kernarg_preload_offset 0
		.amdhsa_user_sgpr_private_segment_size 0
		.amdhsa_uses_dynamic_stack 0
		.amdhsa_enable_private_segment 0
		.amdhsa_system_sgpr_workgroup_id_x 1
		.amdhsa_system_sgpr_workgroup_id_y 0
		.amdhsa_system_sgpr_workgroup_id_z 0
		.amdhsa_system_sgpr_workgroup_info 0
		.amdhsa_system_vgpr_workitem_id 0
		.amdhsa_next_free_vgpr 1
		.amdhsa_next_free_sgpr 0
		.amdhsa_accum_offset 4
		.amdhsa_reserve_vcc 0
		.amdhsa_float_round_mode_32 0
		.amdhsa_float_round_mode_16_64 0
		.amdhsa_float_denorm_mode_32 3
		.amdhsa_float_denorm_mode_16_64 3
		.amdhsa_dx10_clamp 1
		.amdhsa_ieee_mode 1
		.amdhsa_fp16_overflow 0
		.amdhsa_tg_split 0
		.amdhsa_exception_fp_ieee_invalid_op 0
		.amdhsa_exception_fp_denorm_src 0
		.amdhsa_exception_fp_ieee_div_zero 0
		.amdhsa_exception_fp_ieee_overflow 0
		.amdhsa_exception_fp_ieee_underflow 0
		.amdhsa_exception_fp_ieee_inexact 0
		.amdhsa_exception_int_div_zero 0
	.end_amdhsa_kernel
	.section	.text._ZN7rocprim17ROCPRIM_400000_NS6detail17trampoline_kernelINS0_14default_configENS1_25partition_config_selectorILNS1_17partition_subalgoE9EllbEEZZNS1_14partition_implILS5_9ELb0ES3_jPlS8_PNS0_10empty_typeENS0_5tupleIJS8_S9_EEENSB_IJS8_SA_EEENS0_18inequality_wrapperIZN2at6native12_GLOBAL__N_124unique_dim_cuda_templateIiEESt5tupleIJNSF_6TensorESK_SK_EERKSK_lbbbEUlllE0_EEPmJS9_EEE10hipError_tPvRmT3_T4_T5_T6_T7_T9_mT8_P12ihipStream_tbDpT10_ENKUlT_T0_E_clISt17integral_constantIbLb1EES1A_EEDaS15_S16_EUlS15_E_NS1_11comp_targetILNS1_3genE2ELNS1_11target_archE906ELNS1_3gpuE6ELNS1_3repE0EEENS1_30default_config_static_selectorELNS0_4arch9wavefront6targetE1EEEvT1_,"axG",@progbits,_ZN7rocprim17ROCPRIM_400000_NS6detail17trampoline_kernelINS0_14default_configENS1_25partition_config_selectorILNS1_17partition_subalgoE9EllbEEZZNS1_14partition_implILS5_9ELb0ES3_jPlS8_PNS0_10empty_typeENS0_5tupleIJS8_S9_EEENSB_IJS8_SA_EEENS0_18inequality_wrapperIZN2at6native12_GLOBAL__N_124unique_dim_cuda_templateIiEESt5tupleIJNSF_6TensorESK_SK_EERKSK_lbbbEUlllE0_EEPmJS9_EEE10hipError_tPvRmT3_T4_T5_T6_T7_T9_mT8_P12ihipStream_tbDpT10_ENKUlT_T0_E_clISt17integral_constantIbLb1EES1A_EEDaS15_S16_EUlS15_E_NS1_11comp_targetILNS1_3genE2ELNS1_11target_archE906ELNS1_3gpuE6ELNS1_3repE0EEENS1_30default_config_static_selectorELNS0_4arch9wavefront6targetE1EEEvT1_,comdat
.Lfunc_end485:
	.size	_ZN7rocprim17ROCPRIM_400000_NS6detail17trampoline_kernelINS0_14default_configENS1_25partition_config_selectorILNS1_17partition_subalgoE9EllbEEZZNS1_14partition_implILS5_9ELb0ES3_jPlS8_PNS0_10empty_typeENS0_5tupleIJS8_S9_EEENSB_IJS8_SA_EEENS0_18inequality_wrapperIZN2at6native12_GLOBAL__N_124unique_dim_cuda_templateIiEESt5tupleIJNSF_6TensorESK_SK_EERKSK_lbbbEUlllE0_EEPmJS9_EEE10hipError_tPvRmT3_T4_T5_T6_T7_T9_mT8_P12ihipStream_tbDpT10_ENKUlT_T0_E_clISt17integral_constantIbLb1EES1A_EEDaS15_S16_EUlS15_E_NS1_11comp_targetILNS1_3genE2ELNS1_11target_archE906ELNS1_3gpuE6ELNS1_3repE0EEENS1_30default_config_static_selectorELNS0_4arch9wavefront6targetE1EEEvT1_, .Lfunc_end485-_ZN7rocprim17ROCPRIM_400000_NS6detail17trampoline_kernelINS0_14default_configENS1_25partition_config_selectorILNS1_17partition_subalgoE9EllbEEZZNS1_14partition_implILS5_9ELb0ES3_jPlS8_PNS0_10empty_typeENS0_5tupleIJS8_S9_EEENSB_IJS8_SA_EEENS0_18inequality_wrapperIZN2at6native12_GLOBAL__N_124unique_dim_cuda_templateIiEESt5tupleIJNSF_6TensorESK_SK_EERKSK_lbbbEUlllE0_EEPmJS9_EEE10hipError_tPvRmT3_T4_T5_T6_T7_T9_mT8_P12ihipStream_tbDpT10_ENKUlT_T0_E_clISt17integral_constantIbLb1EES1A_EEDaS15_S16_EUlS15_E_NS1_11comp_targetILNS1_3genE2ELNS1_11target_archE906ELNS1_3gpuE6ELNS1_3repE0EEENS1_30default_config_static_selectorELNS0_4arch9wavefront6targetE1EEEvT1_
                                        ; -- End function
	.set _ZN7rocprim17ROCPRIM_400000_NS6detail17trampoline_kernelINS0_14default_configENS1_25partition_config_selectorILNS1_17partition_subalgoE9EllbEEZZNS1_14partition_implILS5_9ELb0ES3_jPlS8_PNS0_10empty_typeENS0_5tupleIJS8_S9_EEENSB_IJS8_SA_EEENS0_18inequality_wrapperIZN2at6native12_GLOBAL__N_124unique_dim_cuda_templateIiEESt5tupleIJNSF_6TensorESK_SK_EERKSK_lbbbEUlllE0_EEPmJS9_EEE10hipError_tPvRmT3_T4_T5_T6_T7_T9_mT8_P12ihipStream_tbDpT10_ENKUlT_T0_E_clISt17integral_constantIbLb1EES1A_EEDaS15_S16_EUlS15_E_NS1_11comp_targetILNS1_3genE2ELNS1_11target_archE906ELNS1_3gpuE6ELNS1_3repE0EEENS1_30default_config_static_selectorELNS0_4arch9wavefront6targetE1EEEvT1_.num_vgpr, 0
	.set _ZN7rocprim17ROCPRIM_400000_NS6detail17trampoline_kernelINS0_14default_configENS1_25partition_config_selectorILNS1_17partition_subalgoE9EllbEEZZNS1_14partition_implILS5_9ELb0ES3_jPlS8_PNS0_10empty_typeENS0_5tupleIJS8_S9_EEENSB_IJS8_SA_EEENS0_18inequality_wrapperIZN2at6native12_GLOBAL__N_124unique_dim_cuda_templateIiEESt5tupleIJNSF_6TensorESK_SK_EERKSK_lbbbEUlllE0_EEPmJS9_EEE10hipError_tPvRmT3_T4_T5_T6_T7_T9_mT8_P12ihipStream_tbDpT10_ENKUlT_T0_E_clISt17integral_constantIbLb1EES1A_EEDaS15_S16_EUlS15_E_NS1_11comp_targetILNS1_3genE2ELNS1_11target_archE906ELNS1_3gpuE6ELNS1_3repE0EEENS1_30default_config_static_selectorELNS0_4arch9wavefront6targetE1EEEvT1_.num_agpr, 0
	.set _ZN7rocprim17ROCPRIM_400000_NS6detail17trampoline_kernelINS0_14default_configENS1_25partition_config_selectorILNS1_17partition_subalgoE9EllbEEZZNS1_14partition_implILS5_9ELb0ES3_jPlS8_PNS0_10empty_typeENS0_5tupleIJS8_S9_EEENSB_IJS8_SA_EEENS0_18inequality_wrapperIZN2at6native12_GLOBAL__N_124unique_dim_cuda_templateIiEESt5tupleIJNSF_6TensorESK_SK_EERKSK_lbbbEUlllE0_EEPmJS9_EEE10hipError_tPvRmT3_T4_T5_T6_T7_T9_mT8_P12ihipStream_tbDpT10_ENKUlT_T0_E_clISt17integral_constantIbLb1EES1A_EEDaS15_S16_EUlS15_E_NS1_11comp_targetILNS1_3genE2ELNS1_11target_archE906ELNS1_3gpuE6ELNS1_3repE0EEENS1_30default_config_static_selectorELNS0_4arch9wavefront6targetE1EEEvT1_.numbered_sgpr, 0
	.set _ZN7rocprim17ROCPRIM_400000_NS6detail17trampoline_kernelINS0_14default_configENS1_25partition_config_selectorILNS1_17partition_subalgoE9EllbEEZZNS1_14partition_implILS5_9ELb0ES3_jPlS8_PNS0_10empty_typeENS0_5tupleIJS8_S9_EEENSB_IJS8_SA_EEENS0_18inequality_wrapperIZN2at6native12_GLOBAL__N_124unique_dim_cuda_templateIiEESt5tupleIJNSF_6TensorESK_SK_EERKSK_lbbbEUlllE0_EEPmJS9_EEE10hipError_tPvRmT3_T4_T5_T6_T7_T9_mT8_P12ihipStream_tbDpT10_ENKUlT_T0_E_clISt17integral_constantIbLb1EES1A_EEDaS15_S16_EUlS15_E_NS1_11comp_targetILNS1_3genE2ELNS1_11target_archE906ELNS1_3gpuE6ELNS1_3repE0EEENS1_30default_config_static_selectorELNS0_4arch9wavefront6targetE1EEEvT1_.num_named_barrier, 0
	.set _ZN7rocprim17ROCPRIM_400000_NS6detail17trampoline_kernelINS0_14default_configENS1_25partition_config_selectorILNS1_17partition_subalgoE9EllbEEZZNS1_14partition_implILS5_9ELb0ES3_jPlS8_PNS0_10empty_typeENS0_5tupleIJS8_S9_EEENSB_IJS8_SA_EEENS0_18inequality_wrapperIZN2at6native12_GLOBAL__N_124unique_dim_cuda_templateIiEESt5tupleIJNSF_6TensorESK_SK_EERKSK_lbbbEUlllE0_EEPmJS9_EEE10hipError_tPvRmT3_T4_T5_T6_T7_T9_mT8_P12ihipStream_tbDpT10_ENKUlT_T0_E_clISt17integral_constantIbLb1EES1A_EEDaS15_S16_EUlS15_E_NS1_11comp_targetILNS1_3genE2ELNS1_11target_archE906ELNS1_3gpuE6ELNS1_3repE0EEENS1_30default_config_static_selectorELNS0_4arch9wavefront6targetE1EEEvT1_.private_seg_size, 0
	.set _ZN7rocprim17ROCPRIM_400000_NS6detail17trampoline_kernelINS0_14default_configENS1_25partition_config_selectorILNS1_17partition_subalgoE9EllbEEZZNS1_14partition_implILS5_9ELb0ES3_jPlS8_PNS0_10empty_typeENS0_5tupleIJS8_S9_EEENSB_IJS8_SA_EEENS0_18inequality_wrapperIZN2at6native12_GLOBAL__N_124unique_dim_cuda_templateIiEESt5tupleIJNSF_6TensorESK_SK_EERKSK_lbbbEUlllE0_EEPmJS9_EEE10hipError_tPvRmT3_T4_T5_T6_T7_T9_mT8_P12ihipStream_tbDpT10_ENKUlT_T0_E_clISt17integral_constantIbLb1EES1A_EEDaS15_S16_EUlS15_E_NS1_11comp_targetILNS1_3genE2ELNS1_11target_archE906ELNS1_3gpuE6ELNS1_3repE0EEENS1_30default_config_static_selectorELNS0_4arch9wavefront6targetE1EEEvT1_.uses_vcc, 0
	.set _ZN7rocprim17ROCPRIM_400000_NS6detail17trampoline_kernelINS0_14default_configENS1_25partition_config_selectorILNS1_17partition_subalgoE9EllbEEZZNS1_14partition_implILS5_9ELb0ES3_jPlS8_PNS0_10empty_typeENS0_5tupleIJS8_S9_EEENSB_IJS8_SA_EEENS0_18inequality_wrapperIZN2at6native12_GLOBAL__N_124unique_dim_cuda_templateIiEESt5tupleIJNSF_6TensorESK_SK_EERKSK_lbbbEUlllE0_EEPmJS9_EEE10hipError_tPvRmT3_T4_T5_T6_T7_T9_mT8_P12ihipStream_tbDpT10_ENKUlT_T0_E_clISt17integral_constantIbLb1EES1A_EEDaS15_S16_EUlS15_E_NS1_11comp_targetILNS1_3genE2ELNS1_11target_archE906ELNS1_3gpuE6ELNS1_3repE0EEENS1_30default_config_static_selectorELNS0_4arch9wavefront6targetE1EEEvT1_.uses_flat_scratch, 0
	.set _ZN7rocprim17ROCPRIM_400000_NS6detail17trampoline_kernelINS0_14default_configENS1_25partition_config_selectorILNS1_17partition_subalgoE9EllbEEZZNS1_14partition_implILS5_9ELb0ES3_jPlS8_PNS0_10empty_typeENS0_5tupleIJS8_S9_EEENSB_IJS8_SA_EEENS0_18inequality_wrapperIZN2at6native12_GLOBAL__N_124unique_dim_cuda_templateIiEESt5tupleIJNSF_6TensorESK_SK_EERKSK_lbbbEUlllE0_EEPmJS9_EEE10hipError_tPvRmT3_T4_T5_T6_T7_T9_mT8_P12ihipStream_tbDpT10_ENKUlT_T0_E_clISt17integral_constantIbLb1EES1A_EEDaS15_S16_EUlS15_E_NS1_11comp_targetILNS1_3genE2ELNS1_11target_archE906ELNS1_3gpuE6ELNS1_3repE0EEENS1_30default_config_static_selectorELNS0_4arch9wavefront6targetE1EEEvT1_.has_dyn_sized_stack, 0
	.set _ZN7rocprim17ROCPRIM_400000_NS6detail17trampoline_kernelINS0_14default_configENS1_25partition_config_selectorILNS1_17partition_subalgoE9EllbEEZZNS1_14partition_implILS5_9ELb0ES3_jPlS8_PNS0_10empty_typeENS0_5tupleIJS8_S9_EEENSB_IJS8_SA_EEENS0_18inequality_wrapperIZN2at6native12_GLOBAL__N_124unique_dim_cuda_templateIiEESt5tupleIJNSF_6TensorESK_SK_EERKSK_lbbbEUlllE0_EEPmJS9_EEE10hipError_tPvRmT3_T4_T5_T6_T7_T9_mT8_P12ihipStream_tbDpT10_ENKUlT_T0_E_clISt17integral_constantIbLb1EES1A_EEDaS15_S16_EUlS15_E_NS1_11comp_targetILNS1_3genE2ELNS1_11target_archE906ELNS1_3gpuE6ELNS1_3repE0EEENS1_30default_config_static_selectorELNS0_4arch9wavefront6targetE1EEEvT1_.has_recursion, 0
	.set _ZN7rocprim17ROCPRIM_400000_NS6detail17trampoline_kernelINS0_14default_configENS1_25partition_config_selectorILNS1_17partition_subalgoE9EllbEEZZNS1_14partition_implILS5_9ELb0ES3_jPlS8_PNS0_10empty_typeENS0_5tupleIJS8_S9_EEENSB_IJS8_SA_EEENS0_18inequality_wrapperIZN2at6native12_GLOBAL__N_124unique_dim_cuda_templateIiEESt5tupleIJNSF_6TensorESK_SK_EERKSK_lbbbEUlllE0_EEPmJS9_EEE10hipError_tPvRmT3_T4_T5_T6_T7_T9_mT8_P12ihipStream_tbDpT10_ENKUlT_T0_E_clISt17integral_constantIbLb1EES1A_EEDaS15_S16_EUlS15_E_NS1_11comp_targetILNS1_3genE2ELNS1_11target_archE906ELNS1_3gpuE6ELNS1_3repE0EEENS1_30default_config_static_selectorELNS0_4arch9wavefront6targetE1EEEvT1_.has_indirect_call, 0
	.section	.AMDGPU.csdata,"",@progbits
; Kernel info:
; codeLenInByte = 0
; TotalNumSgprs: 6
; NumVgprs: 0
; NumAgprs: 0
; TotalNumVgprs: 0
; ScratchSize: 0
; MemoryBound: 0
; FloatMode: 240
; IeeeMode: 1
; LDSByteSize: 0 bytes/workgroup (compile time only)
; SGPRBlocks: 0
; VGPRBlocks: 0
; NumSGPRsForWavesPerEU: 6
; NumVGPRsForWavesPerEU: 1
; AccumOffset: 4
; Occupancy: 8
; WaveLimiterHint : 0
; COMPUTE_PGM_RSRC2:SCRATCH_EN: 0
; COMPUTE_PGM_RSRC2:USER_SGPR: 2
; COMPUTE_PGM_RSRC2:TRAP_HANDLER: 0
; COMPUTE_PGM_RSRC2:TGID_X_EN: 1
; COMPUTE_PGM_RSRC2:TGID_Y_EN: 0
; COMPUTE_PGM_RSRC2:TGID_Z_EN: 0
; COMPUTE_PGM_RSRC2:TIDIG_COMP_CNT: 0
; COMPUTE_PGM_RSRC3_GFX90A:ACCUM_OFFSET: 0
; COMPUTE_PGM_RSRC3_GFX90A:TG_SPLIT: 0
	.section	.text._ZN7rocprim17ROCPRIM_400000_NS6detail17trampoline_kernelINS0_14default_configENS1_25partition_config_selectorILNS1_17partition_subalgoE9EllbEEZZNS1_14partition_implILS5_9ELb0ES3_jPlS8_PNS0_10empty_typeENS0_5tupleIJS8_S9_EEENSB_IJS8_SA_EEENS0_18inequality_wrapperIZN2at6native12_GLOBAL__N_124unique_dim_cuda_templateIiEESt5tupleIJNSF_6TensorESK_SK_EERKSK_lbbbEUlllE0_EEPmJS9_EEE10hipError_tPvRmT3_T4_T5_T6_T7_T9_mT8_P12ihipStream_tbDpT10_ENKUlT_T0_E_clISt17integral_constantIbLb1EES1A_EEDaS15_S16_EUlS15_E_NS1_11comp_targetILNS1_3genE10ELNS1_11target_archE1200ELNS1_3gpuE4ELNS1_3repE0EEENS1_30default_config_static_selectorELNS0_4arch9wavefront6targetE1EEEvT1_,"axG",@progbits,_ZN7rocprim17ROCPRIM_400000_NS6detail17trampoline_kernelINS0_14default_configENS1_25partition_config_selectorILNS1_17partition_subalgoE9EllbEEZZNS1_14partition_implILS5_9ELb0ES3_jPlS8_PNS0_10empty_typeENS0_5tupleIJS8_S9_EEENSB_IJS8_SA_EEENS0_18inequality_wrapperIZN2at6native12_GLOBAL__N_124unique_dim_cuda_templateIiEESt5tupleIJNSF_6TensorESK_SK_EERKSK_lbbbEUlllE0_EEPmJS9_EEE10hipError_tPvRmT3_T4_T5_T6_T7_T9_mT8_P12ihipStream_tbDpT10_ENKUlT_T0_E_clISt17integral_constantIbLb1EES1A_EEDaS15_S16_EUlS15_E_NS1_11comp_targetILNS1_3genE10ELNS1_11target_archE1200ELNS1_3gpuE4ELNS1_3repE0EEENS1_30default_config_static_selectorELNS0_4arch9wavefront6targetE1EEEvT1_,comdat
	.globl	_ZN7rocprim17ROCPRIM_400000_NS6detail17trampoline_kernelINS0_14default_configENS1_25partition_config_selectorILNS1_17partition_subalgoE9EllbEEZZNS1_14partition_implILS5_9ELb0ES3_jPlS8_PNS0_10empty_typeENS0_5tupleIJS8_S9_EEENSB_IJS8_SA_EEENS0_18inequality_wrapperIZN2at6native12_GLOBAL__N_124unique_dim_cuda_templateIiEESt5tupleIJNSF_6TensorESK_SK_EERKSK_lbbbEUlllE0_EEPmJS9_EEE10hipError_tPvRmT3_T4_T5_T6_T7_T9_mT8_P12ihipStream_tbDpT10_ENKUlT_T0_E_clISt17integral_constantIbLb1EES1A_EEDaS15_S16_EUlS15_E_NS1_11comp_targetILNS1_3genE10ELNS1_11target_archE1200ELNS1_3gpuE4ELNS1_3repE0EEENS1_30default_config_static_selectorELNS0_4arch9wavefront6targetE1EEEvT1_ ; -- Begin function _ZN7rocprim17ROCPRIM_400000_NS6detail17trampoline_kernelINS0_14default_configENS1_25partition_config_selectorILNS1_17partition_subalgoE9EllbEEZZNS1_14partition_implILS5_9ELb0ES3_jPlS8_PNS0_10empty_typeENS0_5tupleIJS8_S9_EEENSB_IJS8_SA_EEENS0_18inequality_wrapperIZN2at6native12_GLOBAL__N_124unique_dim_cuda_templateIiEESt5tupleIJNSF_6TensorESK_SK_EERKSK_lbbbEUlllE0_EEPmJS9_EEE10hipError_tPvRmT3_T4_T5_T6_T7_T9_mT8_P12ihipStream_tbDpT10_ENKUlT_T0_E_clISt17integral_constantIbLb1EES1A_EEDaS15_S16_EUlS15_E_NS1_11comp_targetILNS1_3genE10ELNS1_11target_archE1200ELNS1_3gpuE4ELNS1_3repE0EEENS1_30default_config_static_selectorELNS0_4arch9wavefront6targetE1EEEvT1_
	.p2align	8
	.type	_ZN7rocprim17ROCPRIM_400000_NS6detail17trampoline_kernelINS0_14default_configENS1_25partition_config_selectorILNS1_17partition_subalgoE9EllbEEZZNS1_14partition_implILS5_9ELb0ES3_jPlS8_PNS0_10empty_typeENS0_5tupleIJS8_S9_EEENSB_IJS8_SA_EEENS0_18inequality_wrapperIZN2at6native12_GLOBAL__N_124unique_dim_cuda_templateIiEESt5tupleIJNSF_6TensorESK_SK_EERKSK_lbbbEUlllE0_EEPmJS9_EEE10hipError_tPvRmT3_T4_T5_T6_T7_T9_mT8_P12ihipStream_tbDpT10_ENKUlT_T0_E_clISt17integral_constantIbLb1EES1A_EEDaS15_S16_EUlS15_E_NS1_11comp_targetILNS1_3genE10ELNS1_11target_archE1200ELNS1_3gpuE4ELNS1_3repE0EEENS1_30default_config_static_selectorELNS0_4arch9wavefront6targetE1EEEvT1_,@function
_ZN7rocprim17ROCPRIM_400000_NS6detail17trampoline_kernelINS0_14default_configENS1_25partition_config_selectorILNS1_17partition_subalgoE9EllbEEZZNS1_14partition_implILS5_9ELb0ES3_jPlS8_PNS0_10empty_typeENS0_5tupleIJS8_S9_EEENSB_IJS8_SA_EEENS0_18inequality_wrapperIZN2at6native12_GLOBAL__N_124unique_dim_cuda_templateIiEESt5tupleIJNSF_6TensorESK_SK_EERKSK_lbbbEUlllE0_EEPmJS9_EEE10hipError_tPvRmT3_T4_T5_T6_T7_T9_mT8_P12ihipStream_tbDpT10_ENKUlT_T0_E_clISt17integral_constantIbLb1EES1A_EEDaS15_S16_EUlS15_E_NS1_11comp_targetILNS1_3genE10ELNS1_11target_archE1200ELNS1_3gpuE4ELNS1_3repE0EEENS1_30default_config_static_selectorELNS0_4arch9wavefront6targetE1EEEvT1_: ; @_ZN7rocprim17ROCPRIM_400000_NS6detail17trampoline_kernelINS0_14default_configENS1_25partition_config_selectorILNS1_17partition_subalgoE9EllbEEZZNS1_14partition_implILS5_9ELb0ES3_jPlS8_PNS0_10empty_typeENS0_5tupleIJS8_S9_EEENSB_IJS8_SA_EEENS0_18inequality_wrapperIZN2at6native12_GLOBAL__N_124unique_dim_cuda_templateIiEESt5tupleIJNSF_6TensorESK_SK_EERKSK_lbbbEUlllE0_EEPmJS9_EEE10hipError_tPvRmT3_T4_T5_T6_T7_T9_mT8_P12ihipStream_tbDpT10_ENKUlT_T0_E_clISt17integral_constantIbLb1EES1A_EEDaS15_S16_EUlS15_E_NS1_11comp_targetILNS1_3genE10ELNS1_11target_archE1200ELNS1_3gpuE4ELNS1_3repE0EEENS1_30default_config_static_selectorELNS0_4arch9wavefront6targetE1EEEvT1_
; %bb.0:
	.section	.rodata,"a",@progbits
	.p2align	6, 0x0
	.amdhsa_kernel _ZN7rocprim17ROCPRIM_400000_NS6detail17trampoline_kernelINS0_14default_configENS1_25partition_config_selectorILNS1_17partition_subalgoE9EllbEEZZNS1_14partition_implILS5_9ELb0ES3_jPlS8_PNS0_10empty_typeENS0_5tupleIJS8_S9_EEENSB_IJS8_SA_EEENS0_18inequality_wrapperIZN2at6native12_GLOBAL__N_124unique_dim_cuda_templateIiEESt5tupleIJNSF_6TensorESK_SK_EERKSK_lbbbEUlllE0_EEPmJS9_EEE10hipError_tPvRmT3_T4_T5_T6_T7_T9_mT8_P12ihipStream_tbDpT10_ENKUlT_T0_E_clISt17integral_constantIbLb1EES1A_EEDaS15_S16_EUlS15_E_NS1_11comp_targetILNS1_3genE10ELNS1_11target_archE1200ELNS1_3gpuE4ELNS1_3repE0EEENS1_30default_config_static_selectorELNS0_4arch9wavefront6targetE1EEEvT1_
		.amdhsa_group_segment_fixed_size 0
		.amdhsa_private_segment_fixed_size 0
		.amdhsa_kernarg_size 136
		.amdhsa_user_sgpr_count 2
		.amdhsa_user_sgpr_dispatch_ptr 0
		.amdhsa_user_sgpr_queue_ptr 0
		.amdhsa_user_sgpr_kernarg_segment_ptr 1
		.amdhsa_user_sgpr_dispatch_id 0
		.amdhsa_user_sgpr_kernarg_preload_length 0
		.amdhsa_user_sgpr_kernarg_preload_offset 0
		.amdhsa_user_sgpr_private_segment_size 0
		.amdhsa_uses_dynamic_stack 0
		.amdhsa_enable_private_segment 0
		.amdhsa_system_sgpr_workgroup_id_x 1
		.amdhsa_system_sgpr_workgroup_id_y 0
		.amdhsa_system_sgpr_workgroup_id_z 0
		.amdhsa_system_sgpr_workgroup_info 0
		.amdhsa_system_vgpr_workitem_id 0
		.amdhsa_next_free_vgpr 1
		.amdhsa_next_free_sgpr 0
		.amdhsa_accum_offset 4
		.amdhsa_reserve_vcc 0
		.amdhsa_float_round_mode_32 0
		.amdhsa_float_round_mode_16_64 0
		.amdhsa_float_denorm_mode_32 3
		.amdhsa_float_denorm_mode_16_64 3
		.amdhsa_dx10_clamp 1
		.amdhsa_ieee_mode 1
		.amdhsa_fp16_overflow 0
		.amdhsa_tg_split 0
		.amdhsa_exception_fp_ieee_invalid_op 0
		.amdhsa_exception_fp_denorm_src 0
		.amdhsa_exception_fp_ieee_div_zero 0
		.amdhsa_exception_fp_ieee_overflow 0
		.amdhsa_exception_fp_ieee_underflow 0
		.amdhsa_exception_fp_ieee_inexact 0
		.amdhsa_exception_int_div_zero 0
	.end_amdhsa_kernel
	.section	.text._ZN7rocprim17ROCPRIM_400000_NS6detail17trampoline_kernelINS0_14default_configENS1_25partition_config_selectorILNS1_17partition_subalgoE9EllbEEZZNS1_14partition_implILS5_9ELb0ES3_jPlS8_PNS0_10empty_typeENS0_5tupleIJS8_S9_EEENSB_IJS8_SA_EEENS0_18inequality_wrapperIZN2at6native12_GLOBAL__N_124unique_dim_cuda_templateIiEESt5tupleIJNSF_6TensorESK_SK_EERKSK_lbbbEUlllE0_EEPmJS9_EEE10hipError_tPvRmT3_T4_T5_T6_T7_T9_mT8_P12ihipStream_tbDpT10_ENKUlT_T0_E_clISt17integral_constantIbLb1EES1A_EEDaS15_S16_EUlS15_E_NS1_11comp_targetILNS1_3genE10ELNS1_11target_archE1200ELNS1_3gpuE4ELNS1_3repE0EEENS1_30default_config_static_selectorELNS0_4arch9wavefront6targetE1EEEvT1_,"axG",@progbits,_ZN7rocprim17ROCPRIM_400000_NS6detail17trampoline_kernelINS0_14default_configENS1_25partition_config_selectorILNS1_17partition_subalgoE9EllbEEZZNS1_14partition_implILS5_9ELb0ES3_jPlS8_PNS0_10empty_typeENS0_5tupleIJS8_S9_EEENSB_IJS8_SA_EEENS0_18inequality_wrapperIZN2at6native12_GLOBAL__N_124unique_dim_cuda_templateIiEESt5tupleIJNSF_6TensorESK_SK_EERKSK_lbbbEUlllE0_EEPmJS9_EEE10hipError_tPvRmT3_T4_T5_T6_T7_T9_mT8_P12ihipStream_tbDpT10_ENKUlT_T0_E_clISt17integral_constantIbLb1EES1A_EEDaS15_S16_EUlS15_E_NS1_11comp_targetILNS1_3genE10ELNS1_11target_archE1200ELNS1_3gpuE4ELNS1_3repE0EEENS1_30default_config_static_selectorELNS0_4arch9wavefront6targetE1EEEvT1_,comdat
.Lfunc_end486:
	.size	_ZN7rocprim17ROCPRIM_400000_NS6detail17trampoline_kernelINS0_14default_configENS1_25partition_config_selectorILNS1_17partition_subalgoE9EllbEEZZNS1_14partition_implILS5_9ELb0ES3_jPlS8_PNS0_10empty_typeENS0_5tupleIJS8_S9_EEENSB_IJS8_SA_EEENS0_18inequality_wrapperIZN2at6native12_GLOBAL__N_124unique_dim_cuda_templateIiEESt5tupleIJNSF_6TensorESK_SK_EERKSK_lbbbEUlllE0_EEPmJS9_EEE10hipError_tPvRmT3_T4_T5_T6_T7_T9_mT8_P12ihipStream_tbDpT10_ENKUlT_T0_E_clISt17integral_constantIbLb1EES1A_EEDaS15_S16_EUlS15_E_NS1_11comp_targetILNS1_3genE10ELNS1_11target_archE1200ELNS1_3gpuE4ELNS1_3repE0EEENS1_30default_config_static_selectorELNS0_4arch9wavefront6targetE1EEEvT1_, .Lfunc_end486-_ZN7rocprim17ROCPRIM_400000_NS6detail17trampoline_kernelINS0_14default_configENS1_25partition_config_selectorILNS1_17partition_subalgoE9EllbEEZZNS1_14partition_implILS5_9ELb0ES3_jPlS8_PNS0_10empty_typeENS0_5tupleIJS8_S9_EEENSB_IJS8_SA_EEENS0_18inequality_wrapperIZN2at6native12_GLOBAL__N_124unique_dim_cuda_templateIiEESt5tupleIJNSF_6TensorESK_SK_EERKSK_lbbbEUlllE0_EEPmJS9_EEE10hipError_tPvRmT3_T4_T5_T6_T7_T9_mT8_P12ihipStream_tbDpT10_ENKUlT_T0_E_clISt17integral_constantIbLb1EES1A_EEDaS15_S16_EUlS15_E_NS1_11comp_targetILNS1_3genE10ELNS1_11target_archE1200ELNS1_3gpuE4ELNS1_3repE0EEENS1_30default_config_static_selectorELNS0_4arch9wavefront6targetE1EEEvT1_
                                        ; -- End function
	.set _ZN7rocprim17ROCPRIM_400000_NS6detail17trampoline_kernelINS0_14default_configENS1_25partition_config_selectorILNS1_17partition_subalgoE9EllbEEZZNS1_14partition_implILS5_9ELb0ES3_jPlS8_PNS0_10empty_typeENS0_5tupleIJS8_S9_EEENSB_IJS8_SA_EEENS0_18inequality_wrapperIZN2at6native12_GLOBAL__N_124unique_dim_cuda_templateIiEESt5tupleIJNSF_6TensorESK_SK_EERKSK_lbbbEUlllE0_EEPmJS9_EEE10hipError_tPvRmT3_T4_T5_T6_T7_T9_mT8_P12ihipStream_tbDpT10_ENKUlT_T0_E_clISt17integral_constantIbLb1EES1A_EEDaS15_S16_EUlS15_E_NS1_11comp_targetILNS1_3genE10ELNS1_11target_archE1200ELNS1_3gpuE4ELNS1_3repE0EEENS1_30default_config_static_selectorELNS0_4arch9wavefront6targetE1EEEvT1_.num_vgpr, 0
	.set _ZN7rocprim17ROCPRIM_400000_NS6detail17trampoline_kernelINS0_14default_configENS1_25partition_config_selectorILNS1_17partition_subalgoE9EllbEEZZNS1_14partition_implILS5_9ELb0ES3_jPlS8_PNS0_10empty_typeENS0_5tupleIJS8_S9_EEENSB_IJS8_SA_EEENS0_18inequality_wrapperIZN2at6native12_GLOBAL__N_124unique_dim_cuda_templateIiEESt5tupleIJNSF_6TensorESK_SK_EERKSK_lbbbEUlllE0_EEPmJS9_EEE10hipError_tPvRmT3_T4_T5_T6_T7_T9_mT8_P12ihipStream_tbDpT10_ENKUlT_T0_E_clISt17integral_constantIbLb1EES1A_EEDaS15_S16_EUlS15_E_NS1_11comp_targetILNS1_3genE10ELNS1_11target_archE1200ELNS1_3gpuE4ELNS1_3repE0EEENS1_30default_config_static_selectorELNS0_4arch9wavefront6targetE1EEEvT1_.num_agpr, 0
	.set _ZN7rocprim17ROCPRIM_400000_NS6detail17trampoline_kernelINS0_14default_configENS1_25partition_config_selectorILNS1_17partition_subalgoE9EllbEEZZNS1_14partition_implILS5_9ELb0ES3_jPlS8_PNS0_10empty_typeENS0_5tupleIJS8_S9_EEENSB_IJS8_SA_EEENS0_18inequality_wrapperIZN2at6native12_GLOBAL__N_124unique_dim_cuda_templateIiEESt5tupleIJNSF_6TensorESK_SK_EERKSK_lbbbEUlllE0_EEPmJS9_EEE10hipError_tPvRmT3_T4_T5_T6_T7_T9_mT8_P12ihipStream_tbDpT10_ENKUlT_T0_E_clISt17integral_constantIbLb1EES1A_EEDaS15_S16_EUlS15_E_NS1_11comp_targetILNS1_3genE10ELNS1_11target_archE1200ELNS1_3gpuE4ELNS1_3repE0EEENS1_30default_config_static_selectorELNS0_4arch9wavefront6targetE1EEEvT1_.numbered_sgpr, 0
	.set _ZN7rocprim17ROCPRIM_400000_NS6detail17trampoline_kernelINS0_14default_configENS1_25partition_config_selectorILNS1_17partition_subalgoE9EllbEEZZNS1_14partition_implILS5_9ELb0ES3_jPlS8_PNS0_10empty_typeENS0_5tupleIJS8_S9_EEENSB_IJS8_SA_EEENS0_18inequality_wrapperIZN2at6native12_GLOBAL__N_124unique_dim_cuda_templateIiEESt5tupleIJNSF_6TensorESK_SK_EERKSK_lbbbEUlllE0_EEPmJS9_EEE10hipError_tPvRmT3_T4_T5_T6_T7_T9_mT8_P12ihipStream_tbDpT10_ENKUlT_T0_E_clISt17integral_constantIbLb1EES1A_EEDaS15_S16_EUlS15_E_NS1_11comp_targetILNS1_3genE10ELNS1_11target_archE1200ELNS1_3gpuE4ELNS1_3repE0EEENS1_30default_config_static_selectorELNS0_4arch9wavefront6targetE1EEEvT1_.num_named_barrier, 0
	.set _ZN7rocprim17ROCPRIM_400000_NS6detail17trampoline_kernelINS0_14default_configENS1_25partition_config_selectorILNS1_17partition_subalgoE9EllbEEZZNS1_14partition_implILS5_9ELb0ES3_jPlS8_PNS0_10empty_typeENS0_5tupleIJS8_S9_EEENSB_IJS8_SA_EEENS0_18inequality_wrapperIZN2at6native12_GLOBAL__N_124unique_dim_cuda_templateIiEESt5tupleIJNSF_6TensorESK_SK_EERKSK_lbbbEUlllE0_EEPmJS9_EEE10hipError_tPvRmT3_T4_T5_T6_T7_T9_mT8_P12ihipStream_tbDpT10_ENKUlT_T0_E_clISt17integral_constantIbLb1EES1A_EEDaS15_S16_EUlS15_E_NS1_11comp_targetILNS1_3genE10ELNS1_11target_archE1200ELNS1_3gpuE4ELNS1_3repE0EEENS1_30default_config_static_selectorELNS0_4arch9wavefront6targetE1EEEvT1_.private_seg_size, 0
	.set _ZN7rocprim17ROCPRIM_400000_NS6detail17trampoline_kernelINS0_14default_configENS1_25partition_config_selectorILNS1_17partition_subalgoE9EllbEEZZNS1_14partition_implILS5_9ELb0ES3_jPlS8_PNS0_10empty_typeENS0_5tupleIJS8_S9_EEENSB_IJS8_SA_EEENS0_18inequality_wrapperIZN2at6native12_GLOBAL__N_124unique_dim_cuda_templateIiEESt5tupleIJNSF_6TensorESK_SK_EERKSK_lbbbEUlllE0_EEPmJS9_EEE10hipError_tPvRmT3_T4_T5_T6_T7_T9_mT8_P12ihipStream_tbDpT10_ENKUlT_T0_E_clISt17integral_constantIbLb1EES1A_EEDaS15_S16_EUlS15_E_NS1_11comp_targetILNS1_3genE10ELNS1_11target_archE1200ELNS1_3gpuE4ELNS1_3repE0EEENS1_30default_config_static_selectorELNS0_4arch9wavefront6targetE1EEEvT1_.uses_vcc, 0
	.set _ZN7rocprim17ROCPRIM_400000_NS6detail17trampoline_kernelINS0_14default_configENS1_25partition_config_selectorILNS1_17partition_subalgoE9EllbEEZZNS1_14partition_implILS5_9ELb0ES3_jPlS8_PNS0_10empty_typeENS0_5tupleIJS8_S9_EEENSB_IJS8_SA_EEENS0_18inequality_wrapperIZN2at6native12_GLOBAL__N_124unique_dim_cuda_templateIiEESt5tupleIJNSF_6TensorESK_SK_EERKSK_lbbbEUlllE0_EEPmJS9_EEE10hipError_tPvRmT3_T4_T5_T6_T7_T9_mT8_P12ihipStream_tbDpT10_ENKUlT_T0_E_clISt17integral_constantIbLb1EES1A_EEDaS15_S16_EUlS15_E_NS1_11comp_targetILNS1_3genE10ELNS1_11target_archE1200ELNS1_3gpuE4ELNS1_3repE0EEENS1_30default_config_static_selectorELNS0_4arch9wavefront6targetE1EEEvT1_.uses_flat_scratch, 0
	.set _ZN7rocprim17ROCPRIM_400000_NS6detail17trampoline_kernelINS0_14default_configENS1_25partition_config_selectorILNS1_17partition_subalgoE9EllbEEZZNS1_14partition_implILS5_9ELb0ES3_jPlS8_PNS0_10empty_typeENS0_5tupleIJS8_S9_EEENSB_IJS8_SA_EEENS0_18inequality_wrapperIZN2at6native12_GLOBAL__N_124unique_dim_cuda_templateIiEESt5tupleIJNSF_6TensorESK_SK_EERKSK_lbbbEUlllE0_EEPmJS9_EEE10hipError_tPvRmT3_T4_T5_T6_T7_T9_mT8_P12ihipStream_tbDpT10_ENKUlT_T0_E_clISt17integral_constantIbLb1EES1A_EEDaS15_S16_EUlS15_E_NS1_11comp_targetILNS1_3genE10ELNS1_11target_archE1200ELNS1_3gpuE4ELNS1_3repE0EEENS1_30default_config_static_selectorELNS0_4arch9wavefront6targetE1EEEvT1_.has_dyn_sized_stack, 0
	.set _ZN7rocprim17ROCPRIM_400000_NS6detail17trampoline_kernelINS0_14default_configENS1_25partition_config_selectorILNS1_17partition_subalgoE9EllbEEZZNS1_14partition_implILS5_9ELb0ES3_jPlS8_PNS0_10empty_typeENS0_5tupleIJS8_S9_EEENSB_IJS8_SA_EEENS0_18inequality_wrapperIZN2at6native12_GLOBAL__N_124unique_dim_cuda_templateIiEESt5tupleIJNSF_6TensorESK_SK_EERKSK_lbbbEUlllE0_EEPmJS9_EEE10hipError_tPvRmT3_T4_T5_T6_T7_T9_mT8_P12ihipStream_tbDpT10_ENKUlT_T0_E_clISt17integral_constantIbLb1EES1A_EEDaS15_S16_EUlS15_E_NS1_11comp_targetILNS1_3genE10ELNS1_11target_archE1200ELNS1_3gpuE4ELNS1_3repE0EEENS1_30default_config_static_selectorELNS0_4arch9wavefront6targetE1EEEvT1_.has_recursion, 0
	.set _ZN7rocprim17ROCPRIM_400000_NS6detail17trampoline_kernelINS0_14default_configENS1_25partition_config_selectorILNS1_17partition_subalgoE9EllbEEZZNS1_14partition_implILS5_9ELb0ES3_jPlS8_PNS0_10empty_typeENS0_5tupleIJS8_S9_EEENSB_IJS8_SA_EEENS0_18inequality_wrapperIZN2at6native12_GLOBAL__N_124unique_dim_cuda_templateIiEESt5tupleIJNSF_6TensorESK_SK_EERKSK_lbbbEUlllE0_EEPmJS9_EEE10hipError_tPvRmT3_T4_T5_T6_T7_T9_mT8_P12ihipStream_tbDpT10_ENKUlT_T0_E_clISt17integral_constantIbLb1EES1A_EEDaS15_S16_EUlS15_E_NS1_11comp_targetILNS1_3genE10ELNS1_11target_archE1200ELNS1_3gpuE4ELNS1_3repE0EEENS1_30default_config_static_selectorELNS0_4arch9wavefront6targetE1EEEvT1_.has_indirect_call, 0
	.section	.AMDGPU.csdata,"",@progbits
; Kernel info:
; codeLenInByte = 0
; TotalNumSgprs: 6
; NumVgprs: 0
; NumAgprs: 0
; TotalNumVgprs: 0
; ScratchSize: 0
; MemoryBound: 0
; FloatMode: 240
; IeeeMode: 1
; LDSByteSize: 0 bytes/workgroup (compile time only)
; SGPRBlocks: 0
; VGPRBlocks: 0
; NumSGPRsForWavesPerEU: 6
; NumVGPRsForWavesPerEU: 1
; AccumOffset: 4
; Occupancy: 8
; WaveLimiterHint : 0
; COMPUTE_PGM_RSRC2:SCRATCH_EN: 0
; COMPUTE_PGM_RSRC2:USER_SGPR: 2
; COMPUTE_PGM_RSRC2:TRAP_HANDLER: 0
; COMPUTE_PGM_RSRC2:TGID_X_EN: 1
; COMPUTE_PGM_RSRC2:TGID_Y_EN: 0
; COMPUTE_PGM_RSRC2:TGID_Z_EN: 0
; COMPUTE_PGM_RSRC2:TIDIG_COMP_CNT: 0
; COMPUTE_PGM_RSRC3_GFX90A:ACCUM_OFFSET: 0
; COMPUTE_PGM_RSRC3_GFX90A:TG_SPLIT: 0
	.section	.text._ZN7rocprim17ROCPRIM_400000_NS6detail17trampoline_kernelINS0_14default_configENS1_25partition_config_selectorILNS1_17partition_subalgoE9EllbEEZZNS1_14partition_implILS5_9ELb0ES3_jPlS8_PNS0_10empty_typeENS0_5tupleIJS8_S9_EEENSB_IJS8_SA_EEENS0_18inequality_wrapperIZN2at6native12_GLOBAL__N_124unique_dim_cuda_templateIiEESt5tupleIJNSF_6TensorESK_SK_EERKSK_lbbbEUlllE0_EEPmJS9_EEE10hipError_tPvRmT3_T4_T5_T6_T7_T9_mT8_P12ihipStream_tbDpT10_ENKUlT_T0_E_clISt17integral_constantIbLb1EES1A_EEDaS15_S16_EUlS15_E_NS1_11comp_targetILNS1_3genE9ELNS1_11target_archE1100ELNS1_3gpuE3ELNS1_3repE0EEENS1_30default_config_static_selectorELNS0_4arch9wavefront6targetE1EEEvT1_,"axG",@progbits,_ZN7rocprim17ROCPRIM_400000_NS6detail17trampoline_kernelINS0_14default_configENS1_25partition_config_selectorILNS1_17partition_subalgoE9EllbEEZZNS1_14partition_implILS5_9ELb0ES3_jPlS8_PNS0_10empty_typeENS0_5tupleIJS8_S9_EEENSB_IJS8_SA_EEENS0_18inequality_wrapperIZN2at6native12_GLOBAL__N_124unique_dim_cuda_templateIiEESt5tupleIJNSF_6TensorESK_SK_EERKSK_lbbbEUlllE0_EEPmJS9_EEE10hipError_tPvRmT3_T4_T5_T6_T7_T9_mT8_P12ihipStream_tbDpT10_ENKUlT_T0_E_clISt17integral_constantIbLb1EES1A_EEDaS15_S16_EUlS15_E_NS1_11comp_targetILNS1_3genE9ELNS1_11target_archE1100ELNS1_3gpuE3ELNS1_3repE0EEENS1_30default_config_static_selectorELNS0_4arch9wavefront6targetE1EEEvT1_,comdat
	.globl	_ZN7rocprim17ROCPRIM_400000_NS6detail17trampoline_kernelINS0_14default_configENS1_25partition_config_selectorILNS1_17partition_subalgoE9EllbEEZZNS1_14partition_implILS5_9ELb0ES3_jPlS8_PNS0_10empty_typeENS0_5tupleIJS8_S9_EEENSB_IJS8_SA_EEENS0_18inequality_wrapperIZN2at6native12_GLOBAL__N_124unique_dim_cuda_templateIiEESt5tupleIJNSF_6TensorESK_SK_EERKSK_lbbbEUlllE0_EEPmJS9_EEE10hipError_tPvRmT3_T4_T5_T6_T7_T9_mT8_P12ihipStream_tbDpT10_ENKUlT_T0_E_clISt17integral_constantIbLb1EES1A_EEDaS15_S16_EUlS15_E_NS1_11comp_targetILNS1_3genE9ELNS1_11target_archE1100ELNS1_3gpuE3ELNS1_3repE0EEENS1_30default_config_static_selectorELNS0_4arch9wavefront6targetE1EEEvT1_ ; -- Begin function _ZN7rocprim17ROCPRIM_400000_NS6detail17trampoline_kernelINS0_14default_configENS1_25partition_config_selectorILNS1_17partition_subalgoE9EllbEEZZNS1_14partition_implILS5_9ELb0ES3_jPlS8_PNS0_10empty_typeENS0_5tupleIJS8_S9_EEENSB_IJS8_SA_EEENS0_18inequality_wrapperIZN2at6native12_GLOBAL__N_124unique_dim_cuda_templateIiEESt5tupleIJNSF_6TensorESK_SK_EERKSK_lbbbEUlllE0_EEPmJS9_EEE10hipError_tPvRmT3_T4_T5_T6_T7_T9_mT8_P12ihipStream_tbDpT10_ENKUlT_T0_E_clISt17integral_constantIbLb1EES1A_EEDaS15_S16_EUlS15_E_NS1_11comp_targetILNS1_3genE9ELNS1_11target_archE1100ELNS1_3gpuE3ELNS1_3repE0EEENS1_30default_config_static_selectorELNS0_4arch9wavefront6targetE1EEEvT1_
	.p2align	8
	.type	_ZN7rocprim17ROCPRIM_400000_NS6detail17trampoline_kernelINS0_14default_configENS1_25partition_config_selectorILNS1_17partition_subalgoE9EllbEEZZNS1_14partition_implILS5_9ELb0ES3_jPlS8_PNS0_10empty_typeENS0_5tupleIJS8_S9_EEENSB_IJS8_SA_EEENS0_18inequality_wrapperIZN2at6native12_GLOBAL__N_124unique_dim_cuda_templateIiEESt5tupleIJNSF_6TensorESK_SK_EERKSK_lbbbEUlllE0_EEPmJS9_EEE10hipError_tPvRmT3_T4_T5_T6_T7_T9_mT8_P12ihipStream_tbDpT10_ENKUlT_T0_E_clISt17integral_constantIbLb1EES1A_EEDaS15_S16_EUlS15_E_NS1_11comp_targetILNS1_3genE9ELNS1_11target_archE1100ELNS1_3gpuE3ELNS1_3repE0EEENS1_30default_config_static_selectorELNS0_4arch9wavefront6targetE1EEEvT1_,@function
_ZN7rocprim17ROCPRIM_400000_NS6detail17trampoline_kernelINS0_14default_configENS1_25partition_config_selectorILNS1_17partition_subalgoE9EllbEEZZNS1_14partition_implILS5_9ELb0ES3_jPlS8_PNS0_10empty_typeENS0_5tupleIJS8_S9_EEENSB_IJS8_SA_EEENS0_18inequality_wrapperIZN2at6native12_GLOBAL__N_124unique_dim_cuda_templateIiEESt5tupleIJNSF_6TensorESK_SK_EERKSK_lbbbEUlllE0_EEPmJS9_EEE10hipError_tPvRmT3_T4_T5_T6_T7_T9_mT8_P12ihipStream_tbDpT10_ENKUlT_T0_E_clISt17integral_constantIbLb1EES1A_EEDaS15_S16_EUlS15_E_NS1_11comp_targetILNS1_3genE9ELNS1_11target_archE1100ELNS1_3gpuE3ELNS1_3repE0EEENS1_30default_config_static_selectorELNS0_4arch9wavefront6targetE1EEEvT1_: ; @_ZN7rocprim17ROCPRIM_400000_NS6detail17trampoline_kernelINS0_14default_configENS1_25partition_config_selectorILNS1_17partition_subalgoE9EllbEEZZNS1_14partition_implILS5_9ELb0ES3_jPlS8_PNS0_10empty_typeENS0_5tupleIJS8_S9_EEENSB_IJS8_SA_EEENS0_18inequality_wrapperIZN2at6native12_GLOBAL__N_124unique_dim_cuda_templateIiEESt5tupleIJNSF_6TensorESK_SK_EERKSK_lbbbEUlllE0_EEPmJS9_EEE10hipError_tPvRmT3_T4_T5_T6_T7_T9_mT8_P12ihipStream_tbDpT10_ENKUlT_T0_E_clISt17integral_constantIbLb1EES1A_EEDaS15_S16_EUlS15_E_NS1_11comp_targetILNS1_3genE9ELNS1_11target_archE1100ELNS1_3gpuE3ELNS1_3repE0EEENS1_30default_config_static_selectorELNS0_4arch9wavefront6targetE1EEEvT1_
; %bb.0:
	.section	.rodata,"a",@progbits
	.p2align	6, 0x0
	.amdhsa_kernel _ZN7rocprim17ROCPRIM_400000_NS6detail17trampoline_kernelINS0_14default_configENS1_25partition_config_selectorILNS1_17partition_subalgoE9EllbEEZZNS1_14partition_implILS5_9ELb0ES3_jPlS8_PNS0_10empty_typeENS0_5tupleIJS8_S9_EEENSB_IJS8_SA_EEENS0_18inequality_wrapperIZN2at6native12_GLOBAL__N_124unique_dim_cuda_templateIiEESt5tupleIJNSF_6TensorESK_SK_EERKSK_lbbbEUlllE0_EEPmJS9_EEE10hipError_tPvRmT3_T4_T5_T6_T7_T9_mT8_P12ihipStream_tbDpT10_ENKUlT_T0_E_clISt17integral_constantIbLb1EES1A_EEDaS15_S16_EUlS15_E_NS1_11comp_targetILNS1_3genE9ELNS1_11target_archE1100ELNS1_3gpuE3ELNS1_3repE0EEENS1_30default_config_static_selectorELNS0_4arch9wavefront6targetE1EEEvT1_
		.amdhsa_group_segment_fixed_size 0
		.amdhsa_private_segment_fixed_size 0
		.amdhsa_kernarg_size 136
		.amdhsa_user_sgpr_count 2
		.amdhsa_user_sgpr_dispatch_ptr 0
		.amdhsa_user_sgpr_queue_ptr 0
		.amdhsa_user_sgpr_kernarg_segment_ptr 1
		.amdhsa_user_sgpr_dispatch_id 0
		.amdhsa_user_sgpr_kernarg_preload_length 0
		.amdhsa_user_sgpr_kernarg_preload_offset 0
		.amdhsa_user_sgpr_private_segment_size 0
		.amdhsa_uses_dynamic_stack 0
		.amdhsa_enable_private_segment 0
		.amdhsa_system_sgpr_workgroup_id_x 1
		.amdhsa_system_sgpr_workgroup_id_y 0
		.amdhsa_system_sgpr_workgroup_id_z 0
		.amdhsa_system_sgpr_workgroup_info 0
		.amdhsa_system_vgpr_workitem_id 0
		.amdhsa_next_free_vgpr 1
		.amdhsa_next_free_sgpr 0
		.amdhsa_accum_offset 4
		.amdhsa_reserve_vcc 0
		.amdhsa_float_round_mode_32 0
		.amdhsa_float_round_mode_16_64 0
		.amdhsa_float_denorm_mode_32 3
		.amdhsa_float_denorm_mode_16_64 3
		.amdhsa_dx10_clamp 1
		.amdhsa_ieee_mode 1
		.amdhsa_fp16_overflow 0
		.amdhsa_tg_split 0
		.amdhsa_exception_fp_ieee_invalid_op 0
		.amdhsa_exception_fp_denorm_src 0
		.amdhsa_exception_fp_ieee_div_zero 0
		.amdhsa_exception_fp_ieee_overflow 0
		.amdhsa_exception_fp_ieee_underflow 0
		.amdhsa_exception_fp_ieee_inexact 0
		.amdhsa_exception_int_div_zero 0
	.end_amdhsa_kernel
	.section	.text._ZN7rocprim17ROCPRIM_400000_NS6detail17trampoline_kernelINS0_14default_configENS1_25partition_config_selectorILNS1_17partition_subalgoE9EllbEEZZNS1_14partition_implILS5_9ELb0ES3_jPlS8_PNS0_10empty_typeENS0_5tupleIJS8_S9_EEENSB_IJS8_SA_EEENS0_18inequality_wrapperIZN2at6native12_GLOBAL__N_124unique_dim_cuda_templateIiEESt5tupleIJNSF_6TensorESK_SK_EERKSK_lbbbEUlllE0_EEPmJS9_EEE10hipError_tPvRmT3_T4_T5_T6_T7_T9_mT8_P12ihipStream_tbDpT10_ENKUlT_T0_E_clISt17integral_constantIbLb1EES1A_EEDaS15_S16_EUlS15_E_NS1_11comp_targetILNS1_3genE9ELNS1_11target_archE1100ELNS1_3gpuE3ELNS1_3repE0EEENS1_30default_config_static_selectorELNS0_4arch9wavefront6targetE1EEEvT1_,"axG",@progbits,_ZN7rocprim17ROCPRIM_400000_NS6detail17trampoline_kernelINS0_14default_configENS1_25partition_config_selectorILNS1_17partition_subalgoE9EllbEEZZNS1_14partition_implILS5_9ELb0ES3_jPlS8_PNS0_10empty_typeENS0_5tupleIJS8_S9_EEENSB_IJS8_SA_EEENS0_18inequality_wrapperIZN2at6native12_GLOBAL__N_124unique_dim_cuda_templateIiEESt5tupleIJNSF_6TensorESK_SK_EERKSK_lbbbEUlllE0_EEPmJS9_EEE10hipError_tPvRmT3_T4_T5_T6_T7_T9_mT8_P12ihipStream_tbDpT10_ENKUlT_T0_E_clISt17integral_constantIbLb1EES1A_EEDaS15_S16_EUlS15_E_NS1_11comp_targetILNS1_3genE9ELNS1_11target_archE1100ELNS1_3gpuE3ELNS1_3repE0EEENS1_30default_config_static_selectorELNS0_4arch9wavefront6targetE1EEEvT1_,comdat
.Lfunc_end487:
	.size	_ZN7rocprim17ROCPRIM_400000_NS6detail17trampoline_kernelINS0_14default_configENS1_25partition_config_selectorILNS1_17partition_subalgoE9EllbEEZZNS1_14partition_implILS5_9ELb0ES3_jPlS8_PNS0_10empty_typeENS0_5tupleIJS8_S9_EEENSB_IJS8_SA_EEENS0_18inequality_wrapperIZN2at6native12_GLOBAL__N_124unique_dim_cuda_templateIiEESt5tupleIJNSF_6TensorESK_SK_EERKSK_lbbbEUlllE0_EEPmJS9_EEE10hipError_tPvRmT3_T4_T5_T6_T7_T9_mT8_P12ihipStream_tbDpT10_ENKUlT_T0_E_clISt17integral_constantIbLb1EES1A_EEDaS15_S16_EUlS15_E_NS1_11comp_targetILNS1_3genE9ELNS1_11target_archE1100ELNS1_3gpuE3ELNS1_3repE0EEENS1_30default_config_static_selectorELNS0_4arch9wavefront6targetE1EEEvT1_, .Lfunc_end487-_ZN7rocprim17ROCPRIM_400000_NS6detail17trampoline_kernelINS0_14default_configENS1_25partition_config_selectorILNS1_17partition_subalgoE9EllbEEZZNS1_14partition_implILS5_9ELb0ES3_jPlS8_PNS0_10empty_typeENS0_5tupleIJS8_S9_EEENSB_IJS8_SA_EEENS0_18inequality_wrapperIZN2at6native12_GLOBAL__N_124unique_dim_cuda_templateIiEESt5tupleIJNSF_6TensorESK_SK_EERKSK_lbbbEUlllE0_EEPmJS9_EEE10hipError_tPvRmT3_T4_T5_T6_T7_T9_mT8_P12ihipStream_tbDpT10_ENKUlT_T0_E_clISt17integral_constantIbLb1EES1A_EEDaS15_S16_EUlS15_E_NS1_11comp_targetILNS1_3genE9ELNS1_11target_archE1100ELNS1_3gpuE3ELNS1_3repE0EEENS1_30default_config_static_selectorELNS0_4arch9wavefront6targetE1EEEvT1_
                                        ; -- End function
	.set _ZN7rocprim17ROCPRIM_400000_NS6detail17trampoline_kernelINS0_14default_configENS1_25partition_config_selectorILNS1_17partition_subalgoE9EllbEEZZNS1_14partition_implILS5_9ELb0ES3_jPlS8_PNS0_10empty_typeENS0_5tupleIJS8_S9_EEENSB_IJS8_SA_EEENS0_18inequality_wrapperIZN2at6native12_GLOBAL__N_124unique_dim_cuda_templateIiEESt5tupleIJNSF_6TensorESK_SK_EERKSK_lbbbEUlllE0_EEPmJS9_EEE10hipError_tPvRmT3_T4_T5_T6_T7_T9_mT8_P12ihipStream_tbDpT10_ENKUlT_T0_E_clISt17integral_constantIbLb1EES1A_EEDaS15_S16_EUlS15_E_NS1_11comp_targetILNS1_3genE9ELNS1_11target_archE1100ELNS1_3gpuE3ELNS1_3repE0EEENS1_30default_config_static_selectorELNS0_4arch9wavefront6targetE1EEEvT1_.num_vgpr, 0
	.set _ZN7rocprim17ROCPRIM_400000_NS6detail17trampoline_kernelINS0_14default_configENS1_25partition_config_selectorILNS1_17partition_subalgoE9EllbEEZZNS1_14partition_implILS5_9ELb0ES3_jPlS8_PNS0_10empty_typeENS0_5tupleIJS8_S9_EEENSB_IJS8_SA_EEENS0_18inequality_wrapperIZN2at6native12_GLOBAL__N_124unique_dim_cuda_templateIiEESt5tupleIJNSF_6TensorESK_SK_EERKSK_lbbbEUlllE0_EEPmJS9_EEE10hipError_tPvRmT3_T4_T5_T6_T7_T9_mT8_P12ihipStream_tbDpT10_ENKUlT_T0_E_clISt17integral_constantIbLb1EES1A_EEDaS15_S16_EUlS15_E_NS1_11comp_targetILNS1_3genE9ELNS1_11target_archE1100ELNS1_3gpuE3ELNS1_3repE0EEENS1_30default_config_static_selectorELNS0_4arch9wavefront6targetE1EEEvT1_.num_agpr, 0
	.set _ZN7rocprim17ROCPRIM_400000_NS6detail17trampoline_kernelINS0_14default_configENS1_25partition_config_selectorILNS1_17partition_subalgoE9EllbEEZZNS1_14partition_implILS5_9ELb0ES3_jPlS8_PNS0_10empty_typeENS0_5tupleIJS8_S9_EEENSB_IJS8_SA_EEENS0_18inequality_wrapperIZN2at6native12_GLOBAL__N_124unique_dim_cuda_templateIiEESt5tupleIJNSF_6TensorESK_SK_EERKSK_lbbbEUlllE0_EEPmJS9_EEE10hipError_tPvRmT3_T4_T5_T6_T7_T9_mT8_P12ihipStream_tbDpT10_ENKUlT_T0_E_clISt17integral_constantIbLb1EES1A_EEDaS15_S16_EUlS15_E_NS1_11comp_targetILNS1_3genE9ELNS1_11target_archE1100ELNS1_3gpuE3ELNS1_3repE0EEENS1_30default_config_static_selectorELNS0_4arch9wavefront6targetE1EEEvT1_.numbered_sgpr, 0
	.set _ZN7rocprim17ROCPRIM_400000_NS6detail17trampoline_kernelINS0_14default_configENS1_25partition_config_selectorILNS1_17partition_subalgoE9EllbEEZZNS1_14partition_implILS5_9ELb0ES3_jPlS8_PNS0_10empty_typeENS0_5tupleIJS8_S9_EEENSB_IJS8_SA_EEENS0_18inequality_wrapperIZN2at6native12_GLOBAL__N_124unique_dim_cuda_templateIiEESt5tupleIJNSF_6TensorESK_SK_EERKSK_lbbbEUlllE0_EEPmJS9_EEE10hipError_tPvRmT3_T4_T5_T6_T7_T9_mT8_P12ihipStream_tbDpT10_ENKUlT_T0_E_clISt17integral_constantIbLb1EES1A_EEDaS15_S16_EUlS15_E_NS1_11comp_targetILNS1_3genE9ELNS1_11target_archE1100ELNS1_3gpuE3ELNS1_3repE0EEENS1_30default_config_static_selectorELNS0_4arch9wavefront6targetE1EEEvT1_.num_named_barrier, 0
	.set _ZN7rocprim17ROCPRIM_400000_NS6detail17trampoline_kernelINS0_14default_configENS1_25partition_config_selectorILNS1_17partition_subalgoE9EllbEEZZNS1_14partition_implILS5_9ELb0ES3_jPlS8_PNS0_10empty_typeENS0_5tupleIJS8_S9_EEENSB_IJS8_SA_EEENS0_18inequality_wrapperIZN2at6native12_GLOBAL__N_124unique_dim_cuda_templateIiEESt5tupleIJNSF_6TensorESK_SK_EERKSK_lbbbEUlllE0_EEPmJS9_EEE10hipError_tPvRmT3_T4_T5_T6_T7_T9_mT8_P12ihipStream_tbDpT10_ENKUlT_T0_E_clISt17integral_constantIbLb1EES1A_EEDaS15_S16_EUlS15_E_NS1_11comp_targetILNS1_3genE9ELNS1_11target_archE1100ELNS1_3gpuE3ELNS1_3repE0EEENS1_30default_config_static_selectorELNS0_4arch9wavefront6targetE1EEEvT1_.private_seg_size, 0
	.set _ZN7rocprim17ROCPRIM_400000_NS6detail17trampoline_kernelINS0_14default_configENS1_25partition_config_selectorILNS1_17partition_subalgoE9EllbEEZZNS1_14partition_implILS5_9ELb0ES3_jPlS8_PNS0_10empty_typeENS0_5tupleIJS8_S9_EEENSB_IJS8_SA_EEENS0_18inequality_wrapperIZN2at6native12_GLOBAL__N_124unique_dim_cuda_templateIiEESt5tupleIJNSF_6TensorESK_SK_EERKSK_lbbbEUlllE0_EEPmJS9_EEE10hipError_tPvRmT3_T4_T5_T6_T7_T9_mT8_P12ihipStream_tbDpT10_ENKUlT_T0_E_clISt17integral_constantIbLb1EES1A_EEDaS15_S16_EUlS15_E_NS1_11comp_targetILNS1_3genE9ELNS1_11target_archE1100ELNS1_3gpuE3ELNS1_3repE0EEENS1_30default_config_static_selectorELNS0_4arch9wavefront6targetE1EEEvT1_.uses_vcc, 0
	.set _ZN7rocprim17ROCPRIM_400000_NS6detail17trampoline_kernelINS0_14default_configENS1_25partition_config_selectorILNS1_17partition_subalgoE9EllbEEZZNS1_14partition_implILS5_9ELb0ES3_jPlS8_PNS0_10empty_typeENS0_5tupleIJS8_S9_EEENSB_IJS8_SA_EEENS0_18inequality_wrapperIZN2at6native12_GLOBAL__N_124unique_dim_cuda_templateIiEESt5tupleIJNSF_6TensorESK_SK_EERKSK_lbbbEUlllE0_EEPmJS9_EEE10hipError_tPvRmT3_T4_T5_T6_T7_T9_mT8_P12ihipStream_tbDpT10_ENKUlT_T0_E_clISt17integral_constantIbLb1EES1A_EEDaS15_S16_EUlS15_E_NS1_11comp_targetILNS1_3genE9ELNS1_11target_archE1100ELNS1_3gpuE3ELNS1_3repE0EEENS1_30default_config_static_selectorELNS0_4arch9wavefront6targetE1EEEvT1_.uses_flat_scratch, 0
	.set _ZN7rocprim17ROCPRIM_400000_NS6detail17trampoline_kernelINS0_14default_configENS1_25partition_config_selectorILNS1_17partition_subalgoE9EllbEEZZNS1_14partition_implILS5_9ELb0ES3_jPlS8_PNS0_10empty_typeENS0_5tupleIJS8_S9_EEENSB_IJS8_SA_EEENS0_18inequality_wrapperIZN2at6native12_GLOBAL__N_124unique_dim_cuda_templateIiEESt5tupleIJNSF_6TensorESK_SK_EERKSK_lbbbEUlllE0_EEPmJS9_EEE10hipError_tPvRmT3_T4_T5_T6_T7_T9_mT8_P12ihipStream_tbDpT10_ENKUlT_T0_E_clISt17integral_constantIbLb1EES1A_EEDaS15_S16_EUlS15_E_NS1_11comp_targetILNS1_3genE9ELNS1_11target_archE1100ELNS1_3gpuE3ELNS1_3repE0EEENS1_30default_config_static_selectorELNS0_4arch9wavefront6targetE1EEEvT1_.has_dyn_sized_stack, 0
	.set _ZN7rocprim17ROCPRIM_400000_NS6detail17trampoline_kernelINS0_14default_configENS1_25partition_config_selectorILNS1_17partition_subalgoE9EllbEEZZNS1_14partition_implILS5_9ELb0ES3_jPlS8_PNS0_10empty_typeENS0_5tupleIJS8_S9_EEENSB_IJS8_SA_EEENS0_18inequality_wrapperIZN2at6native12_GLOBAL__N_124unique_dim_cuda_templateIiEESt5tupleIJNSF_6TensorESK_SK_EERKSK_lbbbEUlllE0_EEPmJS9_EEE10hipError_tPvRmT3_T4_T5_T6_T7_T9_mT8_P12ihipStream_tbDpT10_ENKUlT_T0_E_clISt17integral_constantIbLb1EES1A_EEDaS15_S16_EUlS15_E_NS1_11comp_targetILNS1_3genE9ELNS1_11target_archE1100ELNS1_3gpuE3ELNS1_3repE0EEENS1_30default_config_static_selectorELNS0_4arch9wavefront6targetE1EEEvT1_.has_recursion, 0
	.set _ZN7rocprim17ROCPRIM_400000_NS6detail17trampoline_kernelINS0_14default_configENS1_25partition_config_selectorILNS1_17partition_subalgoE9EllbEEZZNS1_14partition_implILS5_9ELb0ES3_jPlS8_PNS0_10empty_typeENS0_5tupleIJS8_S9_EEENSB_IJS8_SA_EEENS0_18inequality_wrapperIZN2at6native12_GLOBAL__N_124unique_dim_cuda_templateIiEESt5tupleIJNSF_6TensorESK_SK_EERKSK_lbbbEUlllE0_EEPmJS9_EEE10hipError_tPvRmT3_T4_T5_T6_T7_T9_mT8_P12ihipStream_tbDpT10_ENKUlT_T0_E_clISt17integral_constantIbLb1EES1A_EEDaS15_S16_EUlS15_E_NS1_11comp_targetILNS1_3genE9ELNS1_11target_archE1100ELNS1_3gpuE3ELNS1_3repE0EEENS1_30default_config_static_selectorELNS0_4arch9wavefront6targetE1EEEvT1_.has_indirect_call, 0
	.section	.AMDGPU.csdata,"",@progbits
; Kernel info:
; codeLenInByte = 0
; TotalNumSgprs: 6
; NumVgprs: 0
; NumAgprs: 0
; TotalNumVgprs: 0
; ScratchSize: 0
; MemoryBound: 0
; FloatMode: 240
; IeeeMode: 1
; LDSByteSize: 0 bytes/workgroup (compile time only)
; SGPRBlocks: 0
; VGPRBlocks: 0
; NumSGPRsForWavesPerEU: 6
; NumVGPRsForWavesPerEU: 1
; AccumOffset: 4
; Occupancy: 8
; WaveLimiterHint : 0
; COMPUTE_PGM_RSRC2:SCRATCH_EN: 0
; COMPUTE_PGM_RSRC2:USER_SGPR: 2
; COMPUTE_PGM_RSRC2:TRAP_HANDLER: 0
; COMPUTE_PGM_RSRC2:TGID_X_EN: 1
; COMPUTE_PGM_RSRC2:TGID_Y_EN: 0
; COMPUTE_PGM_RSRC2:TGID_Z_EN: 0
; COMPUTE_PGM_RSRC2:TIDIG_COMP_CNT: 0
; COMPUTE_PGM_RSRC3_GFX90A:ACCUM_OFFSET: 0
; COMPUTE_PGM_RSRC3_GFX90A:TG_SPLIT: 0
	.section	.text._ZN7rocprim17ROCPRIM_400000_NS6detail17trampoline_kernelINS0_14default_configENS1_25partition_config_selectorILNS1_17partition_subalgoE9EllbEEZZNS1_14partition_implILS5_9ELb0ES3_jPlS8_PNS0_10empty_typeENS0_5tupleIJS8_S9_EEENSB_IJS8_SA_EEENS0_18inequality_wrapperIZN2at6native12_GLOBAL__N_124unique_dim_cuda_templateIiEESt5tupleIJNSF_6TensorESK_SK_EERKSK_lbbbEUlllE0_EEPmJS9_EEE10hipError_tPvRmT3_T4_T5_T6_T7_T9_mT8_P12ihipStream_tbDpT10_ENKUlT_T0_E_clISt17integral_constantIbLb1EES1A_EEDaS15_S16_EUlS15_E_NS1_11comp_targetILNS1_3genE8ELNS1_11target_archE1030ELNS1_3gpuE2ELNS1_3repE0EEENS1_30default_config_static_selectorELNS0_4arch9wavefront6targetE1EEEvT1_,"axG",@progbits,_ZN7rocprim17ROCPRIM_400000_NS6detail17trampoline_kernelINS0_14default_configENS1_25partition_config_selectorILNS1_17partition_subalgoE9EllbEEZZNS1_14partition_implILS5_9ELb0ES3_jPlS8_PNS0_10empty_typeENS0_5tupleIJS8_S9_EEENSB_IJS8_SA_EEENS0_18inequality_wrapperIZN2at6native12_GLOBAL__N_124unique_dim_cuda_templateIiEESt5tupleIJNSF_6TensorESK_SK_EERKSK_lbbbEUlllE0_EEPmJS9_EEE10hipError_tPvRmT3_T4_T5_T6_T7_T9_mT8_P12ihipStream_tbDpT10_ENKUlT_T0_E_clISt17integral_constantIbLb1EES1A_EEDaS15_S16_EUlS15_E_NS1_11comp_targetILNS1_3genE8ELNS1_11target_archE1030ELNS1_3gpuE2ELNS1_3repE0EEENS1_30default_config_static_selectorELNS0_4arch9wavefront6targetE1EEEvT1_,comdat
	.globl	_ZN7rocprim17ROCPRIM_400000_NS6detail17trampoline_kernelINS0_14default_configENS1_25partition_config_selectorILNS1_17partition_subalgoE9EllbEEZZNS1_14partition_implILS5_9ELb0ES3_jPlS8_PNS0_10empty_typeENS0_5tupleIJS8_S9_EEENSB_IJS8_SA_EEENS0_18inequality_wrapperIZN2at6native12_GLOBAL__N_124unique_dim_cuda_templateIiEESt5tupleIJNSF_6TensorESK_SK_EERKSK_lbbbEUlllE0_EEPmJS9_EEE10hipError_tPvRmT3_T4_T5_T6_T7_T9_mT8_P12ihipStream_tbDpT10_ENKUlT_T0_E_clISt17integral_constantIbLb1EES1A_EEDaS15_S16_EUlS15_E_NS1_11comp_targetILNS1_3genE8ELNS1_11target_archE1030ELNS1_3gpuE2ELNS1_3repE0EEENS1_30default_config_static_selectorELNS0_4arch9wavefront6targetE1EEEvT1_ ; -- Begin function _ZN7rocprim17ROCPRIM_400000_NS6detail17trampoline_kernelINS0_14default_configENS1_25partition_config_selectorILNS1_17partition_subalgoE9EllbEEZZNS1_14partition_implILS5_9ELb0ES3_jPlS8_PNS0_10empty_typeENS0_5tupleIJS8_S9_EEENSB_IJS8_SA_EEENS0_18inequality_wrapperIZN2at6native12_GLOBAL__N_124unique_dim_cuda_templateIiEESt5tupleIJNSF_6TensorESK_SK_EERKSK_lbbbEUlllE0_EEPmJS9_EEE10hipError_tPvRmT3_T4_T5_T6_T7_T9_mT8_P12ihipStream_tbDpT10_ENKUlT_T0_E_clISt17integral_constantIbLb1EES1A_EEDaS15_S16_EUlS15_E_NS1_11comp_targetILNS1_3genE8ELNS1_11target_archE1030ELNS1_3gpuE2ELNS1_3repE0EEENS1_30default_config_static_selectorELNS0_4arch9wavefront6targetE1EEEvT1_
	.p2align	8
	.type	_ZN7rocprim17ROCPRIM_400000_NS6detail17trampoline_kernelINS0_14default_configENS1_25partition_config_selectorILNS1_17partition_subalgoE9EllbEEZZNS1_14partition_implILS5_9ELb0ES3_jPlS8_PNS0_10empty_typeENS0_5tupleIJS8_S9_EEENSB_IJS8_SA_EEENS0_18inequality_wrapperIZN2at6native12_GLOBAL__N_124unique_dim_cuda_templateIiEESt5tupleIJNSF_6TensorESK_SK_EERKSK_lbbbEUlllE0_EEPmJS9_EEE10hipError_tPvRmT3_T4_T5_T6_T7_T9_mT8_P12ihipStream_tbDpT10_ENKUlT_T0_E_clISt17integral_constantIbLb1EES1A_EEDaS15_S16_EUlS15_E_NS1_11comp_targetILNS1_3genE8ELNS1_11target_archE1030ELNS1_3gpuE2ELNS1_3repE0EEENS1_30default_config_static_selectorELNS0_4arch9wavefront6targetE1EEEvT1_,@function
_ZN7rocprim17ROCPRIM_400000_NS6detail17trampoline_kernelINS0_14default_configENS1_25partition_config_selectorILNS1_17partition_subalgoE9EllbEEZZNS1_14partition_implILS5_9ELb0ES3_jPlS8_PNS0_10empty_typeENS0_5tupleIJS8_S9_EEENSB_IJS8_SA_EEENS0_18inequality_wrapperIZN2at6native12_GLOBAL__N_124unique_dim_cuda_templateIiEESt5tupleIJNSF_6TensorESK_SK_EERKSK_lbbbEUlllE0_EEPmJS9_EEE10hipError_tPvRmT3_T4_T5_T6_T7_T9_mT8_P12ihipStream_tbDpT10_ENKUlT_T0_E_clISt17integral_constantIbLb1EES1A_EEDaS15_S16_EUlS15_E_NS1_11comp_targetILNS1_3genE8ELNS1_11target_archE1030ELNS1_3gpuE2ELNS1_3repE0EEENS1_30default_config_static_selectorELNS0_4arch9wavefront6targetE1EEEvT1_: ; @_ZN7rocprim17ROCPRIM_400000_NS6detail17trampoline_kernelINS0_14default_configENS1_25partition_config_selectorILNS1_17partition_subalgoE9EllbEEZZNS1_14partition_implILS5_9ELb0ES3_jPlS8_PNS0_10empty_typeENS0_5tupleIJS8_S9_EEENSB_IJS8_SA_EEENS0_18inequality_wrapperIZN2at6native12_GLOBAL__N_124unique_dim_cuda_templateIiEESt5tupleIJNSF_6TensorESK_SK_EERKSK_lbbbEUlllE0_EEPmJS9_EEE10hipError_tPvRmT3_T4_T5_T6_T7_T9_mT8_P12ihipStream_tbDpT10_ENKUlT_T0_E_clISt17integral_constantIbLb1EES1A_EEDaS15_S16_EUlS15_E_NS1_11comp_targetILNS1_3genE8ELNS1_11target_archE1030ELNS1_3gpuE2ELNS1_3repE0EEENS1_30default_config_static_selectorELNS0_4arch9wavefront6targetE1EEEvT1_
; %bb.0:
	.section	.rodata,"a",@progbits
	.p2align	6, 0x0
	.amdhsa_kernel _ZN7rocprim17ROCPRIM_400000_NS6detail17trampoline_kernelINS0_14default_configENS1_25partition_config_selectorILNS1_17partition_subalgoE9EllbEEZZNS1_14partition_implILS5_9ELb0ES3_jPlS8_PNS0_10empty_typeENS0_5tupleIJS8_S9_EEENSB_IJS8_SA_EEENS0_18inequality_wrapperIZN2at6native12_GLOBAL__N_124unique_dim_cuda_templateIiEESt5tupleIJNSF_6TensorESK_SK_EERKSK_lbbbEUlllE0_EEPmJS9_EEE10hipError_tPvRmT3_T4_T5_T6_T7_T9_mT8_P12ihipStream_tbDpT10_ENKUlT_T0_E_clISt17integral_constantIbLb1EES1A_EEDaS15_S16_EUlS15_E_NS1_11comp_targetILNS1_3genE8ELNS1_11target_archE1030ELNS1_3gpuE2ELNS1_3repE0EEENS1_30default_config_static_selectorELNS0_4arch9wavefront6targetE1EEEvT1_
		.amdhsa_group_segment_fixed_size 0
		.amdhsa_private_segment_fixed_size 0
		.amdhsa_kernarg_size 136
		.amdhsa_user_sgpr_count 2
		.amdhsa_user_sgpr_dispatch_ptr 0
		.amdhsa_user_sgpr_queue_ptr 0
		.amdhsa_user_sgpr_kernarg_segment_ptr 1
		.amdhsa_user_sgpr_dispatch_id 0
		.amdhsa_user_sgpr_kernarg_preload_length 0
		.amdhsa_user_sgpr_kernarg_preload_offset 0
		.amdhsa_user_sgpr_private_segment_size 0
		.amdhsa_uses_dynamic_stack 0
		.amdhsa_enable_private_segment 0
		.amdhsa_system_sgpr_workgroup_id_x 1
		.amdhsa_system_sgpr_workgroup_id_y 0
		.amdhsa_system_sgpr_workgroup_id_z 0
		.amdhsa_system_sgpr_workgroup_info 0
		.amdhsa_system_vgpr_workitem_id 0
		.amdhsa_next_free_vgpr 1
		.amdhsa_next_free_sgpr 0
		.amdhsa_accum_offset 4
		.amdhsa_reserve_vcc 0
		.amdhsa_float_round_mode_32 0
		.amdhsa_float_round_mode_16_64 0
		.amdhsa_float_denorm_mode_32 3
		.amdhsa_float_denorm_mode_16_64 3
		.amdhsa_dx10_clamp 1
		.amdhsa_ieee_mode 1
		.amdhsa_fp16_overflow 0
		.amdhsa_tg_split 0
		.amdhsa_exception_fp_ieee_invalid_op 0
		.amdhsa_exception_fp_denorm_src 0
		.amdhsa_exception_fp_ieee_div_zero 0
		.amdhsa_exception_fp_ieee_overflow 0
		.amdhsa_exception_fp_ieee_underflow 0
		.amdhsa_exception_fp_ieee_inexact 0
		.amdhsa_exception_int_div_zero 0
	.end_amdhsa_kernel
	.section	.text._ZN7rocprim17ROCPRIM_400000_NS6detail17trampoline_kernelINS0_14default_configENS1_25partition_config_selectorILNS1_17partition_subalgoE9EllbEEZZNS1_14partition_implILS5_9ELb0ES3_jPlS8_PNS0_10empty_typeENS0_5tupleIJS8_S9_EEENSB_IJS8_SA_EEENS0_18inequality_wrapperIZN2at6native12_GLOBAL__N_124unique_dim_cuda_templateIiEESt5tupleIJNSF_6TensorESK_SK_EERKSK_lbbbEUlllE0_EEPmJS9_EEE10hipError_tPvRmT3_T4_T5_T6_T7_T9_mT8_P12ihipStream_tbDpT10_ENKUlT_T0_E_clISt17integral_constantIbLb1EES1A_EEDaS15_S16_EUlS15_E_NS1_11comp_targetILNS1_3genE8ELNS1_11target_archE1030ELNS1_3gpuE2ELNS1_3repE0EEENS1_30default_config_static_selectorELNS0_4arch9wavefront6targetE1EEEvT1_,"axG",@progbits,_ZN7rocprim17ROCPRIM_400000_NS6detail17trampoline_kernelINS0_14default_configENS1_25partition_config_selectorILNS1_17partition_subalgoE9EllbEEZZNS1_14partition_implILS5_9ELb0ES3_jPlS8_PNS0_10empty_typeENS0_5tupleIJS8_S9_EEENSB_IJS8_SA_EEENS0_18inequality_wrapperIZN2at6native12_GLOBAL__N_124unique_dim_cuda_templateIiEESt5tupleIJNSF_6TensorESK_SK_EERKSK_lbbbEUlllE0_EEPmJS9_EEE10hipError_tPvRmT3_T4_T5_T6_T7_T9_mT8_P12ihipStream_tbDpT10_ENKUlT_T0_E_clISt17integral_constantIbLb1EES1A_EEDaS15_S16_EUlS15_E_NS1_11comp_targetILNS1_3genE8ELNS1_11target_archE1030ELNS1_3gpuE2ELNS1_3repE0EEENS1_30default_config_static_selectorELNS0_4arch9wavefront6targetE1EEEvT1_,comdat
.Lfunc_end488:
	.size	_ZN7rocprim17ROCPRIM_400000_NS6detail17trampoline_kernelINS0_14default_configENS1_25partition_config_selectorILNS1_17partition_subalgoE9EllbEEZZNS1_14partition_implILS5_9ELb0ES3_jPlS8_PNS0_10empty_typeENS0_5tupleIJS8_S9_EEENSB_IJS8_SA_EEENS0_18inequality_wrapperIZN2at6native12_GLOBAL__N_124unique_dim_cuda_templateIiEESt5tupleIJNSF_6TensorESK_SK_EERKSK_lbbbEUlllE0_EEPmJS9_EEE10hipError_tPvRmT3_T4_T5_T6_T7_T9_mT8_P12ihipStream_tbDpT10_ENKUlT_T0_E_clISt17integral_constantIbLb1EES1A_EEDaS15_S16_EUlS15_E_NS1_11comp_targetILNS1_3genE8ELNS1_11target_archE1030ELNS1_3gpuE2ELNS1_3repE0EEENS1_30default_config_static_selectorELNS0_4arch9wavefront6targetE1EEEvT1_, .Lfunc_end488-_ZN7rocprim17ROCPRIM_400000_NS6detail17trampoline_kernelINS0_14default_configENS1_25partition_config_selectorILNS1_17partition_subalgoE9EllbEEZZNS1_14partition_implILS5_9ELb0ES3_jPlS8_PNS0_10empty_typeENS0_5tupleIJS8_S9_EEENSB_IJS8_SA_EEENS0_18inequality_wrapperIZN2at6native12_GLOBAL__N_124unique_dim_cuda_templateIiEESt5tupleIJNSF_6TensorESK_SK_EERKSK_lbbbEUlllE0_EEPmJS9_EEE10hipError_tPvRmT3_T4_T5_T6_T7_T9_mT8_P12ihipStream_tbDpT10_ENKUlT_T0_E_clISt17integral_constantIbLb1EES1A_EEDaS15_S16_EUlS15_E_NS1_11comp_targetILNS1_3genE8ELNS1_11target_archE1030ELNS1_3gpuE2ELNS1_3repE0EEENS1_30default_config_static_selectorELNS0_4arch9wavefront6targetE1EEEvT1_
                                        ; -- End function
	.set _ZN7rocprim17ROCPRIM_400000_NS6detail17trampoline_kernelINS0_14default_configENS1_25partition_config_selectorILNS1_17partition_subalgoE9EllbEEZZNS1_14partition_implILS5_9ELb0ES3_jPlS8_PNS0_10empty_typeENS0_5tupleIJS8_S9_EEENSB_IJS8_SA_EEENS0_18inequality_wrapperIZN2at6native12_GLOBAL__N_124unique_dim_cuda_templateIiEESt5tupleIJNSF_6TensorESK_SK_EERKSK_lbbbEUlllE0_EEPmJS9_EEE10hipError_tPvRmT3_T4_T5_T6_T7_T9_mT8_P12ihipStream_tbDpT10_ENKUlT_T0_E_clISt17integral_constantIbLb1EES1A_EEDaS15_S16_EUlS15_E_NS1_11comp_targetILNS1_3genE8ELNS1_11target_archE1030ELNS1_3gpuE2ELNS1_3repE0EEENS1_30default_config_static_selectorELNS0_4arch9wavefront6targetE1EEEvT1_.num_vgpr, 0
	.set _ZN7rocprim17ROCPRIM_400000_NS6detail17trampoline_kernelINS0_14default_configENS1_25partition_config_selectorILNS1_17partition_subalgoE9EllbEEZZNS1_14partition_implILS5_9ELb0ES3_jPlS8_PNS0_10empty_typeENS0_5tupleIJS8_S9_EEENSB_IJS8_SA_EEENS0_18inequality_wrapperIZN2at6native12_GLOBAL__N_124unique_dim_cuda_templateIiEESt5tupleIJNSF_6TensorESK_SK_EERKSK_lbbbEUlllE0_EEPmJS9_EEE10hipError_tPvRmT3_T4_T5_T6_T7_T9_mT8_P12ihipStream_tbDpT10_ENKUlT_T0_E_clISt17integral_constantIbLb1EES1A_EEDaS15_S16_EUlS15_E_NS1_11comp_targetILNS1_3genE8ELNS1_11target_archE1030ELNS1_3gpuE2ELNS1_3repE0EEENS1_30default_config_static_selectorELNS0_4arch9wavefront6targetE1EEEvT1_.num_agpr, 0
	.set _ZN7rocprim17ROCPRIM_400000_NS6detail17trampoline_kernelINS0_14default_configENS1_25partition_config_selectorILNS1_17partition_subalgoE9EllbEEZZNS1_14partition_implILS5_9ELb0ES3_jPlS8_PNS0_10empty_typeENS0_5tupleIJS8_S9_EEENSB_IJS8_SA_EEENS0_18inequality_wrapperIZN2at6native12_GLOBAL__N_124unique_dim_cuda_templateIiEESt5tupleIJNSF_6TensorESK_SK_EERKSK_lbbbEUlllE0_EEPmJS9_EEE10hipError_tPvRmT3_T4_T5_T6_T7_T9_mT8_P12ihipStream_tbDpT10_ENKUlT_T0_E_clISt17integral_constantIbLb1EES1A_EEDaS15_S16_EUlS15_E_NS1_11comp_targetILNS1_3genE8ELNS1_11target_archE1030ELNS1_3gpuE2ELNS1_3repE0EEENS1_30default_config_static_selectorELNS0_4arch9wavefront6targetE1EEEvT1_.numbered_sgpr, 0
	.set _ZN7rocprim17ROCPRIM_400000_NS6detail17trampoline_kernelINS0_14default_configENS1_25partition_config_selectorILNS1_17partition_subalgoE9EllbEEZZNS1_14partition_implILS5_9ELb0ES3_jPlS8_PNS0_10empty_typeENS0_5tupleIJS8_S9_EEENSB_IJS8_SA_EEENS0_18inequality_wrapperIZN2at6native12_GLOBAL__N_124unique_dim_cuda_templateIiEESt5tupleIJNSF_6TensorESK_SK_EERKSK_lbbbEUlllE0_EEPmJS9_EEE10hipError_tPvRmT3_T4_T5_T6_T7_T9_mT8_P12ihipStream_tbDpT10_ENKUlT_T0_E_clISt17integral_constantIbLb1EES1A_EEDaS15_S16_EUlS15_E_NS1_11comp_targetILNS1_3genE8ELNS1_11target_archE1030ELNS1_3gpuE2ELNS1_3repE0EEENS1_30default_config_static_selectorELNS0_4arch9wavefront6targetE1EEEvT1_.num_named_barrier, 0
	.set _ZN7rocprim17ROCPRIM_400000_NS6detail17trampoline_kernelINS0_14default_configENS1_25partition_config_selectorILNS1_17partition_subalgoE9EllbEEZZNS1_14partition_implILS5_9ELb0ES3_jPlS8_PNS0_10empty_typeENS0_5tupleIJS8_S9_EEENSB_IJS8_SA_EEENS0_18inequality_wrapperIZN2at6native12_GLOBAL__N_124unique_dim_cuda_templateIiEESt5tupleIJNSF_6TensorESK_SK_EERKSK_lbbbEUlllE0_EEPmJS9_EEE10hipError_tPvRmT3_T4_T5_T6_T7_T9_mT8_P12ihipStream_tbDpT10_ENKUlT_T0_E_clISt17integral_constantIbLb1EES1A_EEDaS15_S16_EUlS15_E_NS1_11comp_targetILNS1_3genE8ELNS1_11target_archE1030ELNS1_3gpuE2ELNS1_3repE0EEENS1_30default_config_static_selectorELNS0_4arch9wavefront6targetE1EEEvT1_.private_seg_size, 0
	.set _ZN7rocprim17ROCPRIM_400000_NS6detail17trampoline_kernelINS0_14default_configENS1_25partition_config_selectorILNS1_17partition_subalgoE9EllbEEZZNS1_14partition_implILS5_9ELb0ES3_jPlS8_PNS0_10empty_typeENS0_5tupleIJS8_S9_EEENSB_IJS8_SA_EEENS0_18inequality_wrapperIZN2at6native12_GLOBAL__N_124unique_dim_cuda_templateIiEESt5tupleIJNSF_6TensorESK_SK_EERKSK_lbbbEUlllE0_EEPmJS9_EEE10hipError_tPvRmT3_T4_T5_T6_T7_T9_mT8_P12ihipStream_tbDpT10_ENKUlT_T0_E_clISt17integral_constantIbLb1EES1A_EEDaS15_S16_EUlS15_E_NS1_11comp_targetILNS1_3genE8ELNS1_11target_archE1030ELNS1_3gpuE2ELNS1_3repE0EEENS1_30default_config_static_selectorELNS0_4arch9wavefront6targetE1EEEvT1_.uses_vcc, 0
	.set _ZN7rocprim17ROCPRIM_400000_NS6detail17trampoline_kernelINS0_14default_configENS1_25partition_config_selectorILNS1_17partition_subalgoE9EllbEEZZNS1_14partition_implILS5_9ELb0ES3_jPlS8_PNS0_10empty_typeENS0_5tupleIJS8_S9_EEENSB_IJS8_SA_EEENS0_18inequality_wrapperIZN2at6native12_GLOBAL__N_124unique_dim_cuda_templateIiEESt5tupleIJNSF_6TensorESK_SK_EERKSK_lbbbEUlllE0_EEPmJS9_EEE10hipError_tPvRmT3_T4_T5_T6_T7_T9_mT8_P12ihipStream_tbDpT10_ENKUlT_T0_E_clISt17integral_constantIbLb1EES1A_EEDaS15_S16_EUlS15_E_NS1_11comp_targetILNS1_3genE8ELNS1_11target_archE1030ELNS1_3gpuE2ELNS1_3repE0EEENS1_30default_config_static_selectorELNS0_4arch9wavefront6targetE1EEEvT1_.uses_flat_scratch, 0
	.set _ZN7rocprim17ROCPRIM_400000_NS6detail17trampoline_kernelINS0_14default_configENS1_25partition_config_selectorILNS1_17partition_subalgoE9EllbEEZZNS1_14partition_implILS5_9ELb0ES3_jPlS8_PNS0_10empty_typeENS0_5tupleIJS8_S9_EEENSB_IJS8_SA_EEENS0_18inequality_wrapperIZN2at6native12_GLOBAL__N_124unique_dim_cuda_templateIiEESt5tupleIJNSF_6TensorESK_SK_EERKSK_lbbbEUlllE0_EEPmJS9_EEE10hipError_tPvRmT3_T4_T5_T6_T7_T9_mT8_P12ihipStream_tbDpT10_ENKUlT_T0_E_clISt17integral_constantIbLb1EES1A_EEDaS15_S16_EUlS15_E_NS1_11comp_targetILNS1_3genE8ELNS1_11target_archE1030ELNS1_3gpuE2ELNS1_3repE0EEENS1_30default_config_static_selectorELNS0_4arch9wavefront6targetE1EEEvT1_.has_dyn_sized_stack, 0
	.set _ZN7rocprim17ROCPRIM_400000_NS6detail17trampoline_kernelINS0_14default_configENS1_25partition_config_selectorILNS1_17partition_subalgoE9EllbEEZZNS1_14partition_implILS5_9ELb0ES3_jPlS8_PNS0_10empty_typeENS0_5tupleIJS8_S9_EEENSB_IJS8_SA_EEENS0_18inequality_wrapperIZN2at6native12_GLOBAL__N_124unique_dim_cuda_templateIiEESt5tupleIJNSF_6TensorESK_SK_EERKSK_lbbbEUlllE0_EEPmJS9_EEE10hipError_tPvRmT3_T4_T5_T6_T7_T9_mT8_P12ihipStream_tbDpT10_ENKUlT_T0_E_clISt17integral_constantIbLb1EES1A_EEDaS15_S16_EUlS15_E_NS1_11comp_targetILNS1_3genE8ELNS1_11target_archE1030ELNS1_3gpuE2ELNS1_3repE0EEENS1_30default_config_static_selectorELNS0_4arch9wavefront6targetE1EEEvT1_.has_recursion, 0
	.set _ZN7rocprim17ROCPRIM_400000_NS6detail17trampoline_kernelINS0_14default_configENS1_25partition_config_selectorILNS1_17partition_subalgoE9EllbEEZZNS1_14partition_implILS5_9ELb0ES3_jPlS8_PNS0_10empty_typeENS0_5tupleIJS8_S9_EEENSB_IJS8_SA_EEENS0_18inequality_wrapperIZN2at6native12_GLOBAL__N_124unique_dim_cuda_templateIiEESt5tupleIJNSF_6TensorESK_SK_EERKSK_lbbbEUlllE0_EEPmJS9_EEE10hipError_tPvRmT3_T4_T5_T6_T7_T9_mT8_P12ihipStream_tbDpT10_ENKUlT_T0_E_clISt17integral_constantIbLb1EES1A_EEDaS15_S16_EUlS15_E_NS1_11comp_targetILNS1_3genE8ELNS1_11target_archE1030ELNS1_3gpuE2ELNS1_3repE0EEENS1_30default_config_static_selectorELNS0_4arch9wavefront6targetE1EEEvT1_.has_indirect_call, 0
	.section	.AMDGPU.csdata,"",@progbits
; Kernel info:
; codeLenInByte = 0
; TotalNumSgprs: 6
; NumVgprs: 0
; NumAgprs: 0
; TotalNumVgprs: 0
; ScratchSize: 0
; MemoryBound: 0
; FloatMode: 240
; IeeeMode: 1
; LDSByteSize: 0 bytes/workgroup (compile time only)
; SGPRBlocks: 0
; VGPRBlocks: 0
; NumSGPRsForWavesPerEU: 6
; NumVGPRsForWavesPerEU: 1
; AccumOffset: 4
; Occupancy: 8
; WaveLimiterHint : 0
; COMPUTE_PGM_RSRC2:SCRATCH_EN: 0
; COMPUTE_PGM_RSRC2:USER_SGPR: 2
; COMPUTE_PGM_RSRC2:TRAP_HANDLER: 0
; COMPUTE_PGM_RSRC2:TGID_X_EN: 1
; COMPUTE_PGM_RSRC2:TGID_Y_EN: 0
; COMPUTE_PGM_RSRC2:TGID_Z_EN: 0
; COMPUTE_PGM_RSRC2:TIDIG_COMP_CNT: 0
; COMPUTE_PGM_RSRC3_GFX90A:ACCUM_OFFSET: 0
; COMPUTE_PGM_RSRC3_GFX90A:TG_SPLIT: 0
	.section	.text._ZN7rocprim17ROCPRIM_400000_NS6detail17trampoline_kernelINS0_14default_configENS1_25partition_config_selectorILNS1_17partition_subalgoE9EllbEEZZNS1_14partition_implILS5_9ELb0ES3_jPlS8_PNS0_10empty_typeENS0_5tupleIJS8_S9_EEENSB_IJS8_SA_EEENS0_18inequality_wrapperIZN2at6native12_GLOBAL__N_124unique_dim_cuda_templateIiEESt5tupleIJNSF_6TensorESK_SK_EERKSK_lbbbEUlllE0_EEPmJS9_EEE10hipError_tPvRmT3_T4_T5_T6_T7_T9_mT8_P12ihipStream_tbDpT10_ENKUlT_T0_E_clISt17integral_constantIbLb1EES19_IbLb0EEEEDaS15_S16_EUlS15_E_NS1_11comp_targetILNS1_3genE0ELNS1_11target_archE4294967295ELNS1_3gpuE0ELNS1_3repE0EEENS1_30default_config_static_selectorELNS0_4arch9wavefront6targetE1EEEvT1_,"axG",@progbits,_ZN7rocprim17ROCPRIM_400000_NS6detail17trampoline_kernelINS0_14default_configENS1_25partition_config_selectorILNS1_17partition_subalgoE9EllbEEZZNS1_14partition_implILS5_9ELb0ES3_jPlS8_PNS0_10empty_typeENS0_5tupleIJS8_S9_EEENSB_IJS8_SA_EEENS0_18inequality_wrapperIZN2at6native12_GLOBAL__N_124unique_dim_cuda_templateIiEESt5tupleIJNSF_6TensorESK_SK_EERKSK_lbbbEUlllE0_EEPmJS9_EEE10hipError_tPvRmT3_T4_T5_T6_T7_T9_mT8_P12ihipStream_tbDpT10_ENKUlT_T0_E_clISt17integral_constantIbLb1EES19_IbLb0EEEEDaS15_S16_EUlS15_E_NS1_11comp_targetILNS1_3genE0ELNS1_11target_archE4294967295ELNS1_3gpuE0ELNS1_3repE0EEENS1_30default_config_static_selectorELNS0_4arch9wavefront6targetE1EEEvT1_,comdat
	.globl	_ZN7rocprim17ROCPRIM_400000_NS6detail17trampoline_kernelINS0_14default_configENS1_25partition_config_selectorILNS1_17partition_subalgoE9EllbEEZZNS1_14partition_implILS5_9ELb0ES3_jPlS8_PNS0_10empty_typeENS0_5tupleIJS8_S9_EEENSB_IJS8_SA_EEENS0_18inequality_wrapperIZN2at6native12_GLOBAL__N_124unique_dim_cuda_templateIiEESt5tupleIJNSF_6TensorESK_SK_EERKSK_lbbbEUlllE0_EEPmJS9_EEE10hipError_tPvRmT3_T4_T5_T6_T7_T9_mT8_P12ihipStream_tbDpT10_ENKUlT_T0_E_clISt17integral_constantIbLb1EES19_IbLb0EEEEDaS15_S16_EUlS15_E_NS1_11comp_targetILNS1_3genE0ELNS1_11target_archE4294967295ELNS1_3gpuE0ELNS1_3repE0EEENS1_30default_config_static_selectorELNS0_4arch9wavefront6targetE1EEEvT1_ ; -- Begin function _ZN7rocprim17ROCPRIM_400000_NS6detail17trampoline_kernelINS0_14default_configENS1_25partition_config_selectorILNS1_17partition_subalgoE9EllbEEZZNS1_14partition_implILS5_9ELb0ES3_jPlS8_PNS0_10empty_typeENS0_5tupleIJS8_S9_EEENSB_IJS8_SA_EEENS0_18inequality_wrapperIZN2at6native12_GLOBAL__N_124unique_dim_cuda_templateIiEESt5tupleIJNSF_6TensorESK_SK_EERKSK_lbbbEUlllE0_EEPmJS9_EEE10hipError_tPvRmT3_T4_T5_T6_T7_T9_mT8_P12ihipStream_tbDpT10_ENKUlT_T0_E_clISt17integral_constantIbLb1EES19_IbLb0EEEEDaS15_S16_EUlS15_E_NS1_11comp_targetILNS1_3genE0ELNS1_11target_archE4294967295ELNS1_3gpuE0ELNS1_3repE0EEENS1_30default_config_static_selectorELNS0_4arch9wavefront6targetE1EEEvT1_
	.p2align	8
	.type	_ZN7rocprim17ROCPRIM_400000_NS6detail17trampoline_kernelINS0_14default_configENS1_25partition_config_selectorILNS1_17partition_subalgoE9EllbEEZZNS1_14partition_implILS5_9ELb0ES3_jPlS8_PNS0_10empty_typeENS0_5tupleIJS8_S9_EEENSB_IJS8_SA_EEENS0_18inequality_wrapperIZN2at6native12_GLOBAL__N_124unique_dim_cuda_templateIiEESt5tupleIJNSF_6TensorESK_SK_EERKSK_lbbbEUlllE0_EEPmJS9_EEE10hipError_tPvRmT3_T4_T5_T6_T7_T9_mT8_P12ihipStream_tbDpT10_ENKUlT_T0_E_clISt17integral_constantIbLb1EES19_IbLb0EEEEDaS15_S16_EUlS15_E_NS1_11comp_targetILNS1_3genE0ELNS1_11target_archE4294967295ELNS1_3gpuE0ELNS1_3repE0EEENS1_30default_config_static_selectorELNS0_4arch9wavefront6targetE1EEEvT1_,@function
_ZN7rocprim17ROCPRIM_400000_NS6detail17trampoline_kernelINS0_14default_configENS1_25partition_config_selectorILNS1_17partition_subalgoE9EllbEEZZNS1_14partition_implILS5_9ELb0ES3_jPlS8_PNS0_10empty_typeENS0_5tupleIJS8_S9_EEENSB_IJS8_SA_EEENS0_18inequality_wrapperIZN2at6native12_GLOBAL__N_124unique_dim_cuda_templateIiEESt5tupleIJNSF_6TensorESK_SK_EERKSK_lbbbEUlllE0_EEPmJS9_EEE10hipError_tPvRmT3_T4_T5_T6_T7_T9_mT8_P12ihipStream_tbDpT10_ENKUlT_T0_E_clISt17integral_constantIbLb1EES19_IbLb0EEEEDaS15_S16_EUlS15_E_NS1_11comp_targetILNS1_3genE0ELNS1_11target_archE4294967295ELNS1_3gpuE0ELNS1_3repE0EEENS1_30default_config_static_selectorELNS0_4arch9wavefront6targetE1EEEvT1_: ; @_ZN7rocprim17ROCPRIM_400000_NS6detail17trampoline_kernelINS0_14default_configENS1_25partition_config_selectorILNS1_17partition_subalgoE9EllbEEZZNS1_14partition_implILS5_9ELb0ES3_jPlS8_PNS0_10empty_typeENS0_5tupleIJS8_S9_EEENSB_IJS8_SA_EEENS0_18inequality_wrapperIZN2at6native12_GLOBAL__N_124unique_dim_cuda_templateIiEESt5tupleIJNSF_6TensorESK_SK_EERKSK_lbbbEUlllE0_EEPmJS9_EEE10hipError_tPvRmT3_T4_T5_T6_T7_T9_mT8_P12ihipStream_tbDpT10_ENKUlT_T0_E_clISt17integral_constantIbLb1EES19_IbLb0EEEEDaS15_S16_EUlS15_E_NS1_11comp_targetILNS1_3genE0ELNS1_11target_archE4294967295ELNS1_3gpuE0ELNS1_3repE0EEENS1_30default_config_static_selectorELNS0_4arch9wavefront6targetE1EEEvT1_
; %bb.0:
	s_endpgm
	.section	.rodata,"a",@progbits
	.p2align	6, 0x0
	.amdhsa_kernel _ZN7rocprim17ROCPRIM_400000_NS6detail17trampoline_kernelINS0_14default_configENS1_25partition_config_selectorILNS1_17partition_subalgoE9EllbEEZZNS1_14partition_implILS5_9ELb0ES3_jPlS8_PNS0_10empty_typeENS0_5tupleIJS8_S9_EEENSB_IJS8_SA_EEENS0_18inequality_wrapperIZN2at6native12_GLOBAL__N_124unique_dim_cuda_templateIiEESt5tupleIJNSF_6TensorESK_SK_EERKSK_lbbbEUlllE0_EEPmJS9_EEE10hipError_tPvRmT3_T4_T5_T6_T7_T9_mT8_P12ihipStream_tbDpT10_ENKUlT_T0_E_clISt17integral_constantIbLb1EES19_IbLb0EEEEDaS15_S16_EUlS15_E_NS1_11comp_targetILNS1_3genE0ELNS1_11target_archE4294967295ELNS1_3gpuE0ELNS1_3repE0EEENS1_30default_config_static_selectorELNS0_4arch9wavefront6targetE1EEEvT1_
		.amdhsa_group_segment_fixed_size 0
		.amdhsa_private_segment_fixed_size 0
		.amdhsa_kernarg_size 120
		.amdhsa_user_sgpr_count 2
		.amdhsa_user_sgpr_dispatch_ptr 0
		.amdhsa_user_sgpr_queue_ptr 0
		.amdhsa_user_sgpr_kernarg_segment_ptr 1
		.amdhsa_user_sgpr_dispatch_id 0
		.amdhsa_user_sgpr_kernarg_preload_length 0
		.amdhsa_user_sgpr_kernarg_preload_offset 0
		.amdhsa_user_sgpr_private_segment_size 0
		.amdhsa_uses_dynamic_stack 0
		.amdhsa_enable_private_segment 0
		.amdhsa_system_sgpr_workgroup_id_x 1
		.amdhsa_system_sgpr_workgroup_id_y 0
		.amdhsa_system_sgpr_workgroup_id_z 0
		.amdhsa_system_sgpr_workgroup_info 0
		.amdhsa_system_vgpr_workitem_id 0
		.amdhsa_next_free_vgpr 1
		.amdhsa_next_free_sgpr 0
		.amdhsa_accum_offset 4
		.amdhsa_reserve_vcc 0
		.amdhsa_float_round_mode_32 0
		.amdhsa_float_round_mode_16_64 0
		.amdhsa_float_denorm_mode_32 3
		.amdhsa_float_denorm_mode_16_64 3
		.amdhsa_dx10_clamp 1
		.amdhsa_ieee_mode 1
		.amdhsa_fp16_overflow 0
		.amdhsa_tg_split 0
		.amdhsa_exception_fp_ieee_invalid_op 0
		.amdhsa_exception_fp_denorm_src 0
		.amdhsa_exception_fp_ieee_div_zero 0
		.amdhsa_exception_fp_ieee_overflow 0
		.amdhsa_exception_fp_ieee_underflow 0
		.amdhsa_exception_fp_ieee_inexact 0
		.amdhsa_exception_int_div_zero 0
	.end_amdhsa_kernel
	.section	.text._ZN7rocprim17ROCPRIM_400000_NS6detail17trampoline_kernelINS0_14default_configENS1_25partition_config_selectorILNS1_17partition_subalgoE9EllbEEZZNS1_14partition_implILS5_9ELb0ES3_jPlS8_PNS0_10empty_typeENS0_5tupleIJS8_S9_EEENSB_IJS8_SA_EEENS0_18inequality_wrapperIZN2at6native12_GLOBAL__N_124unique_dim_cuda_templateIiEESt5tupleIJNSF_6TensorESK_SK_EERKSK_lbbbEUlllE0_EEPmJS9_EEE10hipError_tPvRmT3_T4_T5_T6_T7_T9_mT8_P12ihipStream_tbDpT10_ENKUlT_T0_E_clISt17integral_constantIbLb1EES19_IbLb0EEEEDaS15_S16_EUlS15_E_NS1_11comp_targetILNS1_3genE0ELNS1_11target_archE4294967295ELNS1_3gpuE0ELNS1_3repE0EEENS1_30default_config_static_selectorELNS0_4arch9wavefront6targetE1EEEvT1_,"axG",@progbits,_ZN7rocprim17ROCPRIM_400000_NS6detail17trampoline_kernelINS0_14default_configENS1_25partition_config_selectorILNS1_17partition_subalgoE9EllbEEZZNS1_14partition_implILS5_9ELb0ES3_jPlS8_PNS0_10empty_typeENS0_5tupleIJS8_S9_EEENSB_IJS8_SA_EEENS0_18inequality_wrapperIZN2at6native12_GLOBAL__N_124unique_dim_cuda_templateIiEESt5tupleIJNSF_6TensorESK_SK_EERKSK_lbbbEUlllE0_EEPmJS9_EEE10hipError_tPvRmT3_T4_T5_T6_T7_T9_mT8_P12ihipStream_tbDpT10_ENKUlT_T0_E_clISt17integral_constantIbLb1EES19_IbLb0EEEEDaS15_S16_EUlS15_E_NS1_11comp_targetILNS1_3genE0ELNS1_11target_archE4294967295ELNS1_3gpuE0ELNS1_3repE0EEENS1_30default_config_static_selectorELNS0_4arch9wavefront6targetE1EEEvT1_,comdat
.Lfunc_end489:
	.size	_ZN7rocprim17ROCPRIM_400000_NS6detail17trampoline_kernelINS0_14default_configENS1_25partition_config_selectorILNS1_17partition_subalgoE9EllbEEZZNS1_14partition_implILS5_9ELb0ES3_jPlS8_PNS0_10empty_typeENS0_5tupleIJS8_S9_EEENSB_IJS8_SA_EEENS0_18inequality_wrapperIZN2at6native12_GLOBAL__N_124unique_dim_cuda_templateIiEESt5tupleIJNSF_6TensorESK_SK_EERKSK_lbbbEUlllE0_EEPmJS9_EEE10hipError_tPvRmT3_T4_T5_T6_T7_T9_mT8_P12ihipStream_tbDpT10_ENKUlT_T0_E_clISt17integral_constantIbLb1EES19_IbLb0EEEEDaS15_S16_EUlS15_E_NS1_11comp_targetILNS1_3genE0ELNS1_11target_archE4294967295ELNS1_3gpuE0ELNS1_3repE0EEENS1_30default_config_static_selectorELNS0_4arch9wavefront6targetE1EEEvT1_, .Lfunc_end489-_ZN7rocprim17ROCPRIM_400000_NS6detail17trampoline_kernelINS0_14default_configENS1_25partition_config_selectorILNS1_17partition_subalgoE9EllbEEZZNS1_14partition_implILS5_9ELb0ES3_jPlS8_PNS0_10empty_typeENS0_5tupleIJS8_S9_EEENSB_IJS8_SA_EEENS0_18inequality_wrapperIZN2at6native12_GLOBAL__N_124unique_dim_cuda_templateIiEESt5tupleIJNSF_6TensorESK_SK_EERKSK_lbbbEUlllE0_EEPmJS9_EEE10hipError_tPvRmT3_T4_T5_T6_T7_T9_mT8_P12ihipStream_tbDpT10_ENKUlT_T0_E_clISt17integral_constantIbLb1EES19_IbLb0EEEEDaS15_S16_EUlS15_E_NS1_11comp_targetILNS1_3genE0ELNS1_11target_archE4294967295ELNS1_3gpuE0ELNS1_3repE0EEENS1_30default_config_static_selectorELNS0_4arch9wavefront6targetE1EEEvT1_
                                        ; -- End function
	.set _ZN7rocprim17ROCPRIM_400000_NS6detail17trampoline_kernelINS0_14default_configENS1_25partition_config_selectorILNS1_17partition_subalgoE9EllbEEZZNS1_14partition_implILS5_9ELb0ES3_jPlS8_PNS0_10empty_typeENS0_5tupleIJS8_S9_EEENSB_IJS8_SA_EEENS0_18inequality_wrapperIZN2at6native12_GLOBAL__N_124unique_dim_cuda_templateIiEESt5tupleIJNSF_6TensorESK_SK_EERKSK_lbbbEUlllE0_EEPmJS9_EEE10hipError_tPvRmT3_T4_T5_T6_T7_T9_mT8_P12ihipStream_tbDpT10_ENKUlT_T0_E_clISt17integral_constantIbLb1EES19_IbLb0EEEEDaS15_S16_EUlS15_E_NS1_11comp_targetILNS1_3genE0ELNS1_11target_archE4294967295ELNS1_3gpuE0ELNS1_3repE0EEENS1_30default_config_static_selectorELNS0_4arch9wavefront6targetE1EEEvT1_.num_vgpr, 0
	.set _ZN7rocprim17ROCPRIM_400000_NS6detail17trampoline_kernelINS0_14default_configENS1_25partition_config_selectorILNS1_17partition_subalgoE9EllbEEZZNS1_14partition_implILS5_9ELb0ES3_jPlS8_PNS0_10empty_typeENS0_5tupleIJS8_S9_EEENSB_IJS8_SA_EEENS0_18inequality_wrapperIZN2at6native12_GLOBAL__N_124unique_dim_cuda_templateIiEESt5tupleIJNSF_6TensorESK_SK_EERKSK_lbbbEUlllE0_EEPmJS9_EEE10hipError_tPvRmT3_T4_T5_T6_T7_T9_mT8_P12ihipStream_tbDpT10_ENKUlT_T0_E_clISt17integral_constantIbLb1EES19_IbLb0EEEEDaS15_S16_EUlS15_E_NS1_11comp_targetILNS1_3genE0ELNS1_11target_archE4294967295ELNS1_3gpuE0ELNS1_3repE0EEENS1_30default_config_static_selectorELNS0_4arch9wavefront6targetE1EEEvT1_.num_agpr, 0
	.set _ZN7rocprim17ROCPRIM_400000_NS6detail17trampoline_kernelINS0_14default_configENS1_25partition_config_selectorILNS1_17partition_subalgoE9EllbEEZZNS1_14partition_implILS5_9ELb0ES3_jPlS8_PNS0_10empty_typeENS0_5tupleIJS8_S9_EEENSB_IJS8_SA_EEENS0_18inequality_wrapperIZN2at6native12_GLOBAL__N_124unique_dim_cuda_templateIiEESt5tupleIJNSF_6TensorESK_SK_EERKSK_lbbbEUlllE0_EEPmJS9_EEE10hipError_tPvRmT3_T4_T5_T6_T7_T9_mT8_P12ihipStream_tbDpT10_ENKUlT_T0_E_clISt17integral_constantIbLb1EES19_IbLb0EEEEDaS15_S16_EUlS15_E_NS1_11comp_targetILNS1_3genE0ELNS1_11target_archE4294967295ELNS1_3gpuE0ELNS1_3repE0EEENS1_30default_config_static_selectorELNS0_4arch9wavefront6targetE1EEEvT1_.numbered_sgpr, 0
	.set _ZN7rocprim17ROCPRIM_400000_NS6detail17trampoline_kernelINS0_14default_configENS1_25partition_config_selectorILNS1_17partition_subalgoE9EllbEEZZNS1_14partition_implILS5_9ELb0ES3_jPlS8_PNS0_10empty_typeENS0_5tupleIJS8_S9_EEENSB_IJS8_SA_EEENS0_18inequality_wrapperIZN2at6native12_GLOBAL__N_124unique_dim_cuda_templateIiEESt5tupleIJNSF_6TensorESK_SK_EERKSK_lbbbEUlllE0_EEPmJS9_EEE10hipError_tPvRmT3_T4_T5_T6_T7_T9_mT8_P12ihipStream_tbDpT10_ENKUlT_T0_E_clISt17integral_constantIbLb1EES19_IbLb0EEEEDaS15_S16_EUlS15_E_NS1_11comp_targetILNS1_3genE0ELNS1_11target_archE4294967295ELNS1_3gpuE0ELNS1_3repE0EEENS1_30default_config_static_selectorELNS0_4arch9wavefront6targetE1EEEvT1_.num_named_barrier, 0
	.set _ZN7rocprim17ROCPRIM_400000_NS6detail17trampoline_kernelINS0_14default_configENS1_25partition_config_selectorILNS1_17partition_subalgoE9EllbEEZZNS1_14partition_implILS5_9ELb0ES3_jPlS8_PNS0_10empty_typeENS0_5tupleIJS8_S9_EEENSB_IJS8_SA_EEENS0_18inequality_wrapperIZN2at6native12_GLOBAL__N_124unique_dim_cuda_templateIiEESt5tupleIJNSF_6TensorESK_SK_EERKSK_lbbbEUlllE0_EEPmJS9_EEE10hipError_tPvRmT3_T4_T5_T6_T7_T9_mT8_P12ihipStream_tbDpT10_ENKUlT_T0_E_clISt17integral_constantIbLb1EES19_IbLb0EEEEDaS15_S16_EUlS15_E_NS1_11comp_targetILNS1_3genE0ELNS1_11target_archE4294967295ELNS1_3gpuE0ELNS1_3repE0EEENS1_30default_config_static_selectorELNS0_4arch9wavefront6targetE1EEEvT1_.private_seg_size, 0
	.set _ZN7rocprim17ROCPRIM_400000_NS6detail17trampoline_kernelINS0_14default_configENS1_25partition_config_selectorILNS1_17partition_subalgoE9EllbEEZZNS1_14partition_implILS5_9ELb0ES3_jPlS8_PNS0_10empty_typeENS0_5tupleIJS8_S9_EEENSB_IJS8_SA_EEENS0_18inequality_wrapperIZN2at6native12_GLOBAL__N_124unique_dim_cuda_templateIiEESt5tupleIJNSF_6TensorESK_SK_EERKSK_lbbbEUlllE0_EEPmJS9_EEE10hipError_tPvRmT3_T4_T5_T6_T7_T9_mT8_P12ihipStream_tbDpT10_ENKUlT_T0_E_clISt17integral_constantIbLb1EES19_IbLb0EEEEDaS15_S16_EUlS15_E_NS1_11comp_targetILNS1_3genE0ELNS1_11target_archE4294967295ELNS1_3gpuE0ELNS1_3repE0EEENS1_30default_config_static_selectorELNS0_4arch9wavefront6targetE1EEEvT1_.uses_vcc, 0
	.set _ZN7rocprim17ROCPRIM_400000_NS6detail17trampoline_kernelINS0_14default_configENS1_25partition_config_selectorILNS1_17partition_subalgoE9EllbEEZZNS1_14partition_implILS5_9ELb0ES3_jPlS8_PNS0_10empty_typeENS0_5tupleIJS8_S9_EEENSB_IJS8_SA_EEENS0_18inequality_wrapperIZN2at6native12_GLOBAL__N_124unique_dim_cuda_templateIiEESt5tupleIJNSF_6TensorESK_SK_EERKSK_lbbbEUlllE0_EEPmJS9_EEE10hipError_tPvRmT3_T4_T5_T6_T7_T9_mT8_P12ihipStream_tbDpT10_ENKUlT_T0_E_clISt17integral_constantIbLb1EES19_IbLb0EEEEDaS15_S16_EUlS15_E_NS1_11comp_targetILNS1_3genE0ELNS1_11target_archE4294967295ELNS1_3gpuE0ELNS1_3repE0EEENS1_30default_config_static_selectorELNS0_4arch9wavefront6targetE1EEEvT1_.uses_flat_scratch, 0
	.set _ZN7rocprim17ROCPRIM_400000_NS6detail17trampoline_kernelINS0_14default_configENS1_25partition_config_selectorILNS1_17partition_subalgoE9EllbEEZZNS1_14partition_implILS5_9ELb0ES3_jPlS8_PNS0_10empty_typeENS0_5tupleIJS8_S9_EEENSB_IJS8_SA_EEENS0_18inequality_wrapperIZN2at6native12_GLOBAL__N_124unique_dim_cuda_templateIiEESt5tupleIJNSF_6TensorESK_SK_EERKSK_lbbbEUlllE0_EEPmJS9_EEE10hipError_tPvRmT3_T4_T5_T6_T7_T9_mT8_P12ihipStream_tbDpT10_ENKUlT_T0_E_clISt17integral_constantIbLb1EES19_IbLb0EEEEDaS15_S16_EUlS15_E_NS1_11comp_targetILNS1_3genE0ELNS1_11target_archE4294967295ELNS1_3gpuE0ELNS1_3repE0EEENS1_30default_config_static_selectorELNS0_4arch9wavefront6targetE1EEEvT1_.has_dyn_sized_stack, 0
	.set _ZN7rocprim17ROCPRIM_400000_NS6detail17trampoline_kernelINS0_14default_configENS1_25partition_config_selectorILNS1_17partition_subalgoE9EllbEEZZNS1_14partition_implILS5_9ELb0ES3_jPlS8_PNS0_10empty_typeENS0_5tupleIJS8_S9_EEENSB_IJS8_SA_EEENS0_18inequality_wrapperIZN2at6native12_GLOBAL__N_124unique_dim_cuda_templateIiEESt5tupleIJNSF_6TensorESK_SK_EERKSK_lbbbEUlllE0_EEPmJS9_EEE10hipError_tPvRmT3_T4_T5_T6_T7_T9_mT8_P12ihipStream_tbDpT10_ENKUlT_T0_E_clISt17integral_constantIbLb1EES19_IbLb0EEEEDaS15_S16_EUlS15_E_NS1_11comp_targetILNS1_3genE0ELNS1_11target_archE4294967295ELNS1_3gpuE0ELNS1_3repE0EEENS1_30default_config_static_selectorELNS0_4arch9wavefront6targetE1EEEvT1_.has_recursion, 0
	.set _ZN7rocprim17ROCPRIM_400000_NS6detail17trampoline_kernelINS0_14default_configENS1_25partition_config_selectorILNS1_17partition_subalgoE9EllbEEZZNS1_14partition_implILS5_9ELb0ES3_jPlS8_PNS0_10empty_typeENS0_5tupleIJS8_S9_EEENSB_IJS8_SA_EEENS0_18inequality_wrapperIZN2at6native12_GLOBAL__N_124unique_dim_cuda_templateIiEESt5tupleIJNSF_6TensorESK_SK_EERKSK_lbbbEUlllE0_EEPmJS9_EEE10hipError_tPvRmT3_T4_T5_T6_T7_T9_mT8_P12ihipStream_tbDpT10_ENKUlT_T0_E_clISt17integral_constantIbLb1EES19_IbLb0EEEEDaS15_S16_EUlS15_E_NS1_11comp_targetILNS1_3genE0ELNS1_11target_archE4294967295ELNS1_3gpuE0ELNS1_3repE0EEENS1_30default_config_static_selectorELNS0_4arch9wavefront6targetE1EEEvT1_.has_indirect_call, 0
	.section	.AMDGPU.csdata,"",@progbits
; Kernel info:
; codeLenInByte = 4
; TotalNumSgprs: 6
; NumVgprs: 0
; NumAgprs: 0
; TotalNumVgprs: 0
; ScratchSize: 0
; MemoryBound: 0
; FloatMode: 240
; IeeeMode: 1
; LDSByteSize: 0 bytes/workgroup (compile time only)
; SGPRBlocks: 0
; VGPRBlocks: 0
; NumSGPRsForWavesPerEU: 6
; NumVGPRsForWavesPerEU: 1
; AccumOffset: 4
; Occupancy: 8
; WaveLimiterHint : 0
; COMPUTE_PGM_RSRC2:SCRATCH_EN: 0
; COMPUTE_PGM_RSRC2:USER_SGPR: 2
; COMPUTE_PGM_RSRC2:TRAP_HANDLER: 0
; COMPUTE_PGM_RSRC2:TGID_X_EN: 1
; COMPUTE_PGM_RSRC2:TGID_Y_EN: 0
; COMPUTE_PGM_RSRC2:TGID_Z_EN: 0
; COMPUTE_PGM_RSRC2:TIDIG_COMP_CNT: 0
; COMPUTE_PGM_RSRC3_GFX90A:ACCUM_OFFSET: 0
; COMPUTE_PGM_RSRC3_GFX90A:TG_SPLIT: 0
	.section	.text._ZN7rocprim17ROCPRIM_400000_NS6detail17trampoline_kernelINS0_14default_configENS1_25partition_config_selectorILNS1_17partition_subalgoE9EllbEEZZNS1_14partition_implILS5_9ELb0ES3_jPlS8_PNS0_10empty_typeENS0_5tupleIJS8_S9_EEENSB_IJS8_SA_EEENS0_18inequality_wrapperIZN2at6native12_GLOBAL__N_124unique_dim_cuda_templateIiEESt5tupleIJNSF_6TensorESK_SK_EERKSK_lbbbEUlllE0_EEPmJS9_EEE10hipError_tPvRmT3_T4_T5_T6_T7_T9_mT8_P12ihipStream_tbDpT10_ENKUlT_T0_E_clISt17integral_constantIbLb1EES19_IbLb0EEEEDaS15_S16_EUlS15_E_NS1_11comp_targetILNS1_3genE5ELNS1_11target_archE942ELNS1_3gpuE9ELNS1_3repE0EEENS1_30default_config_static_selectorELNS0_4arch9wavefront6targetE1EEEvT1_,"axG",@progbits,_ZN7rocprim17ROCPRIM_400000_NS6detail17trampoline_kernelINS0_14default_configENS1_25partition_config_selectorILNS1_17partition_subalgoE9EllbEEZZNS1_14partition_implILS5_9ELb0ES3_jPlS8_PNS0_10empty_typeENS0_5tupleIJS8_S9_EEENSB_IJS8_SA_EEENS0_18inequality_wrapperIZN2at6native12_GLOBAL__N_124unique_dim_cuda_templateIiEESt5tupleIJNSF_6TensorESK_SK_EERKSK_lbbbEUlllE0_EEPmJS9_EEE10hipError_tPvRmT3_T4_T5_T6_T7_T9_mT8_P12ihipStream_tbDpT10_ENKUlT_T0_E_clISt17integral_constantIbLb1EES19_IbLb0EEEEDaS15_S16_EUlS15_E_NS1_11comp_targetILNS1_3genE5ELNS1_11target_archE942ELNS1_3gpuE9ELNS1_3repE0EEENS1_30default_config_static_selectorELNS0_4arch9wavefront6targetE1EEEvT1_,comdat
	.globl	_ZN7rocprim17ROCPRIM_400000_NS6detail17trampoline_kernelINS0_14default_configENS1_25partition_config_selectorILNS1_17partition_subalgoE9EllbEEZZNS1_14partition_implILS5_9ELb0ES3_jPlS8_PNS0_10empty_typeENS0_5tupleIJS8_S9_EEENSB_IJS8_SA_EEENS0_18inequality_wrapperIZN2at6native12_GLOBAL__N_124unique_dim_cuda_templateIiEESt5tupleIJNSF_6TensorESK_SK_EERKSK_lbbbEUlllE0_EEPmJS9_EEE10hipError_tPvRmT3_T4_T5_T6_T7_T9_mT8_P12ihipStream_tbDpT10_ENKUlT_T0_E_clISt17integral_constantIbLb1EES19_IbLb0EEEEDaS15_S16_EUlS15_E_NS1_11comp_targetILNS1_3genE5ELNS1_11target_archE942ELNS1_3gpuE9ELNS1_3repE0EEENS1_30default_config_static_selectorELNS0_4arch9wavefront6targetE1EEEvT1_ ; -- Begin function _ZN7rocprim17ROCPRIM_400000_NS6detail17trampoline_kernelINS0_14default_configENS1_25partition_config_selectorILNS1_17partition_subalgoE9EllbEEZZNS1_14partition_implILS5_9ELb0ES3_jPlS8_PNS0_10empty_typeENS0_5tupleIJS8_S9_EEENSB_IJS8_SA_EEENS0_18inequality_wrapperIZN2at6native12_GLOBAL__N_124unique_dim_cuda_templateIiEESt5tupleIJNSF_6TensorESK_SK_EERKSK_lbbbEUlllE0_EEPmJS9_EEE10hipError_tPvRmT3_T4_T5_T6_T7_T9_mT8_P12ihipStream_tbDpT10_ENKUlT_T0_E_clISt17integral_constantIbLb1EES19_IbLb0EEEEDaS15_S16_EUlS15_E_NS1_11comp_targetILNS1_3genE5ELNS1_11target_archE942ELNS1_3gpuE9ELNS1_3repE0EEENS1_30default_config_static_selectorELNS0_4arch9wavefront6targetE1EEEvT1_
	.p2align	8
	.type	_ZN7rocprim17ROCPRIM_400000_NS6detail17trampoline_kernelINS0_14default_configENS1_25partition_config_selectorILNS1_17partition_subalgoE9EllbEEZZNS1_14partition_implILS5_9ELb0ES3_jPlS8_PNS0_10empty_typeENS0_5tupleIJS8_S9_EEENSB_IJS8_SA_EEENS0_18inequality_wrapperIZN2at6native12_GLOBAL__N_124unique_dim_cuda_templateIiEESt5tupleIJNSF_6TensorESK_SK_EERKSK_lbbbEUlllE0_EEPmJS9_EEE10hipError_tPvRmT3_T4_T5_T6_T7_T9_mT8_P12ihipStream_tbDpT10_ENKUlT_T0_E_clISt17integral_constantIbLb1EES19_IbLb0EEEEDaS15_S16_EUlS15_E_NS1_11comp_targetILNS1_3genE5ELNS1_11target_archE942ELNS1_3gpuE9ELNS1_3repE0EEENS1_30default_config_static_selectorELNS0_4arch9wavefront6targetE1EEEvT1_,@function
_ZN7rocprim17ROCPRIM_400000_NS6detail17trampoline_kernelINS0_14default_configENS1_25partition_config_selectorILNS1_17partition_subalgoE9EllbEEZZNS1_14partition_implILS5_9ELb0ES3_jPlS8_PNS0_10empty_typeENS0_5tupleIJS8_S9_EEENSB_IJS8_SA_EEENS0_18inequality_wrapperIZN2at6native12_GLOBAL__N_124unique_dim_cuda_templateIiEESt5tupleIJNSF_6TensorESK_SK_EERKSK_lbbbEUlllE0_EEPmJS9_EEE10hipError_tPvRmT3_T4_T5_T6_T7_T9_mT8_P12ihipStream_tbDpT10_ENKUlT_T0_E_clISt17integral_constantIbLb1EES19_IbLb0EEEEDaS15_S16_EUlS15_E_NS1_11comp_targetILNS1_3genE5ELNS1_11target_archE942ELNS1_3gpuE9ELNS1_3repE0EEENS1_30default_config_static_selectorELNS0_4arch9wavefront6targetE1EEEvT1_: ; @_ZN7rocprim17ROCPRIM_400000_NS6detail17trampoline_kernelINS0_14default_configENS1_25partition_config_selectorILNS1_17partition_subalgoE9EllbEEZZNS1_14partition_implILS5_9ELb0ES3_jPlS8_PNS0_10empty_typeENS0_5tupleIJS8_S9_EEENSB_IJS8_SA_EEENS0_18inequality_wrapperIZN2at6native12_GLOBAL__N_124unique_dim_cuda_templateIiEESt5tupleIJNSF_6TensorESK_SK_EERKSK_lbbbEUlllE0_EEPmJS9_EEE10hipError_tPvRmT3_T4_T5_T6_T7_T9_mT8_P12ihipStream_tbDpT10_ENKUlT_T0_E_clISt17integral_constantIbLb1EES19_IbLb0EEEEDaS15_S16_EUlS15_E_NS1_11comp_targetILNS1_3genE5ELNS1_11target_archE942ELNS1_3gpuE9ELNS1_3repE0EEENS1_30default_config_static_selectorELNS0_4arch9wavefront6targetE1EEEvT1_
; %bb.0:
	.section	.rodata,"a",@progbits
	.p2align	6, 0x0
	.amdhsa_kernel _ZN7rocprim17ROCPRIM_400000_NS6detail17trampoline_kernelINS0_14default_configENS1_25partition_config_selectorILNS1_17partition_subalgoE9EllbEEZZNS1_14partition_implILS5_9ELb0ES3_jPlS8_PNS0_10empty_typeENS0_5tupleIJS8_S9_EEENSB_IJS8_SA_EEENS0_18inequality_wrapperIZN2at6native12_GLOBAL__N_124unique_dim_cuda_templateIiEESt5tupleIJNSF_6TensorESK_SK_EERKSK_lbbbEUlllE0_EEPmJS9_EEE10hipError_tPvRmT3_T4_T5_T6_T7_T9_mT8_P12ihipStream_tbDpT10_ENKUlT_T0_E_clISt17integral_constantIbLb1EES19_IbLb0EEEEDaS15_S16_EUlS15_E_NS1_11comp_targetILNS1_3genE5ELNS1_11target_archE942ELNS1_3gpuE9ELNS1_3repE0EEENS1_30default_config_static_selectorELNS0_4arch9wavefront6targetE1EEEvT1_
		.amdhsa_group_segment_fixed_size 0
		.amdhsa_private_segment_fixed_size 0
		.amdhsa_kernarg_size 120
		.amdhsa_user_sgpr_count 2
		.amdhsa_user_sgpr_dispatch_ptr 0
		.amdhsa_user_sgpr_queue_ptr 0
		.amdhsa_user_sgpr_kernarg_segment_ptr 1
		.amdhsa_user_sgpr_dispatch_id 0
		.amdhsa_user_sgpr_kernarg_preload_length 0
		.amdhsa_user_sgpr_kernarg_preload_offset 0
		.amdhsa_user_sgpr_private_segment_size 0
		.amdhsa_uses_dynamic_stack 0
		.amdhsa_enable_private_segment 0
		.amdhsa_system_sgpr_workgroup_id_x 1
		.amdhsa_system_sgpr_workgroup_id_y 0
		.amdhsa_system_sgpr_workgroup_id_z 0
		.amdhsa_system_sgpr_workgroup_info 0
		.amdhsa_system_vgpr_workitem_id 0
		.amdhsa_next_free_vgpr 1
		.amdhsa_next_free_sgpr 0
		.amdhsa_accum_offset 4
		.amdhsa_reserve_vcc 0
		.amdhsa_float_round_mode_32 0
		.amdhsa_float_round_mode_16_64 0
		.amdhsa_float_denorm_mode_32 3
		.amdhsa_float_denorm_mode_16_64 3
		.amdhsa_dx10_clamp 1
		.amdhsa_ieee_mode 1
		.amdhsa_fp16_overflow 0
		.amdhsa_tg_split 0
		.amdhsa_exception_fp_ieee_invalid_op 0
		.amdhsa_exception_fp_denorm_src 0
		.amdhsa_exception_fp_ieee_div_zero 0
		.amdhsa_exception_fp_ieee_overflow 0
		.amdhsa_exception_fp_ieee_underflow 0
		.amdhsa_exception_fp_ieee_inexact 0
		.amdhsa_exception_int_div_zero 0
	.end_amdhsa_kernel
	.section	.text._ZN7rocprim17ROCPRIM_400000_NS6detail17trampoline_kernelINS0_14default_configENS1_25partition_config_selectorILNS1_17partition_subalgoE9EllbEEZZNS1_14partition_implILS5_9ELb0ES3_jPlS8_PNS0_10empty_typeENS0_5tupleIJS8_S9_EEENSB_IJS8_SA_EEENS0_18inequality_wrapperIZN2at6native12_GLOBAL__N_124unique_dim_cuda_templateIiEESt5tupleIJNSF_6TensorESK_SK_EERKSK_lbbbEUlllE0_EEPmJS9_EEE10hipError_tPvRmT3_T4_T5_T6_T7_T9_mT8_P12ihipStream_tbDpT10_ENKUlT_T0_E_clISt17integral_constantIbLb1EES19_IbLb0EEEEDaS15_S16_EUlS15_E_NS1_11comp_targetILNS1_3genE5ELNS1_11target_archE942ELNS1_3gpuE9ELNS1_3repE0EEENS1_30default_config_static_selectorELNS0_4arch9wavefront6targetE1EEEvT1_,"axG",@progbits,_ZN7rocprim17ROCPRIM_400000_NS6detail17trampoline_kernelINS0_14default_configENS1_25partition_config_selectorILNS1_17partition_subalgoE9EllbEEZZNS1_14partition_implILS5_9ELb0ES3_jPlS8_PNS0_10empty_typeENS0_5tupleIJS8_S9_EEENSB_IJS8_SA_EEENS0_18inequality_wrapperIZN2at6native12_GLOBAL__N_124unique_dim_cuda_templateIiEESt5tupleIJNSF_6TensorESK_SK_EERKSK_lbbbEUlllE0_EEPmJS9_EEE10hipError_tPvRmT3_T4_T5_T6_T7_T9_mT8_P12ihipStream_tbDpT10_ENKUlT_T0_E_clISt17integral_constantIbLb1EES19_IbLb0EEEEDaS15_S16_EUlS15_E_NS1_11comp_targetILNS1_3genE5ELNS1_11target_archE942ELNS1_3gpuE9ELNS1_3repE0EEENS1_30default_config_static_selectorELNS0_4arch9wavefront6targetE1EEEvT1_,comdat
.Lfunc_end490:
	.size	_ZN7rocprim17ROCPRIM_400000_NS6detail17trampoline_kernelINS0_14default_configENS1_25partition_config_selectorILNS1_17partition_subalgoE9EllbEEZZNS1_14partition_implILS5_9ELb0ES3_jPlS8_PNS0_10empty_typeENS0_5tupleIJS8_S9_EEENSB_IJS8_SA_EEENS0_18inequality_wrapperIZN2at6native12_GLOBAL__N_124unique_dim_cuda_templateIiEESt5tupleIJNSF_6TensorESK_SK_EERKSK_lbbbEUlllE0_EEPmJS9_EEE10hipError_tPvRmT3_T4_T5_T6_T7_T9_mT8_P12ihipStream_tbDpT10_ENKUlT_T0_E_clISt17integral_constantIbLb1EES19_IbLb0EEEEDaS15_S16_EUlS15_E_NS1_11comp_targetILNS1_3genE5ELNS1_11target_archE942ELNS1_3gpuE9ELNS1_3repE0EEENS1_30default_config_static_selectorELNS0_4arch9wavefront6targetE1EEEvT1_, .Lfunc_end490-_ZN7rocprim17ROCPRIM_400000_NS6detail17trampoline_kernelINS0_14default_configENS1_25partition_config_selectorILNS1_17partition_subalgoE9EllbEEZZNS1_14partition_implILS5_9ELb0ES3_jPlS8_PNS0_10empty_typeENS0_5tupleIJS8_S9_EEENSB_IJS8_SA_EEENS0_18inequality_wrapperIZN2at6native12_GLOBAL__N_124unique_dim_cuda_templateIiEESt5tupleIJNSF_6TensorESK_SK_EERKSK_lbbbEUlllE0_EEPmJS9_EEE10hipError_tPvRmT3_T4_T5_T6_T7_T9_mT8_P12ihipStream_tbDpT10_ENKUlT_T0_E_clISt17integral_constantIbLb1EES19_IbLb0EEEEDaS15_S16_EUlS15_E_NS1_11comp_targetILNS1_3genE5ELNS1_11target_archE942ELNS1_3gpuE9ELNS1_3repE0EEENS1_30default_config_static_selectorELNS0_4arch9wavefront6targetE1EEEvT1_
                                        ; -- End function
	.set _ZN7rocprim17ROCPRIM_400000_NS6detail17trampoline_kernelINS0_14default_configENS1_25partition_config_selectorILNS1_17partition_subalgoE9EllbEEZZNS1_14partition_implILS5_9ELb0ES3_jPlS8_PNS0_10empty_typeENS0_5tupleIJS8_S9_EEENSB_IJS8_SA_EEENS0_18inequality_wrapperIZN2at6native12_GLOBAL__N_124unique_dim_cuda_templateIiEESt5tupleIJNSF_6TensorESK_SK_EERKSK_lbbbEUlllE0_EEPmJS9_EEE10hipError_tPvRmT3_T4_T5_T6_T7_T9_mT8_P12ihipStream_tbDpT10_ENKUlT_T0_E_clISt17integral_constantIbLb1EES19_IbLb0EEEEDaS15_S16_EUlS15_E_NS1_11comp_targetILNS1_3genE5ELNS1_11target_archE942ELNS1_3gpuE9ELNS1_3repE0EEENS1_30default_config_static_selectorELNS0_4arch9wavefront6targetE1EEEvT1_.num_vgpr, 0
	.set _ZN7rocprim17ROCPRIM_400000_NS6detail17trampoline_kernelINS0_14default_configENS1_25partition_config_selectorILNS1_17partition_subalgoE9EllbEEZZNS1_14partition_implILS5_9ELb0ES3_jPlS8_PNS0_10empty_typeENS0_5tupleIJS8_S9_EEENSB_IJS8_SA_EEENS0_18inequality_wrapperIZN2at6native12_GLOBAL__N_124unique_dim_cuda_templateIiEESt5tupleIJNSF_6TensorESK_SK_EERKSK_lbbbEUlllE0_EEPmJS9_EEE10hipError_tPvRmT3_T4_T5_T6_T7_T9_mT8_P12ihipStream_tbDpT10_ENKUlT_T0_E_clISt17integral_constantIbLb1EES19_IbLb0EEEEDaS15_S16_EUlS15_E_NS1_11comp_targetILNS1_3genE5ELNS1_11target_archE942ELNS1_3gpuE9ELNS1_3repE0EEENS1_30default_config_static_selectorELNS0_4arch9wavefront6targetE1EEEvT1_.num_agpr, 0
	.set _ZN7rocprim17ROCPRIM_400000_NS6detail17trampoline_kernelINS0_14default_configENS1_25partition_config_selectorILNS1_17partition_subalgoE9EllbEEZZNS1_14partition_implILS5_9ELb0ES3_jPlS8_PNS0_10empty_typeENS0_5tupleIJS8_S9_EEENSB_IJS8_SA_EEENS0_18inequality_wrapperIZN2at6native12_GLOBAL__N_124unique_dim_cuda_templateIiEESt5tupleIJNSF_6TensorESK_SK_EERKSK_lbbbEUlllE0_EEPmJS9_EEE10hipError_tPvRmT3_T4_T5_T6_T7_T9_mT8_P12ihipStream_tbDpT10_ENKUlT_T0_E_clISt17integral_constantIbLb1EES19_IbLb0EEEEDaS15_S16_EUlS15_E_NS1_11comp_targetILNS1_3genE5ELNS1_11target_archE942ELNS1_3gpuE9ELNS1_3repE0EEENS1_30default_config_static_selectorELNS0_4arch9wavefront6targetE1EEEvT1_.numbered_sgpr, 0
	.set _ZN7rocprim17ROCPRIM_400000_NS6detail17trampoline_kernelINS0_14default_configENS1_25partition_config_selectorILNS1_17partition_subalgoE9EllbEEZZNS1_14partition_implILS5_9ELb0ES3_jPlS8_PNS0_10empty_typeENS0_5tupleIJS8_S9_EEENSB_IJS8_SA_EEENS0_18inequality_wrapperIZN2at6native12_GLOBAL__N_124unique_dim_cuda_templateIiEESt5tupleIJNSF_6TensorESK_SK_EERKSK_lbbbEUlllE0_EEPmJS9_EEE10hipError_tPvRmT3_T4_T5_T6_T7_T9_mT8_P12ihipStream_tbDpT10_ENKUlT_T0_E_clISt17integral_constantIbLb1EES19_IbLb0EEEEDaS15_S16_EUlS15_E_NS1_11comp_targetILNS1_3genE5ELNS1_11target_archE942ELNS1_3gpuE9ELNS1_3repE0EEENS1_30default_config_static_selectorELNS0_4arch9wavefront6targetE1EEEvT1_.num_named_barrier, 0
	.set _ZN7rocprim17ROCPRIM_400000_NS6detail17trampoline_kernelINS0_14default_configENS1_25partition_config_selectorILNS1_17partition_subalgoE9EllbEEZZNS1_14partition_implILS5_9ELb0ES3_jPlS8_PNS0_10empty_typeENS0_5tupleIJS8_S9_EEENSB_IJS8_SA_EEENS0_18inequality_wrapperIZN2at6native12_GLOBAL__N_124unique_dim_cuda_templateIiEESt5tupleIJNSF_6TensorESK_SK_EERKSK_lbbbEUlllE0_EEPmJS9_EEE10hipError_tPvRmT3_T4_T5_T6_T7_T9_mT8_P12ihipStream_tbDpT10_ENKUlT_T0_E_clISt17integral_constantIbLb1EES19_IbLb0EEEEDaS15_S16_EUlS15_E_NS1_11comp_targetILNS1_3genE5ELNS1_11target_archE942ELNS1_3gpuE9ELNS1_3repE0EEENS1_30default_config_static_selectorELNS0_4arch9wavefront6targetE1EEEvT1_.private_seg_size, 0
	.set _ZN7rocprim17ROCPRIM_400000_NS6detail17trampoline_kernelINS0_14default_configENS1_25partition_config_selectorILNS1_17partition_subalgoE9EllbEEZZNS1_14partition_implILS5_9ELb0ES3_jPlS8_PNS0_10empty_typeENS0_5tupleIJS8_S9_EEENSB_IJS8_SA_EEENS0_18inequality_wrapperIZN2at6native12_GLOBAL__N_124unique_dim_cuda_templateIiEESt5tupleIJNSF_6TensorESK_SK_EERKSK_lbbbEUlllE0_EEPmJS9_EEE10hipError_tPvRmT3_T4_T5_T6_T7_T9_mT8_P12ihipStream_tbDpT10_ENKUlT_T0_E_clISt17integral_constantIbLb1EES19_IbLb0EEEEDaS15_S16_EUlS15_E_NS1_11comp_targetILNS1_3genE5ELNS1_11target_archE942ELNS1_3gpuE9ELNS1_3repE0EEENS1_30default_config_static_selectorELNS0_4arch9wavefront6targetE1EEEvT1_.uses_vcc, 0
	.set _ZN7rocprim17ROCPRIM_400000_NS6detail17trampoline_kernelINS0_14default_configENS1_25partition_config_selectorILNS1_17partition_subalgoE9EllbEEZZNS1_14partition_implILS5_9ELb0ES3_jPlS8_PNS0_10empty_typeENS0_5tupleIJS8_S9_EEENSB_IJS8_SA_EEENS0_18inequality_wrapperIZN2at6native12_GLOBAL__N_124unique_dim_cuda_templateIiEESt5tupleIJNSF_6TensorESK_SK_EERKSK_lbbbEUlllE0_EEPmJS9_EEE10hipError_tPvRmT3_T4_T5_T6_T7_T9_mT8_P12ihipStream_tbDpT10_ENKUlT_T0_E_clISt17integral_constantIbLb1EES19_IbLb0EEEEDaS15_S16_EUlS15_E_NS1_11comp_targetILNS1_3genE5ELNS1_11target_archE942ELNS1_3gpuE9ELNS1_3repE0EEENS1_30default_config_static_selectorELNS0_4arch9wavefront6targetE1EEEvT1_.uses_flat_scratch, 0
	.set _ZN7rocprim17ROCPRIM_400000_NS6detail17trampoline_kernelINS0_14default_configENS1_25partition_config_selectorILNS1_17partition_subalgoE9EllbEEZZNS1_14partition_implILS5_9ELb0ES3_jPlS8_PNS0_10empty_typeENS0_5tupleIJS8_S9_EEENSB_IJS8_SA_EEENS0_18inequality_wrapperIZN2at6native12_GLOBAL__N_124unique_dim_cuda_templateIiEESt5tupleIJNSF_6TensorESK_SK_EERKSK_lbbbEUlllE0_EEPmJS9_EEE10hipError_tPvRmT3_T4_T5_T6_T7_T9_mT8_P12ihipStream_tbDpT10_ENKUlT_T0_E_clISt17integral_constantIbLb1EES19_IbLb0EEEEDaS15_S16_EUlS15_E_NS1_11comp_targetILNS1_3genE5ELNS1_11target_archE942ELNS1_3gpuE9ELNS1_3repE0EEENS1_30default_config_static_selectorELNS0_4arch9wavefront6targetE1EEEvT1_.has_dyn_sized_stack, 0
	.set _ZN7rocprim17ROCPRIM_400000_NS6detail17trampoline_kernelINS0_14default_configENS1_25partition_config_selectorILNS1_17partition_subalgoE9EllbEEZZNS1_14partition_implILS5_9ELb0ES3_jPlS8_PNS0_10empty_typeENS0_5tupleIJS8_S9_EEENSB_IJS8_SA_EEENS0_18inequality_wrapperIZN2at6native12_GLOBAL__N_124unique_dim_cuda_templateIiEESt5tupleIJNSF_6TensorESK_SK_EERKSK_lbbbEUlllE0_EEPmJS9_EEE10hipError_tPvRmT3_T4_T5_T6_T7_T9_mT8_P12ihipStream_tbDpT10_ENKUlT_T0_E_clISt17integral_constantIbLb1EES19_IbLb0EEEEDaS15_S16_EUlS15_E_NS1_11comp_targetILNS1_3genE5ELNS1_11target_archE942ELNS1_3gpuE9ELNS1_3repE0EEENS1_30default_config_static_selectorELNS0_4arch9wavefront6targetE1EEEvT1_.has_recursion, 0
	.set _ZN7rocprim17ROCPRIM_400000_NS6detail17trampoline_kernelINS0_14default_configENS1_25partition_config_selectorILNS1_17partition_subalgoE9EllbEEZZNS1_14partition_implILS5_9ELb0ES3_jPlS8_PNS0_10empty_typeENS0_5tupleIJS8_S9_EEENSB_IJS8_SA_EEENS0_18inequality_wrapperIZN2at6native12_GLOBAL__N_124unique_dim_cuda_templateIiEESt5tupleIJNSF_6TensorESK_SK_EERKSK_lbbbEUlllE0_EEPmJS9_EEE10hipError_tPvRmT3_T4_T5_T6_T7_T9_mT8_P12ihipStream_tbDpT10_ENKUlT_T0_E_clISt17integral_constantIbLb1EES19_IbLb0EEEEDaS15_S16_EUlS15_E_NS1_11comp_targetILNS1_3genE5ELNS1_11target_archE942ELNS1_3gpuE9ELNS1_3repE0EEENS1_30default_config_static_selectorELNS0_4arch9wavefront6targetE1EEEvT1_.has_indirect_call, 0
	.section	.AMDGPU.csdata,"",@progbits
; Kernel info:
; codeLenInByte = 0
; TotalNumSgprs: 6
; NumVgprs: 0
; NumAgprs: 0
; TotalNumVgprs: 0
; ScratchSize: 0
; MemoryBound: 0
; FloatMode: 240
; IeeeMode: 1
; LDSByteSize: 0 bytes/workgroup (compile time only)
; SGPRBlocks: 0
; VGPRBlocks: 0
; NumSGPRsForWavesPerEU: 6
; NumVGPRsForWavesPerEU: 1
; AccumOffset: 4
; Occupancy: 8
; WaveLimiterHint : 0
; COMPUTE_PGM_RSRC2:SCRATCH_EN: 0
; COMPUTE_PGM_RSRC2:USER_SGPR: 2
; COMPUTE_PGM_RSRC2:TRAP_HANDLER: 0
; COMPUTE_PGM_RSRC2:TGID_X_EN: 1
; COMPUTE_PGM_RSRC2:TGID_Y_EN: 0
; COMPUTE_PGM_RSRC2:TGID_Z_EN: 0
; COMPUTE_PGM_RSRC2:TIDIG_COMP_CNT: 0
; COMPUTE_PGM_RSRC3_GFX90A:ACCUM_OFFSET: 0
; COMPUTE_PGM_RSRC3_GFX90A:TG_SPLIT: 0
	.section	.text._ZN7rocprim17ROCPRIM_400000_NS6detail17trampoline_kernelINS0_14default_configENS1_25partition_config_selectorILNS1_17partition_subalgoE9EllbEEZZNS1_14partition_implILS5_9ELb0ES3_jPlS8_PNS0_10empty_typeENS0_5tupleIJS8_S9_EEENSB_IJS8_SA_EEENS0_18inequality_wrapperIZN2at6native12_GLOBAL__N_124unique_dim_cuda_templateIiEESt5tupleIJNSF_6TensorESK_SK_EERKSK_lbbbEUlllE0_EEPmJS9_EEE10hipError_tPvRmT3_T4_T5_T6_T7_T9_mT8_P12ihipStream_tbDpT10_ENKUlT_T0_E_clISt17integral_constantIbLb1EES19_IbLb0EEEEDaS15_S16_EUlS15_E_NS1_11comp_targetILNS1_3genE4ELNS1_11target_archE910ELNS1_3gpuE8ELNS1_3repE0EEENS1_30default_config_static_selectorELNS0_4arch9wavefront6targetE1EEEvT1_,"axG",@progbits,_ZN7rocprim17ROCPRIM_400000_NS6detail17trampoline_kernelINS0_14default_configENS1_25partition_config_selectorILNS1_17partition_subalgoE9EllbEEZZNS1_14partition_implILS5_9ELb0ES3_jPlS8_PNS0_10empty_typeENS0_5tupleIJS8_S9_EEENSB_IJS8_SA_EEENS0_18inequality_wrapperIZN2at6native12_GLOBAL__N_124unique_dim_cuda_templateIiEESt5tupleIJNSF_6TensorESK_SK_EERKSK_lbbbEUlllE0_EEPmJS9_EEE10hipError_tPvRmT3_T4_T5_T6_T7_T9_mT8_P12ihipStream_tbDpT10_ENKUlT_T0_E_clISt17integral_constantIbLb1EES19_IbLb0EEEEDaS15_S16_EUlS15_E_NS1_11comp_targetILNS1_3genE4ELNS1_11target_archE910ELNS1_3gpuE8ELNS1_3repE0EEENS1_30default_config_static_selectorELNS0_4arch9wavefront6targetE1EEEvT1_,comdat
	.globl	_ZN7rocprim17ROCPRIM_400000_NS6detail17trampoline_kernelINS0_14default_configENS1_25partition_config_selectorILNS1_17partition_subalgoE9EllbEEZZNS1_14partition_implILS5_9ELb0ES3_jPlS8_PNS0_10empty_typeENS0_5tupleIJS8_S9_EEENSB_IJS8_SA_EEENS0_18inequality_wrapperIZN2at6native12_GLOBAL__N_124unique_dim_cuda_templateIiEESt5tupleIJNSF_6TensorESK_SK_EERKSK_lbbbEUlllE0_EEPmJS9_EEE10hipError_tPvRmT3_T4_T5_T6_T7_T9_mT8_P12ihipStream_tbDpT10_ENKUlT_T0_E_clISt17integral_constantIbLb1EES19_IbLb0EEEEDaS15_S16_EUlS15_E_NS1_11comp_targetILNS1_3genE4ELNS1_11target_archE910ELNS1_3gpuE8ELNS1_3repE0EEENS1_30default_config_static_selectorELNS0_4arch9wavefront6targetE1EEEvT1_ ; -- Begin function _ZN7rocprim17ROCPRIM_400000_NS6detail17trampoline_kernelINS0_14default_configENS1_25partition_config_selectorILNS1_17partition_subalgoE9EllbEEZZNS1_14partition_implILS5_9ELb0ES3_jPlS8_PNS0_10empty_typeENS0_5tupleIJS8_S9_EEENSB_IJS8_SA_EEENS0_18inequality_wrapperIZN2at6native12_GLOBAL__N_124unique_dim_cuda_templateIiEESt5tupleIJNSF_6TensorESK_SK_EERKSK_lbbbEUlllE0_EEPmJS9_EEE10hipError_tPvRmT3_T4_T5_T6_T7_T9_mT8_P12ihipStream_tbDpT10_ENKUlT_T0_E_clISt17integral_constantIbLb1EES19_IbLb0EEEEDaS15_S16_EUlS15_E_NS1_11comp_targetILNS1_3genE4ELNS1_11target_archE910ELNS1_3gpuE8ELNS1_3repE0EEENS1_30default_config_static_selectorELNS0_4arch9wavefront6targetE1EEEvT1_
	.p2align	8
	.type	_ZN7rocprim17ROCPRIM_400000_NS6detail17trampoline_kernelINS0_14default_configENS1_25partition_config_selectorILNS1_17partition_subalgoE9EllbEEZZNS1_14partition_implILS5_9ELb0ES3_jPlS8_PNS0_10empty_typeENS0_5tupleIJS8_S9_EEENSB_IJS8_SA_EEENS0_18inequality_wrapperIZN2at6native12_GLOBAL__N_124unique_dim_cuda_templateIiEESt5tupleIJNSF_6TensorESK_SK_EERKSK_lbbbEUlllE0_EEPmJS9_EEE10hipError_tPvRmT3_T4_T5_T6_T7_T9_mT8_P12ihipStream_tbDpT10_ENKUlT_T0_E_clISt17integral_constantIbLb1EES19_IbLb0EEEEDaS15_S16_EUlS15_E_NS1_11comp_targetILNS1_3genE4ELNS1_11target_archE910ELNS1_3gpuE8ELNS1_3repE0EEENS1_30default_config_static_selectorELNS0_4arch9wavefront6targetE1EEEvT1_,@function
_ZN7rocprim17ROCPRIM_400000_NS6detail17trampoline_kernelINS0_14default_configENS1_25partition_config_selectorILNS1_17partition_subalgoE9EllbEEZZNS1_14partition_implILS5_9ELb0ES3_jPlS8_PNS0_10empty_typeENS0_5tupleIJS8_S9_EEENSB_IJS8_SA_EEENS0_18inequality_wrapperIZN2at6native12_GLOBAL__N_124unique_dim_cuda_templateIiEESt5tupleIJNSF_6TensorESK_SK_EERKSK_lbbbEUlllE0_EEPmJS9_EEE10hipError_tPvRmT3_T4_T5_T6_T7_T9_mT8_P12ihipStream_tbDpT10_ENKUlT_T0_E_clISt17integral_constantIbLb1EES19_IbLb0EEEEDaS15_S16_EUlS15_E_NS1_11comp_targetILNS1_3genE4ELNS1_11target_archE910ELNS1_3gpuE8ELNS1_3repE0EEENS1_30default_config_static_selectorELNS0_4arch9wavefront6targetE1EEEvT1_: ; @_ZN7rocprim17ROCPRIM_400000_NS6detail17trampoline_kernelINS0_14default_configENS1_25partition_config_selectorILNS1_17partition_subalgoE9EllbEEZZNS1_14partition_implILS5_9ELb0ES3_jPlS8_PNS0_10empty_typeENS0_5tupleIJS8_S9_EEENSB_IJS8_SA_EEENS0_18inequality_wrapperIZN2at6native12_GLOBAL__N_124unique_dim_cuda_templateIiEESt5tupleIJNSF_6TensorESK_SK_EERKSK_lbbbEUlllE0_EEPmJS9_EEE10hipError_tPvRmT3_T4_T5_T6_T7_T9_mT8_P12ihipStream_tbDpT10_ENKUlT_T0_E_clISt17integral_constantIbLb1EES19_IbLb0EEEEDaS15_S16_EUlS15_E_NS1_11comp_targetILNS1_3genE4ELNS1_11target_archE910ELNS1_3gpuE8ELNS1_3repE0EEENS1_30default_config_static_selectorELNS0_4arch9wavefront6targetE1EEEvT1_
; %bb.0:
	.section	.rodata,"a",@progbits
	.p2align	6, 0x0
	.amdhsa_kernel _ZN7rocprim17ROCPRIM_400000_NS6detail17trampoline_kernelINS0_14default_configENS1_25partition_config_selectorILNS1_17partition_subalgoE9EllbEEZZNS1_14partition_implILS5_9ELb0ES3_jPlS8_PNS0_10empty_typeENS0_5tupleIJS8_S9_EEENSB_IJS8_SA_EEENS0_18inequality_wrapperIZN2at6native12_GLOBAL__N_124unique_dim_cuda_templateIiEESt5tupleIJNSF_6TensorESK_SK_EERKSK_lbbbEUlllE0_EEPmJS9_EEE10hipError_tPvRmT3_T4_T5_T6_T7_T9_mT8_P12ihipStream_tbDpT10_ENKUlT_T0_E_clISt17integral_constantIbLb1EES19_IbLb0EEEEDaS15_S16_EUlS15_E_NS1_11comp_targetILNS1_3genE4ELNS1_11target_archE910ELNS1_3gpuE8ELNS1_3repE0EEENS1_30default_config_static_selectorELNS0_4arch9wavefront6targetE1EEEvT1_
		.amdhsa_group_segment_fixed_size 0
		.amdhsa_private_segment_fixed_size 0
		.amdhsa_kernarg_size 120
		.amdhsa_user_sgpr_count 2
		.amdhsa_user_sgpr_dispatch_ptr 0
		.amdhsa_user_sgpr_queue_ptr 0
		.amdhsa_user_sgpr_kernarg_segment_ptr 1
		.amdhsa_user_sgpr_dispatch_id 0
		.amdhsa_user_sgpr_kernarg_preload_length 0
		.amdhsa_user_sgpr_kernarg_preload_offset 0
		.amdhsa_user_sgpr_private_segment_size 0
		.amdhsa_uses_dynamic_stack 0
		.amdhsa_enable_private_segment 0
		.amdhsa_system_sgpr_workgroup_id_x 1
		.amdhsa_system_sgpr_workgroup_id_y 0
		.amdhsa_system_sgpr_workgroup_id_z 0
		.amdhsa_system_sgpr_workgroup_info 0
		.amdhsa_system_vgpr_workitem_id 0
		.amdhsa_next_free_vgpr 1
		.amdhsa_next_free_sgpr 0
		.amdhsa_accum_offset 4
		.amdhsa_reserve_vcc 0
		.amdhsa_float_round_mode_32 0
		.amdhsa_float_round_mode_16_64 0
		.amdhsa_float_denorm_mode_32 3
		.amdhsa_float_denorm_mode_16_64 3
		.amdhsa_dx10_clamp 1
		.amdhsa_ieee_mode 1
		.amdhsa_fp16_overflow 0
		.amdhsa_tg_split 0
		.amdhsa_exception_fp_ieee_invalid_op 0
		.amdhsa_exception_fp_denorm_src 0
		.amdhsa_exception_fp_ieee_div_zero 0
		.amdhsa_exception_fp_ieee_overflow 0
		.amdhsa_exception_fp_ieee_underflow 0
		.amdhsa_exception_fp_ieee_inexact 0
		.amdhsa_exception_int_div_zero 0
	.end_amdhsa_kernel
	.section	.text._ZN7rocprim17ROCPRIM_400000_NS6detail17trampoline_kernelINS0_14default_configENS1_25partition_config_selectorILNS1_17partition_subalgoE9EllbEEZZNS1_14partition_implILS5_9ELb0ES3_jPlS8_PNS0_10empty_typeENS0_5tupleIJS8_S9_EEENSB_IJS8_SA_EEENS0_18inequality_wrapperIZN2at6native12_GLOBAL__N_124unique_dim_cuda_templateIiEESt5tupleIJNSF_6TensorESK_SK_EERKSK_lbbbEUlllE0_EEPmJS9_EEE10hipError_tPvRmT3_T4_T5_T6_T7_T9_mT8_P12ihipStream_tbDpT10_ENKUlT_T0_E_clISt17integral_constantIbLb1EES19_IbLb0EEEEDaS15_S16_EUlS15_E_NS1_11comp_targetILNS1_3genE4ELNS1_11target_archE910ELNS1_3gpuE8ELNS1_3repE0EEENS1_30default_config_static_selectorELNS0_4arch9wavefront6targetE1EEEvT1_,"axG",@progbits,_ZN7rocprim17ROCPRIM_400000_NS6detail17trampoline_kernelINS0_14default_configENS1_25partition_config_selectorILNS1_17partition_subalgoE9EllbEEZZNS1_14partition_implILS5_9ELb0ES3_jPlS8_PNS0_10empty_typeENS0_5tupleIJS8_S9_EEENSB_IJS8_SA_EEENS0_18inequality_wrapperIZN2at6native12_GLOBAL__N_124unique_dim_cuda_templateIiEESt5tupleIJNSF_6TensorESK_SK_EERKSK_lbbbEUlllE0_EEPmJS9_EEE10hipError_tPvRmT3_T4_T5_T6_T7_T9_mT8_P12ihipStream_tbDpT10_ENKUlT_T0_E_clISt17integral_constantIbLb1EES19_IbLb0EEEEDaS15_S16_EUlS15_E_NS1_11comp_targetILNS1_3genE4ELNS1_11target_archE910ELNS1_3gpuE8ELNS1_3repE0EEENS1_30default_config_static_selectorELNS0_4arch9wavefront6targetE1EEEvT1_,comdat
.Lfunc_end491:
	.size	_ZN7rocprim17ROCPRIM_400000_NS6detail17trampoline_kernelINS0_14default_configENS1_25partition_config_selectorILNS1_17partition_subalgoE9EllbEEZZNS1_14partition_implILS5_9ELb0ES3_jPlS8_PNS0_10empty_typeENS0_5tupleIJS8_S9_EEENSB_IJS8_SA_EEENS0_18inequality_wrapperIZN2at6native12_GLOBAL__N_124unique_dim_cuda_templateIiEESt5tupleIJNSF_6TensorESK_SK_EERKSK_lbbbEUlllE0_EEPmJS9_EEE10hipError_tPvRmT3_T4_T5_T6_T7_T9_mT8_P12ihipStream_tbDpT10_ENKUlT_T0_E_clISt17integral_constantIbLb1EES19_IbLb0EEEEDaS15_S16_EUlS15_E_NS1_11comp_targetILNS1_3genE4ELNS1_11target_archE910ELNS1_3gpuE8ELNS1_3repE0EEENS1_30default_config_static_selectorELNS0_4arch9wavefront6targetE1EEEvT1_, .Lfunc_end491-_ZN7rocprim17ROCPRIM_400000_NS6detail17trampoline_kernelINS0_14default_configENS1_25partition_config_selectorILNS1_17partition_subalgoE9EllbEEZZNS1_14partition_implILS5_9ELb0ES3_jPlS8_PNS0_10empty_typeENS0_5tupleIJS8_S9_EEENSB_IJS8_SA_EEENS0_18inequality_wrapperIZN2at6native12_GLOBAL__N_124unique_dim_cuda_templateIiEESt5tupleIJNSF_6TensorESK_SK_EERKSK_lbbbEUlllE0_EEPmJS9_EEE10hipError_tPvRmT3_T4_T5_T6_T7_T9_mT8_P12ihipStream_tbDpT10_ENKUlT_T0_E_clISt17integral_constantIbLb1EES19_IbLb0EEEEDaS15_S16_EUlS15_E_NS1_11comp_targetILNS1_3genE4ELNS1_11target_archE910ELNS1_3gpuE8ELNS1_3repE0EEENS1_30default_config_static_selectorELNS0_4arch9wavefront6targetE1EEEvT1_
                                        ; -- End function
	.set _ZN7rocprim17ROCPRIM_400000_NS6detail17trampoline_kernelINS0_14default_configENS1_25partition_config_selectorILNS1_17partition_subalgoE9EllbEEZZNS1_14partition_implILS5_9ELb0ES3_jPlS8_PNS0_10empty_typeENS0_5tupleIJS8_S9_EEENSB_IJS8_SA_EEENS0_18inequality_wrapperIZN2at6native12_GLOBAL__N_124unique_dim_cuda_templateIiEESt5tupleIJNSF_6TensorESK_SK_EERKSK_lbbbEUlllE0_EEPmJS9_EEE10hipError_tPvRmT3_T4_T5_T6_T7_T9_mT8_P12ihipStream_tbDpT10_ENKUlT_T0_E_clISt17integral_constantIbLb1EES19_IbLb0EEEEDaS15_S16_EUlS15_E_NS1_11comp_targetILNS1_3genE4ELNS1_11target_archE910ELNS1_3gpuE8ELNS1_3repE0EEENS1_30default_config_static_selectorELNS0_4arch9wavefront6targetE1EEEvT1_.num_vgpr, 0
	.set _ZN7rocprim17ROCPRIM_400000_NS6detail17trampoline_kernelINS0_14default_configENS1_25partition_config_selectorILNS1_17partition_subalgoE9EllbEEZZNS1_14partition_implILS5_9ELb0ES3_jPlS8_PNS0_10empty_typeENS0_5tupleIJS8_S9_EEENSB_IJS8_SA_EEENS0_18inequality_wrapperIZN2at6native12_GLOBAL__N_124unique_dim_cuda_templateIiEESt5tupleIJNSF_6TensorESK_SK_EERKSK_lbbbEUlllE0_EEPmJS9_EEE10hipError_tPvRmT3_T4_T5_T6_T7_T9_mT8_P12ihipStream_tbDpT10_ENKUlT_T0_E_clISt17integral_constantIbLb1EES19_IbLb0EEEEDaS15_S16_EUlS15_E_NS1_11comp_targetILNS1_3genE4ELNS1_11target_archE910ELNS1_3gpuE8ELNS1_3repE0EEENS1_30default_config_static_selectorELNS0_4arch9wavefront6targetE1EEEvT1_.num_agpr, 0
	.set _ZN7rocprim17ROCPRIM_400000_NS6detail17trampoline_kernelINS0_14default_configENS1_25partition_config_selectorILNS1_17partition_subalgoE9EllbEEZZNS1_14partition_implILS5_9ELb0ES3_jPlS8_PNS0_10empty_typeENS0_5tupleIJS8_S9_EEENSB_IJS8_SA_EEENS0_18inequality_wrapperIZN2at6native12_GLOBAL__N_124unique_dim_cuda_templateIiEESt5tupleIJNSF_6TensorESK_SK_EERKSK_lbbbEUlllE0_EEPmJS9_EEE10hipError_tPvRmT3_T4_T5_T6_T7_T9_mT8_P12ihipStream_tbDpT10_ENKUlT_T0_E_clISt17integral_constantIbLb1EES19_IbLb0EEEEDaS15_S16_EUlS15_E_NS1_11comp_targetILNS1_3genE4ELNS1_11target_archE910ELNS1_3gpuE8ELNS1_3repE0EEENS1_30default_config_static_selectorELNS0_4arch9wavefront6targetE1EEEvT1_.numbered_sgpr, 0
	.set _ZN7rocprim17ROCPRIM_400000_NS6detail17trampoline_kernelINS0_14default_configENS1_25partition_config_selectorILNS1_17partition_subalgoE9EllbEEZZNS1_14partition_implILS5_9ELb0ES3_jPlS8_PNS0_10empty_typeENS0_5tupleIJS8_S9_EEENSB_IJS8_SA_EEENS0_18inequality_wrapperIZN2at6native12_GLOBAL__N_124unique_dim_cuda_templateIiEESt5tupleIJNSF_6TensorESK_SK_EERKSK_lbbbEUlllE0_EEPmJS9_EEE10hipError_tPvRmT3_T4_T5_T6_T7_T9_mT8_P12ihipStream_tbDpT10_ENKUlT_T0_E_clISt17integral_constantIbLb1EES19_IbLb0EEEEDaS15_S16_EUlS15_E_NS1_11comp_targetILNS1_3genE4ELNS1_11target_archE910ELNS1_3gpuE8ELNS1_3repE0EEENS1_30default_config_static_selectorELNS0_4arch9wavefront6targetE1EEEvT1_.num_named_barrier, 0
	.set _ZN7rocprim17ROCPRIM_400000_NS6detail17trampoline_kernelINS0_14default_configENS1_25partition_config_selectorILNS1_17partition_subalgoE9EllbEEZZNS1_14partition_implILS5_9ELb0ES3_jPlS8_PNS0_10empty_typeENS0_5tupleIJS8_S9_EEENSB_IJS8_SA_EEENS0_18inequality_wrapperIZN2at6native12_GLOBAL__N_124unique_dim_cuda_templateIiEESt5tupleIJNSF_6TensorESK_SK_EERKSK_lbbbEUlllE0_EEPmJS9_EEE10hipError_tPvRmT3_T4_T5_T6_T7_T9_mT8_P12ihipStream_tbDpT10_ENKUlT_T0_E_clISt17integral_constantIbLb1EES19_IbLb0EEEEDaS15_S16_EUlS15_E_NS1_11comp_targetILNS1_3genE4ELNS1_11target_archE910ELNS1_3gpuE8ELNS1_3repE0EEENS1_30default_config_static_selectorELNS0_4arch9wavefront6targetE1EEEvT1_.private_seg_size, 0
	.set _ZN7rocprim17ROCPRIM_400000_NS6detail17trampoline_kernelINS0_14default_configENS1_25partition_config_selectorILNS1_17partition_subalgoE9EllbEEZZNS1_14partition_implILS5_9ELb0ES3_jPlS8_PNS0_10empty_typeENS0_5tupleIJS8_S9_EEENSB_IJS8_SA_EEENS0_18inequality_wrapperIZN2at6native12_GLOBAL__N_124unique_dim_cuda_templateIiEESt5tupleIJNSF_6TensorESK_SK_EERKSK_lbbbEUlllE0_EEPmJS9_EEE10hipError_tPvRmT3_T4_T5_T6_T7_T9_mT8_P12ihipStream_tbDpT10_ENKUlT_T0_E_clISt17integral_constantIbLb1EES19_IbLb0EEEEDaS15_S16_EUlS15_E_NS1_11comp_targetILNS1_3genE4ELNS1_11target_archE910ELNS1_3gpuE8ELNS1_3repE0EEENS1_30default_config_static_selectorELNS0_4arch9wavefront6targetE1EEEvT1_.uses_vcc, 0
	.set _ZN7rocprim17ROCPRIM_400000_NS6detail17trampoline_kernelINS0_14default_configENS1_25partition_config_selectorILNS1_17partition_subalgoE9EllbEEZZNS1_14partition_implILS5_9ELb0ES3_jPlS8_PNS0_10empty_typeENS0_5tupleIJS8_S9_EEENSB_IJS8_SA_EEENS0_18inequality_wrapperIZN2at6native12_GLOBAL__N_124unique_dim_cuda_templateIiEESt5tupleIJNSF_6TensorESK_SK_EERKSK_lbbbEUlllE0_EEPmJS9_EEE10hipError_tPvRmT3_T4_T5_T6_T7_T9_mT8_P12ihipStream_tbDpT10_ENKUlT_T0_E_clISt17integral_constantIbLb1EES19_IbLb0EEEEDaS15_S16_EUlS15_E_NS1_11comp_targetILNS1_3genE4ELNS1_11target_archE910ELNS1_3gpuE8ELNS1_3repE0EEENS1_30default_config_static_selectorELNS0_4arch9wavefront6targetE1EEEvT1_.uses_flat_scratch, 0
	.set _ZN7rocprim17ROCPRIM_400000_NS6detail17trampoline_kernelINS0_14default_configENS1_25partition_config_selectorILNS1_17partition_subalgoE9EllbEEZZNS1_14partition_implILS5_9ELb0ES3_jPlS8_PNS0_10empty_typeENS0_5tupleIJS8_S9_EEENSB_IJS8_SA_EEENS0_18inequality_wrapperIZN2at6native12_GLOBAL__N_124unique_dim_cuda_templateIiEESt5tupleIJNSF_6TensorESK_SK_EERKSK_lbbbEUlllE0_EEPmJS9_EEE10hipError_tPvRmT3_T4_T5_T6_T7_T9_mT8_P12ihipStream_tbDpT10_ENKUlT_T0_E_clISt17integral_constantIbLb1EES19_IbLb0EEEEDaS15_S16_EUlS15_E_NS1_11comp_targetILNS1_3genE4ELNS1_11target_archE910ELNS1_3gpuE8ELNS1_3repE0EEENS1_30default_config_static_selectorELNS0_4arch9wavefront6targetE1EEEvT1_.has_dyn_sized_stack, 0
	.set _ZN7rocprim17ROCPRIM_400000_NS6detail17trampoline_kernelINS0_14default_configENS1_25partition_config_selectorILNS1_17partition_subalgoE9EllbEEZZNS1_14partition_implILS5_9ELb0ES3_jPlS8_PNS0_10empty_typeENS0_5tupleIJS8_S9_EEENSB_IJS8_SA_EEENS0_18inequality_wrapperIZN2at6native12_GLOBAL__N_124unique_dim_cuda_templateIiEESt5tupleIJNSF_6TensorESK_SK_EERKSK_lbbbEUlllE0_EEPmJS9_EEE10hipError_tPvRmT3_T4_T5_T6_T7_T9_mT8_P12ihipStream_tbDpT10_ENKUlT_T0_E_clISt17integral_constantIbLb1EES19_IbLb0EEEEDaS15_S16_EUlS15_E_NS1_11comp_targetILNS1_3genE4ELNS1_11target_archE910ELNS1_3gpuE8ELNS1_3repE0EEENS1_30default_config_static_selectorELNS0_4arch9wavefront6targetE1EEEvT1_.has_recursion, 0
	.set _ZN7rocprim17ROCPRIM_400000_NS6detail17trampoline_kernelINS0_14default_configENS1_25partition_config_selectorILNS1_17partition_subalgoE9EllbEEZZNS1_14partition_implILS5_9ELb0ES3_jPlS8_PNS0_10empty_typeENS0_5tupleIJS8_S9_EEENSB_IJS8_SA_EEENS0_18inequality_wrapperIZN2at6native12_GLOBAL__N_124unique_dim_cuda_templateIiEESt5tupleIJNSF_6TensorESK_SK_EERKSK_lbbbEUlllE0_EEPmJS9_EEE10hipError_tPvRmT3_T4_T5_T6_T7_T9_mT8_P12ihipStream_tbDpT10_ENKUlT_T0_E_clISt17integral_constantIbLb1EES19_IbLb0EEEEDaS15_S16_EUlS15_E_NS1_11comp_targetILNS1_3genE4ELNS1_11target_archE910ELNS1_3gpuE8ELNS1_3repE0EEENS1_30default_config_static_selectorELNS0_4arch9wavefront6targetE1EEEvT1_.has_indirect_call, 0
	.section	.AMDGPU.csdata,"",@progbits
; Kernel info:
; codeLenInByte = 0
; TotalNumSgprs: 6
; NumVgprs: 0
; NumAgprs: 0
; TotalNumVgprs: 0
; ScratchSize: 0
; MemoryBound: 0
; FloatMode: 240
; IeeeMode: 1
; LDSByteSize: 0 bytes/workgroup (compile time only)
; SGPRBlocks: 0
; VGPRBlocks: 0
; NumSGPRsForWavesPerEU: 6
; NumVGPRsForWavesPerEU: 1
; AccumOffset: 4
; Occupancy: 8
; WaveLimiterHint : 0
; COMPUTE_PGM_RSRC2:SCRATCH_EN: 0
; COMPUTE_PGM_RSRC2:USER_SGPR: 2
; COMPUTE_PGM_RSRC2:TRAP_HANDLER: 0
; COMPUTE_PGM_RSRC2:TGID_X_EN: 1
; COMPUTE_PGM_RSRC2:TGID_Y_EN: 0
; COMPUTE_PGM_RSRC2:TGID_Z_EN: 0
; COMPUTE_PGM_RSRC2:TIDIG_COMP_CNT: 0
; COMPUTE_PGM_RSRC3_GFX90A:ACCUM_OFFSET: 0
; COMPUTE_PGM_RSRC3_GFX90A:TG_SPLIT: 0
	.section	.text._ZN7rocprim17ROCPRIM_400000_NS6detail17trampoline_kernelINS0_14default_configENS1_25partition_config_selectorILNS1_17partition_subalgoE9EllbEEZZNS1_14partition_implILS5_9ELb0ES3_jPlS8_PNS0_10empty_typeENS0_5tupleIJS8_S9_EEENSB_IJS8_SA_EEENS0_18inequality_wrapperIZN2at6native12_GLOBAL__N_124unique_dim_cuda_templateIiEESt5tupleIJNSF_6TensorESK_SK_EERKSK_lbbbEUlllE0_EEPmJS9_EEE10hipError_tPvRmT3_T4_T5_T6_T7_T9_mT8_P12ihipStream_tbDpT10_ENKUlT_T0_E_clISt17integral_constantIbLb1EES19_IbLb0EEEEDaS15_S16_EUlS15_E_NS1_11comp_targetILNS1_3genE3ELNS1_11target_archE908ELNS1_3gpuE7ELNS1_3repE0EEENS1_30default_config_static_selectorELNS0_4arch9wavefront6targetE1EEEvT1_,"axG",@progbits,_ZN7rocprim17ROCPRIM_400000_NS6detail17trampoline_kernelINS0_14default_configENS1_25partition_config_selectorILNS1_17partition_subalgoE9EllbEEZZNS1_14partition_implILS5_9ELb0ES3_jPlS8_PNS0_10empty_typeENS0_5tupleIJS8_S9_EEENSB_IJS8_SA_EEENS0_18inequality_wrapperIZN2at6native12_GLOBAL__N_124unique_dim_cuda_templateIiEESt5tupleIJNSF_6TensorESK_SK_EERKSK_lbbbEUlllE0_EEPmJS9_EEE10hipError_tPvRmT3_T4_T5_T6_T7_T9_mT8_P12ihipStream_tbDpT10_ENKUlT_T0_E_clISt17integral_constantIbLb1EES19_IbLb0EEEEDaS15_S16_EUlS15_E_NS1_11comp_targetILNS1_3genE3ELNS1_11target_archE908ELNS1_3gpuE7ELNS1_3repE0EEENS1_30default_config_static_selectorELNS0_4arch9wavefront6targetE1EEEvT1_,comdat
	.globl	_ZN7rocprim17ROCPRIM_400000_NS6detail17trampoline_kernelINS0_14default_configENS1_25partition_config_selectorILNS1_17partition_subalgoE9EllbEEZZNS1_14partition_implILS5_9ELb0ES3_jPlS8_PNS0_10empty_typeENS0_5tupleIJS8_S9_EEENSB_IJS8_SA_EEENS0_18inequality_wrapperIZN2at6native12_GLOBAL__N_124unique_dim_cuda_templateIiEESt5tupleIJNSF_6TensorESK_SK_EERKSK_lbbbEUlllE0_EEPmJS9_EEE10hipError_tPvRmT3_T4_T5_T6_T7_T9_mT8_P12ihipStream_tbDpT10_ENKUlT_T0_E_clISt17integral_constantIbLb1EES19_IbLb0EEEEDaS15_S16_EUlS15_E_NS1_11comp_targetILNS1_3genE3ELNS1_11target_archE908ELNS1_3gpuE7ELNS1_3repE0EEENS1_30default_config_static_selectorELNS0_4arch9wavefront6targetE1EEEvT1_ ; -- Begin function _ZN7rocprim17ROCPRIM_400000_NS6detail17trampoline_kernelINS0_14default_configENS1_25partition_config_selectorILNS1_17partition_subalgoE9EllbEEZZNS1_14partition_implILS5_9ELb0ES3_jPlS8_PNS0_10empty_typeENS0_5tupleIJS8_S9_EEENSB_IJS8_SA_EEENS0_18inequality_wrapperIZN2at6native12_GLOBAL__N_124unique_dim_cuda_templateIiEESt5tupleIJNSF_6TensorESK_SK_EERKSK_lbbbEUlllE0_EEPmJS9_EEE10hipError_tPvRmT3_T4_T5_T6_T7_T9_mT8_P12ihipStream_tbDpT10_ENKUlT_T0_E_clISt17integral_constantIbLb1EES19_IbLb0EEEEDaS15_S16_EUlS15_E_NS1_11comp_targetILNS1_3genE3ELNS1_11target_archE908ELNS1_3gpuE7ELNS1_3repE0EEENS1_30default_config_static_selectorELNS0_4arch9wavefront6targetE1EEEvT1_
	.p2align	8
	.type	_ZN7rocprim17ROCPRIM_400000_NS6detail17trampoline_kernelINS0_14default_configENS1_25partition_config_selectorILNS1_17partition_subalgoE9EllbEEZZNS1_14partition_implILS5_9ELb0ES3_jPlS8_PNS0_10empty_typeENS0_5tupleIJS8_S9_EEENSB_IJS8_SA_EEENS0_18inequality_wrapperIZN2at6native12_GLOBAL__N_124unique_dim_cuda_templateIiEESt5tupleIJNSF_6TensorESK_SK_EERKSK_lbbbEUlllE0_EEPmJS9_EEE10hipError_tPvRmT3_T4_T5_T6_T7_T9_mT8_P12ihipStream_tbDpT10_ENKUlT_T0_E_clISt17integral_constantIbLb1EES19_IbLb0EEEEDaS15_S16_EUlS15_E_NS1_11comp_targetILNS1_3genE3ELNS1_11target_archE908ELNS1_3gpuE7ELNS1_3repE0EEENS1_30default_config_static_selectorELNS0_4arch9wavefront6targetE1EEEvT1_,@function
_ZN7rocprim17ROCPRIM_400000_NS6detail17trampoline_kernelINS0_14default_configENS1_25partition_config_selectorILNS1_17partition_subalgoE9EllbEEZZNS1_14partition_implILS5_9ELb0ES3_jPlS8_PNS0_10empty_typeENS0_5tupleIJS8_S9_EEENSB_IJS8_SA_EEENS0_18inequality_wrapperIZN2at6native12_GLOBAL__N_124unique_dim_cuda_templateIiEESt5tupleIJNSF_6TensorESK_SK_EERKSK_lbbbEUlllE0_EEPmJS9_EEE10hipError_tPvRmT3_T4_T5_T6_T7_T9_mT8_P12ihipStream_tbDpT10_ENKUlT_T0_E_clISt17integral_constantIbLb1EES19_IbLb0EEEEDaS15_S16_EUlS15_E_NS1_11comp_targetILNS1_3genE3ELNS1_11target_archE908ELNS1_3gpuE7ELNS1_3repE0EEENS1_30default_config_static_selectorELNS0_4arch9wavefront6targetE1EEEvT1_: ; @_ZN7rocprim17ROCPRIM_400000_NS6detail17trampoline_kernelINS0_14default_configENS1_25partition_config_selectorILNS1_17partition_subalgoE9EllbEEZZNS1_14partition_implILS5_9ELb0ES3_jPlS8_PNS0_10empty_typeENS0_5tupleIJS8_S9_EEENSB_IJS8_SA_EEENS0_18inequality_wrapperIZN2at6native12_GLOBAL__N_124unique_dim_cuda_templateIiEESt5tupleIJNSF_6TensorESK_SK_EERKSK_lbbbEUlllE0_EEPmJS9_EEE10hipError_tPvRmT3_T4_T5_T6_T7_T9_mT8_P12ihipStream_tbDpT10_ENKUlT_T0_E_clISt17integral_constantIbLb1EES19_IbLb0EEEEDaS15_S16_EUlS15_E_NS1_11comp_targetILNS1_3genE3ELNS1_11target_archE908ELNS1_3gpuE7ELNS1_3repE0EEENS1_30default_config_static_selectorELNS0_4arch9wavefront6targetE1EEEvT1_
; %bb.0:
	.section	.rodata,"a",@progbits
	.p2align	6, 0x0
	.amdhsa_kernel _ZN7rocprim17ROCPRIM_400000_NS6detail17trampoline_kernelINS0_14default_configENS1_25partition_config_selectorILNS1_17partition_subalgoE9EllbEEZZNS1_14partition_implILS5_9ELb0ES3_jPlS8_PNS0_10empty_typeENS0_5tupleIJS8_S9_EEENSB_IJS8_SA_EEENS0_18inequality_wrapperIZN2at6native12_GLOBAL__N_124unique_dim_cuda_templateIiEESt5tupleIJNSF_6TensorESK_SK_EERKSK_lbbbEUlllE0_EEPmJS9_EEE10hipError_tPvRmT3_T4_T5_T6_T7_T9_mT8_P12ihipStream_tbDpT10_ENKUlT_T0_E_clISt17integral_constantIbLb1EES19_IbLb0EEEEDaS15_S16_EUlS15_E_NS1_11comp_targetILNS1_3genE3ELNS1_11target_archE908ELNS1_3gpuE7ELNS1_3repE0EEENS1_30default_config_static_selectorELNS0_4arch9wavefront6targetE1EEEvT1_
		.amdhsa_group_segment_fixed_size 0
		.amdhsa_private_segment_fixed_size 0
		.amdhsa_kernarg_size 120
		.amdhsa_user_sgpr_count 2
		.amdhsa_user_sgpr_dispatch_ptr 0
		.amdhsa_user_sgpr_queue_ptr 0
		.amdhsa_user_sgpr_kernarg_segment_ptr 1
		.amdhsa_user_sgpr_dispatch_id 0
		.amdhsa_user_sgpr_kernarg_preload_length 0
		.amdhsa_user_sgpr_kernarg_preload_offset 0
		.amdhsa_user_sgpr_private_segment_size 0
		.amdhsa_uses_dynamic_stack 0
		.amdhsa_enable_private_segment 0
		.amdhsa_system_sgpr_workgroup_id_x 1
		.amdhsa_system_sgpr_workgroup_id_y 0
		.amdhsa_system_sgpr_workgroup_id_z 0
		.amdhsa_system_sgpr_workgroup_info 0
		.amdhsa_system_vgpr_workitem_id 0
		.amdhsa_next_free_vgpr 1
		.amdhsa_next_free_sgpr 0
		.amdhsa_accum_offset 4
		.amdhsa_reserve_vcc 0
		.amdhsa_float_round_mode_32 0
		.amdhsa_float_round_mode_16_64 0
		.amdhsa_float_denorm_mode_32 3
		.amdhsa_float_denorm_mode_16_64 3
		.amdhsa_dx10_clamp 1
		.amdhsa_ieee_mode 1
		.amdhsa_fp16_overflow 0
		.amdhsa_tg_split 0
		.amdhsa_exception_fp_ieee_invalid_op 0
		.amdhsa_exception_fp_denorm_src 0
		.amdhsa_exception_fp_ieee_div_zero 0
		.amdhsa_exception_fp_ieee_overflow 0
		.amdhsa_exception_fp_ieee_underflow 0
		.amdhsa_exception_fp_ieee_inexact 0
		.amdhsa_exception_int_div_zero 0
	.end_amdhsa_kernel
	.section	.text._ZN7rocprim17ROCPRIM_400000_NS6detail17trampoline_kernelINS0_14default_configENS1_25partition_config_selectorILNS1_17partition_subalgoE9EllbEEZZNS1_14partition_implILS5_9ELb0ES3_jPlS8_PNS0_10empty_typeENS0_5tupleIJS8_S9_EEENSB_IJS8_SA_EEENS0_18inequality_wrapperIZN2at6native12_GLOBAL__N_124unique_dim_cuda_templateIiEESt5tupleIJNSF_6TensorESK_SK_EERKSK_lbbbEUlllE0_EEPmJS9_EEE10hipError_tPvRmT3_T4_T5_T6_T7_T9_mT8_P12ihipStream_tbDpT10_ENKUlT_T0_E_clISt17integral_constantIbLb1EES19_IbLb0EEEEDaS15_S16_EUlS15_E_NS1_11comp_targetILNS1_3genE3ELNS1_11target_archE908ELNS1_3gpuE7ELNS1_3repE0EEENS1_30default_config_static_selectorELNS0_4arch9wavefront6targetE1EEEvT1_,"axG",@progbits,_ZN7rocprim17ROCPRIM_400000_NS6detail17trampoline_kernelINS0_14default_configENS1_25partition_config_selectorILNS1_17partition_subalgoE9EllbEEZZNS1_14partition_implILS5_9ELb0ES3_jPlS8_PNS0_10empty_typeENS0_5tupleIJS8_S9_EEENSB_IJS8_SA_EEENS0_18inequality_wrapperIZN2at6native12_GLOBAL__N_124unique_dim_cuda_templateIiEESt5tupleIJNSF_6TensorESK_SK_EERKSK_lbbbEUlllE0_EEPmJS9_EEE10hipError_tPvRmT3_T4_T5_T6_T7_T9_mT8_P12ihipStream_tbDpT10_ENKUlT_T0_E_clISt17integral_constantIbLb1EES19_IbLb0EEEEDaS15_S16_EUlS15_E_NS1_11comp_targetILNS1_3genE3ELNS1_11target_archE908ELNS1_3gpuE7ELNS1_3repE0EEENS1_30default_config_static_selectorELNS0_4arch9wavefront6targetE1EEEvT1_,comdat
.Lfunc_end492:
	.size	_ZN7rocprim17ROCPRIM_400000_NS6detail17trampoline_kernelINS0_14default_configENS1_25partition_config_selectorILNS1_17partition_subalgoE9EllbEEZZNS1_14partition_implILS5_9ELb0ES3_jPlS8_PNS0_10empty_typeENS0_5tupleIJS8_S9_EEENSB_IJS8_SA_EEENS0_18inequality_wrapperIZN2at6native12_GLOBAL__N_124unique_dim_cuda_templateIiEESt5tupleIJNSF_6TensorESK_SK_EERKSK_lbbbEUlllE0_EEPmJS9_EEE10hipError_tPvRmT3_T4_T5_T6_T7_T9_mT8_P12ihipStream_tbDpT10_ENKUlT_T0_E_clISt17integral_constantIbLb1EES19_IbLb0EEEEDaS15_S16_EUlS15_E_NS1_11comp_targetILNS1_3genE3ELNS1_11target_archE908ELNS1_3gpuE7ELNS1_3repE0EEENS1_30default_config_static_selectorELNS0_4arch9wavefront6targetE1EEEvT1_, .Lfunc_end492-_ZN7rocprim17ROCPRIM_400000_NS6detail17trampoline_kernelINS0_14default_configENS1_25partition_config_selectorILNS1_17partition_subalgoE9EllbEEZZNS1_14partition_implILS5_9ELb0ES3_jPlS8_PNS0_10empty_typeENS0_5tupleIJS8_S9_EEENSB_IJS8_SA_EEENS0_18inequality_wrapperIZN2at6native12_GLOBAL__N_124unique_dim_cuda_templateIiEESt5tupleIJNSF_6TensorESK_SK_EERKSK_lbbbEUlllE0_EEPmJS9_EEE10hipError_tPvRmT3_T4_T5_T6_T7_T9_mT8_P12ihipStream_tbDpT10_ENKUlT_T0_E_clISt17integral_constantIbLb1EES19_IbLb0EEEEDaS15_S16_EUlS15_E_NS1_11comp_targetILNS1_3genE3ELNS1_11target_archE908ELNS1_3gpuE7ELNS1_3repE0EEENS1_30default_config_static_selectorELNS0_4arch9wavefront6targetE1EEEvT1_
                                        ; -- End function
	.set _ZN7rocprim17ROCPRIM_400000_NS6detail17trampoline_kernelINS0_14default_configENS1_25partition_config_selectorILNS1_17partition_subalgoE9EllbEEZZNS1_14partition_implILS5_9ELb0ES3_jPlS8_PNS0_10empty_typeENS0_5tupleIJS8_S9_EEENSB_IJS8_SA_EEENS0_18inequality_wrapperIZN2at6native12_GLOBAL__N_124unique_dim_cuda_templateIiEESt5tupleIJNSF_6TensorESK_SK_EERKSK_lbbbEUlllE0_EEPmJS9_EEE10hipError_tPvRmT3_T4_T5_T6_T7_T9_mT8_P12ihipStream_tbDpT10_ENKUlT_T0_E_clISt17integral_constantIbLb1EES19_IbLb0EEEEDaS15_S16_EUlS15_E_NS1_11comp_targetILNS1_3genE3ELNS1_11target_archE908ELNS1_3gpuE7ELNS1_3repE0EEENS1_30default_config_static_selectorELNS0_4arch9wavefront6targetE1EEEvT1_.num_vgpr, 0
	.set _ZN7rocprim17ROCPRIM_400000_NS6detail17trampoline_kernelINS0_14default_configENS1_25partition_config_selectorILNS1_17partition_subalgoE9EllbEEZZNS1_14partition_implILS5_9ELb0ES3_jPlS8_PNS0_10empty_typeENS0_5tupleIJS8_S9_EEENSB_IJS8_SA_EEENS0_18inequality_wrapperIZN2at6native12_GLOBAL__N_124unique_dim_cuda_templateIiEESt5tupleIJNSF_6TensorESK_SK_EERKSK_lbbbEUlllE0_EEPmJS9_EEE10hipError_tPvRmT3_T4_T5_T6_T7_T9_mT8_P12ihipStream_tbDpT10_ENKUlT_T0_E_clISt17integral_constantIbLb1EES19_IbLb0EEEEDaS15_S16_EUlS15_E_NS1_11comp_targetILNS1_3genE3ELNS1_11target_archE908ELNS1_3gpuE7ELNS1_3repE0EEENS1_30default_config_static_selectorELNS0_4arch9wavefront6targetE1EEEvT1_.num_agpr, 0
	.set _ZN7rocprim17ROCPRIM_400000_NS6detail17trampoline_kernelINS0_14default_configENS1_25partition_config_selectorILNS1_17partition_subalgoE9EllbEEZZNS1_14partition_implILS5_9ELb0ES3_jPlS8_PNS0_10empty_typeENS0_5tupleIJS8_S9_EEENSB_IJS8_SA_EEENS0_18inequality_wrapperIZN2at6native12_GLOBAL__N_124unique_dim_cuda_templateIiEESt5tupleIJNSF_6TensorESK_SK_EERKSK_lbbbEUlllE0_EEPmJS9_EEE10hipError_tPvRmT3_T4_T5_T6_T7_T9_mT8_P12ihipStream_tbDpT10_ENKUlT_T0_E_clISt17integral_constantIbLb1EES19_IbLb0EEEEDaS15_S16_EUlS15_E_NS1_11comp_targetILNS1_3genE3ELNS1_11target_archE908ELNS1_3gpuE7ELNS1_3repE0EEENS1_30default_config_static_selectorELNS0_4arch9wavefront6targetE1EEEvT1_.numbered_sgpr, 0
	.set _ZN7rocprim17ROCPRIM_400000_NS6detail17trampoline_kernelINS0_14default_configENS1_25partition_config_selectorILNS1_17partition_subalgoE9EllbEEZZNS1_14partition_implILS5_9ELb0ES3_jPlS8_PNS0_10empty_typeENS0_5tupleIJS8_S9_EEENSB_IJS8_SA_EEENS0_18inequality_wrapperIZN2at6native12_GLOBAL__N_124unique_dim_cuda_templateIiEESt5tupleIJNSF_6TensorESK_SK_EERKSK_lbbbEUlllE0_EEPmJS9_EEE10hipError_tPvRmT3_T4_T5_T6_T7_T9_mT8_P12ihipStream_tbDpT10_ENKUlT_T0_E_clISt17integral_constantIbLb1EES19_IbLb0EEEEDaS15_S16_EUlS15_E_NS1_11comp_targetILNS1_3genE3ELNS1_11target_archE908ELNS1_3gpuE7ELNS1_3repE0EEENS1_30default_config_static_selectorELNS0_4arch9wavefront6targetE1EEEvT1_.num_named_barrier, 0
	.set _ZN7rocprim17ROCPRIM_400000_NS6detail17trampoline_kernelINS0_14default_configENS1_25partition_config_selectorILNS1_17partition_subalgoE9EllbEEZZNS1_14partition_implILS5_9ELb0ES3_jPlS8_PNS0_10empty_typeENS0_5tupleIJS8_S9_EEENSB_IJS8_SA_EEENS0_18inequality_wrapperIZN2at6native12_GLOBAL__N_124unique_dim_cuda_templateIiEESt5tupleIJNSF_6TensorESK_SK_EERKSK_lbbbEUlllE0_EEPmJS9_EEE10hipError_tPvRmT3_T4_T5_T6_T7_T9_mT8_P12ihipStream_tbDpT10_ENKUlT_T0_E_clISt17integral_constantIbLb1EES19_IbLb0EEEEDaS15_S16_EUlS15_E_NS1_11comp_targetILNS1_3genE3ELNS1_11target_archE908ELNS1_3gpuE7ELNS1_3repE0EEENS1_30default_config_static_selectorELNS0_4arch9wavefront6targetE1EEEvT1_.private_seg_size, 0
	.set _ZN7rocprim17ROCPRIM_400000_NS6detail17trampoline_kernelINS0_14default_configENS1_25partition_config_selectorILNS1_17partition_subalgoE9EllbEEZZNS1_14partition_implILS5_9ELb0ES3_jPlS8_PNS0_10empty_typeENS0_5tupleIJS8_S9_EEENSB_IJS8_SA_EEENS0_18inequality_wrapperIZN2at6native12_GLOBAL__N_124unique_dim_cuda_templateIiEESt5tupleIJNSF_6TensorESK_SK_EERKSK_lbbbEUlllE0_EEPmJS9_EEE10hipError_tPvRmT3_T4_T5_T6_T7_T9_mT8_P12ihipStream_tbDpT10_ENKUlT_T0_E_clISt17integral_constantIbLb1EES19_IbLb0EEEEDaS15_S16_EUlS15_E_NS1_11comp_targetILNS1_3genE3ELNS1_11target_archE908ELNS1_3gpuE7ELNS1_3repE0EEENS1_30default_config_static_selectorELNS0_4arch9wavefront6targetE1EEEvT1_.uses_vcc, 0
	.set _ZN7rocprim17ROCPRIM_400000_NS6detail17trampoline_kernelINS0_14default_configENS1_25partition_config_selectorILNS1_17partition_subalgoE9EllbEEZZNS1_14partition_implILS5_9ELb0ES3_jPlS8_PNS0_10empty_typeENS0_5tupleIJS8_S9_EEENSB_IJS8_SA_EEENS0_18inequality_wrapperIZN2at6native12_GLOBAL__N_124unique_dim_cuda_templateIiEESt5tupleIJNSF_6TensorESK_SK_EERKSK_lbbbEUlllE0_EEPmJS9_EEE10hipError_tPvRmT3_T4_T5_T6_T7_T9_mT8_P12ihipStream_tbDpT10_ENKUlT_T0_E_clISt17integral_constantIbLb1EES19_IbLb0EEEEDaS15_S16_EUlS15_E_NS1_11comp_targetILNS1_3genE3ELNS1_11target_archE908ELNS1_3gpuE7ELNS1_3repE0EEENS1_30default_config_static_selectorELNS0_4arch9wavefront6targetE1EEEvT1_.uses_flat_scratch, 0
	.set _ZN7rocprim17ROCPRIM_400000_NS6detail17trampoline_kernelINS0_14default_configENS1_25partition_config_selectorILNS1_17partition_subalgoE9EllbEEZZNS1_14partition_implILS5_9ELb0ES3_jPlS8_PNS0_10empty_typeENS0_5tupleIJS8_S9_EEENSB_IJS8_SA_EEENS0_18inequality_wrapperIZN2at6native12_GLOBAL__N_124unique_dim_cuda_templateIiEESt5tupleIJNSF_6TensorESK_SK_EERKSK_lbbbEUlllE0_EEPmJS9_EEE10hipError_tPvRmT3_T4_T5_T6_T7_T9_mT8_P12ihipStream_tbDpT10_ENKUlT_T0_E_clISt17integral_constantIbLb1EES19_IbLb0EEEEDaS15_S16_EUlS15_E_NS1_11comp_targetILNS1_3genE3ELNS1_11target_archE908ELNS1_3gpuE7ELNS1_3repE0EEENS1_30default_config_static_selectorELNS0_4arch9wavefront6targetE1EEEvT1_.has_dyn_sized_stack, 0
	.set _ZN7rocprim17ROCPRIM_400000_NS6detail17trampoline_kernelINS0_14default_configENS1_25partition_config_selectorILNS1_17partition_subalgoE9EllbEEZZNS1_14partition_implILS5_9ELb0ES3_jPlS8_PNS0_10empty_typeENS0_5tupleIJS8_S9_EEENSB_IJS8_SA_EEENS0_18inequality_wrapperIZN2at6native12_GLOBAL__N_124unique_dim_cuda_templateIiEESt5tupleIJNSF_6TensorESK_SK_EERKSK_lbbbEUlllE0_EEPmJS9_EEE10hipError_tPvRmT3_T4_T5_T6_T7_T9_mT8_P12ihipStream_tbDpT10_ENKUlT_T0_E_clISt17integral_constantIbLb1EES19_IbLb0EEEEDaS15_S16_EUlS15_E_NS1_11comp_targetILNS1_3genE3ELNS1_11target_archE908ELNS1_3gpuE7ELNS1_3repE0EEENS1_30default_config_static_selectorELNS0_4arch9wavefront6targetE1EEEvT1_.has_recursion, 0
	.set _ZN7rocprim17ROCPRIM_400000_NS6detail17trampoline_kernelINS0_14default_configENS1_25partition_config_selectorILNS1_17partition_subalgoE9EllbEEZZNS1_14partition_implILS5_9ELb0ES3_jPlS8_PNS0_10empty_typeENS0_5tupleIJS8_S9_EEENSB_IJS8_SA_EEENS0_18inequality_wrapperIZN2at6native12_GLOBAL__N_124unique_dim_cuda_templateIiEESt5tupleIJNSF_6TensorESK_SK_EERKSK_lbbbEUlllE0_EEPmJS9_EEE10hipError_tPvRmT3_T4_T5_T6_T7_T9_mT8_P12ihipStream_tbDpT10_ENKUlT_T0_E_clISt17integral_constantIbLb1EES19_IbLb0EEEEDaS15_S16_EUlS15_E_NS1_11comp_targetILNS1_3genE3ELNS1_11target_archE908ELNS1_3gpuE7ELNS1_3repE0EEENS1_30default_config_static_selectorELNS0_4arch9wavefront6targetE1EEEvT1_.has_indirect_call, 0
	.section	.AMDGPU.csdata,"",@progbits
; Kernel info:
; codeLenInByte = 0
; TotalNumSgprs: 6
; NumVgprs: 0
; NumAgprs: 0
; TotalNumVgprs: 0
; ScratchSize: 0
; MemoryBound: 0
; FloatMode: 240
; IeeeMode: 1
; LDSByteSize: 0 bytes/workgroup (compile time only)
; SGPRBlocks: 0
; VGPRBlocks: 0
; NumSGPRsForWavesPerEU: 6
; NumVGPRsForWavesPerEU: 1
; AccumOffset: 4
; Occupancy: 8
; WaveLimiterHint : 0
; COMPUTE_PGM_RSRC2:SCRATCH_EN: 0
; COMPUTE_PGM_RSRC2:USER_SGPR: 2
; COMPUTE_PGM_RSRC2:TRAP_HANDLER: 0
; COMPUTE_PGM_RSRC2:TGID_X_EN: 1
; COMPUTE_PGM_RSRC2:TGID_Y_EN: 0
; COMPUTE_PGM_RSRC2:TGID_Z_EN: 0
; COMPUTE_PGM_RSRC2:TIDIG_COMP_CNT: 0
; COMPUTE_PGM_RSRC3_GFX90A:ACCUM_OFFSET: 0
; COMPUTE_PGM_RSRC3_GFX90A:TG_SPLIT: 0
	.section	.text._ZN7rocprim17ROCPRIM_400000_NS6detail17trampoline_kernelINS0_14default_configENS1_25partition_config_selectorILNS1_17partition_subalgoE9EllbEEZZNS1_14partition_implILS5_9ELb0ES3_jPlS8_PNS0_10empty_typeENS0_5tupleIJS8_S9_EEENSB_IJS8_SA_EEENS0_18inequality_wrapperIZN2at6native12_GLOBAL__N_124unique_dim_cuda_templateIiEESt5tupleIJNSF_6TensorESK_SK_EERKSK_lbbbEUlllE0_EEPmJS9_EEE10hipError_tPvRmT3_T4_T5_T6_T7_T9_mT8_P12ihipStream_tbDpT10_ENKUlT_T0_E_clISt17integral_constantIbLb1EES19_IbLb0EEEEDaS15_S16_EUlS15_E_NS1_11comp_targetILNS1_3genE2ELNS1_11target_archE906ELNS1_3gpuE6ELNS1_3repE0EEENS1_30default_config_static_selectorELNS0_4arch9wavefront6targetE1EEEvT1_,"axG",@progbits,_ZN7rocprim17ROCPRIM_400000_NS6detail17trampoline_kernelINS0_14default_configENS1_25partition_config_selectorILNS1_17partition_subalgoE9EllbEEZZNS1_14partition_implILS5_9ELb0ES3_jPlS8_PNS0_10empty_typeENS0_5tupleIJS8_S9_EEENSB_IJS8_SA_EEENS0_18inequality_wrapperIZN2at6native12_GLOBAL__N_124unique_dim_cuda_templateIiEESt5tupleIJNSF_6TensorESK_SK_EERKSK_lbbbEUlllE0_EEPmJS9_EEE10hipError_tPvRmT3_T4_T5_T6_T7_T9_mT8_P12ihipStream_tbDpT10_ENKUlT_T0_E_clISt17integral_constantIbLb1EES19_IbLb0EEEEDaS15_S16_EUlS15_E_NS1_11comp_targetILNS1_3genE2ELNS1_11target_archE906ELNS1_3gpuE6ELNS1_3repE0EEENS1_30default_config_static_selectorELNS0_4arch9wavefront6targetE1EEEvT1_,comdat
	.globl	_ZN7rocprim17ROCPRIM_400000_NS6detail17trampoline_kernelINS0_14default_configENS1_25partition_config_selectorILNS1_17partition_subalgoE9EllbEEZZNS1_14partition_implILS5_9ELb0ES3_jPlS8_PNS0_10empty_typeENS0_5tupleIJS8_S9_EEENSB_IJS8_SA_EEENS0_18inequality_wrapperIZN2at6native12_GLOBAL__N_124unique_dim_cuda_templateIiEESt5tupleIJNSF_6TensorESK_SK_EERKSK_lbbbEUlllE0_EEPmJS9_EEE10hipError_tPvRmT3_T4_T5_T6_T7_T9_mT8_P12ihipStream_tbDpT10_ENKUlT_T0_E_clISt17integral_constantIbLb1EES19_IbLb0EEEEDaS15_S16_EUlS15_E_NS1_11comp_targetILNS1_3genE2ELNS1_11target_archE906ELNS1_3gpuE6ELNS1_3repE0EEENS1_30default_config_static_selectorELNS0_4arch9wavefront6targetE1EEEvT1_ ; -- Begin function _ZN7rocprim17ROCPRIM_400000_NS6detail17trampoline_kernelINS0_14default_configENS1_25partition_config_selectorILNS1_17partition_subalgoE9EllbEEZZNS1_14partition_implILS5_9ELb0ES3_jPlS8_PNS0_10empty_typeENS0_5tupleIJS8_S9_EEENSB_IJS8_SA_EEENS0_18inequality_wrapperIZN2at6native12_GLOBAL__N_124unique_dim_cuda_templateIiEESt5tupleIJNSF_6TensorESK_SK_EERKSK_lbbbEUlllE0_EEPmJS9_EEE10hipError_tPvRmT3_T4_T5_T6_T7_T9_mT8_P12ihipStream_tbDpT10_ENKUlT_T0_E_clISt17integral_constantIbLb1EES19_IbLb0EEEEDaS15_S16_EUlS15_E_NS1_11comp_targetILNS1_3genE2ELNS1_11target_archE906ELNS1_3gpuE6ELNS1_3repE0EEENS1_30default_config_static_selectorELNS0_4arch9wavefront6targetE1EEEvT1_
	.p2align	8
	.type	_ZN7rocprim17ROCPRIM_400000_NS6detail17trampoline_kernelINS0_14default_configENS1_25partition_config_selectorILNS1_17partition_subalgoE9EllbEEZZNS1_14partition_implILS5_9ELb0ES3_jPlS8_PNS0_10empty_typeENS0_5tupleIJS8_S9_EEENSB_IJS8_SA_EEENS0_18inequality_wrapperIZN2at6native12_GLOBAL__N_124unique_dim_cuda_templateIiEESt5tupleIJNSF_6TensorESK_SK_EERKSK_lbbbEUlllE0_EEPmJS9_EEE10hipError_tPvRmT3_T4_T5_T6_T7_T9_mT8_P12ihipStream_tbDpT10_ENKUlT_T0_E_clISt17integral_constantIbLb1EES19_IbLb0EEEEDaS15_S16_EUlS15_E_NS1_11comp_targetILNS1_3genE2ELNS1_11target_archE906ELNS1_3gpuE6ELNS1_3repE0EEENS1_30default_config_static_selectorELNS0_4arch9wavefront6targetE1EEEvT1_,@function
_ZN7rocprim17ROCPRIM_400000_NS6detail17trampoline_kernelINS0_14default_configENS1_25partition_config_selectorILNS1_17partition_subalgoE9EllbEEZZNS1_14partition_implILS5_9ELb0ES3_jPlS8_PNS0_10empty_typeENS0_5tupleIJS8_S9_EEENSB_IJS8_SA_EEENS0_18inequality_wrapperIZN2at6native12_GLOBAL__N_124unique_dim_cuda_templateIiEESt5tupleIJNSF_6TensorESK_SK_EERKSK_lbbbEUlllE0_EEPmJS9_EEE10hipError_tPvRmT3_T4_T5_T6_T7_T9_mT8_P12ihipStream_tbDpT10_ENKUlT_T0_E_clISt17integral_constantIbLb1EES19_IbLb0EEEEDaS15_S16_EUlS15_E_NS1_11comp_targetILNS1_3genE2ELNS1_11target_archE906ELNS1_3gpuE6ELNS1_3repE0EEENS1_30default_config_static_selectorELNS0_4arch9wavefront6targetE1EEEvT1_: ; @_ZN7rocprim17ROCPRIM_400000_NS6detail17trampoline_kernelINS0_14default_configENS1_25partition_config_selectorILNS1_17partition_subalgoE9EllbEEZZNS1_14partition_implILS5_9ELb0ES3_jPlS8_PNS0_10empty_typeENS0_5tupleIJS8_S9_EEENSB_IJS8_SA_EEENS0_18inequality_wrapperIZN2at6native12_GLOBAL__N_124unique_dim_cuda_templateIiEESt5tupleIJNSF_6TensorESK_SK_EERKSK_lbbbEUlllE0_EEPmJS9_EEE10hipError_tPvRmT3_T4_T5_T6_T7_T9_mT8_P12ihipStream_tbDpT10_ENKUlT_T0_E_clISt17integral_constantIbLb1EES19_IbLb0EEEEDaS15_S16_EUlS15_E_NS1_11comp_targetILNS1_3genE2ELNS1_11target_archE906ELNS1_3gpuE6ELNS1_3repE0EEENS1_30default_config_static_selectorELNS0_4arch9wavefront6targetE1EEEvT1_
; %bb.0:
	.section	.rodata,"a",@progbits
	.p2align	6, 0x0
	.amdhsa_kernel _ZN7rocprim17ROCPRIM_400000_NS6detail17trampoline_kernelINS0_14default_configENS1_25partition_config_selectorILNS1_17partition_subalgoE9EllbEEZZNS1_14partition_implILS5_9ELb0ES3_jPlS8_PNS0_10empty_typeENS0_5tupleIJS8_S9_EEENSB_IJS8_SA_EEENS0_18inequality_wrapperIZN2at6native12_GLOBAL__N_124unique_dim_cuda_templateIiEESt5tupleIJNSF_6TensorESK_SK_EERKSK_lbbbEUlllE0_EEPmJS9_EEE10hipError_tPvRmT3_T4_T5_T6_T7_T9_mT8_P12ihipStream_tbDpT10_ENKUlT_T0_E_clISt17integral_constantIbLb1EES19_IbLb0EEEEDaS15_S16_EUlS15_E_NS1_11comp_targetILNS1_3genE2ELNS1_11target_archE906ELNS1_3gpuE6ELNS1_3repE0EEENS1_30default_config_static_selectorELNS0_4arch9wavefront6targetE1EEEvT1_
		.amdhsa_group_segment_fixed_size 0
		.amdhsa_private_segment_fixed_size 0
		.amdhsa_kernarg_size 120
		.amdhsa_user_sgpr_count 2
		.amdhsa_user_sgpr_dispatch_ptr 0
		.amdhsa_user_sgpr_queue_ptr 0
		.amdhsa_user_sgpr_kernarg_segment_ptr 1
		.amdhsa_user_sgpr_dispatch_id 0
		.amdhsa_user_sgpr_kernarg_preload_length 0
		.amdhsa_user_sgpr_kernarg_preload_offset 0
		.amdhsa_user_sgpr_private_segment_size 0
		.amdhsa_uses_dynamic_stack 0
		.amdhsa_enable_private_segment 0
		.amdhsa_system_sgpr_workgroup_id_x 1
		.amdhsa_system_sgpr_workgroup_id_y 0
		.amdhsa_system_sgpr_workgroup_id_z 0
		.amdhsa_system_sgpr_workgroup_info 0
		.amdhsa_system_vgpr_workitem_id 0
		.amdhsa_next_free_vgpr 1
		.amdhsa_next_free_sgpr 0
		.amdhsa_accum_offset 4
		.amdhsa_reserve_vcc 0
		.amdhsa_float_round_mode_32 0
		.amdhsa_float_round_mode_16_64 0
		.amdhsa_float_denorm_mode_32 3
		.amdhsa_float_denorm_mode_16_64 3
		.amdhsa_dx10_clamp 1
		.amdhsa_ieee_mode 1
		.amdhsa_fp16_overflow 0
		.amdhsa_tg_split 0
		.amdhsa_exception_fp_ieee_invalid_op 0
		.amdhsa_exception_fp_denorm_src 0
		.amdhsa_exception_fp_ieee_div_zero 0
		.amdhsa_exception_fp_ieee_overflow 0
		.amdhsa_exception_fp_ieee_underflow 0
		.amdhsa_exception_fp_ieee_inexact 0
		.amdhsa_exception_int_div_zero 0
	.end_amdhsa_kernel
	.section	.text._ZN7rocprim17ROCPRIM_400000_NS6detail17trampoline_kernelINS0_14default_configENS1_25partition_config_selectorILNS1_17partition_subalgoE9EllbEEZZNS1_14partition_implILS5_9ELb0ES3_jPlS8_PNS0_10empty_typeENS0_5tupleIJS8_S9_EEENSB_IJS8_SA_EEENS0_18inequality_wrapperIZN2at6native12_GLOBAL__N_124unique_dim_cuda_templateIiEESt5tupleIJNSF_6TensorESK_SK_EERKSK_lbbbEUlllE0_EEPmJS9_EEE10hipError_tPvRmT3_T4_T5_T6_T7_T9_mT8_P12ihipStream_tbDpT10_ENKUlT_T0_E_clISt17integral_constantIbLb1EES19_IbLb0EEEEDaS15_S16_EUlS15_E_NS1_11comp_targetILNS1_3genE2ELNS1_11target_archE906ELNS1_3gpuE6ELNS1_3repE0EEENS1_30default_config_static_selectorELNS0_4arch9wavefront6targetE1EEEvT1_,"axG",@progbits,_ZN7rocprim17ROCPRIM_400000_NS6detail17trampoline_kernelINS0_14default_configENS1_25partition_config_selectorILNS1_17partition_subalgoE9EllbEEZZNS1_14partition_implILS5_9ELb0ES3_jPlS8_PNS0_10empty_typeENS0_5tupleIJS8_S9_EEENSB_IJS8_SA_EEENS0_18inequality_wrapperIZN2at6native12_GLOBAL__N_124unique_dim_cuda_templateIiEESt5tupleIJNSF_6TensorESK_SK_EERKSK_lbbbEUlllE0_EEPmJS9_EEE10hipError_tPvRmT3_T4_T5_T6_T7_T9_mT8_P12ihipStream_tbDpT10_ENKUlT_T0_E_clISt17integral_constantIbLb1EES19_IbLb0EEEEDaS15_S16_EUlS15_E_NS1_11comp_targetILNS1_3genE2ELNS1_11target_archE906ELNS1_3gpuE6ELNS1_3repE0EEENS1_30default_config_static_selectorELNS0_4arch9wavefront6targetE1EEEvT1_,comdat
.Lfunc_end493:
	.size	_ZN7rocprim17ROCPRIM_400000_NS6detail17trampoline_kernelINS0_14default_configENS1_25partition_config_selectorILNS1_17partition_subalgoE9EllbEEZZNS1_14partition_implILS5_9ELb0ES3_jPlS8_PNS0_10empty_typeENS0_5tupleIJS8_S9_EEENSB_IJS8_SA_EEENS0_18inequality_wrapperIZN2at6native12_GLOBAL__N_124unique_dim_cuda_templateIiEESt5tupleIJNSF_6TensorESK_SK_EERKSK_lbbbEUlllE0_EEPmJS9_EEE10hipError_tPvRmT3_T4_T5_T6_T7_T9_mT8_P12ihipStream_tbDpT10_ENKUlT_T0_E_clISt17integral_constantIbLb1EES19_IbLb0EEEEDaS15_S16_EUlS15_E_NS1_11comp_targetILNS1_3genE2ELNS1_11target_archE906ELNS1_3gpuE6ELNS1_3repE0EEENS1_30default_config_static_selectorELNS0_4arch9wavefront6targetE1EEEvT1_, .Lfunc_end493-_ZN7rocprim17ROCPRIM_400000_NS6detail17trampoline_kernelINS0_14default_configENS1_25partition_config_selectorILNS1_17partition_subalgoE9EllbEEZZNS1_14partition_implILS5_9ELb0ES3_jPlS8_PNS0_10empty_typeENS0_5tupleIJS8_S9_EEENSB_IJS8_SA_EEENS0_18inequality_wrapperIZN2at6native12_GLOBAL__N_124unique_dim_cuda_templateIiEESt5tupleIJNSF_6TensorESK_SK_EERKSK_lbbbEUlllE0_EEPmJS9_EEE10hipError_tPvRmT3_T4_T5_T6_T7_T9_mT8_P12ihipStream_tbDpT10_ENKUlT_T0_E_clISt17integral_constantIbLb1EES19_IbLb0EEEEDaS15_S16_EUlS15_E_NS1_11comp_targetILNS1_3genE2ELNS1_11target_archE906ELNS1_3gpuE6ELNS1_3repE0EEENS1_30default_config_static_selectorELNS0_4arch9wavefront6targetE1EEEvT1_
                                        ; -- End function
	.set _ZN7rocprim17ROCPRIM_400000_NS6detail17trampoline_kernelINS0_14default_configENS1_25partition_config_selectorILNS1_17partition_subalgoE9EllbEEZZNS1_14partition_implILS5_9ELb0ES3_jPlS8_PNS0_10empty_typeENS0_5tupleIJS8_S9_EEENSB_IJS8_SA_EEENS0_18inequality_wrapperIZN2at6native12_GLOBAL__N_124unique_dim_cuda_templateIiEESt5tupleIJNSF_6TensorESK_SK_EERKSK_lbbbEUlllE0_EEPmJS9_EEE10hipError_tPvRmT3_T4_T5_T6_T7_T9_mT8_P12ihipStream_tbDpT10_ENKUlT_T0_E_clISt17integral_constantIbLb1EES19_IbLb0EEEEDaS15_S16_EUlS15_E_NS1_11comp_targetILNS1_3genE2ELNS1_11target_archE906ELNS1_3gpuE6ELNS1_3repE0EEENS1_30default_config_static_selectorELNS0_4arch9wavefront6targetE1EEEvT1_.num_vgpr, 0
	.set _ZN7rocprim17ROCPRIM_400000_NS6detail17trampoline_kernelINS0_14default_configENS1_25partition_config_selectorILNS1_17partition_subalgoE9EllbEEZZNS1_14partition_implILS5_9ELb0ES3_jPlS8_PNS0_10empty_typeENS0_5tupleIJS8_S9_EEENSB_IJS8_SA_EEENS0_18inequality_wrapperIZN2at6native12_GLOBAL__N_124unique_dim_cuda_templateIiEESt5tupleIJNSF_6TensorESK_SK_EERKSK_lbbbEUlllE0_EEPmJS9_EEE10hipError_tPvRmT3_T4_T5_T6_T7_T9_mT8_P12ihipStream_tbDpT10_ENKUlT_T0_E_clISt17integral_constantIbLb1EES19_IbLb0EEEEDaS15_S16_EUlS15_E_NS1_11comp_targetILNS1_3genE2ELNS1_11target_archE906ELNS1_3gpuE6ELNS1_3repE0EEENS1_30default_config_static_selectorELNS0_4arch9wavefront6targetE1EEEvT1_.num_agpr, 0
	.set _ZN7rocprim17ROCPRIM_400000_NS6detail17trampoline_kernelINS0_14default_configENS1_25partition_config_selectorILNS1_17partition_subalgoE9EllbEEZZNS1_14partition_implILS5_9ELb0ES3_jPlS8_PNS0_10empty_typeENS0_5tupleIJS8_S9_EEENSB_IJS8_SA_EEENS0_18inequality_wrapperIZN2at6native12_GLOBAL__N_124unique_dim_cuda_templateIiEESt5tupleIJNSF_6TensorESK_SK_EERKSK_lbbbEUlllE0_EEPmJS9_EEE10hipError_tPvRmT3_T4_T5_T6_T7_T9_mT8_P12ihipStream_tbDpT10_ENKUlT_T0_E_clISt17integral_constantIbLb1EES19_IbLb0EEEEDaS15_S16_EUlS15_E_NS1_11comp_targetILNS1_3genE2ELNS1_11target_archE906ELNS1_3gpuE6ELNS1_3repE0EEENS1_30default_config_static_selectorELNS0_4arch9wavefront6targetE1EEEvT1_.numbered_sgpr, 0
	.set _ZN7rocprim17ROCPRIM_400000_NS6detail17trampoline_kernelINS0_14default_configENS1_25partition_config_selectorILNS1_17partition_subalgoE9EllbEEZZNS1_14partition_implILS5_9ELb0ES3_jPlS8_PNS0_10empty_typeENS0_5tupleIJS8_S9_EEENSB_IJS8_SA_EEENS0_18inequality_wrapperIZN2at6native12_GLOBAL__N_124unique_dim_cuda_templateIiEESt5tupleIJNSF_6TensorESK_SK_EERKSK_lbbbEUlllE0_EEPmJS9_EEE10hipError_tPvRmT3_T4_T5_T6_T7_T9_mT8_P12ihipStream_tbDpT10_ENKUlT_T0_E_clISt17integral_constantIbLb1EES19_IbLb0EEEEDaS15_S16_EUlS15_E_NS1_11comp_targetILNS1_3genE2ELNS1_11target_archE906ELNS1_3gpuE6ELNS1_3repE0EEENS1_30default_config_static_selectorELNS0_4arch9wavefront6targetE1EEEvT1_.num_named_barrier, 0
	.set _ZN7rocprim17ROCPRIM_400000_NS6detail17trampoline_kernelINS0_14default_configENS1_25partition_config_selectorILNS1_17partition_subalgoE9EllbEEZZNS1_14partition_implILS5_9ELb0ES3_jPlS8_PNS0_10empty_typeENS0_5tupleIJS8_S9_EEENSB_IJS8_SA_EEENS0_18inequality_wrapperIZN2at6native12_GLOBAL__N_124unique_dim_cuda_templateIiEESt5tupleIJNSF_6TensorESK_SK_EERKSK_lbbbEUlllE0_EEPmJS9_EEE10hipError_tPvRmT3_T4_T5_T6_T7_T9_mT8_P12ihipStream_tbDpT10_ENKUlT_T0_E_clISt17integral_constantIbLb1EES19_IbLb0EEEEDaS15_S16_EUlS15_E_NS1_11comp_targetILNS1_3genE2ELNS1_11target_archE906ELNS1_3gpuE6ELNS1_3repE0EEENS1_30default_config_static_selectorELNS0_4arch9wavefront6targetE1EEEvT1_.private_seg_size, 0
	.set _ZN7rocprim17ROCPRIM_400000_NS6detail17trampoline_kernelINS0_14default_configENS1_25partition_config_selectorILNS1_17partition_subalgoE9EllbEEZZNS1_14partition_implILS5_9ELb0ES3_jPlS8_PNS0_10empty_typeENS0_5tupleIJS8_S9_EEENSB_IJS8_SA_EEENS0_18inequality_wrapperIZN2at6native12_GLOBAL__N_124unique_dim_cuda_templateIiEESt5tupleIJNSF_6TensorESK_SK_EERKSK_lbbbEUlllE0_EEPmJS9_EEE10hipError_tPvRmT3_T4_T5_T6_T7_T9_mT8_P12ihipStream_tbDpT10_ENKUlT_T0_E_clISt17integral_constantIbLb1EES19_IbLb0EEEEDaS15_S16_EUlS15_E_NS1_11comp_targetILNS1_3genE2ELNS1_11target_archE906ELNS1_3gpuE6ELNS1_3repE0EEENS1_30default_config_static_selectorELNS0_4arch9wavefront6targetE1EEEvT1_.uses_vcc, 0
	.set _ZN7rocprim17ROCPRIM_400000_NS6detail17trampoline_kernelINS0_14default_configENS1_25partition_config_selectorILNS1_17partition_subalgoE9EllbEEZZNS1_14partition_implILS5_9ELb0ES3_jPlS8_PNS0_10empty_typeENS0_5tupleIJS8_S9_EEENSB_IJS8_SA_EEENS0_18inequality_wrapperIZN2at6native12_GLOBAL__N_124unique_dim_cuda_templateIiEESt5tupleIJNSF_6TensorESK_SK_EERKSK_lbbbEUlllE0_EEPmJS9_EEE10hipError_tPvRmT3_T4_T5_T6_T7_T9_mT8_P12ihipStream_tbDpT10_ENKUlT_T0_E_clISt17integral_constantIbLb1EES19_IbLb0EEEEDaS15_S16_EUlS15_E_NS1_11comp_targetILNS1_3genE2ELNS1_11target_archE906ELNS1_3gpuE6ELNS1_3repE0EEENS1_30default_config_static_selectorELNS0_4arch9wavefront6targetE1EEEvT1_.uses_flat_scratch, 0
	.set _ZN7rocprim17ROCPRIM_400000_NS6detail17trampoline_kernelINS0_14default_configENS1_25partition_config_selectorILNS1_17partition_subalgoE9EllbEEZZNS1_14partition_implILS5_9ELb0ES3_jPlS8_PNS0_10empty_typeENS0_5tupleIJS8_S9_EEENSB_IJS8_SA_EEENS0_18inequality_wrapperIZN2at6native12_GLOBAL__N_124unique_dim_cuda_templateIiEESt5tupleIJNSF_6TensorESK_SK_EERKSK_lbbbEUlllE0_EEPmJS9_EEE10hipError_tPvRmT3_T4_T5_T6_T7_T9_mT8_P12ihipStream_tbDpT10_ENKUlT_T0_E_clISt17integral_constantIbLb1EES19_IbLb0EEEEDaS15_S16_EUlS15_E_NS1_11comp_targetILNS1_3genE2ELNS1_11target_archE906ELNS1_3gpuE6ELNS1_3repE0EEENS1_30default_config_static_selectorELNS0_4arch9wavefront6targetE1EEEvT1_.has_dyn_sized_stack, 0
	.set _ZN7rocprim17ROCPRIM_400000_NS6detail17trampoline_kernelINS0_14default_configENS1_25partition_config_selectorILNS1_17partition_subalgoE9EllbEEZZNS1_14partition_implILS5_9ELb0ES3_jPlS8_PNS0_10empty_typeENS0_5tupleIJS8_S9_EEENSB_IJS8_SA_EEENS0_18inequality_wrapperIZN2at6native12_GLOBAL__N_124unique_dim_cuda_templateIiEESt5tupleIJNSF_6TensorESK_SK_EERKSK_lbbbEUlllE0_EEPmJS9_EEE10hipError_tPvRmT3_T4_T5_T6_T7_T9_mT8_P12ihipStream_tbDpT10_ENKUlT_T0_E_clISt17integral_constantIbLb1EES19_IbLb0EEEEDaS15_S16_EUlS15_E_NS1_11comp_targetILNS1_3genE2ELNS1_11target_archE906ELNS1_3gpuE6ELNS1_3repE0EEENS1_30default_config_static_selectorELNS0_4arch9wavefront6targetE1EEEvT1_.has_recursion, 0
	.set _ZN7rocprim17ROCPRIM_400000_NS6detail17trampoline_kernelINS0_14default_configENS1_25partition_config_selectorILNS1_17partition_subalgoE9EllbEEZZNS1_14partition_implILS5_9ELb0ES3_jPlS8_PNS0_10empty_typeENS0_5tupleIJS8_S9_EEENSB_IJS8_SA_EEENS0_18inequality_wrapperIZN2at6native12_GLOBAL__N_124unique_dim_cuda_templateIiEESt5tupleIJNSF_6TensorESK_SK_EERKSK_lbbbEUlllE0_EEPmJS9_EEE10hipError_tPvRmT3_T4_T5_T6_T7_T9_mT8_P12ihipStream_tbDpT10_ENKUlT_T0_E_clISt17integral_constantIbLb1EES19_IbLb0EEEEDaS15_S16_EUlS15_E_NS1_11comp_targetILNS1_3genE2ELNS1_11target_archE906ELNS1_3gpuE6ELNS1_3repE0EEENS1_30default_config_static_selectorELNS0_4arch9wavefront6targetE1EEEvT1_.has_indirect_call, 0
	.section	.AMDGPU.csdata,"",@progbits
; Kernel info:
; codeLenInByte = 0
; TotalNumSgprs: 6
; NumVgprs: 0
; NumAgprs: 0
; TotalNumVgprs: 0
; ScratchSize: 0
; MemoryBound: 0
; FloatMode: 240
; IeeeMode: 1
; LDSByteSize: 0 bytes/workgroup (compile time only)
; SGPRBlocks: 0
; VGPRBlocks: 0
; NumSGPRsForWavesPerEU: 6
; NumVGPRsForWavesPerEU: 1
; AccumOffset: 4
; Occupancy: 8
; WaveLimiterHint : 0
; COMPUTE_PGM_RSRC2:SCRATCH_EN: 0
; COMPUTE_PGM_RSRC2:USER_SGPR: 2
; COMPUTE_PGM_RSRC2:TRAP_HANDLER: 0
; COMPUTE_PGM_RSRC2:TGID_X_EN: 1
; COMPUTE_PGM_RSRC2:TGID_Y_EN: 0
; COMPUTE_PGM_RSRC2:TGID_Z_EN: 0
; COMPUTE_PGM_RSRC2:TIDIG_COMP_CNT: 0
; COMPUTE_PGM_RSRC3_GFX90A:ACCUM_OFFSET: 0
; COMPUTE_PGM_RSRC3_GFX90A:TG_SPLIT: 0
	.section	.text._ZN7rocprim17ROCPRIM_400000_NS6detail17trampoline_kernelINS0_14default_configENS1_25partition_config_selectorILNS1_17partition_subalgoE9EllbEEZZNS1_14partition_implILS5_9ELb0ES3_jPlS8_PNS0_10empty_typeENS0_5tupleIJS8_S9_EEENSB_IJS8_SA_EEENS0_18inequality_wrapperIZN2at6native12_GLOBAL__N_124unique_dim_cuda_templateIiEESt5tupleIJNSF_6TensorESK_SK_EERKSK_lbbbEUlllE0_EEPmJS9_EEE10hipError_tPvRmT3_T4_T5_T6_T7_T9_mT8_P12ihipStream_tbDpT10_ENKUlT_T0_E_clISt17integral_constantIbLb1EES19_IbLb0EEEEDaS15_S16_EUlS15_E_NS1_11comp_targetILNS1_3genE10ELNS1_11target_archE1200ELNS1_3gpuE4ELNS1_3repE0EEENS1_30default_config_static_selectorELNS0_4arch9wavefront6targetE1EEEvT1_,"axG",@progbits,_ZN7rocprim17ROCPRIM_400000_NS6detail17trampoline_kernelINS0_14default_configENS1_25partition_config_selectorILNS1_17partition_subalgoE9EllbEEZZNS1_14partition_implILS5_9ELb0ES3_jPlS8_PNS0_10empty_typeENS0_5tupleIJS8_S9_EEENSB_IJS8_SA_EEENS0_18inequality_wrapperIZN2at6native12_GLOBAL__N_124unique_dim_cuda_templateIiEESt5tupleIJNSF_6TensorESK_SK_EERKSK_lbbbEUlllE0_EEPmJS9_EEE10hipError_tPvRmT3_T4_T5_T6_T7_T9_mT8_P12ihipStream_tbDpT10_ENKUlT_T0_E_clISt17integral_constantIbLb1EES19_IbLb0EEEEDaS15_S16_EUlS15_E_NS1_11comp_targetILNS1_3genE10ELNS1_11target_archE1200ELNS1_3gpuE4ELNS1_3repE0EEENS1_30default_config_static_selectorELNS0_4arch9wavefront6targetE1EEEvT1_,comdat
	.globl	_ZN7rocprim17ROCPRIM_400000_NS6detail17trampoline_kernelINS0_14default_configENS1_25partition_config_selectorILNS1_17partition_subalgoE9EllbEEZZNS1_14partition_implILS5_9ELb0ES3_jPlS8_PNS0_10empty_typeENS0_5tupleIJS8_S9_EEENSB_IJS8_SA_EEENS0_18inequality_wrapperIZN2at6native12_GLOBAL__N_124unique_dim_cuda_templateIiEESt5tupleIJNSF_6TensorESK_SK_EERKSK_lbbbEUlllE0_EEPmJS9_EEE10hipError_tPvRmT3_T4_T5_T6_T7_T9_mT8_P12ihipStream_tbDpT10_ENKUlT_T0_E_clISt17integral_constantIbLb1EES19_IbLb0EEEEDaS15_S16_EUlS15_E_NS1_11comp_targetILNS1_3genE10ELNS1_11target_archE1200ELNS1_3gpuE4ELNS1_3repE0EEENS1_30default_config_static_selectorELNS0_4arch9wavefront6targetE1EEEvT1_ ; -- Begin function _ZN7rocprim17ROCPRIM_400000_NS6detail17trampoline_kernelINS0_14default_configENS1_25partition_config_selectorILNS1_17partition_subalgoE9EllbEEZZNS1_14partition_implILS5_9ELb0ES3_jPlS8_PNS0_10empty_typeENS0_5tupleIJS8_S9_EEENSB_IJS8_SA_EEENS0_18inequality_wrapperIZN2at6native12_GLOBAL__N_124unique_dim_cuda_templateIiEESt5tupleIJNSF_6TensorESK_SK_EERKSK_lbbbEUlllE0_EEPmJS9_EEE10hipError_tPvRmT3_T4_T5_T6_T7_T9_mT8_P12ihipStream_tbDpT10_ENKUlT_T0_E_clISt17integral_constantIbLb1EES19_IbLb0EEEEDaS15_S16_EUlS15_E_NS1_11comp_targetILNS1_3genE10ELNS1_11target_archE1200ELNS1_3gpuE4ELNS1_3repE0EEENS1_30default_config_static_selectorELNS0_4arch9wavefront6targetE1EEEvT1_
	.p2align	8
	.type	_ZN7rocprim17ROCPRIM_400000_NS6detail17trampoline_kernelINS0_14default_configENS1_25partition_config_selectorILNS1_17partition_subalgoE9EllbEEZZNS1_14partition_implILS5_9ELb0ES3_jPlS8_PNS0_10empty_typeENS0_5tupleIJS8_S9_EEENSB_IJS8_SA_EEENS0_18inequality_wrapperIZN2at6native12_GLOBAL__N_124unique_dim_cuda_templateIiEESt5tupleIJNSF_6TensorESK_SK_EERKSK_lbbbEUlllE0_EEPmJS9_EEE10hipError_tPvRmT3_T4_T5_T6_T7_T9_mT8_P12ihipStream_tbDpT10_ENKUlT_T0_E_clISt17integral_constantIbLb1EES19_IbLb0EEEEDaS15_S16_EUlS15_E_NS1_11comp_targetILNS1_3genE10ELNS1_11target_archE1200ELNS1_3gpuE4ELNS1_3repE0EEENS1_30default_config_static_selectorELNS0_4arch9wavefront6targetE1EEEvT1_,@function
_ZN7rocprim17ROCPRIM_400000_NS6detail17trampoline_kernelINS0_14default_configENS1_25partition_config_selectorILNS1_17partition_subalgoE9EllbEEZZNS1_14partition_implILS5_9ELb0ES3_jPlS8_PNS0_10empty_typeENS0_5tupleIJS8_S9_EEENSB_IJS8_SA_EEENS0_18inequality_wrapperIZN2at6native12_GLOBAL__N_124unique_dim_cuda_templateIiEESt5tupleIJNSF_6TensorESK_SK_EERKSK_lbbbEUlllE0_EEPmJS9_EEE10hipError_tPvRmT3_T4_T5_T6_T7_T9_mT8_P12ihipStream_tbDpT10_ENKUlT_T0_E_clISt17integral_constantIbLb1EES19_IbLb0EEEEDaS15_S16_EUlS15_E_NS1_11comp_targetILNS1_3genE10ELNS1_11target_archE1200ELNS1_3gpuE4ELNS1_3repE0EEENS1_30default_config_static_selectorELNS0_4arch9wavefront6targetE1EEEvT1_: ; @_ZN7rocprim17ROCPRIM_400000_NS6detail17trampoline_kernelINS0_14default_configENS1_25partition_config_selectorILNS1_17partition_subalgoE9EllbEEZZNS1_14partition_implILS5_9ELb0ES3_jPlS8_PNS0_10empty_typeENS0_5tupleIJS8_S9_EEENSB_IJS8_SA_EEENS0_18inequality_wrapperIZN2at6native12_GLOBAL__N_124unique_dim_cuda_templateIiEESt5tupleIJNSF_6TensorESK_SK_EERKSK_lbbbEUlllE0_EEPmJS9_EEE10hipError_tPvRmT3_T4_T5_T6_T7_T9_mT8_P12ihipStream_tbDpT10_ENKUlT_T0_E_clISt17integral_constantIbLb1EES19_IbLb0EEEEDaS15_S16_EUlS15_E_NS1_11comp_targetILNS1_3genE10ELNS1_11target_archE1200ELNS1_3gpuE4ELNS1_3repE0EEENS1_30default_config_static_selectorELNS0_4arch9wavefront6targetE1EEEvT1_
; %bb.0:
	.section	.rodata,"a",@progbits
	.p2align	6, 0x0
	.amdhsa_kernel _ZN7rocprim17ROCPRIM_400000_NS6detail17trampoline_kernelINS0_14default_configENS1_25partition_config_selectorILNS1_17partition_subalgoE9EllbEEZZNS1_14partition_implILS5_9ELb0ES3_jPlS8_PNS0_10empty_typeENS0_5tupleIJS8_S9_EEENSB_IJS8_SA_EEENS0_18inequality_wrapperIZN2at6native12_GLOBAL__N_124unique_dim_cuda_templateIiEESt5tupleIJNSF_6TensorESK_SK_EERKSK_lbbbEUlllE0_EEPmJS9_EEE10hipError_tPvRmT3_T4_T5_T6_T7_T9_mT8_P12ihipStream_tbDpT10_ENKUlT_T0_E_clISt17integral_constantIbLb1EES19_IbLb0EEEEDaS15_S16_EUlS15_E_NS1_11comp_targetILNS1_3genE10ELNS1_11target_archE1200ELNS1_3gpuE4ELNS1_3repE0EEENS1_30default_config_static_selectorELNS0_4arch9wavefront6targetE1EEEvT1_
		.amdhsa_group_segment_fixed_size 0
		.amdhsa_private_segment_fixed_size 0
		.amdhsa_kernarg_size 120
		.amdhsa_user_sgpr_count 2
		.amdhsa_user_sgpr_dispatch_ptr 0
		.amdhsa_user_sgpr_queue_ptr 0
		.amdhsa_user_sgpr_kernarg_segment_ptr 1
		.amdhsa_user_sgpr_dispatch_id 0
		.amdhsa_user_sgpr_kernarg_preload_length 0
		.amdhsa_user_sgpr_kernarg_preload_offset 0
		.amdhsa_user_sgpr_private_segment_size 0
		.amdhsa_uses_dynamic_stack 0
		.amdhsa_enable_private_segment 0
		.amdhsa_system_sgpr_workgroup_id_x 1
		.amdhsa_system_sgpr_workgroup_id_y 0
		.amdhsa_system_sgpr_workgroup_id_z 0
		.amdhsa_system_sgpr_workgroup_info 0
		.amdhsa_system_vgpr_workitem_id 0
		.amdhsa_next_free_vgpr 1
		.amdhsa_next_free_sgpr 0
		.amdhsa_accum_offset 4
		.amdhsa_reserve_vcc 0
		.amdhsa_float_round_mode_32 0
		.amdhsa_float_round_mode_16_64 0
		.amdhsa_float_denorm_mode_32 3
		.amdhsa_float_denorm_mode_16_64 3
		.amdhsa_dx10_clamp 1
		.amdhsa_ieee_mode 1
		.amdhsa_fp16_overflow 0
		.amdhsa_tg_split 0
		.amdhsa_exception_fp_ieee_invalid_op 0
		.amdhsa_exception_fp_denorm_src 0
		.amdhsa_exception_fp_ieee_div_zero 0
		.amdhsa_exception_fp_ieee_overflow 0
		.amdhsa_exception_fp_ieee_underflow 0
		.amdhsa_exception_fp_ieee_inexact 0
		.amdhsa_exception_int_div_zero 0
	.end_amdhsa_kernel
	.section	.text._ZN7rocprim17ROCPRIM_400000_NS6detail17trampoline_kernelINS0_14default_configENS1_25partition_config_selectorILNS1_17partition_subalgoE9EllbEEZZNS1_14partition_implILS5_9ELb0ES3_jPlS8_PNS0_10empty_typeENS0_5tupleIJS8_S9_EEENSB_IJS8_SA_EEENS0_18inequality_wrapperIZN2at6native12_GLOBAL__N_124unique_dim_cuda_templateIiEESt5tupleIJNSF_6TensorESK_SK_EERKSK_lbbbEUlllE0_EEPmJS9_EEE10hipError_tPvRmT3_T4_T5_T6_T7_T9_mT8_P12ihipStream_tbDpT10_ENKUlT_T0_E_clISt17integral_constantIbLb1EES19_IbLb0EEEEDaS15_S16_EUlS15_E_NS1_11comp_targetILNS1_3genE10ELNS1_11target_archE1200ELNS1_3gpuE4ELNS1_3repE0EEENS1_30default_config_static_selectorELNS0_4arch9wavefront6targetE1EEEvT1_,"axG",@progbits,_ZN7rocprim17ROCPRIM_400000_NS6detail17trampoline_kernelINS0_14default_configENS1_25partition_config_selectorILNS1_17partition_subalgoE9EllbEEZZNS1_14partition_implILS5_9ELb0ES3_jPlS8_PNS0_10empty_typeENS0_5tupleIJS8_S9_EEENSB_IJS8_SA_EEENS0_18inequality_wrapperIZN2at6native12_GLOBAL__N_124unique_dim_cuda_templateIiEESt5tupleIJNSF_6TensorESK_SK_EERKSK_lbbbEUlllE0_EEPmJS9_EEE10hipError_tPvRmT3_T4_T5_T6_T7_T9_mT8_P12ihipStream_tbDpT10_ENKUlT_T0_E_clISt17integral_constantIbLb1EES19_IbLb0EEEEDaS15_S16_EUlS15_E_NS1_11comp_targetILNS1_3genE10ELNS1_11target_archE1200ELNS1_3gpuE4ELNS1_3repE0EEENS1_30default_config_static_selectorELNS0_4arch9wavefront6targetE1EEEvT1_,comdat
.Lfunc_end494:
	.size	_ZN7rocprim17ROCPRIM_400000_NS6detail17trampoline_kernelINS0_14default_configENS1_25partition_config_selectorILNS1_17partition_subalgoE9EllbEEZZNS1_14partition_implILS5_9ELb0ES3_jPlS8_PNS0_10empty_typeENS0_5tupleIJS8_S9_EEENSB_IJS8_SA_EEENS0_18inequality_wrapperIZN2at6native12_GLOBAL__N_124unique_dim_cuda_templateIiEESt5tupleIJNSF_6TensorESK_SK_EERKSK_lbbbEUlllE0_EEPmJS9_EEE10hipError_tPvRmT3_T4_T5_T6_T7_T9_mT8_P12ihipStream_tbDpT10_ENKUlT_T0_E_clISt17integral_constantIbLb1EES19_IbLb0EEEEDaS15_S16_EUlS15_E_NS1_11comp_targetILNS1_3genE10ELNS1_11target_archE1200ELNS1_3gpuE4ELNS1_3repE0EEENS1_30default_config_static_selectorELNS0_4arch9wavefront6targetE1EEEvT1_, .Lfunc_end494-_ZN7rocprim17ROCPRIM_400000_NS6detail17trampoline_kernelINS0_14default_configENS1_25partition_config_selectorILNS1_17partition_subalgoE9EllbEEZZNS1_14partition_implILS5_9ELb0ES3_jPlS8_PNS0_10empty_typeENS0_5tupleIJS8_S9_EEENSB_IJS8_SA_EEENS0_18inequality_wrapperIZN2at6native12_GLOBAL__N_124unique_dim_cuda_templateIiEESt5tupleIJNSF_6TensorESK_SK_EERKSK_lbbbEUlllE0_EEPmJS9_EEE10hipError_tPvRmT3_T4_T5_T6_T7_T9_mT8_P12ihipStream_tbDpT10_ENKUlT_T0_E_clISt17integral_constantIbLb1EES19_IbLb0EEEEDaS15_S16_EUlS15_E_NS1_11comp_targetILNS1_3genE10ELNS1_11target_archE1200ELNS1_3gpuE4ELNS1_3repE0EEENS1_30default_config_static_selectorELNS0_4arch9wavefront6targetE1EEEvT1_
                                        ; -- End function
	.set _ZN7rocprim17ROCPRIM_400000_NS6detail17trampoline_kernelINS0_14default_configENS1_25partition_config_selectorILNS1_17partition_subalgoE9EllbEEZZNS1_14partition_implILS5_9ELb0ES3_jPlS8_PNS0_10empty_typeENS0_5tupleIJS8_S9_EEENSB_IJS8_SA_EEENS0_18inequality_wrapperIZN2at6native12_GLOBAL__N_124unique_dim_cuda_templateIiEESt5tupleIJNSF_6TensorESK_SK_EERKSK_lbbbEUlllE0_EEPmJS9_EEE10hipError_tPvRmT3_T4_T5_T6_T7_T9_mT8_P12ihipStream_tbDpT10_ENKUlT_T0_E_clISt17integral_constantIbLb1EES19_IbLb0EEEEDaS15_S16_EUlS15_E_NS1_11comp_targetILNS1_3genE10ELNS1_11target_archE1200ELNS1_3gpuE4ELNS1_3repE0EEENS1_30default_config_static_selectorELNS0_4arch9wavefront6targetE1EEEvT1_.num_vgpr, 0
	.set _ZN7rocprim17ROCPRIM_400000_NS6detail17trampoline_kernelINS0_14default_configENS1_25partition_config_selectorILNS1_17partition_subalgoE9EllbEEZZNS1_14partition_implILS5_9ELb0ES3_jPlS8_PNS0_10empty_typeENS0_5tupleIJS8_S9_EEENSB_IJS8_SA_EEENS0_18inequality_wrapperIZN2at6native12_GLOBAL__N_124unique_dim_cuda_templateIiEESt5tupleIJNSF_6TensorESK_SK_EERKSK_lbbbEUlllE0_EEPmJS9_EEE10hipError_tPvRmT3_T4_T5_T6_T7_T9_mT8_P12ihipStream_tbDpT10_ENKUlT_T0_E_clISt17integral_constantIbLb1EES19_IbLb0EEEEDaS15_S16_EUlS15_E_NS1_11comp_targetILNS1_3genE10ELNS1_11target_archE1200ELNS1_3gpuE4ELNS1_3repE0EEENS1_30default_config_static_selectorELNS0_4arch9wavefront6targetE1EEEvT1_.num_agpr, 0
	.set _ZN7rocprim17ROCPRIM_400000_NS6detail17trampoline_kernelINS0_14default_configENS1_25partition_config_selectorILNS1_17partition_subalgoE9EllbEEZZNS1_14partition_implILS5_9ELb0ES3_jPlS8_PNS0_10empty_typeENS0_5tupleIJS8_S9_EEENSB_IJS8_SA_EEENS0_18inequality_wrapperIZN2at6native12_GLOBAL__N_124unique_dim_cuda_templateIiEESt5tupleIJNSF_6TensorESK_SK_EERKSK_lbbbEUlllE0_EEPmJS9_EEE10hipError_tPvRmT3_T4_T5_T6_T7_T9_mT8_P12ihipStream_tbDpT10_ENKUlT_T0_E_clISt17integral_constantIbLb1EES19_IbLb0EEEEDaS15_S16_EUlS15_E_NS1_11comp_targetILNS1_3genE10ELNS1_11target_archE1200ELNS1_3gpuE4ELNS1_3repE0EEENS1_30default_config_static_selectorELNS0_4arch9wavefront6targetE1EEEvT1_.numbered_sgpr, 0
	.set _ZN7rocprim17ROCPRIM_400000_NS6detail17trampoline_kernelINS0_14default_configENS1_25partition_config_selectorILNS1_17partition_subalgoE9EllbEEZZNS1_14partition_implILS5_9ELb0ES3_jPlS8_PNS0_10empty_typeENS0_5tupleIJS8_S9_EEENSB_IJS8_SA_EEENS0_18inequality_wrapperIZN2at6native12_GLOBAL__N_124unique_dim_cuda_templateIiEESt5tupleIJNSF_6TensorESK_SK_EERKSK_lbbbEUlllE0_EEPmJS9_EEE10hipError_tPvRmT3_T4_T5_T6_T7_T9_mT8_P12ihipStream_tbDpT10_ENKUlT_T0_E_clISt17integral_constantIbLb1EES19_IbLb0EEEEDaS15_S16_EUlS15_E_NS1_11comp_targetILNS1_3genE10ELNS1_11target_archE1200ELNS1_3gpuE4ELNS1_3repE0EEENS1_30default_config_static_selectorELNS0_4arch9wavefront6targetE1EEEvT1_.num_named_barrier, 0
	.set _ZN7rocprim17ROCPRIM_400000_NS6detail17trampoline_kernelINS0_14default_configENS1_25partition_config_selectorILNS1_17partition_subalgoE9EllbEEZZNS1_14partition_implILS5_9ELb0ES3_jPlS8_PNS0_10empty_typeENS0_5tupleIJS8_S9_EEENSB_IJS8_SA_EEENS0_18inequality_wrapperIZN2at6native12_GLOBAL__N_124unique_dim_cuda_templateIiEESt5tupleIJNSF_6TensorESK_SK_EERKSK_lbbbEUlllE0_EEPmJS9_EEE10hipError_tPvRmT3_T4_T5_T6_T7_T9_mT8_P12ihipStream_tbDpT10_ENKUlT_T0_E_clISt17integral_constantIbLb1EES19_IbLb0EEEEDaS15_S16_EUlS15_E_NS1_11comp_targetILNS1_3genE10ELNS1_11target_archE1200ELNS1_3gpuE4ELNS1_3repE0EEENS1_30default_config_static_selectorELNS0_4arch9wavefront6targetE1EEEvT1_.private_seg_size, 0
	.set _ZN7rocprim17ROCPRIM_400000_NS6detail17trampoline_kernelINS0_14default_configENS1_25partition_config_selectorILNS1_17partition_subalgoE9EllbEEZZNS1_14partition_implILS5_9ELb0ES3_jPlS8_PNS0_10empty_typeENS0_5tupleIJS8_S9_EEENSB_IJS8_SA_EEENS0_18inequality_wrapperIZN2at6native12_GLOBAL__N_124unique_dim_cuda_templateIiEESt5tupleIJNSF_6TensorESK_SK_EERKSK_lbbbEUlllE0_EEPmJS9_EEE10hipError_tPvRmT3_T4_T5_T6_T7_T9_mT8_P12ihipStream_tbDpT10_ENKUlT_T0_E_clISt17integral_constantIbLb1EES19_IbLb0EEEEDaS15_S16_EUlS15_E_NS1_11comp_targetILNS1_3genE10ELNS1_11target_archE1200ELNS1_3gpuE4ELNS1_3repE0EEENS1_30default_config_static_selectorELNS0_4arch9wavefront6targetE1EEEvT1_.uses_vcc, 0
	.set _ZN7rocprim17ROCPRIM_400000_NS6detail17trampoline_kernelINS0_14default_configENS1_25partition_config_selectorILNS1_17partition_subalgoE9EllbEEZZNS1_14partition_implILS5_9ELb0ES3_jPlS8_PNS0_10empty_typeENS0_5tupleIJS8_S9_EEENSB_IJS8_SA_EEENS0_18inequality_wrapperIZN2at6native12_GLOBAL__N_124unique_dim_cuda_templateIiEESt5tupleIJNSF_6TensorESK_SK_EERKSK_lbbbEUlllE0_EEPmJS9_EEE10hipError_tPvRmT3_T4_T5_T6_T7_T9_mT8_P12ihipStream_tbDpT10_ENKUlT_T0_E_clISt17integral_constantIbLb1EES19_IbLb0EEEEDaS15_S16_EUlS15_E_NS1_11comp_targetILNS1_3genE10ELNS1_11target_archE1200ELNS1_3gpuE4ELNS1_3repE0EEENS1_30default_config_static_selectorELNS0_4arch9wavefront6targetE1EEEvT1_.uses_flat_scratch, 0
	.set _ZN7rocprim17ROCPRIM_400000_NS6detail17trampoline_kernelINS0_14default_configENS1_25partition_config_selectorILNS1_17partition_subalgoE9EllbEEZZNS1_14partition_implILS5_9ELb0ES3_jPlS8_PNS0_10empty_typeENS0_5tupleIJS8_S9_EEENSB_IJS8_SA_EEENS0_18inequality_wrapperIZN2at6native12_GLOBAL__N_124unique_dim_cuda_templateIiEESt5tupleIJNSF_6TensorESK_SK_EERKSK_lbbbEUlllE0_EEPmJS9_EEE10hipError_tPvRmT3_T4_T5_T6_T7_T9_mT8_P12ihipStream_tbDpT10_ENKUlT_T0_E_clISt17integral_constantIbLb1EES19_IbLb0EEEEDaS15_S16_EUlS15_E_NS1_11comp_targetILNS1_3genE10ELNS1_11target_archE1200ELNS1_3gpuE4ELNS1_3repE0EEENS1_30default_config_static_selectorELNS0_4arch9wavefront6targetE1EEEvT1_.has_dyn_sized_stack, 0
	.set _ZN7rocprim17ROCPRIM_400000_NS6detail17trampoline_kernelINS0_14default_configENS1_25partition_config_selectorILNS1_17partition_subalgoE9EllbEEZZNS1_14partition_implILS5_9ELb0ES3_jPlS8_PNS0_10empty_typeENS0_5tupleIJS8_S9_EEENSB_IJS8_SA_EEENS0_18inequality_wrapperIZN2at6native12_GLOBAL__N_124unique_dim_cuda_templateIiEESt5tupleIJNSF_6TensorESK_SK_EERKSK_lbbbEUlllE0_EEPmJS9_EEE10hipError_tPvRmT3_T4_T5_T6_T7_T9_mT8_P12ihipStream_tbDpT10_ENKUlT_T0_E_clISt17integral_constantIbLb1EES19_IbLb0EEEEDaS15_S16_EUlS15_E_NS1_11comp_targetILNS1_3genE10ELNS1_11target_archE1200ELNS1_3gpuE4ELNS1_3repE0EEENS1_30default_config_static_selectorELNS0_4arch9wavefront6targetE1EEEvT1_.has_recursion, 0
	.set _ZN7rocprim17ROCPRIM_400000_NS6detail17trampoline_kernelINS0_14default_configENS1_25partition_config_selectorILNS1_17partition_subalgoE9EllbEEZZNS1_14partition_implILS5_9ELb0ES3_jPlS8_PNS0_10empty_typeENS0_5tupleIJS8_S9_EEENSB_IJS8_SA_EEENS0_18inequality_wrapperIZN2at6native12_GLOBAL__N_124unique_dim_cuda_templateIiEESt5tupleIJNSF_6TensorESK_SK_EERKSK_lbbbEUlllE0_EEPmJS9_EEE10hipError_tPvRmT3_T4_T5_T6_T7_T9_mT8_P12ihipStream_tbDpT10_ENKUlT_T0_E_clISt17integral_constantIbLb1EES19_IbLb0EEEEDaS15_S16_EUlS15_E_NS1_11comp_targetILNS1_3genE10ELNS1_11target_archE1200ELNS1_3gpuE4ELNS1_3repE0EEENS1_30default_config_static_selectorELNS0_4arch9wavefront6targetE1EEEvT1_.has_indirect_call, 0
	.section	.AMDGPU.csdata,"",@progbits
; Kernel info:
; codeLenInByte = 0
; TotalNumSgprs: 6
; NumVgprs: 0
; NumAgprs: 0
; TotalNumVgprs: 0
; ScratchSize: 0
; MemoryBound: 0
; FloatMode: 240
; IeeeMode: 1
; LDSByteSize: 0 bytes/workgroup (compile time only)
; SGPRBlocks: 0
; VGPRBlocks: 0
; NumSGPRsForWavesPerEU: 6
; NumVGPRsForWavesPerEU: 1
; AccumOffset: 4
; Occupancy: 8
; WaveLimiterHint : 0
; COMPUTE_PGM_RSRC2:SCRATCH_EN: 0
; COMPUTE_PGM_RSRC2:USER_SGPR: 2
; COMPUTE_PGM_RSRC2:TRAP_HANDLER: 0
; COMPUTE_PGM_RSRC2:TGID_X_EN: 1
; COMPUTE_PGM_RSRC2:TGID_Y_EN: 0
; COMPUTE_PGM_RSRC2:TGID_Z_EN: 0
; COMPUTE_PGM_RSRC2:TIDIG_COMP_CNT: 0
; COMPUTE_PGM_RSRC3_GFX90A:ACCUM_OFFSET: 0
; COMPUTE_PGM_RSRC3_GFX90A:TG_SPLIT: 0
	.section	.text._ZN7rocprim17ROCPRIM_400000_NS6detail17trampoline_kernelINS0_14default_configENS1_25partition_config_selectorILNS1_17partition_subalgoE9EllbEEZZNS1_14partition_implILS5_9ELb0ES3_jPlS8_PNS0_10empty_typeENS0_5tupleIJS8_S9_EEENSB_IJS8_SA_EEENS0_18inequality_wrapperIZN2at6native12_GLOBAL__N_124unique_dim_cuda_templateIiEESt5tupleIJNSF_6TensorESK_SK_EERKSK_lbbbEUlllE0_EEPmJS9_EEE10hipError_tPvRmT3_T4_T5_T6_T7_T9_mT8_P12ihipStream_tbDpT10_ENKUlT_T0_E_clISt17integral_constantIbLb1EES19_IbLb0EEEEDaS15_S16_EUlS15_E_NS1_11comp_targetILNS1_3genE9ELNS1_11target_archE1100ELNS1_3gpuE3ELNS1_3repE0EEENS1_30default_config_static_selectorELNS0_4arch9wavefront6targetE1EEEvT1_,"axG",@progbits,_ZN7rocprim17ROCPRIM_400000_NS6detail17trampoline_kernelINS0_14default_configENS1_25partition_config_selectorILNS1_17partition_subalgoE9EllbEEZZNS1_14partition_implILS5_9ELb0ES3_jPlS8_PNS0_10empty_typeENS0_5tupleIJS8_S9_EEENSB_IJS8_SA_EEENS0_18inequality_wrapperIZN2at6native12_GLOBAL__N_124unique_dim_cuda_templateIiEESt5tupleIJNSF_6TensorESK_SK_EERKSK_lbbbEUlllE0_EEPmJS9_EEE10hipError_tPvRmT3_T4_T5_T6_T7_T9_mT8_P12ihipStream_tbDpT10_ENKUlT_T0_E_clISt17integral_constantIbLb1EES19_IbLb0EEEEDaS15_S16_EUlS15_E_NS1_11comp_targetILNS1_3genE9ELNS1_11target_archE1100ELNS1_3gpuE3ELNS1_3repE0EEENS1_30default_config_static_selectorELNS0_4arch9wavefront6targetE1EEEvT1_,comdat
	.globl	_ZN7rocprim17ROCPRIM_400000_NS6detail17trampoline_kernelINS0_14default_configENS1_25partition_config_selectorILNS1_17partition_subalgoE9EllbEEZZNS1_14partition_implILS5_9ELb0ES3_jPlS8_PNS0_10empty_typeENS0_5tupleIJS8_S9_EEENSB_IJS8_SA_EEENS0_18inequality_wrapperIZN2at6native12_GLOBAL__N_124unique_dim_cuda_templateIiEESt5tupleIJNSF_6TensorESK_SK_EERKSK_lbbbEUlllE0_EEPmJS9_EEE10hipError_tPvRmT3_T4_T5_T6_T7_T9_mT8_P12ihipStream_tbDpT10_ENKUlT_T0_E_clISt17integral_constantIbLb1EES19_IbLb0EEEEDaS15_S16_EUlS15_E_NS1_11comp_targetILNS1_3genE9ELNS1_11target_archE1100ELNS1_3gpuE3ELNS1_3repE0EEENS1_30default_config_static_selectorELNS0_4arch9wavefront6targetE1EEEvT1_ ; -- Begin function _ZN7rocprim17ROCPRIM_400000_NS6detail17trampoline_kernelINS0_14default_configENS1_25partition_config_selectorILNS1_17partition_subalgoE9EllbEEZZNS1_14partition_implILS5_9ELb0ES3_jPlS8_PNS0_10empty_typeENS0_5tupleIJS8_S9_EEENSB_IJS8_SA_EEENS0_18inequality_wrapperIZN2at6native12_GLOBAL__N_124unique_dim_cuda_templateIiEESt5tupleIJNSF_6TensorESK_SK_EERKSK_lbbbEUlllE0_EEPmJS9_EEE10hipError_tPvRmT3_T4_T5_T6_T7_T9_mT8_P12ihipStream_tbDpT10_ENKUlT_T0_E_clISt17integral_constantIbLb1EES19_IbLb0EEEEDaS15_S16_EUlS15_E_NS1_11comp_targetILNS1_3genE9ELNS1_11target_archE1100ELNS1_3gpuE3ELNS1_3repE0EEENS1_30default_config_static_selectorELNS0_4arch9wavefront6targetE1EEEvT1_
	.p2align	8
	.type	_ZN7rocprim17ROCPRIM_400000_NS6detail17trampoline_kernelINS0_14default_configENS1_25partition_config_selectorILNS1_17partition_subalgoE9EllbEEZZNS1_14partition_implILS5_9ELb0ES3_jPlS8_PNS0_10empty_typeENS0_5tupleIJS8_S9_EEENSB_IJS8_SA_EEENS0_18inequality_wrapperIZN2at6native12_GLOBAL__N_124unique_dim_cuda_templateIiEESt5tupleIJNSF_6TensorESK_SK_EERKSK_lbbbEUlllE0_EEPmJS9_EEE10hipError_tPvRmT3_T4_T5_T6_T7_T9_mT8_P12ihipStream_tbDpT10_ENKUlT_T0_E_clISt17integral_constantIbLb1EES19_IbLb0EEEEDaS15_S16_EUlS15_E_NS1_11comp_targetILNS1_3genE9ELNS1_11target_archE1100ELNS1_3gpuE3ELNS1_3repE0EEENS1_30default_config_static_selectorELNS0_4arch9wavefront6targetE1EEEvT1_,@function
_ZN7rocprim17ROCPRIM_400000_NS6detail17trampoline_kernelINS0_14default_configENS1_25partition_config_selectorILNS1_17partition_subalgoE9EllbEEZZNS1_14partition_implILS5_9ELb0ES3_jPlS8_PNS0_10empty_typeENS0_5tupleIJS8_S9_EEENSB_IJS8_SA_EEENS0_18inequality_wrapperIZN2at6native12_GLOBAL__N_124unique_dim_cuda_templateIiEESt5tupleIJNSF_6TensorESK_SK_EERKSK_lbbbEUlllE0_EEPmJS9_EEE10hipError_tPvRmT3_T4_T5_T6_T7_T9_mT8_P12ihipStream_tbDpT10_ENKUlT_T0_E_clISt17integral_constantIbLb1EES19_IbLb0EEEEDaS15_S16_EUlS15_E_NS1_11comp_targetILNS1_3genE9ELNS1_11target_archE1100ELNS1_3gpuE3ELNS1_3repE0EEENS1_30default_config_static_selectorELNS0_4arch9wavefront6targetE1EEEvT1_: ; @_ZN7rocprim17ROCPRIM_400000_NS6detail17trampoline_kernelINS0_14default_configENS1_25partition_config_selectorILNS1_17partition_subalgoE9EllbEEZZNS1_14partition_implILS5_9ELb0ES3_jPlS8_PNS0_10empty_typeENS0_5tupleIJS8_S9_EEENSB_IJS8_SA_EEENS0_18inequality_wrapperIZN2at6native12_GLOBAL__N_124unique_dim_cuda_templateIiEESt5tupleIJNSF_6TensorESK_SK_EERKSK_lbbbEUlllE0_EEPmJS9_EEE10hipError_tPvRmT3_T4_T5_T6_T7_T9_mT8_P12ihipStream_tbDpT10_ENKUlT_T0_E_clISt17integral_constantIbLb1EES19_IbLb0EEEEDaS15_S16_EUlS15_E_NS1_11comp_targetILNS1_3genE9ELNS1_11target_archE1100ELNS1_3gpuE3ELNS1_3repE0EEENS1_30default_config_static_selectorELNS0_4arch9wavefront6targetE1EEEvT1_
; %bb.0:
	.section	.rodata,"a",@progbits
	.p2align	6, 0x0
	.amdhsa_kernel _ZN7rocprim17ROCPRIM_400000_NS6detail17trampoline_kernelINS0_14default_configENS1_25partition_config_selectorILNS1_17partition_subalgoE9EllbEEZZNS1_14partition_implILS5_9ELb0ES3_jPlS8_PNS0_10empty_typeENS0_5tupleIJS8_S9_EEENSB_IJS8_SA_EEENS0_18inequality_wrapperIZN2at6native12_GLOBAL__N_124unique_dim_cuda_templateIiEESt5tupleIJNSF_6TensorESK_SK_EERKSK_lbbbEUlllE0_EEPmJS9_EEE10hipError_tPvRmT3_T4_T5_T6_T7_T9_mT8_P12ihipStream_tbDpT10_ENKUlT_T0_E_clISt17integral_constantIbLb1EES19_IbLb0EEEEDaS15_S16_EUlS15_E_NS1_11comp_targetILNS1_3genE9ELNS1_11target_archE1100ELNS1_3gpuE3ELNS1_3repE0EEENS1_30default_config_static_selectorELNS0_4arch9wavefront6targetE1EEEvT1_
		.amdhsa_group_segment_fixed_size 0
		.amdhsa_private_segment_fixed_size 0
		.amdhsa_kernarg_size 120
		.amdhsa_user_sgpr_count 2
		.amdhsa_user_sgpr_dispatch_ptr 0
		.amdhsa_user_sgpr_queue_ptr 0
		.amdhsa_user_sgpr_kernarg_segment_ptr 1
		.amdhsa_user_sgpr_dispatch_id 0
		.amdhsa_user_sgpr_kernarg_preload_length 0
		.amdhsa_user_sgpr_kernarg_preload_offset 0
		.amdhsa_user_sgpr_private_segment_size 0
		.amdhsa_uses_dynamic_stack 0
		.amdhsa_enable_private_segment 0
		.amdhsa_system_sgpr_workgroup_id_x 1
		.amdhsa_system_sgpr_workgroup_id_y 0
		.amdhsa_system_sgpr_workgroup_id_z 0
		.amdhsa_system_sgpr_workgroup_info 0
		.amdhsa_system_vgpr_workitem_id 0
		.amdhsa_next_free_vgpr 1
		.amdhsa_next_free_sgpr 0
		.amdhsa_accum_offset 4
		.amdhsa_reserve_vcc 0
		.amdhsa_float_round_mode_32 0
		.amdhsa_float_round_mode_16_64 0
		.amdhsa_float_denorm_mode_32 3
		.amdhsa_float_denorm_mode_16_64 3
		.amdhsa_dx10_clamp 1
		.amdhsa_ieee_mode 1
		.amdhsa_fp16_overflow 0
		.amdhsa_tg_split 0
		.amdhsa_exception_fp_ieee_invalid_op 0
		.amdhsa_exception_fp_denorm_src 0
		.amdhsa_exception_fp_ieee_div_zero 0
		.amdhsa_exception_fp_ieee_overflow 0
		.amdhsa_exception_fp_ieee_underflow 0
		.amdhsa_exception_fp_ieee_inexact 0
		.amdhsa_exception_int_div_zero 0
	.end_amdhsa_kernel
	.section	.text._ZN7rocprim17ROCPRIM_400000_NS6detail17trampoline_kernelINS0_14default_configENS1_25partition_config_selectorILNS1_17partition_subalgoE9EllbEEZZNS1_14partition_implILS5_9ELb0ES3_jPlS8_PNS0_10empty_typeENS0_5tupleIJS8_S9_EEENSB_IJS8_SA_EEENS0_18inequality_wrapperIZN2at6native12_GLOBAL__N_124unique_dim_cuda_templateIiEESt5tupleIJNSF_6TensorESK_SK_EERKSK_lbbbEUlllE0_EEPmJS9_EEE10hipError_tPvRmT3_T4_T5_T6_T7_T9_mT8_P12ihipStream_tbDpT10_ENKUlT_T0_E_clISt17integral_constantIbLb1EES19_IbLb0EEEEDaS15_S16_EUlS15_E_NS1_11comp_targetILNS1_3genE9ELNS1_11target_archE1100ELNS1_3gpuE3ELNS1_3repE0EEENS1_30default_config_static_selectorELNS0_4arch9wavefront6targetE1EEEvT1_,"axG",@progbits,_ZN7rocprim17ROCPRIM_400000_NS6detail17trampoline_kernelINS0_14default_configENS1_25partition_config_selectorILNS1_17partition_subalgoE9EllbEEZZNS1_14partition_implILS5_9ELb0ES3_jPlS8_PNS0_10empty_typeENS0_5tupleIJS8_S9_EEENSB_IJS8_SA_EEENS0_18inequality_wrapperIZN2at6native12_GLOBAL__N_124unique_dim_cuda_templateIiEESt5tupleIJNSF_6TensorESK_SK_EERKSK_lbbbEUlllE0_EEPmJS9_EEE10hipError_tPvRmT3_T4_T5_T6_T7_T9_mT8_P12ihipStream_tbDpT10_ENKUlT_T0_E_clISt17integral_constantIbLb1EES19_IbLb0EEEEDaS15_S16_EUlS15_E_NS1_11comp_targetILNS1_3genE9ELNS1_11target_archE1100ELNS1_3gpuE3ELNS1_3repE0EEENS1_30default_config_static_selectorELNS0_4arch9wavefront6targetE1EEEvT1_,comdat
.Lfunc_end495:
	.size	_ZN7rocprim17ROCPRIM_400000_NS6detail17trampoline_kernelINS0_14default_configENS1_25partition_config_selectorILNS1_17partition_subalgoE9EllbEEZZNS1_14partition_implILS5_9ELb0ES3_jPlS8_PNS0_10empty_typeENS0_5tupleIJS8_S9_EEENSB_IJS8_SA_EEENS0_18inequality_wrapperIZN2at6native12_GLOBAL__N_124unique_dim_cuda_templateIiEESt5tupleIJNSF_6TensorESK_SK_EERKSK_lbbbEUlllE0_EEPmJS9_EEE10hipError_tPvRmT3_T4_T5_T6_T7_T9_mT8_P12ihipStream_tbDpT10_ENKUlT_T0_E_clISt17integral_constantIbLb1EES19_IbLb0EEEEDaS15_S16_EUlS15_E_NS1_11comp_targetILNS1_3genE9ELNS1_11target_archE1100ELNS1_3gpuE3ELNS1_3repE0EEENS1_30default_config_static_selectorELNS0_4arch9wavefront6targetE1EEEvT1_, .Lfunc_end495-_ZN7rocprim17ROCPRIM_400000_NS6detail17trampoline_kernelINS0_14default_configENS1_25partition_config_selectorILNS1_17partition_subalgoE9EllbEEZZNS1_14partition_implILS5_9ELb0ES3_jPlS8_PNS0_10empty_typeENS0_5tupleIJS8_S9_EEENSB_IJS8_SA_EEENS0_18inequality_wrapperIZN2at6native12_GLOBAL__N_124unique_dim_cuda_templateIiEESt5tupleIJNSF_6TensorESK_SK_EERKSK_lbbbEUlllE0_EEPmJS9_EEE10hipError_tPvRmT3_T4_T5_T6_T7_T9_mT8_P12ihipStream_tbDpT10_ENKUlT_T0_E_clISt17integral_constantIbLb1EES19_IbLb0EEEEDaS15_S16_EUlS15_E_NS1_11comp_targetILNS1_3genE9ELNS1_11target_archE1100ELNS1_3gpuE3ELNS1_3repE0EEENS1_30default_config_static_selectorELNS0_4arch9wavefront6targetE1EEEvT1_
                                        ; -- End function
	.set _ZN7rocprim17ROCPRIM_400000_NS6detail17trampoline_kernelINS0_14default_configENS1_25partition_config_selectorILNS1_17partition_subalgoE9EllbEEZZNS1_14partition_implILS5_9ELb0ES3_jPlS8_PNS0_10empty_typeENS0_5tupleIJS8_S9_EEENSB_IJS8_SA_EEENS0_18inequality_wrapperIZN2at6native12_GLOBAL__N_124unique_dim_cuda_templateIiEESt5tupleIJNSF_6TensorESK_SK_EERKSK_lbbbEUlllE0_EEPmJS9_EEE10hipError_tPvRmT3_T4_T5_T6_T7_T9_mT8_P12ihipStream_tbDpT10_ENKUlT_T0_E_clISt17integral_constantIbLb1EES19_IbLb0EEEEDaS15_S16_EUlS15_E_NS1_11comp_targetILNS1_3genE9ELNS1_11target_archE1100ELNS1_3gpuE3ELNS1_3repE0EEENS1_30default_config_static_selectorELNS0_4arch9wavefront6targetE1EEEvT1_.num_vgpr, 0
	.set _ZN7rocprim17ROCPRIM_400000_NS6detail17trampoline_kernelINS0_14default_configENS1_25partition_config_selectorILNS1_17partition_subalgoE9EllbEEZZNS1_14partition_implILS5_9ELb0ES3_jPlS8_PNS0_10empty_typeENS0_5tupleIJS8_S9_EEENSB_IJS8_SA_EEENS0_18inequality_wrapperIZN2at6native12_GLOBAL__N_124unique_dim_cuda_templateIiEESt5tupleIJNSF_6TensorESK_SK_EERKSK_lbbbEUlllE0_EEPmJS9_EEE10hipError_tPvRmT3_T4_T5_T6_T7_T9_mT8_P12ihipStream_tbDpT10_ENKUlT_T0_E_clISt17integral_constantIbLb1EES19_IbLb0EEEEDaS15_S16_EUlS15_E_NS1_11comp_targetILNS1_3genE9ELNS1_11target_archE1100ELNS1_3gpuE3ELNS1_3repE0EEENS1_30default_config_static_selectorELNS0_4arch9wavefront6targetE1EEEvT1_.num_agpr, 0
	.set _ZN7rocprim17ROCPRIM_400000_NS6detail17trampoline_kernelINS0_14default_configENS1_25partition_config_selectorILNS1_17partition_subalgoE9EllbEEZZNS1_14partition_implILS5_9ELb0ES3_jPlS8_PNS0_10empty_typeENS0_5tupleIJS8_S9_EEENSB_IJS8_SA_EEENS0_18inequality_wrapperIZN2at6native12_GLOBAL__N_124unique_dim_cuda_templateIiEESt5tupleIJNSF_6TensorESK_SK_EERKSK_lbbbEUlllE0_EEPmJS9_EEE10hipError_tPvRmT3_T4_T5_T6_T7_T9_mT8_P12ihipStream_tbDpT10_ENKUlT_T0_E_clISt17integral_constantIbLb1EES19_IbLb0EEEEDaS15_S16_EUlS15_E_NS1_11comp_targetILNS1_3genE9ELNS1_11target_archE1100ELNS1_3gpuE3ELNS1_3repE0EEENS1_30default_config_static_selectorELNS0_4arch9wavefront6targetE1EEEvT1_.numbered_sgpr, 0
	.set _ZN7rocprim17ROCPRIM_400000_NS6detail17trampoline_kernelINS0_14default_configENS1_25partition_config_selectorILNS1_17partition_subalgoE9EllbEEZZNS1_14partition_implILS5_9ELb0ES3_jPlS8_PNS0_10empty_typeENS0_5tupleIJS8_S9_EEENSB_IJS8_SA_EEENS0_18inequality_wrapperIZN2at6native12_GLOBAL__N_124unique_dim_cuda_templateIiEESt5tupleIJNSF_6TensorESK_SK_EERKSK_lbbbEUlllE0_EEPmJS9_EEE10hipError_tPvRmT3_T4_T5_T6_T7_T9_mT8_P12ihipStream_tbDpT10_ENKUlT_T0_E_clISt17integral_constantIbLb1EES19_IbLb0EEEEDaS15_S16_EUlS15_E_NS1_11comp_targetILNS1_3genE9ELNS1_11target_archE1100ELNS1_3gpuE3ELNS1_3repE0EEENS1_30default_config_static_selectorELNS0_4arch9wavefront6targetE1EEEvT1_.num_named_barrier, 0
	.set _ZN7rocprim17ROCPRIM_400000_NS6detail17trampoline_kernelINS0_14default_configENS1_25partition_config_selectorILNS1_17partition_subalgoE9EllbEEZZNS1_14partition_implILS5_9ELb0ES3_jPlS8_PNS0_10empty_typeENS0_5tupleIJS8_S9_EEENSB_IJS8_SA_EEENS0_18inequality_wrapperIZN2at6native12_GLOBAL__N_124unique_dim_cuda_templateIiEESt5tupleIJNSF_6TensorESK_SK_EERKSK_lbbbEUlllE0_EEPmJS9_EEE10hipError_tPvRmT3_T4_T5_T6_T7_T9_mT8_P12ihipStream_tbDpT10_ENKUlT_T0_E_clISt17integral_constantIbLb1EES19_IbLb0EEEEDaS15_S16_EUlS15_E_NS1_11comp_targetILNS1_3genE9ELNS1_11target_archE1100ELNS1_3gpuE3ELNS1_3repE0EEENS1_30default_config_static_selectorELNS0_4arch9wavefront6targetE1EEEvT1_.private_seg_size, 0
	.set _ZN7rocprim17ROCPRIM_400000_NS6detail17trampoline_kernelINS0_14default_configENS1_25partition_config_selectorILNS1_17partition_subalgoE9EllbEEZZNS1_14partition_implILS5_9ELb0ES3_jPlS8_PNS0_10empty_typeENS0_5tupleIJS8_S9_EEENSB_IJS8_SA_EEENS0_18inequality_wrapperIZN2at6native12_GLOBAL__N_124unique_dim_cuda_templateIiEESt5tupleIJNSF_6TensorESK_SK_EERKSK_lbbbEUlllE0_EEPmJS9_EEE10hipError_tPvRmT3_T4_T5_T6_T7_T9_mT8_P12ihipStream_tbDpT10_ENKUlT_T0_E_clISt17integral_constantIbLb1EES19_IbLb0EEEEDaS15_S16_EUlS15_E_NS1_11comp_targetILNS1_3genE9ELNS1_11target_archE1100ELNS1_3gpuE3ELNS1_3repE0EEENS1_30default_config_static_selectorELNS0_4arch9wavefront6targetE1EEEvT1_.uses_vcc, 0
	.set _ZN7rocprim17ROCPRIM_400000_NS6detail17trampoline_kernelINS0_14default_configENS1_25partition_config_selectorILNS1_17partition_subalgoE9EllbEEZZNS1_14partition_implILS5_9ELb0ES3_jPlS8_PNS0_10empty_typeENS0_5tupleIJS8_S9_EEENSB_IJS8_SA_EEENS0_18inequality_wrapperIZN2at6native12_GLOBAL__N_124unique_dim_cuda_templateIiEESt5tupleIJNSF_6TensorESK_SK_EERKSK_lbbbEUlllE0_EEPmJS9_EEE10hipError_tPvRmT3_T4_T5_T6_T7_T9_mT8_P12ihipStream_tbDpT10_ENKUlT_T0_E_clISt17integral_constantIbLb1EES19_IbLb0EEEEDaS15_S16_EUlS15_E_NS1_11comp_targetILNS1_3genE9ELNS1_11target_archE1100ELNS1_3gpuE3ELNS1_3repE0EEENS1_30default_config_static_selectorELNS0_4arch9wavefront6targetE1EEEvT1_.uses_flat_scratch, 0
	.set _ZN7rocprim17ROCPRIM_400000_NS6detail17trampoline_kernelINS0_14default_configENS1_25partition_config_selectorILNS1_17partition_subalgoE9EllbEEZZNS1_14partition_implILS5_9ELb0ES3_jPlS8_PNS0_10empty_typeENS0_5tupleIJS8_S9_EEENSB_IJS8_SA_EEENS0_18inequality_wrapperIZN2at6native12_GLOBAL__N_124unique_dim_cuda_templateIiEESt5tupleIJNSF_6TensorESK_SK_EERKSK_lbbbEUlllE0_EEPmJS9_EEE10hipError_tPvRmT3_T4_T5_T6_T7_T9_mT8_P12ihipStream_tbDpT10_ENKUlT_T0_E_clISt17integral_constantIbLb1EES19_IbLb0EEEEDaS15_S16_EUlS15_E_NS1_11comp_targetILNS1_3genE9ELNS1_11target_archE1100ELNS1_3gpuE3ELNS1_3repE0EEENS1_30default_config_static_selectorELNS0_4arch9wavefront6targetE1EEEvT1_.has_dyn_sized_stack, 0
	.set _ZN7rocprim17ROCPRIM_400000_NS6detail17trampoline_kernelINS0_14default_configENS1_25partition_config_selectorILNS1_17partition_subalgoE9EllbEEZZNS1_14partition_implILS5_9ELb0ES3_jPlS8_PNS0_10empty_typeENS0_5tupleIJS8_S9_EEENSB_IJS8_SA_EEENS0_18inequality_wrapperIZN2at6native12_GLOBAL__N_124unique_dim_cuda_templateIiEESt5tupleIJNSF_6TensorESK_SK_EERKSK_lbbbEUlllE0_EEPmJS9_EEE10hipError_tPvRmT3_T4_T5_T6_T7_T9_mT8_P12ihipStream_tbDpT10_ENKUlT_T0_E_clISt17integral_constantIbLb1EES19_IbLb0EEEEDaS15_S16_EUlS15_E_NS1_11comp_targetILNS1_3genE9ELNS1_11target_archE1100ELNS1_3gpuE3ELNS1_3repE0EEENS1_30default_config_static_selectorELNS0_4arch9wavefront6targetE1EEEvT1_.has_recursion, 0
	.set _ZN7rocprim17ROCPRIM_400000_NS6detail17trampoline_kernelINS0_14default_configENS1_25partition_config_selectorILNS1_17partition_subalgoE9EllbEEZZNS1_14partition_implILS5_9ELb0ES3_jPlS8_PNS0_10empty_typeENS0_5tupleIJS8_S9_EEENSB_IJS8_SA_EEENS0_18inequality_wrapperIZN2at6native12_GLOBAL__N_124unique_dim_cuda_templateIiEESt5tupleIJNSF_6TensorESK_SK_EERKSK_lbbbEUlllE0_EEPmJS9_EEE10hipError_tPvRmT3_T4_T5_T6_T7_T9_mT8_P12ihipStream_tbDpT10_ENKUlT_T0_E_clISt17integral_constantIbLb1EES19_IbLb0EEEEDaS15_S16_EUlS15_E_NS1_11comp_targetILNS1_3genE9ELNS1_11target_archE1100ELNS1_3gpuE3ELNS1_3repE0EEENS1_30default_config_static_selectorELNS0_4arch9wavefront6targetE1EEEvT1_.has_indirect_call, 0
	.section	.AMDGPU.csdata,"",@progbits
; Kernel info:
; codeLenInByte = 0
; TotalNumSgprs: 6
; NumVgprs: 0
; NumAgprs: 0
; TotalNumVgprs: 0
; ScratchSize: 0
; MemoryBound: 0
; FloatMode: 240
; IeeeMode: 1
; LDSByteSize: 0 bytes/workgroup (compile time only)
; SGPRBlocks: 0
; VGPRBlocks: 0
; NumSGPRsForWavesPerEU: 6
; NumVGPRsForWavesPerEU: 1
; AccumOffset: 4
; Occupancy: 8
; WaveLimiterHint : 0
; COMPUTE_PGM_RSRC2:SCRATCH_EN: 0
; COMPUTE_PGM_RSRC2:USER_SGPR: 2
; COMPUTE_PGM_RSRC2:TRAP_HANDLER: 0
; COMPUTE_PGM_RSRC2:TGID_X_EN: 1
; COMPUTE_PGM_RSRC2:TGID_Y_EN: 0
; COMPUTE_PGM_RSRC2:TGID_Z_EN: 0
; COMPUTE_PGM_RSRC2:TIDIG_COMP_CNT: 0
; COMPUTE_PGM_RSRC3_GFX90A:ACCUM_OFFSET: 0
; COMPUTE_PGM_RSRC3_GFX90A:TG_SPLIT: 0
	.section	.text._ZN7rocprim17ROCPRIM_400000_NS6detail17trampoline_kernelINS0_14default_configENS1_25partition_config_selectorILNS1_17partition_subalgoE9EllbEEZZNS1_14partition_implILS5_9ELb0ES3_jPlS8_PNS0_10empty_typeENS0_5tupleIJS8_S9_EEENSB_IJS8_SA_EEENS0_18inequality_wrapperIZN2at6native12_GLOBAL__N_124unique_dim_cuda_templateIiEESt5tupleIJNSF_6TensorESK_SK_EERKSK_lbbbEUlllE0_EEPmJS9_EEE10hipError_tPvRmT3_T4_T5_T6_T7_T9_mT8_P12ihipStream_tbDpT10_ENKUlT_T0_E_clISt17integral_constantIbLb1EES19_IbLb0EEEEDaS15_S16_EUlS15_E_NS1_11comp_targetILNS1_3genE8ELNS1_11target_archE1030ELNS1_3gpuE2ELNS1_3repE0EEENS1_30default_config_static_selectorELNS0_4arch9wavefront6targetE1EEEvT1_,"axG",@progbits,_ZN7rocprim17ROCPRIM_400000_NS6detail17trampoline_kernelINS0_14default_configENS1_25partition_config_selectorILNS1_17partition_subalgoE9EllbEEZZNS1_14partition_implILS5_9ELb0ES3_jPlS8_PNS0_10empty_typeENS0_5tupleIJS8_S9_EEENSB_IJS8_SA_EEENS0_18inequality_wrapperIZN2at6native12_GLOBAL__N_124unique_dim_cuda_templateIiEESt5tupleIJNSF_6TensorESK_SK_EERKSK_lbbbEUlllE0_EEPmJS9_EEE10hipError_tPvRmT3_T4_T5_T6_T7_T9_mT8_P12ihipStream_tbDpT10_ENKUlT_T0_E_clISt17integral_constantIbLb1EES19_IbLb0EEEEDaS15_S16_EUlS15_E_NS1_11comp_targetILNS1_3genE8ELNS1_11target_archE1030ELNS1_3gpuE2ELNS1_3repE0EEENS1_30default_config_static_selectorELNS0_4arch9wavefront6targetE1EEEvT1_,comdat
	.globl	_ZN7rocprim17ROCPRIM_400000_NS6detail17trampoline_kernelINS0_14default_configENS1_25partition_config_selectorILNS1_17partition_subalgoE9EllbEEZZNS1_14partition_implILS5_9ELb0ES3_jPlS8_PNS0_10empty_typeENS0_5tupleIJS8_S9_EEENSB_IJS8_SA_EEENS0_18inequality_wrapperIZN2at6native12_GLOBAL__N_124unique_dim_cuda_templateIiEESt5tupleIJNSF_6TensorESK_SK_EERKSK_lbbbEUlllE0_EEPmJS9_EEE10hipError_tPvRmT3_T4_T5_T6_T7_T9_mT8_P12ihipStream_tbDpT10_ENKUlT_T0_E_clISt17integral_constantIbLb1EES19_IbLb0EEEEDaS15_S16_EUlS15_E_NS1_11comp_targetILNS1_3genE8ELNS1_11target_archE1030ELNS1_3gpuE2ELNS1_3repE0EEENS1_30default_config_static_selectorELNS0_4arch9wavefront6targetE1EEEvT1_ ; -- Begin function _ZN7rocprim17ROCPRIM_400000_NS6detail17trampoline_kernelINS0_14default_configENS1_25partition_config_selectorILNS1_17partition_subalgoE9EllbEEZZNS1_14partition_implILS5_9ELb0ES3_jPlS8_PNS0_10empty_typeENS0_5tupleIJS8_S9_EEENSB_IJS8_SA_EEENS0_18inequality_wrapperIZN2at6native12_GLOBAL__N_124unique_dim_cuda_templateIiEESt5tupleIJNSF_6TensorESK_SK_EERKSK_lbbbEUlllE0_EEPmJS9_EEE10hipError_tPvRmT3_T4_T5_T6_T7_T9_mT8_P12ihipStream_tbDpT10_ENKUlT_T0_E_clISt17integral_constantIbLb1EES19_IbLb0EEEEDaS15_S16_EUlS15_E_NS1_11comp_targetILNS1_3genE8ELNS1_11target_archE1030ELNS1_3gpuE2ELNS1_3repE0EEENS1_30default_config_static_selectorELNS0_4arch9wavefront6targetE1EEEvT1_
	.p2align	8
	.type	_ZN7rocprim17ROCPRIM_400000_NS6detail17trampoline_kernelINS0_14default_configENS1_25partition_config_selectorILNS1_17partition_subalgoE9EllbEEZZNS1_14partition_implILS5_9ELb0ES3_jPlS8_PNS0_10empty_typeENS0_5tupleIJS8_S9_EEENSB_IJS8_SA_EEENS0_18inequality_wrapperIZN2at6native12_GLOBAL__N_124unique_dim_cuda_templateIiEESt5tupleIJNSF_6TensorESK_SK_EERKSK_lbbbEUlllE0_EEPmJS9_EEE10hipError_tPvRmT3_T4_T5_T6_T7_T9_mT8_P12ihipStream_tbDpT10_ENKUlT_T0_E_clISt17integral_constantIbLb1EES19_IbLb0EEEEDaS15_S16_EUlS15_E_NS1_11comp_targetILNS1_3genE8ELNS1_11target_archE1030ELNS1_3gpuE2ELNS1_3repE0EEENS1_30default_config_static_selectorELNS0_4arch9wavefront6targetE1EEEvT1_,@function
_ZN7rocprim17ROCPRIM_400000_NS6detail17trampoline_kernelINS0_14default_configENS1_25partition_config_selectorILNS1_17partition_subalgoE9EllbEEZZNS1_14partition_implILS5_9ELb0ES3_jPlS8_PNS0_10empty_typeENS0_5tupleIJS8_S9_EEENSB_IJS8_SA_EEENS0_18inequality_wrapperIZN2at6native12_GLOBAL__N_124unique_dim_cuda_templateIiEESt5tupleIJNSF_6TensorESK_SK_EERKSK_lbbbEUlllE0_EEPmJS9_EEE10hipError_tPvRmT3_T4_T5_T6_T7_T9_mT8_P12ihipStream_tbDpT10_ENKUlT_T0_E_clISt17integral_constantIbLb1EES19_IbLb0EEEEDaS15_S16_EUlS15_E_NS1_11comp_targetILNS1_3genE8ELNS1_11target_archE1030ELNS1_3gpuE2ELNS1_3repE0EEENS1_30default_config_static_selectorELNS0_4arch9wavefront6targetE1EEEvT1_: ; @_ZN7rocprim17ROCPRIM_400000_NS6detail17trampoline_kernelINS0_14default_configENS1_25partition_config_selectorILNS1_17partition_subalgoE9EllbEEZZNS1_14partition_implILS5_9ELb0ES3_jPlS8_PNS0_10empty_typeENS0_5tupleIJS8_S9_EEENSB_IJS8_SA_EEENS0_18inequality_wrapperIZN2at6native12_GLOBAL__N_124unique_dim_cuda_templateIiEESt5tupleIJNSF_6TensorESK_SK_EERKSK_lbbbEUlllE0_EEPmJS9_EEE10hipError_tPvRmT3_T4_T5_T6_T7_T9_mT8_P12ihipStream_tbDpT10_ENKUlT_T0_E_clISt17integral_constantIbLb1EES19_IbLb0EEEEDaS15_S16_EUlS15_E_NS1_11comp_targetILNS1_3genE8ELNS1_11target_archE1030ELNS1_3gpuE2ELNS1_3repE0EEENS1_30default_config_static_selectorELNS0_4arch9wavefront6targetE1EEEvT1_
; %bb.0:
	.section	.rodata,"a",@progbits
	.p2align	6, 0x0
	.amdhsa_kernel _ZN7rocprim17ROCPRIM_400000_NS6detail17trampoline_kernelINS0_14default_configENS1_25partition_config_selectorILNS1_17partition_subalgoE9EllbEEZZNS1_14partition_implILS5_9ELb0ES3_jPlS8_PNS0_10empty_typeENS0_5tupleIJS8_S9_EEENSB_IJS8_SA_EEENS0_18inequality_wrapperIZN2at6native12_GLOBAL__N_124unique_dim_cuda_templateIiEESt5tupleIJNSF_6TensorESK_SK_EERKSK_lbbbEUlllE0_EEPmJS9_EEE10hipError_tPvRmT3_T4_T5_T6_T7_T9_mT8_P12ihipStream_tbDpT10_ENKUlT_T0_E_clISt17integral_constantIbLb1EES19_IbLb0EEEEDaS15_S16_EUlS15_E_NS1_11comp_targetILNS1_3genE8ELNS1_11target_archE1030ELNS1_3gpuE2ELNS1_3repE0EEENS1_30default_config_static_selectorELNS0_4arch9wavefront6targetE1EEEvT1_
		.amdhsa_group_segment_fixed_size 0
		.amdhsa_private_segment_fixed_size 0
		.amdhsa_kernarg_size 120
		.amdhsa_user_sgpr_count 2
		.amdhsa_user_sgpr_dispatch_ptr 0
		.amdhsa_user_sgpr_queue_ptr 0
		.amdhsa_user_sgpr_kernarg_segment_ptr 1
		.amdhsa_user_sgpr_dispatch_id 0
		.amdhsa_user_sgpr_kernarg_preload_length 0
		.amdhsa_user_sgpr_kernarg_preload_offset 0
		.amdhsa_user_sgpr_private_segment_size 0
		.amdhsa_uses_dynamic_stack 0
		.amdhsa_enable_private_segment 0
		.amdhsa_system_sgpr_workgroup_id_x 1
		.amdhsa_system_sgpr_workgroup_id_y 0
		.amdhsa_system_sgpr_workgroup_id_z 0
		.amdhsa_system_sgpr_workgroup_info 0
		.amdhsa_system_vgpr_workitem_id 0
		.amdhsa_next_free_vgpr 1
		.amdhsa_next_free_sgpr 0
		.amdhsa_accum_offset 4
		.amdhsa_reserve_vcc 0
		.amdhsa_float_round_mode_32 0
		.amdhsa_float_round_mode_16_64 0
		.amdhsa_float_denorm_mode_32 3
		.amdhsa_float_denorm_mode_16_64 3
		.amdhsa_dx10_clamp 1
		.amdhsa_ieee_mode 1
		.amdhsa_fp16_overflow 0
		.amdhsa_tg_split 0
		.amdhsa_exception_fp_ieee_invalid_op 0
		.amdhsa_exception_fp_denorm_src 0
		.amdhsa_exception_fp_ieee_div_zero 0
		.amdhsa_exception_fp_ieee_overflow 0
		.amdhsa_exception_fp_ieee_underflow 0
		.amdhsa_exception_fp_ieee_inexact 0
		.amdhsa_exception_int_div_zero 0
	.end_amdhsa_kernel
	.section	.text._ZN7rocprim17ROCPRIM_400000_NS6detail17trampoline_kernelINS0_14default_configENS1_25partition_config_selectorILNS1_17partition_subalgoE9EllbEEZZNS1_14partition_implILS5_9ELb0ES3_jPlS8_PNS0_10empty_typeENS0_5tupleIJS8_S9_EEENSB_IJS8_SA_EEENS0_18inequality_wrapperIZN2at6native12_GLOBAL__N_124unique_dim_cuda_templateIiEESt5tupleIJNSF_6TensorESK_SK_EERKSK_lbbbEUlllE0_EEPmJS9_EEE10hipError_tPvRmT3_T4_T5_T6_T7_T9_mT8_P12ihipStream_tbDpT10_ENKUlT_T0_E_clISt17integral_constantIbLb1EES19_IbLb0EEEEDaS15_S16_EUlS15_E_NS1_11comp_targetILNS1_3genE8ELNS1_11target_archE1030ELNS1_3gpuE2ELNS1_3repE0EEENS1_30default_config_static_selectorELNS0_4arch9wavefront6targetE1EEEvT1_,"axG",@progbits,_ZN7rocprim17ROCPRIM_400000_NS6detail17trampoline_kernelINS0_14default_configENS1_25partition_config_selectorILNS1_17partition_subalgoE9EllbEEZZNS1_14partition_implILS5_9ELb0ES3_jPlS8_PNS0_10empty_typeENS0_5tupleIJS8_S9_EEENSB_IJS8_SA_EEENS0_18inequality_wrapperIZN2at6native12_GLOBAL__N_124unique_dim_cuda_templateIiEESt5tupleIJNSF_6TensorESK_SK_EERKSK_lbbbEUlllE0_EEPmJS9_EEE10hipError_tPvRmT3_T4_T5_T6_T7_T9_mT8_P12ihipStream_tbDpT10_ENKUlT_T0_E_clISt17integral_constantIbLb1EES19_IbLb0EEEEDaS15_S16_EUlS15_E_NS1_11comp_targetILNS1_3genE8ELNS1_11target_archE1030ELNS1_3gpuE2ELNS1_3repE0EEENS1_30default_config_static_selectorELNS0_4arch9wavefront6targetE1EEEvT1_,comdat
.Lfunc_end496:
	.size	_ZN7rocprim17ROCPRIM_400000_NS6detail17trampoline_kernelINS0_14default_configENS1_25partition_config_selectorILNS1_17partition_subalgoE9EllbEEZZNS1_14partition_implILS5_9ELb0ES3_jPlS8_PNS0_10empty_typeENS0_5tupleIJS8_S9_EEENSB_IJS8_SA_EEENS0_18inequality_wrapperIZN2at6native12_GLOBAL__N_124unique_dim_cuda_templateIiEESt5tupleIJNSF_6TensorESK_SK_EERKSK_lbbbEUlllE0_EEPmJS9_EEE10hipError_tPvRmT3_T4_T5_T6_T7_T9_mT8_P12ihipStream_tbDpT10_ENKUlT_T0_E_clISt17integral_constantIbLb1EES19_IbLb0EEEEDaS15_S16_EUlS15_E_NS1_11comp_targetILNS1_3genE8ELNS1_11target_archE1030ELNS1_3gpuE2ELNS1_3repE0EEENS1_30default_config_static_selectorELNS0_4arch9wavefront6targetE1EEEvT1_, .Lfunc_end496-_ZN7rocprim17ROCPRIM_400000_NS6detail17trampoline_kernelINS0_14default_configENS1_25partition_config_selectorILNS1_17partition_subalgoE9EllbEEZZNS1_14partition_implILS5_9ELb0ES3_jPlS8_PNS0_10empty_typeENS0_5tupleIJS8_S9_EEENSB_IJS8_SA_EEENS0_18inequality_wrapperIZN2at6native12_GLOBAL__N_124unique_dim_cuda_templateIiEESt5tupleIJNSF_6TensorESK_SK_EERKSK_lbbbEUlllE0_EEPmJS9_EEE10hipError_tPvRmT3_T4_T5_T6_T7_T9_mT8_P12ihipStream_tbDpT10_ENKUlT_T0_E_clISt17integral_constantIbLb1EES19_IbLb0EEEEDaS15_S16_EUlS15_E_NS1_11comp_targetILNS1_3genE8ELNS1_11target_archE1030ELNS1_3gpuE2ELNS1_3repE0EEENS1_30default_config_static_selectorELNS0_4arch9wavefront6targetE1EEEvT1_
                                        ; -- End function
	.set _ZN7rocprim17ROCPRIM_400000_NS6detail17trampoline_kernelINS0_14default_configENS1_25partition_config_selectorILNS1_17partition_subalgoE9EllbEEZZNS1_14partition_implILS5_9ELb0ES3_jPlS8_PNS0_10empty_typeENS0_5tupleIJS8_S9_EEENSB_IJS8_SA_EEENS0_18inequality_wrapperIZN2at6native12_GLOBAL__N_124unique_dim_cuda_templateIiEESt5tupleIJNSF_6TensorESK_SK_EERKSK_lbbbEUlllE0_EEPmJS9_EEE10hipError_tPvRmT3_T4_T5_T6_T7_T9_mT8_P12ihipStream_tbDpT10_ENKUlT_T0_E_clISt17integral_constantIbLb1EES19_IbLb0EEEEDaS15_S16_EUlS15_E_NS1_11comp_targetILNS1_3genE8ELNS1_11target_archE1030ELNS1_3gpuE2ELNS1_3repE0EEENS1_30default_config_static_selectorELNS0_4arch9wavefront6targetE1EEEvT1_.num_vgpr, 0
	.set _ZN7rocprim17ROCPRIM_400000_NS6detail17trampoline_kernelINS0_14default_configENS1_25partition_config_selectorILNS1_17partition_subalgoE9EllbEEZZNS1_14partition_implILS5_9ELb0ES3_jPlS8_PNS0_10empty_typeENS0_5tupleIJS8_S9_EEENSB_IJS8_SA_EEENS0_18inequality_wrapperIZN2at6native12_GLOBAL__N_124unique_dim_cuda_templateIiEESt5tupleIJNSF_6TensorESK_SK_EERKSK_lbbbEUlllE0_EEPmJS9_EEE10hipError_tPvRmT3_T4_T5_T6_T7_T9_mT8_P12ihipStream_tbDpT10_ENKUlT_T0_E_clISt17integral_constantIbLb1EES19_IbLb0EEEEDaS15_S16_EUlS15_E_NS1_11comp_targetILNS1_3genE8ELNS1_11target_archE1030ELNS1_3gpuE2ELNS1_3repE0EEENS1_30default_config_static_selectorELNS0_4arch9wavefront6targetE1EEEvT1_.num_agpr, 0
	.set _ZN7rocprim17ROCPRIM_400000_NS6detail17trampoline_kernelINS0_14default_configENS1_25partition_config_selectorILNS1_17partition_subalgoE9EllbEEZZNS1_14partition_implILS5_9ELb0ES3_jPlS8_PNS0_10empty_typeENS0_5tupleIJS8_S9_EEENSB_IJS8_SA_EEENS0_18inequality_wrapperIZN2at6native12_GLOBAL__N_124unique_dim_cuda_templateIiEESt5tupleIJNSF_6TensorESK_SK_EERKSK_lbbbEUlllE0_EEPmJS9_EEE10hipError_tPvRmT3_T4_T5_T6_T7_T9_mT8_P12ihipStream_tbDpT10_ENKUlT_T0_E_clISt17integral_constantIbLb1EES19_IbLb0EEEEDaS15_S16_EUlS15_E_NS1_11comp_targetILNS1_3genE8ELNS1_11target_archE1030ELNS1_3gpuE2ELNS1_3repE0EEENS1_30default_config_static_selectorELNS0_4arch9wavefront6targetE1EEEvT1_.numbered_sgpr, 0
	.set _ZN7rocprim17ROCPRIM_400000_NS6detail17trampoline_kernelINS0_14default_configENS1_25partition_config_selectorILNS1_17partition_subalgoE9EllbEEZZNS1_14partition_implILS5_9ELb0ES3_jPlS8_PNS0_10empty_typeENS0_5tupleIJS8_S9_EEENSB_IJS8_SA_EEENS0_18inequality_wrapperIZN2at6native12_GLOBAL__N_124unique_dim_cuda_templateIiEESt5tupleIJNSF_6TensorESK_SK_EERKSK_lbbbEUlllE0_EEPmJS9_EEE10hipError_tPvRmT3_T4_T5_T6_T7_T9_mT8_P12ihipStream_tbDpT10_ENKUlT_T0_E_clISt17integral_constantIbLb1EES19_IbLb0EEEEDaS15_S16_EUlS15_E_NS1_11comp_targetILNS1_3genE8ELNS1_11target_archE1030ELNS1_3gpuE2ELNS1_3repE0EEENS1_30default_config_static_selectorELNS0_4arch9wavefront6targetE1EEEvT1_.num_named_barrier, 0
	.set _ZN7rocprim17ROCPRIM_400000_NS6detail17trampoline_kernelINS0_14default_configENS1_25partition_config_selectorILNS1_17partition_subalgoE9EllbEEZZNS1_14partition_implILS5_9ELb0ES3_jPlS8_PNS0_10empty_typeENS0_5tupleIJS8_S9_EEENSB_IJS8_SA_EEENS0_18inequality_wrapperIZN2at6native12_GLOBAL__N_124unique_dim_cuda_templateIiEESt5tupleIJNSF_6TensorESK_SK_EERKSK_lbbbEUlllE0_EEPmJS9_EEE10hipError_tPvRmT3_T4_T5_T6_T7_T9_mT8_P12ihipStream_tbDpT10_ENKUlT_T0_E_clISt17integral_constantIbLb1EES19_IbLb0EEEEDaS15_S16_EUlS15_E_NS1_11comp_targetILNS1_3genE8ELNS1_11target_archE1030ELNS1_3gpuE2ELNS1_3repE0EEENS1_30default_config_static_selectorELNS0_4arch9wavefront6targetE1EEEvT1_.private_seg_size, 0
	.set _ZN7rocprim17ROCPRIM_400000_NS6detail17trampoline_kernelINS0_14default_configENS1_25partition_config_selectorILNS1_17partition_subalgoE9EllbEEZZNS1_14partition_implILS5_9ELb0ES3_jPlS8_PNS0_10empty_typeENS0_5tupleIJS8_S9_EEENSB_IJS8_SA_EEENS0_18inequality_wrapperIZN2at6native12_GLOBAL__N_124unique_dim_cuda_templateIiEESt5tupleIJNSF_6TensorESK_SK_EERKSK_lbbbEUlllE0_EEPmJS9_EEE10hipError_tPvRmT3_T4_T5_T6_T7_T9_mT8_P12ihipStream_tbDpT10_ENKUlT_T0_E_clISt17integral_constantIbLb1EES19_IbLb0EEEEDaS15_S16_EUlS15_E_NS1_11comp_targetILNS1_3genE8ELNS1_11target_archE1030ELNS1_3gpuE2ELNS1_3repE0EEENS1_30default_config_static_selectorELNS0_4arch9wavefront6targetE1EEEvT1_.uses_vcc, 0
	.set _ZN7rocprim17ROCPRIM_400000_NS6detail17trampoline_kernelINS0_14default_configENS1_25partition_config_selectorILNS1_17partition_subalgoE9EllbEEZZNS1_14partition_implILS5_9ELb0ES3_jPlS8_PNS0_10empty_typeENS0_5tupleIJS8_S9_EEENSB_IJS8_SA_EEENS0_18inequality_wrapperIZN2at6native12_GLOBAL__N_124unique_dim_cuda_templateIiEESt5tupleIJNSF_6TensorESK_SK_EERKSK_lbbbEUlllE0_EEPmJS9_EEE10hipError_tPvRmT3_T4_T5_T6_T7_T9_mT8_P12ihipStream_tbDpT10_ENKUlT_T0_E_clISt17integral_constantIbLb1EES19_IbLb0EEEEDaS15_S16_EUlS15_E_NS1_11comp_targetILNS1_3genE8ELNS1_11target_archE1030ELNS1_3gpuE2ELNS1_3repE0EEENS1_30default_config_static_selectorELNS0_4arch9wavefront6targetE1EEEvT1_.uses_flat_scratch, 0
	.set _ZN7rocprim17ROCPRIM_400000_NS6detail17trampoline_kernelINS0_14default_configENS1_25partition_config_selectorILNS1_17partition_subalgoE9EllbEEZZNS1_14partition_implILS5_9ELb0ES3_jPlS8_PNS0_10empty_typeENS0_5tupleIJS8_S9_EEENSB_IJS8_SA_EEENS0_18inequality_wrapperIZN2at6native12_GLOBAL__N_124unique_dim_cuda_templateIiEESt5tupleIJNSF_6TensorESK_SK_EERKSK_lbbbEUlllE0_EEPmJS9_EEE10hipError_tPvRmT3_T4_T5_T6_T7_T9_mT8_P12ihipStream_tbDpT10_ENKUlT_T0_E_clISt17integral_constantIbLb1EES19_IbLb0EEEEDaS15_S16_EUlS15_E_NS1_11comp_targetILNS1_3genE8ELNS1_11target_archE1030ELNS1_3gpuE2ELNS1_3repE0EEENS1_30default_config_static_selectorELNS0_4arch9wavefront6targetE1EEEvT1_.has_dyn_sized_stack, 0
	.set _ZN7rocprim17ROCPRIM_400000_NS6detail17trampoline_kernelINS0_14default_configENS1_25partition_config_selectorILNS1_17partition_subalgoE9EllbEEZZNS1_14partition_implILS5_9ELb0ES3_jPlS8_PNS0_10empty_typeENS0_5tupleIJS8_S9_EEENSB_IJS8_SA_EEENS0_18inequality_wrapperIZN2at6native12_GLOBAL__N_124unique_dim_cuda_templateIiEESt5tupleIJNSF_6TensorESK_SK_EERKSK_lbbbEUlllE0_EEPmJS9_EEE10hipError_tPvRmT3_T4_T5_T6_T7_T9_mT8_P12ihipStream_tbDpT10_ENKUlT_T0_E_clISt17integral_constantIbLb1EES19_IbLb0EEEEDaS15_S16_EUlS15_E_NS1_11comp_targetILNS1_3genE8ELNS1_11target_archE1030ELNS1_3gpuE2ELNS1_3repE0EEENS1_30default_config_static_selectorELNS0_4arch9wavefront6targetE1EEEvT1_.has_recursion, 0
	.set _ZN7rocprim17ROCPRIM_400000_NS6detail17trampoline_kernelINS0_14default_configENS1_25partition_config_selectorILNS1_17partition_subalgoE9EllbEEZZNS1_14partition_implILS5_9ELb0ES3_jPlS8_PNS0_10empty_typeENS0_5tupleIJS8_S9_EEENSB_IJS8_SA_EEENS0_18inequality_wrapperIZN2at6native12_GLOBAL__N_124unique_dim_cuda_templateIiEESt5tupleIJNSF_6TensorESK_SK_EERKSK_lbbbEUlllE0_EEPmJS9_EEE10hipError_tPvRmT3_T4_T5_T6_T7_T9_mT8_P12ihipStream_tbDpT10_ENKUlT_T0_E_clISt17integral_constantIbLb1EES19_IbLb0EEEEDaS15_S16_EUlS15_E_NS1_11comp_targetILNS1_3genE8ELNS1_11target_archE1030ELNS1_3gpuE2ELNS1_3repE0EEENS1_30default_config_static_selectorELNS0_4arch9wavefront6targetE1EEEvT1_.has_indirect_call, 0
	.section	.AMDGPU.csdata,"",@progbits
; Kernel info:
; codeLenInByte = 0
; TotalNumSgprs: 6
; NumVgprs: 0
; NumAgprs: 0
; TotalNumVgprs: 0
; ScratchSize: 0
; MemoryBound: 0
; FloatMode: 240
; IeeeMode: 1
; LDSByteSize: 0 bytes/workgroup (compile time only)
; SGPRBlocks: 0
; VGPRBlocks: 0
; NumSGPRsForWavesPerEU: 6
; NumVGPRsForWavesPerEU: 1
; AccumOffset: 4
; Occupancy: 8
; WaveLimiterHint : 0
; COMPUTE_PGM_RSRC2:SCRATCH_EN: 0
; COMPUTE_PGM_RSRC2:USER_SGPR: 2
; COMPUTE_PGM_RSRC2:TRAP_HANDLER: 0
; COMPUTE_PGM_RSRC2:TGID_X_EN: 1
; COMPUTE_PGM_RSRC2:TGID_Y_EN: 0
; COMPUTE_PGM_RSRC2:TGID_Z_EN: 0
; COMPUTE_PGM_RSRC2:TIDIG_COMP_CNT: 0
; COMPUTE_PGM_RSRC3_GFX90A:ACCUM_OFFSET: 0
; COMPUTE_PGM_RSRC3_GFX90A:TG_SPLIT: 0
	.section	.text._ZN7rocprim17ROCPRIM_400000_NS6detail17trampoline_kernelINS0_14default_configENS1_25partition_config_selectorILNS1_17partition_subalgoE9EllbEEZZNS1_14partition_implILS5_9ELb0ES3_jPlS8_PNS0_10empty_typeENS0_5tupleIJS8_S9_EEENSB_IJS8_SA_EEENS0_18inequality_wrapperIZN2at6native12_GLOBAL__N_124unique_dim_cuda_templateIiEESt5tupleIJNSF_6TensorESK_SK_EERKSK_lbbbEUlllE0_EEPmJS9_EEE10hipError_tPvRmT3_T4_T5_T6_T7_T9_mT8_P12ihipStream_tbDpT10_ENKUlT_T0_E_clISt17integral_constantIbLb0EES19_IbLb1EEEEDaS15_S16_EUlS15_E_NS1_11comp_targetILNS1_3genE0ELNS1_11target_archE4294967295ELNS1_3gpuE0ELNS1_3repE0EEENS1_30default_config_static_selectorELNS0_4arch9wavefront6targetE1EEEvT1_,"axG",@progbits,_ZN7rocprim17ROCPRIM_400000_NS6detail17trampoline_kernelINS0_14default_configENS1_25partition_config_selectorILNS1_17partition_subalgoE9EllbEEZZNS1_14partition_implILS5_9ELb0ES3_jPlS8_PNS0_10empty_typeENS0_5tupleIJS8_S9_EEENSB_IJS8_SA_EEENS0_18inequality_wrapperIZN2at6native12_GLOBAL__N_124unique_dim_cuda_templateIiEESt5tupleIJNSF_6TensorESK_SK_EERKSK_lbbbEUlllE0_EEPmJS9_EEE10hipError_tPvRmT3_T4_T5_T6_T7_T9_mT8_P12ihipStream_tbDpT10_ENKUlT_T0_E_clISt17integral_constantIbLb0EES19_IbLb1EEEEDaS15_S16_EUlS15_E_NS1_11comp_targetILNS1_3genE0ELNS1_11target_archE4294967295ELNS1_3gpuE0ELNS1_3repE0EEENS1_30default_config_static_selectorELNS0_4arch9wavefront6targetE1EEEvT1_,comdat
	.globl	_ZN7rocprim17ROCPRIM_400000_NS6detail17trampoline_kernelINS0_14default_configENS1_25partition_config_selectorILNS1_17partition_subalgoE9EllbEEZZNS1_14partition_implILS5_9ELb0ES3_jPlS8_PNS0_10empty_typeENS0_5tupleIJS8_S9_EEENSB_IJS8_SA_EEENS0_18inequality_wrapperIZN2at6native12_GLOBAL__N_124unique_dim_cuda_templateIiEESt5tupleIJNSF_6TensorESK_SK_EERKSK_lbbbEUlllE0_EEPmJS9_EEE10hipError_tPvRmT3_T4_T5_T6_T7_T9_mT8_P12ihipStream_tbDpT10_ENKUlT_T0_E_clISt17integral_constantIbLb0EES19_IbLb1EEEEDaS15_S16_EUlS15_E_NS1_11comp_targetILNS1_3genE0ELNS1_11target_archE4294967295ELNS1_3gpuE0ELNS1_3repE0EEENS1_30default_config_static_selectorELNS0_4arch9wavefront6targetE1EEEvT1_ ; -- Begin function _ZN7rocprim17ROCPRIM_400000_NS6detail17trampoline_kernelINS0_14default_configENS1_25partition_config_selectorILNS1_17partition_subalgoE9EllbEEZZNS1_14partition_implILS5_9ELb0ES3_jPlS8_PNS0_10empty_typeENS0_5tupleIJS8_S9_EEENSB_IJS8_SA_EEENS0_18inequality_wrapperIZN2at6native12_GLOBAL__N_124unique_dim_cuda_templateIiEESt5tupleIJNSF_6TensorESK_SK_EERKSK_lbbbEUlllE0_EEPmJS9_EEE10hipError_tPvRmT3_T4_T5_T6_T7_T9_mT8_P12ihipStream_tbDpT10_ENKUlT_T0_E_clISt17integral_constantIbLb0EES19_IbLb1EEEEDaS15_S16_EUlS15_E_NS1_11comp_targetILNS1_3genE0ELNS1_11target_archE4294967295ELNS1_3gpuE0ELNS1_3repE0EEENS1_30default_config_static_selectorELNS0_4arch9wavefront6targetE1EEEvT1_
	.p2align	8
	.type	_ZN7rocprim17ROCPRIM_400000_NS6detail17trampoline_kernelINS0_14default_configENS1_25partition_config_selectorILNS1_17partition_subalgoE9EllbEEZZNS1_14partition_implILS5_9ELb0ES3_jPlS8_PNS0_10empty_typeENS0_5tupleIJS8_S9_EEENSB_IJS8_SA_EEENS0_18inequality_wrapperIZN2at6native12_GLOBAL__N_124unique_dim_cuda_templateIiEESt5tupleIJNSF_6TensorESK_SK_EERKSK_lbbbEUlllE0_EEPmJS9_EEE10hipError_tPvRmT3_T4_T5_T6_T7_T9_mT8_P12ihipStream_tbDpT10_ENKUlT_T0_E_clISt17integral_constantIbLb0EES19_IbLb1EEEEDaS15_S16_EUlS15_E_NS1_11comp_targetILNS1_3genE0ELNS1_11target_archE4294967295ELNS1_3gpuE0ELNS1_3repE0EEENS1_30default_config_static_selectorELNS0_4arch9wavefront6targetE1EEEvT1_,@function
_ZN7rocprim17ROCPRIM_400000_NS6detail17trampoline_kernelINS0_14default_configENS1_25partition_config_selectorILNS1_17partition_subalgoE9EllbEEZZNS1_14partition_implILS5_9ELb0ES3_jPlS8_PNS0_10empty_typeENS0_5tupleIJS8_S9_EEENSB_IJS8_SA_EEENS0_18inequality_wrapperIZN2at6native12_GLOBAL__N_124unique_dim_cuda_templateIiEESt5tupleIJNSF_6TensorESK_SK_EERKSK_lbbbEUlllE0_EEPmJS9_EEE10hipError_tPvRmT3_T4_T5_T6_T7_T9_mT8_P12ihipStream_tbDpT10_ENKUlT_T0_E_clISt17integral_constantIbLb0EES19_IbLb1EEEEDaS15_S16_EUlS15_E_NS1_11comp_targetILNS1_3genE0ELNS1_11target_archE4294967295ELNS1_3gpuE0ELNS1_3repE0EEENS1_30default_config_static_selectorELNS0_4arch9wavefront6targetE1EEEvT1_: ; @_ZN7rocprim17ROCPRIM_400000_NS6detail17trampoline_kernelINS0_14default_configENS1_25partition_config_selectorILNS1_17partition_subalgoE9EllbEEZZNS1_14partition_implILS5_9ELb0ES3_jPlS8_PNS0_10empty_typeENS0_5tupleIJS8_S9_EEENSB_IJS8_SA_EEENS0_18inequality_wrapperIZN2at6native12_GLOBAL__N_124unique_dim_cuda_templateIiEESt5tupleIJNSF_6TensorESK_SK_EERKSK_lbbbEUlllE0_EEPmJS9_EEE10hipError_tPvRmT3_T4_T5_T6_T7_T9_mT8_P12ihipStream_tbDpT10_ENKUlT_T0_E_clISt17integral_constantIbLb0EES19_IbLb1EEEEDaS15_S16_EUlS15_E_NS1_11comp_targetILNS1_3genE0ELNS1_11target_archE4294967295ELNS1_3gpuE0ELNS1_3repE0EEENS1_30default_config_static_selectorELNS0_4arch9wavefront6targetE1EEEvT1_
; %bb.0:
	s_load_dwordx4 s[4:7], s[0:1], 0x8
	s_load_dwordx2 s[10:11], s[0:1], 0x18
	s_load_dwordx8 s[20:27], s[0:1], 0x40
	s_load_dwordx4 s[36:39], s[0:1], 0x60
	v_cmp_ne_u32_e64 s[2:3], 0, v0
	v_cmp_eq_u32_e64 s[18:19], 0, v0
	s_and_saveexec_b64 s[8:9], s[18:19]
	s_cbranch_execz .LBB497_4
; %bb.1:
	s_mov_b64 s[14:15], exec
	v_mbcnt_lo_u32_b32 v1, s14, 0
	v_mbcnt_hi_u32_b32 v1, s15, v1
	v_cmp_eq_u32_e32 vcc, 0, v1
                                        ; implicit-def: $vgpr2
	s_and_saveexec_b64 s[12:13], vcc
	s_cbranch_execz .LBB497_3
; %bb.2:
	s_load_dwordx2 s[16:17], s[0:1], 0x78
	s_bcnt1_i32_b64 s14, s[14:15]
	v_mov_b32_e32 v2, 0
	v_mov_b32_e32 v3, s14
	s_waitcnt lgkmcnt(0)
	global_atomic_add v2, v2, v3, s[16:17] sc0
.LBB497_3:
	s_or_b64 exec, exec, s[12:13]
	s_waitcnt vmcnt(0)
	v_readfirstlane_b32 s12, v2
	v_mov_b32_e32 v2, 0
	s_nop 0
	v_add_u32_e32 v1, s12, v1
	ds_write_b32 v2, v1
.LBB497_4:
	s_or_b64 exec, exec, s[8:9]
	v_mov_b32_e32 v3, 0
	s_load_dwordx4 s[28:31], s[0:1], 0x28
	s_load_dword s8, s[0:1], 0x70
	s_waitcnt lgkmcnt(0)
	s_barrier
	ds_read_b32 v1, v3
	s_waitcnt lgkmcnt(0)
	s_barrier
	global_load_dwordx2 v[4:5], v3, s[22:23]
	s_lshl_b64 s[12:13], s[6:7], 3
	s_mul_i32 s14, s8, 0x280
	s_add_u32 s16, s4, s12
	s_addc_u32 s17, s5, s13
	s_add_i32 s4, s14, s6
	s_sub_i32 s48, s24, s4
	s_add_i32 s15, s8, -1
	s_addk_i32 s48, 0x280
	s_add_u32 s4, s6, s14
	v_readfirstlane_b32 s33, v1
	s_addc_u32 s5, s7, 0
	v_mov_b64_e32 v[6:7], s[4:5]
	s_cmp_eq_u32 s33, s15
	s_mov_b32 s9, 0
	s_mul_i32 s8, s33, 0x280
	v_cmp_le_u64_e32 vcc, s[24:25], v[6:7]
	s_cselect_b64 s[24:25], -1, 0
	s_lshl_b64 s[14:15], s[8:9], 3
	s_and_b64 s[8:9], vcc, s[24:25]
	s_xor_b64 s[34:35], s[8:9], -1
	s_add_u32 s4, s16, s14
	s_mov_b64 s[0:1], -1
	v_lshlrev_b32_e32 v32, 3, v0
	s_addc_u32 s5, s17, s15
	s_and_b64 vcc, exec, s[34:35]
	s_waitcnt vmcnt(0)
	v_readfirstlane_b32 s22, v4
	v_readfirstlane_b32 s23, v5
	s_cbranch_vccz .LBB497_6
; %bb.5:
	v_lshlrev_b32_e32 v2, 3, v0
	v_lshl_add_u64 v[4:5], s[4:5], 0, v[2:3]
	v_add_co_u32_e32 v4, vcc, 0x1000, v4
	global_load_dwordx2 v[6:7], v2, s[4:5] offset:3072
	s_nop 0
	v_addc_co_u32_e32 v5, vcc, 0, v5, vcc
	global_load_dwordx2 v[8:9], v2, s[4:5]
	global_load_dwordx2 v[10:11], v2, s[4:5] offset:1024
	global_load_dwordx2 v[12:13], v2, s[4:5] offset:2048
	global_load_dwordx2 v[14:15], v[4:5], off
	s_mov_b64 s[0:1], 0
	s_waitcnt vmcnt(2)
	ds_write2st64_b64 v2, v[8:9], v[10:11] offset1:2
	s_waitcnt vmcnt(1)
	ds_write2st64_b64 v2, v[12:13], v[6:7] offset0:4 offset1:6
	s_waitcnt vmcnt(0)
	ds_write_b64 v2, v[14:15] offset:4096
	s_waitcnt lgkmcnt(0)
	s_barrier
.LBB497_6:
	s_andn2_b64 vcc, exec, s[0:1]
	v_cmp_gt_u32_e64 s[0:1], s48, v0
	s_cbranch_vccnz .LBB497_18
; %bb.7:
	v_mov_b32_e32 v2, 0
	v_mov_b32_e32 v3, v2
	;; [unrolled: 1-line block ×10, first 2 shown]
	s_and_saveexec_b64 s[16:17], s[0:1]
	s_cbranch_execz .LBB497_9
; %bb.8:
	v_lshlrev_b32_e32 v1, 3, v0
	global_load_dwordx2 v[4:5], v1, s[4:5]
	v_mov_b32_e32 v6, v2
	v_mov_b32_e32 v7, v2
	;; [unrolled: 1-line block ×8, first 2 shown]
	s_waitcnt vmcnt(0)
	v_mov_b64_e32 v[2:3], v[4:5]
	v_mov_b64_e32 v[4:5], v[6:7]
	;; [unrolled: 1-line block ×8, first 2 shown]
.LBB497_9:
	s_or_b64 exec, exec, s[16:17]
	v_or_b32_e32 v1, 0x80, v0
	v_cmp_gt_u32_e32 vcc, s48, v1
	s_and_saveexec_b64 s[0:1], vcc
	s_cbranch_execz .LBB497_11
; %bb.10:
	v_lshlrev_b32_e32 v1, 3, v0
	global_load_dwordx2 v[4:5], v1, s[4:5] offset:1024
.LBB497_11:
	s_or_b64 exec, exec, s[0:1]
	v_or_b32_e32 v1, 0x100, v0
	v_cmp_gt_u32_e32 vcc, s48, v1
	s_and_saveexec_b64 s[0:1], vcc
	s_cbranch_execz .LBB497_13
; %bb.12:
	v_lshlrev_b32_e32 v1, 3, v0
	global_load_dwordx2 v[6:7], v1, s[4:5] offset:2048
.LBB497_13:
	;; [unrolled: 9-line block ×3, first 2 shown]
	s_or_b64 exec, exec, s[0:1]
	v_or_b32_e32 v1, 0x200, v0
	v_cmp_gt_u32_e32 vcc, s48, v1
	s_and_saveexec_b64 s[0:1], vcc
	s_cbranch_execz .LBB497_17
; %bb.16:
	v_lshlrev_b32_e32 v1, 3, v1
	global_load_dwordx2 v[10:11], v1, s[4:5]
.LBB497_17:
	s_or_b64 exec, exec, s[0:1]
	v_lshlrev_b32_e32 v1, 3, v0
	s_waitcnt vmcnt(0)
	ds_write2st64_b64 v1, v[2:3], v[4:5] offset1:2
	ds_write2st64_b64 v1, v[6:7], v[8:9] offset0:4 offset1:6
	ds_write_b64 v1, v[10:11] offset:4096
	s_waitcnt lgkmcnt(0)
	s_barrier
.LBB497_18:
	v_mul_u32_u24_e32 v1, 5, v0
	v_lshlrev_b32_e32 v22, 3, v1
	ds_read2_b64 v[6:9], v22 offset1:1
	ds_read2_b64 v[2:5], v22 offset0:2 offset1:3
	ds_read_b64 v[12:13], v22 offset:32
	s_add_u32 s0, s10, s12
	s_addc_u32 s1, s11, s13
	s_add_u32 s0, s0, s14
	s_addc_u32 s1, s1, s15
	s_mov_b64 s[10:11], -1
	s_and_b64 vcc, exec, s[34:35]
	s_waitcnt lgkmcnt(0)
	s_barrier
	s_cbranch_vccz .LBB497_20
; %bb.19:
	v_lshlrev_b32_e32 v10, 3, v0
	v_mov_b32_e32 v11, 0
	v_lshl_add_u64 v[14:15], s[0:1], 0, v[10:11]
	v_add_co_u32_e32 v14, vcc, 0x1000, v14
	global_load_dwordx2 v[16:17], v10, s[0:1] offset:3072
	s_nop 0
	v_addc_co_u32_e32 v15, vcc, 0, v15, vcc
	global_load_dwordx2 v[18:19], v10, s[0:1]
	global_load_dwordx2 v[20:21], v10, s[0:1] offset:1024
	global_load_dwordx2 v[24:25], v10, s[0:1] offset:2048
	global_load_dwordx2 v[26:27], v[14:15], off
	s_mov_b64 s[10:11], 0
	s_waitcnt vmcnt(2)
	ds_write2st64_b64 v10, v[18:19], v[20:21] offset1:2
	s_waitcnt vmcnt(1)
	ds_write2st64_b64 v10, v[24:25], v[16:17] offset0:4 offset1:6
	s_waitcnt vmcnt(0)
	ds_write_b64 v10, v[26:27] offset:4096
	s_waitcnt lgkmcnt(0)
	s_barrier
.LBB497_20:
	s_andn2_b64 vcc, exec, s[10:11]
	s_cbranch_vccnz .LBB497_32
; %bb.21:
	v_cmp_gt_u32_e32 vcc, s48, v0
                                        ; implicit-def: $vgpr10_vgpr11
	s_and_saveexec_b64 s[10:11], vcc
	s_cbranch_execz .LBB497_23
; %bb.22:
	v_lshlrev_b32_e32 v10, 3, v0
	global_load_dwordx2 v[10:11], v10, s[0:1]
.LBB497_23:
	s_or_b64 exec, exec, s[10:11]
	v_or_b32_e32 v14, 0x80, v0
	v_cmp_gt_u32_e32 vcc, s48, v14
                                        ; implicit-def: $vgpr14_vgpr15
	s_and_saveexec_b64 s[10:11], vcc
	s_cbranch_execz .LBB497_25
; %bb.24:
	v_lshlrev_b32_e32 v14, 3, v0
	global_load_dwordx2 v[14:15], v14, s[0:1] offset:1024
.LBB497_25:
	s_or_b64 exec, exec, s[10:11]
	v_or_b32_e32 v16, 0x100, v0
	v_cmp_gt_u32_e32 vcc, s48, v16
                                        ; implicit-def: $vgpr16_vgpr17
	s_and_saveexec_b64 s[10:11], vcc
	s_cbranch_execz .LBB497_27
; %bb.26:
	v_lshlrev_b32_e32 v16, 3, v0
	global_load_dwordx2 v[16:17], v16, s[0:1] offset:2048
.LBB497_27:
	s_or_b64 exec, exec, s[10:11]
	v_or_b32_e32 v18, 0x180, v0
	v_cmp_gt_u32_e32 vcc, s48, v18
                                        ; implicit-def: $vgpr18_vgpr19
	s_and_saveexec_b64 s[10:11], vcc
	s_cbranch_execz .LBB497_29
; %bb.28:
	v_lshlrev_b32_e32 v18, 3, v0
	global_load_dwordx2 v[18:19], v18, s[0:1] offset:3072
.LBB497_29:
	s_or_b64 exec, exec, s[10:11]
	v_or_b32_e32 v20, 0x200, v0
	v_cmp_gt_u32_e32 vcc, s48, v20
                                        ; implicit-def: $vgpr24_vgpr25
	s_and_saveexec_b64 s[10:11], vcc
	s_cbranch_execz .LBB497_31
; %bb.30:
	v_lshlrev_b32_e32 v20, 3, v20
	global_load_dwordx2 v[24:25], v20, s[0:1]
.LBB497_31:
	s_or_b64 exec, exec, s[10:11]
	v_lshlrev_b32_e32 v20, 5, v0
	v_sub_u32_e32 v20, v22, v20
	s_waitcnt vmcnt(0)
	ds_write2st64_b64 v20, v[10:11], v[14:15] offset1:2
	ds_write2st64_b64 v20, v[16:17], v[18:19] offset0:4 offset1:6
	ds_write_b64 v20, v[24:25] offset:4096
	s_waitcnt lgkmcnt(0)
	s_barrier
.LBB497_32:
	ds_read_b64 v[10:11], v22 offset:32
	ds_read2_b64 v[52:55], v22 offset0:2 offset1:3
	ds_read2_b64 v[56:59], v22 offset1:1
	s_cmp_lg_u32 s33, 0
	s_cselect_b64 s[16:17], -1, 0
	s_cmp_lg_u64 s[6:7], 0
	s_cselect_b64 s[0:1], -1, 0
	s_or_b64 s[0:1], s[0:1], s[16:17]
	s_mov_b64 s[10:11], 0
	s_and_b64 vcc, exec, s[0:1]
	v_cmp_gt_i64_e64 s[6:7], s[26:27], 0
	s_waitcnt lgkmcnt(0)
	s_barrier
	s_cbranch_vccz .LBB497_51
; %bb.33:
	v_mov_b32_e32 v18, 0
	global_load_dwordx2 v[14:15], v18, s[4:5] offset:-8
	v_cndmask_b32_e64 v16, 0, 1, s[6:7]
	v_lshlrev_b32_e32 v23, 3, v0
	s_mov_b64 s[0:1], 0
	s_and_b64 vcc, exec, s[34:35]
	v_cmp_ne_u32_e64 s[4:5], 1, v16
	ds_write_b64 v23, v[12:13]
	s_cbranch_vccz .LBB497_53
; %bb.34:
	s_and_b64 vcc, exec, s[4:5]
	v_mov_b32_e32 v33, 0
	s_cbranch_vccnz .LBB497_44
; %bb.35:
	v_mul_lo_u32 v18, v5, s26
	v_mul_lo_u32 v19, v4, s27
	v_mad_u64_u32 v[16:17], s[0:1], v4, s26, 0
	v_add3_u32 v17, v17, v19, v18
	v_mul_lo_u32 v20, v13, s26
	v_mul_lo_u32 v21, v12, s27
	v_mad_u64_u32 v[18:19], s[0:1], v12, s26, 0
	s_add_u32 s10, s26, -1
	v_lshl_add_u64 v[16:17], v[16:17], 2, s[36:37]
	v_add3_u32 v19, v19, v21, v20
	s_addc_u32 s11, s27, -1
	v_lshl_add_u64 v[18:19], v[18:19], 2, s[36:37]
	s_mov_b64 s[12:13], 0
	s_mov_b64 s[14:15], s[10:11]
	v_mov_b64_e32 v[20:21], v[16:17]
                                        ; implicit-def: $sgpr6_sgpr7
.LBB497_36:                             ; =>This Inner Loop Header: Depth=1
	global_load_dword v24, v[20:21], off
	global_load_dword v25, v[18:19], off
	s_add_u32 s0, s14, -1
	s_addc_u32 s1, s15, -1
	s_cmp_eq_u64 s[14:15], 0
	s_mov_b64 s[14:15], s[0:1]
	s_cselect_b64 s[40:41], -1, 0
	v_lshl_add_u64 v[20:21], v[20:21], 0, 4
	v_lshl_add_u64 v[18:19], v[18:19], 0, 4
	s_waitcnt vmcnt(0)
	v_cmp_ne_u32_e64 s[0:1], v24, v25
	s_or_b64 s[0:1], s[0:1], s[40:41]
	s_and_b64 s[0:1], exec, s[0:1]
	v_cmp_eq_u32_e32 vcc, v24, v25
	s_or_b64 s[12:13], s[0:1], s[12:13]
	s_andn2_b64 s[0:1], s[6:7], exec
	s_and_b64 s[6:7], vcc, exec
	s_or_b64 s[6:7], s[0:1], s[6:7]
	s_andn2_b64 exec, exec, s[12:13]
	s_cbranch_execnz .LBB497_36
; %bb.37:
	s_or_b64 exec, exec, s[12:13]
	v_mul_lo_u32 v20, v3, s26
	v_mul_lo_u32 v21, v2, s27
	v_mad_u64_u32 v[18:19], s[0:1], v2, s26, 0
	v_add3_u32 v19, v19, v21, v20
	v_lshl_add_u64 v[18:19], v[18:19], 2, s[36:37]
	s_mov_b64 s[14:15], 0
	s_mov_b64 s[40:41], s[10:11]
	v_mov_b64_e32 v[20:21], v[18:19]
                                        ; implicit-def: $sgpr12_sgpr13
.LBB497_38:                             ; =>This Inner Loop Header: Depth=1
	global_load_dword v24, v[20:21], off
	global_load_dword v25, v[16:17], off
	s_add_u32 s0, s40, -1
	s_addc_u32 s1, s41, -1
	s_cmp_eq_u64 s[40:41], 0
	s_mov_b64 s[40:41], s[0:1]
	s_cselect_b64 s[42:43], -1, 0
	v_lshl_add_u64 v[20:21], v[20:21], 0, 4
	v_lshl_add_u64 v[16:17], v[16:17], 0, 4
	s_waitcnt vmcnt(0)
	v_cmp_ne_u32_e64 s[0:1], v24, v25
	s_or_b64 s[0:1], s[0:1], s[42:43]
	s_and_b64 s[0:1], exec, s[0:1]
	v_cmp_eq_u32_e32 vcc, v24, v25
	s_or_b64 s[14:15], s[0:1], s[14:15]
	s_andn2_b64 s[0:1], s[12:13], exec
	s_and_b64 s[12:13], vcc, exec
	s_or_b64 s[12:13], s[0:1], s[12:13]
	s_andn2_b64 exec, exec, s[14:15]
	s_cbranch_execnz .LBB497_38
; %bb.39:
	s_or_b64 exec, exec, s[14:15]
	v_mul_lo_u32 v20, v9, s26
	v_mul_lo_u32 v21, v8, s27
	v_mad_u64_u32 v[16:17], s[0:1], v8, s26, 0
	v_add3_u32 v17, v17, v21, v20
	v_lshl_add_u64 v[16:17], v[16:17], 2, s[36:37]
	s_mov_b64 s[40:41], 0
	s_mov_b64 s[42:43], s[10:11]
	v_mov_b64_e32 v[20:21], v[16:17]
                                        ; implicit-def: $sgpr14_sgpr15
.LBB497_40:                             ; =>This Inner Loop Header: Depth=1
	global_load_dword v24, v[20:21], off
	global_load_dword v25, v[18:19], off
	s_add_u32 s0, s42, -1
	s_addc_u32 s1, s43, -1
	s_cmp_eq_u64 s[42:43], 0
	s_mov_b64 s[42:43], s[0:1]
	s_cselect_b64 s[44:45], -1, 0
	v_lshl_add_u64 v[20:21], v[20:21], 0, 4
	v_lshl_add_u64 v[18:19], v[18:19], 0, 4
	s_waitcnt vmcnt(0)
	v_cmp_ne_u32_e64 s[0:1], v24, v25
	s_or_b64 s[0:1], s[0:1], s[44:45]
	s_and_b64 s[0:1], exec, s[0:1]
	v_cmp_eq_u32_e32 vcc, v24, v25
	s_or_b64 s[40:41], s[0:1], s[40:41]
	s_andn2_b64 s[0:1], s[14:15], exec
	s_and_b64 s[14:15], vcc, exec
	s_or_b64 s[14:15], s[0:1], s[14:15]
	s_andn2_b64 exec, exec, s[40:41]
	s_cbranch_execnz .LBB497_40
; %bb.41:
	s_or_b64 exec, exec, s[40:41]
	v_mul_lo_u32 v20, v7, s26
	v_mul_lo_u32 v21, v6, s27
	v_mad_u64_u32 v[18:19], s[0:1], v6, s26, 0
	v_add3_u32 v19, v19, v21, v20
	v_lshl_add_u64 v[18:19], v[18:19], 2, s[36:37]
	s_mov_b64 s[42:43], 0
                                        ; implicit-def: $sgpr40_sgpr41
.LBB497_42:                             ; =>This Inner Loop Header: Depth=1
	global_load_dword v20, v[18:19], off
	global_load_dword v21, v[16:17], off
	s_add_u32 s0, s10, -1
	s_addc_u32 s1, s11, -1
	s_cmp_eq_u64 s[10:11], 0
	s_mov_b64 s[10:11], s[0:1]
	s_cselect_b64 s[44:45], -1, 0
	v_lshl_add_u64 v[18:19], v[18:19], 0, 4
	v_lshl_add_u64 v[16:17], v[16:17], 0, 4
	s_waitcnt vmcnt(0)
	v_cmp_ne_u32_e64 s[0:1], v20, v21
	s_or_b64 s[0:1], s[0:1], s[44:45]
	s_and_b64 s[0:1], exec, s[0:1]
	v_cmp_eq_u32_e32 vcc, v20, v21
	s_or_b64 s[42:43], s[0:1], s[42:43]
	s_andn2_b64 s[0:1], s[40:41], exec
	s_and_b64 s[40:41], vcc, exec
	s_or_b64 s[40:41], s[0:1], s[40:41]
	s_andn2_b64 exec, exec, s[42:43]
	s_cbranch_execnz .LBB497_42
; %bb.43:
	s_or_b64 exec, exec, s[42:43]
	s_xor_b64 s[0:1], s[6:7], -1
	v_cndmask_b32_e64 v33, 0, 1, s[0:1]
	s_xor_b64 s[0:1], s[12:13], -1
	v_cndmask_b32_e64 v16, 0, 1, s[0:1]
	v_lshlrev_b16_e32 v16, 8, v16
	v_mov_b32_e32 v17, 8
	s_xor_b64 s[6:7], s[14:15], -1
	v_lshrrev_b32_sdwa v16, v17, v16 dst_sel:BYTE_1 dst_unused:UNUSED_PAD src0_sel:DWORD src1_sel:DWORD
	v_cndmask_b32_e64 v17, 0, 1, s[6:7]
	s_xor_b64 s[0:1], s[40:41], -1
	v_or_b32_sdwa v18, v17, v16 dst_sel:WORD_1 dst_unused:UNUSED_PAD src0_sel:DWORD src1_sel:DWORD
.LBB497_44:
	s_waitcnt vmcnt(0)
	v_mov_b64_e32 v[16:17], v[14:15]
	s_waitcnt lgkmcnt(0)
	s_barrier
	s_and_saveexec_b64 s[6:7], s[2:3]
; %bb.45:
	v_add_u32_e32 v16, -8, v23
	ds_read_b64 v[16:17], v16
; %bb.46:
	s_or_b64 exec, exec, s[6:7]
	v_cndmask_b32_e64 v19, 0, 1, s[0:1]
	v_lshrrev_b32_e32 v20, 16, v18
	s_mov_b32 s0, 0xc0c0304
	v_perm_b32 v20, v20, v18, s0
	v_lshlrev_b16_e32 v19, 8, v19
	s_movk_i32 s0, 0xff
	v_bitop3_b16 v18, v18, v19, s0 bitop3:0xec
	v_and_b32_e32 v21, 0xffff, v18
	s_mov_b64 s[6:7], 0
	s_and_b64 vcc, exec, s[4:5]
	s_mov_b64 s[0:1], 0
	s_cbranch_vccnz .LBB497_50
; %bb.47:
	s_waitcnt lgkmcnt(0)
	v_mul_lo_u32 v18, v17, s26
	v_mul_lo_u32 v19, v16, s27
	v_mad_u64_u32 v[16:17], s[0:1], v16, s26, 0
	v_add3_u32 v17, v17, v19, v18
	v_mul_lo_u32 v24, v7, s26
	v_mul_lo_u32 v25, v6, s27
	v_mad_u64_u32 v[18:19], s[0:1], v6, s26, 0
	v_add3_u32 v19, v19, v25, v24
	s_add_u32 s14, s26, -1
	v_lshl_add_u64 v[16:17], v[16:17], 2, s[36:37]
	v_lshl_add_u64 v[18:19], v[18:19], 2, s[36:37]
	s_addc_u32 s15, s27, -1
	s_mov_b64 s[10:11], 0
                                        ; implicit-def: $sgpr12_sgpr13
.LBB497_48:                             ; =>This Inner Loop Header: Depth=1
	global_load_dword v24, v[16:17], off
	global_load_dword v25, v[18:19], off
	s_add_u32 s0, s14, -1
	s_addc_u32 s1, s15, -1
	s_cmp_eq_u64 s[14:15], 0
	s_mov_b64 s[14:15], s[0:1]
	s_cselect_b64 s[40:41], -1, 0
	v_lshl_add_u64 v[16:17], v[16:17], 0, 4
	v_lshl_add_u64 v[18:19], v[18:19], 0, 4
	s_waitcnt vmcnt(0)
	v_cmp_ne_u32_e64 s[0:1], v24, v25
	s_or_b64 s[0:1], s[0:1], s[40:41]
	s_and_b64 s[0:1], exec, s[0:1]
	v_cmp_eq_u32_e32 vcc, v24, v25
	s_or_b64 s[10:11], s[0:1], s[10:11]
	s_andn2_b64 s[0:1], s[12:13], exec
	s_and_b64 s[12:13], vcc, exec
	s_or_b64 s[12:13], s[0:1], s[12:13]
	s_andn2_b64 exec, exec, s[10:11]
	s_cbranch_execnz .LBB497_48
; %bb.49:
	s_or_b64 exec, exec, s[10:11]
	s_xor_b64 s[0:1], s[12:13], -1
.LBB497_50:
	s_waitcnt lgkmcnt(0)
	v_lshl_or_b32 v17, v20, 16, v21
	s_and_b64 vcc, exec, s[6:7]
	s_cbranch_vccnz .LBB497_54
	s_branch .LBB497_87
.LBB497_51:
                                        ; implicit-def: $sgpr0_sgpr1
                                        ; implicit-def: $vgpr33
                                        ; implicit-def: $vgpr17
	s_branch .LBB497_88
.LBB497_52:
                                        ; implicit-def: $vgpr16
                                        ; implicit-def: $vgpr35
                                        ; implicit-def: $vgpr34
                                        ; implicit-def: $vgpr14
	s_branch .LBB497_141
.LBB497_53:
                                        ; implicit-def: $sgpr0_sgpr1
                                        ; implicit-def: $vgpr33
                                        ; implicit-def: $vgpr17
	s_cbranch_execz .LBB497_87
.LBB497_54:
	v_add_u32_e32 v16, 4, v1
	v_cmp_gt_u32_e32 vcc, s48, v16
	s_mov_b64 s[10:11], 0
	s_mov_b64 s[6:7], 0
	s_and_saveexec_b64 s[12:13], vcc
	s_cbranch_execz .LBB497_60
; %bb.55:
	s_and_b64 vcc, exec, s[4:5]
	s_mov_b64 s[0:1], 0
	s_cbranch_vccnz .LBB497_59
; %bb.56:
	v_mul_lo_u32 v18, v5, s26
	v_mul_lo_u32 v19, v4, s27
	v_mad_u64_u32 v[16:17], s[0:1], v4, s26, 0
	v_add3_u32 v17, v17, v19, v18
	v_mul_lo_u32 v20, v13, s26
	v_mul_lo_u32 v21, v12, s27
	v_mad_u64_u32 v[18:19], s[0:1], v12, s26, 0
	v_add3_u32 v19, v19, v21, v20
	s_add_u32 s40, s26, -1
	v_lshl_add_u64 v[16:17], v[16:17], 2, s[36:37]
	v_lshl_add_u64 v[18:19], v[18:19], 2, s[36:37]
	s_addc_u32 s41, s27, -1
                                        ; implicit-def: $sgpr14_sgpr15
.LBB497_57:                             ; =>This Inner Loop Header: Depth=1
	global_load_dword v20, v[16:17], off
	global_load_dword v21, v[18:19], off
	s_add_u32 s0, s40, -1
	s_addc_u32 s1, s41, -1
	s_cmp_eq_u64 s[40:41], 0
	s_mov_b64 s[40:41], s[0:1]
	s_cselect_b64 s[42:43], -1, 0
	v_lshl_add_u64 v[16:17], v[16:17], 0, 4
	v_lshl_add_u64 v[18:19], v[18:19], 0, 4
	s_waitcnt vmcnt(0)
	v_cmp_ne_u32_e64 s[0:1], v20, v21
	s_or_b64 s[0:1], s[0:1], s[42:43]
	s_and_b64 s[0:1], exec, s[0:1]
	v_cmp_eq_u32_e32 vcc, v20, v21
	s_or_b64 s[6:7], s[0:1], s[6:7]
	s_andn2_b64 s[0:1], s[14:15], exec
	s_and_b64 s[14:15], vcc, exec
	s_or_b64 s[14:15], s[0:1], s[14:15]
	s_andn2_b64 exec, exec, s[6:7]
	s_cbranch_execnz .LBB497_57
; %bb.58:
	s_or_b64 exec, exec, s[6:7]
	s_xor_b64 s[0:1], s[14:15], -1
.LBB497_59:
	s_and_b64 s[6:7], s[0:1], exec
.LBB497_60:
	s_or_b64 exec, exec, s[12:13]
	v_add_u32_e32 v16, 3, v1
	v_cmp_gt_u32_e32 vcc, s48, v16
	s_and_saveexec_b64 s[12:13], vcc
	s_cbranch_execz .LBB497_66
; %bb.61:
	s_and_b64 vcc, exec, s[4:5]
	s_mov_b64 s[0:1], 0
	s_cbranch_vccnz .LBB497_65
; %bb.62:
	v_mul_lo_u32 v18, v3, s26
	v_mul_lo_u32 v19, v2, s27
	v_mad_u64_u32 v[16:17], s[0:1], v2, s26, 0
	v_add3_u32 v17, v17, v19, v18
	v_mul_lo_u32 v20, v5, s26
	v_mul_lo_u32 v21, v4, s27
	v_mad_u64_u32 v[18:19], s[0:1], v4, s26, 0
	v_add3_u32 v19, v19, v21, v20
	s_add_u32 s40, s26, -1
	v_lshl_add_u64 v[16:17], v[16:17], 2, s[36:37]
	v_lshl_add_u64 v[18:19], v[18:19], 2, s[36:37]
	s_addc_u32 s41, s27, -1
	s_mov_b64 s[10:11], 0
                                        ; implicit-def: $sgpr14_sgpr15
.LBB497_63:                             ; =>This Inner Loop Header: Depth=1
	global_load_dword v20, v[16:17], off
	global_load_dword v21, v[18:19], off
	s_add_u32 s0, s40, -1
	s_addc_u32 s1, s41, -1
	s_cmp_eq_u64 s[40:41], 0
	s_mov_b64 s[40:41], s[0:1]
	s_cselect_b64 s[42:43], -1, 0
	v_lshl_add_u64 v[16:17], v[16:17], 0, 4
	v_lshl_add_u64 v[18:19], v[18:19], 0, 4
	s_waitcnt vmcnt(0)
	v_cmp_ne_u32_e64 s[0:1], v20, v21
	s_or_b64 s[0:1], s[0:1], s[42:43]
	s_and_b64 s[0:1], exec, s[0:1]
	v_cmp_eq_u32_e32 vcc, v20, v21
	s_or_b64 s[10:11], s[0:1], s[10:11]
	s_andn2_b64 s[0:1], s[14:15], exec
	s_and_b64 s[14:15], vcc, exec
	s_or_b64 s[14:15], s[0:1], s[14:15]
	s_andn2_b64 exec, exec, s[10:11]
	s_cbranch_execnz .LBB497_63
; %bb.64:
	s_or_b64 exec, exec, s[10:11]
	s_xor_b64 s[0:1], s[14:15], -1
.LBB497_65:
	s_and_b64 s[10:11], s[0:1], exec
.LBB497_66:
	s_or_b64 exec, exec, s[12:13]
	v_add_u32_e32 v16, 2, v1
	v_cmp_gt_u32_e32 vcc, s48, v16
	s_mov_b64 s[12:13], 0
	s_mov_b64 s[14:15], 0
	s_and_saveexec_b64 s[40:41], vcc
	s_cbranch_execz .LBB497_72
; %bb.67:
	s_and_b64 vcc, exec, s[4:5]
	s_mov_b64 s[0:1], 0
	s_cbranch_vccnz .LBB497_71
; %bb.68:
	v_mul_lo_u32 v18, v9, s26
	v_mul_lo_u32 v19, v8, s27
	v_mad_u64_u32 v[16:17], s[0:1], v8, s26, 0
	v_add3_u32 v17, v17, v19, v18
	v_mul_lo_u32 v20, v3, s26
	v_mul_lo_u32 v21, v2, s27
	v_mad_u64_u32 v[18:19], s[0:1], v2, s26, 0
	v_add3_u32 v19, v19, v21, v20
	s_add_u32 s44, s26, -1
	v_lshl_add_u64 v[16:17], v[16:17], 2, s[36:37]
	v_lshl_add_u64 v[18:19], v[18:19], 2, s[36:37]
	s_addc_u32 s45, s27, -1
                                        ; implicit-def: $sgpr42_sgpr43
.LBB497_69:                             ; =>This Inner Loop Header: Depth=1
	global_load_dword v20, v[16:17], off
	global_load_dword v21, v[18:19], off
	s_add_u32 s0, s44, -1
	s_addc_u32 s1, s45, -1
	s_cmp_eq_u64 s[44:45], 0
	s_mov_b64 s[44:45], s[0:1]
	s_cselect_b64 s[46:47], -1, 0
	v_lshl_add_u64 v[16:17], v[16:17], 0, 4
	v_lshl_add_u64 v[18:19], v[18:19], 0, 4
	s_waitcnt vmcnt(0)
	v_cmp_ne_u32_e64 s[0:1], v20, v21
	s_or_b64 s[0:1], s[0:1], s[46:47]
	s_and_b64 s[0:1], exec, s[0:1]
	v_cmp_eq_u32_e32 vcc, v20, v21
	s_or_b64 s[14:15], s[0:1], s[14:15]
	s_andn2_b64 s[0:1], s[42:43], exec
	s_and_b64 s[42:43], vcc, exec
	s_or_b64 s[42:43], s[0:1], s[42:43]
	s_andn2_b64 exec, exec, s[14:15]
	s_cbranch_execnz .LBB497_69
; %bb.70:
	s_or_b64 exec, exec, s[14:15]
	s_xor_b64 s[0:1], s[42:43], -1
.LBB497_71:
	s_and_b64 s[14:15], s[0:1], exec
.LBB497_72:
	s_or_b64 exec, exec, s[40:41]
	v_add_u32_e32 v16, 1, v1
	v_cmp_gt_u32_e32 vcc, s48, v16
	s_and_saveexec_b64 s[40:41], vcc
	s_cbranch_execz .LBB497_78
; %bb.73:
	s_and_b64 vcc, exec, s[4:5]
	s_mov_b64 s[0:1], 0
	s_cbranch_vccnz .LBB497_77
; %bb.74:
	v_mul_lo_u32 v18, v7, s26
	v_mul_lo_u32 v19, v6, s27
	v_mad_u64_u32 v[16:17], s[0:1], v6, s26, 0
	v_add3_u32 v17, v17, v19, v18
	v_mul_lo_u32 v20, v9, s26
	v_mul_lo_u32 v21, v8, s27
	v_mad_u64_u32 v[18:19], s[0:1], v8, s26, 0
	v_add3_u32 v19, v19, v21, v20
	s_add_u32 s44, s26, -1
	v_lshl_add_u64 v[16:17], v[16:17], 2, s[36:37]
	v_lshl_add_u64 v[18:19], v[18:19], 2, s[36:37]
	s_addc_u32 s45, s27, -1
	s_mov_b64 s[12:13], 0
                                        ; implicit-def: $sgpr42_sgpr43
.LBB497_75:                             ; =>This Inner Loop Header: Depth=1
	global_load_dword v20, v[16:17], off
	global_load_dword v21, v[18:19], off
	s_add_u32 s0, s44, -1
	s_addc_u32 s1, s45, -1
	s_cmp_eq_u64 s[44:45], 0
	s_mov_b64 s[44:45], s[0:1]
	s_cselect_b64 s[46:47], -1, 0
	v_lshl_add_u64 v[16:17], v[16:17], 0, 4
	v_lshl_add_u64 v[18:19], v[18:19], 0, 4
	s_waitcnt vmcnt(0)
	v_cmp_ne_u32_e64 s[0:1], v20, v21
	s_or_b64 s[0:1], s[0:1], s[46:47]
	s_and_b64 s[0:1], exec, s[0:1]
	v_cmp_eq_u32_e32 vcc, v20, v21
	s_or_b64 s[12:13], s[0:1], s[12:13]
	s_andn2_b64 s[0:1], s[42:43], exec
	s_and_b64 s[42:43], vcc, exec
	s_or_b64 s[42:43], s[0:1], s[42:43]
	s_andn2_b64 exec, exec, s[12:13]
	s_cbranch_execnz .LBB497_75
; %bb.76:
	s_or_b64 exec, exec, s[12:13]
	s_xor_b64 s[0:1], s[42:43], -1
.LBB497_77:
	s_and_b64 s[12:13], s[0:1], exec
.LBB497_78:
	s_or_b64 exec, exec, s[40:41]
	s_waitcnt lgkmcnt(0)
	s_barrier
	s_and_saveexec_b64 s[0:1], s[2:3]
	s_cbranch_execz .LBB497_80
; %bb.79:
	s_waitcnt vmcnt(0)
	v_add_u32_e32 v14, -8, v23
	ds_read_b64 v[14:15], v14
.LBB497_80:
	s_or_b64 exec, exec, s[0:1]
	v_cndmask_b32_e64 v17, 0, 1, s[10:11]
	v_cndmask_b32_e64 v16, 0, 1, s[14:15]
	;; [unrolled: 1-line block ×3, first 2 shown]
	v_lshlrev_b16_e32 v17, 8, v17
	v_cmp_gt_u32_e32 vcc, s48, v1
	v_lshlrev_b16_e32 v18, 8, v18
	v_or_b32_sdwa v19, v16, v17 dst_sel:WORD_1 dst_unused:UNUSED_PAD src0_sel:DWORD src1_sel:DWORD
	s_mov_b64 s[0:1], 0
	s_and_saveexec_b64 s[10:11], vcc
	s_cbranch_execz .LBB497_86
; %bb.81:
	s_and_b64 vcc, exec, s[4:5]
	s_cbranch_vccnz .LBB497_85
; %bb.82:
	s_waitcnt vmcnt(0) lgkmcnt(0)
	v_mul_lo_u32 v16, v15, s26
	v_mul_lo_u32 v17, v14, s27
	v_mad_u64_u32 v[14:15], s[0:1], v14, s26, 0
	v_add3_u32 v15, v15, v17, v16
	v_mul_lo_u32 v20, v7, s26
	v_mul_lo_u32 v21, v6, s27
	v_mad_u64_u32 v[16:17], s[0:1], v6, s26, 0
	v_add3_u32 v17, v17, v21, v20
	s_add_u32 s14, s26, -1
	v_lshl_add_u64 v[14:15], v[14:15], 2, s[36:37]
	v_lshl_add_u64 v[16:17], v[16:17], 2, s[36:37]
	s_addc_u32 s15, s27, -1
	s_mov_b64 s[4:5], 0
                                        ; implicit-def: $sgpr12_sgpr13
.LBB497_83:                             ; =>This Inner Loop Header: Depth=1
	global_load_dword v20, v[14:15], off
	global_load_dword v21, v[16:17], off
	s_add_u32 s0, s14, -1
	s_addc_u32 s1, s15, -1
	s_cmp_eq_u64 s[14:15], 0
	s_mov_b64 s[14:15], s[0:1]
	s_cselect_b64 s[40:41], -1, 0
	v_lshl_add_u64 v[14:15], v[14:15], 0, 4
	v_lshl_add_u64 v[16:17], v[16:17], 0, 4
	s_waitcnt vmcnt(0)
	v_cmp_ne_u32_e64 s[0:1], v20, v21
	s_or_b64 s[0:1], s[0:1], s[40:41]
	s_and_b64 s[0:1], exec, s[0:1]
	v_cmp_eq_u32_e32 vcc, v20, v21
	s_or_b64 s[4:5], s[0:1], s[4:5]
	s_andn2_b64 s[0:1], s[12:13], exec
	s_and_b64 s[12:13], vcc, exec
	s_or_b64 s[12:13], s[0:1], s[12:13]
	s_andn2_b64 exec, exec, s[4:5]
	s_cbranch_execnz .LBB497_83
; %bb.84:
	s_or_b64 exec, exec, s[4:5]
	s_xor_b64 s[0:1], s[12:13], -1
.LBB497_85:
	s_and_b64 s[0:1], s[0:1], exec
.LBB497_86:
	s_or_b64 exec, exec, s[10:11]
	v_cndmask_b32_e64 v33, 0, 1, s[6:7]
	v_or_b32_e32 v17, v18, v19
.LBB497_87:
	s_mov_b64 s[10:11], -1
	s_cbranch_execnz .LBB497_52
.LBB497_88:
	s_waitcnt vmcnt(0) lgkmcnt(0)
	v_lshlrev_b32_e32 v14, 5, v0
	v_sub_u32_e32 v22, v22, v14
	s_mov_b64 s[0:1], 0
	v_cmp_gt_i64_e64 s[6:7], s[26:27], 0
	s_and_b64 vcc, exec, s[34:35]
	ds_write_b64 v22, v[12:13]
	s_cbranch_vccz .LBB497_99
; %bb.89:
	v_cndmask_b32_e64 v14, 0, 1, s[6:7]
	v_cmp_ne_u32_e64 s[4:5], 1, v14
	s_andn2_b64 vcc, exec, s[6:7]
	s_cbranch_vccnz .LBB497_100
; %bb.90:
	v_mul_lo_u32 v16, v5, s26
	v_mul_lo_u32 v17, v4, s27
	v_mad_u64_u32 v[14:15], s[0:1], v4, s26, 0
	v_add3_u32 v15, v15, v17, v16
	v_mul_lo_u32 v18, v13, s26
	v_mul_lo_u32 v19, v12, s27
	v_mad_u64_u32 v[16:17], s[0:1], v12, s26, 0
	s_add_u32 s14, s26, -1
	v_lshl_add_u64 v[14:15], v[14:15], 2, s[36:37]
	v_add3_u32 v17, v17, v19, v18
	s_addc_u32 s15, s27, -1
	v_lshl_add_u64 v[16:17], v[16:17], 2, s[36:37]
	s_mov_b64 s[40:41], 0
	s_mov_b64 s[42:43], s[14:15]
	v_mov_b64_e32 v[18:19], v[14:15]
                                        ; implicit-def: $sgpr12_sgpr13
.LBB497_91:                             ; =>This Inner Loop Header: Depth=1
	global_load_dword v20, v[18:19], off
	global_load_dword v21, v[16:17], off
	s_add_u32 s0, s42, -1
	s_addc_u32 s1, s43, -1
	s_cmp_eq_u64 s[42:43], 0
	s_mov_b64 s[42:43], s[0:1]
	s_cselect_b64 s[44:45], -1, 0
	v_lshl_add_u64 v[18:19], v[18:19], 0, 4
	v_lshl_add_u64 v[16:17], v[16:17], 0, 4
	s_waitcnt vmcnt(0)
	v_cmp_ne_u32_e64 s[0:1], v20, v21
	s_or_b64 s[0:1], s[0:1], s[44:45]
	s_and_b64 s[0:1], exec, s[0:1]
	v_cmp_eq_u32_e32 vcc, v20, v21
	s_or_b64 s[40:41], s[0:1], s[40:41]
	s_andn2_b64 s[0:1], s[12:13], exec
	s_and_b64 s[12:13], vcc, exec
	s_or_b64 s[12:13], s[0:1], s[12:13]
	s_andn2_b64 exec, exec, s[40:41]
	s_cbranch_execnz .LBB497_91
; %bb.92:
	s_or_b64 exec, exec, s[40:41]
	v_mul_lo_u32 v18, v3, s26
	v_mul_lo_u32 v19, v2, s27
	v_mad_u64_u32 v[16:17], s[0:1], v2, s26, 0
	v_add3_u32 v17, v17, v19, v18
	v_lshl_add_u64 v[16:17], v[16:17], 2, s[36:37]
	s_mov_b64 s[42:43], 0
	s_mov_b64 s[44:45], s[14:15]
	v_mov_b64_e32 v[18:19], v[16:17]
                                        ; implicit-def: $sgpr40_sgpr41
.LBB497_93:                             ; =>This Inner Loop Header: Depth=1
	global_load_dword v20, v[18:19], off
	global_load_dword v21, v[14:15], off
	s_add_u32 s0, s44, -1
	s_addc_u32 s1, s45, -1
	s_cmp_eq_u64 s[44:45], 0
	s_mov_b64 s[44:45], s[0:1]
	s_cselect_b64 s[46:47], -1, 0
	v_lshl_add_u64 v[18:19], v[18:19], 0, 4
	v_lshl_add_u64 v[14:15], v[14:15], 0, 4
	s_waitcnt vmcnt(0)
	v_cmp_ne_u32_e64 s[0:1], v20, v21
	s_or_b64 s[0:1], s[0:1], s[46:47]
	s_and_b64 s[0:1], exec, s[0:1]
	v_cmp_eq_u32_e32 vcc, v20, v21
	s_or_b64 s[42:43], s[0:1], s[42:43]
	s_andn2_b64 s[0:1], s[40:41], exec
	s_and_b64 s[40:41], vcc, exec
	s_or_b64 s[40:41], s[0:1], s[40:41]
	s_andn2_b64 exec, exec, s[42:43]
	s_cbranch_execnz .LBB497_93
; %bb.94:
	s_or_b64 exec, exec, s[42:43]
	v_mul_lo_u32 v18, v9, s26
	v_mul_lo_u32 v19, v8, s27
	v_mad_u64_u32 v[14:15], s[0:1], v8, s26, 0
	v_add3_u32 v15, v15, v19, v18
	v_lshl_add_u64 v[14:15], v[14:15], 2, s[36:37]
	s_mov_b64 s[44:45], 0
	s_mov_b64 s[46:47], s[14:15]
	v_mov_b64_e32 v[18:19], v[14:15]
                                        ; implicit-def: $sgpr42_sgpr43
.LBB497_95:                             ; =>This Inner Loop Header: Depth=1
	global_load_dword v20, v[18:19], off
	global_load_dword v21, v[16:17], off
	s_add_u32 s0, s46, -1
	s_addc_u32 s1, s47, -1
	s_cmp_eq_u64 s[46:47], 0
	s_mov_b64 s[46:47], s[0:1]
	s_cselect_b64 s[50:51], -1, 0
	v_lshl_add_u64 v[18:19], v[18:19], 0, 4
	v_lshl_add_u64 v[16:17], v[16:17], 0, 4
	s_waitcnt vmcnt(0)
	v_cmp_ne_u32_e64 s[0:1], v20, v21
	s_or_b64 s[0:1], s[0:1], s[50:51]
	s_and_b64 s[0:1], exec, s[0:1]
	v_cmp_eq_u32_e32 vcc, v20, v21
	s_or_b64 s[44:45], s[0:1], s[44:45]
	s_andn2_b64 s[0:1], s[42:43], exec
	s_and_b64 s[42:43], vcc, exec
	s_or_b64 s[42:43], s[0:1], s[42:43]
	s_andn2_b64 exec, exec, s[44:45]
	s_cbranch_execnz .LBB497_95
; %bb.96:
	s_or_b64 exec, exec, s[44:45]
	v_mul_lo_u32 v18, v7, s26
	v_mul_lo_u32 v19, v6, s27
	v_mad_u64_u32 v[16:17], s[0:1], v6, s26, 0
	v_add3_u32 v17, v17, v19, v18
	v_lshl_add_u64 v[16:17], v[16:17], 2, s[36:37]
	s_mov_b64 s[46:47], 0
                                        ; implicit-def: $sgpr44_sgpr45
.LBB497_97:                             ; =>This Inner Loop Header: Depth=1
	global_load_dword v18, v[16:17], off
	global_load_dword v19, v[14:15], off
	s_add_u32 s0, s14, -1
	s_addc_u32 s1, s15, -1
	s_cmp_eq_u64 s[14:15], 0
	s_mov_b64 s[14:15], s[0:1]
	s_cselect_b64 s[50:51], -1, 0
	v_lshl_add_u64 v[16:17], v[16:17], 0, 4
	v_lshl_add_u64 v[14:15], v[14:15], 0, 4
	s_waitcnt vmcnt(0)
	v_cmp_ne_u32_e64 s[0:1], v18, v19
	s_or_b64 s[0:1], s[0:1], s[50:51]
	s_and_b64 s[0:1], exec, s[0:1]
	v_cmp_eq_u32_e32 vcc, v18, v19
	s_or_b64 s[46:47], s[0:1], s[46:47]
	s_andn2_b64 s[0:1], s[44:45], exec
	s_and_b64 s[44:45], vcc, exec
	s_or_b64 s[44:45], s[0:1], s[44:45]
	s_andn2_b64 exec, exec, s[46:47]
	s_cbranch_execnz .LBB497_97
; %bb.98:
	s_or_b64 exec, exec, s[46:47]
	s_xor_b64 s[0:1], s[12:13], -1
	v_cndmask_b32_e64 v33, 0, 1, s[0:1]
	s_xor_b64 s[0:1], s[40:41], -1
	v_cndmask_b32_e64 v14, 0, 1, s[0:1]
	v_lshlrev_b16_e32 v14, 8, v14
	v_mov_b32_e32 v15, 8
	s_xor_b64 s[12:13], s[42:43], -1
	v_lshrrev_b32_sdwa v14, v15, v14 dst_sel:BYTE_1 dst_unused:UNUSED_PAD src0_sel:DWORD src1_sel:DWORD
	v_cndmask_b32_e64 v15, 0, 1, s[12:13]
	s_xor_b64 s[0:1], s[44:45], -1
	v_or_b32_sdwa v14, v15, v14 dst_sel:WORD_1 dst_unused:UNUSED_PAD src0_sel:DWORD src1_sel:DWORD
	s_branch .LBB497_101
.LBB497_99:
                                        ; implicit-def: $sgpr0_sgpr1
                                        ; implicit-def: $vgpr33
                                        ; implicit-def: $vgpr17
                                        ; implicit-def: $vgpr16
                                        ; implicit-def: $vgpr35
                                        ; implicit-def: $vgpr34
                                        ; implicit-def: $vgpr14
	s_cbranch_execnz .LBB497_108
	s_branch .LBB497_141
.LBB497_100:
	v_mov_b32_e32 v14, 0
	v_mov_b32_e32 v33, 0
.LBB497_101:
	v_lshrrev_b32_e32 v34, 16, v14
	v_lshrrev_b32_e32 v14, 24, v14
	v_cndmask_b32_e64 v35, 0, 1, s[0:1]
	v_mov_b32_e32 v16, 1
	s_waitcnt lgkmcnt(0)
	s_barrier
                                        ; implicit-def: $sgpr0_sgpr1
                                        ; implicit-def: $vgpr17
	s_and_saveexec_b64 s[12:13], s[2:3]
	s_xor_b64 s[12:13], exec, s[12:13]
	s_cbranch_execz .LBB497_107
; %bb.102:
	v_lshlrev_b16_e32 v15, 8, v14
	s_movk_i32 s0, 0xff
	v_bitop3_b16 v15, v34, v15, s0 bitop3:0xec
	v_lshlrev_b16_e32 v17, 8, v35
	v_lshlrev_b32_e32 v15, 16, v15
	v_or_b32_e32 v17, 1, v17
	v_or_b32_sdwa v15, v17, v15 dst_sel:DWORD dst_unused:UNUSED_PAD src0_sel:WORD_0 src1_sel:DWORD
	s_mov_b32 s42, 0x3020104
	s_and_b64 vcc, exec, s[4:5]
	s_mov_b64 s[0:1], 0
	s_cbranch_vccnz .LBB497_106
; %bb.103:
	v_add_u32_e32 v17, -8, v22
	ds_read_b64 v[18:19], v17
	v_mul_lo_u32 v17, v7, s26
	v_mul_lo_u32 v23, v6, s27
	s_add_u32 s40, s26, -1
	s_addc_u32 s41, s27, -1
	s_waitcnt lgkmcnt(0)
	v_mul_lo_u32 v20, v19, s26
	v_mul_lo_u32 v21, v18, s27
	v_mad_u64_u32 v[18:19], s[0:1], v18, s26, 0
	v_add3_u32 v19, v19, v21, v20
	v_mad_u64_u32 v[20:21], s[0:1], v6, s26, 0
	v_add3_u32 v21, v21, v23, v17
	v_lshl_add_u64 v[18:19], v[18:19], 2, s[36:37]
	v_lshl_add_u64 v[20:21], v[20:21], 2, s[36:37]
	s_mov_b64 s[4:5], 0
                                        ; implicit-def: $sgpr14_sgpr15
.LBB497_104:                            ; =>This Inner Loop Header: Depth=1
	global_load_dword v17, v[18:19], off
	global_load_dword v23, v[20:21], off
	s_add_u32 s0, s40, -1
	s_addc_u32 s1, s41, -1
	s_cmp_eq_u64 s[40:41], 0
	s_mov_b64 s[40:41], s[0:1]
	s_cselect_b64 s[44:45], -1, 0
	v_lshl_add_u64 v[18:19], v[18:19], 0, 4
	v_lshl_add_u64 v[20:21], v[20:21], 0, 4
	s_waitcnt vmcnt(0)
	v_cmp_ne_u32_e64 s[0:1], v17, v23
	s_or_b64 s[0:1], s[0:1], s[44:45]
	s_and_b64 s[0:1], exec, s[0:1]
	v_cmp_eq_u32_e32 vcc, v17, v23
	s_or_b64 s[4:5], s[0:1], s[4:5]
	s_andn2_b64 s[0:1], s[14:15], exec
	s_and_b64 s[14:15], vcc, exec
	s_or_b64 s[14:15], s[0:1], s[14:15]
	s_andn2_b64 exec, exec, s[4:5]
	s_cbranch_execnz .LBB497_104
; %bb.105:
	s_or_b64 exec, exec, s[4:5]
	s_xor_b64 s[0:1], s[14:15], -1
.LBB497_106:
	v_perm_b32 v17, v15, v15, s42
	s_or_b64 s[10:11], s[10:11], exec
.LBB497_107:
	s_or_b64 exec, exec, s[12:13]
	s_branch .LBB497_141
.LBB497_108:
	v_add_u32_e32 v14, 4, v1
	v_cmp_gt_u32_e32 vcc, s48, v14
	s_mov_b64 s[4:5], 0
	s_mov_b64 s[12:13], 0
	s_and_saveexec_b64 s[14:15], vcc
	s_cbranch_execz .LBB497_114
; %bb.109:
	s_andn2_b64 vcc, exec, s[6:7]
	s_mov_b64 s[0:1], 0
	s_cbranch_vccnz .LBB497_113
; %bb.110:
	v_mul_lo_u32 v16, v5, s26
	v_mul_lo_u32 v17, v4, s27
	v_mad_u64_u32 v[14:15], s[0:1], v4, s26, 0
	v_add3_u32 v15, v15, v17, v16
	v_mul_lo_u32 v18, v13, s26
	v_mul_lo_u32 v19, v12, s27
	v_mad_u64_u32 v[16:17], s[0:1], v12, s26, 0
	v_add3_u32 v17, v17, v19, v18
	s_add_u32 s42, s26, -1
	v_lshl_add_u64 v[14:15], v[14:15], 2, s[36:37]
	v_lshl_add_u64 v[16:17], v[16:17], 2, s[36:37]
	s_addc_u32 s43, s27, -1
                                        ; implicit-def: $sgpr40_sgpr41
.LBB497_111:                            ; =>This Inner Loop Header: Depth=1
	global_load_dword v18, v[14:15], off
	global_load_dword v19, v[16:17], off
	s_add_u32 s0, s42, -1
	s_addc_u32 s1, s43, -1
	s_cmp_eq_u64 s[42:43], 0
	s_mov_b64 s[42:43], s[0:1]
	s_cselect_b64 s[44:45], -1, 0
	v_lshl_add_u64 v[14:15], v[14:15], 0, 4
	v_lshl_add_u64 v[16:17], v[16:17], 0, 4
	s_waitcnt vmcnt(0)
	v_cmp_ne_u32_e64 s[0:1], v18, v19
	s_or_b64 s[0:1], s[0:1], s[44:45]
	s_and_b64 s[0:1], exec, s[0:1]
	v_cmp_eq_u32_e32 vcc, v18, v19
	s_or_b64 s[12:13], s[0:1], s[12:13]
	s_andn2_b64 s[0:1], s[40:41], exec
	s_and_b64 s[40:41], vcc, exec
	s_or_b64 s[40:41], s[0:1], s[40:41]
	s_andn2_b64 exec, exec, s[12:13]
	s_cbranch_execnz .LBB497_111
; %bb.112:
	s_or_b64 exec, exec, s[12:13]
	s_xor_b64 s[0:1], s[40:41], -1
.LBB497_113:
	s_and_b64 s[12:13], s[0:1], exec
.LBB497_114:
	s_or_b64 exec, exec, s[14:15]
	v_add_u32_e32 v14, 3, v1
	v_cmp_gt_u32_e32 vcc, s48, v14
	s_and_saveexec_b64 s[14:15], vcc
	s_cbranch_execz .LBB497_120
; %bb.115:
	s_andn2_b64 vcc, exec, s[6:7]
	s_mov_b64 s[0:1], 0
	s_cbranch_vccnz .LBB497_119
; %bb.116:
	v_mul_lo_u32 v16, v3, s26
	v_mul_lo_u32 v17, v2, s27
	v_mad_u64_u32 v[14:15], s[0:1], v2, s26, 0
	v_add3_u32 v15, v15, v17, v16
	v_mul_lo_u32 v18, v5, s26
	v_mul_lo_u32 v19, v4, s27
	v_mad_u64_u32 v[16:17], s[0:1], v4, s26, 0
	v_add3_u32 v17, v17, v19, v18
	s_add_u32 s42, s26, -1
	v_lshl_add_u64 v[14:15], v[14:15], 2, s[36:37]
	v_lshl_add_u64 v[16:17], v[16:17], 2, s[36:37]
	s_addc_u32 s43, s27, -1
	s_mov_b64 s[4:5], 0
                                        ; implicit-def: $sgpr40_sgpr41
.LBB497_117:                            ; =>This Inner Loop Header: Depth=1
	global_load_dword v18, v[14:15], off
	global_load_dword v19, v[16:17], off
	s_add_u32 s0, s42, -1
	s_addc_u32 s1, s43, -1
	s_cmp_eq_u64 s[42:43], 0
	s_mov_b64 s[42:43], s[0:1]
	s_cselect_b64 s[44:45], -1, 0
	v_lshl_add_u64 v[14:15], v[14:15], 0, 4
	v_lshl_add_u64 v[16:17], v[16:17], 0, 4
	s_waitcnt vmcnt(0)
	v_cmp_ne_u32_e64 s[0:1], v18, v19
	s_or_b64 s[0:1], s[0:1], s[44:45]
	s_and_b64 s[0:1], exec, s[0:1]
	v_cmp_eq_u32_e32 vcc, v18, v19
	s_or_b64 s[4:5], s[0:1], s[4:5]
	s_andn2_b64 s[0:1], s[40:41], exec
	s_and_b64 s[40:41], vcc, exec
	s_or_b64 s[40:41], s[0:1], s[40:41]
	s_andn2_b64 exec, exec, s[4:5]
	s_cbranch_execnz .LBB497_117
; %bb.118:
	s_or_b64 exec, exec, s[4:5]
	s_xor_b64 s[0:1], s[40:41], -1
.LBB497_119:
	s_and_b64 s[4:5], s[0:1], exec
.LBB497_120:
	s_or_b64 exec, exec, s[14:15]
	v_add_u32_e32 v14, 2, v1
	v_cmp_gt_u32_e32 vcc, s48, v14
	s_mov_b64 s[14:15], 0
	s_mov_b64 s[40:41], 0
	s_and_saveexec_b64 s[42:43], vcc
	s_cbranch_execz .LBB497_126
; %bb.121:
	s_andn2_b64 vcc, exec, s[6:7]
	s_mov_b64 s[0:1], 0
	s_cbranch_vccnz .LBB497_125
; %bb.122:
	v_mul_lo_u32 v16, v9, s26
	v_mul_lo_u32 v17, v8, s27
	v_mad_u64_u32 v[14:15], s[0:1], v8, s26, 0
	v_add3_u32 v15, v15, v17, v16
	v_mul_lo_u32 v18, v3, s26
	v_mul_lo_u32 v19, v2, s27
	v_mad_u64_u32 v[16:17], s[0:1], v2, s26, 0
	v_add3_u32 v17, v17, v19, v18
	s_add_u32 s46, s26, -1
	v_lshl_add_u64 v[14:15], v[14:15], 2, s[36:37]
	v_lshl_add_u64 v[16:17], v[16:17], 2, s[36:37]
	s_addc_u32 s47, s27, -1
                                        ; implicit-def: $sgpr44_sgpr45
.LBB497_123:                            ; =>This Inner Loop Header: Depth=1
	global_load_dword v18, v[14:15], off
	global_load_dword v19, v[16:17], off
	s_add_u32 s0, s46, -1
	s_addc_u32 s1, s47, -1
	s_cmp_eq_u64 s[46:47], 0
	s_mov_b64 s[46:47], s[0:1]
	s_cselect_b64 s[50:51], -1, 0
	v_lshl_add_u64 v[14:15], v[14:15], 0, 4
	v_lshl_add_u64 v[16:17], v[16:17], 0, 4
	s_waitcnt vmcnt(0)
	v_cmp_ne_u32_e64 s[0:1], v18, v19
	s_or_b64 s[0:1], s[0:1], s[50:51]
	s_and_b64 s[0:1], exec, s[0:1]
	v_cmp_eq_u32_e32 vcc, v18, v19
	s_or_b64 s[40:41], s[0:1], s[40:41]
	s_andn2_b64 s[0:1], s[44:45], exec
	s_and_b64 s[44:45], vcc, exec
	s_or_b64 s[44:45], s[0:1], s[44:45]
	s_andn2_b64 exec, exec, s[40:41]
	s_cbranch_execnz .LBB497_123
; %bb.124:
	s_or_b64 exec, exec, s[40:41]
	s_xor_b64 s[0:1], s[44:45], -1
.LBB497_125:
	s_and_b64 s[40:41], s[0:1], exec
.LBB497_126:
	s_or_b64 exec, exec, s[42:43]
	v_add_u32_e32 v14, 1, v1
	v_cmp_gt_u32_e32 vcc, s48, v14
	s_and_saveexec_b64 s[42:43], vcc
	s_cbranch_execz .LBB497_132
; %bb.127:
	s_andn2_b64 vcc, exec, s[6:7]
	s_mov_b64 s[0:1], 0
	s_cbranch_vccnz .LBB497_131
; %bb.128:
	v_mul_lo_u32 v16, v7, s26
	v_mul_lo_u32 v17, v6, s27
	v_mad_u64_u32 v[14:15], s[0:1], v6, s26, 0
	v_add3_u32 v15, v15, v17, v16
	v_mul_lo_u32 v18, v9, s26
	v_mul_lo_u32 v19, v8, s27
	v_mad_u64_u32 v[16:17], s[0:1], v8, s26, 0
	v_add3_u32 v17, v17, v19, v18
	s_add_u32 s46, s26, -1
	v_lshl_add_u64 v[14:15], v[14:15], 2, s[36:37]
	v_lshl_add_u64 v[16:17], v[16:17], 2, s[36:37]
	s_addc_u32 s47, s27, -1
	s_mov_b64 s[14:15], 0
                                        ; implicit-def: $sgpr44_sgpr45
.LBB497_129:                            ; =>This Inner Loop Header: Depth=1
	global_load_dword v18, v[14:15], off
	global_load_dword v19, v[16:17], off
	s_add_u32 s0, s46, -1
	s_addc_u32 s1, s47, -1
	s_cmp_eq_u64 s[46:47], 0
	s_mov_b64 s[46:47], s[0:1]
	s_cselect_b64 s[50:51], -1, 0
	v_lshl_add_u64 v[14:15], v[14:15], 0, 4
	v_lshl_add_u64 v[16:17], v[16:17], 0, 4
	s_waitcnt vmcnt(0)
	v_cmp_ne_u32_e64 s[0:1], v18, v19
	s_or_b64 s[0:1], s[0:1], s[50:51]
	s_and_b64 s[0:1], exec, s[0:1]
	v_cmp_eq_u32_e32 vcc, v18, v19
	s_or_b64 s[14:15], s[0:1], s[14:15]
	s_andn2_b64 s[0:1], s[44:45], exec
	s_and_b64 s[44:45], vcc, exec
	s_or_b64 s[44:45], s[0:1], s[44:45]
	s_andn2_b64 exec, exec, s[14:15]
	s_cbranch_execnz .LBB497_129
; %bb.130:
	s_or_b64 exec, exec, s[14:15]
	s_xor_b64 s[0:1], s[44:45], -1
.LBB497_131:
	s_and_b64 s[14:15], s[0:1], exec
.LBB497_132:
	s_or_b64 exec, exec, s[42:43]
	v_cndmask_b32_e64 v33, 0, 1, s[12:13]
	v_cndmask_b32_e64 v34, 0, 1, s[40:41]
	;; [unrolled: 1-line block ×4, first 2 shown]
	v_mov_b32_e32 v16, 1
	s_waitcnt lgkmcnt(0)
	s_barrier
                                        ; implicit-def: $sgpr0_sgpr1
                                        ; implicit-def: $vgpr17
	s_and_saveexec_b64 s[4:5], s[2:3]
	s_cbranch_execz .LBB497_140
; %bb.133:
	v_lshlrev_b16_e32 v15, 8, v35
	v_lshlrev_b16_e32 v17, 8, v14
	v_or_b32_e32 v15, 1, v15
	v_or_b32_sdwa v17, v34, v17 dst_sel:WORD_1 dst_unused:UNUSED_PAD src0_sel:DWORD src1_sel:DWORD
	v_cmp_gt_u32_e32 vcc, s48, v1
	v_or_b32_sdwa v15, v15, v17 dst_sel:DWORD dst_unused:UNUSED_PAD src0_sel:WORD_0 src1_sel:DWORD
	s_mov_b32 s40, 0x3020104
	s_mov_b64 s[0:1], 0
	s_and_saveexec_b64 s[2:3], vcc
	s_cbranch_execz .LBB497_139
; %bb.134:
	s_andn2_b64 vcc, exec, s[6:7]
	s_cbranch_vccnz .LBB497_138
; %bb.135:
	v_add_u32_e32 v17, -8, v22
	ds_read_b64 v[18:19], v17
	v_mul_lo_u32 v17, v7, s26
	v_mul_lo_u32 v22, v6, s27
	s_add_u32 s14, s26, -1
	s_addc_u32 s15, s27, -1
	s_waitcnt lgkmcnt(0)
	v_mul_lo_u32 v20, v19, s26
	v_mul_lo_u32 v21, v18, s27
	v_mad_u64_u32 v[18:19], s[0:1], v18, s26, 0
	v_add3_u32 v19, v19, v21, v20
	v_mad_u64_u32 v[20:21], s[0:1], v6, s26, 0
	v_add3_u32 v21, v21, v22, v17
	v_lshl_add_u64 v[18:19], v[18:19], 2, s[36:37]
	v_lshl_add_u64 v[20:21], v[20:21], 2, s[36:37]
	s_mov_b64 s[6:7], 0
                                        ; implicit-def: $sgpr12_sgpr13
.LBB497_136:                            ; =>This Inner Loop Header: Depth=1
	global_load_dword v17, v[18:19], off
	global_load_dword v22, v[20:21], off
	s_add_u32 s0, s14, -1
	s_addc_u32 s1, s15, -1
	s_cmp_eq_u64 s[14:15], 0
	s_mov_b64 s[14:15], s[0:1]
	s_cselect_b64 s[26:27], -1, 0
	v_lshl_add_u64 v[18:19], v[18:19], 0, 4
	v_lshl_add_u64 v[20:21], v[20:21], 0, 4
	s_waitcnt vmcnt(0)
	v_cmp_ne_u32_e64 s[0:1], v17, v22
	s_or_b64 s[0:1], s[0:1], s[26:27]
	s_and_b64 s[0:1], exec, s[0:1]
	v_cmp_eq_u32_e32 vcc, v17, v22
	s_or_b64 s[6:7], s[0:1], s[6:7]
	s_andn2_b64 s[0:1], s[12:13], exec
	s_and_b64 s[12:13], vcc, exec
	s_or_b64 s[12:13], s[0:1], s[12:13]
	s_andn2_b64 exec, exec, s[6:7]
	s_cbranch_execnz .LBB497_136
; %bb.137:
	s_or_b64 exec, exec, s[6:7]
	s_xor_b64 s[0:1], s[12:13], -1
.LBB497_138:
	s_and_b64 s[0:1], s[0:1], exec
.LBB497_139:
	s_or_b64 exec, exec, s[2:3]
	v_perm_b32 v17, v15, v15, s40
	s_or_b64 s[10:11], s[10:11], exec
.LBB497_140:
	s_or_b64 exec, exec, s[4:5]
.LBB497_141:
	s_and_saveexec_b64 s[2:3], s[10:11]
	s_cbranch_execz .LBB497_143
; %bb.142:
	s_waitcnt vmcnt(0) lgkmcnt(0)
	v_lshrrev_b32_e32 v14, 24, v17
	v_lshrrev_b32_e32 v34, 16, v17
	;; [unrolled: 1-line block ×3, first 2 shown]
	v_cndmask_b32_e64 v16, 0, 1, s[0:1]
.LBB497_143:
	s_or_b64 exec, exec, s[2:3]
	s_andn2_b64 vcc, exec, s[8:9]
	s_cbranch_vccnz .LBB497_147
; %bb.144:
	s_mov_b32 s0, 0xc0c0004
	s_waitcnt vmcnt(0) lgkmcnt(0)
	v_perm_b32 v14, v34, v14, s0
	v_perm_b32 v15, v16, v35, s0
	v_lshlrev_b32_e32 v14, 16, v14
	v_or_b32_e32 v15, v15, v14
	v_cmp_gt_u32_e32 vcc, s48, v1
	v_add_u32_e32 v16, 1, v1
	s_mov_b32 s0, 0x40c0100
	v_cndmask_b32_e32 v14, v14, v15, vcc
	v_and_b32_e32 v14, 0xffff00ff, v14
	v_cmp_gt_u32_e32 vcc, s48, v16
	v_add_u32_e32 v16, 2, v1
	v_and_b32_e32 v33, 0xff, v33
	v_cndmask_b32_e32 v14, v14, v15, vcc
	v_lshrrev_b32_e32 v18, 24, v14
	v_perm_b32 v14, v18, v14, s0
	v_cmp_gt_u32_e32 vcc, s48, v16
	v_add_u32_e32 v16, 3, v1
	v_and_b32_e32 v17, 0xffff, v33
	v_cndmask_b32_e32 v14, v14, v15, vcc
	v_and_b32_e32 v14, 0xffffff, v14
	v_cmp_gt_u32_e32 vcc, s48, v16
	v_add_u32_e32 v1, 4, v1
	s_nop 0
	v_cndmask_b32_e32 v16, v14, v15, vcc
	v_lshrrev_b32_e32 v34, 16, v16
	v_lshrrev_b32_e32 v35, 8, v16
	v_lshrrev_b64 v[14:15], 24, v[16:17]
	v_cmp_le_u32_e32 vcc, s48, v1
	s_and_saveexec_b64 s[0:1], vcc
; %bb.145:
	v_mov_b32_e32 v33, 0
; %bb.146:
	s_or_b64 exec, exec, s[0:1]
.LBB497_147:
	v_and_b32_e32 v1, 0xff, v16
	s_waitcnt vmcnt(0) lgkmcnt(0)
	v_and_b32_e32 v15, 0xff, v35
	v_and_b32_e32 v17, 0xff, v34
	;; [unrolled: 1-line block ×4, first 2 shown]
	v_add3_u32 v19, v15, v1, v17
	v_add3_u32 v37, v19, v29, v18
	v_mbcnt_lo_u32_b32 v18, -1, 0
	v_mbcnt_hi_u32_b32 v31, -1, v18
	v_and_b32_e32 v18, 15, v31
	v_cmp_eq_u32_e64 s[14:15], 0, v18
	v_cmp_lt_u32_e64 s[12:13], 1, v18
	v_cmp_lt_u32_e64 s[10:11], 3, v18
	;; [unrolled: 1-line block ×3, first 2 shown]
	v_and_b32_e32 v18, 16, v31
	v_cmp_eq_u32_e64 s[6:7], 0, v18
	v_or_b32_e32 v18, 63, v0
	v_cmp_lt_u32_e64 s[2:3], 31, v31
	v_lshrrev_b32_e32 v36, 6, v0
	v_cmp_eq_u32_e64 s[4:5], v0, v18
	s_and_b64 vcc, exec, s[16:17]
	s_barrier
	s_cbranch_vccz .LBB497_169
; %bb.148:
	v_mov_b32_dpp v18, v37 row_shr:1 row_mask:0xf bank_mask:0xf
	v_cndmask_b32_e64 v18, v18, 0, s[14:15]
	v_add_u32_e32 v18, v18, v37
	s_nop 1
	v_mov_b32_dpp v19, v18 row_shr:2 row_mask:0xf bank_mask:0xf
	v_cndmask_b32_e64 v19, 0, v19, s[12:13]
	v_add_u32_e32 v18, v18, v19
	s_nop 1
	;; [unrolled: 4-line block ×4, first 2 shown]
	v_mov_b32_dpp v19, v18 row_bcast:15 row_mask:0xf bank_mask:0xf
	v_cndmask_b32_e64 v19, v19, 0, s[6:7]
	v_add_u32_e32 v18, v18, v19
	s_nop 1
	v_mov_b32_dpp v19, v18 row_bcast:31 row_mask:0xf bank_mask:0xf
	v_cndmask_b32_e64 v19, 0, v19, s[2:3]
	v_add_u32_e32 v18, v18, v19
	s_and_saveexec_b64 s[0:1], s[4:5]
; %bb.149:
	v_lshlrev_b32_e32 v19, 2, v36
	ds_write_b32 v19, v18
; %bb.150:
	s_or_b64 exec, exec, s[0:1]
	v_cmp_gt_u32_e32 vcc, 2, v0
	s_waitcnt lgkmcnt(0)
	s_barrier
	s_and_saveexec_b64 s[0:1], vcc
	s_cbranch_execz .LBB497_152
; %bb.151:
	v_lshlrev_b32_e32 v19, 2, v0
	ds_read_b32 v20, v19
	v_bfe_i32 v21, v31, 0, 1
	s_waitcnt lgkmcnt(0)
	v_mov_b32_dpp v22, v20 row_shr:1 row_mask:0xf bank_mask:0xf
	v_and_b32_e32 v21, v21, v22
	v_add_u32_e32 v20, v21, v20
	ds_write_b32 v19, v20
.LBB497_152:
	s_or_b64 exec, exec, s[0:1]
	v_cmp_gt_u32_e32 vcc, 64, v0
	v_cmp_lt_u32_e64 s[0:1], 63, v0
	s_waitcnt lgkmcnt(0)
	s_barrier
                                        ; implicit-def: $vgpr28
	s_and_saveexec_b64 s[16:17], s[0:1]
	s_cbranch_execz .LBB497_154
; %bb.153:
	v_lshl_add_u32 v19, v36, 2, -4
	ds_read_b32 v28, v19
	s_waitcnt lgkmcnt(0)
	v_add_u32_e32 v18, v28, v18
.LBB497_154:
	s_or_b64 exec, exec, s[16:17]
	v_subrev_co_u32_e64 v19, s[16:17], 1, v31
	v_and_b32_e32 v20, 64, v31
	v_cmp_lt_i32_e64 s[0:1], v19, v20
	s_nop 1
	v_cndmask_b32_e64 v19, v19, v31, s[0:1]
	v_lshlrev_b32_e32 v19, 2, v19
	ds_bpermute_b32 v30, v19, v18
	s_and_saveexec_b64 s[0:1], vcc
	s_cbranch_execz .LBB497_174
; %bb.155:
	v_mov_b32_e32 v25, 0
	ds_read_b32 v18, v25 offset:4
	s_and_saveexec_b64 s[26:27], s[16:17]
	s_cbranch_execz .LBB497_157
; %bb.156:
	s_add_i32 s36, s33, 64
	s_mov_b32 s37, 0
	s_lshl_b64 s[36:37], s[36:37], 3
	s_add_u32 s36, s38, s36
	v_mov_b32_e32 v19, 1
	s_addc_u32 s37, s39, s37
	s_waitcnt lgkmcnt(0)
	global_store_dwordx2 v25, v[18:19], s[36:37] sc1
.LBB497_157:
	s_or_b64 exec, exec, s[26:27]
	v_xad_u32 v20, v31, -1, s33
	v_add_u32_e32 v24, 64, v20
	v_lshl_add_u64 v[26:27], v[24:25], 3, s[38:39]
	global_load_dwordx2 v[22:23], v[26:27], off sc1
	s_waitcnt vmcnt(0)
	v_cmp_eq_u16_sdwa s[36:37], v23, v25 src0_sel:BYTE_0 src1_sel:DWORD
	s_and_saveexec_b64 s[26:27], s[36:37]
	s_cbranch_execz .LBB497_161
; %bb.158:
	s_mov_b64 s[36:37], 0
	v_mov_b32_e32 v19, 0
.LBB497_159:                            ; =>This Inner Loop Header: Depth=1
	global_load_dwordx2 v[22:23], v[26:27], off sc1
	s_waitcnt vmcnt(0)
	v_cmp_ne_u16_sdwa s[40:41], v23, v19 src0_sel:BYTE_0 src1_sel:DWORD
	s_or_b64 s[36:37], s[40:41], s[36:37]
	s_andn2_b64 exec, exec, s[36:37]
	s_cbranch_execnz .LBB497_159
; %bb.160:
	s_or_b64 exec, exec, s[36:37]
.LBB497_161:
	s_or_b64 exec, exec, s[26:27]
	v_and_b32_e32 v39, 63, v31
	v_mov_b32_e32 v38, 2
	v_cmp_ne_u32_e32 vcc, 63, v39
	v_cmp_eq_u16_sdwa s[26:27], v23, v38 src0_sel:BYTE_0 src1_sel:DWORD
	v_lshlrev_b64 v[24:25], v31, -1
	v_addc_co_u32_e32 v26, vcc, 0, v31, vcc
	v_and_b32_e32 v19, s27, v25
	v_lshlrev_b32_e32 v40, 2, v26
	v_or_b32_e32 v19, 0x80000000, v19
	ds_bpermute_b32 v26, v40, v22
	v_and_b32_e32 v21, s26, v24
	v_ffbl_b32_e32 v19, v19
	v_add_u32_e32 v19, 32, v19
	v_ffbl_b32_e32 v21, v21
	v_min_u32_e32 v19, v21, v19
	v_cmp_lt_u32_e32 vcc, v39, v19
	v_add_u32_e32 v42, 2, v39
	v_add_u32_e32 v44, 4, v39
	s_waitcnt lgkmcnt(0)
	v_cndmask_b32_e32 v21, 0, v26, vcc
	v_cmp_gt_u32_e32 vcc, 62, v39
	v_add_u32_e32 v21, v21, v22
	v_add_u32_e32 v46, 8, v39
	v_cndmask_b32_e64 v22, 0, 2, vcc
	v_add_lshl_u32 v41, v22, v31, 2
	ds_bpermute_b32 v22, v41, v21
	v_cmp_le_u32_e32 vcc, v42, v19
	v_add_u32_e32 v48, 16, v39
	v_add_u32_e32 v50, 32, v39
	s_waitcnt lgkmcnt(0)
	v_cndmask_b32_e32 v22, 0, v22, vcc
	v_cmp_gt_u32_e32 vcc, 60, v39
	v_add_u32_e32 v21, v21, v22
	s_nop 0
	v_cndmask_b32_e64 v22, 0, 4, vcc
	v_add_lshl_u32 v43, v22, v31, 2
	ds_bpermute_b32 v22, v43, v21
	v_cmp_le_u32_e32 vcc, v44, v19
	s_waitcnt lgkmcnt(0)
	s_nop 0
	v_cndmask_b32_e32 v22, 0, v22, vcc
	v_cmp_gt_u32_e32 vcc, 56, v39
	v_add_u32_e32 v21, v21, v22
	s_nop 0
	v_cndmask_b32_e64 v22, 0, 8, vcc
	v_add_lshl_u32 v45, v22, v31, 2
	ds_bpermute_b32 v22, v45, v21
	v_cmp_le_u32_e32 vcc, v46, v19
	s_waitcnt lgkmcnt(0)
	s_nop 0
	;; [unrolled: 10-line block ×3, first 2 shown]
	v_cndmask_b32_e32 v22, 0, v22, vcc
	v_add_u32_e32 v21, v21, v22
	v_mov_b32_e32 v22, 0x80
	v_lshl_or_b32 v49, v31, 2, v22
	ds_bpermute_b32 v22, v49, v21
	v_cmp_le_u32_e32 vcc, v50, v19
	s_waitcnt lgkmcnt(0)
	s_nop 0
	v_cndmask_b32_e32 v19, 0, v22, vcc
	v_add_u32_e32 v22, v21, v19
	v_mov_b32_e32 v21, 0
	s_branch .LBB497_164
.LBB497_162:                            ;   in Loop: Header=BB497_164 Depth=1
	s_or_b64 exec, exec, s[26:27]
	v_cmp_eq_u16_sdwa s[26:27], v23, v38 src0_sel:BYTE_0 src1_sel:DWORD
	ds_bpermute_b32 v51, v40, v22
	v_subrev_u32_e32 v20, 64, v20
	v_and_b32_e32 v26, s27, v25
	v_or_b32_e32 v26, 0x80000000, v26
	v_and_b32_e32 v27, s26, v24
	v_ffbl_b32_e32 v26, v26
	v_add_u32_e32 v26, 32, v26
	v_ffbl_b32_e32 v27, v27
	v_min_u32_e32 v26, v27, v26
	v_cmp_lt_u32_e32 vcc, v39, v26
	s_mov_b64 s[26:27], 0
	s_waitcnt lgkmcnt(0)
	v_cndmask_b32_e32 v27, 0, v51, vcc
	v_add_u32_e32 v22, v27, v22
	ds_bpermute_b32 v27, v41, v22
	v_cmp_le_u32_e32 vcc, v42, v26
	s_waitcnt lgkmcnt(0)
	s_nop 0
	v_cndmask_b32_e32 v27, 0, v27, vcc
	v_add_u32_e32 v22, v22, v27
	ds_bpermute_b32 v27, v43, v22
	v_cmp_le_u32_e32 vcc, v44, v26
	s_waitcnt lgkmcnt(0)
	s_nop 0
	;; [unrolled: 6-line block ×5, first 2 shown]
	v_cndmask_b32_e32 v26, 0, v27, vcc
	v_add3_u32 v22, v26, v19, v22
.LBB497_163:                            ;   in Loop: Header=BB497_164 Depth=1
	s_and_b64 vcc, exec, s[26:27]
	s_cbranch_vccnz .LBB497_170
.LBB497_164:                            ; =>This Loop Header: Depth=1
                                        ;     Child Loop BB497_167 Depth 2
	v_cmp_ne_u16_sdwa s[26:27], v23, v38 src0_sel:BYTE_0 src1_sel:DWORD
	v_mov_b32_e32 v19, v22
	s_cmp_lg_u64 s[26:27], exec
	s_mov_b64 s[26:27], -1
                                        ; implicit-def: $vgpr22
                                        ; implicit-def: $vgpr23
	s_cbranch_scc1 .LBB497_163
; %bb.165:                              ;   in Loop: Header=BB497_164 Depth=1
	v_lshl_add_u64 v[26:27], v[20:21], 3, s[38:39]
	global_load_dwordx2 v[22:23], v[26:27], off sc1
	s_waitcnt vmcnt(0)
	v_cmp_eq_u16_sdwa s[36:37], v23, v21 src0_sel:BYTE_0 src1_sel:DWORD
	s_and_saveexec_b64 s[26:27], s[36:37]
	s_cbranch_execz .LBB497_162
; %bb.166:                              ;   in Loop: Header=BB497_164 Depth=1
	s_mov_b64 s[36:37], 0
.LBB497_167:                            ;   Parent Loop BB497_164 Depth=1
                                        ; =>  This Inner Loop Header: Depth=2
	global_load_dwordx2 v[22:23], v[26:27], off sc1
	s_waitcnt vmcnt(0)
	v_cmp_ne_u16_sdwa s[40:41], v23, v21 src0_sel:BYTE_0 src1_sel:DWORD
	s_or_b64 s[36:37], s[40:41], s[36:37]
	s_andn2_b64 exec, exec, s[36:37]
	s_cbranch_execnz .LBB497_167
; %bb.168:                              ;   in Loop: Header=BB497_164 Depth=1
	s_or_b64 exec, exec, s[36:37]
	s_branch .LBB497_162
.LBB497_169:
                                        ; implicit-def: $vgpr22
                                        ; implicit-def: $vgpr24
                                        ; implicit-def: $vgpr26
                                        ; implicit-def: $vgpr28
                                        ; implicit-def: $vgpr30
                                        ; implicit-def: $vgpr20
                                        ; implicit-def: $vgpr18
	s_cbranch_execnz .LBB497_175
	s_branch .LBB497_184
.LBB497_170:
	s_and_saveexec_b64 s[26:27], s[16:17]
	s_cbranch_execz .LBB497_172
; %bb.171:
	s_add_i32 s36, s33, 64
	s_mov_b32 s37, 0
	s_lshl_b64 s[36:37], s[36:37], 3
	s_add_u32 s36, s38, s36
	v_add_u32_e32 v20, v19, v18
	v_mov_b32_e32 v21, 2
	s_addc_u32 s37, s39, s37
	v_mov_b32_e32 v22, 0
	global_store_dwordx2 v22, v[20:21], s[36:37] sc1
	ds_write_b64 v22, v[18:19] offset:5120
.LBB497_172:
	s_or_b64 exec, exec, s[26:27]
	s_and_b64 exec, exec, s[18:19]
; %bb.173:
	v_mov_b32_e32 v18, 0
	ds_write_b32 v18, v19 offset:4
.LBB497_174:
	s_or_b64 exec, exec, s[0:1]
	v_mov_b32_e32 v18, 0
	s_waitcnt lgkmcnt(0)
	s_barrier
	ds_read_b32 v19, v18 offset:4
	v_cndmask_b32_e64 v20, v30, v28, s[16:17]
	v_cndmask_b32_e64 v20, v20, 0, s[18:19]
	s_waitcnt lgkmcnt(0)
	s_barrier
	v_add_u32_e32 v30, v19, v20
	ds_read_b64 v[18:19], v18 offset:5120
	v_add_u32_e32 v28, v30, v1
	v_add_u32_e32 v26, v28, v15
	;; [unrolled: 1-line block ×4, first 2 shown]
	s_waitcnt lgkmcnt(0)
	v_mov_b32_e32 v20, v19
	s_branch .LBB497_184
.LBB497_175:
	v_mov_b32_dpp v18, v37 row_shr:1 row_mask:0xf bank_mask:0xf
	v_cndmask_b32_e64 v18, v18, 0, s[14:15]
	v_add_u32_e32 v18, v18, v37
	s_nop 1
	v_mov_b32_dpp v19, v18 row_shr:2 row_mask:0xf bank_mask:0xf
	v_cndmask_b32_e64 v19, 0, v19, s[12:13]
	v_add_u32_e32 v18, v18, v19
	s_nop 1
	;; [unrolled: 4-line block ×4, first 2 shown]
	v_mov_b32_dpp v19, v18 row_bcast:15 row_mask:0xf bank_mask:0xf
	v_cndmask_b32_e64 v19, v19, 0, s[6:7]
	v_add_u32_e32 v18, v18, v19
	s_nop 1
	v_mov_b32_dpp v19, v18 row_bcast:31 row_mask:0xf bank_mask:0xf
	v_cndmask_b32_e64 v19, 0, v19, s[2:3]
	v_add_u32_e32 v18, v18, v19
	s_and_saveexec_b64 s[0:1], s[4:5]
; %bb.176:
	v_lshlrev_b32_e32 v19, 2, v36
	ds_write_b32 v19, v18
; %bb.177:
	s_or_b64 exec, exec, s[0:1]
	v_cmp_gt_u32_e32 vcc, 2, v0
	s_waitcnt lgkmcnt(0)
	s_barrier
	s_and_saveexec_b64 s[0:1], vcc
	s_cbranch_execz .LBB497_179
; %bb.178:
	v_lshlrev_b32_e32 v19, 2, v0
	ds_read_b32 v20, v19
	v_bfe_i32 v21, v31, 0, 1
	s_waitcnt lgkmcnt(0)
	v_mov_b32_dpp v22, v20 row_shr:1 row_mask:0xf bank_mask:0xf
	v_and_b32_e32 v21, v21, v22
	v_add_u32_e32 v20, v21, v20
	ds_write_b32 v19, v20
.LBB497_179:
	s_or_b64 exec, exec, s[0:1]
	v_cmp_lt_u32_e32 vcc, 63, v0
	v_mov_b32_e32 v19, 0
	v_mov_b32_e32 v20, 0
	s_waitcnt lgkmcnt(0)
	s_barrier
	s_and_saveexec_b64 s[0:1], vcc
; %bb.180:
	v_lshl_add_u32 v20, v36, 2, -4
	ds_read_b32 v20, v20
; %bb.181:
	s_or_b64 exec, exec, s[0:1]
	v_subrev_co_u32_e32 v21, vcc, 1, v31
	v_and_b32_e32 v22, 64, v31
	v_cmp_lt_i32_e64 s[0:1], v21, v22
	s_waitcnt lgkmcnt(0)
	v_add_u32_e32 v18, v20, v18
	v_cndmask_b32_e64 v21, v21, v31, s[0:1]
	v_lshlrev_b32_e32 v21, 2, v21
	ds_bpermute_b32 v21, v21, v18
	ds_read_b32 v18, v19 offset:4
	s_and_saveexec_b64 s[0:1], s[18:19]
	s_cbranch_execz .LBB497_183
; %bb.182:
	v_mov_b32_e32 v22, 0
	v_mov_b32_e32 v19, 2
	s_waitcnt lgkmcnt(0)
	global_store_dwordx2 v22, v[18:19], s[38:39] offset:512 sc1
.LBB497_183:
	s_or_b64 exec, exec, s[0:1]
	s_waitcnt lgkmcnt(1)
	v_cndmask_b32_e32 v19, v21, v20, vcc
	v_cndmask_b32_e64 v30, v19, 0, s[18:19]
	v_add_u32_e32 v28, v30, v1
	v_add_u32_e32 v26, v28, v15
	v_add_u32_e32 v24, v26, v17
	v_add_u32_e32 v22, v24, v29
	s_waitcnt lgkmcnt(0)
	s_barrier
	v_mov_b32_e32 v20, 0
.LBB497_184:
	s_movk_i32 s0, 0x81
	v_cmp_gt_u32_e64 s[2:3], s0, v18
	v_add_u32_e32 v15, v20, v18
	v_and_b32_e32 v1, 1, v16
	s_mov_b64 s[6:7], -1
	s_and_b64 vcc, exec, s[2:3]
	v_cmp_lt_u32_e64 s[0:1], v30, v15
	v_cmp_eq_u32_e64 s[4:5], 1, v1
	s_cbranch_vccz .LBB497_196
; %bb.185:
	s_or_b64 s[0:1], s[34:35], s[0:1]
	s_and_b64 s[4:5], s[0:1], s[4:5]
	s_and_saveexec_b64 s[0:1], s[4:5]
	s_cbranch_execz .LBB497_187
; %bb.186:
	s_lshl_b64 s[4:5], s[22:23], 3
	s_add_u32 s4, s28, s4
	s_addc_u32 s5, s29, s5
	v_mov_b32_e32 v31, 0
	v_lshl_add_u64 v[16:17], v[30:31], 3, s[4:5]
	global_store_dwordx2 v[16:17], v[6:7], off
.LBB497_187:
	s_or_b64 exec, exec, s[0:1]
	v_cmp_lt_u32_e32 vcc, v28, v15
	v_and_b32_e32 v16, 1, v35
	s_or_b64 s[0:1], s[34:35], vcc
	v_cmp_eq_u32_e32 vcc, 1, v16
	s_and_b64 s[4:5], s[0:1], vcc
	s_and_saveexec_b64 s[0:1], s[4:5]
	s_cbranch_execz .LBB497_189
; %bb.188:
	s_lshl_b64 s[4:5], s[22:23], 3
	s_add_u32 s4, s28, s4
	s_addc_u32 s5, s29, s5
	v_mov_b32_e32 v29, 0
	v_lshl_add_u64 v[16:17], v[28:29], 3, s[4:5]
	global_store_dwordx2 v[16:17], v[8:9], off
.LBB497_189:
	s_or_b64 exec, exec, s[0:1]
	v_cmp_lt_u32_e32 vcc, v26, v15
	v_and_b32_e32 v16, 1, v34
	s_or_b64 s[0:1], s[34:35], vcc
	v_cmp_eq_u32_e32 vcc, 1, v16
	s_and_b64 s[4:5], s[0:1], vcc
	;; [unrolled: 16-line block ×4, first 2 shown]
	s_and_saveexec_b64 s[0:1], s[4:5]
	s_cbranch_execz .LBB497_195
; %bb.194:
	s_lshl_b64 s[4:5], s[22:23], 3
	s_add_u32 s4, s28, s4
	s_addc_u32 s5, s29, s5
	v_mov_b32_e32 v23, 0
	v_lshl_add_u64 v[16:17], v[22:23], 3, s[4:5]
	global_store_dwordx2 v[16:17], v[12:13], off
.LBB497_195:
	s_or_b64 exec, exec, s[0:1]
	s_mov_b64 s[6:7], 0
.LBB497_196:
	s_and_b64 vcc, exec, s[6:7]
	s_cbranch_vccz .LBB497_210
; %bb.197:
	v_cmp_eq_u32_e32 vcc, 1, v1
	s_and_saveexec_b64 s[0:1], vcc
; %bb.198:
	v_sub_u32_e32 v16, v30, v20
	v_lshlrev_b32_e32 v16, 3, v16
	ds_write_b64 v16, v[6:7]
; %bb.199:
	s_or_b64 exec, exec, s[0:1]
	v_and_b32_e32 v6, 1, v35
	v_cmp_eq_u32_e32 vcc, 1, v6
	s_and_saveexec_b64 s[0:1], vcc
; %bb.200:
	v_sub_u32_e32 v6, v28, v20
	v_lshlrev_b32_e32 v6, 3, v6
	ds_write_b64 v6, v[8:9]
; %bb.201:
	s_or_b64 exec, exec, s[0:1]
	v_and_b32_e32 v6, 1, v34
	;; [unrolled: 9-line block ×4, first 2 shown]
	v_cmp_eq_u32_e32 vcc, 1, v2
	s_and_saveexec_b64 s[0:1], vcc
; %bb.206:
	v_sub_u32_e32 v2, v22, v20
	v_lshlrev_b32_e32 v2, 3, v2
	ds_write_b64 v2, v[12:13]
; %bb.207:
	s_or_b64 exec, exec, s[0:1]
	v_mov_b32_e32 v3, 0
	v_mov_b32_e32 v21, v3
	v_lshlrev_b64 v[4:5], 3, v[20:21]
	v_lshl_add_u64 v[4:5], s[28:29], 0, v[4:5]
	s_lshl_b64 s[0:1], s[22:23], 3
	v_lshl_add_u64 v[4:5], v[4:5], 0, s[0:1]
	v_lshlrev_b32_e32 v6, 3, v0
	s_mov_b64 s[0:1], 0
	v_mov_b32_e32 v2, v0
	s_waitcnt lgkmcnt(0)
	s_barrier
.LBB497_208:                            ; =>This Inner Loop Header: Depth=1
	ds_read_b64 v[8:9], v6
	v_lshl_add_u64 v[12:13], v[2:3], 3, v[4:5]
	v_add_u32_e32 v2, 0x80, v2
	v_cmp_ge_u32_e32 vcc, v2, v18
	v_add_u32_e32 v6, 0x400, v6
	s_or_b64 s[0:1], vcc, s[0:1]
	s_waitcnt lgkmcnt(0)
	global_store_dwordx2 v[12:13], v[8:9], off
	s_andn2_b64 exec, exec, s[0:1]
	s_cbranch_execnz .LBB497_208
; %bb.209:
	s_or_b64 exec, exec, s[0:1]
.LBB497_210:
	s_mov_b64 s[0:1], -1
	s_and_b64 vcc, exec, s[2:3]
	s_barrier
	s_cbranch_vccnz .LBB497_214
; %bb.211:
	s_and_b64 vcc, exec, s[0:1]
	s_cbranch_vccnz .LBB497_225
.LBB497_212:
	s_and_b64 s[0:1], s[18:19], s[24:25]
	s_and_saveexec_b64 s[2:3], s[0:1]
	s_cbranch_execnz .LBB497_238
.LBB497_213:
	s_endpgm
.LBB497_214:
	v_cmp_lt_u32_e32 vcc, v30, v15
	s_or_b64 s[0:1], s[34:35], vcc
	v_cmp_eq_u32_e32 vcc, 1, v1
	s_and_b64 s[2:3], s[0:1], vcc
	s_and_saveexec_b64 s[0:1], s[2:3]
	s_cbranch_execz .LBB497_216
; %bb.215:
	s_lshl_b64 s[2:3], s[22:23], 3
	s_add_u32 s2, s30, s2
	s_addc_u32 s3, s31, s3
	v_mov_b32_e32 v31, 0
	v_lshl_add_u64 v[2:3], v[30:31], 3, s[2:3]
	global_store_dwordx2 v[2:3], v[56:57], off
.LBB497_216:
	s_or_b64 exec, exec, s[0:1]
	v_cmp_lt_u32_e32 vcc, v28, v15
	v_and_b32_e32 v2, 1, v35
	s_or_b64 s[0:1], s[34:35], vcc
	v_cmp_eq_u32_e32 vcc, 1, v2
	s_and_b64 s[2:3], s[0:1], vcc
	s_and_saveexec_b64 s[0:1], s[2:3]
	s_cbranch_execz .LBB497_218
; %bb.217:
	s_lshl_b64 s[2:3], s[22:23], 3
	s_add_u32 s2, s30, s2
	s_addc_u32 s3, s31, s3
	v_mov_b32_e32 v29, 0
	v_lshl_add_u64 v[2:3], v[28:29], 3, s[2:3]
	global_store_dwordx2 v[2:3], v[58:59], off
.LBB497_218:
	s_or_b64 exec, exec, s[0:1]
	v_cmp_lt_u32_e32 vcc, v26, v15
	v_and_b32_e32 v2, 1, v34
	;; [unrolled: 16-line block ×4, first 2 shown]
	s_or_b64 s[0:1], s[34:35], vcc
	v_cmp_eq_u32_e32 vcc, 1, v2
	s_and_b64 s[2:3], s[0:1], vcc
	s_and_saveexec_b64 s[0:1], s[2:3]
	s_cbranch_execz .LBB497_224
; %bb.223:
	s_lshl_b64 s[2:3], s[22:23], 3
	s_add_u32 s2, s30, s2
	s_addc_u32 s3, s31, s3
	v_mov_b32_e32 v23, 0
	v_lshl_add_u64 v[2:3], v[22:23], 3, s[2:3]
	global_store_dwordx2 v[2:3], v[10:11], off
.LBB497_224:
	s_or_b64 exec, exec, s[0:1]
	s_branch .LBB497_212
.LBB497_225:
	v_cmp_eq_u32_e32 vcc, 1, v1
	s_and_saveexec_b64 s[0:1], vcc
; %bb.226:
	v_sub_u32_e32 v1, v30, v20
	v_lshlrev_b32_e32 v1, 3, v1
	ds_write_b64 v1, v[56:57]
; %bb.227:
	s_or_b64 exec, exec, s[0:1]
	v_and_b32_e32 v1, 1, v35
	v_cmp_eq_u32_e32 vcc, 1, v1
	s_and_saveexec_b64 s[0:1], vcc
; %bb.228:
	v_sub_u32_e32 v1, v28, v20
	v_lshlrev_b32_e32 v1, 3, v1
	ds_write_b64 v1, v[58:59]
; %bb.229:
	s_or_b64 exec, exec, s[0:1]
	v_and_b32_e32 v1, 1, v34
	;; [unrolled: 9-line block ×4, first 2 shown]
	v_cmp_eq_u32_e32 vcc, 1, v1
	s_and_saveexec_b64 s[0:1], vcc
; %bb.234:
	v_sub_u32_e32 v1, v22, v20
	v_lshlrev_b32_e32 v1, 3, v1
	ds_write_b64 v1, v[10:11]
; %bb.235:
	s_or_b64 exec, exec, s[0:1]
	v_mov_b32_e32 v1, 0
	v_mov_b32_e32 v21, v1
	v_lshlrev_b64 v[2:3], 3, v[20:21]
	v_lshl_add_u64 v[2:3], s[30:31], 0, v[2:3]
	s_lshl_b64 s[0:1], s[22:23], 3
	v_lshl_add_u64 v[2:3], v[2:3], 0, s[0:1]
	s_mov_b64 s[0:1], 0
	s_waitcnt lgkmcnt(0)
	s_barrier
.LBB497_236:                            ; =>This Inner Loop Header: Depth=1
	ds_read_b64 v[4:5], v32
	v_lshl_add_u64 v[6:7], v[0:1], 3, v[2:3]
	v_add_u32_e32 v0, 0x80, v0
	v_cmp_ge_u32_e32 vcc, v0, v18
	v_add_u32_e32 v32, 0x400, v32
	s_or_b64 s[0:1], vcc, s[0:1]
	s_waitcnt lgkmcnt(0)
	global_store_dwordx2 v[6:7], v[4:5], off
	s_andn2_b64 exec, exec, s[0:1]
	s_cbranch_execnz .LBB497_236
; %bb.237:
	s_or_b64 exec, exec, s[0:1]
	s_and_b64 s[0:1], s[18:19], s[24:25]
	s_and_saveexec_b64 s[2:3], s[0:1]
	s_cbranch_execz .LBB497_213
.LBB497_238:
	v_mov_b32_e32 v19, 0
	v_lshl_add_u64 v[0:1], s[22:23], 0, v[18:19]
	v_mov_b32_e32 v21, v19
	v_lshl_add_u64 v[0:1], v[0:1], 0, v[20:21]
	global_store_dwordx2 v19, v[0:1], s[20:21]
	s_endpgm
	.section	.rodata,"a",@progbits
	.p2align	6, 0x0
	.amdhsa_kernel _ZN7rocprim17ROCPRIM_400000_NS6detail17trampoline_kernelINS0_14default_configENS1_25partition_config_selectorILNS1_17partition_subalgoE9EllbEEZZNS1_14partition_implILS5_9ELb0ES3_jPlS8_PNS0_10empty_typeENS0_5tupleIJS8_S9_EEENSB_IJS8_SA_EEENS0_18inequality_wrapperIZN2at6native12_GLOBAL__N_124unique_dim_cuda_templateIiEESt5tupleIJNSF_6TensorESK_SK_EERKSK_lbbbEUlllE0_EEPmJS9_EEE10hipError_tPvRmT3_T4_T5_T6_T7_T9_mT8_P12ihipStream_tbDpT10_ENKUlT_T0_E_clISt17integral_constantIbLb0EES19_IbLb1EEEEDaS15_S16_EUlS15_E_NS1_11comp_targetILNS1_3genE0ELNS1_11target_archE4294967295ELNS1_3gpuE0ELNS1_3repE0EEENS1_30default_config_static_selectorELNS0_4arch9wavefront6targetE1EEEvT1_
		.amdhsa_group_segment_fixed_size 5128
		.amdhsa_private_segment_fixed_size 0
		.amdhsa_kernarg_size 136
		.amdhsa_user_sgpr_count 2
		.amdhsa_user_sgpr_dispatch_ptr 0
		.amdhsa_user_sgpr_queue_ptr 0
		.amdhsa_user_sgpr_kernarg_segment_ptr 1
		.amdhsa_user_sgpr_dispatch_id 0
		.amdhsa_user_sgpr_kernarg_preload_length 0
		.amdhsa_user_sgpr_kernarg_preload_offset 0
		.amdhsa_user_sgpr_private_segment_size 0
		.amdhsa_uses_dynamic_stack 0
		.amdhsa_enable_private_segment 0
		.amdhsa_system_sgpr_workgroup_id_x 1
		.amdhsa_system_sgpr_workgroup_id_y 0
		.amdhsa_system_sgpr_workgroup_id_z 0
		.amdhsa_system_sgpr_workgroup_info 0
		.amdhsa_system_vgpr_workitem_id 0
		.amdhsa_next_free_vgpr 60
		.amdhsa_next_free_sgpr 52
		.amdhsa_accum_offset 60
		.amdhsa_reserve_vcc 1
		.amdhsa_float_round_mode_32 0
		.amdhsa_float_round_mode_16_64 0
		.amdhsa_float_denorm_mode_32 3
		.amdhsa_float_denorm_mode_16_64 3
		.amdhsa_dx10_clamp 1
		.amdhsa_ieee_mode 1
		.amdhsa_fp16_overflow 0
		.amdhsa_tg_split 0
		.amdhsa_exception_fp_ieee_invalid_op 0
		.amdhsa_exception_fp_denorm_src 0
		.amdhsa_exception_fp_ieee_div_zero 0
		.amdhsa_exception_fp_ieee_overflow 0
		.amdhsa_exception_fp_ieee_underflow 0
		.amdhsa_exception_fp_ieee_inexact 0
		.amdhsa_exception_int_div_zero 0
	.end_amdhsa_kernel
	.section	.text._ZN7rocprim17ROCPRIM_400000_NS6detail17trampoline_kernelINS0_14default_configENS1_25partition_config_selectorILNS1_17partition_subalgoE9EllbEEZZNS1_14partition_implILS5_9ELb0ES3_jPlS8_PNS0_10empty_typeENS0_5tupleIJS8_S9_EEENSB_IJS8_SA_EEENS0_18inequality_wrapperIZN2at6native12_GLOBAL__N_124unique_dim_cuda_templateIiEESt5tupleIJNSF_6TensorESK_SK_EERKSK_lbbbEUlllE0_EEPmJS9_EEE10hipError_tPvRmT3_T4_T5_T6_T7_T9_mT8_P12ihipStream_tbDpT10_ENKUlT_T0_E_clISt17integral_constantIbLb0EES19_IbLb1EEEEDaS15_S16_EUlS15_E_NS1_11comp_targetILNS1_3genE0ELNS1_11target_archE4294967295ELNS1_3gpuE0ELNS1_3repE0EEENS1_30default_config_static_selectorELNS0_4arch9wavefront6targetE1EEEvT1_,"axG",@progbits,_ZN7rocprim17ROCPRIM_400000_NS6detail17trampoline_kernelINS0_14default_configENS1_25partition_config_selectorILNS1_17partition_subalgoE9EllbEEZZNS1_14partition_implILS5_9ELb0ES3_jPlS8_PNS0_10empty_typeENS0_5tupleIJS8_S9_EEENSB_IJS8_SA_EEENS0_18inequality_wrapperIZN2at6native12_GLOBAL__N_124unique_dim_cuda_templateIiEESt5tupleIJNSF_6TensorESK_SK_EERKSK_lbbbEUlllE0_EEPmJS9_EEE10hipError_tPvRmT3_T4_T5_T6_T7_T9_mT8_P12ihipStream_tbDpT10_ENKUlT_T0_E_clISt17integral_constantIbLb0EES19_IbLb1EEEEDaS15_S16_EUlS15_E_NS1_11comp_targetILNS1_3genE0ELNS1_11target_archE4294967295ELNS1_3gpuE0ELNS1_3repE0EEENS1_30default_config_static_selectorELNS0_4arch9wavefront6targetE1EEEvT1_,comdat
.Lfunc_end497:
	.size	_ZN7rocprim17ROCPRIM_400000_NS6detail17trampoline_kernelINS0_14default_configENS1_25partition_config_selectorILNS1_17partition_subalgoE9EllbEEZZNS1_14partition_implILS5_9ELb0ES3_jPlS8_PNS0_10empty_typeENS0_5tupleIJS8_S9_EEENSB_IJS8_SA_EEENS0_18inequality_wrapperIZN2at6native12_GLOBAL__N_124unique_dim_cuda_templateIiEESt5tupleIJNSF_6TensorESK_SK_EERKSK_lbbbEUlllE0_EEPmJS9_EEE10hipError_tPvRmT3_T4_T5_T6_T7_T9_mT8_P12ihipStream_tbDpT10_ENKUlT_T0_E_clISt17integral_constantIbLb0EES19_IbLb1EEEEDaS15_S16_EUlS15_E_NS1_11comp_targetILNS1_3genE0ELNS1_11target_archE4294967295ELNS1_3gpuE0ELNS1_3repE0EEENS1_30default_config_static_selectorELNS0_4arch9wavefront6targetE1EEEvT1_, .Lfunc_end497-_ZN7rocprim17ROCPRIM_400000_NS6detail17trampoline_kernelINS0_14default_configENS1_25partition_config_selectorILNS1_17partition_subalgoE9EllbEEZZNS1_14partition_implILS5_9ELb0ES3_jPlS8_PNS0_10empty_typeENS0_5tupleIJS8_S9_EEENSB_IJS8_SA_EEENS0_18inequality_wrapperIZN2at6native12_GLOBAL__N_124unique_dim_cuda_templateIiEESt5tupleIJNSF_6TensorESK_SK_EERKSK_lbbbEUlllE0_EEPmJS9_EEE10hipError_tPvRmT3_T4_T5_T6_T7_T9_mT8_P12ihipStream_tbDpT10_ENKUlT_T0_E_clISt17integral_constantIbLb0EES19_IbLb1EEEEDaS15_S16_EUlS15_E_NS1_11comp_targetILNS1_3genE0ELNS1_11target_archE4294967295ELNS1_3gpuE0ELNS1_3repE0EEENS1_30default_config_static_selectorELNS0_4arch9wavefront6targetE1EEEvT1_
                                        ; -- End function
	.set _ZN7rocprim17ROCPRIM_400000_NS6detail17trampoline_kernelINS0_14default_configENS1_25partition_config_selectorILNS1_17partition_subalgoE9EllbEEZZNS1_14partition_implILS5_9ELb0ES3_jPlS8_PNS0_10empty_typeENS0_5tupleIJS8_S9_EEENSB_IJS8_SA_EEENS0_18inequality_wrapperIZN2at6native12_GLOBAL__N_124unique_dim_cuda_templateIiEESt5tupleIJNSF_6TensorESK_SK_EERKSK_lbbbEUlllE0_EEPmJS9_EEE10hipError_tPvRmT3_T4_T5_T6_T7_T9_mT8_P12ihipStream_tbDpT10_ENKUlT_T0_E_clISt17integral_constantIbLb0EES19_IbLb1EEEEDaS15_S16_EUlS15_E_NS1_11comp_targetILNS1_3genE0ELNS1_11target_archE4294967295ELNS1_3gpuE0ELNS1_3repE0EEENS1_30default_config_static_selectorELNS0_4arch9wavefront6targetE1EEEvT1_.num_vgpr, 60
	.set _ZN7rocprim17ROCPRIM_400000_NS6detail17trampoline_kernelINS0_14default_configENS1_25partition_config_selectorILNS1_17partition_subalgoE9EllbEEZZNS1_14partition_implILS5_9ELb0ES3_jPlS8_PNS0_10empty_typeENS0_5tupleIJS8_S9_EEENSB_IJS8_SA_EEENS0_18inequality_wrapperIZN2at6native12_GLOBAL__N_124unique_dim_cuda_templateIiEESt5tupleIJNSF_6TensorESK_SK_EERKSK_lbbbEUlllE0_EEPmJS9_EEE10hipError_tPvRmT3_T4_T5_T6_T7_T9_mT8_P12ihipStream_tbDpT10_ENKUlT_T0_E_clISt17integral_constantIbLb0EES19_IbLb1EEEEDaS15_S16_EUlS15_E_NS1_11comp_targetILNS1_3genE0ELNS1_11target_archE4294967295ELNS1_3gpuE0ELNS1_3repE0EEENS1_30default_config_static_selectorELNS0_4arch9wavefront6targetE1EEEvT1_.num_agpr, 0
	.set _ZN7rocprim17ROCPRIM_400000_NS6detail17trampoline_kernelINS0_14default_configENS1_25partition_config_selectorILNS1_17partition_subalgoE9EllbEEZZNS1_14partition_implILS5_9ELb0ES3_jPlS8_PNS0_10empty_typeENS0_5tupleIJS8_S9_EEENSB_IJS8_SA_EEENS0_18inequality_wrapperIZN2at6native12_GLOBAL__N_124unique_dim_cuda_templateIiEESt5tupleIJNSF_6TensorESK_SK_EERKSK_lbbbEUlllE0_EEPmJS9_EEE10hipError_tPvRmT3_T4_T5_T6_T7_T9_mT8_P12ihipStream_tbDpT10_ENKUlT_T0_E_clISt17integral_constantIbLb0EES19_IbLb1EEEEDaS15_S16_EUlS15_E_NS1_11comp_targetILNS1_3genE0ELNS1_11target_archE4294967295ELNS1_3gpuE0ELNS1_3repE0EEENS1_30default_config_static_selectorELNS0_4arch9wavefront6targetE1EEEvT1_.numbered_sgpr, 52
	.set _ZN7rocprim17ROCPRIM_400000_NS6detail17trampoline_kernelINS0_14default_configENS1_25partition_config_selectorILNS1_17partition_subalgoE9EllbEEZZNS1_14partition_implILS5_9ELb0ES3_jPlS8_PNS0_10empty_typeENS0_5tupleIJS8_S9_EEENSB_IJS8_SA_EEENS0_18inequality_wrapperIZN2at6native12_GLOBAL__N_124unique_dim_cuda_templateIiEESt5tupleIJNSF_6TensorESK_SK_EERKSK_lbbbEUlllE0_EEPmJS9_EEE10hipError_tPvRmT3_T4_T5_T6_T7_T9_mT8_P12ihipStream_tbDpT10_ENKUlT_T0_E_clISt17integral_constantIbLb0EES19_IbLb1EEEEDaS15_S16_EUlS15_E_NS1_11comp_targetILNS1_3genE0ELNS1_11target_archE4294967295ELNS1_3gpuE0ELNS1_3repE0EEENS1_30default_config_static_selectorELNS0_4arch9wavefront6targetE1EEEvT1_.num_named_barrier, 0
	.set _ZN7rocprim17ROCPRIM_400000_NS6detail17trampoline_kernelINS0_14default_configENS1_25partition_config_selectorILNS1_17partition_subalgoE9EllbEEZZNS1_14partition_implILS5_9ELb0ES3_jPlS8_PNS0_10empty_typeENS0_5tupleIJS8_S9_EEENSB_IJS8_SA_EEENS0_18inequality_wrapperIZN2at6native12_GLOBAL__N_124unique_dim_cuda_templateIiEESt5tupleIJNSF_6TensorESK_SK_EERKSK_lbbbEUlllE0_EEPmJS9_EEE10hipError_tPvRmT3_T4_T5_T6_T7_T9_mT8_P12ihipStream_tbDpT10_ENKUlT_T0_E_clISt17integral_constantIbLb0EES19_IbLb1EEEEDaS15_S16_EUlS15_E_NS1_11comp_targetILNS1_3genE0ELNS1_11target_archE4294967295ELNS1_3gpuE0ELNS1_3repE0EEENS1_30default_config_static_selectorELNS0_4arch9wavefront6targetE1EEEvT1_.private_seg_size, 0
	.set _ZN7rocprim17ROCPRIM_400000_NS6detail17trampoline_kernelINS0_14default_configENS1_25partition_config_selectorILNS1_17partition_subalgoE9EllbEEZZNS1_14partition_implILS5_9ELb0ES3_jPlS8_PNS0_10empty_typeENS0_5tupleIJS8_S9_EEENSB_IJS8_SA_EEENS0_18inequality_wrapperIZN2at6native12_GLOBAL__N_124unique_dim_cuda_templateIiEESt5tupleIJNSF_6TensorESK_SK_EERKSK_lbbbEUlllE0_EEPmJS9_EEE10hipError_tPvRmT3_T4_T5_T6_T7_T9_mT8_P12ihipStream_tbDpT10_ENKUlT_T0_E_clISt17integral_constantIbLb0EES19_IbLb1EEEEDaS15_S16_EUlS15_E_NS1_11comp_targetILNS1_3genE0ELNS1_11target_archE4294967295ELNS1_3gpuE0ELNS1_3repE0EEENS1_30default_config_static_selectorELNS0_4arch9wavefront6targetE1EEEvT1_.uses_vcc, 1
	.set _ZN7rocprim17ROCPRIM_400000_NS6detail17trampoline_kernelINS0_14default_configENS1_25partition_config_selectorILNS1_17partition_subalgoE9EllbEEZZNS1_14partition_implILS5_9ELb0ES3_jPlS8_PNS0_10empty_typeENS0_5tupleIJS8_S9_EEENSB_IJS8_SA_EEENS0_18inequality_wrapperIZN2at6native12_GLOBAL__N_124unique_dim_cuda_templateIiEESt5tupleIJNSF_6TensorESK_SK_EERKSK_lbbbEUlllE0_EEPmJS9_EEE10hipError_tPvRmT3_T4_T5_T6_T7_T9_mT8_P12ihipStream_tbDpT10_ENKUlT_T0_E_clISt17integral_constantIbLb0EES19_IbLb1EEEEDaS15_S16_EUlS15_E_NS1_11comp_targetILNS1_3genE0ELNS1_11target_archE4294967295ELNS1_3gpuE0ELNS1_3repE0EEENS1_30default_config_static_selectorELNS0_4arch9wavefront6targetE1EEEvT1_.uses_flat_scratch, 0
	.set _ZN7rocprim17ROCPRIM_400000_NS6detail17trampoline_kernelINS0_14default_configENS1_25partition_config_selectorILNS1_17partition_subalgoE9EllbEEZZNS1_14partition_implILS5_9ELb0ES3_jPlS8_PNS0_10empty_typeENS0_5tupleIJS8_S9_EEENSB_IJS8_SA_EEENS0_18inequality_wrapperIZN2at6native12_GLOBAL__N_124unique_dim_cuda_templateIiEESt5tupleIJNSF_6TensorESK_SK_EERKSK_lbbbEUlllE0_EEPmJS9_EEE10hipError_tPvRmT3_T4_T5_T6_T7_T9_mT8_P12ihipStream_tbDpT10_ENKUlT_T0_E_clISt17integral_constantIbLb0EES19_IbLb1EEEEDaS15_S16_EUlS15_E_NS1_11comp_targetILNS1_3genE0ELNS1_11target_archE4294967295ELNS1_3gpuE0ELNS1_3repE0EEENS1_30default_config_static_selectorELNS0_4arch9wavefront6targetE1EEEvT1_.has_dyn_sized_stack, 0
	.set _ZN7rocprim17ROCPRIM_400000_NS6detail17trampoline_kernelINS0_14default_configENS1_25partition_config_selectorILNS1_17partition_subalgoE9EllbEEZZNS1_14partition_implILS5_9ELb0ES3_jPlS8_PNS0_10empty_typeENS0_5tupleIJS8_S9_EEENSB_IJS8_SA_EEENS0_18inequality_wrapperIZN2at6native12_GLOBAL__N_124unique_dim_cuda_templateIiEESt5tupleIJNSF_6TensorESK_SK_EERKSK_lbbbEUlllE0_EEPmJS9_EEE10hipError_tPvRmT3_T4_T5_T6_T7_T9_mT8_P12ihipStream_tbDpT10_ENKUlT_T0_E_clISt17integral_constantIbLb0EES19_IbLb1EEEEDaS15_S16_EUlS15_E_NS1_11comp_targetILNS1_3genE0ELNS1_11target_archE4294967295ELNS1_3gpuE0ELNS1_3repE0EEENS1_30default_config_static_selectorELNS0_4arch9wavefront6targetE1EEEvT1_.has_recursion, 0
	.set _ZN7rocprim17ROCPRIM_400000_NS6detail17trampoline_kernelINS0_14default_configENS1_25partition_config_selectorILNS1_17partition_subalgoE9EllbEEZZNS1_14partition_implILS5_9ELb0ES3_jPlS8_PNS0_10empty_typeENS0_5tupleIJS8_S9_EEENSB_IJS8_SA_EEENS0_18inequality_wrapperIZN2at6native12_GLOBAL__N_124unique_dim_cuda_templateIiEESt5tupleIJNSF_6TensorESK_SK_EERKSK_lbbbEUlllE0_EEPmJS9_EEE10hipError_tPvRmT3_T4_T5_T6_T7_T9_mT8_P12ihipStream_tbDpT10_ENKUlT_T0_E_clISt17integral_constantIbLb0EES19_IbLb1EEEEDaS15_S16_EUlS15_E_NS1_11comp_targetILNS1_3genE0ELNS1_11target_archE4294967295ELNS1_3gpuE0ELNS1_3repE0EEENS1_30default_config_static_selectorELNS0_4arch9wavefront6targetE1EEEvT1_.has_indirect_call, 0
	.section	.AMDGPU.csdata,"",@progbits
; Kernel info:
; codeLenInByte = 9596
; TotalNumSgprs: 58
; NumVgprs: 60
; NumAgprs: 0
; TotalNumVgprs: 60
; ScratchSize: 0
; MemoryBound: 0
; FloatMode: 240
; IeeeMode: 1
; LDSByteSize: 5128 bytes/workgroup (compile time only)
; SGPRBlocks: 7
; VGPRBlocks: 7
; NumSGPRsForWavesPerEU: 58
; NumVGPRsForWavesPerEU: 60
; AccumOffset: 60
; Occupancy: 8
; WaveLimiterHint : 1
; COMPUTE_PGM_RSRC2:SCRATCH_EN: 0
; COMPUTE_PGM_RSRC2:USER_SGPR: 2
; COMPUTE_PGM_RSRC2:TRAP_HANDLER: 0
; COMPUTE_PGM_RSRC2:TGID_X_EN: 1
; COMPUTE_PGM_RSRC2:TGID_Y_EN: 0
; COMPUTE_PGM_RSRC2:TGID_Z_EN: 0
; COMPUTE_PGM_RSRC2:TIDIG_COMP_CNT: 0
; COMPUTE_PGM_RSRC3_GFX90A:ACCUM_OFFSET: 14
; COMPUTE_PGM_RSRC3_GFX90A:TG_SPLIT: 0
	.section	.text._ZN7rocprim17ROCPRIM_400000_NS6detail17trampoline_kernelINS0_14default_configENS1_25partition_config_selectorILNS1_17partition_subalgoE9EllbEEZZNS1_14partition_implILS5_9ELb0ES3_jPlS8_PNS0_10empty_typeENS0_5tupleIJS8_S9_EEENSB_IJS8_SA_EEENS0_18inequality_wrapperIZN2at6native12_GLOBAL__N_124unique_dim_cuda_templateIiEESt5tupleIJNSF_6TensorESK_SK_EERKSK_lbbbEUlllE0_EEPmJS9_EEE10hipError_tPvRmT3_T4_T5_T6_T7_T9_mT8_P12ihipStream_tbDpT10_ENKUlT_T0_E_clISt17integral_constantIbLb0EES19_IbLb1EEEEDaS15_S16_EUlS15_E_NS1_11comp_targetILNS1_3genE5ELNS1_11target_archE942ELNS1_3gpuE9ELNS1_3repE0EEENS1_30default_config_static_selectorELNS0_4arch9wavefront6targetE1EEEvT1_,"axG",@progbits,_ZN7rocprim17ROCPRIM_400000_NS6detail17trampoline_kernelINS0_14default_configENS1_25partition_config_selectorILNS1_17partition_subalgoE9EllbEEZZNS1_14partition_implILS5_9ELb0ES3_jPlS8_PNS0_10empty_typeENS0_5tupleIJS8_S9_EEENSB_IJS8_SA_EEENS0_18inequality_wrapperIZN2at6native12_GLOBAL__N_124unique_dim_cuda_templateIiEESt5tupleIJNSF_6TensorESK_SK_EERKSK_lbbbEUlllE0_EEPmJS9_EEE10hipError_tPvRmT3_T4_T5_T6_T7_T9_mT8_P12ihipStream_tbDpT10_ENKUlT_T0_E_clISt17integral_constantIbLb0EES19_IbLb1EEEEDaS15_S16_EUlS15_E_NS1_11comp_targetILNS1_3genE5ELNS1_11target_archE942ELNS1_3gpuE9ELNS1_3repE0EEENS1_30default_config_static_selectorELNS0_4arch9wavefront6targetE1EEEvT1_,comdat
	.globl	_ZN7rocprim17ROCPRIM_400000_NS6detail17trampoline_kernelINS0_14default_configENS1_25partition_config_selectorILNS1_17partition_subalgoE9EllbEEZZNS1_14partition_implILS5_9ELb0ES3_jPlS8_PNS0_10empty_typeENS0_5tupleIJS8_S9_EEENSB_IJS8_SA_EEENS0_18inequality_wrapperIZN2at6native12_GLOBAL__N_124unique_dim_cuda_templateIiEESt5tupleIJNSF_6TensorESK_SK_EERKSK_lbbbEUlllE0_EEPmJS9_EEE10hipError_tPvRmT3_T4_T5_T6_T7_T9_mT8_P12ihipStream_tbDpT10_ENKUlT_T0_E_clISt17integral_constantIbLb0EES19_IbLb1EEEEDaS15_S16_EUlS15_E_NS1_11comp_targetILNS1_3genE5ELNS1_11target_archE942ELNS1_3gpuE9ELNS1_3repE0EEENS1_30default_config_static_selectorELNS0_4arch9wavefront6targetE1EEEvT1_ ; -- Begin function _ZN7rocprim17ROCPRIM_400000_NS6detail17trampoline_kernelINS0_14default_configENS1_25partition_config_selectorILNS1_17partition_subalgoE9EllbEEZZNS1_14partition_implILS5_9ELb0ES3_jPlS8_PNS0_10empty_typeENS0_5tupleIJS8_S9_EEENSB_IJS8_SA_EEENS0_18inequality_wrapperIZN2at6native12_GLOBAL__N_124unique_dim_cuda_templateIiEESt5tupleIJNSF_6TensorESK_SK_EERKSK_lbbbEUlllE0_EEPmJS9_EEE10hipError_tPvRmT3_T4_T5_T6_T7_T9_mT8_P12ihipStream_tbDpT10_ENKUlT_T0_E_clISt17integral_constantIbLb0EES19_IbLb1EEEEDaS15_S16_EUlS15_E_NS1_11comp_targetILNS1_3genE5ELNS1_11target_archE942ELNS1_3gpuE9ELNS1_3repE0EEENS1_30default_config_static_selectorELNS0_4arch9wavefront6targetE1EEEvT1_
	.p2align	8
	.type	_ZN7rocprim17ROCPRIM_400000_NS6detail17trampoline_kernelINS0_14default_configENS1_25partition_config_selectorILNS1_17partition_subalgoE9EllbEEZZNS1_14partition_implILS5_9ELb0ES3_jPlS8_PNS0_10empty_typeENS0_5tupleIJS8_S9_EEENSB_IJS8_SA_EEENS0_18inequality_wrapperIZN2at6native12_GLOBAL__N_124unique_dim_cuda_templateIiEESt5tupleIJNSF_6TensorESK_SK_EERKSK_lbbbEUlllE0_EEPmJS9_EEE10hipError_tPvRmT3_T4_T5_T6_T7_T9_mT8_P12ihipStream_tbDpT10_ENKUlT_T0_E_clISt17integral_constantIbLb0EES19_IbLb1EEEEDaS15_S16_EUlS15_E_NS1_11comp_targetILNS1_3genE5ELNS1_11target_archE942ELNS1_3gpuE9ELNS1_3repE0EEENS1_30default_config_static_selectorELNS0_4arch9wavefront6targetE1EEEvT1_,@function
_ZN7rocprim17ROCPRIM_400000_NS6detail17trampoline_kernelINS0_14default_configENS1_25partition_config_selectorILNS1_17partition_subalgoE9EllbEEZZNS1_14partition_implILS5_9ELb0ES3_jPlS8_PNS0_10empty_typeENS0_5tupleIJS8_S9_EEENSB_IJS8_SA_EEENS0_18inequality_wrapperIZN2at6native12_GLOBAL__N_124unique_dim_cuda_templateIiEESt5tupleIJNSF_6TensorESK_SK_EERKSK_lbbbEUlllE0_EEPmJS9_EEE10hipError_tPvRmT3_T4_T5_T6_T7_T9_mT8_P12ihipStream_tbDpT10_ENKUlT_T0_E_clISt17integral_constantIbLb0EES19_IbLb1EEEEDaS15_S16_EUlS15_E_NS1_11comp_targetILNS1_3genE5ELNS1_11target_archE942ELNS1_3gpuE9ELNS1_3repE0EEENS1_30default_config_static_selectorELNS0_4arch9wavefront6targetE1EEEvT1_: ; @_ZN7rocprim17ROCPRIM_400000_NS6detail17trampoline_kernelINS0_14default_configENS1_25partition_config_selectorILNS1_17partition_subalgoE9EllbEEZZNS1_14partition_implILS5_9ELb0ES3_jPlS8_PNS0_10empty_typeENS0_5tupleIJS8_S9_EEENSB_IJS8_SA_EEENS0_18inequality_wrapperIZN2at6native12_GLOBAL__N_124unique_dim_cuda_templateIiEESt5tupleIJNSF_6TensorESK_SK_EERKSK_lbbbEUlllE0_EEPmJS9_EEE10hipError_tPvRmT3_T4_T5_T6_T7_T9_mT8_P12ihipStream_tbDpT10_ENKUlT_T0_E_clISt17integral_constantIbLb0EES19_IbLb1EEEEDaS15_S16_EUlS15_E_NS1_11comp_targetILNS1_3genE5ELNS1_11target_archE942ELNS1_3gpuE9ELNS1_3repE0EEENS1_30default_config_static_selectorELNS0_4arch9wavefront6targetE1EEEvT1_
; %bb.0:
	.section	.rodata,"a",@progbits
	.p2align	6, 0x0
	.amdhsa_kernel _ZN7rocprim17ROCPRIM_400000_NS6detail17trampoline_kernelINS0_14default_configENS1_25partition_config_selectorILNS1_17partition_subalgoE9EllbEEZZNS1_14partition_implILS5_9ELb0ES3_jPlS8_PNS0_10empty_typeENS0_5tupleIJS8_S9_EEENSB_IJS8_SA_EEENS0_18inequality_wrapperIZN2at6native12_GLOBAL__N_124unique_dim_cuda_templateIiEESt5tupleIJNSF_6TensorESK_SK_EERKSK_lbbbEUlllE0_EEPmJS9_EEE10hipError_tPvRmT3_T4_T5_T6_T7_T9_mT8_P12ihipStream_tbDpT10_ENKUlT_T0_E_clISt17integral_constantIbLb0EES19_IbLb1EEEEDaS15_S16_EUlS15_E_NS1_11comp_targetILNS1_3genE5ELNS1_11target_archE942ELNS1_3gpuE9ELNS1_3repE0EEENS1_30default_config_static_selectorELNS0_4arch9wavefront6targetE1EEEvT1_
		.amdhsa_group_segment_fixed_size 0
		.amdhsa_private_segment_fixed_size 0
		.amdhsa_kernarg_size 136
		.amdhsa_user_sgpr_count 2
		.amdhsa_user_sgpr_dispatch_ptr 0
		.amdhsa_user_sgpr_queue_ptr 0
		.amdhsa_user_sgpr_kernarg_segment_ptr 1
		.amdhsa_user_sgpr_dispatch_id 0
		.amdhsa_user_sgpr_kernarg_preload_length 0
		.amdhsa_user_sgpr_kernarg_preload_offset 0
		.amdhsa_user_sgpr_private_segment_size 0
		.amdhsa_uses_dynamic_stack 0
		.amdhsa_enable_private_segment 0
		.amdhsa_system_sgpr_workgroup_id_x 1
		.amdhsa_system_sgpr_workgroup_id_y 0
		.amdhsa_system_sgpr_workgroup_id_z 0
		.amdhsa_system_sgpr_workgroup_info 0
		.amdhsa_system_vgpr_workitem_id 0
		.amdhsa_next_free_vgpr 1
		.amdhsa_next_free_sgpr 0
		.amdhsa_accum_offset 4
		.amdhsa_reserve_vcc 0
		.amdhsa_float_round_mode_32 0
		.amdhsa_float_round_mode_16_64 0
		.amdhsa_float_denorm_mode_32 3
		.amdhsa_float_denorm_mode_16_64 3
		.amdhsa_dx10_clamp 1
		.amdhsa_ieee_mode 1
		.amdhsa_fp16_overflow 0
		.amdhsa_tg_split 0
		.amdhsa_exception_fp_ieee_invalid_op 0
		.amdhsa_exception_fp_denorm_src 0
		.amdhsa_exception_fp_ieee_div_zero 0
		.amdhsa_exception_fp_ieee_overflow 0
		.amdhsa_exception_fp_ieee_underflow 0
		.amdhsa_exception_fp_ieee_inexact 0
		.amdhsa_exception_int_div_zero 0
	.end_amdhsa_kernel
	.section	.text._ZN7rocprim17ROCPRIM_400000_NS6detail17trampoline_kernelINS0_14default_configENS1_25partition_config_selectorILNS1_17partition_subalgoE9EllbEEZZNS1_14partition_implILS5_9ELb0ES3_jPlS8_PNS0_10empty_typeENS0_5tupleIJS8_S9_EEENSB_IJS8_SA_EEENS0_18inequality_wrapperIZN2at6native12_GLOBAL__N_124unique_dim_cuda_templateIiEESt5tupleIJNSF_6TensorESK_SK_EERKSK_lbbbEUlllE0_EEPmJS9_EEE10hipError_tPvRmT3_T4_T5_T6_T7_T9_mT8_P12ihipStream_tbDpT10_ENKUlT_T0_E_clISt17integral_constantIbLb0EES19_IbLb1EEEEDaS15_S16_EUlS15_E_NS1_11comp_targetILNS1_3genE5ELNS1_11target_archE942ELNS1_3gpuE9ELNS1_3repE0EEENS1_30default_config_static_selectorELNS0_4arch9wavefront6targetE1EEEvT1_,"axG",@progbits,_ZN7rocprim17ROCPRIM_400000_NS6detail17trampoline_kernelINS0_14default_configENS1_25partition_config_selectorILNS1_17partition_subalgoE9EllbEEZZNS1_14partition_implILS5_9ELb0ES3_jPlS8_PNS0_10empty_typeENS0_5tupleIJS8_S9_EEENSB_IJS8_SA_EEENS0_18inequality_wrapperIZN2at6native12_GLOBAL__N_124unique_dim_cuda_templateIiEESt5tupleIJNSF_6TensorESK_SK_EERKSK_lbbbEUlllE0_EEPmJS9_EEE10hipError_tPvRmT3_T4_T5_T6_T7_T9_mT8_P12ihipStream_tbDpT10_ENKUlT_T0_E_clISt17integral_constantIbLb0EES19_IbLb1EEEEDaS15_S16_EUlS15_E_NS1_11comp_targetILNS1_3genE5ELNS1_11target_archE942ELNS1_3gpuE9ELNS1_3repE0EEENS1_30default_config_static_selectorELNS0_4arch9wavefront6targetE1EEEvT1_,comdat
.Lfunc_end498:
	.size	_ZN7rocprim17ROCPRIM_400000_NS6detail17trampoline_kernelINS0_14default_configENS1_25partition_config_selectorILNS1_17partition_subalgoE9EllbEEZZNS1_14partition_implILS5_9ELb0ES3_jPlS8_PNS0_10empty_typeENS0_5tupleIJS8_S9_EEENSB_IJS8_SA_EEENS0_18inequality_wrapperIZN2at6native12_GLOBAL__N_124unique_dim_cuda_templateIiEESt5tupleIJNSF_6TensorESK_SK_EERKSK_lbbbEUlllE0_EEPmJS9_EEE10hipError_tPvRmT3_T4_T5_T6_T7_T9_mT8_P12ihipStream_tbDpT10_ENKUlT_T0_E_clISt17integral_constantIbLb0EES19_IbLb1EEEEDaS15_S16_EUlS15_E_NS1_11comp_targetILNS1_3genE5ELNS1_11target_archE942ELNS1_3gpuE9ELNS1_3repE0EEENS1_30default_config_static_selectorELNS0_4arch9wavefront6targetE1EEEvT1_, .Lfunc_end498-_ZN7rocprim17ROCPRIM_400000_NS6detail17trampoline_kernelINS0_14default_configENS1_25partition_config_selectorILNS1_17partition_subalgoE9EllbEEZZNS1_14partition_implILS5_9ELb0ES3_jPlS8_PNS0_10empty_typeENS0_5tupleIJS8_S9_EEENSB_IJS8_SA_EEENS0_18inequality_wrapperIZN2at6native12_GLOBAL__N_124unique_dim_cuda_templateIiEESt5tupleIJNSF_6TensorESK_SK_EERKSK_lbbbEUlllE0_EEPmJS9_EEE10hipError_tPvRmT3_T4_T5_T6_T7_T9_mT8_P12ihipStream_tbDpT10_ENKUlT_T0_E_clISt17integral_constantIbLb0EES19_IbLb1EEEEDaS15_S16_EUlS15_E_NS1_11comp_targetILNS1_3genE5ELNS1_11target_archE942ELNS1_3gpuE9ELNS1_3repE0EEENS1_30default_config_static_selectorELNS0_4arch9wavefront6targetE1EEEvT1_
                                        ; -- End function
	.set _ZN7rocprim17ROCPRIM_400000_NS6detail17trampoline_kernelINS0_14default_configENS1_25partition_config_selectorILNS1_17partition_subalgoE9EllbEEZZNS1_14partition_implILS5_9ELb0ES3_jPlS8_PNS0_10empty_typeENS0_5tupleIJS8_S9_EEENSB_IJS8_SA_EEENS0_18inequality_wrapperIZN2at6native12_GLOBAL__N_124unique_dim_cuda_templateIiEESt5tupleIJNSF_6TensorESK_SK_EERKSK_lbbbEUlllE0_EEPmJS9_EEE10hipError_tPvRmT3_T4_T5_T6_T7_T9_mT8_P12ihipStream_tbDpT10_ENKUlT_T0_E_clISt17integral_constantIbLb0EES19_IbLb1EEEEDaS15_S16_EUlS15_E_NS1_11comp_targetILNS1_3genE5ELNS1_11target_archE942ELNS1_3gpuE9ELNS1_3repE0EEENS1_30default_config_static_selectorELNS0_4arch9wavefront6targetE1EEEvT1_.num_vgpr, 0
	.set _ZN7rocprim17ROCPRIM_400000_NS6detail17trampoline_kernelINS0_14default_configENS1_25partition_config_selectorILNS1_17partition_subalgoE9EllbEEZZNS1_14partition_implILS5_9ELb0ES3_jPlS8_PNS0_10empty_typeENS0_5tupleIJS8_S9_EEENSB_IJS8_SA_EEENS0_18inequality_wrapperIZN2at6native12_GLOBAL__N_124unique_dim_cuda_templateIiEESt5tupleIJNSF_6TensorESK_SK_EERKSK_lbbbEUlllE0_EEPmJS9_EEE10hipError_tPvRmT3_T4_T5_T6_T7_T9_mT8_P12ihipStream_tbDpT10_ENKUlT_T0_E_clISt17integral_constantIbLb0EES19_IbLb1EEEEDaS15_S16_EUlS15_E_NS1_11comp_targetILNS1_3genE5ELNS1_11target_archE942ELNS1_3gpuE9ELNS1_3repE0EEENS1_30default_config_static_selectorELNS0_4arch9wavefront6targetE1EEEvT1_.num_agpr, 0
	.set _ZN7rocprim17ROCPRIM_400000_NS6detail17trampoline_kernelINS0_14default_configENS1_25partition_config_selectorILNS1_17partition_subalgoE9EllbEEZZNS1_14partition_implILS5_9ELb0ES3_jPlS8_PNS0_10empty_typeENS0_5tupleIJS8_S9_EEENSB_IJS8_SA_EEENS0_18inequality_wrapperIZN2at6native12_GLOBAL__N_124unique_dim_cuda_templateIiEESt5tupleIJNSF_6TensorESK_SK_EERKSK_lbbbEUlllE0_EEPmJS9_EEE10hipError_tPvRmT3_T4_T5_T6_T7_T9_mT8_P12ihipStream_tbDpT10_ENKUlT_T0_E_clISt17integral_constantIbLb0EES19_IbLb1EEEEDaS15_S16_EUlS15_E_NS1_11comp_targetILNS1_3genE5ELNS1_11target_archE942ELNS1_3gpuE9ELNS1_3repE0EEENS1_30default_config_static_selectorELNS0_4arch9wavefront6targetE1EEEvT1_.numbered_sgpr, 0
	.set _ZN7rocprim17ROCPRIM_400000_NS6detail17trampoline_kernelINS0_14default_configENS1_25partition_config_selectorILNS1_17partition_subalgoE9EllbEEZZNS1_14partition_implILS5_9ELb0ES3_jPlS8_PNS0_10empty_typeENS0_5tupleIJS8_S9_EEENSB_IJS8_SA_EEENS0_18inequality_wrapperIZN2at6native12_GLOBAL__N_124unique_dim_cuda_templateIiEESt5tupleIJNSF_6TensorESK_SK_EERKSK_lbbbEUlllE0_EEPmJS9_EEE10hipError_tPvRmT3_T4_T5_T6_T7_T9_mT8_P12ihipStream_tbDpT10_ENKUlT_T0_E_clISt17integral_constantIbLb0EES19_IbLb1EEEEDaS15_S16_EUlS15_E_NS1_11comp_targetILNS1_3genE5ELNS1_11target_archE942ELNS1_3gpuE9ELNS1_3repE0EEENS1_30default_config_static_selectorELNS0_4arch9wavefront6targetE1EEEvT1_.num_named_barrier, 0
	.set _ZN7rocprim17ROCPRIM_400000_NS6detail17trampoline_kernelINS0_14default_configENS1_25partition_config_selectorILNS1_17partition_subalgoE9EllbEEZZNS1_14partition_implILS5_9ELb0ES3_jPlS8_PNS0_10empty_typeENS0_5tupleIJS8_S9_EEENSB_IJS8_SA_EEENS0_18inequality_wrapperIZN2at6native12_GLOBAL__N_124unique_dim_cuda_templateIiEESt5tupleIJNSF_6TensorESK_SK_EERKSK_lbbbEUlllE0_EEPmJS9_EEE10hipError_tPvRmT3_T4_T5_T6_T7_T9_mT8_P12ihipStream_tbDpT10_ENKUlT_T0_E_clISt17integral_constantIbLb0EES19_IbLb1EEEEDaS15_S16_EUlS15_E_NS1_11comp_targetILNS1_3genE5ELNS1_11target_archE942ELNS1_3gpuE9ELNS1_3repE0EEENS1_30default_config_static_selectorELNS0_4arch9wavefront6targetE1EEEvT1_.private_seg_size, 0
	.set _ZN7rocprim17ROCPRIM_400000_NS6detail17trampoline_kernelINS0_14default_configENS1_25partition_config_selectorILNS1_17partition_subalgoE9EllbEEZZNS1_14partition_implILS5_9ELb0ES3_jPlS8_PNS0_10empty_typeENS0_5tupleIJS8_S9_EEENSB_IJS8_SA_EEENS0_18inequality_wrapperIZN2at6native12_GLOBAL__N_124unique_dim_cuda_templateIiEESt5tupleIJNSF_6TensorESK_SK_EERKSK_lbbbEUlllE0_EEPmJS9_EEE10hipError_tPvRmT3_T4_T5_T6_T7_T9_mT8_P12ihipStream_tbDpT10_ENKUlT_T0_E_clISt17integral_constantIbLb0EES19_IbLb1EEEEDaS15_S16_EUlS15_E_NS1_11comp_targetILNS1_3genE5ELNS1_11target_archE942ELNS1_3gpuE9ELNS1_3repE0EEENS1_30default_config_static_selectorELNS0_4arch9wavefront6targetE1EEEvT1_.uses_vcc, 0
	.set _ZN7rocprim17ROCPRIM_400000_NS6detail17trampoline_kernelINS0_14default_configENS1_25partition_config_selectorILNS1_17partition_subalgoE9EllbEEZZNS1_14partition_implILS5_9ELb0ES3_jPlS8_PNS0_10empty_typeENS0_5tupleIJS8_S9_EEENSB_IJS8_SA_EEENS0_18inequality_wrapperIZN2at6native12_GLOBAL__N_124unique_dim_cuda_templateIiEESt5tupleIJNSF_6TensorESK_SK_EERKSK_lbbbEUlllE0_EEPmJS9_EEE10hipError_tPvRmT3_T4_T5_T6_T7_T9_mT8_P12ihipStream_tbDpT10_ENKUlT_T0_E_clISt17integral_constantIbLb0EES19_IbLb1EEEEDaS15_S16_EUlS15_E_NS1_11comp_targetILNS1_3genE5ELNS1_11target_archE942ELNS1_3gpuE9ELNS1_3repE0EEENS1_30default_config_static_selectorELNS0_4arch9wavefront6targetE1EEEvT1_.uses_flat_scratch, 0
	.set _ZN7rocprim17ROCPRIM_400000_NS6detail17trampoline_kernelINS0_14default_configENS1_25partition_config_selectorILNS1_17partition_subalgoE9EllbEEZZNS1_14partition_implILS5_9ELb0ES3_jPlS8_PNS0_10empty_typeENS0_5tupleIJS8_S9_EEENSB_IJS8_SA_EEENS0_18inequality_wrapperIZN2at6native12_GLOBAL__N_124unique_dim_cuda_templateIiEESt5tupleIJNSF_6TensorESK_SK_EERKSK_lbbbEUlllE0_EEPmJS9_EEE10hipError_tPvRmT3_T4_T5_T6_T7_T9_mT8_P12ihipStream_tbDpT10_ENKUlT_T0_E_clISt17integral_constantIbLb0EES19_IbLb1EEEEDaS15_S16_EUlS15_E_NS1_11comp_targetILNS1_3genE5ELNS1_11target_archE942ELNS1_3gpuE9ELNS1_3repE0EEENS1_30default_config_static_selectorELNS0_4arch9wavefront6targetE1EEEvT1_.has_dyn_sized_stack, 0
	.set _ZN7rocprim17ROCPRIM_400000_NS6detail17trampoline_kernelINS0_14default_configENS1_25partition_config_selectorILNS1_17partition_subalgoE9EllbEEZZNS1_14partition_implILS5_9ELb0ES3_jPlS8_PNS0_10empty_typeENS0_5tupleIJS8_S9_EEENSB_IJS8_SA_EEENS0_18inequality_wrapperIZN2at6native12_GLOBAL__N_124unique_dim_cuda_templateIiEESt5tupleIJNSF_6TensorESK_SK_EERKSK_lbbbEUlllE0_EEPmJS9_EEE10hipError_tPvRmT3_T4_T5_T6_T7_T9_mT8_P12ihipStream_tbDpT10_ENKUlT_T0_E_clISt17integral_constantIbLb0EES19_IbLb1EEEEDaS15_S16_EUlS15_E_NS1_11comp_targetILNS1_3genE5ELNS1_11target_archE942ELNS1_3gpuE9ELNS1_3repE0EEENS1_30default_config_static_selectorELNS0_4arch9wavefront6targetE1EEEvT1_.has_recursion, 0
	.set _ZN7rocprim17ROCPRIM_400000_NS6detail17trampoline_kernelINS0_14default_configENS1_25partition_config_selectorILNS1_17partition_subalgoE9EllbEEZZNS1_14partition_implILS5_9ELb0ES3_jPlS8_PNS0_10empty_typeENS0_5tupleIJS8_S9_EEENSB_IJS8_SA_EEENS0_18inequality_wrapperIZN2at6native12_GLOBAL__N_124unique_dim_cuda_templateIiEESt5tupleIJNSF_6TensorESK_SK_EERKSK_lbbbEUlllE0_EEPmJS9_EEE10hipError_tPvRmT3_T4_T5_T6_T7_T9_mT8_P12ihipStream_tbDpT10_ENKUlT_T0_E_clISt17integral_constantIbLb0EES19_IbLb1EEEEDaS15_S16_EUlS15_E_NS1_11comp_targetILNS1_3genE5ELNS1_11target_archE942ELNS1_3gpuE9ELNS1_3repE0EEENS1_30default_config_static_selectorELNS0_4arch9wavefront6targetE1EEEvT1_.has_indirect_call, 0
	.section	.AMDGPU.csdata,"",@progbits
; Kernel info:
; codeLenInByte = 0
; TotalNumSgprs: 6
; NumVgprs: 0
; NumAgprs: 0
; TotalNumVgprs: 0
; ScratchSize: 0
; MemoryBound: 0
; FloatMode: 240
; IeeeMode: 1
; LDSByteSize: 0 bytes/workgroup (compile time only)
; SGPRBlocks: 0
; VGPRBlocks: 0
; NumSGPRsForWavesPerEU: 6
; NumVGPRsForWavesPerEU: 1
; AccumOffset: 4
; Occupancy: 8
; WaveLimiterHint : 0
; COMPUTE_PGM_RSRC2:SCRATCH_EN: 0
; COMPUTE_PGM_RSRC2:USER_SGPR: 2
; COMPUTE_PGM_RSRC2:TRAP_HANDLER: 0
; COMPUTE_PGM_RSRC2:TGID_X_EN: 1
; COMPUTE_PGM_RSRC2:TGID_Y_EN: 0
; COMPUTE_PGM_RSRC2:TGID_Z_EN: 0
; COMPUTE_PGM_RSRC2:TIDIG_COMP_CNT: 0
; COMPUTE_PGM_RSRC3_GFX90A:ACCUM_OFFSET: 0
; COMPUTE_PGM_RSRC3_GFX90A:TG_SPLIT: 0
	.section	.text._ZN7rocprim17ROCPRIM_400000_NS6detail17trampoline_kernelINS0_14default_configENS1_25partition_config_selectorILNS1_17partition_subalgoE9EllbEEZZNS1_14partition_implILS5_9ELb0ES3_jPlS8_PNS0_10empty_typeENS0_5tupleIJS8_S9_EEENSB_IJS8_SA_EEENS0_18inequality_wrapperIZN2at6native12_GLOBAL__N_124unique_dim_cuda_templateIiEESt5tupleIJNSF_6TensorESK_SK_EERKSK_lbbbEUlllE0_EEPmJS9_EEE10hipError_tPvRmT3_T4_T5_T6_T7_T9_mT8_P12ihipStream_tbDpT10_ENKUlT_T0_E_clISt17integral_constantIbLb0EES19_IbLb1EEEEDaS15_S16_EUlS15_E_NS1_11comp_targetILNS1_3genE4ELNS1_11target_archE910ELNS1_3gpuE8ELNS1_3repE0EEENS1_30default_config_static_selectorELNS0_4arch9wavefront6targetE1EEEvT1_,"axG",@progbits,_ZN7rocprim17ROCPRIM_400000_NS6detail17trampoline_kernelINS0_14default_configENS1_25partition_config_selectorILNS1_17partition_subalgoE9EllbEEZZNS1_14partition_implILS5_9ELb0ES3_jPlS8_PNS0_10empty_typeENS0_5tupleIJS8_S9_EEENSB_IJS8_SA_EEENS0_18inequality_wrapperIZN2at6native12_GLOBAL__N_124unique_dim_cuda_templateIiEESt5tupleIJNSF_6TensorESK_SK_EERKSK_lbbbEUlllE0_EEPmJS9_EEE10hipError_tPvRmT3_T4_T5_T6_T7_T9_mT8_P12ihipStream_tbDpT10_ENKUlT_T0_E_clISt17integral_constantIbLb0EES19_IbLb1EEEEDaS15_S16_EUlS15_E_NS1_11comp_targetILNS1_3genE4ELNS1_11target_archE910ELNS1_3gpuE8ELNS1_3repE0EEENS1_30default_config_static_selectorELNS0_4arch9wavefront6targetE1EEEvT1_,comdat
	.globl	_ZN7rocprim17ROCPRIM_400000_NS6detail17trampoline_kernelINS0_14default_configENS1_25partition_config_selectorILNS1_17partition_subalgoE9EllbEEZZNS1_14partition_implILS5_9ELb0ES3_jPlS8_PNS0_10empty_typeENS0_5tupleIJS8_S9_EEENSB_IJS8_SA_EEENS0_18inequality_wrapperIZN2at6native12_GLOBAL__N_124unique_dim_cuda_templateIiEESt5tupleIJNSF_6TensorESK_SK_EERKSK_lbbbEUlllE0_EEPmJS9_EEE10hipError_tPvRmT3_T4_T5_T6_T7_T9_mT8_P12ihipStream_tbDpT10_ENKUlT_T0_E_clISt17integral_constantIbLb0EES19_IbLb1EEEEDaS15_S16_EUlS15_E_NS1_11comp_targetILNS1_3genE4ELNS1_11target_archE910ELNS1_3gpuE8ELNS1_3repE0EEENS1_30default_config_static_selectorELNS0_4arch9wavefront6targetE1EEEvT1_ ; -- Begin function _ZN7rocprim17ROCPRIM_400000_NS6detail17trampoline_kernelINS0_14default_configENS1_25partition_config_selectorILNS1_17partition_subalgoE9EllbEEZZNS1_14partition_implILS5_9ELb0ES3_jPlS8_PNS0_10empty_typeENS0_5tupleIJS8_S9_EEENSB_IJS8_SA_EEENS0_18inequality_wrapperIZN2at6native12_GLOBAL__N_124unique_dim_cuda_templateIiEESt5tupleIJNSF_6TensorESK_SK_EERKSK_lbbbEUlllE0_EEPmJS9_EEE10hipError_tPvRmT3_T4_T5_T6_T7_T9_mT8_P12ihipStream_tbDpT10_ENKUlT_T0_E_clISt17integral_constantIbLb0EES19_IbLb1EEEEDaS15_S16_EUlS15_E_NS1_11comp_targetILNS1_3genE4ELNS1_11target_archE910ELNS1_3gpuE8ELNS1_3repE0EEENS1_30default_config_static_selectorELNS0_4arch9wavefront6targetE1EEEvT1_
	.p2align	8
	.type	_ZN7rocprim17ROCPRIM_400000_NS6detail17trampoline_kernelINS0_14default_configENS1_25partition_config_selectorILNS1_17partition_subalgoE9EllbEEZZNS1_14partition_implILS5_9ELb0ES3_jPlS8_PNS0_10empty_typeENS0_5tupleIJS8_S9_EEENSB_IJS8_SA_EEENS0_18inequality_wrapperIZN2at6native12_GLOBAL__N_124unique_dim_cuda_templateIiEESt5tupleIJNSF_6TensorESK_SK_EERKSK_lbbbEUlllE0_EEPmJS9_EEE10hipError_tPvRmT3_T4_T5_T6_T7_T9_mT8_P12ihipStream_tbDpT10_ENKUlT_T0_E_clISt17integral_constantIbLb0EES19_IbLb1EEEEDaS15_S16_EUlS15_E_NS1_11comp_targetILNS1_3genE4ELNS1_11target_archE910ELNS1_3gpuE8ELNS1_3repE0EEENS1_30default_config_static_selectorELNS0_4arch9wavefront6targetE1EEEvT1_,@function
_ZN7rocprim17ROCPRIM_400000_NS6detail17trampoline_kernelINS0_14default_configENS1_25partition_config_selectorILNS1_17partition_subalgoE9EllbEEZZNS1_14partition_implILS5_9ELb0ES3_jPlS8_PNS0_10empty_typeENS0_5tupleIJS8_S9_EEENSB_IJS8_SA_EEENS0_18inequality_wrapperIZN2at6native12_GLOBAL__N_124unique_dim_cuda_templateIiEESt5tupleIJNSF_6TensorESK_SK_EERKSK_lbbbEUlllE0_EEPmJS9_EEE10hipError_tPvRmT3_T4_T5_T6_T7_T9_mT8_P12ihipStream_tbDpT10_ENKUlT_T0_E_clISt17integral_constantIbLb0EES19_IbLb1EEEEDaS15_S16_EUlS15_E_NS1_11comp_targetILNS1_3genE4ELNS1_11target_archE910ELNS1_3gpuE8ELNS1_3repE0EEENS1_30default_config_static_selectorELNS0_4arch9wavefront6targetE1EEEvT1_: ; @_ZN7rocprim17ROCPRIM_400000_NS6detail17trampoline_kernelINS0_14default_configENS1_25partition_config_selectorILNS1_17partition_subalgoE9EllbEEZZNS1_14partition_implILS5_9ELb0ES3_jPlS8_PNS0_10empty_typeENS0_5tupleIJS8_S9_EEENSB_IJS8_SA_EEENS0_18inequality_wrapperIZN2at6native12_GLOBAL__N_124unique_dim_cuda_templateIiEESt5tupleIJNSF_6TensorESK_SK_EERKSK_lbbbEUlllE0_EEPmJS9_EEE10hipError_tPvRmT3_T4_T5_T6_T7_T9_mT8_P12ihipStream_tbDpT10_ENKUlT_T0_E_clISt17integral_constantIbLb0EES19_IbLb1EEEEDaS15_S16_EUlS15_E_NS1_11comp_targetILNS1_3genE4ELNS1_11target_archE910ELNS1_3gpuE8ELNS1_3repE0EEENS1_30default_config_static_selectorELNS0_4arch9wavefront6targetE1EEEvT1_
; %bb.0:
	.section	.rodata,"a",@progbits
	.p2align	6, 0x0
	.amdhsa_kernel _ZN7rocprim17ROCPRIM_400000_NS6detail17trampoline_kernelINS0_14default_configENS1_25partition_config_selectorILNS1_17partition_subalgoE9EllbEEZZNS1_14partition_implILS5_9ELb0ES3_jPlS8_PNS0_10empty_typeENS0_5tupleIJS8_S9_EEENSB_IJS8_SA_EEENS0_18inequality_wrapperIZN2at6native12_GLOBAL__N_124unique_dim_cuda_templateIiEESt5tupleIJNSF_6TensorESK_SK_EERKSK_lbbbEUlllE0_EEPmJS9_EEE10hipError_tPvRmT3_T4_T5_T6_T7_T9_mT8_P12ihipStream_tbDpT10_ENKUlT_T0_E_clISt17integral_constantIbLb0EES19_IbLb1EEEEDaS15_S16_EUlS15_E_NS1_11comp_targetILNS1_3genE4ELNS1_11target_archE910ELNS1_3gpuE8ELNS1_3repE0EEENS1_30default_config_static_selectorELNS0_4arch9wavefront6targetE1EEEvT1_
		.amdhsa_group_segment_fixed_size 0
		.amdhsa_private_segment_fixed_size 0
		.amdhsa_kernarg_size 136
		.amdhsa_user_sgpr_count 2
		.amdhsa_user_sgpr_dispatch_ptr 0
		.amdhsa_user_sgpr_queue_ptr 0
		.amdhsa_user_sgpr_kernarg_segment_ptr 1
		.amdhsa_user_sgpr_dispatch_id 0
		.amdhsa_user_sgpr_kernarg_preload_length 0
		.amdhsa_user_sgpr_kernarg_preload_offset 0
		.amdhsa_user_sgpr_private_segment_size 0
		.amdhsa_uses_dynamic_stack 0
		.amdhsa_enable_private_segment 0
		.amdhsa_system_sgpr_workgroup_id_x 1
		.amdhsa_system_sgpr_workgroup_id_y 0
		.amdhsa_system_sgpr_workgroup_id_z 0
		.amdhsa_system_sgpr_workgroup_info 0
		.amdhsa_system_vgpr_workitem_id 0
		.amdhsa_next_free_vgpr 1
		.amdhsa_next_free_sgpr 0
		.amdhsa_accum_offset 4
		.amdhsa_reserve_vcc 0
		.amdhsa_float_round_mode_32 0
		.amdhsa_float_round_mode_16_64 0
		.amdhsa_float_denorm_mode_32 3
		.amdhsa_float_denorm_mode_16_64 3
		.amdhsa_dx10_clamp 1
		.amdhsa_ieee_mode 1
		.amdhsa_fp16_overflow 0
		.amdhsa_tg_split 0
		.amdhsa_exception_fp_ieee_invalid_op 0
		.amdhsa_exception_fp_denorm_src 0
		.amdhsa_exception_fp_ieee_div_zero 0
		.amdhsa_exception_fp_ieee_overflow 0
		.amdhsa_exception_fp_ieee_underflow 0
		.amdhsa_exception_fp_ieee_inexact 0
		.amdhsa_exception_int_div_zero 0
	.end_amdhsa_kernel
	.section	.text._ZN7rocprim17ROCPRIM_400000_NS6detail17trampoline_kernelINS0_14default_configENS1_25partition_config_selectorILNS1_17partition_subalgoE9EllbEEZZNS1_14partition_implILS5_9ELb0ES3_jPlS8_PNS0_10empty_typeENS0_5tupleIJS8_S9_EEENSB_IJS8_SA_EEENS0_18inequality_wrapperIZN2at6native12_GLOBAL__N_124unique_dim_cuda_templateIiEESt5tupleIJNSF_6TensorESK_SK_EERKSK_lbbbEUlllE0_EEPmJS9_EEE10hipError_tPvRmT3_T4_T5_T6_T7_T9_mT8_P12ihipStream_tbDpT10_ENKUlT_T0_E_clISt17integral_constantIbLb0EES19_IbLb1EEEEDaS15_S16_EUlS15_E_NS1_11comp_targetILNS1_3genE4ELNS1_11target_archE910ELNS1_3gpuE8ELNS1_3repE0EEENS1_30default_config_static_selectorELNS0_4arch9wavefront6targetE1EEEvT1_,"axG",@progbits,_ZN7rocprim17ROCPRIM_400000_NS6detail17trampoline_kernelINS0_14default_configENS1_25partition_config_selectorILNS1_17partition_subalgoE9EllbEEZZNS1_14partition_implILS5_9ELb0ES3_jPlS8_PNS0_10empty_typeENS0_5tupleIJS8_S9_EEENSB_IJS8_SA_EEENS0_18inequality_wrapperIZN2at6native12_GLOBAL__N_124unique_dim_cuda_templateIiEESt5tupleIJNSF_6TensorESK_SK_EERKSK_lbbbEUlllE0_EEPmJS9_EEE10hipError_tPvRmT3_T4_T5_T6_T7_T9_mT8_P12ihipStream_tbDpT10_ENKUlT_T0_E_clISt17integral_constantIbLb0EES19_IbLb1EEEEDaS15_S16_EUlS15_E_NS1_11comp_targetILNS1_3genE4ELNS1_11target_archE910ELNS1_3gpuE8ELNS1_3repE0EEENS1_30default_config_static_selectorELNS0_4arch9wavefront6targetE1EEEvT1_,comdat
.Lfunc_end499:
	.size	_ZN7rocprim17ROCPRIM_400000_NS6detail17trampoline_kernelINS0_14default_configENS1_25partition_config_selectorILNS1_17partition_subalgoE9EllbEEZZNS1_14partition_implILS5_9ELb0ES3_jPlS8_PNS0_10empty_typeENS0_5tupleIJS8_S9_EEENSB_IJS8_SA_EEENS0_18inequality_wrapperIZN2at6native12_GLOBAL__N_124unique_dim_cuda_templateIiEESt5tupleIJNSF_6TensorESK_SK_EERKSK_lbbbEUlllE0_EEPmJS9_EEE10hipError_tPvRmT3_T4_T5_T6_T7_T9_mT8_P12ihipStream_tbDpT10_ENKUlT_T0_E_clISt17integral_constantIbLb0EES19_IbLb1EEEEDaS15_S16_EUlS15_E_NS1_11comp_targetILNS1_3genE4ELNS1_11target_archE910ELNS1_3gpuE8ELNS1_3repE0EEENS1_30default_config_static_selectorELNS0_4arch9wavefront6targetE1EEEvT1_, .Lfunc_end499-_ZN7rocprim17ROCPRIM_400000_NS6detail17trampoline_kernelINS0_14default_configENS1_25partition_config_selectorILNS1_17partition_subalgoE9EllbEEZZNS1_14partition_implILS5_9ELb0ES3_jPlS8_PNS0_10empty_typeENS0_5tupleIJS8_S9_EEENSB_IJS8_SA_EEENS0_18inequality_wrapperIZN2at6native12_GLOBAL__N_124unique_dim_cuda_templateIiEESt5tupleIJNSF_6TensorESK_SK_EERKSK_lbbbEUlllE0_EEPmJS9_EEE10hipError_tPvRmT3_T4_T5_T6_T7_T9_mT8_P12ihipStream_tbDpT10_ENKUlT_T0_E_clISt17integral_constantIbLb0EES19_IbLb1EEEEDaS15_S16_EUlS15_E_NS1_11comp_targetILNS1_3genE4ELNS1_11target_archE910ELNS1_3gpuE8ELNS1_3repE0EEENS1_30default_config_static_selectorELNS0_4arch9wavefront6targetE1EEEvT1_
                                        ; -- End function
	.set _ZN7rocprim17ROCPRIM_400000_NS6detail17trampoline_kernelINS0_14default_configENS1_25partition_config_selectorILNS1_17partition_subalgoE9EllbEEZZNS1_14partition_implILS5_9ELb0ES3_jPlS8_PNS0_10empty_typeENS0_5tupleIJS8_S9_EEENSB_IJS8_SA_EEENS0_18inequality_wrapperIZN2at6native12_GLOBAL__N_124unique_dim_cuda_templateIiEESt5tupleIJNSF_6TensorESK_SK_EERKSK_lbbbEUlllE0_EEPmJS9_EEE10hipError_tPvRmT3_T4_T5_T6_T7_T9_mT8_P12ihipStream_tbDpT10_ENKUlT_T0_E_clISt17integral_constantIbLb0EES19_IbLb1EEEEDaS15_S16_EUlS15_E_NS1_11comp_targetILNS1_3genE4ELNS1_11target_archE910ELNS1_3gpuE8ELNS1_3repE0EEENS1_30default_config_static_selectorELNS0_4arch9wavefront6targetE1EEEvT1_.num_vgpr, 0
	.set _ZN7rocprim17ROCPRIM_400000_NS6detail17trampoline_kernelINS0_14default_configENS1_25partition_config_selectorILNS1_17partition_subalgoE9EllbEEZZNS1_14partition_implILS5_9ELb0ES3_jPlS8_PNS0_10empty_typeENS0_5tupleIJS8_S9_EEENSB_IJS8_SA_EEENS0_18inequality_wrapperIZN2at6native12_GLOBAL__N_124unique_dim_cuda_templateIiEESt5tupleIJNSF_6TensorESK_SK_EERKSK_lbbbEUlllE0_EEPmJS9_EEE10hipError_tPvRmT3_T4_T5_T6_T7_T9_mT8_P12ihipStream_tbDpT10_ENKUlT_T0_E_clISt17integral_constantIbLb0EES19_IbLb1EEEEDaS15_S16_EUlS15_E_NS1_11comp_targetILNS1_3genE4ELNS1_11target_archE910ELNS1_3gpuE8ELNS1_3repE0EEENS1_30default_config_static_selectorELNS0_4arch9wavefront6targetE1EEEvT1_.num_agpr, 0
	.set _ZN7rocprim17ROCPRIM_400000_NS6detail17trampoline_kernelINS0_14default_configENS1_25partition_config_selectorILNS1_17partition_subalgoE9EllbEEZZNS1_14partition_implILS5_9ELb0ES3_jPlS8_PNS0_10empty_typeENS0_5tupleIJS8_S9_EEENSB_IJS8_SA_EEENS0_18inequality_wrapperIZN2at6native12_GLOBAL__N_124unique_dim_cuda_templateIiEESt5tupleIJNSF_6TensorESK_SK_EERKSK_lbbbEUlllE0_EEPmJS9_EEE10hipError_tPvRmT3_T4_T5_T6_T7_T9_mT8_P12ihipStream_tbDpT10_ENKUlT_T0_E_clISt17integral_constantIbLb0EES19_IbLb1EEEEDaS15_S16_EUlS15_E_NS1_11comp_targetILNS1_3genE4ELNS1_11target_archE910ELNS1_3gpuE8ELNS1_3repE0EEENS1_30default_config_static_selectorELNS0_4arch9wavefront6targetE1EEEvT1_.numbered_sgpr, 0
	.set _ZN7rocprim17ROCPRIM_400000_NS6detail17trampoline_kernelINS0_14default_configENS1_25partition_config_selectorILNS1_17partition_subalgoE9EllbEEZZNS1_14partition_implILS5_9ELb0ES3_jPlS8_PNS0_10empty_typeENS0_5tupleIJS8_S9_EEENSB_IJS8_SA_EEENS0_18inequality_wrapperIZN2at6native12_GLOBAL__N_124unique_dim_cuda_templateIiEESt5tupleIJNSF_6TensorESK_SK_EERKSK_lbbbEUlllE0_EEPmJS9_EEE10hipError_tPvRmT3_T4_T5_T6_T7_T9_mT8_P12ihipStream_tbDpT10_ENKUlT_T0_E_clISt17integral_constantIbLb0EES19_IbLb1EEEEDaS15_S16_EUlS15_E_NS1_11comp_targetILNS1_3genE4ELNS1_11target_archE910ELNS1_3gpuE8ELNS1_3repE0EEENS1_30default_config_static_selectorELNS0_4arch9wavefront6targetE1EEEvT1_.num_named_barrier, 0
	.set _ZN7rocprim17ROCPRIM_400000_NS6detail17trampoline_kernelINS0_14default_configENS1_25partition_config_selectorILNS1_17partition_subalgoE9EllbEEZZNS1_14partition_implILS5_9ELb0ES3_jPlS8_PNS0_10empty_typeENS0_5tupleIJS8_S9_EEENSB_IJS8_SA_EEENS0_18inequality_wrapperIZN2at6native12_GLOBAL__N_124unique_dim_cuda_templateIiEESt5tupleIJNSF_6TensorESK_SK_EERKSK_lbbbEUlllE0_EEPmJS9_EEE10hipError_tPvRmT3_T4_T5_T6_T7_T9_mT8_P12ihipStream_tbDpT10_ENKUlT_T0_E_clISt17integral_constantIbLb0EES19_IbLb1EEEEDaS15_S16_EUlS15_E_NS1_11comp_targetILNS1_3genE4ELNS1_11target_archE910ELNS1_3gpuE8ELNS1_3repE0EEENS1_30default_config_static_selectorELNS0_4arch9wavefront6targetE1EEEvT1_.private_seg_size, 0
	.set _ZN7rocprim17ROCPRIM_400000_NS6detail17trampoline_kernelINS0_14default_configENS1_25partition_config_selectorILNS1_17partition_subalgoE9EllbEEZZNS1_14partition_implILS5_9ELb0ES3_jPlS8_PNS0_10empty_typeENS0_5tupleIJS8_S9_EEENSB_IJS8_SA_EEENS0_18inequality_wrapperIZN2at6native12_GLOBAL__N_124unique_dim_cuda_templateIiEESt5tupleIJNSF_6TensorESK_SK_EERKSK_lbbbEUlllE0_EEPmJS9_EEE10hipError_tPvRmT3_T4_T5_T6_T7_T9_mT8_P12ihipStream_tbDpT10_ENKUlT_T0_E_clISt17integral_constantIbLb0EES19_IbLb1EEEEDaS15_S16_EUlS15_E_NS1_11comp_targetILNS1_3genE4ELNS1_11target_archE910ELNS1_3gpuE8ELNS1_3repE0EEENS1_30default_config_static_selectorELNS0_4arch9wavefront6targetE1EEEvT1_.uses_vcc, 0
	.set _ZN7rocprim17ROCPRIM_400000_NS6detail17trampoline_kernelINS0_14default_configENS1_25partition_config_selectorILNS1_17partition_subalgoE9EllbEEZZNS1_14partition_implILS5_9ELb0ES3_jPlS8_PNS0_10empty_typeENS0_5tupleIJS8_S9_EEENSB_IJS8_SA_EEENS0_18inequality_wrapperIZN2at6native12_GLOBAL__N_124unique_dim_cuda_templateIiEESt5tupleIJNSF_6TensorESK_SK_EERKSK_lbbbEUlllE0_EEPmJS9_EEE10hipError_tPvRmT3_T4_T5_T6_T7_T9_mT8_P12ihipStream_tbDpT10_ENKUlT_T0_E_clISt17integral_constantIbLb0EES19_IbLb1EEEEDaS15_S16_EUlS15_E_NS1_11comp_targetILNS1_3genE4ELNS1_11target_archE910ELNS1_3gpuE8ELNS1_3repE0EEENS1_30default_config_static_selectorELNS0_4arch9wavefront6targetE1EEEvT1_.uses_flat_scratch, 0
	.set _ZN7rocprim17ROCPRIM_400000_NS6detail17trampoline_kernelINS0_14default_configENS1_25partition_config_selectorILNS1_17partition_subalgoE9EllbEEZZNS1_14partition_implILS5_9ELb0ES3_jPlS8_PNS0_10empty_typeENS0_5tupleIJS8_S9_EEENSB_IJS8_SA_EEENS0_18inequality_wrapperIZN2at6native12_GLOBAL__N_124unique_dim_cuda_templateIiEESt5tupleIJNSF_6TensorESK_SK_EERKSK_lbbbEUlllE0_EEPmJS9_EEE10hipError_tPvRmT3_T4_T5_T6_T7_T9_mT8_P12ihipStream_tbDpT10_ENKUlT_T0_E_clISt17integral_constantIbLb0EES19_IbLb1EEEEDaS15_S16_EUlS15_E_NS1_11comp_targetILNS1_3genE4ELNS1_11target_archE910ELNS1_3gpuE8ELNS1_3repE0EEENS1_30default_config_static_selectorELNS0_4arch9wavefront6targetE1EEEvT1_.has_dyn_sized_stack, 0
	.set _ZN7rocprim17ROCPRIM_400000_NS6detail17trampoline_kernelINS0_14default_configENS1_25partition_config_selectorILNS1_17partition_subalgoE9EllbEEZZNS1_14partition_implILS5_9ELb0ES3_jPlS8_PNS0_10empty_typeENS0_5tupleIJS8_S9_EEENSB_IJS8_SA_EEENS0_18inequality_wrapperIZN2at6native12_GLOBAL__N_124unique_dim_cuda_templateIiEESt5tupleIJNSF_6TensorESK_SK_EERKSK_lbbbEUlllE0_EEPmJS9_EEE10hipError_tPvRmT3_T4_T5_T6_T7_T9_mT8_P12ihipStream_tbDpT10_ENKUlT_T0_E_clISt17integral_constantIbLb0EES19_IbLb1EEEEDaS15_S16_EUlS15_E_NS1_11comp_targetILNS1_3genE4ELNS1_11target_archE910ELNS1_3gpuE8ELNS1_3repE0EEENS1_30default_config_static_selectorELNS0_4arch9wavefront6targetE1EEEvT1_.has_recursion, 0
	.set _ZN7rocprim17ROCPRIM_400000_NS6detail17trampoline_kernelINS0_14default_configENS1_25partition_config_selectorILNS1_17partition_subalgoE9EllbEEZZNS1_14partition_implILS5_9ELb0ES3_jPlS8_PNS0_10empty_typeENS0_5tupleIJS8_S9_EEENSB_IJS8_SA_EEENS0_18inequality_wrapperIZN2at6native12_GLOBAL__N_124unique_dim_cuda_templateIiEESt5tupleIJNSF_6TensorESK_SK_EERKSK_lbbbEUlllE0_EEPmJS9_EEE10hipError_tPvRmT3_T4_T5_T6_T7_T9_mT8_P12ihipStream_tbDpT10_ENKUlT_T0_E_clISt17integral_constantIbLb0EES19_IbLb1EEEEDaS15_S16_EUlS15_E_NS1_11comp_targetILNS1_3genE4ELNS1_11target_archE910ELNS1_3gpuE8ELNS1_3repE0EEENS1_30default_config_static_selectorELNS0_4arch9wavefront6targetE1EEEvT1_.has_indirect_call, 0
	.section	.AMDGPU.csdata,"",@progbits
; Kernel info:
; codeLenInByte = 0
; TotalNumSgprs: 6
; NumVgprs: 0
; NumAgprs: 0
; TotalNumVgprs: 0
; ScratchSize: 0
; MemoryBound: 0
; FloatMode: 240
; IeeeMode: 1
; LDSByteSize: 0 bytes/workgroup (compile time only)
; SGPRBlocks: 0
; VGPRBlocks: 0
; NumSGPRsForWavesPerEU: 6
; NumVGPRsForWavesPerEU: 1
; AccumOffset: 4
; Occupancy: 8
; WaveLimiterHint : 0
; COMPUTE_PGM_RSRC2:SCRATCH_EN: 0
; COMPUTE_PGM_RSRC2:USER_SGPR: 2
; COMPUTE_PGM_RSRC2:TRAP_HANDLER: 0
; COMPUTE_PGM_RSRC2:TGID_X_EN: 1
; COMPUTE_PGM_RSRC2:TGID_Y_EN: 0
; COMPUTE_PGM_RSRC2:TGID_Z_EN: 0
; COMPUTE_PGM_RSRC2:TIDIG_COMP_CNT: 0
; COMPUTE_PGM_RSRC3_GFX90A:ACCUM_OFFSET: 0
; COMPUTE_PGM_RSRC3_GFX90A:TG_SPLIT: 0
	.section	.text._ZN7rocprim17ROCPRIM_400000_NS6detail17trampoline_kernelINS0_14default_configENS1_25partition_config_selectorILNS1_17partition_subalgoE9EllbEEZZNS1_14partition_implILS5_9ELb0ES3_jPlS8_PNS0_10empty_typeENS0_5tupleIJS8_S9_EEENSB_IJS8_SA_EEENS0_18inequality_wrapperIZN2at6native12_GLOBAL__N_124unique_dim_cuda_templateIiEESt5tupleIJNSF_6TensorESK_SK_EERKSK_lbbbEUlllE0_EEPmJS9_EEE10hipError_tPvRmT3_T4_T5_T6_T7_T9_mT8_P12ihipStream_tbDpT10_ENKUlT_T0_E_clISt17integral_constantIbLb0EES19_IbLb1EEEEDaS15_S16_EUlS15_E_NS1_11comp_targetILNS1_3genE3ELNS1_11target_archE908ELNS1_3gpuE7ELNS1_3repE0EEENS1_30default_config_static_selectorELNS0_4arch9wavefront6targetE1EEEvT1_,"axG",@progbits,_ZN7rocprim17ROCPRIM_400000_NS6detail17trampoline_kernelINS0_14default_configENS1_25partition_config_selectorILNS1_17partition_subalgoE9EllbEEZZNS1_14partition_implILS5_9ELb0ES3_jPlS8_PNS0_10empty_typeENS0_5tupleIJS8_S9_EEENSB_IJS8_SA_EEENS0_18inequality_wrapperIZN2at6native12_GLOBAL__N_124unique_dim_cuda_templateIiEESt5tupleIJNSF_6TensorESK_SK_EERKSK_lbbbEUlllE0_EEPmJS9_EEE10hipError_tPvRmT3_T4_T5_T6_T7_T9_mT8_P12ihipStream_tbDpT10_ENKUlT_T0_E_clISt17integral_constantIbLb0EES19_IbLb1EEEEDaS15_S16_EUlS15_E_NS1_11comp_targetILNS1_3genE3ELNS1_11target_archE908ELNS1_3gpuE7ELNS1_3repE0EEENS1_30default_config_static_selectorELNS0_4arch9wavefront6targetE1EEEvT1_,comdat
	.globl	_ZN7rocprim17ROCPRIM_400000_NS6detail17trampoline_kernelINS0_14default_configENS1_25partition_config_selectorILNS1_17partition_subalgoE9EllbEEZZNS1_14partition_implILS5_9ELb0ES3_jPlS8_PNS0_10empty_typeENS0_5tupleIJS8_S9_EEENSB_IJS8_SA_EEENS0_18inequality_wrapperIZN2at6native12_GLOBAL__N_124unique_dim_cuda_templateIiEESt5tupleIJNSF_6TensorESK_SK_EERKSK_lbbbEUlllE0_EEPmJS9_EEE10hipError_tPvRmT3_T4_T5_T6_T7_T9_mT8_P12ihipStream_tbDpT10_ENKUlT_T0_E_clISt17integral_constantIbLb0EES19_IbLb1EEEEDaS15_S16_EUlS15_E_NS1_11comp_targetILNS1_3genE3ELNS1_11target_archE908ELNS1_3gpuE7ELNS1_3repE0EEENS1_30default_config_static_selectorELNS0_4arch9wavefront6targetE1EEEvT1_ ; -- Begin function _ZN7rocprim17ROCPRIM_400000_NS6detail17trampoline_kernelINS0_14default_configENS1_25partition_config_selectorILNS1_17partition_subalgoE9EllbEEZZNS1_14partition_implILS5_9ELb0ES3_jPlS8_PNS0_10empty_typeENS0_5tupleIJS8_S9_EEENSB_IJS8_SA_EEENS0_18inequality_wrapperIZN2at6native12_GLOBAL__N_124unique_dim_cuda_templateIiEESt5tupleIJNSF_6TensorESK_SK_EERKSK_lbbbEUlllE0_EEPmJS9_EEE10hipError_tPvRmT3_T4_T5_T6_T7_T9_mT8_P12ihipStream_tbDpT10_ENKUlT_T0_E_clISt17integral_constantIbLb0EES19_IbLb1EEEEDaS15_S16_EUlS15_E_NS1_11comp_targetILNS1_3genE3ELNS1_11target_archE908ELNS1_3gpuE7ELNS1_3repE0EEENS1_30default_config_static_selectorELNS0_4arch9wavefront6targetE1EEEvT1_
	.p2align	8
	.type	_ZN7rocprim17ROCPRIM_400000_NS6detail17trampoline_kernelINS0_14default_configENS1_25partition_config_selectorILNS1_17partition_subalgoE9EllbEEZZNS1_14partition_implILS5_9ELb0ES3_jPlS8_PNS0_10empty_typeENS0_5tupleIJS8_S9_EEENSB_IJS8_SA_EEENS0_18inequality_wrapperIZN2at6native12_GLOBAL__N_124unique_dim_cuda_templateIiEESt5tupleIJNSF_6TensorESK_SK_EERKSK_lbbbEUlllE0_EEPmJS9_EEE10hipError_tPvRmT3_T4_T5_T6_T7_T9_mT8_P12ihipStream_tbDpT10_ENKUlT_T0_E_clISt17integral_constantIbLb0EES19_IbLb1EEEEDaS15_S16_EUlS15_E_NS1_11comp_targetILNS1_3genE3ELNS1_11target_archE908ELNS1_3gpuE7ELNS1_3repE0EEENS1_30default_config_static_selectorELNS0_4arch9wavefront6targetE1EEEvT1_,@function
_ZN7rocprim17ROCPRIM_400000_NS6detail17trampoline_kernelINS0_14default_configENS1_25partition_config_selectorILNS1_17partition_subalgoE9EllbEEZZNS1_14partition_implILS5_9ELb0ES3_jPlS8_PNS0_10empty_typeENS0_5tupleIJS8_S9_EEENSB_IJS8_SA_EEENS0_18inequality_wrapperIZN2at6native12_GLOBAL__N_124unique_dim_cuda_templateIiEESt5tupleIJNSF_6TensorESK_SK_EERKSK_lbbbEUlllE0_EEPmJS9_EEE10hipError_tPvRmT3_T4_T5_T6_T7_T9_mT8_P12ihipStream_tbDpT10_ENKUlT_T0_E_clISt17integral_constantIbLb0EES19_IbLb1EEEEDaS15_S16_EUlS15_E_NS1_11comp_targetILNS1_3genE3ELNS1_11target_archE908ELNS1_3gpuE7ELNS1_3repE0EEENS1_30default_config_static_selectorELNS0_4arch9wavefront6targetE1EEEvT1_: ; @_ZN7rocprim17ROCPRIM_400000_NS6detail17trampoline_kernelINS0_14default_configENS1_25partition_config_selectorILNS1_17partition_subalgoE9EllbEEZZNS1_14partition_implILS5_9ELb0ES3_jPlS8_PNS0_10empty_typeENS0_5tupleIJS8_S9_EEENSB_IJS8_SA_EEENS0_18inequality_wrapperIZN2at6native12_GLOBAL__N_124unique_dim_cuda_templateIiEESt5tupleIJNSF_6TensorESK_SK_EERKSK_lbbbEUlllE0_EEPmJS9_EEE10hipError_tPvRmT3_T4_T5_T6_T7_T9_mT8_P12ihipStream_tbDpT10_ENKUlT_T0_E_clISt17integral_constantIbLb0EES19_IbLb1EEEEDaS15_S16_EUlS15_E_NS1_11comp_targetILNS1_3genE3ELNS1_11target_archE908ELNS1_3gpuE7ELNS1_3repE0EEENS1_30default_config_static_selectorELNS0_4arch9wavefront6targetE1EEEvT1_
; %bb.0:
	.section	.rodata,"a",@progbits
	.p2align	6, 0x0
	.amdhsa_kernel _ZN7rocprim17ROCPRIM_400000_NS6detail17trampoline_kernelINS0_14default_configENS1_25partition_config_selectorILNS1_17partition_subalgoE9EllbEEZZNS1_14partition_implILS5_9ELb0ES3_jPlS8_PNS0_10empty_typeENS0_5tupleIJS8_S9_EEENSB_IJS8_SA_EEENS0_18inequality_wrapperIZN2at6native12_GLOBAL__N_124unique_dim_cuda_templateIiEESt5tupleIJNSF_6TensorESK_SK_EERKSK_lbbbEUlllE0_EEPmJS9_EEE10hipError_tPvRmT3_T4_T5_T6_T7_T9_mT8_P12ihipStream_tbDpT10_ENKUlT_T0_E_clISt17integral_constantIbLb0EES19_IbLb1EEEEDaS15_S16_EUlS15_E_NS1_11comp_targetILNS1_3genE3ELNS1_11target_archE908ELNS1_3gpuE7ELNS1_3repE0EEENS1_30default_config_static_selectorELNS0_4arch9wavefront6targetE1EEEvT1_
		.amdhsa_group_segment_fixed_size 0
		.amdhsa_private_segment_fixed_size 0
		.amdhsa_kernarg_size 136
		.amdhsa_user_sgpr_count 2
		.amdhsa_user_sgpr_dispatch_ptr 0
		.amdhsa_user_sgpr_queue_ptr 0
		.amdhsa_user_sgpr_kernarg_segment_ptr 1
		.amdhsa_user_sgpr_dispatch_id 0
		.amdhsa_user_sgpr_kernarg_preload_length 0
		.amdhsa_user_sgpr_kernarg_preload_offset 0
		.amdhsa_user_sgpr_private_segment_size 0
		.amdhsa_uses_dynamic_stack 0
		.amdhsa_enable_private_segment 0
		.amdhsa_system_sgpr_workgroup_id_x 1
		.amdhsa_system_sgpr_workgroup_id_y 0
		.amdhsa_system_sgpr_workgroup_id_z 0
		.amdhsa_system_sgpr_workgroup_info 0
		.amdhsa_system_vgpr_workitem_id 0
		.amdhsa_next_free_vgpr 1
		.amdhsa_next_free_sgpr 0
		.amdhsa_accum_offset 4
		.amdhsa_reserve_vcc 0
		.amdhsa_float_round_mode_32 0
		.amdhsa_float_round_mode_16_64 0
		.amdhsa_float_denorm_mode_32 3
		.amdhsa_float_denorm_mode_16_64 3
		.amdhsa_dx10_clamp 1
		.amdhsa_ieee_mode 1
		.amdhsa_fp16_overflow 0
		.amdhsa_tg_split 0
		.amdhsa_exception_fp_ieee_invalid_op 0
		.amdhsa_exception_fp_denorm_src 0
		.amdhsa_exception_fp_ieee_div_zero 0
		.amdhsa_exception_fp_ieee_overflow 0
		.amdhsa_exception_fp_ieee_underflow 0
		.amdhsa_exception_fp_ieee_inexact 0
		.amdhsa_exception_int_div_zero 0
	.end_amdhsa_kernel
	.section	.text._ZN7rocprim17ROCPRIM_400000_NS6detail17trampoline_kernelINS0_14default_configENS1_25partition_config_selectorILNS1_17partition_subalgoE9EllbEEZZNS1_14partition_implILS5_9ELb0ES3_jPlS8_PNS0_10empty_typeENS0_5tupleIJS8_S9_EEENSB_IJS8_SA_EEENS0_18inequality_wrapperIZN2at6native12_GLOBAL__N_124unique_dim_cuda_templateIiEESt5tupleIJNSF_6TensorESK_SK_EERKSK_lbbbEUlllE0_EEPmJS9_EEE10hipError_tPvRmT3_T4_T5_T6_T7_T9_mT8_P12ihipStream_tbDpT10_ENKUlT_T0_E_clISt17integral_constantIbLb0EES19_IbLb1EEEEDaS15_S16_EUlS15_E_NS1_11comp_targetILNS1_3genE3ELNS1_11target_archE908ELNS1_3gpuE7ELNS1_3repE0EEENS1_30default_config_static_selectorELNS0_4arch9wavefront6targetE1EEEvT1_,"axG",@progbits,_ZN7rocprim17ROCPRIM_400000_NS6detail17trampoline_kernelINS0_14default_configENS1_25partition_config_selectorILNS1_17partition_subalgoE9EllbEEZZNS1_14partition_implILS5_9ELb0ES3_jPlS8_PNS0_10empty_typeENS0_5tupleIJS8_S9_EEENSB_IJS8_SA_EEENS0_18inequality_wrapperIZN2at6native12_GLOBAL__N_124unique_dim_cuda_templateIiEESt5tupleIJNSF_6TensorESK_SK_EERKSK_lbbbEUlllE0_EEPmJS9_EEE10hipError_tPvRmT3_T4_T5_T6_T7_T9_mT8_P12ihipStream_tbDpT10_ENKUlT_T0_E_clISt17integral_constantIbLb0EES19_IbLb1EEEEDaS15_S16_EUlS15_E_NS1_11comp_targetILNS1_3genE3ELNS1_11target_archE908ELNS1_3gpuE7ELNS1_3repE0EEENS1_30default_config_static_selectorELNS0_4arch9wavefront6targetE1EEEvT1_,comdat
.Lfunc_end500:
	.size	_ZN7rocprim17ROCPRIM_400000_NS6detail17trampoline_kernelINS0_14default_configENS1_25partition_config_selectorILNS1_17partition_subalgoE9EllbEEZZNS1_14partition_implILS5_9ELb0ES3_jPlS8_PNS0_10empty_typeENS0_5tupleIJS8_S9_EEENSB_IJS8_SA_EEENS0_18inequality_wrapperIZN2at6native12_GLOBAL__N_124unique_dim_cuda_templateIiEESt5tupleIJNSF_6TensorESK_SK_EERKSK_lbbbEUlllE0_EEPmJS9_EEE10hipError_tPvRmT3_T4_T5_T6_T7_T9_mT8_P12ihipStream_tbDpT10_ENKUlT_T0_E_clISt17integral_constantIbLb0EES19_IbLb1EEEEDaS15_S16_EUlS15_E_NS1_11comp_targetILNS1_3genE3ELNS1_11target_archE908ELNS1_3gpuE7ELNS1_3repE0EEENS1_30default_config_static_selectorELNS0_4arch9wavefront6targetE1EEEvT1_, .Lfunc_end500-_ZN7rocprim17ROCPRIM_400000_NS6detail17trampoline_kernelINS0_14default_configENS1_25partition_config_selectorILNS1_17partition_subalgoE9EllbEEZZNS1_14partition_implILS5_9ELb0ES3_jPlS8_PNS0_10empty_typeENS0_5tupleIJS8_S9_EEENSB_IJS8_SA_EEENS0_18inequality_wrapperIZN2at6native12_GLOBAL__N_124unique_dim_cuda_templateIiEESt5tupleIJNSF_6TensorESK_SK_EERKSK_lbbbEUlllE0_EEPmJS9_EEE10hipError_tPvRmT3_T4_T5_T6_T7_T9_mT8_P12ihipStream_tbDpT10_ENKUlT_T0_E_clISt17integral_constantIbLb0EES19_IbLb1EEEEDaS15_S16_EUlS15_E_NS1_11comp_targetILNS1_3genE3ELNS1_11target_archE908ELNS1_3gpuE7ELNS1_3repE0EEENS1_30default_config_static_selectorELNS0_4arch9wavefront6targetE1EEEvT1_
                                        ; -- End function
	.set _ZN7rocprim17ROCPRIM_400000_NS6detail17trampoline_kernelINS0_14default_configENS1_25partition_config_selectorILNS1_17partition_subalgoE9EllbEEZZNS1_14partition_implILS5_9ELb0ES3_jPlS8_PNS0_10empty_typeENS0_5tupleIJS8_S9_EEENSB_IJS8_SA_EEENS0_18inequality_wrapperIZN2at6native12_GLOBAL__N_124unique_dim_cuda_templateIiEESt5tupleIJNSF_6TensorESK_SK_EERKSK_lbbbEUlllE0_EEPmJS9_EEE10hipError_tPvRmT3_T4_T5_T6_T7_T9_mT8_P12ihipStream_tbDpT10_ENKUlT_T0_E_clISt17integral_constantIbLb0EES19_IbLb1EEEEDaS15_S16_EUlS15_E_NS1_11comp_targetILNS1_3genE3ELNS1_11target_archE908ELNS1_3gpuE7ELNS1_3repE0EEENS1_30default_config_static_selectorELNS0_4arch9wavefront6targetE1EEEvT1_.num_vgpr, 0
	.set _ZN7rocprim17ROCPRIM_400000_NS6detail17trampoline_kernelINS0_14default_configENS1_25partition_config_selectorILNS1_17partition_subalgoE9EllbEEZZNS1_14partition_implILS5_9ELb0ES3_jPlS8_PNS0_10empty_typeENS0_5tupleIJS8_S9_EEENSB_IJS8_SA_EEENS0_18inequality_wrapperIZN2at6native12_GLOBAL__N_124unique_dim_cuda_templateIiEESt5tupleIJNSF_6TensorESK_SK_EERKSK_lbbbEUlllE0_EEPmJS9_EEE10hipError_tPvRmT3_T4_T5_T6_T7_T9_mT8_P12ihipStream_tbDpT10_ENKUlT_T0_E_clISt17integral_constantIbLb0EES19_IbLb1EEEEDaS15_S16_EUlS15_E_NS1_11comp_targetILNS1_3genE3ELNS1_11target_archE908ELNS1_3gpuE7ELNS1_3repE0EEENS1_30default_config_static_selectorELNS0_4arch9wavefront6targetE1EEEvT1_.num_agpr, 0
	.set _ZN7rocprim17ROCPRIM_400000_NS6detail17trampoline_kernelINS0_14default_configENS1_25partition_config_selectorILNS1_17partition_subalgoE9EllbEEZZNS1_14partition_implILS5_9ELb0ES3_jPlS8_PNS0_10empty_typeENS0_5tupleIJS8_S9_EEENSB_IJS8_SA_EEENS0_18inequality_wrapperIZN2at6native12_GLOBAL__N_124unique_dim_cuda_templateIiEESt5tupleIJNSF_6TensorESK_SK_EERKSK_lbbbEUlllE0_EEPmJS9_EEE10hipError_tPvRmT3_T4_T5_T6_T7_T9_mT8_P12ihipStream_tbDpT10_ENKUlT_T0_E_clISt17integral_constantIbLb0EES19_IbLb1EEEEDaS15_S16_EUlS15_E_NS1_11comp_targetILNS1_3genE3ELNS1_11target_archE908ELNS1_3gpuE7ELNS1_3repE0EEENS1_30default_config_static_selectorELNS0_4arch9wavefront6targetE1EEEvT1_.numbered_sgpr, 0
	.set _ZN7rocprim17ROCPRIM_400000_NS6detail17trampoline_kernelINS0_14default_configENS1_25partition_config_selectorILNS1_17partition_subalgoE9EllbEEZZNS1_14partition_implILS5_9ELb0ES3_jPlS8_PNS0_10empty_typeENS0_5tupleIJS8_S9_EEENSB_IJS8_SA_EEENS0_18inequality_wrapperIZN2at6native12_GLOBAL__N_124unique_dim_cuda_templateIiEESt5tupleIJNSF_6TensorESK_SK_EERKSK_lbbbEUlllE0_EEPmJS9_EEE10hipError_tPvRmT3_T4_T5_T6_T7_T9_mT8_P12ihipStream_tbDpT10_ENKUlT_T0_E_clISt17integral_constantIbLb0EES19_IbLb1EEEEDaS15_S16_EUlS15_E_NS1_11comp_targetILNS1_3genE3ELNS1_11target_archE908ELNS1_3gpuE7ELNS1_3repE0EEENS1_30default_config_static_selectorELNS0_4arch9wavefront6targetE1EEEvT1_.num_named_barrier, 0
	.set _ZN7rocprim17ROCPRIM_400000_NS6detail17trampoline_kernelINS0_14default_configENS1_25partition_config_selectorILNS1_17partition_subalgoE9EllbEEZZNS1_14partition_implILS5_9ELb0ES3_jPlS8_PNS0_10empty_typeENS0_5tupleIJS8_S9_EEENSB_IJS8_SA_EEENS0_18inequality_wrapperIZN2at6native12_GLOBAL__N_124unique_dim_cuda_templateIiEESt5tupleIJNSF_6TensorESK_SK_EERKSK_lbbbEUlllE0_EEPmJS9_EEE10hipError_tPvRmT3_T4_T5_T6_T7_T9_mT8_P12ihipStream_tbDpT10_ENKUlT_T0_E_clISt17integral_constantIbLb0EES19_IbLb1EEEEDaS15_S16_EUlS15_E_NS1_11comp_targetILNS1_3genE3ELNS1_11target_archE908ELNS1_3gpuE7ELNS1_3repE0EEENS1_30default_config_static_selectorELNS0_4arch9wavefront6targetE1EEEvT1_.private_seg_size, 0
	.set _ZN7rocprim17ROCPRIM_400000_NS6detail17trampoline_kernelINS0_14default_configENS1_25partition_config_selectorILNS1_17partition_subalgoE9EllbEEZZNS1_14partition_implILS5_9ELb0ES3_jPlS8_PNS0_10empty_typeENS0_5tupleIJS8_S9_EEENSB_IJS8_SA_EEENS0_18inequality_wrapperIZN2at6native12_GLOBAL__N_124unique_dim_cuda_templateIiEESt5tupleIJNSF_6TensorESK_SK_EERKSK_lbbbEUlllE0_EEPmJS9_EEE10hipError_tPvRmT3_T4_T5_T6_T7_T9_mT8_P12ihipStream_tbDpT10_ENKUlT_T0_E_clISt17integral_constantIbLb0EES19_IbLb1EEEEDaS15_S16_EUlS15_E_NS1_11comp_targetILNS1_3genE3ELNS1_11target_archE908ELNS1_3gpuE7ELNS1_3repE0EEENS1_30default_config_static_selectorELNS0_4arch9wavefront6targetE1EEEvT1_.uses_vcc, 0
	.set _ZN7rocprim17ROCPRIM_400000_NS6detail17trampoline_kernelINS0_14default_configENS1_25partition_config_selectorILNS1_17partition_subalgoE9EllbEEZZNS1_14partition_implILS5_9ELb0ES3_jPlS8_PNS0_10empty_typeENS0_5tupleIJS8_S9_EEENSB_IJS8_SA_EEENS0_18inequality_wrapperIZN2at6native12_GLOBAL__N_124unique_dim_cuda_templateIiEESt5tupleIJNSF_6TensorESK_SK_EERKSK_lbbbEUlllE0_EEPmJS9_EEE10hipError_tPvRmT3_T4_T5_T6_T7_T9_mT8_P12ihipStream_tbDpT10_ENKUlT_T0_E_clISt17integral_constantIbLb0EES19_IbLb1EEEEDaS15_S16_EUlS15_E_NS1_11comp_targetILNS1_3genE3ELNS1_11target_archE908ELNS1_3gpuE7ELNS1_3repE0EEENS1_30default_config_static_selectorELNS0_4arch9wavefront6targetE1EEEvT1_.uses_flat_scratch, 0
	.set _ZN7rocprim17ROCPRIM_400000_NS6detail17trampoline_kernelINS0_14default_configENS1_25partition_config_selectorILNS1_17partition_subalgoE9EllbEEZZNS1_14partition_implILS5_9ELb0ES3_jPlS8_PNS0_10empty_typeENS0_5tupleIJS8_S9_EEENSB_IJS8_SA_EEENS0_18inequality_wrapperIZN2at6native12_GLOBAL__N_124unique_dim_cuda_templateIiEESt5tupleIJNSF_6TensorESK_SK_EERKSK_lbbbEUlllE0_EEPmJS9_EEE10hipError_tPvRmT3_T4_T5_T6_T7_T9_mT8_P12ihipStream_tbDpT10_ENKUlT_T0_E_clISt17integral_constantIbLb0EES19_IbLb1EEEEDaS15_S16_EUlS15_E_NS1_11comp_targetILNS1_3genE3ELNS1_11target_archE908ELNS1_3gpuE7ELNS1_3repE0EEENS1_30default_config_static_selectorELNS0_4arch9wavefront6targetE1EEEvT1_.has_dyn_sized_stack, 0
	.set _ZN7rocprim17ROCPRIM_400000_NS6detail17trampoline_kernelINS0_14default_configENS1_25partition_config_selectorILNS1_17partition_subalgoE9EllbEEZZNS1_14partition_implILS5_9ELb0ES3_jPlS8_PNS0_10empty_typeENS0_5tupleIJS8_S9_EEENSB_IJS8_SA_EEENS0_18inequality_wrapperIZN2at6native12_GLOBAL__N_124unique_dim_cuda_templateIiEESt5tupleIJNSF_6TensorESK_SK_EERKSK_lbbbEUlllE0_EEPmJS9_EEE10hipError_tPvRmT3_T4_T5_T6_T7_T9_mT8_P12ihipStream_tbDpT10_ENKUlT_T0_E_clISt17integral_constantIbLb0EES19_IbLb1EEEEDaS15_S16_EUlS15_E_NS1_11comp_targetILNS1_3genE3ELNS1_11target_archE908ELNS1_3gpuE7ELNS1_3repE0EEENS1_30default_config_static_selectorELNS0_4arch9wavefront6targetE1EEEvT1_.has_recursion, 0
	.set _ZN7rocprim17ROCPRIM_400000_NS6detail17trampoline_kernelINS0_14default_configENS1_25partition_config_selectorILNS1_17partition_subalgoE9EllbEEZZNS1_14partition_implILS5_9ELb0ES3_jPlS8_PNS0_10empty_typeENS0_5tupleIJS8_S9_EEENSB_IJS8_SA_EEENS0_18inequality_wrapperIZN2at6native12_GLOBAL__N_124unique_dim_cuda_templateIiEESt5tupleIJNSF_6TensorESK_SK_EERKSK_lbbbEUlllE0_EEPmJS9_EEE10hipError_tPvRmT3_T4_T5_T6_T7_T9_mT8_P12ihipStream_tbDpT10_ENKUlT_T0_E_clISt17integral_constantIbLb0EES19_IbLb1EEEEDaS15_S16_EUlS15_E_NS1_11comp_targetILNS1_3genE3ELNS1_11target_archE908ELNS1_3gpuE7ELNS1_3repE0EEENS1_30default_config_static_selectorELNS0_4arch9wavefront6targetE1EEEvT1_.has_indirect_call, 0
	.section	.AMDGPU.csdata,"",@progbits
; Kernel info:
; codeLenInByte = 0
; TotalNumSgprs: 6
; NumVgprs: 0
; NumAgprs: 0
; TotalNumVgprs: 0
; ScratchSize: 0
; MemoryBound: 0
; FloatMode: 240
; IeeeMode: 1
; LDSByteSize: 0 bytes/workgroup (compile time only)
; SGPRBlocks: 0
; VGPRBlocks: 0
; NumSGPRsForWavesPerEU: 6
; NumVGPRsForWavesPerEU: 1
; AccumOffset: 4
; Occupancy: 8
; WaveLimiterHint : 0
; COMPUTE_PGM_RSRC2:SCRATCH_EN: 0
; COMPUTE_PGM_RSRC2:USER_SGPR: 2
; COMPUTE_PGM_RSRC2:TRAP_HANDLER: 0
; COMPUTE_PGM_RSRC2:TGID_X_EN: 1
; COMPUTE_PGM_RSRC2:TGID_Y_EN: 0
; COMPUTE_PGM_RSRC2:TGID_Z_EN: 0
; COMPUTE_PGM_RSRC2:TIDIG_COMP_CNT: 0
; COMPUTE_PGM_RSRC3_GFX90A:ACCUM_OFFSET: 0
; COMPUTE_PGM_RSRC3_GFX90A:TG_SPLIT: 0
	.section	.text._ZN7rocprim17ROCPRIM_400000_NS6detail17trampoline_kernelINS0_14default_configENS1_25partition_config_selectorILNS1_17partition_subalgoE9EllbEEZZNS1_14partition_implILS5_9ELb0ES3_jPlS8_PNS0_10empty_typeENS0_5tupleIJS8_S9_EEENSB_IJS8_SA_EEENS0_18inequality_wrapperIZN2at6native12_GLOBAL__N_124unique_dim_cuda_templateIiEESt5tupleIJNSF_6TensorESK_SK_EERKSK_lbbbEUlllE0_EEPmJS9_EEE10hipError_tPvRmT3_T4_T5_T6_T7_T9_mT8_P12ihipStream_tbDpT10_ENKUlT_T0_E_clISt17integral_constantIbLb0EES19_IbLb1EEEEDaS15_S16_EUlS15_E_NS1_11comp_targetILNS1_3genE2ELNS1_11target_archE906ELNS1_3gpuE6ELNS1_3repE0EEENS1_30default_config_static_selectorELNS0_4arch9wavefront6targetE1EEEvT1_,"axG",@progbits,_ZN7rocprim17ROCPRIM_400000_NS6detail17trampoline_kernelINS0_14default_configENS1_25partition_config_selectorILNS1_17partition_subalgoE9EllbEEZZNS1_14partition_implILS5_9ELb0ES3_jPlS8_PNS0_10empty_typeENS0_5tupleIJS8_S9_EEENSB_IJS8_SA_EEENS0_18inequality_wrapperIZN2at6native12_GLOBAL__N_124unique_dim_cuda_templateIiEESt5tupleIJNSF_6TensorESK_SK_EERKSK_lbbbEUlllE0_EEPmJS9_EEE10hipError_tPvRmT3_T4_T5_T6_T7_T9_mT8_P12ihipStream_tbDpT10_ENKUlT_T0_E_clISt17integral_constantIbLb0EES19_IbLb1EEEEDaS15_S16_EUlS15_E_NS1_11comp_targetILNS1_3genE2ELNS1_11target_archE906ELNS1_3gpuE6ELNS1_3repE0EEENS1_30default_config_static_selectorELNS0_4arch9wavefront6targetE1EEEvT1_,comdat
	.globl	_ZN7rocprim17ROCPRIM_400000_NS6detail17trampoline_kernelINS0_14default_configENS1_25partition_config_selectorILNS1_17partition_subalgoE9EllbEEZZNS1_14partition_implILS5_9ELb0ES3_jPlS8_PNS0_10empty_typeENS0_5tupleIJS8_S9_EEENSB_IJS8_SA_EEENS0_18inequality_wrapperIZN2at6native12_GLOBAL__N_124unique_dim_cuda_templateIiEESt5tupleIJNSF_6TensorESK_SK_EERKSK_lbbbEUlllE0_EEPmJS9_EEE10hipError_tPvRmT3_T4_T5_T6_T7_T9_mT8_P12ihipStream_tbDpT10_ENKUlT_T0_E_clISt17integral_constantIbLb0EES19_IbLb1EEEEDaS15_S16_EUlS15_E_NS1_11comp_targetILNS1_3genE2ELNS1_11target_archE906ELNS1_3gpuE6ELNS1_3repE0EEENS1_30default_config_static_selectorELNS0_4arch9wavefront6targetE1EEEvT1_ ; -- Begin function _ZN7rocprim17ROCPRIM_400000_NS6detail17trampoline_kernelINS0_14default_configENS1_25partition_config_selectorILNS1_17partition_subalgoE9EllbEEZZNS1_14partition_implILS5_9ELb0ES3_jPlS8_PNS0_10empty_typeENS0_5tupleIJS8_S9_EEENSB_IJS8_SA_EEENS0_18inequality_wrapperIZN2at6native12_GLOBAL__N_124unique_dim_cuda_templateIiEESt5tupleIJNSF_6TensorESK_SK_EERKSK_lbbbEUlllE0_EEPmJS9_EEE10hipError_tPvRmT3_T4_T5_T6_T7_T9_mT8_P12ihipStream_tbDpT10_ENKUlT_T0_E_clISt17integral_constantIbLb0EES19_IbLb1EEEEDaS15_S16_EUlS15_E_NS1_11comp_targetILNS1_3genE2ELNS1_11target_archE906ELNS1_3gpuE6ELNS1_3repE0EEENS1_30default_config_static_selectorELNS0_4arch9wavefront6targetE1EEEvT1_
	.p2align	8
	.type	_ZN7rocprim17ROCPRIM_400000_NS6detail17trampoline_kernelINS0_14default_configENS1_25partition_config_selectorILNS1_17partition_subalgoE9EllbEEZZNS1_14partition_implILS5_9ELb0ES3_jPlS8_PNS0_10empty_typeENS0_5tupleIJS8_S9_EEENSB_IJS8_SA_EEENS0_18inequality_wrapperIZN2at6native12_GLOBAL__N_124unique_dim_cuda_templateIiEESt5tupleIJNSF_6TensorESK_SK_EERKSK_lbbbEUlllE0_EEPmJS9_EEE10hipError_tPvRmT3_T4_T5_T6_T7_T9_mT8_P12ihipStream_tbDpT10_ENKUlT_T0_E_clISt17integral_constantIbLb0EES19_IbLb1EEEEDaS15_S16_EUlS15_E_NS1_11comp_targetILNS1_3genE2ELNS1_11target_archE906ELNS1_3gpuE6ELNS1_3repE0EEENS1_30default_config_static_selectorELNS0_4arch9wavefront6targetE1EEEvT1_,@function
_ZN7rocprim17ROCPRIM_400000_NS6detail17trampoline_kernelINS0_14default_configENS1_25partition_config_selectorILNS1_17partition_subalgoE9EllbEEZZNS1_14partition_implILS5_9ELb0ES3_jPlS8_PNS0_10empty_typeENS0_5tupleIJS8_S9_EEENSB_IJS8_SA_EEENS0_18inequality_wrapperIZN2at6native12_GLOBAL__N_124unique_dim_cuda_templateIiEESt5tupleIJNSF_6TensorESK_SK_EERKSK_lbbbEUlllE0_EEPmJS9_EEE10hipError_tPvRmT3_T4_T5_T6_T7_T9_mT8_P12ihipStream_tbDpT10_ENKUlT_T0_E_clISt17integral_constantIbLb0EES19_IbLb1EEEEDaS15_S16_EUlS15_E_NS1_11comp_targetILNS1_3genE2ELNS1_11target_archE906ELNS1_3gpuE6ELNS1_3repE0EEENS1_30default_config_static_selectorELNS0_4arch9wavefront6targetE1EEEvT1_: ; @_ZN7rocprim17ROCPRIM_400000_NS6detail17trampoline_kernelINS0_14default_configENS1_25partition_config_selectorILNS1_17partition_subalgoE9EllbEEZZNS1_14partition_implILS5_9ELb0ES3_jPlS8_PNS0_10empty_typeENS0_5tupleIJS8_S9_EEENSB_IJS8_SA_EEENS0_18inequality_wrapperIZN2at6native12_GLOBAL__N_124unique_dim_cuda_templateIiEESt5tupleIJNSF_6TensorESK_SK_EERKSK_lbbbEUlllE0_EEPmJS9_EEE10hipError_tPvRmT3_T4_T5_T6_T7_T9_mT8_P12ihipStream_tbDpT10_ENKUlT_T0_E_clISt17integral_constantIbLb0EES19_IbLb1EEEEDaS15_S16_EUlS15_E_NS1_11comp_targetILNS1_3genE2ELNS1_11target_archE906ELNS1_3gpuE6ELNS1_3repE0EEENS1_30default_config_static_selectorELNS0_4arch9wavefront6targetE1EEEvT1_
; %bb.0:
	.section	.rodata,"a",@progbits
	.p2align	6, 0x0
	.amdhsa_kernel _ZN7rocprim17ROCPRIM_400000_NS6detail17trampoline_kernelINS0_14default_configENS1_25partition_config_selectorILNS1_17partition_subalgoE9EllbEEZZNS1_14partition_implILS5_9ELb0ES3_jPlS8_PNS0_10empty_typeENS0_5tupleIJS8_S9_EEENSB_IJS8_SA_EEENS0_18inequality_wrapperIZN2at6native12_GLOBAL__N_124unique_dim_cuda_templateIiEESt5tupleIJNSF_6TensorESK_SK_EERKSK_lbbbEUlllE0_EEPmJS9_EEE10hipError_tPvRmT3_T4_T5_T6_T7_T9_mT8_P12ihipStream_tbDpT10_ENKUlT_T0_E_clISt17integral_constantIbLb0EES19_IbLb1EEEEDaS15_S16_EUlS15_E_NS1_11comp_targetILNS1_3genE2ELNS1_11target_archE906ELNS1_3gpuE6ELNS1_3repE0EEENS1_30default_config_static_selectorELNS0_4arch9wavefront6targetE1EEEvT1_
		.amdhsa_group_segment_fixed_size 0
		.amdhsa_private_segment_fixed_size 0
		.amdhsa_kernarg_size 136
		.amdhsa_user_sgpr_count 2
		.amdhsa_user_sgpr_dispatch_ptr 0
		.amdhsa_user_sgpr_queue_ptr 0
		.amdhsa_user_sgpr_kernarg_segment_ptr 1
		.amdhsa_user_sgpr_dispatch_id 0
		.amdhsa_user_sgpr_kernarg_preload_length 0
		.amdhsa_user_sgpr_kernarg_preload_offset 0
		.amdhsa_user_sgpr_private_segment_size 0
		.amdhsa_uses_dynamic_stack 0
		.amdhsa_enable_private_segment 0
		.amdhsa_system_sgpr_workgroup_id_x 1
		.amdhsa_system_sgpr_workgroup_id_y 0
		.amdhsa_system_sgpr_workgroup_id_z 0
		.amdhsa_system_sgpr_workgroup_info 0
		.amdhsa_system_vgpr_workitem_id 0
		.amdhsa_next_free_vgpr 1
		.amdhsa_next_free_sgpr 0
		.amdhsa_accum_offset 4
		.amdhsa_reserve_vcc 0
		.amdhsa_float_round_mode_32 0
		.amdhsa_float_round_mode_16_64 0
		.amdhsa_float_denorm_mode_32 3
		.amdhsa_float_denorm_mode_16_64 3
		.amdhsa_dx10_clamp 1
		.amdhsa_ieee_mode 1
		.amdhsa_fp16_overflow 0
		.amdhsa_tg_split 0
		.amdhsa_exception_fp_ieee_invalid_op 0
		.amdhsa_exception_fp_denorm_src 0
		.amdhsa_exception_fp_ieee_div_zero 0
		.amdhsa_exception_fp_ieee_overflow 0
		.amdhsa_exception_fp_ieee_underflow 0
		.amdhsa_exception_fp_ieee_inexact 0
		.amdhsa_exception_int_div_zero 0
	.end_amdhsa_kernel
	.section	.text._ZN7rocprim17ROCPRIM_400000_NS6detail17trampoline_kernelINS0_14default_configENS1_25partition_config_selectorILNS1_17partition_subalgoE9EllbEEZZNS1_14partition_implILS5_9ELb0ES3_jPlS8_PNS0_10empty_typeENS0_5tupleIJS8_S9_EEENSB_IJS8_SA_EEENS0_18inequality_wrapperIZN2at6native12_GLOBAL__N_124unique_dim_cuda_templateIiEESt5tupleIJNSF_6TensorESK_SK_EERKSK_lbbbEUlllE0_EEPmJS9_EEE10hipError_tPvRmT3_T4_T5_T6_T7_T9_mT8_P12ihipStream_tbDpT10_ENKUlT_T0_E_clISt17integral_constantIbLb0EES19_IbLb1EEEEDaS15_S16_EUlS15_E_NS1_11comp_targetILNS1_3genE2ELNS1_11target_archE906ELNS1_3gpuE6ELNS1_3repE0EEENS1_30default_config_static_selectorELNS0_4arch9wavefront6targetE1EEEvT1_,"axG",@progbits,_ZN7rocprim17ROCPRIM_400000_NS6detail17trampoline_kernelINS0_14default_configENS1_25partition_config_selectorILNS1_17partition_subalgoE9EllbEEZZNS1_14partition_implILS5_9ELb0ES3_jPlS8_PNS0_10empty_typeENS0_5tupleIJS8_S9_EEENSB_IJS8_SA_EEENS0_18inequality_wrapperIZN2at6native12_GLOBAL__N_124unique_dim_cuda_templateIiEESt5tupleIJNSF_6TensorESK_SK_EERKSK_lbbbEUlllE0_EEPmJS9_EEE10hipError_tPvRmT3_T4_T5_T6_T7_T9_mT8_P12ihipStream_tbDpT10_ENKUlT_T0_E_clISt17integral_constantIbLb0EES19_IbLb1EEEEDaS15_S16_EUlS15_E_NS1_11comp_targetILNS1_3genE2ELNS1_11target_archE906ELNS1_3gpuE6ELNS1_3repE0EEENS1_30default_config_static_selectorELNS0_4arch9wavefront6targetE1EEEvT1_,comdat
.Lfunc_end501:
	.size	_ZN7rocprim17ROCPRIM_400000_NS6detail17trampoline_kernelINS0_14default_configENS1_25partition_config_selectorILNS1_17partition_subalgoE9EllbEEZZNS1_14partition_implILS5_9ELb0ES3_jPlS8_PNS0_10empty_typeENS0_5tupleIJS8_S9_EEENSB_IJS8_SA_EEENS0_18inequality_wrapperIZN2at6native12_GLOBAL__N_124unique_dim_cuda_templateIiEESt5tupleIJNSF_6TensorESK_SK_EERKSK_lbbbEUlllE0_EEPmJS9_EEE10hipError_tPvRmT3_T4_T5_T6_T7_T9_mT8_P12ihipStream_tbDpT10_ENKUlT_T0_E_clISt17integral_constantIbLb0EES19_IbLb1EEEEDaS15_S16_EUlS15_E_NS1_11comp_targetILNS1_3genE2ELNS1_11target_archE906ELNS1_3gpuE6ELNS1_3repE0EEENS1_30default_config_static_selectorELNS0_4arch9wavefront6targetE1EEEvT1_, .Lfunc_end501-_ZN7rocprim17ROCPRIM_400000_NS6detail17trampoline_kernelINS0_14default_configENS1_25partition_config_selectorILNS1_17partition_subalgoE9EllbEEZZNS1_14partition_implILS5_9ELb0ES3_jPlS8_PNS0_10empty_typeENS0_5tupleIJS8_S9_EEENSB_IJS8_SA_EEENS0_18inequality_wrapperIZN2at6native12_GLOBAL__N_124unique_dim_cuda_templateIiEESt5tupleIJNSF_6TensorESK_SK_EERKSK_lbbbEUlllE0_EEPmJS9_EEE10hipError_tPvRmT3_T4_T5_T6_T7_T9_mT8_P12ihipStream_tbDpT10_ENKUlT_T0_E_clISt17integral_constantIbLb0EES19_IbLb1EEEEDaS15_S16_EUlS15_E_NS1_11comp_targetILNS1_3genE2ELNS1_11target_archE906ELNS1_3gpuE6ELNS1_3repE0EEENS1_30default_config_static_selectorELNS0_4arch9wavefront6targetE1EEEvT1_
                                        ; -- End function
	.set _ZN7rocprim17ROCPRIM_400000_NS6detail17trampoline_kernelINS0_14default_configENS1_25partition_config_selectorILNS1_17partition_subalgoE9EllbEEZZNS1_14partition_implILS5_9ELb0ES3_jPlS8_PNS0_10empty_typeENS0_5tupleIJS8_S9_EEENSB_IJS8_SA_EEENS0_18inequality_wrapperIZN2at6native12_GLOBAL__N_124unique_dim_cuda_templateIiEESt5tupleIJNSF_6TensorESK_SK_EERKSK_lbbbEUlllE0_EEPmJS9_EEE10hipError_tPvRmT3_T4_T5_T6_T7_T9_mT8_P12ihipStream_tbDpT10_ENKUlT_T0_E_clISt17integral_constantIbLb0EES19_IbLb1EEEEDaS15_S16_EUlS15_E_NS1_11comp_targetILNS1_3genE2ELNS1_11target_archE906ELNS1_3gpuE6ELNS1_3repE0EEENS1_30default_config_static_selectorELNS0_4arch9wavefront6targetE1EEEvT1_.num_vgpr, 0
	.set _ZN7rocprim17ROCPRIM_400000_NS6detail17trampoline_kernelINS0_14default_configENS1_25partition_config_selectorILNS1_17partition_subalgoE9EllbEEZZNS1_14partition_implILS5_9ELb0ES3_jPlS8_PNS0_10empty_typeENS0_5tupleIJS8_S9_EEENSB_IJS8_SA_EEENS0_18inequality_wrapperIZN2at6native12_GLOBAL__N_124unique_dim_cuda_templateIiEESt5tupleIJNSF_6TensorESK_SK_EERKSK_lbbbEUlllE0_EEPmJS9_EEE10hipError_tPvRmT3_T4_T5_T6_T7_T9_mT8_P12ihipStream_tbDpT10_ENKUlT_T0_E_clISt17integral_constantIbLb0EES19_IbLb1EEEEDaS15_S16_EUlS15_E_NS1_11comp_targetILNS1_3genE2ELNS1_11target_archE906ELNS1_3gpuE6ELNS1_3repE0EEENS1_30default_config_static_selectorELNS0_4arch9wavefront6targetE1EEEvT1_.num_agpr, 0
	.set _ZN7rocprim17ROCPRIM_400000_NS6detail17trampoline_kernelINS0_14default_configENS1_25partition_config_selectorILNS1_17partition_subalgoE9EllbEEZZNS1_14partition_implILS5_9ELb0ES3_jPlS8_PNS0_10empty_typeENS0_5tupleIJS8_S9_EEENSB_IJS8_SA_EEENS0_18inequality_wrapperIZN2at6native12_GLOBAL__N_124unique_dim_cuda_templateIiEESt5tupleIJNSF_6TensorESK_SK_EERKSK_lbbbEUlllE0_EEPmJS9_EEE10hipError_tPvRmT3_T4_T5_T6_T7_T9_mT8_P12ihipStream_tbDpT10_ENKUlT_T0_E_clISt17integral_constantIbLb0EES19_IbLb1EEEEDaS15_S16_EUlS15_E_NS1_11comp_targetILNS1_3genE2ELNS1_11target_archE906ELNS1_3gpuE6ELNS1_3repE0EEENS1_30default_config_static_selectorELNS0_4arch9wavefront6targetE1EEEvT1_.numbered_sgpr, 0
	.set _ZN7rocprim17ROCPRIM_400000_NS6detail17trampoline_kernelINS0_14default_configENS1_25partition_config_selectorILNS1_17partition_subalgoE9EllbEEZZNS1_14partition_implILS5_9ELb0ES3_jPlS8_PNS0_10empty_typeENS0_5tupleIJS8_S9_EEENSB_IJS8_SA_EEENS0_18inequality_wrapperIZN2at6native12_GLOBAL__N_124unique_dim_cuda_templateIiEESt5tupleIJNSF_6TensorESK_SK_EERKSK_lbbbEUlllE0_EEPmJS9_EEE10hipError_tPvRmT3_T4_T5_T6_T7_T9_mT8_P12ihipStream_tbDpT10_ENKUlT_T0_E_clISt17integral_constantIbLb0EES19_IbLb1EEEEDaS15_S16_EUlS15_E_NS1_11comp_targetILNS1_3genE2ELNS1_11target_archE906ELNS1_3gpuE6ELNS1_3repE0EEENS1_30default_config_static_selectorELNS0_4arch9wavefront6targetE1EEEvT1_.num_named_barrier, 0
	.set _ZN7rocprim17ROCPRIM_400000_NS6detail17trampoline_kernelINS0_14default_configENS1_25partition_config_selectorILNS1_17partition_subalgoE9EllbEEZZNS1_14partition_implILS5_9ELb0ES3_jPlS8_PNS0_10empty_typeENS0_5tupleIJS8_S9_EEENSB_IJS8_SA_EEENS0_18inequality_wrapperIZN2at6native12_GLOBAL__N_124unique_dim_cuda_templateIiEESt5tupleIJNSF_6TensorESK_SK_EERKSK_lbbbEUlllE0_EEPmJS9_EEE10hipError_tPvRmT3_T4_T5_T6_T7_T9_mT8_P12ihipStream_tbDpT10_ENKUlT_T0_E_clISt17integral_constantIbLb0EES19_IbLb1EEEEDaS15_S16_EUlS15_E_NS1_11comp_targetILNS1_3genE2ELNS1_11target_archE906ELNS1_3gpuE6ELNS1_3repE0EEENS1_30default_config_static_selectorELNS0_4arch9wavefront6targetE1EEEvT1_.private_seg_size, 0
	.set _ZN7rocprim17ROCPRIM_400000_NS6detail17trampoline_kernelINS0_14default_configENS1_25partition_config_selectorILNS1_17partition_subalgoE9EllbEEZZNS1_14partition_implILS5_9ELb0ES3_jPlS8_PNS0_10empty_typeENS0_5tupleIJS8_S9_EEENSB_IJS8_SA_EEENS0_18inequality_wrapperIZN2at6native12_GLOBAL__N_124unique_dim_cuda_templateIiEESt5tupleIJNSF_6TensorESK_SK_EERKSK_lbbbEUlllE0_EEPmJS9_EEE10hipError_tPvRmT3_T4_T5_T6_T7_T9_mT8_P12ihipStream_tbDpT10_ENKUlT_T0_E_clISt17integral_constantIbLb0EES19_IbLb1EEEEDaS15_S16_EUlS15_E_NS1_11comp_targetILNS1_3genE2ELNS1_11target_archE906ELNS1_3gpuE6ELNS1_3repE0EEENS1_30default_config_static_selectorELNS0_4arch9wavefront6targetE1EEEvT1_.uses_vcc, 0
	.set _ZN7rocprim17ROCPRIM_400000_NS6detail17trampoline_kernelINS0_14default_configENS1_25partition_config_selectorILNS1_17partition_subalgoE9EllbEEZZNS1_14partition_implILS5_9ELb0ES3_jPlS8_PNS0_10empty_typeENS0_5tupleIJS8_S9_EEENSB_IJS8_SA_EEENS0_18inequality_wrapperIZN2at6native12_GLOBAL__N_124unique_dim_cuda_templateIiEESt5tupleIJNSF_6TensorESK_SK_EERKSK_lbbbEUlllE0_EEPmJS9_EEE10hipError_tPvRmT3_T4_T5_T6_T7_T9_mT8_P12ihipStream_tbDpT10_ENKUlT_T0_E_clISt17integral_constantIbLb0EES19_IbLb1EEEEDaS15_S16_EUlS15_E_NS1_11comp_targetILNS1_3genE2ELNS1_11target_archE906ELNS1_3gpuE6ELNS1_3repE0EEENS1_30default_config_static_selectorELNS0_4arch9wavefront6targetE1EEEvT1_.uses_flat_scratch, 0
	.set _ZN7rocprim17ROCPRIM_400000_NS6detail17trampoline_kernelINS0_14default_configENS1_25partition_config_selectorILNS1_17partition_subalgoE9EllbEEZZNS1_14partition_implILS5_9ELb0ES3_jPlS8_PNS0_10empty_typeENS0_5tupleIJS8_S9_EEENSB_IJS8_SA_EEENS0_18inequality_wrapperIZN2at6native12_GLOBAL__N_124unique_dim_cuda_templateIiEESt5tupleIJNSF_6TensorESK_SK_EERKSK_lbbbEUlllE0_EEPmJS9_EEE10hipError_tPvRmT3_T4_T5_T6_T7_T9_mT8_P12ihipStream_tbDpT10_ENKUlT_T0_E_clISt17integral_constantIbLb0EES19_IbLb1EEEEDaS15_S16_EUlS15_E_NS1_11comp_targetILNS1_3genE2ELNS1_11target_archE906ELNS1_3gpuE6ELNS1_3repE0EEENS1_30default_config_static_selectorELNS0_4arch9wavefront6targetE1EEEvT1_.has_dyn_sized_stack, 0
	.set _ZN7rocprim17ROCPRIM_400000_NS6detail17trampoline_kernelINS0_14default_configENS1_25partition_config_selectorILNS1_17partition_subalgoE9EllbEEZZNS1_14partition_implILS5_9ELb0ES3_jPlS8_PNS0_10empty_typeENS0_5tupleIJS8_S9_EEENSB_IJS8_SA_EEENS0_18inequality_wrapperIZN2at6native12_GLOBAL__N_124unique_dim_cuda_templateIiEESt5tupleIJNSF_6TensorESK_SK_EERKSK_lbbbEUlllE0_EEPmJS9_EEE10hipError_tPvRmT3_T4_T5_T6_T7_T9_mT8_P12ihipStream_tbDpT10_ENKUlT_T0_E_clISt17integral_constantIbLb0EES19_IbLb1EEEEDaS15_S16_EUlS15_E_NS1_11comp_targetILNS1_3genE2ELNS1_11target_archE906ELNS1_3gpuE6ELNS1_3repE0EEENS1_30default_config_static_selectorELNS0_4arch9wavefront6targetE1EEEvT1_.has_recursion, 0
	.set _ZN7rocprim17ROCPRIM_400000_NS6detail17trampoline_kernelINS0_14default_configENS1_25partition_config_selectorILNS1_17partition_subalgoE9EllbEEZZNS1_14partition_implILS5_9ELb0ES3_jPlS8_PNS0_10empty_typeENS0_5tupleIJS8_S9_EEENSB_IJS8_SA_EEENS0_18inequality_wrapperIZN2at6native12_GLOBAL__N_124unique_dim_cuda_templateIiEESt5tupleIJNSF_6TensorESK_SK_EERKSK_lbbbEUlllE0_EEPmJS9_EEE10hipError_tPvRmT3_T4_T5_T6_T7_T9_mT8_P12ihipStream_tbDpT10_ENKUlT_T0_E_clISt17integral_constantIbLb0EES19_IbLb1EEEEDaS15_S16_EUlS15_E_NS1_11comp_targetILNS1_3genE2ELNS1_11target_archE906ELNS1_3gpuE6ELNS1_3repE0EEENS1_30default_config_static_selectorELNS0_4arch9wavefront6targetE1EEEvT1_.has_indirect_call, 0
	.section	.AMDGPU.csdata,"",@progbits
; Kernel info:
; codeLenInByte = 0
; TotalNumSgprs: 6
; NumVgprs: 0
; NumAgprs: 0
; TotalNumVgprs: 0
; ScratchSize: 0
; MemoryBound: 0
; FloatMode: 240
; IeeeMode: 1
; LDSByteSize: 0 bytes/workgroup (compile time only)
; SGPRBlocks: 0
; VGPRBlocks: 0
; NumSGPRsForWavesPerEU: 6
; NumVGPRsForWavesPerEU: 1
; AccumOffset: 4
; Occupancy: 8
; WaveLimiterHint : 0
; COMPUTE_PGM_RSRC2:SCRATCH_EN: 0
; COMPUTE_PGM_RSRC2:USER_SGPR: 2
; COMPUTE_PGM_RSRC2:TRAP_HANDLER: 0
; COMPUTE_PGM_RSRC2:TGID_X_EN: 1
; COMPUTE_PGM_RSRC2:TGID_Y_EN: 0
; COMPUTE_PGM_RSRC2:TGID_Z_EN: 0
; COMPUTE_PGM_RSRC2:TIDIG_COMP_CNT: 0
; COMPUTE_PGM_RSRC3_GFX90A:ACCUM_OFFSET: 0
; COMPUTE_PGM_RSRC3_GFX90A:TG_SPLIT: 0
	.section	.text._ZN7rocprim17ROCPRIM_400000_NS6detail17trampoline_kernelINS0_14default_configENS1_25partition_config_selectorILNS1_17partition_subalgoE9EllbEEZZNS1_14partition_implILS5_9ELb0ES3_jPlS8_PNS0_10empty_typeENS0_5tupleIJS8_S9_EEENSB_IJS8_SA_EEENS0_18inequality_wrapperIZN2at6native12_GLOBAL__N_124unique_dim_cuda_templateIiEESt5tupleIJNSF_6TensorESK_SK_EERKSK_lbbbEUlllE0_EEPmJS9_EEE10hipError_tPvRmT3_T4_T5_T6_T7_T9_mT8_P12ihipStream_tbDpT10_ENKUlT_T0_E_clISt17integral_constantIbLb0EES19_IbLb1EEEEDaS15_S16_EUlS15_E_NS1_11comp_targetILNS1_3genE10ELNS1_11target_archE1200ELNS1_3gpuE4ELNS1_3repE0EEENS1_30default_config_static_selectorELNS0_4arch9wavefront6targetE1EEEvT1_,"axG",@progbits,_ZN7rocprim17ROCPRIM_400000_NS6detail17trampoline_kernelINS0_14default_configENS1_25partition_config_selectorILNS1_17partition_subalgoE9EllbEEZZNS1_14partition_implILS5_9ELb0ES3_jPlS8_PNS0_10empty_typeENS0_5tupleIJS8_S9_EEENSB_IJS8_SA_EEENS0_18inequality_wrapperIZN2at6native12_GLOBAL__N_124unique_dim_cuda_templateIiEESt5tupleIJNSF_6TensorESK_SK_EERKSK_lbbbEUlllE0_EEPmJS9_EEE10hipError_tPvRmT3_T4_T5_T6_T7_T9_mT8_P12ihipStream_tbDpT10_ENKUlT_T0_E_clISt17integral_constantIbLb0EES19_IbLb1EEEEDaS15_S16_EUlS15_E_NS1_11comp_targetILNS1_3genE10ELNS1_11target_archE1200ELNS1_3gpuE4ELNS1_3repE0EEENS1_30default_config_static_selectorELNS0_4arch9wavefront6targetE1EEEvT1_,comdat
	.globl	_ZN7rocprim17ROCPRIM_400000_NS6detail17trampoline_kernelINS0_14default_configENS1_25partition_config_selectorILNS1_17partition_subalgoE9EllbEEZZNS1_14partition_implILS5_9ELb0ES3_jPlS8_PNS0_10empty_typeENS0_5tupleIJS8_S9_EEENSB_IJS8_SA_EEENS0_18inequality_wrapperIZN2at6native12_GLOBAL__N_124unique_dim_cuda_templateIiEESt5tupleIJNSF_6TensorESK_SK_EERKSK_lbbbEUlllE0_EEPmJS9_EEE10hipError_tPvRmT3_T4_T5_T6_T7_T9_mT8_P12ihipStream_tbDpT10_ENKUlT_T0_E_clISt17integral_constantIbLb0EES19_IbLb1EEEEDaS15_S16_EUlS15_E_NS1_11comp_targetILNS1_3genE10ELNS1_11target_archE1200ELNS1_3gpuE4ELNS1_3repE0EEENS1_30default_config_static_selectorELNS0_4arch9wavefront6targetE1EEEvT1_ ; -- Begin function _ZN7rocprim17ROCPRIM_400000_NS6detail17trampoline_kernelINS0_14default_configENS1_25partition_config_selectorILNS1_17partition_subalgoE9EllbEEZZNS1_14partition_implILS5_9ELb0ES3_jPlS8_PNS0_10empty_typeENS0_5tupleIJS8_S9_EEENSB_IJS8_SA_EEENS0_18inequality_wrapperIZN2at6native12_GLOBAL__N_124unique_dim_cuda_templateIiEESt5tupleIJNSF_6TensorESK_SK_EERKSK_lbbbEUlllE0_EEPmJS9_EEE10hipError_tPvRmT3_T4_T5_T6_T7_T9_mT8_P12ihipStream_tbDpT10_ENKUlT_T0_E_clISt17integral_constantIbLb0EES19_IbLb1EEEEDaS15_S16_EUlS15_E_NS1_11comp_targetILNS1_3genE10ELNS1_11target_archE1200ELNS1_3gpuE4ELNS1_3repE0EEENS1_30default_config_static_selectorELNS0_4arch9wavefront6targetE1EEEvT1_
	.p2align	8
	.type	_ZN7rocprim17ROCPRIM_400000_NS6detail17trampoline_kernelINS0_14default_configENS1_25partition_config_selectorILNS1_17partition_subalgoE9EllbEEZZNS1_14partition_implILS5_9ELb0ES3_jPlS8_PNS0_10empty_typeENS0_5tupleIJS8_S9_EEENSB_IJS8_SA_EEENS0_18inequality_wrapperIZN2at6native12_GLOBAL__N_124unique_dim_cuda_templateIiEESt5tupleIJNSF_6TensorESK_SK_EERKSK_lbbbEUlllE0_EEPmJS9_EEE10hipError_tPvRmT3_T4_T5_T6_T7_T9_mT8_P12ihipStream_tbDpT10_ENKUlT_T0_E_clISt17integral_constantIbLb0EES19_IbLb1EEEEDaS15_S16_EUlS15_E_NS1_11comp_targetILNS1_3genE10ELNS1_11target_archE1200ELNS1_3gpuE4ELNS1_3repE0EEENS1_30default_config_static_selectorELNS0_4arch9wavefront6targetE1EEEvT1_,@function
_ZN7rocprim17ROCPRIM_400000_NS6detail17trampoline_kernelINS0_14default_configENS1_25partition_config_selectorILNS1_17partition_subalgoE9EllbEEZZNS1_14partition_implILS5_9ELb0ES3_jPlS8_PNS0_10empty_typeENS0_5tupleIJS8_S9_EEENSB_IJS8_SA_EEENS0_18inequality_wrapperIZN2at6native12_GLOBAL__N_124unique_dim_cuda_templateIiEESt5tupleIJNSF_6TensorESK_SK_EERKSK_lbbbEUlllE0_EEPmJS9_EEE10hipError_tPvRmT3_T4_T5_T6_T7_T9_mT8_P12ihipStream_tbDpT10_ENKUlT_T0_E_clISt17integral_constantIbLb0EES19_IbLb1EEEEDaS15_S16_EUlS15_E_NS1_11comp_targetILNS1_3genE10ELNS1_11target_archE1200ELNS1_3gpuE4ELNS1_3repE0EEENS1_30default_config_static_selectorELNS0_4arch9wavefront6targetE1EEEvT1_: ; @_ZN7rocprim17ROCPRIM_400000_NS6detail17trampoline_kernelINS0_14default_configENS1_25partition_config_selectorILNS1_17partition_subalgoE9EllbEEZZNS1_14partition_implILS5_9ELb0ES3_jPlS8_PNS0_10empty_typeENS0_5tupleIJS8_S9_EEENSB_IJS8_SA_EEENS0_18inequality_wrapperIZN2at6native12_GLOBAL__N_124unique_dim_cuda_templateIiEESt5tupleIJNSF_6TensorESK_SK_EERKSK_lbbbEUlllE0_EEPmJS9_EEE10hipError_tPvRmT3_T4_T5_T6_T7_T9_mT8_P12ihipStream_tbDpT10_ENKUlT_T0_E_clISt17integral_constantIbLb0EES19_IbLb1EEEEDaS15_S16_EUlS15_E_NS1_11comp_targetILNS1_3genE10ELNS1_11target_archE1200ELNS1_3gpuE4ELNS1_3repE0EEENS1_30default_config_static_selectorELNS0_4arch9wavefront6targetE1EEEvT1_
; %bb.0:
	.section	.rodata,"a",@progbits
	.p2align	6, 0x0
	.amdhsa_kernel _ZN7rocprim17ROCPRIM_400000_NS6detail17trampoline_kernelINS0_14default_configENS1_25partition_config_selectorILNS1_17partition_subalgoE9EllbEEZZNS1_14partition_implILS5_9ELb0ES3_jPlS8_PNS0_10empty_typeENS0_5tupleIJS8_S9_EEENSB_IJS8_SA_EEENS0_18inequality_wrapperIZN2at6native12_GLOBAL__N_124unique_dim_cuda_templateIiEESt5tupleIJNSF_6TensorESK_SK_EERKSK_lbbbEUlllE0_EEPmJS9_EEE10hipError_tPvRmT3_T4_T5_T6_T7_T9_mT8_P12ihipStream_tbDpT10_ENKUlT_T0_E_clISt17integral_constantIbLb0EES19_IbLb1EEEEDaS15_S16_EUlS15_E_NS1_11comp_targetILNS1_3genE10ELNS1_11target_archE1200ELNS1_3gpuE4ELNS1_3repE0EEENS1_30default_config_static_selectorELNS0_4arch9wavefront6targetE1EEEvT1_
		.amdhsa_group_segment_fixed_size 0
		.amdhsa_private_segment_fixed_size 0
		.amdhsa_kernarg_size 136
		.amdhsa_user_sgpr_count 2
		.amdhsa_user_sgpr_dispatch_ptr 0
		.amdhsa_user_sgpr_queue_ptr 0
		.amdhsa_user_sgpr_kernarg_segment_ptr 1
		.amdhsa_user_sgpr_dispatch_id 0
		.amdhsa_user_sgpr_kernarg_preload_length 0
		.amdhsa_user_sgpr_kernarg_preload_offset 0
		.amdhsa_user_sgpr_private_segment_size 0
		.amdhsa_uses_dynamic_stack 0
		.amdhsa_enable_private_segment 0
		.amdhsa_system_sgpr_workgroup_id_x 1
		.amdhsa_system_sgpr_workgroup_id_y 0
		.amdhsa_system_sgpr_workgroup_id_z 0
		.amdhsa_system_sgpr_workgroup_info 0
		.amdhsa_system_vgpr_workitem_id 0
		.amdhsa_next_free_vgpr 1
		.amdhsa_next_free_sgpr 0
		.amdhsa_accum_offset 4
		.amdhsa_reserve_vcc 0
		.amdhsa_float_round_mode_32 0
		.amdhsa_float_round_mode_16_64 0
		.amdhsa_float_denorm_mode_32 3
		.amdhsa_float_denorm_mode_16_64 3
		.amdhsa_dx10_clamp 1
		.amdhsa_ieee_mode 1
		.amdhsa_fp16_overflow 0
		.amdhsa_tg_split 0
		.amdhsa_exception_fp_ieee_invalid_op 0
		.amdhsa_exception_fp_denorm_src 0
		.amdhsa_exception_fp_ieee_div_zero 0
		.amdhsa_exception_fp_ieee_overflow 0
		.amdhsa_exception_fp_ieee_underflow 0
		.amdhsa_exception_fp_ieee_inexact 0
		.amdhsa_exception_int_div_zero 0
	.end_amdhsa_kernel
	.section	.text._ZN7rocprim17ROCPRIM_400000_NS6detail17trampoline_kernelINS0_14default_configENS1_25partition_config_selectorILNS1_17partition_subalgoE9EllbEEZZNS1_14partition_implILS5_9ELb0ES3_jPlS8_PNS0_10empty_typeENS0_5tupleIJS8_S9_EEENSB_IJS8_SA_EEENS0_18inequality_wrapperIZN2at6native12_GLOBAL__N_124unique_dim_cuda_templateIiEESt5tupleIJNSF_6TensorESK_SK_EERKSK_lbbbEUlllE0_EEPmJS9_EEE10hipError_tPvRmT3_T4_T5_T6_T7_T9_mT8_P12ihipStream_tbDpT10_ENKUlT_T0_E_clISt17integral_constantIbLb0EES19_IbLb1EEEEDaS15_S16_EUlS15_E_NS1_11comp_targetILNS1_3genE10ELNS1_11target_archE1200ELNS1_3gpuE4ELNS1_3repE0EEENS1_30default_config_static_selectorELNS0_4arch9wavefront6targetE1EEEvT1_,"axG",@progbits,_ZN7rocprim17ROCPRIM_400000_NS6detail17trampoline_kernelINS0_14default_configENS1_25partition_config_selectorILNS1_17partition_subalgoE9EllbEEZZNS1_14partition_implILS5_9ELb0ES3_jPlS8_PNS0_10empty_typeENS0_5tupleIJS8_S9_EEENSB_IJS8_SA_EEENS0_18inequality_wrapperIZN2at6native12_GLOBAL__N_124unique_dim_cuda_templateIiEESt5tupleIJNSF_6TensorESK_SK_EERKSK_lbbbEUlllE0_EEPmJS9_EEE10hipError_tPvRmT3_T4_T5_T6_T7_T9_mT8_P12ihipStream_tbDpT10_ENKUlT_T0_E_clISt17integral_constantIbLb0EES19_IbLb1EEEEDaS15_S16_EUlS15_E_NS1_11comp_targetILNS1_3genE10ELNS1_11target_archE1200ELNS1_3gpuE4ELNS1_3repE0EEENS1_30default_config_static_selectorELNS0_4arch9wavefront6targetE1EEEvT1_,comdat
.Lfunc_end502:
	.size	_ZN7rocprim17ROCPRIM_400000_NS6detail17trampoline_kernelINS0_14default_configENS1_25partition_config_selectorILNS1_17partition_subalgoE9EllbEEZZNS1_14partition_implILS5_9ELb0ES3_jPlS8_PNS0_10empty_typeENS0_5tupleIJS8_S9_EEENSB_IJS8_SA_EEENS0_18inequality_wrapperIZN2at6native12_GLOBAL__N_124unique_dim_cuda_templateIiEESt5tupleIJNSF_6TensorESK_SK_EERKSK_lbbbEUlllE0_EEPmJS9_EEE10hipError_tPvRmT3_T4_T5_T6_T7_T9_mT8_P12ihipStream_tbDpT10_ENKUlT_T0_E_clISt17integral_constantIbLb0EES19_IbLb1EEEEDaS15_S16_EUlS15_E_NS1_11comp_targetILNS1_3genE10ELNS1_11target_archE1200ELNS1_3gpuE4ELNS1_3repE0EEENS1_30default_config_static_selectorELNS0_4arch9wavefront6targetE1EEEvT1_, .Lfunc_end502-_ZN7rocprim17ROCPRIM_400000_NS6detail17trampoline_kernelINS0_14default_configENS1_25partition_config_selectorILNS1_17partition_subalgoE9EllbEEZZNS1_14partition_implILS5_9ELb0ES3_jPlS8_PNS0_10empty_typeENS0_5tupleIJS8_S9_EEENSB_IJS8_SA_EEENS0_18inequality_wrapperIZN2at6native12_GLOBAL__N_124unique_dim_cuda_templateIiEESt5tupleIJNSF_6TensorESK_SK_EERKSK_lbbbEUlllE0_EEPmJS9_EEE10hipError_tPvRmT3_T4_T5_T6_T7_T9_mT8_P12ihipStream_tbDpT10_ENKUlT_T0_E_clISt17integral_constantIbLb0EES19_IbLb1EEEEDaS15_S16_EUlS15_E_NS1_11comp_targetILNS1_3genE10ELNS1_11target_archE1200ELNS1_3gpuE4ELNS1_3repE0EEENS1_30default_config_static_selectorELNS0_4arch9wavefront6targetE1EEEvT1_
                                        ; -- End function
	.set _ZN7rocprim17ROCPRIM_400000_NS6detail17trampoline_kernelINS0_14default_configENS1_25partition_config_selectorILNS1_17partition_subalgoE9EllbEEZZNS1_14partition_implILS5_9ELb0ES3_jPlS8_PNS0_10empty_typeENS0_5tupleIJS8_S9_EEENSB_IJS8_SA_EEENS0_18inequality_wrapperIZN2at6native12_GLOBAL__N_124unique_dim_cuda_templateIiEESt5tupleIJNSF_6TensorESK_SK_EERKSK_lbbbEUlllE0_EEPmJS9_EEE10hipError_tPvRmT3_T4_T5_T6_T7_T9_mT8_P12ihipStream_tbDpT10_ENKUlT_T0_E_clISt17integral_constantIbLb0EES19_IbLb1EEEEDaS15_S16_EUlS15_E_NS1_11comp_targetILNS1_3genE10ELNS1_11target_archE1200ELNS1_3gpuE4ELNS1_3repE0EEENS1_30default_config_static_selectorELNS0_4arch9wavefront6targetE1EEEvT1_.num_vgpr, 0
	.set _ZN7rocprim17ROCPRIM_400000_NS6detail17trampoline_kernelINS0_14default_configENS1_25partition_config_selectorILNS1_17partition_subalgoE9EllbEEZZNS1_14partition_implILS5_9ELb0ES3_jPlS8_PNS0_10empty_typeENS0_5tupleIJS8_S9_EEENSB_IJS8_SA_EEENS0_18inequality_wrapperIZN2at6native12_GLOBAL__N_124unique_dim_cuda_templateIiEESt5tupleIJNSF_6TensorESK_SK_EERKSK_lbbbEUlllE0_EEPmJS9_EEE10hipError_tPvRmT3_T4_T5_T6_T7_T9_mT8_P12ihipStream_tbDpT10_ENKUlT_T0_E_clISt17integral_constantIbLb0EES19_IbLb1EEEEDaS15_S16_EUlS15_E_NS1_11comp_targetILNS1_3genE10ELNS1_11target_archE1200ELNS1_3gpuE4ELNS1_3repE0EEENS1_30default_config_static_selectorELNS0_4arch9wavefront6targetE1EEEvT1_.num_agpr, 0
	.set _ZN7rocprim17ROCPRIM_400000_NS6detail17trampoline_kernelINS0_14default_configENS1_25partition_config_selectorILNS1_17partition_subalgoE9EllbEEZZNS1_14partition_implILS5_9ELb0ES3_jPlS8_PNS0_10empty_typeENS0_5tupleIJS8_S9_EEENSB_IJS8_SA_EEENS0_18inequality_wrapperIZN2at6native12_GLOBAL__N_124unique_dim_cuda_templateIiEESt5tupleIJNSF_6TensorESK_SK_EERKSK_lbbbEUlllE0_EEPmJS9_EEE10hipError_tPvRmT3_T4_T5_T6_T7_T9_mT8_P12ihipStream_tbDpT10_ENKUlT_T0_E_clISt17integral_constantIbLb0EES19_IbLb1EEEEDaS15_S16_EUlS15_E_NS1_11comp_targetILNS1_3genE10ELNS1_11target_archE1200ELNS1_3gpuE4ELNS1_3repE0EEENS1_30default_config_static_selectorELNS0_4arch9wavefront6targetE1EEEvT1_.numbered_sgpr, 0
	.set _ZN7rocprim17ROCPRIM_400000_NS6detail17trampoline_kernelINS0_14default_configENS1_25partition_config_selectorILNS1_17partition_subalgoE9EllbEEZZNS1_14partition_implILS5_9ELb0ES3_jPlS8_PNS0_10empty_typeENS0_5tupleIJS8_S9_EEENSB_IJS8_SA_EEENS0_18inequality_wrapperIZN2at6native12_GLOBAL__N_124unique_dim_cuda_templateIiEESt5tupleIJNSF_6TensorESK_SK_EERKSK_lbbbEUlllE0_EEPmJS9_EEE10hipError_tPvRmT3_T4_T5_T6_T7_T9_mT8_P12ihipStream_tbDpT10_ENKUlT_T0_E_clISt17integral_constantIbLb0EES19_IbLb1EEEEDaS15_S16_EUlS15_E_NS1_11comp_targetILNS1_3genE10ELNS1_11target_archE1200ELNS1_3gpuE4ELNS1_3repE0EEENS1_30default_config_static_selectorELNS0_4arch9wavefront6targetE1EEEvT1_.num_named_barrier, 0
	.set _ZN7rocprim17ROCPRIM_400000_NS6detail17trampoline_kernelINS0_14default_configENS1_25partition_config_selectorILNS1_17partition_subalgoE9EllbEEZZNS1_14partition_implILS5_9ELb0ES3_jPlS8_PNS0_10empty_typeENS0_5tupleIJS8_S9_EEENSB_IJS8_SA_EEENS0_18inequality_wrapperIZN2at6native12_GLOBAL__N_124unique_dim_cuda_templateIiEESt5tupleIJNSF_6TensorESK_SK_EERKSK_lbbbEUlllE0_EEPmJS9_EEE10hipError_tPvRmT3_T4_T5_T6_T7_T9_mT8_P12ihipStream_tbDpT10_ENKUlT_T0_E_clISt17integral_constantIbLb0EES19_IbLb1EEEEDaS15_S16_EUlS15_E_NS1_11comp_targetILNS1_3genE10ELNS1_11target_archE1200ELNS1_3gpuE4ELNS1_3repE0EEENS1_30default_config_static_selectorELNS0_4arch9wavefront6targetE1EEEvT1_.private_seg_size, 0
	.set _ZN7rocprim17ROCPRIM_400000_NS6detail17trampoline_kernelINS0_14default_configENS1_25partition_config_selectorILNS1_17partition_subalgoE9EllbEEZZNS1_14partition_implILS5_9ELb0ES3_jPlS8_PNS0_10empty_typeENS0_5tupleIJS8_S9_EEENSB_IJS8_SA_EEENS0_18inequality_wrapperIZN2at6native12_GLOBAL__N_124unique_dim_cuda_templateIiEESt5tupleIJNSF_6TensorESK_SK_EERKSK_lbbbEUlllE0_EEPmJS9_EEE10hipError_tPvRmT3_T4_T5_T6_T7_T9_mT8_P12ihipStream_tbDpT10_ENKUlT_T0_E_clISt17integral_constantIbLb0EES19_IbLb1EEEEDaS15_S16_EUlS15_E_NS1_11comp_targetILNS1_3genE10ELNS1_11target_archE1200ELNS1_3gpuE4ELNS1_3repE0EEENS1_30default_config_static_selectorELNS0_4arch9wavefront6targetE1EEEvT1_.uses_vcc, 0
	.set _ZN7rocprim17ROCPRIM_400000_NS6detail17trampoline_kernelINS0_14default_configENS1_25partition_config_selectorILNS1_17partition_subalgoE9EllbEEZZNS1_14partition_implILS5_9ELb0ES3_jPlS8_PNS0_10empty_typeENS0_5tupleIJS8_S9_EEENSB_IJS8_SA_EEENS0_18inequality_wrapperIZN2at6native12_GLOBAL__N_124unique_dim_cuda_templateIiEESt5tupleIJNSF_6TensorESK_SK_EERKSK_lbbbEUlllE0_EEPmJS9_EEE10hipError_tPvRmT3_T4_T5_T6_T7_T9_mT8_P12ihipStream_tbDpT10_ENKUlT_T0_E_clISt17integral_constantIbLb0EES19_IbLb1EEEEDaS15_S16_EUlS15_E_NS1_11comp_targetILNS1_3genE10ELNS1_11target_archE1200ELNS1_3gpuE4ELNS1_3repE0EEENS1_30default_config_static_selectorELNS0_4arch9wavefront6targetE1EEEvT1_.uses_flat_scratch, 0
	.set _ZN7rocprim17ROCPRIM_400000_NS6detail17trampoline_kernelINS0_14default_configENS1_25partition_config_selectorILNS1_17partition_subalgoE9EllbEEZZNS1_14partition_implILS5_9ELb0ES3_jPlS8_PNS0_10empty_typeENS0_5tupleIJS8_S9_EEENSB_IJS8_SA_EEENS0_18inequality_wrapperIZN2at6native12_GLOBAL__N_124unique_dim_cuda_templateIiEESt5tupleIJNSF_6TensorESK_SK_EERKSK_lbbbEUlllE0_EEPmJS9_EEE10hipError_tPvRmT3_T4_T5_T6_T7_T9_mT8_P12ihipStream_tbDpT10_ENKUlT_T0_E_clISt17integral_constantIbLb0EES19_IbLb1EEEEDaS15_S16_EUlS15_E_NS1_11comp_targetILNS1_3genE10ELNS1_11target_archE1200ELNS1_3gpuE4ELNS1_3repE0EEENS1_30default_config_static_selectorELNS0_4arch9wavefront6targetE1EEEvT1_.has_dyn_sized_stack, 0
	.set _ZN7rocprim17ROCPRIM_400000_NS6detail17trampoline_kernelINS0_14default_configENS1_25partition_config_selectorILNS1_17partition_subalgoE9EllbEEZZNS1_14partition_implILS5_9ELb0ES3_jPlS8_PNS0_10empty_typeENS0_5tupleIJS8_S9_EEENSB_IJS8_SA_EEENS0_18inequality_wrapperIZN2at6native12_GLOBAL__N_124unique_dim_cuda_templateIiEESt5tupleIJNSF_6TensorESK_SK_EERKSK_lbbbEUlllE0_EEPmJS9_EEE10hipError_tPvRmT3_T4_T5_T6_T7_T9_mT8_P12ihipStream_tbDpT10_ENKUlT_T0_E_clISt17integral_constantIbLb0EES19_IbLb1EEEEDaS15_S16_EUlS15_E_NS1_11comp_targetILNS1_3genE10ELNS1_11target_archE1200ELNS1_3gpuE4ELNS1_3repE0EEENS1_30default_config_static_selectorELNS0_4arch9wavefront6targetE1EEEvT1_.has_recursion, 0
	.set _ZN7rocprim17ROCPRIM_400000_NS6detail17trampoline_kernelINS0_14default_configENS1_25partition_config_selectorILNS1_17partition_subalgoE9EllbEEZZNS1_14partition_implILS5_9ELb0ES3_jPlS8_PNS0_10empty_typeENS0_5tupleIJS8_S9_EEENSB_IJS8_SA_EEENS0_18inequality_wrapperIZN2at6native12_GLOBAL__N_124unique_dim_cuda_templateIiEESt5tupleIJNSF_6TensorESK_SK_EERKSK_lbbbEUlllE0_EEPmJS9_EEE10hipError_tPvRmT3_T4_T5_T6_T7_T9_mT8_P12ihipStream_tbDpT10_ENKUlT_T0_E_clISt17integral_constantIbLb0EES19_IbLb1EEEEDaS15_S16_EUlS15_E_NS1_11comp_targetILNS1_3genE10ELNS1_11target_archE1200ELNS1_3gpuE4ELNS1_3repE0EEENS1_30default_config_static_selectorELNS0_4arch9wavefront6targetE1EEEvT1_.has_indirect_call, 0
	.section	.AMDGPU.csdata,"",@progbits
; Kernel info:
; codeLenInByte = 0
; TotalNumSgprs: 6
; NumVgprs: 0
; NumAgprs: 0
; TotalNumVgprs: 0
; ScratchSize: 0
; MemoryBound: 0
; FloatMode: 240
; IeeeMode: 1
; LDSByteSize: 0 bytes/workgroup (compile time only)
; SGPRBlocks: 0
; VGPRBlocks: 0
; NumSGPRsForWavesPerEU: 6
; NumVGPRsForWavesPerEU: 1
; AccumOffset: 4
; Occupancy: 8
; WaveLimiterHint : 0
; COMPUTE_PGM_RSRC2:SCRATCH_EN: 0
; COMPUTE_PGM_RSRC2:USER_SGPR: 2
; COMPUTE_PGM_RSRC2:TRAP_HANDLER: 0
; COMPUTE_PGM_RSRC2:TGID_X_EN: 1
; COMPUTE_PGM_RSRC2:TGID_Y_EN: 0
; COMPUTE_PGM_RSRC2:TGID_Z_EN: 0
; COMPUTE_PGM_RSRC2:TIDIG_COMP_CNT: 0
; COMPUTE_PGM_RSRC3_GFX90A:ACCUM_OFFSET: 0
; COMPUTE_PGM_RSRC3_GFX90A:TG_SPLIT: 0
	.section	.text._ZN7rocprim17ROCPRIM_400000_NS6detail17trampoline_kernelINS0_14default_configENS1_25partition_config_selectorILNS1_17partition_subalgoE9EllbEEZZNS1_14partition_implILS5_9ELb0ES3_jPlS8_PNS0_10empty_typeENS0_5tupleIJS8_S9_EEENSB_IJS8_SA_EEENS0_18inequality_wrapperIZN2at6native12_GLOBAL__N_124unique_dim_cuda_templateIiEESt5tupleIJNSF_6TensorESK_SK_EERKSK_lbbbEUlllE0_EEPmJS9_EEE10hipError_tPvRmT3_T4_T5_T6_T7_T9_mT8_P12ihipStream_tbDpT10_ENKUlT_T0_E_clISt17integral_constantIbLb0EES19_IbLb1EEEEDaS15_S16_EUlS15_E_NS1_11comp_targetILNS1_3genE9ELNS1_11target_archE1100ELNS1_3gpuE3ELNS1_3repE0EEENS1_30default_config_static_selectorELNS0_4arch9wavefront6targetE1EEEvT1_,"axG",@progbits,_ZN7rocprim17ROCPRIM_400000_NS6detail17trampoline_kernelINS0_14default_configENS1_25partition_config_selectorILNS1_17partition_subalgoE9EllbEEZZNS1_14partition_implILS5_9ELb0ES3_jPlS8_PNS0_10empty_typeENS0_5tupleIJS8_S9_EEENSB_IJS8_SA_EEENS0_18inequality_wrapperIZN2at6native12_GLOBAL__N_124unique_dim_cuda_templateIiEESt5tupleIJNSF_6TensorESK_SK_EERKSK_lbbbEUlllE0_EEPmJS9_EEE10hipError_tPvRmT3_T4_T5_T6_T7_T9_mT8_P12ihipStream_tbDpT10_ENKUlT_T0_E_clISt17integral_constantIbLb0EES19_IbLb1EEEEDaS15_S16_EUlS15_E_NS1_11comp_targetILNS1_3genE9ELNS1_11target_archE1100ELNS1_3gpuE3ELNS1_3repE0EEENS1_30default_config_static_selectorELNS0_4arch9wavefront6targetE1EEEvT1_,comdat
	.globl	_ZN7rocprim17ROCPRIM_400000_NS6detail17trampoline_kernelINS0_14default_configENS1_25partition_config_selectorILNS1_17partition_subalgoE9EllbEEZZNS1_14partition_implILS5_9ELb0ES3_jPlS8_PNS0_10empty_typeENS0_5tupleIJS8_S9_EEENSB_IJS8_SA_EEENS0_18inequality_wrapperIZN2at6native12_GLOBAL__N_124unique_dim_cuda_templateIiEESt5tupleIJNSF_6TensorESK_SK_EERKSK_lbbbEUlllE0_EEPmJS9_EEE10hipError_tPvRmT3_T4_T5_T6_T7_T9_mT8_P12ihipStream_tbDpT10_ENKUlT_T0_E_clISt17integral_constantIbLb0EES19_IbLb1EEEEDaS15_S16_EUlS15_E_NS1_11comp_targetILNS1_3genE9ELNS1_11target_archE1100ELNS1_3gpuE3ELNS1_3repE0EEENS1_30default_config_static_selectorELNS0_4arch9wavefront6targetE1EEEvT1_ ; -- Begin function _ZN7rocprim17ROCPRIM_400000_NS6detail17trampoline_kernelINS0_14default_configENS1_25partition_config_selectorILNS1_17partition_subalgoE9EllbEEZZNS1_14partition_implILS5_9ELb0ES3_jPlS8_PNS0_10empty_typeENS0_5tupleIJS8_S9_EEENSB_IJS8_SA_EEENS0_18inequality_wrapperIZN2at6native12_GLOBAL__N_124unique_dim_cuda_templateIiEESt5tupleIJNSF_6TensorESK_SK_EERKSK_lbbbEUlllE0_EEPmJS9_EEE10hipError_tPvRmT3_T4_T5_T6_T7_T9_mT8_P12ihipStream_tbDpT10_ENKUlT_T0_E_clISt17integral_constantIbLb0EES19_IbLb1EEEEDaS15_S16_EUlS15_E_NS1_11comp_targetILNS1_3genE9ELNS1_11target_archE1100ELNS1_3gpuE3ELNS1_3repE0EEENS1_30default_config_static_selectorELNS0_4arch9wavefront6targetE1EEEvT1_
	.p2align	8
	.type	_ZN7rocprim17ROCPRIM_400000_NS6detail17trampoline_kernelINS0_14default_configENS1_25partition_config_selectorILNS1_17partition_subalgoE9EllbEEZZNS1_14partition_implILS5_9ELb0ES3_jPlS8_PNS0_10empty_typeENS0_5tupleIJS8_S9_EEENSB_IJS8_SA_EEENS0_18inequality_wrapperIZN2at6native12_GLOBAL__N_124unique_dim_cuda_templateIiEESt5tupleIJNSF_6TensorESK_SK_EERKSK_lbbbEUlllE0_EEPmJS9_EEE10hipError_tPvRmT3_T4_T5_T6_T7_T9_mT8_P12ihipStream_tbDpT10_ENKUlT_T0_E_clISt17integral_constantIbLb0EES19_IbLb1EEEEDaS15_S16_EUlS15_E_NS1_11comp_targetILNS1_3genE9ELNS1_11target_archE1100ELNS1_3gpuE3ELNS1_3repE0EEENS1_30default_config_static_selectorELNS0_4arch9wavefront6targetE1EEEvT1_,@function
_ZN7rocprim17ROCPRIM_400000_NS6detail17trampoline_kernelINS0_14default_configENS1_25partition_config_selectorILNS1_17partition_subalgoE9EllbEEZZNS1_14partition_implILS5_9ELb0ES3_jPlS8_PNS0_10empty_typeENS0_5tupleIJS8_S9_EEENSB_IJS8_SA_EEENS0_18inequality_wrapperIZN2at6native12_GLOBAL__N_124unique_dim_cuda_templateIiEESt5tupleIJNSF_6TensorESK_SK_EERKSK_lbbbEUlllE0_EEPmJS9_EEE10hipError_tPvRmT3_T4_T5_T6_T7_T9_mT8_P12ihipStream_tbDpT10_ENKUlT_T0_E_clISt17integral_constantIbLb0EES19_IbLb1EEEEDaS15_S16_EUlS15_E_NS1_11comp_targetILNS1_3genE9ELNS1_11target_archE1100ELNS1_3gpuE3ELNS1_3repE0EEENS1_30default_config_static_selectorELNS0_4arch9wavefront6targetE1EEEvT1_: ; @_ZN7rocprim17ROCPRIM_400000_NS6detail17trampoline_kernelINS0_14default_configENS1_25partition_config_selectorILNS1_17partition_subalgoE9EllbEEZZNS1_14partition_implILS5_9ELb0ES3_jPlS8_PNS0_10empty_typeENS0_5tupleIJS8_S9_EEENSB_IJS8_SA_EEENS0_18inequality_wrapperIZN2at6native12_GLOBAL__N_124unique_dim_cuda_templateIiEESt5tupleIJNSF_6TensorESK_SK_EERKSK_lbbbEUlllE0_EEPmJS9_EEE10hipError_tPvRmT3_T4_T5_T6_T7_T9_mT8_P12ihipStream_tbDpT10_ENKUlT_T0_E_clISt17integral_constantIbLb0EES19_IbLb1EEEEDaS15_S16_EUlS15_E_NS1_11comp_targetILNS1_3genE9ELNS1_11target_archE1100ELNS1_3gpuE3ELNS1_3repE0EEENS1_30default_config_static_selectorELNS0_4arch9wavefront6targetE1EEEvT1_
; %bb.0:
	.section	.rodata,"a",@progbits
	.p2align	6, 0x0
	.amdhsa_kernel _ZN7rocprim17ROCPRIM_400000_NS6detail17trampoline_kernelINS0_14default_configENS1_25partition_config_selectorILNS1_17partition_subalgoE9EllbEEZZNS1_14partition_implILS5_9ELb0ES3_jPlS8_PNS0_10empty_typeENS0_5tupleIJS8_S9_EEENSB_IJS8_SA_EEENS0_18inequality_wrapperIZN2at6native12_GLOBAL__N_124unique_dim_cuda_templateIiEESt5tupleIJNSF_6TensorESK_SK_EERKSK_lbbbEUlllE0_EEPmJS9_EEE10hipError_tPvRmT3_T4_T5_T6_T7_T9_mT8_P12ihipStream_tbDpT10_ENKUlT_T0_E_clISt17integral_constantIbLb0EES19_IbLb1EEEEDaS15_S16_EUlS15_E_NS1_11comp_targetILNS1_3genE9ELNS1_11target_archE1100ELNS1_3gpuE3ELNS1_3repE0EEENS1_30default_config_static_selectorELNS0_4arch9wavefront6targetE1EEEvT1_
		.amdhsa_group_segment_fixed_size 0
		.amdhsa_private_segment_fixed_size 0
		.amdhsa_kernarg_size 136
		.amdhsa_user_sgpr_count 2
		.amdhsa_user_sgpr_dispatch_ptr 0
		.amdhsa_user_sgpr_queue_ptr 0
		.amdhsa_user_sgpr_kernarg_segment_ptr 1
		.amdhsa_user_sgpr_dispatch_id 0
		.amdhsa_user_sgpr_kernarg_preload_length 0
		.amdhsa_user_sgpr_kernarg_preload_offset 0
		.amdhsa_user_sgpr_private_segment_size 0
		.amdhsa_uses_dynamic_stack 0
		.amdhsa_enable_private_segment 0
		.amdhsa_system_sgpr_workgroup_id_x 1
		.amdhsa_system_sgpr_workgroup_id_y 0
		.amdhsa_system_sgpr_workgroup_id_z 0
		.amdhsa_system_sgpr_workgroup_info 0
		.amdhsa_system_vgpr_workitem_id 0
		.amdhsa_next_free_vgpr 1
		.amdhsa_next_free_sgpr 0
		.amdhsa_accum_offset 4
		.amdhsa_reserve_vcc 0
		.amdhsa_float_round_mode_32 0
		.amdhsa_float_round_mode_16_64 0
		.amdhsa_float_denorm_mode_32 3
		.amdhsa_float_denorm_mode_16_64 3
		.amdhsa_dx10_clamp 1
		.amdhsa_ieee_mode 1
		.amdhsa_fp16_overflow 0
		.amdhsa_tg_split 0
		.amdhsa_exception_fp_ieee_invalid_op 0
		.amdhsa_exception_fp_denorm_src 0
		.amdhsa_exception_fp_ieee_div_zero 0
		.amdhsa_exception_fp_ieee_overflow 0
		.amdhsa_exception_fp_ieee_underflow 0
		.amdhsa_exception_fp_ieee_inexact 0
		.amdhsa_exception_int_div_zero 0
	.end_amdhsa_kernel
	.section	.text._ZN7rocprim17ROCPRIM_400000_NS6detail17trampoline_kernelINS0_14default_configENS1_25partition_config_selectorILNS1_17partition_subalgoE9EllbEEZZNS1_14partition_implILS5_9ELb0ES3_jPlS8_PNS0_10empty_typeENS0_5tupleIJS8_S9_EEENSB_IJS8_SA_EEENS0_18inequality_wrapperIZN2at6native12_GLOBAL__N_124unique_dim_cuda_templateIiEESt5tupleIJNSF_6TensorESK_SK_EERKSK_lbbbEUlllE0_EEPmJS9_EEE10hipError_tPvRmT3_T4_T5_T6_T7_T9_mT8_P12ihipStream_tbDpT10_ENKUlT_T0_E_clISt17integral_constantIbLb0EES19_IbLb1EEEEDaS15_S16_EUlS15_E_NS1_11comp_targetILNS1_3genE9ELNS1_11target_archE1100ELNS1_3gpuE3ELNS1_3repE0EEENS1_30default_config_static_selectorELNS0_4arch9wavefront6targetE1EEEvT1_,"axG",@progbits,_ZN7rocprim17ROCPRIM_400000_NS6detail17trampoline_kernelINS0_14default_configENS1_25partition_config_selectorILNS1_17partition_subalgoE9EllbEEZZNS1_14partition_implILS5_9ELb0ES3_jPlS8_PNS0_10empty_typeENS0_5tupleIJS8_S9_EEENSB_IJS8_SA_EEENS0_18inequality_wrapperIZN2at6native12_GLOBAL__N_124unique_dim_cuda_templateIiEESt5tupleIJNSF_6TensorESK_SK_EERKSK_lbbbEUlllE0_EEPmJS9_EEE10hipError_tPvRmT3_T4_T5_T6_T7_T9_mT8_P12ihipStream_tbDpT10_ENKUlT_T0_E_clISt17integral_constantIbLb0EES19_IbLb1EEEEDaS15_S16_EUlS15_E_NS1_11comp_targetILNS1_3genE9ELNS1_11target_archE1100ELNS1_3gpuE3ELNS1_3repE0EEENS1_30default_config_static_selectorELNS0_4arch9wavefront6targetE1EEEvT1_,comdat
.Lfunc_end503:
	.size	_ZN7rocprim17ROCPRIM_400000_NS6detail17trampoline_kernelINS0_14default_configENS1_25partition_config_selectorILNS1_17partition_subalgoE9EllbEEZZNS1_14partition_implILS5_9ELb0ES3_jPlS8_PNS0_10empty_typeENS0_5tupleIJS8_S9_EEENSB_IJS8_SA_EEENS0_18inequality_wrapperIZN2at6native12_GLOBAL__N_124unique_dim_cuda_templateIiEESt5tupleIJNSF_6TensorESK_SK_EERKSK_lbbbEUlllE0_EEPmJS9_EEE10hipError_tPvRmT3_T4_T5_T6_T7_T9_mT8_P12ihipStream_tbDpT10_ENKUlT_T0_E_clISt17integral_constantIbLb0EES19_IbLb1EEEEDaS15_S16_EUlS15_E_NS1_11comp_targetILNS1_3genE9ELNS1_11target_archE1100ELNS1_3gpuE3ELNS1_3repE0EEENS1_30default_config_static_selectorELNS0_4arch9wavefront6targetE1EEEvT1_, .Lfunc_end503-_ZN7rocprim17ROCPRIM_400000_NS6detail17trampoline_kernelINS0_14default_configENS1_25partition_config_selectorILNS1_17partition_subalgoE9EllbEEZZNS1_14partition_implILS5_9ELb0ES3_jPlS8_PNS0_10empty_typeENS0_5tupleIJS8_S9_EEENSB_IJS8_SA_EEENS0_18inequality_wrapperIZN2at6native12_GLOBAL__N_124unique_dim_cuda_templateIiEESt5tupleIJNSF_6TensorESK_SK_EERKSK_lbbbEUlllE0_EEPmJS9_EEE10hipError_tPvRmT3_T4_T5_T6_T7_T9_mT8_P12ihipStream_tbDpT10_ENKUlT_T0_E_clISt17integral_constantIbLb0EES19_IbLb1EEEEDaS15_S16_EUlS15_E_NS1_11comp_targetILNS1_3genE9ELNS1_11target_archE1100ELNS1_3gpuE3ELNS1_3repE0EEENS1_30default_config_static_selectorELNS0_4arch9wavefront6targetE1EEEvT1_
                                        ; -- End function
	.set _ZN7rocprim17ROCPRIM_400000_NS6detail17trampoline_kernelINS0_14default_configENS1_25partition_config_selectorILNS1_17partition_subalgoE9EllbEEZZNS1_14partition_implILS5_9ELb0ES3_jPlS8_PNS0_10empty_typeENS0_5tupleIJS8_S9_EEENSB_IJS8_SA_EEENS0_18inequality_wrapperIZN2at6native12_GLOBAL__N_124unique_dim_cuda_templateIiEESt5tupleIJNSF_6TensorESK_SK_EERKSK_lbbbEUlllE0_EEPmJS9_EEE10hipError_tPvRmT3_T4_T5_T6_T7_T9_mT8_P12ihipStream_tbDpT10_ENKUlT_T0_E_clISt17integral_constantIbLb0EES19_IbLb1EEEEDaS15_S16_EUlS15_E_NS1_11comp_targetILNS1_3genE9ELNS1_11target_archE1100ELNS1_3gpuE3ELNS1_3repE0EEENS1_30default_config_static_selectorELNS0_4arch9wavefront6targetE1EEEvT1_.num_vgpr, 0
	.set _ZN7rocprim17ROCPRIM_400000_NS6detail17trampoline_kernelINS0_14default_configENS1_25partition_config_selectorILNS1_17partition_subalgoE9EllbEEZZNS1_14partition_implILS5_9ELb0ES3_jPlS8_PNS0_10empty_typeENS0_5tupleIJS8_S9_EEENSB_IJS8_SA_EEENS0_18inequality_wrapperIZN2at6native12_GLOBAL__N_124unique_dim_cuda_templateIiEESt5tupleIJNSF_6TensorESK_SK_EERKSK_lbbbEUlllE0_EEPmJS9_EEE10hipError_tPvRmT3_T4_T5_T6_T7_T9_mT8_P12ihipStream_tbDpT10_ENKUlT_T0_E_clISt17integral_constantIbLb0EES19_IbLb1EEEEDaS15_S16_EUlS15_E_NS1_11comp_targetILNS1_3genE9ELNS1_11target_archE1100ELNS1_3gpuE3ELNS1_3repE0EEENS1_30default_config_static_selectorELNS0_4arch9wavefront6targetE1EEEvT1_.num_agpr, 0
	.set _ZN7rocprim17ROCPRIM_400000_NS6detail17trampoline_kernelINS0_14default_configENS1_25partition_config_selectorILNS1_17partition_subalgoE9EllbEEZZNS1_14partition_implILS5_9ELb0ES3_jPlS8_PNS0_10empty_typeENS0_5tupleIJS8_S9_EEENSB_IJS8_SA_EEENS0_18inequality_wrapperIZN2at6native12_GLOBAL__N_124unique_dim_cuda_templateIiEESt5tupleIJNSF_6TensorESK_SK_EERKSK_lbbbEUlllE0_EEPmJS9_EEE10hipError_tPvRmT3_T4_T5_T6_T7_T9_mT8_P12ihipStream_tbDpT10_ENKUlT_T0_E_clISt17integral_constantIbLb0EES19_IbLb1EEEEDaS15_S16_EUlS15_E_NS1_11comp_targetILNS1_3genE9ELNS1_11target_archE1100ELNS1_3gpuE3ELNS1_3repE0EEENS1_30default_config_static_selectorELNS0_4arch9wavefront6targetE1EEEvT1_.numbered_sgpr, 0
	.set _ZN7rocprim17ROCPRIM_400000_NS6detail17trampoline_kernelINS0_14default_configENS1_25partition_config_selectorILNS1_17partition_subalgoE9EllbEEZZNS1_14partition_implILS5_9ELb0ES3_jPlS8_PNS0_10empty_typeENS0_5tupleIJS8_S9_EEENSB_IJS8_SA_EEENS0_18inequality_wrapperIZN2at6native12_GLOBAL__N_124unique_dim_cuda_templateIiEESt5tupleIJNSF_6TensorESK_SK_EERKSK_lbbbEUlllE0_EEPmJS9_EEE10hipError_tPvRmT3_T4_T5_T6_T7_T9_mT8_P12ihipStream_tbDpT10_ENKUlT_T0_E_clISt17integral_constantIbLb0EES19_IbLb1EEEEDaS15_S16_EUlS15_E_NS1_11comp_targetILNS1_3genE9ELNS1_11target_archE1100ELNS1_3gpuE3ELNS1_3repE0EEENS1_30default_config_static_selectorELNS0_4arch9wavefront6targetE1EEEvT1_.num_named_barrier, 0
	.set _ZN7rocprim17ROCPRIM_400000_NS6detail17trampoline_kernelINS0_14default_configENS1_25partition_config_selectorILNS1_17partition_subalgoE9EllbEEZZNS1_14partition_implILS5_9ELb0ES3_jPlS8_PNS0_10empty_typeENS0_5tupleIJS8_S9_EEENSB_IJS8_SA_EEENS0_18inequality_wrapperIZN2at6native12_GLOBAL__N_124unique_dim_cuda_templateIiEESt5tupleIJNSF_6TensorESK_SK_EERKSK_lbbbEUlllE0_EEPmJS9_EEE10hipError_tPvRmT3_T4_T5_T6_T7_T9_mT8_P12ihipStream_tbDpT10_ENKUlT_T0_E_clISt17integral_constantIbLb0EES19_IbLb1EEEEDaS15_S16_EUlS15_E_NS1_11comp_targetILNS1_3genE9ELNS1_11target_archE1100ELNS1_3gpuE3ELNS1_3repE0EEENS1_30default_config_static_selectorELNS0_4arch9wavefront6targetE1EEEvT1_.private_seg_size, 0
	.set _ZN7rocprim17ROCPRIM_400000_NS6detail17trampoline_kernelINS0_14default_configENS1_25partition_config_selectorILNS1_17partition_subalgoE9EllbEEZZNS1_14partition_implILS5_9ELb0ES3_jPlS8_PNS0_10empty_typeENS0_5tupleIJS8_S9_EEENSB_IJS8_SA_EEENS0_18inequality_wrapperIZN2at6native12_GLOBAL__N_124unique_dim_cuda_templateIiEESt5tupleIJNSF_6TensorESK_SK_EERKSK_lbbbEUlllE0_EEPmJS9_EEE10hipError_tPvRmT3_T4_T5_T6_T7_T9_mT8_P12ihipStream_tbDpT10_ENKUlT_T0_E_clISt17integral_constantIbLb0EES19_IbLb1EEEEDaS15_S16_EUlS15_E_NS1_11comp_targetILNS1_3genE9ELNS1_11target_archE1100ELNS1_3gpuE3ELNS1_3repE0EEENS1_30default_config_static_selectorELNS0_4arch9wavefront6targetE1EEEvT1_.uses_vcc, 0
	.set _ZN7rocprim17ROCPRIM_400000_NS6detail17trampoline_kernelINS0_14default_configENS1_25partition_config_selectorILNS1_17partition_subalgoE9EllbEEZZNS1_14partition_implILS5_9ELb0ES3_jPlS8_PNS0_10empty_typeENS0_5tupleIJS8_S9_EEENSB_IJS8_SA_EEENS0_18inequality_wrapperIZN2at6native12_GLOBAL__N_124unique_dim_cuda_templateIiEESt5tupleIJNSF_6TensorESK_SK_EERKSK_lbbbEUlllE0_EEPmJS9_EEE10hipError_tPvRmT3_T4_T5_T6_T7_T9_mT8_P12ihipStream_tbDpT10_ENKUlT_T0_E_clISt17integral_constantIbLb0EES19_IbLb1EEEEDaS15_S16_EUlS15_E_NS1_11comp_targetILNS1_3genE9ELNS1_11target_archE1100ELNS1_3gpuE3ELNS1_3repE0EEENS1_30default_config_static_selectorELNS0_4arch9wavefront6targetE1EEEvT1_.uses_flat_scratch, 0
	.set _ZN7rocprim17ROCPRIM_400000_NS6detail17trampoline_kernelINS0_14default_configENS1_25partition_config_selectorILNS1_17partition_subalgoE9EllbEEZZNS1_14partition_implILS5_9ELb0ES3_jPlS8_PNS0_10empty_typeENS0_5tupleIJS8_S9_EEENSB_IJS8_SA_EEENS0_18inequality_wrapperIZN2at6native12_GLOBAL__N_124unique_dim_cuda_templateIiEESt5tupleIJNSF_6TensorESK_SK_EERKSK_lbbbEUlllE0_EEPmJS9_EEE10hipError_tPvRmT3_T4_T5_T6_T7_T9_mT8_P12ihipStream_tbDpT10_ENKUlT_T0_E_clISt17integral_constantIbLb0EES19_IbLb1EEEEDaS15_S16_EUlS15_E_NS1_11comp_targetILNS1_3genE9ELNS1_11target_archE1100ELNS1_3gpuE3ELNS1_3repE0EEENS1_30default_config_static_selectorELNS0_4arch9wavefront6targetE1EEEvT1_.has_dyn_sized_stack, 0
	.set _ZN7rocprim17ROCPRIM_400000_NS6detail17trampoline_kernelINS0_14default_configENS1_25partition_config_selectorILNS1_17partition_subalgoE9EllbEEZZNS1_14partition_implILS5_9ELb0ES3_jPlS8_PNS0_10empty_typeENS0_5tupleIJS8_S9_EEENSB_IJS8_SA_EEENS0_18inequality_wrapperIZN2at6native12_GLOBAL__N_124unique_dim_cuda_templateIiEESt5tupleIJNSF_6TensorESK_SK_EERKSK_lbbbEUlllE0_EEPmJS9_EEE10hipError_tPvRmT3_T4_T5_T6_T7_T9_mT8_P12ihipStream_tbDpT10_ENKUlT_T0_E_clISt17integral_constantIbLb0EES19_IbLb1EEEEDaS15_S16_EUlS15_E_NS1_11comp_targetILNS1_3genE9ELNS1_11target_archE1100ELNS1_3gpuE3ELNS1_3repE0EEENS1_30default_config_static_selectorELNS0_4arch9wavefront6targetE1EEEvT1_.has_recursion, 0
	.set _ZN7rocprim17ROCPRIM_400000_NS6detail17trampoline_kernelINS0_14default_configENS1_25partition_config_selectorILNS1_17partition_subalgoE9EllbEEZZNS1_14partition_implILS5_9ELb0ES3_jPlS8_PNS0_10empty_typeENS0_5tupleIJS8_S9_EEENSB_IJS8_SA_EEENS0_18inequality_wrapperIZN2at6native12_GLOBAL__N_124unique_dim_cuda_templateIiEESt5tupleIJNSF_6TensorESK_SK_EERKSK_lbbbEUlllE0_EEPmJS9_EEE10hipError_tPvRmT3_T4_T5_T6_T7_T9_mT8_P12ihipStream_tbDpT10_ENKUlT_T0_E_clISt17integral_constantIbLb0EES19_IbLb1EEEEDaS15_S16_EUlS15_E_NS1_11comp_targetILNS1_3genE9ELNS1_11target_archE1100ELNS1_3gpuE3ELNS1_3repE0EEENS1_30default_config_static_selectorELNS0_4arch9wavefront6targetE1EEEvT1_.has_indirect_call, 0
	.section	.AMDGPU.csdata,"",@progbits
; Kernel info:
; codeLenInByte = 0
; TotalNumSgprs: 6
; NumVgprs: 0
; NumAgprs: 0
; TotalNumVgprs: 0
; ScratchSize: 0
; MemoryBound: 0
; FloatMode: 240
; IeeeMode: 1
; LDSByteSize: 0 bytes/workgroup (compile time only)
; SGPRBlocks: 0
; VGPRBlocks: 0
; NumSGPRsForWavesPerEU: 6
; NumVGPRsForWavesPerEU: 1
; AccumOffset: 4
; Occupancy: 8
; WaveLimiterHint : 0
; COMPUTE_PGM_RSRC2:SCRATCH_EN: 0
; COMPUTE_PGM_RSRC2:USER_SGPR: 2
; COMPUTE_PGM_RSRC2:TRAP_HANDLER: 0
; COMPUTE_PGM_RSRC2:TGID_X_EN: 1
; COMPUTE_PGM_RSRC2:TGID_Y_EN: 0
; COMPUTE_PGM_RSRC2:TGID_Z_EN: 0
; COMPUTE_PGM_RSRC2:TIDIG_COMP_CNT: 0
; COMPUTE_PGM_RSRC3_GFX90A:ACCUM_OFFSET: 0
; COMPUTE_PGM_RSRC3_GFX90A:TG_SPLIT: 0
	.section	.text._ZN7rocprim17ROCPRIM_400000_NS6detail17trampoline_kernelINS0_14default_configENS1_25partition_config_selectorILNS1_17partition_subalgoE9EllbEEZZNS1_14partition_implILS5_9ELb0ES3_jPlS8_PNS0_10empty_typeENS0_5tupleIJS8_S9_EEENSB_IJS8_SA_EEENS0_18inequality_wrapperIZN2at6native12_GLOBAL__N_124unique_dim_cuda_templateIiEESt5tupleIJNSF_6TensorESK_SK_EERKSK_lbbbEUlllE0_EEPmJS9_EEE10hipError_tPvRmT3_T4_T5_T6_T7_T9_mT8_P12ihipStream_tbDpT10_ENKUlT_T0_E_clISt17integral_constantIbLb0EES19_IbLb1EEEEDaS15_S16_EUlS15_E_NS1_11comp_targetILNS1_3genE8ELNS1_11target_archE1030ELNS1_3gpuE2ELNS1_3repE0EEENS1_30default_config_static_selectorELNS0_4arch9wavefront6targetE1EEEvT1_,"axG",@progbits,_ZN7rocprim17ROCPRIM_400000_NS6detail17trampoline_kernelINS0_14default_configENS1_25partition_config_selectorILNS1_17partition_subalgoE9EllbEEZZNS1_14partition_implILS5_9ELb0ES3_jPlS8_PNS0_10empty_typeENS0_5tupleIJS8_S9_EEENSB_IJS8_SA_EEENS0_18inequality_wrapperIZN2at6native12_GLOBAL__N_124unique_dim_cuda_templateIiEESt5tupleIJNSF_6TensorESK_SK_EERKSK_lbbbEUlllE0_EEPmJS9_EEE10hipError_tPvRmT3_T4_T5_T6_T7_T9_mT8_P12ihipStream_tbDpT10_ENKUlT_T0_E_clISt17integral_constantIbLb0EES19_IbLb1EEEEDaS15_S16_EUlS15_E_NS1_11comp_targetILNS1_3genE8ELNS1_11target_archE1030ELNS1_3gpuE2ELNS1_3repE0EEENS1_30default_config_static_selectorELNS0_4arch9wavefront6targetE1EEEvT1_,comdat
	.globl	_ZN7rocprim17ROCPRIM_400000_NS6detail17trampoline_kernelINS0_14default_configENS1_25partition_config_selectorILNS1_17partition_subalgoE9EllbEEZZNS1_14partition_implILS5_9ELb0ES3_jPlS8_PNS0_10empty_typeENS0_5tupleIJS8_S9_EEENSB_IJS8_SA_EEENS0_18inequality_wrapperIZN2at6native12_GLOBAL__N_124unique_dim_cuda_templateIiEESt5tupleIJNSF_6TensorESK_SK_EERKSK_lbbbEUlllE0_EEPmJS9_EEE10hipError_tPvRmT3_T4_T5_T6_T7_T9_mT8_P12ihipStream_tbDpT10_ENKUlT_T0_E_clISt17integral_constantIbLb0EES19_IbLb1EEEEDaS15_S16_EUlS15_E_NS1_11comp_targetILNS1_3genE8ELNS1_11target_archE1030ELNS1_3gpuE2ELNS1_3repE0EEENS1_30default_config_static_selectorELNS0_4arch9wavefront6targetE1EEEvT1_ ; -- Begin function _ZN7rocprim17ROCPRIM_400000_NS6detail17trampoline_kernelINS0_14default_configENS1_25partition_config_selectorILNS1_17partition_subalgoE9EllbEEZZNS1_14partition_implILS5_9ELb0ES3_jPlS8_PNS0_10empty_typeENS0_5tupleIJS8_S9_EEENSB_IJS8_SA_EEENS0_18inequality_wrapperIZN2at6native12_GLOBAL__N_124unique_dim_cuda_templateIiEESt5tupleIJNSF_6TensorESK_SK_EERKSK_lbbbEUlllE0_EEPmJS9_EEE10hipError_tPvRmT3_T4_T5_T6_T7_T9_mT8_P12ihipStream_tbDpT10_ENKUlT_T0_E_clISt17integral_constantIbLb0EES19_IbLb1EEEEDaS15_S16_EUlS15_E_NS1_11comp_targetILNS1_3genE8ELNS1_11target_archE1030ELNS1_3gpuE2ELNS1_3repE0EEENS1_30default_config_static_selectorELNS0_4arch9wavefront6targetE1EEEvT1_
	.p2align	8
	.type	_ZN7rocprim17ROCPRIM_400000_NS6detail17trampoline_kernelINS0_14default_configENS1_25partition_config_selectorILNS1_17partition_subalgoE9EllbEEZZNS1_14partition_implILS5_9ELb0ES3_jPlS8_PNS0_10empty_typeENS0_5tupleIJS8_S9_EEENSB_IJS8_SA_EEENS0_18inequality_wrapperIZN2at6native12_GLOBAL__N_124unique_dim_cuda_templateIiEESt5tupleIJNSF_6TensorESK_SK_EERKSK_lbbbEUlllE0_EEPmJS9_EEE10hipError_tPvRmT3_T4_T5_T6_T7_T9_mT8_P12ihipStream_tbDpT10_ENKUlT_T0_E_clISt17integral_constantIbLb0EES19_IbLb1EEEEDaS15_S16_EUlS15_E_NS1_11comp_targetILNS1_3genE8ELNS1_11target_archE1030ELNS1_3gpuE2ELNS1_3repE0EEENS1_30default_config_static_selectorELNS0_4arch9wavefront6targetE1EEEvT1_,@function
_ZN7rocprim17ROCPRIM_400000_NS6detail17trampoline_kernelINS0_14default_configENS1_25partition_config_selectorILNS1_17partition_subalgoE9EllbEEZZNS1_14partition_implILS5_9ELb0ES3_jPlS8_PNS0_10empty_typeENS0_5tupleIJS8_S9_EEENSB_IJS8_SA_EEENS0_18inequality_wrapperIZN2at6native12_GLOBAL__N_124unique_dim_cuda_templateIiEESt5tupleIJNSF_6TensorESK_SK_EERKSK_lbbbEUlllE0_EEPmJS9_EEE10hipError_tPvRmT3_T4_T5_T6_T7_T9_mT8_P12ihipStream_tbDpT10_ENKUlT_T0_E_clISt17integral_constantIbLb0EES19_IbLb1EEEEDaS15_S16_EUlS15_E_NS1_11comp_targetILNS1_3genE8ELNS1_11target_archE1030ELNS1_3gpuE2ELNS1_3repE0EEENS1_30default_config_static_selectorELNS0_4arch9wavefront6targetE1EEEvT1_: ; @_ZN7rocprim17ROCPRIM_400000_NS6detail17trampoline_kernelINS0_14default_configENS1_25partition_config_selectorILNS1_17partition_subalgoE9EllbEEZZNS1_14partition_implILS5_9ELb0ES3_jPlS8_PNS0_10empty_typeENS0_5tupleIJS8_S9_EEENSB_IJS8_SA_EEENS0_18inequality_wrapperIZN2at6native12_GLOBAL__N_124unique_dim_cuda_templateIiEESt5tupleIJNSF_6TensorESK_SK_EERKSK_lbbbEUlllE0_EEPmJS9_EEE10hipError_tPvRmT3_T4_T5_T6_T7_T9_mT8_P12ihipStream_tbDpT10_ENKUlT_T0_E_clISt17integral_constantIbLb0EES19_IbLb1EEEEDaS15_S16_EUlS15_E_NS1_11comp_targetILNS1_3genE8ELNS1_11target_archE1030ELNS1_3gpuE2ELNS1_3repE0EEENS1_30default_config_static_selectorELNS0_4arch9wavefront6targetE1EEEvT1_
; %bb.0:
	.section	.rodata,"a",@progbits
	.p2align	6, 0x0
	.amdhsa_kernel _ZN7rocprim17ROCPRIM_400000_NS6detail17trampoline_kernelINS0_14default_configENS1_25partition_config_selectorILNS1_17partition_subalgoE9EllbEEZZNS1_14partition_implILS5_9ELb0ES3_jPlS8_PNS0_10empty_typeENS0_5tupleIJS8_S9_EEENSB_IJS8_SA_EEENS0_18inequality_wrapperIZN2at6native12_GLOBAL__N_124unique_dim_cuda_templateIiEESt5tupleIJNSF_6TensorESK_SK_EERKSK_lbbbEUlllE0_EEPmJS9_EEE10hipError_tPvRmT3_T4_T5_T6_T7_T9_mT8_P12ihipStream_tbDpT10_ENKUlT_T0_E_clISt17integral_constantIbLb0EES19_IbLb1EEEEDaS15_S16_EUlS15_E_NS1_11comp_targetILNS1_3genE8ELNS1_11target_archE1030ELNS1_3gpuE2ELNS1_3repE0EEENS1_30default_config_static_selectorELNS0_4arch9wavefront6targetE1EEEvT1_
		.amdhsa_group_segment_fixed_size 0
		.amdhsa_private_segment_fixed_size 0
		.amdhsa_kernarg_size 136
		.amdhsa_user_sgpr_count 2
		.amdhsa_user_sgpr_dispatch_ptr 0
		.amdhsa_user_sgpr_queue_ptr 0
		.amdhsa_user_sgpr_kernarg_segment_ptr 1
		.amdhsa_user_sgpr_dispatch_id 0
		.amdhsa_user_sgpr_kernarg_preload_length 0
		.amdhsa_user_sgpr_kernarg_preload_offset 0
		.amdhsa_user_sgpr_private_segment_size 0
		.amdhsa_uses_dynamic_stack 0
		.amdhsa_enable_private_segment 0
		.amdhsa_system_sgpr_workgroup_id_x 1
		.amdhsa_system_sgpr_workgroup_id_y 0
		.amdhsa_system_sgpr_workgroup_id_z 0
		.amdhsa_system_sgpr_workgroup_info 0
		.amdhsa_system_vgpr_workitem_id 0
		.amdhsa_next_free_vgpr 1
		.amdhsa_next_free_sgpr 0
		.amdhsa_accum_offset 4
		.amdhsa_reserve_vcc 0
		.amdhsa_float_round_mode_32 0
		.amdhsa_float_round_mode_16_64 0
		.amdhsa_float_denorm_mode_32 3
		.amdhsa_float_denorm_mode_16_64 3
		.amdhsa_dx10_clamp 1
		.amdhsa_ieee_mode 1
		.amdhsa_fp16_overflow 0
		.amdhsa_tg_split 0
		.amdhsa_exception_fp_ieee_invalid_op 0
		.amdhsa_exception_fp_denorm_src 0
		.amdhsa_exception_fp_ieee_div_zero 0
		.amdhsa_exception_fp_ieee_overflow 0
		.amdhsa_exception_fp_ieee_underflow 0
		.amdhsa_exception_fp_ieee_inexact 0
		.amdhsa_exception_int_div_zero 0
	.end_amdhsa_kernel
	.section	.text._ZN7rocprim17ROCPRIM_400000_NS6detail17trampoline_kernelINS0_14default_configENS1_25partition_config_selectorILNS1_17partition_subalgoE9EllbEEZZNS1_14partition_implILS5_9ELb0ES3_jPlS8_PNS0_10empty_typeENS0_5tupleIJS8_S9_EEENSB_IJS8_SA_EEENS0_18inequality_wrapperIZN2at6native12_GLOBAL__N_124unique_dim_cuda_templateIiEESt5tupleIJNSF_6TensorESK_SK_EERKSK_lbbbEUlllE0_EEPmJS9_EEE10hipError_tPvRmT3_T4_T5_T6_T7_T9_mT8_P12ihipStream_tbDpT10_ENKUlT_T0_E_clISt17integral_constantIbLb0EES19_IbLb1EEEEDaS15_S16_EUlS15_E_NS1_11comp_targetILNS1_3genE8ELNS1_11target_archE1030ELNS1_3gpuE2ELNS1_3repE0EEENS1_30default_config_static_selectorELNS0_4arch9wavefront6targetE1EEEvT1_,"axG",@progbits,_ZN7rocprim17ROCPRIM_400000_NS6detail17trampoline_kernelINS0_14default_configENS1_25partition_config_selectorILNS1_17partition_subalgoE9EllbEEZZNS1_14partition_implILS5_9ELb0ES3_jPlS8_PNS0_10empty_typeENS0_5tupleIJS8_S9_EEENSB_IJS8_SA_EEENS0_18inequality_wrapperIZN2at6native12_GLOBAL__N_124unique_dim_cuda_templateIiEESt5tupleIJNSF_6TensorESK_SK_EERKSK_lbbbEUlllE0_EEPmJS9_EEE10hipError_tPvRmT3_T4_T5_T6_T7_T9_mT8_P12ihipStream_tbDpT10_ENKUlT_T0_E_clISt17integral_constantIbLb0EES19_IbLb1EEEEDaS15_S16_EUlS15_E_NS1_11comp_targetILNS1_3genE8ELNS1_11target_archE1030ELNS1_3gpuE2ELNS1_3repE0EEENS1_30default_config_static_selectorELNS0_4arch9wavefront6targetE1EEEvT1_,comdat
.Lfunc_end504:
	.size	_ZN7rocprim17ROCPRIM_400000_NS6detail17trampoline_kernelINS0_14default_configENS1_25partition_config_selectorILNS1_17partition_subalgoE9EllbEEZZNS1_14partition_implILS5_9ELb0ES3_jPlS8_PNS0_10empty_typeENS0_5tupleIJS8_S9_EEENSB_IJS8_SA_EEENS0_18inequality_wrapperIZN2at6native12_GLOBAL__N_124unique_dim_cuda_templateIiEESt5tupleIJNSF_6TensorESK_SK_EERKSK_lbbbEUlllE0_EEPmJS9_EEE10hipError_tPvRmT3_T4_T5_T6_T7_T9_mT8_P12ihipStream_tbDpT10_ENKUlT_T0_E_clISt17integral_constantIbLb0EES19_IbLb1EEEEDaS15_S16_EUlS15_E_NS1_11comp_targetILNS1_3genE8ELNS1_11target_archE1030ELNS1_3gpuE2ELNS1_3repE0EEENS1_30default_config_static_selectorELNS0_4arch9wavefront6targetE1EEEvT1_, .Lfunc_end504-_ZN7rocprim17ROCPRIM_400000_NS6detail17trampoline_kernelINS0_14default_configENS1_25partition_config_selectorILNS1_17partition_subalgoE9EllbEEZZNS1_14partition_implILS5_9ELb0ES3_jPlS8_PNS0_10empty_typeENS0_5tupleIJS8_S9_EEENSB_IJS8_SA_EEENS0_18inequality_wrapperIZN2at6native12_GLOBAL__N_124unique_dim_cuda_templateIiEESt5tupleIJNSF_6TensorESK_SK_EERKSK_lbbbEUlllE0_EEPmJS9_EEE10hipError_tPvRmT3_T4_T5_T6_T7_T9_mT8_P12ihipStream_tbDpT10_ENKUlT_T0_E_clISt17integral_constantIbLb0EES19_IbLb1EEEEDaS15_S16_EUlS15_E_NS1_11comp_targetILNS1_3genE8ELNS1_11target_archE1030ELNS1_3gpuE2ELNS1_3repE0EEENS1_30default_config_static_selectorELNS0_4arch9wavefront6targetE1EEEvT1_
                                        ; -- End function
	.set _ZN7rocprim17ROCPRIM_400000_NS6detail17trampoline_kernelINS0_14default_configENS1_25partition_config_selectorILNS1_17partition_subalgoE9EllbEEZZNS1_14partition_implILS5_9ELb0ES3_jPlS8_PNS0_10empty_typeENS0_5tupleIJS8_S9_EEENSB_IJS8_SA_EEENS0_18inequality_wrapperIZN2at6native12_GLOBAL__N_124unique_dim_cuda_templateIiEESt5tupleIJNSF_6TensorESK_SK_EERKSK_lbbbEUlllE0_EEPmJS9_EEE10hipError_tPvRmT3_T4_T5_T6_T7_T9_mT8_P12ihipStream_tbDpT10_ENKUlT_T0_E_clISt17integral_constantIbLb0EES19_IbLb1EEEEDaS15_S16_EUlS15_E_NS1_11comp_targetILNS1_3genE8ELNS1_11target_archE1030ELNS1_3gpuE2ELNS1_3repE0EEENS1_30default_config_static_selectorELNS0_4arch9wavefront6targetE1EEEvT1_.num_vgpr, 0
	.set _ZN7rocprim17ROCPRIM_400000_NS6detail17trampoline_kernelINS0_14default_configENS1_25partition_config_selectorILNS1_17partition_subalgoE9EllbEEZZNS1_14partition_implILS5_9ELb0ES3_jPlS8_PNS0_10empty_typeENS0_5tupleIJS8_S9_EEENSB_IJS8_SA_EEENS0_18inequality_wrapperIZN2at6native12_GLOBAL__N_124unique_dim_cuda_templateIiEESt5tupleIJNSF_6TensorESK_SK_EERKSK_lbbbEUlllE0_EEPmJS9_EEE10hipError_tPvRmT3_T4_T5_T6_T7_T9_mT8_P12ihipStream_tbDpT10_ENKUlT_T0_E_clISt17integral_constantIbLb0EES19_IbLb1EEEEDaS15_S16_EUlS15_E_NS1_11comp_targetILNS1_3genE8ELNS1_11target_archE1030ELNS1_3gpuE2ELNS1_3repE0EEENS1_30default_config_static_selectorELNS0_4arch9wavefront6targetE1EEEvT1_.num_agpr, 0
	.set _ZN7rocprim17ROCPRIM_400000_NS6detail17trampoline_kernelINS0_14default_configENS1_25partition_config_selectorILNS1_17partition_subalgoE9EllbEEZZNS1_14partition_implILS5_9ELb0ES3_jPlS8_PNS0_10empty_typeENS0_5tupleIJS8_S9_EEENSB_IJS8_SA_EEENS0_18inequality_wrapperIZN2at6native12_GLOBAL__N_124unique_dim_cuda_templateIiEESt5tupleIJNSF_6TensorESK_SK_EERKSK_lbbbEUlllE0_EEPmJS9_EEE10hipError_tPvRmT3_T4_T5_T6_T7_T9_mT8_P12ihipStream_tbDpT10_ENKUlT_T0_E_clISt17integral_constantIbLb0EES19_IbLb1EEEEDaS15_S16_EUlS15_E_NS1_11comp_targetILNS1_3genE8ELNS1_11target_archE1030ELNS1_3gpuE2ELNS1_3repE0EEENS1_30default_config_static_selectorELNS0_4arch9wavefront6targetE1EEEvT1_.numbered_sgpr, 0
	.set _ZN7rocprim17ROCPRIM_400000_NS6detail17trampoline_kernelINS0_14default_configENS1_25partition_config_selectorILNS1_17partition_subalgoE9EllbEEZZNS1_14partition_implILS5_9ELb0ES3_jPlS8_PNS0_10empty_typeENS0_5tupleIJS8_S9_EEENSB_IJS8_SA_EEENS0_18inequality_wrapperIZN2at6native12_GLOBAL__N_124unique_dim_cuda_templateIiEESt5tupleIJNSF_6TensorESK_SK_EERKSK_lbbbEUlllE0_EEPmJS9_EEE10hipError_tPvRmT3_T4_T5_T6_T7_T9_mT8_P12ihipStream_tbDpT10_ENKUlT_T0_E_clISt17integral_constantIbLb0EES19_IbLb1EEEEDaS15_S16_EUlS15_E_NS1_11comp_targetILNS1_3genE8ELNS1_11target_archE1030ELNS1_3gpuE2ELNS1_3repE0EEENS1_30default_config_static_selectorELNS0_4arch9wavefront6targetE1EEEvT1_.num_named_barrier, 0
	.set _ZN7rocprim17ROCPRIM_400000_NS6detail17trampoline_kernelINS0_14default_configENS1_25partition_config_selectorILNS1_17partition_subalgoE9EllbEEZZNS1_14partition_implILS5_9ELb0ES3_jPlS8_PNS0_10empty_typeENS0_5tupleIJS8_S9_EEENSB_IJS8_SA_EEENS0_18inequality_wrapperIZN2at6native12_GLOBAL__N_124unique_dim_cuda_templateIiEESt5tupleIJNSF_6TensorESK_SK_EERKSK_lbbbEUlllE0_EEPmJS9_EEE10hipError_tPvRmT3_T4_T5_T6_T7_T9_mT8_P12ihipStream_tbDpT10_ENKUlT_T0_E_clISt17integral_constantIbLb0EES19_IbLb1EEEEDaS15_S16_EUlS15_E_NS1_11comp_targetILNS1_3genE8ELNS1_11target_archE1030ELNS1_3gpuE2ELNS1_3repE0EEENS1_30default_config_static_selectorELNS0_4arch9wavefront6targetE1EEEvT1_.private_seg_size, 0
	.set _ZN7rocprim17ROCPRIM_400000_NS6detail17trampoline_kernelINS0_14default_configENS1_25partition_config_selectorILNS1_17partition_subalgoE9EllbEEZZNS1_14partition_implILS5_9ELb0ES3_jPlS8_PNS0_10empty_typeENS0_5tupleIJS8_S9_EEENSB_IJS8_SA_EEENS0_18inequality_wrapperIZN2at6native12_GLOBAL__N_124unique_dim_cuda_templateIiEESt5tupleIJNSF_6TensorESK_SK_EERKSK_lbbbEUlllE0_EEPmJS9_EEE10hipError_tPvRmT3_T4_T5_T6_T7_T9_mT8_P12ihipStream_tbDpT10_ENKUlT_T0_E_clISt17integral_constantIbLb0EES19_IbLb1EEEEDaS15_S16_EUlS15_E_NS1_11comp_targetILNS1_3genE8ELNS1_11target_archE1030ELNS1_3gpuE2ELNS1_3repE0EEENS1_30default_config_static_selectorELNS0_4arch9wavefront6targetE1EEEvT1_.uses_vcc, 0
	.set _ZN7rocprim17ROCPRIM_400000_NS6detail17trampoline_kernelINS0_14default_configENS1_25partition_config_selectorILNS1_17partition_subalgoE9EllbEEZZNS1_14partition_implILS5_9ELb0ES3_jPlS8_PNS0_10empty_typeENS0_5tupleIJS8_S9_EEENSB_IJS8_SA_EEENS0_18inequality_wrapperIZN2at6native12_GLOBAL__N_124unique_dim_cuda_templateIiEESt5tupleIJNSF_6TensorESK_SK_EERKSK_lbbbEUlllE0_EEPmJS9_EEE10hipError_tPvRmT3_T4_T5_T6_T7_T9_mT8_P12ihipStream_tbDpT10_ENKUlT_T0_E_clISt17integral_constantIbLb0EES19_IbLb1EEEEDaS15_S16_EUlS15_E_NS1_11comp_targetILNS1_3genE8ELNS1_11target_archE1030ELNS1_3gpuE2ELNS1_3repE0EEENS1_30default_config_static_selectorELNS0_4arch9wavefront6targetE1EEEvT1_.uses_flat_scratch, 0
	.set _ZN7rocprim17ROCPRIM_400000_NS6detail17trampoline_kernelINS0_14default_configENS1_25partition_config_selectorILNS1_17partition_subalgoE9EllbEEZZNS1_14partition_implILS5_9ELb0ES3_jPlS8_PNS0_10empty_typeENS0_5tupleIJS8_S9_EEENSB_IJS8_SA_EEENS0_18inequality_wrapperIZN2at6native12_GLOBAL__N_124unique_dim_cuda_templateIiEESt5tupleIJNSF_6TensorESK_SK_EERKSK_lbbbEUlllE0_EEPmJS9_EEE10hipError_tPvRmT3_T4_T5_T6_T7_T9_mT8_P12ihipStream_tbDpT10_ENKUlT_T0_E_clISt17integral_constantIbLb0EES19_IbLb1EEEEDaS15_S16_EUlS15_E_NS1_11comp_targetILNS1_3genE8ELNS1_11target_archE1030ELNS1_3gpuE2ELNS1_3repE0EEENS1_30default_config_static_selectorELNS0_4arch9wavefront6targetE1EEEvT1_.has_dyn_sized_stack, 0
	.set _ZN7rocprim17ROCPRIM_400000_NS6detail17trampoline_kernelINS0_14default_configENS1_25partition_config_selectorILNS1_17partition_subalgoE9EllbEEZZNS1_14partition_implILS5_9ELb0ES3_jPlS8_PNS0_10empty_typeENS0_5tupleIJS8_S9_EEENSB_IJS8_SA_EEENS0_18inequality_wrapperIZN2at6native12_GLOBAL__N_124unique_dim_cuda_templateIiEESt5tupleIJNSF_6TensorESK_SK_EERKSK_lbbbEUlllE0_EEPmJS9_EEE10hipError_tPvRmT3_T4_T5_T6_T7_T9_mT8_P12ihipStream_tbDpT10_ENKUlT_T0_E_clISt17integral_constantIbLb0EES19_IbLb1EEEEDaS15_S16_EUlS15_E_NS1_11comp_targetILNS1_3genE8ELNS1_11target_archE1030ELNS1_3gpuE2ELNS1_3repE0EEENS1_30default_config_static_selectorELNS0_4arch9wavefront6targetE1EEEvT1_.has_recursion, 0
	.set _ZN7rocprim17ROCPRIM_400000_NS6detail17trampoline_kernelINS0_14default_configENS1_25partition_config_selectorILNS1_17partition_subalgoE9EllbEEZZNS1_14partition_implILS5_9ELb0ES3_jPlS8_PNS0_10empty_typeENS0_5tupleIJS8_S9_EEENSB_IJS8_SA_EEENS0_18inequality_wrapperIZN2at6native12_GLOBAL__N_124unique_dim_cuda_templateIiEESt5tupleIJNSF_6TensorESK_SK_EERKSK_lbbbEUlllE0_EEPmJS9_EEE10hipError_tPvRmT3_T4_T5_T6_T7_T9_mT8_P12ihipStream_tbDpT10_ENKUlT_T0_E_clISt17integral_constantIbLb0EES19_IbLb1EEEEDaS15_S16_EUlS15_E_NS1_11comp_targetILNS1_3genE8ELNS1_11target_archE1030ELNS1_3gpuE2ELNS1_3repE0EEENS1_30default_config_static_selectorELNS0_4arch9wavefront6targetE1EEEvT1_.has_indirect_call, 0
	.section	.AMDGPU.csdata,"",@progbits
; Kernel info:
; codeLenInByte = 0
; TotalNumSgprs: 6
; NumVgprs: 0
; NumAgprs: 0
; TotalNumVgprs: 0
; ScratchSize: 0
; MemoryBound: 0
; FloatMode: 240
; IeeeMode: 1
; LDSByteSize: 0 bytes/workgroup (compile time only)
; SGPRBlocks: 0
; VGPRBlocks: 0
; NumSGPRsForWavesPerEU: 6
; NumVGPRsForWavesPerEU: 1
; AccumOffset: 4
; Occupancy: 8
; WaveLimiterHint : 0
; COMPUTE_PGM_RSRC2:SCRATCH_EN: 0
; COMPUTE_PGM_RSRC2:USER_SGPR: 2
; COMPUTE_PGM_RSRC2:TRAP_HANDLER: 0
; COMPUTE_PGM_RSRC2:TGID_X_EN: 1
; COMPUTE_PGM_RSRC2:TGID_Y_EN: 0
; COMPUTE_PGM_RSRC2:TGID_Z_EN: 0
; COMPUTE_PGM_RSRC2:TIDIG_COMP_CNT: 0
; COMPUTE_PGM_RSRC3_GFX90A:ACCUM_OFFSET: 0
; COMPUTE_PGM_RSRC3_GFX90A:TG_SPLIT: 0
	.section	.text._ZN7rocprim17ROCPRIM_400000_NS6detail17trampoline_kernelINS0_14default_configENS1_37merge_sort_block_sort_config_selectorIlNS0_10empty_typeEEEZNS1_21merge_sort_block_sortIS3_PlS8_PS5_S9_ZN2at6native12_GLOBAL__N_124unique_dim_cuda_templateIlEESt5tupleIJNSA_6TensorESF_SF_EERKSF_lbbbEUlllE_EE10hipError_tT0_T1_T2_T3_mRjT4_P12ihipStream_tbNS1_7vsmem_tEEUlT_E_NS1_11comp_targetILNS1_3genE0ELNS1_11target_archE4294967295ELNS1_3gpuE0ELNS1_3repE0EEENS1_30default_config_static_selectorELNS0_4arch9wavefront6targetE1EEEvSM_,"axG",@progbits,_ZN7rocprim17ROCPRIM_400000_NS6detail17trampoline_kernelINS0_14default_configENS1_37merge_sort_block_sort_config_selectorIlNS0_10empty_typeEEEZNS1_21merge_sort_block_sortIS3_PlS8_PS5_S9_ZN2at6native12_GLOBAL__N_124unique_dim_cuda_templateIlEESt5tupleIJNSA_6TensorESF_SF_EERKSF_lbbbEUlllE_EE10hipError_tT0_T1_T2_T3_mRjT4_P12ihipStream_tbNS1_7vsmem_tEEUlT_E_NS1_11comp_targetILNS1_3genE0ELNS1_11target_archE4294967295ELNS1_3gpuE0ELNS1_3repE0EEENS1_30default_config_static_selectorELNS0_4arch9wavefront6targetE1EEEvSM_,comdat
	.globl	_ZN7rocprim17ROCPRIM_400000_NS6detail17trampoline_kernelINS0_14default_configENS1_37merge_sort_block_sort_config_selectorIlNS0_10empty_typeEEEZNS1_21merge_sort_block_sortIS3_PlS8_PS5_S9_ZN2at6native12_GLOBAL__N_124unique_dim_cuda_templateIlEESt5tupleIJNSA_6TensorESF_SF_EERKSF_lbbbEUlllE_EE10hipError_tT0_T1_T2_T3_mRjT4_P12ihipStream_tbNS1_7vsmem_tEEUlT_E_NS1_11comp_targetILNS1_3genE0ELNS1_11target_archE4294967295ELNS1_3gpuE0ELNS1_3repE0EEENS1_30default_config_static_selectorELNS0_4arch9wavefront6targetE1EEEvSM_ ; -- Begin function _ZN7rocprim17ROCPRIM_400000_NS6detail17trampoline_kernelINS0_14default_configENS1_37merge_sort_block_sort_config_selectorIlNS0_10empty_typeEEEZNS1_21merge_sort_block_sortIS3_PlS8_PS5_S9_ZN2at6native12_GLOBAL__N_124unique_dim_cuda_templateIlEESt5tupleIJNSA_6TensorESF_SF_EERKSF_lbbbEUlllE_EE10hipError_tT0_T1_T2_T3_mRjT4_P12ihipStream_tbNS1_7vsmem_tEEUlT_E_NS1_11comp_targetILNS1_3genE0ELNS1_11target_archE4294967295ELNS1_3gpuE0ELNS1_3repE0EEENS1_30default_config_static_selectorELNS0_4arch9wavefront6targetE1EEEvSM_
	.p2align	8
	.type	_ZN7rocprim17ROCPRIM_400000_NS6detail17trampoline_kernelINS0_14default_configENS1_37merge_sort_block_sort_config_selectorIlNS0_10empty_typeEEEZNS1_21merge_sort_block_sortIS3_PlS8_PS5_S9_ZN2at6native12_GLOBAL__N_124unique_dim_cuda_templateIlEESt5tupleIJNSA_6TensorESF_SF_EERKSF_lbbbEUlllE_EE10hipError_tT0_T1_T2_T3_mRjT4_P12ihipStream_tbNS1_7vsmem_tEEUlT_E_NS1_11comp_targetILNS1_3genE0ELNS1_11target_archE4294967295ELNS1_3gpuE0ELNS1_3repE0EEENS1_30default_config_static_selectorELNS0_4arch9wavefront6targetE1EEEvSM_,@function
_ZN7rocprim17ROCPRIM_400000_NS6detail17trampoline_kernelINS0_14default_configENS1_37merge_sort_block_sort_config_selectorIlNS0_10empty_typeEEEZNS1_21merge_sort_block_sortIS3_PlS8_PS5_S9_ZN2at6native12_GLOBAL__N_124unique_dim_cuda_templateIlEESt5tupleIJNSA_6TensorESF_SF_EERKSF_lbbbEUlllE_EE10hipError_tT0_T1_T2_T3_mRjT4_P12ihipStream_tbNS1_7vsmem_tEEUlT_E_NS1_11comp_targetILNS1_3genE0ELNS1_11target_archE4294967295ELNS1_3gpuE0ELNS1_3repE0EEENS1_30default_config_static_selectorELNS0_4arch9wavefront6targetE1EEEvSM_: ; @_ZN7rocprim17ROCPRIM_400000_NS6detail17trampoline_kernelINS0_14default_configENS1_37merge_sort_block_sort_config_selectorIlNS0_10empty_typeEEEZNS1_21merge_sort_block_sortIS3_PlS8_PS5_S9_ZN2at6native12_GLOBAL__N_124unique_dim_cuda_templateIlEESt5tupleIJNSA_6TensorESF_SF_EERKSF_lbbbEUlllE_EE10hipError_tT0_T1_T2_T3_mRjT4_P12ihipStream_tbNS1_7vsmem_tEEUlT_E_NS1_11comp_targetILNS1_3genE0ELNS1_11target_archE4294967295ELNS1_3gpuE0ELNS1_3repE0EEENS1_30default_config_static_selectorELNS0_4arch9wavefront6targetE1EEEvSM_
; %bb.0:
	s_mov_b32 s14, s2
	s_load_dwordx2 s[18:19], s[0:1], 0x48
	s_load_dword s2, s[0:1], 0x0
	s_add_u32 s16, s0, 0x48
	s_addc_u32 s17, s1, 0
	s_waitcnt lgkmcnt(0)
	s_mul_i32 s4, s19, s4
	s_add_i32 s3, s4, s3
	s_mul_i32 s3, s3, s18
	s_add_i32 s6, s3, s14
	s_cmp_ge_u32 s6, s2
	s_cbranch_scc1 .LBB505_1484
; %bb.1:
	s_load_dwordx2 s[8:9], s[0:1], 0x8
	s_load_dwordx4 s[20:23], s[0:1], 0x18
	s_load_dwordx4 s[36:39], s[0:1], 0x38
	s_mov_b32 s7, 0
	s_lshl_b64 s[2:3], s[6:7], 14
	s_waitcnt lgkmcnt(0)
	s_lshr_b64 s[0:1], s[8:9], 11
	s_add_u32 s20, s20, s2
	s_addc_u32 s21, s21, s3
	s_add_u32 s34, s22, s2
	s_addc_u32 s35, s23, s3
	s_cmp_lg_u64 s[0:1], s[6:7]
	v_and_b32_e32 v18, 0x3ff, v0
	s_cbranch_scc0 .LBB505_8
; %bb.2:
	v_mov_b32_e32 v19, 0
	v_lshlrev_b32_e32 v20, 3, v18
	v_mov_b32_e32 v21, v19
	v_lshl_add_u64 v[2:3], s[20:21], 0, v[20:21]
	v_add_co_u32_e32 v8, vcc, 0x1000, v2
	global_load_dwordx2 v[4:5], v20, s[20:21]
	global_load_dwordx2 v[6:7], v20, s[20:21] offset:2048
	v_addc_co_u32_e32 v9, vcc, 0, v3, vcc
	v_add_co_u32_e32 v10, vcc, 0x2000, v2
	v_lshrrev_b32_e32 v1, 2, v18
	s_nop 0
	v_addc_co_u32_e32 v11, vcc, 0, v3, vcc
	v_add_co_u32_e32 v2, vcc, 0x3000, v2
	global_load_dwordx2 v[12:13], v[8:9], off
	global_load_dwordx2 v[14:15], v[8:9], off offset:2048
	global_load_dwordx2 v[16:17], v[10:11], off
	global_load_dwordx2 v[22:23], v[10:11], off offset:2048
	v_addc_co_u32_e32 v3, vcc, 0, v3, vcc
	global_load_dwordx2 v[8:9], v[2:3], off
	global_load_dwordx2 v[10:11], v[2:3], off offset:2048
	v_add_u32_e32 v2, 0x100, v18
	v_add_u32_e32 v3, 0x200, v18
	;; [unrolled: 1-line block ×3, first 2 shown]
	v_or_b32_e32 v24, 0x400, v18
	v_add_u32_e32 v25, 0x500, v18
	v_add_u32_e32 v26, 0x600, v18
	;; [unrolled: 1-line block ×3, first 2 shown]
	v_lshlrev_b32_e32 v28, 1, v18
	v_and_b32_e32 v1, 0xf8, v1
	v_lshrrev_b32_e32 v2, 2, v2
	v_lshrrev_b32_e32 v3, 2, v3
	;; [unrolled: 1-line block ×7, first 2 shown]
	v_and_b32_e32 v28, 0x7f8, v28
	v_add_u32_e32 v1, v1, v20
	v_and_b32_e32 v2, 0x1f8, v2
	v_and_b32_e32 v3, 0x1f8, v3
	;; [unrolled: 1-line block ×7, first 2 shown]
	v_lshl_add_u32 v34, v18, 6, v28
	v_add_u32_e32 v21, v2, v20
	v_add_u32_e32 v28, v3, v20
	;; [unrolled: 1-line block ×7, first 2 shown]
	v_bfe_u32 v24, v0, 20, 10
	v_cmp_gt_i64_e64 s[12:13], s[36:37], 0
	s_waitcnt vmcnt(7)
	ds_write_b64 v1, v[4:5]
	s_waitcnt vmcnt(6)
	ds_write_b64 v21, v[6:7] offset:2048
	s_waitcnt vmcnt(5)
	ds_write_b64 v28, v[12:13] offset:4096
	;; [unrolled: 2-line block ×7, first 2 shown]
	s_waitcnt lgkmcnt(0)
	s_barrier
	ds_read2_b64 v[14:17], v34 offset1:1
	ds_read2_b64 v[10:13], v34 offset0:2 offset1:3
	ds_read2_b64 v[6:9], v34 offset0:4 offset1:5
	;; [unrolled: 1-line block ×3, first 2 shown]
	s_waitcnt lgkmcnt(0)
	s_barrier
	s_load_dword s0, s[16:17], 0xc
	v_bfe_u32 v23, v0, 10, 10
	v_cndmask_b32_e64 v25, 0, 1, s[12:13]
	s_waitcnt lgkmcnt(0)
	s_lshr_b32 s2, s0, 16
	s_cmp_lt_u32 s14, s18
	s_cselect_b32 s0, 12, 18
	s_add_u32 s0, s16, s0
	s_addc_u32 s1, s17, 0
	global_load_ushort v22, v19, s[0:1]
	v_mad_u32_u24 v23, v24, s2, v23
	s_movk_i32 s0, 0x800
	s_waitcnt vmcnt(0)
	v_mul_lo_u32 v22, v23, v22
	v_add_lshl_u32 v26, v22, v18, 3
	v_cmp_gt_u32_e32 vcc, s0, v26
	v_cmp_ne_u32_e64 s[0:1], 1, v25
	s_and_saveexec_b64 s[10:11], vcc
	s_cbranch_execz .LBB505_188
; %bb.3:
	s_and_b64 vcc, exec, s[0:1]
	s_cbranch_vccnz .LBB505_18
; %bb.4:
	v_mul_lo_u32 v24, v17, s36
	v_mul_lo_u32 v25, v16, s37
	v_mad_u64_u32 v[22:23], s[2:3], v16, s36, 0
	v_add3_u32 v23, v23, v25, v24
	v_mul_lo_u32 v27, v15, s36
	v_mul_lo_u32 v35, v14, s37
	v_mad_u64_u32 v[24:25], s[2:3], v14, s36, 0
	v_add3_u32 v25, v25, v35, v27
	v_lshl_add_u64 v[22:23], v[22:23], 3, s[38:39]
	v_lshl_add_u64 v[24:25], v[24:25], 3, s[38:39]
	s_mov_b64 s[24:25], 0
	s_mov_b64 s[42:43], s[36:37]
                                        ; implicit-def: $sgpr22_sgpr23
                                        ; implicit-def: $sgpr26_sgpr27
                                        ; implicit-def: $sgpr30_sgpr31
                                        ; implicit-def: $sgpr28_sgpr29
                                        ; implicit-def: $sgpr40_sgpr41
	s_branch .LBB505_6
.LBB505_5:                              ;   in Loop: Header=BB505_6 Depth=1
	s_or_b64 exec, exec, s[44:45]
	s_and_b64 s[2:3], s[2:3], s[40:41]
	s_or_b64 s[2:3], vcc, s[2:3]
	s_and_b64 s[4:5], exec, s[30:31]
	s_or_b64 s[24:25], s[4:5], s[24:25]
	s_andn2_b64 s[4:5], s[40:41], exec
	s_and_b64 s[2:3], s[2:3], exec
	s_or_b64 s[40:41], s[4:5], s[2:3]
	s_andn2_b64 s[4:5], s[26:27], exec
	s_and_b64 s[26:27], s[28:29], exec
	s_or_b64 s[26:27], s[4:5], s[26:27]
	s_andn2_b64 s[4:5], s[22:23], exec
	s_or_b64 s[22:23], s[4:5], s[2:3]
	s_andn2_b64 exec, exec, s[24:25]
	s_cbranch_execz .LBB505_9
.LBB505_6:                              ; =>This Inner Loop Header: Depth=1
	global_load_dwordx2 v[36:37], v[22:23], off
	global_load_dwordx2 v[38:39], v[24:25], off
	s_or_b64 s[28:29], s[28:29], exec
	s_or_b64 s[30:31], s[30:31], exec
	s_waitcnt vmcnt(0)
	v_cmp_lt_i64_e32 vcc, v[36:37], v[38:39]
	v_cmp_le_i64_e64 s[2:3], v[36:37], v[38:39]
	v_cmp_eq_u64_e64 s[4:5], v[36:37], v[38:39]
	s_and_saveexec_b64 s[44:45], s[4:5]
	s_cbranch_execz .LBB505_5
; %bb.7:                                ;   in Loop: Header=BB505_6 Depth=1
	s_add_u32 s42, s42, -1
	s_addc_u32 s43, s43, -1
	s_cmp_eq_u64 s[42:43], 0
	s_cselect_b64 s[4:5], -1, 0
	s_andn2_b64 s[30:31], s[30:31], exec
	s_and_b64 s[4:5], s[4:5], exec
	v_lshl_add_u64 v[22:23], v[22:23], 0, 8
	v_lshl_add_u64 v[24:25], v[24:25], 0, 8
	s_andn2_b64 s[28:29], s[28:29], exec
	s_or_b64 s[30:31], s[30:31], s[4:5]
	s_branch .LBB505_5
.LBB505_8:
	s_mov_b64 s[40:41], 0
                                        ; implicit-def: $vgpr14_vgpr15
	s_cbranch_execnz .LBB505_697
	s_branch .LBB505_1482
.LBB505_9:
	s_or_b64 exec, exec, s[24:25]
	s_and_saveexec_b64 s[2:3], s[26:27]
	s_xor_b64 s[2:3], exec, s[2:3]
; %bb.10:
	v_cndmask_b32_e64 v23, v17, v15, s[22:23]
	v_cndmask_b32_e64 v22, v16, v14, s[22:23]
	v_cndmask_b32_e64 v15, v15, v17, s[22:23]
	v_cndmask_b32_e64 v14, v14, v16, s[22:23]
	v_mov_b64_e32 v[16:17], v[22:23]
; %bb.11:
	s_or_b64 exec, exec, s[2:3]
	v_mul_lo_u32 v24, v13, s36
	v_mul_lo_u32 v25, v12, s37
	v_mad_u64_u32 v[22:23], s[2:3], v12, s36, 0
	v_add3_u32 v23, v23, v25, v24
	v_mul_lo_u32 v27, v11, s36
	v_mul_lo_u32 v35, v10, s37
	v_mad_u64_u32 v[24:25], s[2:3], v10, s36, 0
	v_add3_u32 v25, v25, v35, v27
	v_lshl_add_u64 v[22:23], v[22:23], 3, s[38:39]
	v_lshl_add_u64 v[24:25], v[24:25], 3, s[38:39]
	s_mov_b64 s[26:27], 0
	s_mov_b64 s[42:43], s[36:37]
                                        ; implicit-def: $sgpr22_sgpr23
                                        ; implicit-def: $sgpr24_sgpr25
                                        ; implicit-def: $sgpr30_sgpr31
                                        ; implicit-def: $sgpr28_sgpr29
                                        ; implicit-def: $sgpr40_sgpr41
	s_branch .LBB505_13
.LBB505_12:                             ;   in Loop: Header=BB505_13 Depth=1
	s_or_b64 exec, exec, s[44:45]
	s_and_b64 s[2:3], s[2:3], s[40:41]
	s_or_b64 s[2:3], vcc, s[2:3]
	s_and_b64 s[4:5], exec, s[30:31]
	s_or_b64 s[26:27], s[4:5], s[26:27]
	s_andn2_b64 s[4:5], s[40:41], exec
	s_and_b64 s[2:3], s[2:3], exec
	s_or_b64 s[40:41], s[4:5], s[2:3]
	s_andn2_b64 s[4:5], s[24:25], exec
	s_and_b64 s[24:25], s[28:29], exec
	s_or_b64 s[24:25], s[4:5], s[24:25]
	s_andn2_b64 s[4:5], s[22:23], exec
	s_or_b64 s[22:23], s[4:5], s[2:3]
	s_andn2_b64 exec, exec, s[26:27]
	s_cbranch_execz .LBB505_15
.LBB505_13:                             ; =>This Inner Loop Header: Depth=1
	global_load_dwordx2 v[36:37], v[22:23], off
	global_load_dwordx2 v[38:39], v[24:25], off
	s_or_b64 s[28:29], s[28:29], exec
	s_or_b64 s[30:31], s[30:31], exec
	s_waitcnt vmcnt(0)
	v_cmp_lt_i64_e32 vcc, v[36:37], v[38:39]
	v_cmp_le_i64_e64 s[2:3], v[36:37], v[38:39]
	v_cmp_eq_u64_e64 s[4:5], v[36:37], v[38:39]
	s_and_saveexec_b64 s[44:45], s[4:5]
	s_cbranch_execz .LBB505_12
; %bb.14:                               ;   in Loop: Header=BB505_13 Depth=1
	s_add_u32 s42, s42, -1
	s_addc_u32 s43, s43, -1
	s_cmp_eq_u64 s[42:43], 0
	s_cselect_b64 s[4:5], -1, 0
	s_andn2_b64 s[30:31], s[30:31], exec
	s_and_b64 s[4:5], s[4:5], exec
	v_lshl_add_u64 v[22:23], v[22:23], 0, 8
	v_lshl_add_u64 v[24:25], v[24:25], 0, 8
	s_andn2_b64 s[28:29], s[28:29], exec
	s_or_b64 s[30:31], s[30:31], s[4:5]
	s_branch .LBB505_12
.LBB505_15:
	s_or_b64 exec, exec, s[26:27]
	s_and_saveexec_b64 s[2:3], s[24:25]
	s_xor_b64 s[2:3], exec, s[2:3]
; %bb.16:
	v_cndmask_b32_e64 v23, v11, v13, s[22:23]
	v_cndmask_b32_e64 v22, v10, v12, s[22:23]
	;; [unrolled: 1-line block ×4, first 2 shown]
	v_mov_b64_e32 v[10:11], v[22:23]
; %bb.17:
	s_or_b64 exec, exec, s[2:3]
.LBB505_18:
	s_and_b64 vcc, exec, s[0:1]
	s_cbranch_vccnz .LBB505_32
; %bb.19:
	v_mul_lo_u32 v24, v9, s36
	v_mul_lo_u32 v25, v8, s37
	v_mad_u64_u32 v[22:23], s[2:3], v8, s36, 0
	v_add3_u32 v23, v23, v25, v24
	v_mul_lo_u32 v27, v7, s36
	v_mul_lo_u32 v35, v6, s37
	v_mad_u64_u32 v[24:25], s[2:3], v6, s36, 0
	v_add3_u32 v25, v25, v35, v27
	v_lshl_add_u64 v[22:23], v[22:23], 3, s[38:39]
	v_lshl_add_u64 v[24:25], v[24:25], 3, s[38:39]
	s_mov_b64 s[24:25], 0
	s_mov_b64 s[42:43], s[36:37]
                                        ; implicit-def: $sgpr22_sgpr23
                                        ; implicit-def: $sgpr26_sgpr27
                                        ; implicit-def: $sgpr30_sgpr31
                                        ; implicit-def: $sgpr28_sgpr29
                                        ; implicit-def: $sgpr40_sgpr41
	s_branch .LBB505_21
.LBB505_20:                             ;   in Loop: Header=BB505_21 Depth=1
	s_or_b64 exec, exec, s[44:45]
	s_and_b64 s[2:3], s[2:3], s[40:41]
	s_or_b64 s[2:3], vcc, s[2:3]
	s_and_b64 s[4:5], exec, s[30:31]
	s_or_b64 s[24:25], s[4:5], s[24:25]
	s_andn2_b64 s[4:5], s[40:41], exec
	s_and_b64 s[2:3], s[2:3], exec
	s_or_b64 s[40:41], s[4:5], s[2:3]
	s_andn2_b64 s[4:5], s[26:27], exec
	s_and_b64 s[26:27], s[28:29], exec
	s_or_b64 s[26:27], s[4:5], s[26:27]
	s_andn2_b64 s[4:5], s[22:23], exec
	s_or_b64 s[22:23], s[4:5], s[2:3]
	s_andn2_b64 exec, exec, s[24:25]
	s_cbranch_execz .LBB505_23
.LBB505_21:                             ; =>This Inner Loop Header: Depth=1
	global_load_dwordx2 v[36:37], v[22:23], off
	global_load_dwordx2 v[38:39], v[24:25], off
	s_or_b64 s[28:29], s[28:29], exec
	s_or_b64 s[30:31], s[30:31], exec
	s_waitcnt vmcnt(0)
	v_cmp_lt_i64_e32 vcc, v[36:37], v[38:39]
	v_cmp_le_i64_e64 s[2:3], v[36:37], v[38:39]
	v_cmp_eq_u64_e64 s[4:5], v[36:37], v[38:39]
	s_and_saveexec_b64 s[44:45], s[4:5]
	s_cbranch_execz .LBB505_20
; %bb.22:                               ;   in Loop: Header=BB505_21 Depth=1
	s_add_u32 s42, s42, -1
	s_addc_u32 s43, s43, -1
	s_cmp_eq_u64 s[42:43], 0
	s_cselect_b64 s[4:5], -1, 0
	s_andn2_b64 s[30:31], s[30:31], exec
	s_and_b64 s[4:5], s[4:5], exec
	v_lshl_add_u64 v[22:23], v[22:23], 0, 8
	v_lshl_add_u64 v[24:25], v[24:25], 0, 8
	s_andn2_b64 s[28:29], s[28:29], exec
	s_or_b64 s[30:31], s[30:31], s[4:5]
	s_branch .LBB505_20
.LBB505_23:
	s_or_b64 exec, exec, s[24:25]
	s_and_saveexec_b64 s[2:3], s[26:27]
	s_xor_b64 s[2:3], exec, s[2:3]
; %bb.24:
	v_cndmask_b32_e64 v23, v7, v9, s[22:23]
	v_cndmask_b32_e64 v22, v6, v8, s[22:23]
	;; [unrolled: 1-line block ×4, first 2 shown]
	v_mov_b64_e32 v[6:7], v[22:23]
; %bb.25:
	s_or_b64 exec, exec, s[2:3]
	v_mul_lo_u32 v24, v5, s36
	v_mul_lo_u32 v25, v4, s37
	v_mad_u64_u32 v[22:23], s[2:3], v4, s36, 0
	v_add3_u32 v23, v23, v25, v24
	v_mul_lo_u32 v27, v3, s36
	v_mul_lo_u32 v35, v2, s37
	v_mad_u64_u32 v[24:25], s[2:3], v2, s36, 0
	v_add3_u32 v25, v25, v35, v27
	v_lshl_add_u64 v[22:23], v[22:23], 3, s[38:39]
	v_lshl_add_u64 v[24:25], v[24:25], 3, s[38:39]
	s_mov_b64 s[26:27], 0
	s_mov_b64 s[42:43], s[36:37]
                                        ; implicit-def: $sgpr22_sgpr23
                                        ; implicit-def: $sgpr24_sgpr25
                                        ; implicit-def: $sgpr30_sgpr31
                                        ; implicit-def: $sgpr28_sgpr29
                                        ; implicit-def: $sgpr40_sgpr41
	s_branch .LBB505_27
.LBB505_26:                             ;   in Loop: Header=BB505_27 Depth=1
	s_or_b64 exec, exec, s[44:45]
	s_and_b64 s[2:3], s[2:3], s[40:41]
	s_or_b64 s[2:3], vcc, s[2:3]
	s_and_b64 s[4:5], exec, s[30:31]
	s_or_b64 s[26:27], s[4:5], s[26:27]
	s_andn2_b64 s[4:5], s[40:41], exec
	s_and_b64 s[2:3], s[2:3], exec
	s_or_b64 s[40:41], s[4:5], s[2:3]
	s_andn2_b64 s[4:5], s[24:25], exec
	s_and_b64 s[24:25], s[28:29], exec
	s_or_b64 s[24:25], s[4:5], s[24:25]
	s_andn2_b64 s[4:5], s[22:23], exec
	s_or_b64 s[22:23], s[4:5], s[2:3]
	s_andn2_b64 exec, exec, s[26:27]
	s_cbranch_execz .LBB505_29
.LBB505_27:                             ; =>This Inner Loop Header: Depth=1
	global_load_dwordx2 v[36:37], v[22:23], off
	global_load_dwordx2 v[38:39], v[24:25], off
	s_or_b64 s[28:29], s[28:29], exec
	s_or_b64 s[30:31], s[30:31], exec
	s_waitcnt vmcnt(0)
	v_cmp_lt_i64_e32 vcc, v[36:37], v[38:39]
	v_cmp_le_i64_e64 s[2:3], v[36:37], v[38:39]
	v_cmp_eq_u64_e64 s[4:5], v[36:37], v[38:39]
	s_and_saveexec_b64 s[44:45], s[4:5]
	s_cbranch_execz .LBB505_26
; %bb.28:                               ;   in Loop: Header=BB505_27 Depth=1
	s_add_u32 s42, s42, -1
	s_addc_u32 s43, s43, -1
	s_cmp_eq_u64 s[42:43], 0
	s_cselect_b64 s[4:5], -1, 0
	s_andn2_b64 s[30:31], s[30:31], exec
	s_and_b64 s[4:5], s[4:5], exec
	v_lshl_add_u64 v[22:23], v[22:23], 0, 8
	v_lshl_add_u64 v[24:25], v[24:25], 0, 8
	s_andn2_b64 s[28:29], s[28:29], exec
	s_or_b64 s[30:31], s[30:31], s[4:5]
	s_branch .LBB505_26
.LBB505_29:
	s_or_b64 exec, exec, s[26:27]
	s_and_saveexec_b64 s[2:3], s[24:25]
	s_xor_b64 s[2:3], exec, s[2:3]
; %bb.30:
	v_cndmask_b32_e64 v23, v3, v5, s[22:23]
	v_cndmask_b32_e64 v22, v2, v4, s[22:23]
	;; [unrolled: 1-line block ×4, first 2 shown]
	v_mov_b64_e32 v[2:3], v[22:23]
; %bb.31:
	s_or_b64 exec, exec, s[2:3]
.LBB505_32:
	s_and_b64 vcc, exec, s[12:13]
	s_cbranch_vccz .LBB505_46
; %bb.33:
	v_mul_lo_u32 v24, v11, s36
	v_mul_lo_u32 v25, v10, s37
	v_mad_u64_u32 v[22:23], s[2:3], v10, s36, 0
	v_add3_u32 v23, v23, v25, v24
	v_mul_lo_u32 v27, v17, s36
	v_mul_lo_u32 v35, v16, s37
	v_mad_u64_u32 v[24:25], s[2:3], v16, s36, 0
	v_add3_u32 v25, v25, v35, v27
	v_lshl_add_u64 v[22:23], v[22:23], 3, s[38:39]
	v_lshl_add_u64 v[24:25], v[24:25], 3, s[38:39]
	s_mov_b64 s[22:23], 0
	s_mov_b64 s[40:41], s[36:37]
                                        ; implicit-def: $sgpr12_sgpr13
                                        ; implicit-def: $sgpr24_sgpr25
                                        ; implicit-def: $sgpr28_sgpr29
                                        ; implicit-def: $sgpr26_sgpr27
                                        ; implicit-def: $sgpr30_sgpr31
	s_branch .LBB505_35
.LBB505_34:                             ;   in Loop: Header=BB505_35 Depth=1
	s_or_b64 exec, exec, s[42:43]
	s_and_b64 s[2:3], s[2:3], s[30:31]
	s_or_b64 s[2:3], vcc, s[2:3]
	s_and_b64 s[4:5], exec, s[28:29]
	s_or_b64 s[22:23], s[4:5], s[22:23]
	s_andn2_b64 s[4:5], s[30:31], exec
	s_and_b64 s[2:3], s[2:3], exec
	s_or_b64 s[30:31], s[4:5], s[2:3]
	s_andn2_b64 s[4:5], s[24:25], exec
	s_and_b64 s[24:25], s[26:27], exec
	s_or_b64 s[24:25], s[4:5], s[24:25]
	s_andn2_b64 s[4:5], s[12:13], exec
	s_or_b64 s[12:13], s[4:5], s[2:3]
	s_andn2_b64 exec, exec, s[22:23]
	s_cbranch_execz .LBB505_37
.LBB505_35:                             ; =>This Inner Loop Header: Depth=1
	global_load_dwordx2 v[36:37], v[22:23], off
	global_load_dwordx2 v[38:39], v[24:25], off
	s_or_b64 s[26:27], s[26:27], exec
	s_or_b64 s[28:29], s[28:29], exec
	s_waitcnt vmcnt(0)
	v_cmp_lt_i64_e32 vcc, v[36:37], v[38:39]
	v_cmp_le_i64_e64 s[2:3], v[36:37], v[38:39]
	v_cmp_eq_u64_e64 s[4:5], v[36:37], v[38:39]
	s_and_saveexec_b64 s[42:43], s[4:5]
	s_cbranch_execz .LBB505_34
; %bb.36:                               ;   in Loop: Header=BB505_35 Depth=1
	s_add_u32 s40, s40, -1
	s_addc_u32 s41, s41, -1
	s_cmp_eq_u64 s[40:41], 0
	s_cselect_b64 s[4:5], -1, 0
	s_andn2_b64 s[28:29], s[28:29], exec
	s_and_b64 s[4:5], s[4:5], exec
	v_lshl_add_u64 v[22:23], v[22:23], 0, 8
	v_lshl_add_u64 v[24:25], v[24:25], 0, 8
	s_andn2_b64 s[26:27], s[26:27], exec
	s_or_b64 s[28:29], s[28:29], s[4:5]
	s_branch .LBB505_34
.LBB505_37:
	s_or_b64 exec, exec, s[22:23]
	s_and_saveexec_b64 s[2:3], s[24:25]
	s_xor_b64 s[2:3], exec, s[2:3]
; %bb.38:
	v_cndmask_b32_e64 v23, v17, v11, s[12:13]
	v_cndmask_b32_e64 v22, v16, v10, s[12:13]
	;; [unrolled: 1-line block ×4, first 2 shown]
	v_mov_b64_e32 v[16:17], v[22:23]
; %bb.39:
	s_or_b64 exec, exec, s[2:3]
	v_mul_lo_u32 v24, v7, s36
	v_mul_lo_u32 v25, v6, s37
	v_mad_u64_u32 v[22:23], s[2:3], v6, s36, 0
	v_add3_u32 v23, v23, v25, v24
	v_mul_lo_u32 v27, v13, s36
	v_mul_lo_u32 v35, v12, s37
	v_mad_u64_u32 v[24:25], s[2:3], v12, s36, 0
	v_add3_u32 v25, v25, v35, v27
	v_lshl_add_u64 v[22:23], v[22:23], 3, s[38:39]
	v_lshl_add_u64 v[24:25], v[24:25], 3, s[38:39]
	s_mov_b64 s[24:25], 0
	s_mov_b64 s[40:41], s[36:37]
                                        ; implicit-def: $sgpr12_sgpr13
                                        ; implicit-def: $sgpr22_sgpr23
                                        ; implicit-def: $sgpr28_sgpr29
                                        ; implicit-def: $sgpr26_sgpr27
                                        ; implicit-def: $sgpr30_sgpr31
	s_branch .LBB505_41
.LBB505_40:                             ;   in Loop: Header=BB505_41 Depth=1
	s_or_b64 exec, exec, s[42:43]
	s_and_b64 s[2:3], s[2:3], s[30:31]
	s_or_b64 s[2:3], vcc, s[2:3]
	s_and_b64 s[4:5], exec, s[28:29]
	s_or_b64 s[24:25], s[4:5], s[24:25]
	s_andn2_b64 s[4:5], s[30:31], exec
	s_and_b64 s[2:3], s[2:3], exec
	s_or_b64 s[30:31], s[4:5], s[2:3]
	s_andn2_b64 s[4:5], s[22:23], exec
	s_and_b64 s[22:23], s[26:27], exec
	s_or_b64 s[22:23], s[4:5], s[22:23]
	s_andn2_b64 s[4:5], s[12:13], exec
	s_or_b64 s[12:13], s[4:5], s[2:3]
	s_andn2_b64 exec, exec, s[24:25]
	s_cbranch_execz .LBB505_43
.LBB505_41:                             ; =>This Inner Loop Header: Depth=1
	global_load_dwordx2 v[36:37], v[22:23], off
	global_load_dwordx2 v[38:39], v[24:25], off
	s_or_b64 s[26:27], s[26:27], exec
	s_or_b64 s[28:29], s[28:29], exec
	s_waitcnt vmcnt(0)
	v_cmp_lt_i64_e32 vcc, v[36:37], v[38:39]
	v_cmp_le_i64_e64 s[2:3], v[36:37], v[38:39]
	v_cmp_eq_u64_e64 s[4:5], v[36:37], v[38:39]
	s_and_saveexec_b64 s[42:43], s[4:5]
	s_cbranch_execz .LBB505_40
; %bb.42:                               ;   in Loop: Header=BB505_41 Depth=1
	s_add_u32 s40, s40, -1
	s_addc_u32 s41, s41, -1
	s_cmp_eq_u64 s[40:41], 0
	s_cselect_b64 s[4:5], -1, 0
	s_andn2_b64 s[28:29], s[28:29], exec
	s_and_b64 s[4:5], s[4:5], exec
	v_lshl_add_u64 v[22:23], v[22:23], 0, 8
	v_lshl_add_u64 v[24:25], v[24:25], 0, 8
	s_andn2_b64 s[26:27], s[26:27], exec
	s_or_b64 s[28:29], s[28:29], s[4:5]
	s_branch .LBB505_40
.LBB505_43:
	s_or_b64 exec, exec, s[24:25]
	s_and_saveexec_b64 s[2:3], s[22:23]
	s_xor_b64 s[2:3], exec, s[2:3]
; %bb.44:
	v_cndmask_b32_e64 v23, v13, v7, s[12:13]
	v_cndmask_b32_e64 v22, v12, v6, s[12:13]
	;; [unrolled: 1-line block ×4, first 2 shown]
	v_mov_b64_e32 v[12:13], v[22:23]
; %bb.45:
	s_or_b64 exec, exec, s[2:3]
.LBB505_46:
	s_and_b64 vcc, exec, s[0:1]
	s_cbranch_vccnz .LBB505_72
; %bb.47:
	v_mul_lo_u32 v24, v3, s36
	v_mul_lo_u32 v25, v2, s37
	v_mad_u64_u32 v[22:23], s[2:3], v2, s36, 0
	v_add3_u32 v23, v23, v25, v24
	v_mul_lo_u32 v27, v9, s36
	v_mul_lo_u32 v35, v8, s37
	v_mad_u64_u32 v[24:25], s[2:3], v8, s36, 0
	v_add3_u32 v25, v25, v35, v27
	v_lshl_add_u64 v[22:23], v[22:23], 3, s[38:39]
	v_lshl_add_u64 v[24:25], v[24:25], 3, s[38:39]
	s_mov_b64 s[22:23], 0
	s_mov_b64 s[40:41], s[36:37]
                                        ; implicit-def: $sgpr12_sgpr13
                                        ; implicit-def: $sgpr24_sgpr25
                                        ; implicit-def: $sgpr28_sgpr29
                                        ; implicit-def: $sgpr26_sgpr27
                                        ; implicit-def: $sgpr30_sgpr31
	s_branch .LBB505_49
.LBB505_48:                             ;   in Loop: Header=BB505_49 Depth=1
	s_or_b64 exec, exec, s[42:43]
	s_and_b64 s[2:3], s[2:3], s[30:31]
	s_or_b64 s[2:3], vcc, s[2:3]
	s_and_b64 s[4:5], exec, s[28:29]
	s_or_b64 s[22:23], s[4:5], s[22:23]
	s_andn2_b64 s[4:5], s[30:31], exec
	s_and_b64 s[2:3], s[2:3], exec
	s_or_b64 s[30:31], s[4:5], s[2:3]
	s_andn2_b64 s[4:5], s[24:25], exec
	s_and_b64 s[24:25], s[26:27], exec
	s_or_b64 s[24:25], s[4:5], s[24:25]
	s_andn2_b64 s[4:5], s[12:13], exec
	s_or_b64 s[12:13], s[4:5], s[2:3]
	s_andn2_b64 exec, exec, s[22:23]
	s_cbranch_execz .LBB505_51
.LBB505_49:                             ; =>This Inner Loop Header: Depth=1
	global_load_dwordx2 v[36:37], v[22:23], off
	global_load_dwordx2 v[38:39], v[24:25], off
	s_or_b64 s[26:27], s[26:27], exec
	s_or_b64 s[28:29], s[28:29], exec
	s_waitcnt vmcnt(0)
	v_cmp_lt_i64_e32 vcc, v[36:37], v[38:39]
	v_cmp_le_i64_e64 s[2:3], v[36:37], v[38:39]
	v_cmp_eq_u64_e64 s[4:5], v[36:37], v[38:39]
	s_and_saveexec_b64 s[42:43], s[4:5]
	s_cbranch_execz .LBB505_48
; %bb.50:                               ;   in Loop: Header=BB505_49 Depth=1
	s_add_u32 s40, s40, -1
	s_addc_u32 s41, s41, -1
	s_cmp_eq_u64 s[40:41], 0
	s_cselect_b64 s[4:5], -1, 0
	s_andn2_b64 s[28:29], s[28:29], exec
	s_and_b64 s[4:5], s[4:5], exec
	v_lshl_add_u64 v[22:23], v[22:23], 0, 8
	v_lshl_add_u64 v[24:25], v[24:25], 0, 8
	s_andn2_b64 s[26:27], s[26:27], exec
	s_or_b64 s[28:29], s[28:29], s[4:5]
	s_branch .LBB505_48
.LBB505_51:
	s_or_b64 exec, exec, s[22:23]
	s_and_saveexec_b64 s[2:3], s[24:25]
	s_xor_b64 s[2:3], exec, s[2:3]
; %bb.52:
	v_cndmask_b32_e64 v23, v9, v3, s[12:13]
	v_cndmask_b32_e64 v22, v8, v2, s[12:13]
	;; [unrolled: 1-line block ×4, first 2 shown]
	v_mov_b64_e32 v[8:9], v[22:23]
; %bb.53:
	s_or_b64 exec, exec, s[2:3]
	v_mul_lo_u32 v24, v17, s36
	v_mul_lo_u32 v25, v16, s37
	v_mad_u64_u32 v[22:23], s[2:3], v16, s36, 0
	v_add3_u32 v23, v23, v25, v24
	v_mul_lo_u32 v27, v15, s36
	v_mul_lo_u32 v35, v14, s37
	v_mad_u64_u32 v[24:25], s[2:3], v14, s36, 0
	v_add3_u32 v25, v25, v35, v27
	v_lshl_add_u64 v[22:23], v[22:23], 3, s[38:39]
	v_lshl_add_u64 v[24:25], v[24:25], 3, s[38:39]
	s_mov_b64 s[22:23], 0
	s_mov_b64 s[40:41], s[36:37]
                                        ; implicit-def: $sgpr12_sgpr13
                                        ; implicit-def: $sgpr24_sgpr25
                                        ; implicit-def: $sgpr28_sgpr29
                                        ; implicit-def: $sgpr26_sgpr27
                                        ; implicit-def: $sgpr30_sgpr31
	s_branch .LBB505_55
.LBB505_54:                             ;   in Loop: Header=BB505_55 Depth=1
	s_or_b64 exec, exec, s[42:43]
	s_and_b64 s[2:3], s[2:3], s[30:31]
	s_or_b64 s[2:3], vcc, s[2:3]
	s_and_b64 s[4:5], exec, s[28:29]
	s_or_b64 s[22:23], s[4:5], s[22:23]
	s_andn2_b64 s[4:5], s[30:31], exec
	s_and_b64 s[2:3], s[2:3], exec
	s_or_b64 s[30:31], s[4:5], s[2:3]
	s_andn2_b64 s[4:5], s[24:25], exec
	s_and_b64 s[24:25], s[26:27], exec
	s_or_b64 s[24:25], s[4:5], s[24:25]
	s_andn2_b64 s[4:5], s[12:13], exec
	s_or_b64 s[12:13], s[4:5], s[2:3]
	s_andn2_b64 exec, exec, s[22:23]
	s_cbranch_execz .LBB505_57
.LBB505_55:                             ; =>This Inner Loop Header: Depth=1
	global_load_dwordx2 v[36:37], v[22:23], off
	global_load_dwordx2 v[38:39], v[24:25], off
	s_or_b64 s[26:27], s[26:27], exec
	s_or_b64 s[28:29], s[28:29], exec
	s_waitcnt vmcnt(0)
	v_cmp_lt_i64_e32 vcc, v[36:37], v[38:39]
	v_cmp_le_i64_e64 s[2:3], v[36:37], v[38:39]
	v_cmp_eq_u64_e64 s[4:5], v[36:37], v[38:39]
	s_and_saveexec_b64 s[42:43], s[4:5]
	s_cbranch_execz .LBB505_54
; %bb.56:                               ;   in Loop: Header=BB505_55 Depth=1
	s_add_u32 s40, s40, -1
	s_addc_u32 s41, s41, -1
	s_cmp_eq_u64 s[40:41], 0
	s_cselect_b64 s[4:5], -1, 0
	s_andn2_b64 s[28:29], s[28:29], exec
	s_and_b64 s[4:5], s[4:5], exec
	v_lshl_add_u64 v[22:23], v[22:23], 0, 8
	v_lshl_add_u64 v[24:25], v[24:25], 0, 8
	s_andn2_b64 s[26:27], s[26:27], exec
	s_or_b64 s[28:29], s[28:29], s[4:5]
	s_branch .LBB505_54
.LBB505_57:
	s_or_b64 exec, exec, s[22:23]
	s_and_saveexec_b64 s[2:3], s[24:25]
	s_xor_b64 s[2:3], exec, s[2:3]
; %bb.58:
	v_cndmask_b32_e64 v23, v17, v15, s[12:13]
	v_cndmask_b32_e64 v22, v16, v14, s[12:13]
	v_cndmask_b32_e64 v15, v15, v17, s[12:13]
	v_cndmask_b32_e64 v14, v14, v16, s[12:13]
	v_mov_b64_e32 v[16:17], v[22:23]
; %bb.59:
	s_or_b64 exec, exec, s[2:3]
	v_mul_lo_u32 v24, v13, s36
	v_mul_lo_u32 v25, v12, s37
	v_mad_u64_u32 v[22:23], s[2:3], v12, s36, 0
	v_add3_u32 v23, v23, v25, v24
	v_mul_lo_u32 v27, v11, s36
	v_mul_lo_u32 v35, v10, s37
	v_mad_u64_u32 v[24:25], s[2:3], v10, s36, 0
	v_add3_u32 v25, v25, v35, v27
	v_lshl_add_u64 v[22:23], v[22:23], 3, s[38:39]
	v_lshl_add_u64 v[24:25], v[24:25], 3, s[38:39]
	s_mov_b64 s[22:23], 0
	s_mov_b64 s[40:41], s[36:37]
                                        ; implicit-def: $sgpr12_sgpr13
                                        ; implicit-def: $sgpr24_sgpr25
                                        ; implicit-def: $sgpr28_sgpr29
                                        ; implicit-def: $sgpr26_sgpr27
                                        ; implicit-def: $sgpr30_sgpr31
	s_branch .LBB505_61
.LBB505_60:                             ;   in Loop: Header=BB505_61 Depth=1
	s_or_b64 exec, exec, s[42:43]
	s_and_b64 s[2:3], s[2:3], s[30:31]
	s_or_b64 s[2:3], vcc, s[2:3]
	s_and_b64 s[4:5], exec, s[28:29]
	s_or_b64 s[22:23], s[4:5], s[22:23]
	s_andn2_b64 s[4:5], s[30:31], exec
	s_and_b64 s[2:3], s[2:3], exec
	s_or_b64 s[30:31], s[4:5], s[2:3]
	s_andn2_b64 s[4:5], s[24:25], exec
	s_and_b64 s[24:25], s[26:27], exec
	s_or_b64 s[24:25], s[4:5], s[24:25]
	s_andn2_b64 s[4:5], s[12:13], exec
	s_or_b64 s[12:13], s[4:5], s[2:3]
	s_andn2_b64 exec, exec, s[22:23]
	s_cbranch_execz .LBB505_63
.LBB505_61:                             ; =>This Inner Loop Header: Depth=1
	global_load_dwordx2 v[36:37], v[22:23], off
	global_load_dwordx2 v[38:39], v[24:25], off
	s_or_b64 s[26:27], s[26:27], exec
	s_or_b64 s[28:29], s[28:29], exec
	s_waitcnt vmcnt(0)
	v_cmp_lt_i64_e32 vcc, v[36:37], v[38:39]
	v_cmp_le_i64_e64 s[2:3], v[36:37], v[38:39]
	v_cmp_eq_u64_e64 s[4:5], v[36:37], v[38:39]
	s_and_saveexec_b64 s[42:43], s[4:5]
	s_cbranch_execz .LBB505_60
; %bb.62:                               ;   in Loop: Header=BB505_61 Depth=1
	s_add_u32 s40, s40, -1
	s_addc_u32 s41, s41, -1
	s_cmp_eq_u64 s[40:41], 0
	s_cselect_b64 s[4:5], -1, 0
	s_andn2_b64 s[28:29], s[28:29], exec
	s_and_b64 s[4:5], s[4:5], exec
	v_lshl_add_u64 v[22:23], v[22:23], 0, 8
	v_lshl_add_u64 v[24:25], v[24:25], 0, 8
	s_andn2_b64 s[26:27], s[26:27], exec
	s_or_b64 s[28:29], s[28:29], s[4:5]
	s_branch .LBB505_60
.LBB505_63:
	s_or_b64 exec, exec, s[22:23]
	s_and_saveexec_b64 s[2:3], s[24:25]
	s_xor_b64 s[2:3], exec, s[2:3]
; %bb.64:
	v_cndmask_b32_e64 v23, v11, v13, s[12:13]
	v_cndmask_b32_e64 v22, v10, v12, s[12:13]
	;; [unrolled: 1-line block ×4, first 2 shown]
	v_mov_b64_e32 v[10:11], v[22:23]
; %bb.65:
	s_or_b64 exec, exec, s[2:3]
	v_mul_lo_u32 v24, v9, s36
	v_mul_lo_u32 v25, v8, s37
	v_mad_u64_u32 v[22:23], s[2:3], v8, s36, 0
	v_add3_u32 v23, v23, v25, v24
	v_mul_lo_u32 v27, v7, s36
	v_mul_lo_u32 v35, v6, s37
	v_mad_u64_u32 v[24:25], s[2:3], v6, s36, 0
	v_add3_u32 v25, v25, v35, v27
	v_lshl_add_u64 v[22:23], v[22:23], 3, s[38:39]
	v_lshl_add_u64 v[24:25], v[24:25], 3, s[38:39]
	s_mov_b64 s[24:25], 0
	s_mov_b64 s[40:41], s[36:37]
                                        ; implicit-def: $sgpr12_sgpr13
                                        ; implicit-def: $sgpr22_sgpr23
                                        ; implicit-def: $sgpr28_sgpr29
                                        ; implicit-def: $sgpr26_sgpr27
                                        ; implicit-def: $sgpr30_sgpr31
	s_branch .LBB505_67
.LBB505_66:                             ;   in Loop: Header=BB505_67 Depth=1
	s_or_b64 exec, exec, s[42:43]
	s_and_b64 s[2:3], s[2:3], s[30:31]
	s_or_b64 s[2:3], vcc, s[2:3]
	s_and_b64 s[4:5], exec, s[28:29]
	s_or_b64 s[24:25], s[4:5], s[24:25]
	s_andn2_b64 s[4:5], s[30:31], exec
	s_and_b64 s[2:3], s[2:3], exec
	s_or_b64 s[30:31], s[4:5], s[2:3]
	s_andn2_b64 s[4:5], s[22:23], exec
	s_and_b64 s[22:23], s[26:27], exec
	s_or_b64 s[22:23], s[4:5], s[22:23]
	s_andn2_b64 s[4:5], s[12:13], exec
	s_or_b64 s[12:13], s[4:5], s[2:3]
	s_andn2_b64 exec, exec, s[24:25]
	s_cbranch_execz .LBB505_69
.LBB505_67:                             ; =>This Inner Loop Header: Depth=1
	global_load_dwordx2 v[36:37], v[22:23], off
	global_load_dwordx2 v[38:39], v[24:25], off
	s_or_b64 s[26:27], s[26:27], exec
	s_or_b64 s[28:29], s[28:29], exec
	s_waitcnt vmcnt(0)
	v_cmp_lt_i64_e32 vcc, v[36:37], v[38:39]
	v_cmp_le_i64_e64 s[2:3], v[36:37], v[38:39]
	v_cmp_eq_u64_e64 s[4:5], v[36:37], v[38:39]
	s_and_saveexec_b64 s[42:43], s[4:5]
	s_cbranch_execz .LBB505_66
; %bb.68:                               ;   in Loop: Header=BB505_67 Depth=1
	s_add_u32 s40, s40, -1
	s_addc_u32 s41, s41, -1
	s_cmp_eq_u64 s[40:41], 0
	s_cselect_b64 s[4:5], -1, 0
	s_andn2_b64 s[28:29], s[28:29], exec
	s_and_b64 s[4:5], s[4:5], exec
	v_lshl_add_u64 v[22:23], v[22:23], 0, 8
	v_lshl_add_u64 v[24:25], v[24:25], 0, 8
	s_andn2_b64 s[26:27], s[26:27], exec
	s_or_b64 s[28:29], s[28:29], s[4:5]
	s_branch .LBB505_66
.LBB505_69:
	s_or_b64 exec, exec, s[24:25]
	s_and_saveexec_b64 s[2:3], s[22:23]
	s_xor_b64 s[2:3], exec, s[2:3]
; %bb.70:
	v_cndmask_b32_e64 v23, v7, v9, s[12:13]
	v_cndmask_b32_e64 v22, v6, v8, s[12:13]
	;; [unrolled: 1-line block ×4, first 2 shown]
	v_mov_b64_e32 v[6:7], v[22:23]
; %bb.71:
	s_or_b64 exec, exec, s[2:3]
.LBB505_72:
	s_and_b64 vcc, exec, s[0:1]
	s_cbranch_vccnz .LBB505_86
; %bb.73:
	v_mul_lo_u32 v24, v5, s36
	v_mul_lo_u32 v25, v4, s37
	v_mad_u64_u32 v[22:23], s[2:3], v4, s36, 0
	v_add3_u32 v23, v23, v25, v24
	v_mul_lo_u32 v27, v3, s36
	v_mul_lo_u32 v35, v2, s37
	v_mad_u64_u32 v[24:25], s[2:3], v2, s36, 0
	v_add3_u32 v25, v25, v35, v27
	v_lshl_add_u64 v[22:23], v[22:23], 3, s[38:39]
	v_lshl_add_u64 v[24:25], v[24:25], 3, s[38:39]
	s_mov_b64 s[22:23], 0
	s_mov_b64 s[40:41], s[36:37]
                                        ; implicit-def: $sgpr12_sgpr13
                                        ; implicit-def: $sgpr24_sgpr25
                                        ; implicit-def: $sgpr28_sgpr29
                                        ; implicit-def: $sgpr26_sgpr27
                                        ; implicit-def: $sgpr30_sgpr31
	s_branch .LBB505_75
.LBB505_74:                             ;   in Loop: Header=BB505_75 Depth=1
	s_or_b64 exec, exec, s[42:43]
	s_and_b64 s[2:3], s[2:3], s[30:31]
	s_or_b64 s[2:3], vcc, s[2:3]
	s_and_b64 s[4:5], exec, s[28:29]
	s_or_b64 s[22:23], s[4:5], s[22:23]
	s_andn2_b64 s[4:5], s[30:31], exec
	s_and_b64 s[2:3], s[2:3], exec
	s_or_b64 s[30:31], s[4:5], s[2:3]
	s_andn2_b64 s[4:5], s[24:25], exec
	s_and_b64 s[24:25], s[26:27], exec
	s_or_b64 s[24:25], s[4:5], s[24:25]
	s_andn2_b64 s[4:5], s[12:13], exec
	s_or_b64 s[12:13], s[4:5], s[2:3]
	s_andn2_b64 exec, exec, s[22:23]
	s_cbranch_execz .LBB505_77
.LBB505_75:                             ; =>This Inner Loop Header: Depth=1
	global_load_dwordx2 v[36:37], v[22:23], off
	global_load_dwordx2 v[38:39], v[24:25], off
	s_or_b64 s[26:27], s[26:27], exec
	s_or_b64 s[28:29], s[28:29], exec
	s_waitcnt vmcnt(0)
	v_cmp_lt_i64_e32 vcc, v[36:37], v[38:39]
	v_cmp_le_i64_e64 s[2:3], v[36:37], v[38:39]
	v_cmp_eq_u64_e64 s[4:5], v[36:37], v[38:39]
	s_and_saveexec_b64 s[42:43], s[4:5]
	s_cbranch_execz .LBB505_74
; %bb.76:                               ;   in Loop: Header=BB505_75 Depth=1
	s_add_u32 s40, s40, -1
	s_addc_u32 s41, s41, -1
	s_cmp_eq_u64 s[40:41], 0
	s_cselect_b64 s[4:5], -1, 0
	s_andn2_b64 s[28:29], s[28:29], exec
	s_and_b64 s[4:5], s[4:5], exec
	v_lshl_add_u64 v[22:23], v[22:23], 0, 8
	v_lshl_add_u64 v[24:25], v[24:25], 0, 8
	s_andn2_b64 s[26:27], s[26:27], exec
	s_or_b64 s[28:29], s[28:29], s[4:5]
	s_branch .LBB505_74
.LBB505_77:
	s_or_b64 exec, exec, s[22:23]
	s_and_saveexec_b64 s[2:3], s[24:25]
	s_xor_b64 s[2:3], exec, s[2:3]
; %bb.78:
	v_cndmask_b32_e64 v23, v3, v5, s[12:13]
	v_cndmask_b32_e64 v22, v2, v4, s[12:13]
	;; [unrolled: 1-line block ×4, first 2 shown]
	v_mov_b64_e32 v[2:3], v[22:23]
; %bb.79:
	s_or_b64 exec, exec, s[2:3]
	v_mul_lo_u32 v24, v11, s36
	v_mul_lo_u32 v25, v10, s37
	v_mad_u64_u32 v[22:23], s[2:3], v10, s36, 0
	v_add3_u32 v23, v23, v25, v24
	v_mul_lo_u32 v27, v17, s36
	v_mul_lo_u32 v35, v16, s37
	v_mad_u64_u32 v[24:25], s[2:3], v16, s36, 0
	v_add3_u32 v25, v25, v35, v27
	v_lshl_add_u64 v[22:23], v[22:23], 3, s[38:39]
	v_lshl_add_u64 v[24:25], v[24:25], 3, s[38:39]
	s_mov_b64 s[24:25], 0
	s_mov_b64 s[40:41], s[36:37]
                                        ; implicit-def: $sgpr12_sgpr13
                                        ; implicit-def: $sgpr22_sgpr23
                                        ; implicit-def: $sgpr28_sgpr29
                                        ; implicit-def: $sgpr26_sgpr27
                                        ; implicit-def: $sgpr30_sgpr31
	s_branch .LBB505_81
.LBB505_80:                             ;   in Loop: Header=BB505_81 Depth=1
	s_or_b64 exec, exec, s[42:43]
	s_and_b64 s[2:3], s[2:3], s[30:31]
	s_or_b64 s[2:3], vcc, s[2:3]
	s_and_b64 s[4:5], exec, s[28:29]
	s_or_b64 s[24:25], s[4:5], s[24:25]
	s_andn2_b64 s[4:5], s[30:31], exec
	s_and_b64 s[2:3], s[2:3], exec
	s_or_b64 s[30:31], s[4:5], s[2:3]
	s_andn2_b64 s[4:5], s[22:23], exec
	s_and_b64 s[22:23], s[26:27], exec
	s_or_b64 s[22:23], s[4:5], s[22:23]
	s_andn2_b64 s[4:5], s[12:13], exec
	s_or_b64 s[12:13], s[4:5], s[2:3]
	s_andn2_b64 exec, exec, s[24:25]
	s_cbranch_execz .LBB505_83
.LBB505_81:                             ; =>This Inner Loop Header: Depth=1
	global_load_dwordx2 v[36:37], v[22:23], off
	global_load_dwordx2 v[38:39], v[24:25], off
	s_or_b64 s[26:27], s[26:27], exec
	s_or_b64 s[28:29], s[28:29], exec
	s_waitcnt vmcnt(0)
	v_cmp_lt_i64_e32 vcc, v[36:37], v[38:39]
	v_cmp_le_i64_e64 s[2:3], v[36:37], v[38:39]
	v_cmp_eq_u64_e64 s[4:5], v[36:37], v[38:39]
	s_and_saveexec_b64 s[42:43], s[4:5]
	s_cbranch_execz .LBB505_80
; %bb.82:                               ;   in Loop: Header=BB505_81 Depth=1
	s_add_u32 s40, s40, -1
	s_addc_u32 s41, s41, -1
	s_cmp_eq_u64 s[40:41], 0
	s_cselect_b64 s[4:5], -1, 0
	s_andn2_b64 s[28:29], s[28:29], exec
	s_and_b64 s[4:5], s[4:5], exec
	v_lshl_add_u64 v[22:23], v[22:23], 0, 8
	v_lshl_add_u64 v[24:25], v[24:25], 0, 8
	s_andn2_b64 s[26:27], s[26:27], exec
	s_or_b64 s[28:29], s[28:29], s[4:5]
	s_branch .LBB505_80
.LBB505_83:
	s_or_b64 exec, exec, s[24:25]
	s_and_saveexec_b64 s[2:3], s[22:23]
	s_xor_b64 s[2:3], exec, s[2:3]
; %bb.84:
	v_cndmask_b32_e64 v23, v17, v11, s[12:13]
	v_cndmask_b32_e64 v22, v16, v10, s[12:13]
	;; [unrolled: 1-line block ×4, first 2 shown]
	v_mov_b64_e32 v[16:17], v[22:23]
; %bb.85:
	s_or_b64 exec, exec, s[2:3]
.LBB505_86:
	s_and_b64 vcc, exec, s[0:1]
	s_cbranch_vccnz .LBB505_100
; %bb.87:
	v_mul_lo_u32 v24, v7, s36
	v_mul_lo_u32 v25, v6, s37
	v_mad_u64_u32 v[22:23], s[2:3], v6, s36, 0
	v_add3_u32 v23, v23, v25, v24
	v_mul_lo_u32 v27, v13, s36
	v_mul_lo_u32 v35, v12, s37
	v_mad_u64_u32 v[24:25], s[2:3], v12, s36, 0
	v_add3_u32 v25, v25, v35, v27
	v_lshl_add_u64 v[22:23], v[22:23], 3, s[38:39]
	v_lshl_add_u64 v[24:25], v[24:25], 3, s[38:39]
	s_mov_b64 s[22:23], 0
	s_mov_b64 s[40:41], s[36:37]
                                        ; implicit-def: $sgpr12_sgpr13
                                        ; implicit-def: $sgpr24_sgpr25
                                        ; implicit-def: $sgpr28_sgpr29
                                        ; implicit-def: $sgpr26_sgpr27
                                        ; implicit-def: $sgpr30_sgpr31
	s_branch .LBB505_89
.LBB505_88:                             ;   in Loop: Header=BB505_89 Depth=1
	s_or_b64 exec, exec, s[42:43]
	s_and_b64 s[2:3], s[2:3], s[30:31]
	s_or_b64 s[2:3], vcc, s[2:3]
	s_and_b64 s[4:5], exec, s[28:29]
	s_or_b64 s[22:23], s[4:5], s[22:23]
	s_andn2_b64 s[4:5], s[30:31], exec
	s_and_b64 s[2:3], s[2:3], exec
	s_or_b64 s[30:31], s[4:5], s[2:3]
	s_andn2_b64 s[4:5], s[24:25], exec
	s_and_b64 s[24:25], s[26:27], exec
	s_or_b64 s[24:25], s[4:5], s[24:25]
	s_andn2_b64 s[4:5], s[12:13], exec
	s_or_b64 s[12:13], s[4:5], s[2:3]
	s_andn2_b64 exec, exec, s[22:23]
	s_cbranch_execz .LBB505_91
.LBB505_89:                             ; =>This Inner Loop Header: Depth=1
	global_load_dwordx2 v[36:37], v[22:23], off
	global_load_dwordx2 v[38:39], v[24:25], off
	s_or_b64 s[26:27], s[26:27], exec
	s_or_b64 s[28:29], s[28:29], exec
	s_waitcnt vmcnt(0)
	v_cmp_lt_i64_e32 vcc, v[36:37], v[38:39]
	v_cmp_le_i64_e64 s[2:3], v[36:37], v[38:39]
	v_cmp_eq_u64_e64 s[4:5], v[36:37], v[38:39]
	s_and_saveexec_b64 s[42:43], s[4:5]
	s_cbranch_execz .LBB505_88
; %bb.90:                               ;   in Loop: Header=BB505_89 Depth=1
	s_add_u32 s40, s40, -1
	s_addc_u32 s41, s41, -1
	s_cmp_eq_u64 s[40:41], 0
	s_cselect_b64 s[4:5], -1, 0
	s_andn2_b64 s[28:29], s[28:29], exec
	s_and_b64 s[4:5], s[4:5], exec
	v_lshl_add_u64 v[22:23], v[22:23], 0, 8
	v_lshl_add_u64 v[24:25], v[24:25], 0, 8
	s_andn2_b64 s[26:27], s[26:27], exec
	s_or_b64 s[28:29], s[28:29], s[4:5]
	s_branch .LBB505_88
.LBB505_91:
	s_or_b64 exec, exec, s[22:23]
	s_and_saveexec_b64 s[2:3], s[24:25]
	s_xor_b64 s[2:3], exec, s[2:3]
; %bb.92:
	v_cndmask_b32_e64 v23, v13, v7, s[12:13]
	v_cndmask_b32_e64 v22, v12, v6, s[12:13]
	;; [unrolled: 1-line block ×4, first 2 shown]
	v_mov_b64_e32 v[12:13], v[22:23]
; %bb.93:
	s_or_b64 exec, exec, s[2:3]
	v_mul_lo_u32 v24, v3, s36
	v_mul_lo_u32 v25, v2, s37
	v_mad_u64_u32 v[22:23], s[2:3], v2, s36, 0
	v_add3_u32 v23, v23, v25, v24
	v_mul_lo_u32 v27, v9, s36
	v_mul_lo_u32 v35, v8, s37
	v_mad_u64_u32 v[24:25], s[2:3], v8, s36, 0
	v_add3_u32 v25, v25, v35, v27
	v_lshl_add_u64 v[22:23], v[22:23], 3, s[38:39]
	v_lshl_add_u64 v[24:25], v[24:25], 3, s[38:39]
	s_mov_b64 s[24:25], 0
	s_mov_b64 s[40:41], s[36:37]
                                        ; implicit-def: $sgpr12_sgpr13
                                        ; implicit-def: $sgpr22_sgpr23
                                        ; implicit-def: $sgpr28_sgpr29
                                        ; implicit-def: $sgpr26_sgpr27
                                        ; implicit-def: $sgpr30_sgpr31
	s_branch .LBB505_95
.LBB505_94:                             ;   in Loop: Header=BB505_95 Depth=1
	s_or_b64 exec, exec, s[42:43]
	s_and_b64 s[2:3], s[2:3], s[30:31]
	s_or_b64 s[2:3], vcc, s[2:3]
	s_and_b64 s[4:5], exec, s[28:29]
	s_or_b64 s[24:25], s[4:5], s[24:25]
	s_andn2_b64 s[4:5], s[30:31], exec
	s_and_b64 s[2:3], s[2:3], exec
	s_or_b64 s[30:31], s[4:5], s[2:3]
	s_andn2_b64 s[4:5], s[22:23], exec
	s_and_b64 s[22:23], s[26:27], exec
	s_or_b64 s[22:23], s[4:5], s[22:23]
	s_andn2_b64 s[4:5], s[12:13], exec
	s_or_b64 s[12:13], s[4:5], s[2:3]
	s_andn2_b64 exec, exec, s[24:25]
	s_cbranch_execz .LBB505_97
.LBB505_95:                             ; =>This Inner Loop Header: Depth=1
	global_load_dwordx2 v[36:37], v[22:23], off
	global_load_dwordx2 v[38:39], v[24:25], off
	s_or_b64 s[26:27], s[26:27], exec
	s_or_b64 s[28:29], s[28:29], exec
	s_waitcnt vmcnt(0)
	v_cmp_lt_i64_e32 vcc, v[36:37], v[38:39]
	v_cmp_le_i64_e64 s[2:3], v[36:37], v[38:39]
	v_cmp_eq_u64_e64 s[4:5], v[36:37], v[38:39]
	s_and_saveexec_b64 s[42:43], s[4:5]
	s_cbranch_execz .LBB505_94
; %bb.96:                               ;   in Loop: Header=BB505_95 Depth=1
	s_add_u32 s40, s40, -1
	s_addc_u32 s41, s41, -1
	s_cmp_eq_u64 s[40:41], 0
	s_cselect_b64 s[4:5], -1, 0
	s_andn2_b64 s[28:29], s[28:29], exec
	s_and_b64 s[4:5], s[4:5], exec
	v_lshl_add_u64 v[22:23], v[22:23], 0, 8
	v_lshl_add_u64 v[24:25], v[24:25], 0, 8
	s_andn2_b64 s[26:27], s[26:27], exec
	s_or_b64 s[28:29], s[28:29], s[4:5]
	s_branch .LBB505_94
.LBB505_97:
	s_or_b64 exec, exec, s[24:25]
	s_and_saveexec_b64 s[2:3], s[22:23]
	s_xor_b64 s[2:3], exec, s[2:3]
; %bb.98:
	v_cndmask_b32_e64 v23, v9, v3, s[12:13]
	v_cndmask_b32_e64 v22, v8, v2, s[12:13]
	;; [unrolled: 1-line block ×4, first 2 shown]
	v_mov_b64_e32 v[8:9], v[22:23]
; %bb.99:
	s_or_b64 exec, exec, s[2:3]
.LBB505_100:
	s_and_b64 vcc, exec, s[0:1]
	s_cbranch_vccnz .LBB505_114
; %bb.101:
	v_mul_lo_u32 v24, v17, s36
	v_mul_lo_u32 v25, v16, s37
	v_mad_u64_u32 v[22:23], s[2:3], v16, s36, 0
	v_add3_u32 v23, v23, v25, v24
	v_mul_lo_u32 v27, v15, s36
	v_mul_lo_u32 v35, v14, s37
	v_mad_u64_u32 v[24:25], s[2:3], v14, s36, 0
	v_add3_u32 v25, v25, v35, v27
	v_lshl_add_u64 v[22:23], v[22:23], 3, s[38:39]
	v_lshl_add_u64 v[24:25], v[24:25], 3, s[38:39]
	s_mov_b64 s[22:23], 0
	s_mov_b64 s[40:41], s[36:37]
                                        ; implicit-def: $sgpr12_sgpr13
                                        ; implicit-def: $sgpr24_sgpr25
                                        ; implicit-def: $sgpr28_sgpr29
                                        ; implicit-def: $sgpr26_sgpr27
                                        ; implicit-def: $sgpr30_sgpr31
	s_branch .LBB505_103
.LBB505_102:                            ;   in Loop: Header=BB505_103 Depth=1
	s_or_b64 exec, exec, s[42:43]
	s_and_b64 s[2:3], s[2:3], s[30:31]
	s_or_b64 s[2:3], vcc, s[2:3]
	s_and_b64 s[4:5], exec, s[28:29]
	s_or_b64 s[22:23], s[4:5], s[22:23]
	s_andn2_b64 s[4:5], s[30:31], exec
	s_and_b64 s[2:3], s[2:3], exec
	s_or_b64 s[30:31], s[4:5], s[2:3]
	s_andn2_b64 s[4:5], s[24:25], exec
	s_and_b64 s[24:25], s[26:27], exec
	s_or_b64 s[24:25], s[4:5], s[24:25]
	s_andn2_b64 s[4:5], s[12:13], exec
	s_or_b64 s[12:13], s[4:5], s[2:3]
	s_andn2_b64 exec, exec, s[22:23]
	s_cbranch_execz .LBB505_105
.LBB505_103:                            ; =>This Inner Loop Header: Depth=1
	global_load_dwordx2 v[36:37], v[22:23], off
	global_load_dwordx2 v[38:39], v[24:25], off
	s_or_b64 s[26:27], s[26:27], exec
	s_or_b64 s[28:29], s[28:29], exec
	s_waitcnt vmcnt(0)
	v_cmp_lt_i64_e32 vcc, v[36:37], v[38:39]
	v_cmp_le_i64_e64 s[2:3], v[36:37], v[38:39]
	v_cmp_eq_u64_e64 s[4:5], v[36:37], v[38:39]
	s_and_saveexec_b64 s[42:43], s[4:5]
	s_cbranch_execz .LBB505_102
; %bb.104:                              ;   in Loop: Header=BB505_103 Depth=1
	s_add_u32 s40, s40, -1
	s_addc_u32 s41, s41, -1
	s_cmp_eq_u64 s[40:41], 0
	s_cselect_b64 s[4:5], -1, 0
	s_andn2_b64 s[28:29], s[28:29], exec
	s_and_b64 s[4:5], s[4:5], exec
	v_lshl_add_u64 v[22:23], v[22:23], 0, 8
	v_lshl_add_u64 v[24:25], v[24:25], 0, 8
	s_andn2_b64 s[26:27], s[26:27], exec
	s_or_b64 s[28:29], s[28:29], s[4:5]
	s_branch .LBB505_102
.LBB505_105:
	s_or_b64 exec, exec, s[22:23]
	s_and_saveexec_b64 s[2:3], s[24:25]
	s_xor_b64 s[2:3], exec, s[2:3]
; %bb.106:
	v_cndmask_b32_e64 v23, v17, v15, s[12:13]
	v_cndmask_b32_e64 v22, v16, v14, s[12:13]
	;; [unrolled: 1-line block ×4, first 2 shown]
	v_mov_b64_e32 v[16:17], v[22:23]
; %bb.107:
	s_or_b64 exec, exec, s[2:3]
	v_mul_lo_u32 v24, v13, s36
	v_mul_lo_u32 v25, v12, s37
	v_mad_u64_u32 v[22:23], s[2:3], v12, s36, 0
	v_add3_u32 v23, v23, v25, v24
	v_mul_lo_u32 v27, v11, s36
	v_mul_lo_u32 v35, v10, s37
	v_mad_u64_u32 v[24:25], s[2:3], v10, s36, 0
	v_add3_u32 v25, v25, v35, v27
	v_lshl_add_u64 v[22:23], v[22:23], 3, s[38:39]
	v_lshl_add_u64 v[24:25], v[24:25], 3, s[38:39]
	s_mov_b64 s[24:25], 0
	s_mov_b64 s[40:41], s[36:37]
                                        ; implicit-def: $sgpr12_sgpr13
                                        ; implicit-def: $sgpr22_sgpr23
                                        ; implicit-def: $sgpr28_sgpr29
                                        ; implicit-def: $sgpr26_sgpr27
                                        ; implicit-def: $sgpr30_sgpr31
	s_branch .LBB505_109
.LBB505_108:                            ;   in Loop: Header=BB505_109 Depth=1
	s_or_b64 exec, exec, s[42:43]
	s_and_b64 s[2:3], s[2:3], s[30:31]
	s_or_b64 s[2:3], vcc, s[2:3]
	s_and_b64 s[4:5], exec, s[28:29]
	s_or_b64 s[24:25], s[4:5], s[24:25]
	s_andn2_b64 s[4:5], s[30:31], exec
	s_and_b64 s[2:3], s[2:3], exec
	s_or_b64 s[30:31], s[4:5], s[2:3]
	s_andn2_b64 s[4:5], s[22:23], exec
	s_and_b64 s[22:23], s[26:27], exec
	s_or_b64 s[22:23], s[4:5], s[22:23]
	s_andn2_b64 s[4:5], s[12:13], exec
	s_or_b64 s[12:13], s[4:5], s[2:3]
	s_andn2_b64 exec, exec, s[24:25]
	s_cbranch_execz .LBB505_111
.LBB505_109:                            ; =>This Inner Loop Header: Depth=1
	global_load_dwordx2 v[36:37], v[22:23], off
	global_load_dwordx2 v[38:39], v[24:25], off
	s_or_b64 s[26:27], s[26:27], exec
	s_or_b64 s[28:29], s[28:29], exec
	s_waitcnt vmcnt(0)
	v_cmp_lt_i64_e32 vcc, v[36:37], v[38:39]
	v_cmp_le_i64_e64 s[2:3], v[36:37], v[38:39]
	v_cmp_eq_u64_e64 s[4:5], v[36:37], v[38:39]
	s_and_saveexec_b64 s[42:43], s[4:5]
	s_cbranch_execz .LBB505_108
; %bb.110:                              ;   in Loop: Header=BB505_109 Depth=1
	s_add_u32 s40, s40, -1
	s_addc_u32 s41, s41, -1
	s_cmp_eq_u64 s[40:41], 0
	s_cselect_b64 s[4:5], -1, 0
	s_andn2_b64 s[28:29], s[28:29], exec
	s_and_b64 s[4:5], s[4:5], exec
	v_lshl_add_u64 v[22:23], v[22:23], 0, 8
	v_lshl_add_u64 v[24:25], v[24:25], 0, 8
	s_andn2_b64 s[26:27], s[26:27], exec
	s_or_b64 s[28:29], s[28:29], s[4:5]
	s_branch .LBB505_108
.LBB505_111:
	s_or_b64 exec, exec, s[24:25]
	s_and_saveexec_b64 s[2:3], s[22:23]
	s_xor_b64 s[2:3], exec, s[2:3]
; %bb.112:
	v_cndmask_b32_e64 v23, v11, v13, s[12:13]
	v_cndmask_b32_e64 v22, v10, v12, s[12:13]
	;; [unrolled: 1-line block ×4, first 2 shown]
	v_mov_b64_e32 v[10:11], v[22:23]
; %bb.113:
	s_or_b64 exec, exec, s[2:3]
.LBB505_114:
	s_and_b64 vcc, exec, s[0:1]
	s_cbranch_vccnz .LBB505_188
; %bb.115:
	v_mul_lo_u32 v24, v9, s36
	v_mul_lo_u32 v25, v8, s37
	v_mad_u64_u32 v[22:23], s[2:3], v8, s36, 0
	v_add3_u32 v23, v23, v25, v24
	v_mul_lo_u32 v27, v7, s36
	v_mul_lo_u32 v35, v6, s37
	v_mad_u64_u32 v[24:25], s[2:3], v6, s36, 0
	v_add3_u32 v25, v25, v35, v27
	v_lshl_add_u64 v[22:23], v[22:23], 3, s[38:39]
	v_lshl_add_u64 v[24:25], v[24:25], 3, s[38:39]
	s_mov_b64 s[22:23], 0
	s_mov_b64 s[40:41], s[36:37]
                                        ; implicit-def: $sgpr12_sgpr13
                                        ; implicit-def: $sgpr24_sgpr25
                                        ; implicit-def: $sgpr28_sgpr29
                                        ; implicit-def: $sgpr26_sgpr27
                                        ; implicit-def: $sgpr30_sgpr31
	s_branch .LBB505_117
.LBB505_116:                            ;   in Loop: Header=BB505_117 Depth=1
	s_or_b64 exec, exec, s[42:43]
	s_and_b64 s[2:3], s[2:3], s[30:31]
	s_or_b64 s[2:3], vcc, s[2:3]
	s_and_b64 s[4:5], exec, s[28:29]
	s_or_b64 s[22:23], s[4:5], s[22:23]
	s_andn2_b64 s[4:5], s[30:31], exec
	s_and_b64 s[2:3], s[2:3], exec
	s_or_b64 s[30:31], s[4:5], s[2:3]
	s_andn2_b64 s[4:5], s[24:25], exec
	s_and_b64 s[24:25], s[26:27], exec
	s_or_b64 s[24:25], s[4:5], s[24:25]
	s_andn2_b64 s[4:5], s[12:13], exec
	s_or_b64 s[12:13], s[4:5], s[2:3]
	s_andn2_b64 exec, exec, s[22:23]
	s_cbranch_execz .LBB505_119
.LBB505_117:                            ; =>This Inner Loop Header: Depth=1
	global_load_dwordx2 v[36:37], v[22:23], off
	global_load_dwordx2 v[38:39], v[24:25], off
	s_or_b64 s[26:27], s[26:27], exec
	s_or_b64 s[28:29], s[28:29], exec
	s_waitcnt vmcnt(0)
	v_cmp_lt_i64_e32 vcc, v[36:37], v[38:39]
	v_cmp_le_i64_e64 s[2:3], v[36:37], v[38:39]
	v_cmp_eq_u64_e64 s[4:5], v[36:37], v[38:39]
	s_and_saveexec_b64 s[42:43], s[4:5]
	s_cbranch_execz .LBB505_116
; %bb.118:                              ;   in Loop: Header=BB505_117 Depth=1
	s_add_u32 s40, s40, -1
	s_addc_u32 s41, s41, -1
	s_cmp_eq_u64 s[40:41], 0
	s_cselect_b64 s[4:5], -1, 0
	s_andn2_b64 s[28:29], s[28:29], exec
	s_and_b64 s[4:5], s[4:5], exec
	v_lshl_add_u64 v[22:23], v[22:23], 0, 8
	v_lshl_add_u64 v[24:25], v[24:25], 0, 8
	s_andn2_b64 s[26:27], s[26:27], exec
	s_or_b64 s[28:29], s[28:29], s[4:5]
	s_branch .LBB505_116
.LBB505_119:
	s_or_b64 exec, exec, s[22:23]
	s_and_saveexec_b64 s[2:3], s[24:25]
	s_xor_b64 s[2:3], exec, s[2:3]
; %bb.120:
	v_cndmask_b32_e64 v23, v7, v9, s[12:13]
	v_cndmask_b32_e64 v22, v6, v8, s[12:13]
	;; [unrolled: 1-line block ×4, first 2 shown]
	v_mov_b64_e32 v[6:7], v[22:23]
; %bb.121:
	s_or_b64 exec, exec, s[2:3]
	v_mul_lo_u32 v24, v5, s36
	v_mul_lo_u32 v25, v4, s37
	v_mad_u64_u32 v[22:23], s[2:3], v4, s36, 0
	v_add3_u32 v23, v23, v25, v24
	v_mul_lo_u32 v27, v3, s36
	v_mul_lo_u32 v35, v2, s37
	v_mad_u64_u32 v[24:25], s[2:3], v2, s36, 0
	v_add3_u32 v25, v25, v35, v27
	v_lshl_add_u64 v[22:23], v[22:23], 3, s[38:39]
	v_lshl_add_u64 v[24:25], v[24:25], 3, s[38:39]
	s_mov_b64 s[22:23], 0
	s_mov_b64 s[40:41], s[36:37]
                                        ; implicit-def: $sgpr12_sgpr13
                                        ; implicit-def: $sgpr24_sgpr25
                                        ; implicit-def: $sgpr28_sgpr29
                                        ; implicit-def: $sgpr26_sgpr27
                                        ; implicit-def: $sgpr30_sgpr31
	s_branch .LBB505_123
.LBB505_122:                            ;   in Loop: Header=BB505_123 Depth=1
	s_or_b64 exec, exec, s[42:43]
	s_and_b64 s[2:3], s[2:3], s[30:31]
	s_or_b64 s[2:3], vcc, s[2:3]
	s_and_b64 s[4:5], exec, s[28:29]
	s_or_b64 s[22:23], s[4:5], s[22:23]
	s_andn2_b64 s[4:5], s[30:31], exec
	s_and_b64 s[2:3], s[2:3], exec
	s_or_b64 s[30:31], s[4:5], s[2:3]
	s_andn2_b64 s[4:5], s[24:25], exec
	s_and_b64 s[24:25], s[26:27], exec
	s_or_b64 s[24:25], s[4:5], s[24:25]
	s_andn2_b64 s[4:5], s[12:13], exec
	s_or_b64 s[12:13], s[4:5], s[2:3]
	s_andn2_b64 exec, exec, s[22:23]
	s_cbranch_execz .LBB505_125
.LBB505_123:                            ; =>This Inner Loop Header: Depth=1
	global_load_dwordx2 v[36:37], v[22:23], off
	global_load_dwordx2 v[38:39], v[24:25], off
	s_or_b64 s[26:27], s[26:27], exec
	s_or_b64 s[28:29], s[28:29], exec
	s_waitcnt vmcnt(0)
	v_cmp_lt_i64_e32 vcc, v[36:37], v[38:39]
	v_cmp_le_i64_e64 s[2:3], v[36:37], v[38:39]
	v_cmp_eq_u64_e64 s[4:5], v[36:37], v[38:39]
	s_and_saveexec_b64 s[42:43], s[4:5]
	s_cbranch_execz .LBB505_122
; %bb.124:                              ;   in Loop: Header=BB505_123 Depth=1
	s_add_u32 s40, s40, -1
	s_addc_u32 s41, s41, -1
	s_cmp_eq_u64 s[40:41], 0
	s_cselect_b64 s[4:5], -1, 0
	s_andn2_b64 s[28:29], s[28:29], exec
	s_and_b64 s[4:5], s[4:5], exec
	v_lshl_add_u64 v[22:23], v[22:23], 0, 8
	v_lshl_add_u64 v[24:25], v[24:25], 0, 8
	s_andn2_b64 s[26:27], s[26:27], exec
	s_or_b64 s[28:29], s[28:29], s[4:5]
	s_branch .LBB505_122
.LBB505_125:
	s_or_b64 exec, exec, s[22:23]
	s_and_saveexec_b64 s[2:3], s[24:25]
	s_xor_b64 s[2:3], exec, s[2:3]
; %bb.126:
	v_cndmask_b32_e64 v23, v3, v5, s[12:13]
	v_cndmask_b32_e64 v22, v2, v4, s[12:13]
	;; [unrolled: 1-line block ×4, first 2 shown]
	v_mov_b64_e32 v[2:3], v[22:23]
; %bb.127:
	s_or_b64 exec, exec, s[2:3]
	v_mul_lo_u32 v24, v11, s36
	v_mul_lo_u32 v25, v10, s37
	v_mad_u64_u32 v[22:23], s[2:3], v10, s36, 0
	v_add3_u32 v23, v23, v25, v24
	v_mul_lo_u32 v27, v17, s36
	v_mul_lo_u32 v35, v16, s37
	v_mad_u64_u32 v[24:25], s[2:3], v16, s36, 0
	v_add3_u32 v25, v25, v35, v27
	v_lshl_add_u64 v[22:23], v[22:23], 3, s[38:39]
	v_lshl_add_u64 v[24:25], v[24:25], 3, s[38:39]
	s_mov_b64 s[22:23], 0
	s_mov_b64 s[40:41], s[36:37]
                                        ; implicit-def: $sgpr12_sgpr13
                                        ; implicit-def: $sgpr24_sgpr25
                                        ; implicit-def: $sgpr28_sgpr29
                                        ; implicit-def: $sgpr26_sgpr27
                                        ; implicit-def: $sgpr30_sgpr31
	s_branch .LBB505_129
.LBB505_128:                            ;   in Loop: Header=BB505_129 Depth=1
	s_or_b64 exec, exec, s[42:43]
	s_and_b64 s[2:3], s[2:3], s[30:31]
	s_or_b64 s[2:3], vcc, s[2:3]
	s_and_b64 s[4:5], exec, s[28:29]
	s_or_b64 s[22:23], s[4:5], s[22:23]
	s_andn2_b64 s[4:5], s[30:31], exec
	s_and_b64 s[2:3], s[2:3], exec
	s_or_b64 s[30:31], s[4:5], s[2:3]
	s_andn2_b64 s[4:5], s[24:25], exec
	s_and_b64 s[24:25], s[26:27], exec
	s_or_b64 s[24:25], s[4:5], s[24:25]
	s_andn2_b64 s[4:5], s[12:13], exec
	s_or_b64 s[12:13], s[4:5], s[2:3]
	s_andn2_b64 exec, exec, s[22:23]
	s_cbranch_execz .LBB505_131
.LBB505_129:                            ; =>This Inner Loop Header: Depth=1
	global_load_dwordx2 v[36:37], v[22:23], off
	global_load_dwordx2 v[38:39], v[24:25], off
	s_or_b64 s[26:27], s[26:27], exec
	s_or_b64 s[28:29], s[28:29], exec
	s_waitcnt vmcnt(0)
	v_cmp_lt_i64_e32 vcc, v[36:37], v[38:39]
	v_cmp_le_i64_e64 s[2:3], v[36:37], v[38:39]
	v_cmp_eq_u64_e64 s[4:5], v[36:37], v[38:39]
	s_and_saveexec_b64 s[42:43], s[4:5]
	s_cbranch_execz .LBB505_128
; %bb.130:                              ;   in Loop: Header=BB505_129 Depth=1
	s_add_u32 s40, s40, -1
	s_addc_u32 s41, s41, -1
	s_cmp_eq_u64 s[40:41], 0
	s_cselect_b64 s[4:5], -1, 0
	s_andn2_b64 s[28:29], s[28:29], exec
	s_and_b64 s[4:5], s[4:5], exec
	v_lshl_add_u64 v[22:23], v[22:23], 0, 8
	v_lshl_add_u64 v[24:25], v[24:25], 0, 8
	s_andn2_b64 s[26:27], s[26:27], exec
	s_or_b64 s[28:29], s[28:29], s[4:5]
	s_branch .LBB505_128
.LBB505_131:
	s_or_b64 exec, exec, s[22:23]
	s_and_saveexec_b64 s[2:3], s[24:25]
	s_xor_b64 s[2:3], exec, s[2:3]
; %bb.132:
	v_cndmask_b32_e64 v23, v17, v11, s[12:13]
	v_cndmask_b32_e64 v22, v16, v10, s[12:13]
	v_cndmask_b32_e64 v11, v11, v17, s[12:13]
	v_cndmask_b32_e64 v10, v10, v16, s[12:13]
	v_mov_b64_e32 v[16:17], v[22:23]
; %bb.133:
	s_or_b64 exec, exec, s[2:3]
	v_mul_lo_u32 v24, v7, s36
	v_mul_lo_u32 v25, v6, s37
	v_mad_u64_u32 v[22:23], s[2:3], v6, s36, 0
	v_add3_u32 v23, v23, v25, v24
	v_mul_lo_u32 v27, v13, s36
	v_mul_lo_u32 v35, v12, s37
	v_mad_u64_u32 v[24:25], s[2:3], v12, s36, 0
	v_add3_u32 v25, v25, v35, v27
	v_lshl_add_u64 v[22:23], v[22:23], 3, s[38:39]
	v_lshl_add_u64 v[24:25], v[24:25], 3, s[38:39]
	s_mov_b64 s[22:23], 0
	s_mov_b64 s[40:41], s[36:37]
                                        ; implicit-def: $sgpr12_sgpr13
                                        ; implicit-def: $sgpr24_sgpr25
                                        ; implicit-def: $sgpr28_sgpr29
                                        ; implicit-def: $sgpr26_sgpr27
                                        ; implicit-def: $sgpr30_sgpr31
	s_branch .LBB505_135
.LBB505_134:                            ;   in Loop: Header=BB505_135 Depth=1
	s_or_b64 exec, exec, s[42:43]
	s_and_b64 s[2:3], s[2:3], s[30:31]
	s_or_b64 s[2:3], vcc, s[2:3]
	s_and_b64 s[4:5], exec, s[28:29]
	s_or_b64 s[22:23], s[4:5], s[22:23]
	s_andn2_b64 s[4:5], s[30:31], exec
	s_and_b64 s[2:3], s[2:3], exec
	s_or_b64 s[30:31], s[4:5], s[2:3]
	s_andn2_b64 s[4:5], s[24:25], exec
	s_and_b64 s[24:25], s[26:27], exec
	s_or_b64 s[24:25], s[4:5], s[24:25]
	s_andn2_b64 s[4:5], s[12:13], exec
	s_or_b64 s[12:13], s[4:5], s[2:3]
	s_andn2_b64 exec, exec, s[22:23]
	s_cbranch_execz .LBB505_137
.LBB505_135:                            ; =>This Inner Loop Header: Depth=1
	global_load_dwordx2 v[36:37], v[22:23], off
	global_load_dwordx2 v[38:39], v[24:25], off
	s_or_b64 s[26:27], s[26:27], exec
	s_or_b64 s[28:29], s[28:29], exec
	s_waitcnt vmcnt(0)
	v_cmp_lt_i64_e32 vcc, v[36:37], v[38:39]
	v_cmp_le_i64_e64 s[2:3], v[36:37], v[38:39]
	v_cmp_eq_u64_e64 s[4:5], v[36:37], v[38:39]
	s_and_saveexec_b64 s[42:43], s[4:5]
	s_cbranch_execz .LBB505_134
; %bb.136:                              ;   in Loop: Header=BB505_135 Depth=1
	s_add_u32 s40, s40, -1
	s_addc_u32 s41, s41, -1
	s_cmp_eq_u64 s[40:41], 0
	s_cselect_b64 s[4:5], -1, 0
	s_andn2_b64 s[28:29], s[28:29], exec
	s_and_b64 s[4:5], s[4:5], exec
	v_lshl_add_u64 v[22:23], v[22:23], 0, 8
	v_lshl_add_u64 v[24:25], v[24:25], 0, 8
	s_andn2_b64 s[26:27], s[26:27], exec
	s_or_b64 s[28:29], s[28:29], s[4:5]
	s_branch .LBB505_134
.LBB505_137:
	s_or_b64 exec, exec, s[22:23]
	s_and_saveexec_b64 s[2:3], s[24:25]
	s_xor_b64 s[2:3], exec, s[2:3]
; %bb.138:
	v_cndmask_b32_e64 v23, v13, v7, s[12:13]
	v_cndmask_b32_e64 v22, v12, v6, s[12:13]
	;; [unrolled: 1-line block ×4, first 2 shown]
	v_mov_b64_e32 v[12:13], v[22:23]
; %bb.139:
	s_or_b64 exec, exec, s[2:3]
	v_mul_lo_u32 v24, v3, s36
	v_mul_lo_u32 v25, v2, s37
	v_mad_u64_u32 v[22:23], s[2:3], v2, s36, 0
	v_add3_u32 v23, v23, v25, v24
	v_mul_lo_u32 v27, v9, s36
	v_mul_lo_u32 v35, v8, s37
	v_mad_u64_u32 v[24:25], s[2:3], v8, s36, 0
	v_add3_u32 v25, v25, v35, v27
	v_lshl_add_u64 v[22:23], v[22:23], 3, s[38:39]
	v_lshl_add_u64 v[24:25], v[24:25], 3, s[38:39]
	s_mov_b64 s[22:23], 0
	s_mov_b64 s[40:41], s[36:37]
                                        ; implicit-def: $sgpr12_sgpr13
                                        ; implicit-def: $sgpr24_sgpr25
                                        ; implicit-def: $sgpr28_sgpr29
                                        ; implicit-def: $sgpr26_sgpr27
                                        ; implicit-def: $sgpr30_sgpr31
	s_branch .LBB505_141
.LBB505_140:                            ;   in Loop: Header=BB505_141 Depth=1
	s_or_b64 exec, exec, s[42:43]
	s_and_b64 s[2:3], s[2:3], s[30:31]
	s_or_b64 s[2:3], vcc, s[2:3]
	s_and_b64 s[4:5], exec, s[28:29]
	s_or_b64 s[22:23], s[4:5], s[22:23]
	s_andn2_b64 s[4:5], s[30:31], exec
	s_and_b64 s[2:3], s[2:3], exec
	s_or_b64 s[30:31], s[4:5], s[2:3]
	s_andn2_b64 s[4:5], s[24:25], exec
	s_and_b64 s[24:25], s[26:27], exec
	s_or_b64 s[24:25], s[4:5], s[24:25]
	s_andn2_b64 s[4:5], s[12:13], exec
	s_or_b64 s[12:13], s[4:5], s[2:3]
	s_andn2_b64 exec, exec, s[22:23]
	s_cbranch_execz .LBB505_143
.LBB505_141:                            ; =>This Inner Loop Header: Depth=1
	global_load_dwordx2 v[36:37], v[22:23], off
	global_load_dwordx2 v[38:39], v[24:25], off
	s_or_b64 s[26:27], s[26:27], exec
	s_or_b64 s[28:29], s[28:29], exec
	s_waitcnt vmcnt(0)
	v_cmp_lt_i64_e32 vcc, v[36:37], v[38:39]
	v_cmp_le_i64_e64 s[2:3], v[36:37], v[38:39]
	v_cmp_eq_u64_e64 s[4:5], v[36:37], v[38:39]
	s_and_saveexec_b64 s[42:43], s[4:5]
	s_cbranch_execz .LBB505_140
; %bb.142:                              ;   in Loop: Header=BB505_141 Depth=1
	s_add_u32 s40, s40, -1
	s_addc_u32 s41, s41, -1
	s_cmp_eq_u64 s[40:41], 0
	s_cselect_b64 s[4:5], -1, 0
	s_andn2_b64 s[28:29], s[28:29], exec
	s_and_b64 s[4:5], s[4:5], exec
	v_lshl_add_u64 v[22:23], v[22:23], 0, 8
	v_lshl_add_u64 v[24:25], v[24:25], 0, 8
	s_andn2_b64 s[26:27], s[26:27], exec
	s_or_b64 s[28:29], s[28:29], s[4:5]
	s_branch .LBB505_140
.LBB505_143:
	s_or_b64 exec, exec, s[22:23]
	s_and_saveexec_b64 s[2:3], s[24:25]
	s_xor_b64 s[2:3], exec, s[2:3]
; %bb.144:
	v_cndmask_b32_e64 v23, v9, v3, s[12:13]
	v_cndmask_b32_e64 v22, v8, v2, s[12:13]
	;; [unrolled: 1-line block ×4, first 2 shown]
	v_mov_b64_e32 v[8:9], v[22:23]
; %bb.145:
	s_or_b64 exec, exec, s[2:3]
	v_mul_lo_u32 v24, v17, s36
	v_mul_lo_u32 v25, v16, s37
	v_mad_u64_u32 v[22:23], s[2:3], v16, s36, 0
	v_add3_u32 v23, v23, v25, v24
	v_mul_lo_u32 v27, v15, s36
	v_mul_lo_u32 v35, v14, s37
	v_mad_u64_u32 v[24:25], s[2:3], v14, s36, 0
	v_add3_u32 v25, v25, v35, v27
	v_lshl_add_u64 v[22:23], v[22:23], 3, s[38:39]
	v_lshl_add_u64 v[24:25], v[24:25], 3, s[38:39]
	s_mov_b64 s[22:23], 0
	s_mov_b64 s[40:41], s[36:37]
                                        ; implicit-def: $sgpr12_sgpr13
                                        ; implicit-def: $sgpr24_sgpr25
                                        ; implicit-def: $sgpr28_sgpr29
                                        ; implicit-def: $sgpr26_sgpr27
                                        ; implicit-def: $sgpr30_sgpr31
	s_branch .LBB505_147
.LBB505_146:                            ;   in Loop: Header=BB505_147 Depth=1
	s_or_b64 exec, exec, s[42:43]
	s_and_b64 s[2:3], s[2:3], s[30:31]
	s_or_b64 s[2:3], vcc, s[2:3]
	s_and_b64 s[4:5], exec, s[28:29]
	s_or_b64 s[22:23], s[4:5], s[22:23]
	s_andn2_b64 s[4:5], s[30:31], exec
	s_and_b64 s[2:3], s[2:3], exec
	s_or_b64 s[30:31], s[4:5], s[2:3]
	s_andn2_b64 s[4:5], s[24:25], exec
	s_and_b64 s[24:25], s[26:27], exec
	s_or_b64 s[24:25], s[4:5], s[24:25]
	s_andn2_b64 s[4:5], s[12:13], exec
	s_or_b64 s[12:13], s[4:5], s[2:3]
	s_andn2_b64 exec, exec, s[22:23]
	s_cbranch_execz .LBB505_149
.LBB505_147:                            ; =>This Inner Loop Header: Depth=1
	global_load_dwordx2 v[36:37], v[22:23], off
	global_load_dwordx2 v[38:39], v[24:25], off
	s_or_b64 s[26:27], s[26:27], exec
	s_or_b64 s[28:29], s[28:29], exec
	s_waitcnt vmcnt(0)
	v_cmp_lt_i64_e32 vcc, v[36:37], v[38:39]
	v_cmp_le_i64_e64 s[2:3], v[36:37], v[38:39]
	v_cmp_eq_u64_e64 s[4:5], v[36:37], v[38:39]
	s_and_saveexec_b64 s[42:43], s[4:5]
	s_cbranch_execz .LBB505_146
; %bb.148:                              ;   in Loop: Header=BB505_147 Depth=1
	s_add_u32 s40, s40, -1
	s_addc_u32 s41, s41, -1
	s_cmp_eq_u64 s[40:41], 0
	s_cselect_b64 s[4:5], -1, 0
	s_andn2_b64 s[28:29], s[28:29], exec
	s_and_b64 s[4:5], s[4:5], exec
	v_lshl_add_u64 v[22:23], v[22:23], 0, 8
	v_lshl_add_u64 v[24:25], v[24:25], 0, 8
	s_andn2_b64 s[26:27], s[26:27], exec
	s_or_b64 s[28:29], s[28:29], s[4:5]
	s_branch .LBB505_146
.LBB505_149:
	s_or_b64 exec, exec, s[22:23]
	s_and_saveexec_b64 s[2:3], s[24:25]
	s_xor_b64 s[2:3], exec, s[2:3]
; %bb.150:
	v_cndmask_b32_e64 v23, v17, v15, s[12:13]
	v_cndmask_b32_e64 v22, v16, v14, s[12:13]
	;; [unrolled: 1-line block ×4, first 2 shown]
	v_mov_b64_e32 v[16:17], v[22:23]
; %bb.151:
	s_or_b64 exec, exec, s[2:3]
	v_mul_lo_u32 v24, v13, s36
	v_mul_lo_u32 v25, v12, s37
	v_mad_u64_u32 v[22:23], s[2:3], v12, s36, 0
	v_add3_u32 v23, v23, v25, v24
	v_mul_lo_u32 v27, v11, s36
	v_mul_lo_u32 v35, v10, s37
	v_mad_u64_u32 v[24:25], s[2:3], v10, s36, 0
	v_add3_u32 v25, v25, v35, v27
	v_lshl_add_u64 v[22:23], v[22:23], 3, s[38:39]
	v_lshl_add_u64 v[24:25], v[24:25], 3, s[38:39]
	s_mov_b64 s[22:23], 0
	s_mov_b64 s[40:41], s[36:37]
                                        ; implicit-def: $sgpr12_sgpr13
                                        ; implicit-def: $sgpr24_sgpr25
                                        ; implicit-def: $sgpr28_sgpr29
                                        ; implicit-def: $sgpr26_sgpr27
                                        ; implicit-def: $sgpr30_sgpr31
	s_branch .LBB505_153
.LBB505_152:                            ;   in Loop: Header=BB505_153 Depth=1
	s_or_b64 exec, exec, s[42:43]
	s_and_b64 s[2:3], s[2:3], s[30:31]
	s_or_b64 s[2:3], vcc, s[2:3]
	s_and_b64 s[4:5], exec, s[28:29]
	s_or_b64 s[22:23], s[4:5], s[22:23]
	s_andn2_b64 s[4:5], s[30:31], exec
	s_and_b64 s[2:3], s[2:3], exec
	s_or_b64 s[30:31], s[4:5], s[2:3]
	s_andn2_b64 s[4:5], s[24:25], exec
	s_and_b64 s[24:25], s[26:27], exec
	s_or_b64 s[24:25], s[4:5], s[24:25]
	s_andn2_b64 s[4:5], s[12:13], exec
	s_or_b64 s[12:13], s[4:5], s[2:3]
	s_andn2_b64 exec, exec, s[22:23]
	s_cbranch_execz .LBB505_155
.LBB505_153:                            ; =>This Inner Loop Header: Depth=1
	global_load_dwordx2 v[36:37], v[22:23], off
	global_load_dwordx2 v[38:39], v[24:25], off
	s_or_b64 s[26:27], s[26:27], exec
	s_or_b64 s[28:29], s[28:29], exec
	s_waitcnt vmcnt(0)
	v_cmp_lt_i64_e32 vcc, v[36:37], v[38:39]
	v_cmp_le_i64_e64 s[2:3], v[36:37], v[38:39]
	v_cmp_eq_u64_e64 s[4:5], v[36:37], v[38:39]
	s_and_saveexec_b64 s[42:43], s[4:5]
	s_cbranch_execz .LBB505_152
; %bb.154:                              ;   in Loop: Header=BB505_153 Depth=1
	s_add_u32 s40, s40, -1
	s_addc_u32 s41, s41, -1
	s_cmp_eq_u64 s[40:41], 0
	s_cselect_b64 s[4:5], -1, 0
	s_andn2_b64 s[28:29], s[28:29], exec
	s_and_b64 s[4:5], s[4:5], exec
	v_lshl_add_u64 v[22:23], v[22:23], 0, 8
	v_lshl_add_u64 v[24:25], v[24:25], 0, 8
	s_andn2_b64 s[26:27], s[26:27], exec
	s_or_b64 s[28:29], s[28:29], s[4:5]
	s_branch .LBB505_152
.LBB505_155:
	s_or_b64 exec, exec, s[22:23]
	s_and_saveexec_b64 s[2:3], s[24:25]
	s_xor_b64 s[2:3], exec, s[2:3]
; %bb.156:
	v_cndmask_b32_e64 v23, v11, v13, s[12:13]
	v_cndmask_b32_e64 v22, v10, v12, s[12:13]
	;; [unrolled: 1-line block ×4, first 2 shown]
	v_mov_b64_e32 v[10:11], v[22:23]
; %bb.157:
	s_or_b64 exec, exec, s[2:3]
	v_mul_lo_u32 v24, v9, s36
	v_mul_lo_u32 v25, v8, s37
	v_mad_u64_u32 v[22:23], s[2:3], v8, s36, 0
	v_add3_u32 v23, v23, v25, v24
	v_mul_lo_u32 v27, v7, s36
	v_mul_lo_u32 v35, v6, s37
	v_mad_u64_u32 v[24:25], s[2:3], v6, s36, 0
	v_add3_u32 v25, v25, v35, v27
	v_lshl_add_u64 v[22:23], v[22:23], 3, s[38:39]
	v_lshl_add_u64 v[24:25], v[24:25], 3, s[38:39]
	s_mov_b64 s[22:23], 0
	s_mov_b64 s[40:41], s[36:37]
                                        ; implicit-def: $sgpr12_sgpr13
                                        ; implicit-def: $sgpr24_sgpr25
                                        ; implicit-def: $sgpr28_sgpr29
                                        ; implicit-def: $sgpr26_sgpr27
                                        ; implicit-def: $sgpr30_sgpr31
	s_branch .LBB505_159
.LBB505_158:                            ;   in Loop: Header=BB505_159 Depth=1
	s_or_b64 exec, exec, s[42:43]
	s_and_b64 s[2:3], s[2:3], s[30:31]
	s_or_b64 s[2:3], vcc, s[2:3]
	s_and_b64 s[4:5], exec, s[28:29]
	s_or_b64 s[22:23], s[4:5], s[22:23]
	s_andn2_b64 s[4:5], s[30:31], exec
	s_and_b64 s[2:3], s[2:3], exec
	s_or_b64 s[30:31], s[4:5], s[2:3]
	s_andn2_b64 s[4:5], s[24:25], exec
	s_and_b64 s[24:25], s[26:27], exec
	s_or_b64 s[24:25], s[4:5], s[24:25]
	s_andn2_b64 s[4:5], s[12:13], exec
	s_or_b64 s[12:13], s[4:5], s[2:3]
	s_andn2_b64 exec, exec, s[22:23]
	s_cbranch_execz .LBB505_161
.LBB505_159:                            ; =>This Inner Loop Header: Depth=1
	global_load_dwordx2 v[36:37], v[22:23], off
	global_load_dwordx2 v[38:39], v[24:25], off
	s_or_b64 s[26:27], s[26:27], exec
	s_or_b64 s[28:29], s[28:29], exec
	s_waitcnt vmcnt(0)
	v_cmp_lt_i64_e32 vcc, v[36:37], v[38:39]
	v_cmp_le_i64_e64 s[2:3], v[36:37], v[38:39]
	v_cmp_eq_u64_e64 s[4:5], v[36:37], v[38:39]
	s_and_saveexec_b64 s[42:43], s[4:5]
	s_cbranch_execz .LBB505_158
; %bb.160:                              ;   in Loop: Header=BB505_159 Depth=1
	s_add_u32 s40, s40, -1
	s_addc_u32 s41, s41, -1
	s_cmp_eq_u64 s[40:41], 0
	s_cselect_b64 s[4:5], -1, 0
	s_andn2_b64 s[28:29], s[28:29], exec
	s_and_b64 s[4:5], s[4:5], exec
	v_lshl_add_u64 v[22:23], v[22:23], 0, 8
	v_lshl_add_u64 v[24:25], v[24:25], 0, 8
	s_andn2_b64 s[26:27], s[26:27], exec
	s_or_b64 s[28:29], s[28:29], s[4:5]
	s_branch .LBB505_158
.LBB505_161:
	s_or_b64 exec, exec, s[22:23]
	s_and_saveexec_b64 s[2:3], s[24:25]
	s_xor_b64 s[2:3], exec, s[2:3]
; %bb.162:
	v_cndmask_b32_e64 v23, v7, v9, s[12:13]
	v_cndmask_b32_e64 v22, v6, v8, s[12:13]
	;; [unrolled: 1-line block ×4, first 2 shown]
	v_mov_b64_e32 v[6:7], v[22:23]
; %bb.163:
	s_or_b64 exec, exec, s[2:3]
	v_mul_lo_u32 v24, v5, s36
	v_mul_lo_u32 v25, v4, s37
	v_mad_u64_u32 v[22:23], s[2:3], v4, s36, 0
	v_add3_u32 v23, v23, v25, v24
	v_mul_lo_u32 v27, v3, s36
	v_mul_lo_u32 v35, v2, s37
	v_mad_u64_u32 v[24:25], s[2:3], v2, s36, 0
	v_add3_u32 v25, v25, v35, v27
	v_lshl_add_u64 v[22:23], v[22:23], 3, s[38:39]
	v_lshl_add_u64 v[24:25], v[24:25], 3, s[38:39]
	s_mov_b64 s[22:23], 0
	s_mov_b64 s[40:41], s[36:37]
                                        ; implicit-def: $sgpr12_sgpr13
                                        ; implicit-def: $sgpr24_sgpr25
                                        ; implicit-def: $sgpr28_sgpr29
                                        ; implicit-def: $sgpr26_sgpr27
                                        ; implicit-def: $sgpr30_sgpr31
	s_branch .LBB505_165
.LBB505_164:                            ;   in Loop: Header=BB505_165 Depth=1
	s_or_b64 exec, exec, s[42:43]
	s_and_b64 s[2:3], s[2:3], s[30:31]
	s_or_b64 s[2:3], vcc, s[2:3]
	s_and_b64 s[4:5], exec, s[28:29]
	s_or_b64 s[22:23], s[4:5], s[22:23]
	s_andn2_b64 s[4:5], s[30:31], exec
	s_and_b64 s[2:3], s[2:3], exec
	s_or_b64 s[30:31], s[4:5], s[2:3]
	s_andn2_b64 s[4:5], s[24:25], exec
	s_and_b64 s[24:25], s[26:27], exec
	s_or_b64 s[24:25], s[4:5], s[24:25]
	s_andn2_b64 s[4:5], s[12:13], exec
	s_or_b64 s[12:13], s[4:5], s[2:3]
	s_andn2_b64 exec, exec, s[22:23]
	s_cbranch_execz .LBB505_167
.LBB505_165:                            ; =>This Inner Loop Header: Depth=1
	global_load_dwordx2 v[36:37], v[22:23], off
	global_load_dwordx2 v[38:39], v[24:25], off
	s_or_b64 s[26:27], s[26:27], exec
	s_or_b64 s[28:29], s[28:29], exec
	s_waitcnt vmcnt(0)
	v_cmp_lt_i64_e32 vcc, v[36:37], v[38:39]
	v_cmp_le_i64_e64 s[2:3], v[36:37], v[38:39]
	v_cmp_eq_u64_e64 s[4:5], v[36:37], v[38:39]
	s_and_saveexec_b64 s[42:43], s[4:5]
	s_cbranch_execz .LBB505_164
; %bb.166:                              ;   in Loop: Header=BB505_165 Depth=1
	s_add_u32 s40, s40, -1
	s_addc_u32 s41, s41, -1
	s_cmp_eq_u64 s[40:41], 0
	s_cselect_b64 s[4:5], -1, 0
	s_andn2_b64 s[28:29], s[28:29], exec
	s_and_b64 s[4:5], s[4:5], exec
	v_lshl_add_u64 v[22:23], v[22:23], 0, 8
	v_lshl_add_u64 v[24:25], v[24:25], 0, 8
	s_andn2_b64 s[26:27], s[26:27], exec
	s_or_b64 s[28:29], s[28:29], s[4:5]
	s_branch .LBB505_164
.LBB505_167:
	s_or_b64 exec, exec, s[22:23]
	s_and_saveexec_b64 s[2:3], s[24:25]
	s_xor_b64 s[2:3], exec, s[2:3]
; %bb.168:
	v_cndmask_b32_e64 v23, v3, v5, s[12:13]
	v_cndmask_b32_e64 v22, v2, v4, s[12:13]
	;; [unrolled: 1-line block ×4, first 2 shown]
	v_mov_b64_e32 v[2:3], v[22:23]
; %bb.169:
	s_or_b64 exec, exec, s[2:3]
	v_mul_lo_u32 v24, v11, s36
	v_mul_lo_u32 v25, v10, s37
	v_mad_u64_u32 v[22:23], s[2:3], v10, s36, 0
	v_add3_u32 v23, v23, v25, v24
	v_mul_lo_u32 v27, v17, s36
	v_mul_lo_u32 v35, v16, s37
	v_mad_u64_u32 v[24:25], s[2:3], v16, s36, 0
	v_add3_u32 v25, v25, v35, v27
	v_lshl_add_u64 v[22:23], v[22:23], 3, s[38:39]
	v_lshl_add_u64 v[24:25], v[24:25], 3, s[38:39]
	s_mov_b64 s[22:23], 0
	s_mov_b64 s[40:41], s[36:37]
                                        ; implicit-def: $sgpr12_sgpr13
                                        ; implicit-def: $sgpr24_sgpr25
                                        ; implicit-def: $sgpr28_sgpr29
                                        ; implicit-def: $sgpr26_sgpr27
                                        ; implicit-def: $sgpr30_sgpr31
	s_branch .LBB505_171
.LBB505_170:                            ;   in Loop: Header=BB505_171 Depth=1
	s_or_b64 exec, exec, s[42:43]
	s_and_b64 s[2:3], s[2:3], s[30:31]
	s_or_b64 s[2:3], vcc, s[2:3]
	s_and_b64 s[4:5], exec, s[28:29]
	s_or_b64 s[22:23], s[4:5], s[22:23]
	s_andn2_b64 s[4:5], s[30:31], exec
	s_and_b64 s[2:3], s[2:3], exec
	s_or_b64 s[30:31], s[4:5], s[2:3]
	s_andn2_b64 s[4:5], s[24:25], exec
	s_and_b64 s[24:25], s[26:27], exec
	s_or_b64 s[24:25], s[4:5], s[24:25]
	s_andn2_b64 s[4:5], s[12:13], exec
	s_or_b64 s[12:13], s[4:5], s[2:3]
	s_andn2_b64 exec, exec, s[22:23]
	s_cbranch_execz .LBB505_173
.LBB505_171:                            ; =>This Inner Loop Header: Depth=1
	global_load_dwordx2 v[36:37], v[22:23], off
	global_load_dwordx2 v[38:39], v[24:25], off
	s_or_b64 s[26:27], s[26:27], exec
	s_or_b64 s[28:29], s[28:29], exec
	s_waitcnt vmcnt(0)
	v_cmp_lt_i64_e32 vcc, v[36:37], v[38:39]
	v_cmp_le_i64_e64 s[2:3], v[36:37], v[38:39]
	v_cmp_eq_u64_e64 s[4:5], v[36:37], v[38:39]
	s_and_saveexec_b64 s[42:43], s[4:5]
	s_cbranch_execz .LBB505_170
; %bb.172:                              ;   in Loop: Header=BB505_171 Depth=1
	s_add_u32 s40, s40, -1
	s_addc_u32 s41, s41, -1
	s_cmp_eq_u64 s[40:41], 0
	s_cselect_b64 s[4:5], -1, 0
	s_andn2_b64 s[28:29], s[28:29], exec
	s_and_b64 s[4:5], s[4:5], exec
	v_lshl_add_u64 v[22:23], v[22:23], 0, 8
	v_lshl_add_u64 v[24:25], v[24:25], 0, 8
	s_andn2_b64 s[26:27], s[26:27], exec
	s_or_b64 s[28:29], s[28:29], s[4:5]
	s_branch .LBB505_170
.LBB505_173:
	s_or_b64 exec, exec, s[22:23]
	s_and_saveexec_b64 s[2:3], s[24:25]
	s_xor_b64 s[2:3], exec, s[2:3]
; %bb.174:
	v_cndmask_b32_e64 v23, v17, v11, s[12:13]
	v_cndmask_b32_e64 v22, v16, v10, s[12:13]
	;; [unrolled: 1-line block ×4, first 2 shown]
	v_mov_b64_e32 v[16:17], v[22:23]
; %bb.175:
	s_or_b64 exec, exec, s[2:3]
	v_mul_lo_u32 v24, v7, s36
	v_mul_lo_u32 v25, v6, s37
	v_mad_u64_u32 v[22:23], s[2:3], v6, s36, 0
	v_add3_u32 v23, v23, v25, v24
	v_mul_lo_u32 v27, v13, s36
	v_mul_lo_u32 v35, v12, s37
	v_mad_u64_u32 v[24:25], s[2:3], v12, s36, 0
	v_add3_u32 v25, v25, v35, v27
	v_lshl_add_u64 v[22:23], v[22:23], 3, s[38:39]
	v_lshl_add_u64 v[24:25], v[24:25], 3, s[38:39]
	s_mov_b64 s[22:23], 0
	s_mov_b64 s[40:41], s[36:37]
                                        ; implicit-def: $sgpr12_sgpr13
                                        ; implicit-def: $sgpr24_sgpr25
                                        ; implicit-def: $sgpr28_sgpr29
                                        ; implicit-def: $sgpr26_sgpr27
                                        ; implicit-def: $sgpr30_sgpr31
	s_branch .LBB505_177
.LBB505_176:                            ;   in Loop: Header=BB505_177 Depth=1
	s_or_b64 exec, exec, s[42:43]
	s_and_b64 s[2:3], s[2:3], s[30:31]
	s_or_b64 s[2:3], vcc, s[2:3]
	s_and_b64 s[4:5], exec, s[28:29]
	s_or_b64 s[22:23], s[4:5], s[22:23]
	s_andn2_b64 s[4:5], s[30:31], exec
	s_and_b64 s[2:3], s[2:3], exec
	s_or_b64 s[30:31], s[4:5], s[2:3]
	s_andn2_b64 s[4:5], s[24:25], exec
	s_and_b64 s[24:25], s[26:27], exec
	s_or_b64 s[24:25], s[4:5], s[24:25]
	s_andn2_b64 s[4:5], s[12:13], exec
	s_or_b64 s[12:13], s[4:5], s[2:3]
	s_andn2_b64 exec, exec, s[22:23]
	s_cbranch_execz .LBB505_179
.LBB505_177:                            ; =>This Inner Loop Header: Depth=1
	global_load_dwordx2 v[36:37], v[22:23], off
	global_load_dwordx2 v[38:39], v[24:25], off
	s_or_b64 s[26:27], s[26:27], exec
	s_or_b64 s[28:29], s[28:29], exec
	s_waitcnt vmcnt(0)
	v_cmp_lt_i64_e32 vcc, v[36:37], v[38:39]
	v_cmp_le_i64_e64 s[2:3], v[36:37], v[38:39]
	v_cmp_eq_u64_e64 s[4:5], v[36:37], v[38:39]
	s_and_saveexec_b64 s[42:43], s[4:5]
	s_cbranch_execz .LBB505_176
; %bb.178:                              ;   in Loop: Header=BB505_177 Depth=1
	s_add_u32 s40, s40, -1
	s_addc_u32 s41, s41, -1
	s_cmp_eq_u64 s[40:41], 0
	s_cselect_b64 s[4:5], -1, 0
	s_andn2_b64 s[28:29], s[28:29], exec
	s_and_b64 s[4:5], s[4:5], exec
	v_lshl_add_u64 v[22:23], v[22:23], 0, 8
	v_lshl_add_u64 v[24:25], v[24:25], 0, 8
	s_andn2_b64 s[26:27], s[26:27], exec
	s_or_b64 s[28:29], s[28:29], s[4:5]
	s_branch .LBB505_176
.LBB505_179:
	s_or_b64 exec, exec, s[22:23]
	s_and_saveexec_b64 s[2:3], s[24:25]
	s_xor_b64 s[2:3], exec, s[2:3]
; %bb.180:
	v_cndmask_b32_e64 v23, v13, v7, s[12:13]
	v_cndmask_b32_e64 v22, v12, v6, s[12:13]
	;; [unrolled: 1-line block ×4, first 2 shown]
	v_mov_b64_e32 v[12:13], v[22:23]
; %bb.181:
	s_or_b64 exec, exec, s[2:3]
	v_mul_lo_u32 v24, v3, s36
	v_mul_lo_u32 v25, v2, s37
	v_mad_u64_u32 v[22:23], s[2:3], v2, s36, 0
	v_add3_u32 v23, v23, v25, v24
	v_mul_lo_u32 v27, v9, s36
	v_mul_lo_u32 v35, v8, s37
	v_mad_u64_u32 v[24:25], s[2:3], v8, s36, 0
	v_add3_u32 v25, v25, v35, v27
	v_lshl_add_u64 v[22:23], v[22:23], 3, s[38:39]
	v_lshl_add_u64 v[24:25], v[24:25], 3, s[38:39]
	s_mov_b64 s[24:25], 0
	s_mov_b64 s[40:41], s[36:37]
                                        ; implicit-def: $sgpr12_sgpr13
                                        ; implicit-def: $sgpr22_sgpr23
                                        ; implicit-def: $sgpr28_sgpr29
                                        ; implicit-def: $sgpr26_sgpr27
                                        ; implicit-def: $sgpr30_sgpr31
	s_branch .LBB505_183
.LBB505_182:                            ;   in Loop: Header=BB505_183 Depth=1
	s_or_b64 exec, exec, s[42:43]
	s_and_b64 s[2:3], s[2:3], s[30:31]
	s_or_b64 s[2:3], vcc, s[2:3]
	s_and_b64 s[4:5], exec, s[28:29]
	s_or_b64 s[24:25], s[4:5], s[24:25]
	s_andn2_b64 s[4:5], s[30:31], exec
	s_and_b64 s[2:3], s[2:3], exec
	s_or_b64 s[30:31], s[4:5], s[2:3]
	s_andn2_b64 s[4:5], s[22:23], exec
	s_and_b64 s[22:23], s[26:27], exec
	s_or_b64 s[22:23], s[4:5], s[22:23]
	s_andn2_b64 s[4:5], s[12:13], exec
	s_or_b64 s[12:13], s[4:5], s[2:3]
	s_andn2_b64 exec, exec, s[24:25]
	s_cbranch_execz .LBB505_185
.LBB505_183:                            ; =>This Inner Loop Header: Depth=1
	global_load_dwordx2 v[36:37], v[22:23], off
	global_load_dwordx2 v[38:39], v[24:25], off
	s_or_b64 s[26:27], s[26:27], exec
	s_or_b64 s[28:29], s[28:29], exec
	s_waitcnt vmcnt(0)
	v_cmp_lt_i64_e32 vcc, v[36:37], v[38:39]
	v_cmp_le_i64_e64 s[2:3], v[36:37], v[38:39]
	v_cmp_eq_u64_e64 s[4:5], v[36:37], v[38:39]
	s_and_saveexec_b64 s[42:43], s[4:5]
	s_cbranch_execz .LBB505_182
; %bb.184:                              ;   in Loop: Header=BB505_183 Depth=1
	s_add_u32 s40, s40, -1
	s_addc_u32 s41, s41, -1
	s_cmp_eq_u64 s[40:41], 0
	s_cselect_b64 s[4:5], -1, 0
	s_andn2_b64 s[28:29], s[28:29], exec
	s_and_b64 s[4:5], s[4:5], exec
	v_lshl_add_u64 v[22:23], v[22:23], 0, 8
	v_lshl_add_u64 v[24:25], v[24:25], 0, 8
	s_andn2_b64 s[26:27], s[26:27], exec
	s_or_b64 s[28:29], s[28:29], s[4:5]
	s_branch .LBB505_182
.LBB505_185:
	s_or_b64 exec, exec, s[24:25]
	s_and_saveexec_b64 s[2:3], s[22:23]
	s_xor_b64 s[2:3], exec, s[2:3]
; %bb.186:
	v_cndmask_b32_e64 v23, v9, v3, s[12:13]
	v_cndmask_b32_e64 v22, v8, v2, s[12:13]
	;; [unrolled: 1-line block ×4, first 2 shown]
	v_mov_b64_e32 v[8:9], v[22:23]
; %bb.187:
	s_or_b64 exec, exec, s[2:3]
.LBB505_188:
	s_or_b64 exec, exec, s[10:11]
	v_mbcnt_lo_u32_b32 v22, -1, 0
	v_mbcnt_hi_u32_b32 v22, -1, v22
	v_and_b32_e32 v23, 0xfffffe00, v26
	s_movk_i32 s2, 0x800
	v_lshlrev_b32_e32 v35, 3, v23
	v_lshlrev_b32_e32 v37, 3, v22
	v_sub_u32_e64 v36, s2, v23 clamp
	v_lshl_add_u32 v38, v22, 6, v35
	v_or_b32_e32 v22, 8, v37
	v_min_u32_e32 v26, v36, v22
	v_add_u32_e32 v22, 8, v26
	v_and_b32_e32 v41, 0x3f0, v37
	v_min_u32_e32 v27, v36, v22
	v_and_b32_e32 v22, 8, v37
	v_min_u32_e32 v42, v36, v22
	v_sub_u32_e32 v22, v26, v41
	v_sub_u32_e32 v23, v27, v26
	v_sub_u32_e64 v40, v42, v23 clamp
	v_min_u32_e32 v43, v42, v22
	v_lshl_add_u32 v39, v41, 3, v35
	v_cmp_lt_u32_e32 vcc, v40, v43
	ds_write_b128 v38, v[14:17]
	ds_write_b128 v38, v[10:13] offset:16
	ds_write_b128 v38, v[6:9] offset:32
	;; [unrolled: 1-line block ×3, first 2 shown]
	; wave barrier
	s_and_saveexec_b64 s[10:11], vcc
	s_cbranch_execz .LBB505_198
; %bb.189:
	v_lshlrev_b32_e32 v22, 3, v26
	v_lshlrev_b32_e32 v23, 3, v42
	v_add3_u32 v44, v35, v22, v23
	s_lshl_b64 s[22:23], s[36:37], 3
	s_mov_b64 s[12:13], 0
	s_branch .LBB505_192
.LBB505_190:                            ;   in Loop: Header=BB505_192 Depth=1
	s_or_b64 exec, exec, s[26:27]
.LBB505_191:                            ;   in Loop: Header=BB505_192 Depth=1
	v_add_u32_e32 v22, 1, v45
	v_cndmask_b32_e64 v43, v43, v45, s[24:25]
	v_cndmask_b32_e64 v40, v22, v40, s[24:25]
	v_cmp_ge_u32_e32 vcc, v40, v43
	s_or_b64 s[12:13], vcc, s[12:13]
	s_andn2_b64 exec, exec, s[12:13]
	s_cbranch_execz .LBB505_197
.LBB505_192:                            ; =>This Loop Header: Depth=1
                                        ;     Child Loop BB505_195 Depth 2
	v_add_u32_e32 v22, v43, v40
	v_lshrrev_b32_e32 v45, 1, v22
	s_and_b64 vcc, exec, s[0:1]
	s_mov_b64 s[24:25], 0
	s_cbranch_vccnz .LBB505_191
; %bb.193:                              ;   in Loop: Header=BB505_192 Depth=1
	v_not_b32_e32 v22, v45
	v_lshl_add_u32 v22, v22, 3, v44
	ds_read_b64 v[22:23], v22
	v_lshl_add_u32 v46, v45, 3, v39
	ds_read_b64 v[46:47], v46
	v_mov_b64_e32 v[24:25], s[38:39]
	s_mov_b64 s[26:27], 0
	s_waitcnt lgkmcnt(1)
	v_mul_lo_u32 v48, s22, v23
	v_mul_lo_u32 v49, s23, v22
	v_mad_u64_u32 v[22:23], s[2:3], s22, v22, v[24:25]
	v_add3_u32 v23, v49, v23, v48
	s_waitcnt lgkmcnt(0)
	v_mul_lo_u32 v47, s22, v47
	v_mul_lo_u32 v48, s23, v46
	v_mad_u64_u32 v[24:25], s[2:3], s22, v46, v[24:25]
	v_add3_u32 v25, v48, v25, v47
	s_mov_b64 s[30:31], s[36:37]
                                        ; implicit-def: $sgpr24_sgpr25
                                        ; implicit-def: $sgpr28_sgpr29
                                        ; implicit-def: $sgpr2_sgpr3
                                        ; implicit-def: $sgpr40_sgpr41
	s_branch .LBB505_195
.LBB505_194:                            ;   in Loop: Header=BB505_195 Depth=2
	s_or_b64 exec, exec, s[44:45]
	s_and_b64 s[4:5], exec, s[28:29]
	s_or_b64 s[26:27], s[4:5], s[26:27]
	s_andn2_b64 s[4:5], s[40:41], exec
	s_and_b64 s[40:41], s[42:43], exec
	s_or_b64 s[40:41], s[4:5], s[40:41]
	s_andn2_b64 s[4:5], s[24:25], exec
	s_and_b64 s[24:25], s[2:3], exec
	s_or_b64 s[24:25], s[4:5], s[24:25]
	s_andn2_b64 exec, exec, s[26:27]
	s_cbranch_execz .LBB505_190
.LBB505_195:                            ;   Parent Loop BB505_192 Depth=1
                                        ; =>  This Inner Loop Header: Depth=2
	global_load_dwordx2 v[46:47], v[22:23], off
	global_load_dwordx2 v[48:49], v[24:25], off
	s_andn2_b64 s[44:45], s[2:3], exec
	s_or_b64 s[28:29], s[28:29], exec
	s_waitcnt vmcnt(0)
	v_cmp_le_i64_e64 s[2:3], v[46:47], v[48:49]
	v_cmp_lt_i64_e32 vcc, v[46:47], v[48:49]
	s_and_b64 s[2:3], s[2:3], s[40:41]
	s_or_b64 s[42:43], vcc, s[2:3]
	s_and_b64 s[2:3], s[42:43], exec
	v_cmp_eq_u64_e64 s[4:5], v[46:47], v[48:49]
	s_or_b64 s[2:3], s[44:45], s[2:3]
	s_and_saveexec_b64 s[44:45], s[4:5]
	s_cbranch_execz .LBB505_194
; %bb.196:                              ;   in Loop: Header=BB505_195 Depth=2
	s_add_u32 s30, s30, -1
	s_addc_u32 s31, s31, -1
	s_cmp_eq_u64 s[30:31], 0
	s_cselect_b64 s[4:5], -1, 0
	s_andn2_b64 s[28:29], s[28:29], exec
	s_and_b64 s[4:5], s[4:5], exec
	v_lshl_add_u64 v[22:23], v[22:23], 0, 8
	v_lshl_add_u64 v[24:25], v[24:25], 0, 8
	s_andn2_b64 s[2:3], s[2:3], exec
	s_or_b64 s[28:29], s[28:29], s[4:5]
                                        ; implicit-def: $sgpr40_sgpr41
	s_branch .LBB505_194
.LBB505_197:
	s_or_b64 exec, exec, s[12:13]
.LBB505_198:
	s_or_b64 exec, exec, s[10:11]
	v_add_u32_e32 v22, v26, v42
	v_add_u32_e32 v23, v40, v41
	v_sub_u32_e32 v24, v22, v40
	v_cmp_le_u32_e32 vcc, v23, v26
	v_cmp_le_u32_e64 s[2:3], v24, v27
	s_or_b64 s[2:3], vcc, s[2:3]
	s_and_saveexec_b64 s[10:11], s[2:3]
	s_cbranch_execz .LBB505_289
; %bb.199:
	v_cmp_ge_u32_e32 vcc, v23, v26
	v_cmp_lt_u32_e64 s[2:3], v23, v26
                                        ; implicit-def: $vgpr2_vgpr3
	s_and_saveexec_b64 s[4:5], s[2:3]
; %bb.200:
	v_lshl_add_u32 v2, v40, 3, v39
	ds_read_b64 v[2:3], v2
; %bb.201:
	s_or_b64 exec, exec, s[4:5]
	v_cmp_ge_u32_e64 s[12:13], v24, v27
	v_cmp_lt_u32_e64 s[2:3], v24, v27
                                        ; implicit-def: $vgpr4_vgpr5
	s_and_saveexec_b64 s[4:5], s[2:3]
; %bb.202:
	v_lshl_add_u32 v4, v24, 3, v35
	ds_read_b64 v[4:5], v4
; %bb.203:
	s_or_b64 exec, exec, s[4:5]
	s_nor_b64 s[2:3], vcc, s[12:13]
	s_and_saveexec_b64 s[22:23], s[2:3]
	s_cbranch_execz .LBB505_212
; %bb.204:
	s_and_b64 vcc, exec, s[0:1]
	s_cbranch_vccnz .LBB505_210
; %bb.205:
	s_waitcnt lgkmcnt(0)
	v_mul_lo_u32 v8, v5, s36
	v_mul_lo_u32 v9, v4, s37
	v_mad_u64_u32 v[6:7], s[2:3], v4, s36, 0
	v_add3_u32 v7, v7, v9, v8
	v_mul_lo_u32 v10, v3, s36
	v_mul_lo_u32 v11, v2, s37
	v_mad_u64_u32 v[8:9], s[2:3], v2, s36, 0
	v_add3_u32 v9, v9, v11, v10
	v_lshl_add_u64 v[6:7], v[6:7], 3, s[38:39]
	v_lshl_add_u64 v[8:9], v[8:9], 3, s[38:39]
	s_mov_b64 s[24:25], 0
	s_mov_b64 s[30:31], s[36:37]
                                        ; implicit-def: $sgpr26_sgpr27
                                        ; implicit-def: $sgpr28_sgpr29
                                        ; implicit-def: $sgpr2_sgpr3
                                        ; implicit-def: $sgpr40_sgpr41
	s_branch .LBB505_207
.LBB505_206:                            ;   in Loop: Header=BB505_207 Depth=1
	s_or_b64 exec, exec, s[44:45]
	s_and_b64 s[4:5], exec, s[28:29]
	s_or_b64 s[24:25], s[4:5], s[24:25]
	s_andn2_b64 s[4:5], s[40:41], exec
	s_and_b64 s[40:41], s[42:43], exec
	s_or_b64 s[40:41], s[4:5], s[40:41]
	s_andn2_b64 s[4:5], s[26:27], exec
	s_and_b64 s[26:27], s[2:3], exec
	s_or_b64 s[26:27], s[4:5], s[26:27]
	s_andn2_b64 exec, exec, s[24:25]
	s_cbranch_execz .LBB505_209
.LBB505_207:                            ; =>This Inner Loop Header: Depth=1
	global_load_dwordx2 v[10:11], v[6:7], off
	global_load_dwordx2 v[12:13], v[8:9], off
	s_andn2_b64 s[44:45], s[2:3], exec
	s_or_b64 s[28:29], s[28:29], exec
	s_waitcnt vmcnt(0)
	v_cmp_le_i64_e64 s[2:3], v[10:11], v[12:13]
	v_cmp_lt_i64_e32 vcc, v[10:11], v[12:13]
	s_and_b64 s[2:3], s[2:3], s[40:41]
	s_or_b64 s[42:43], vcc, s[2:3]
	s_and_b64 s[2:3], s[42:43], exec
	v_cmp_eq_u64_e64 s[4:5], v[10:11], v[12:13]
	s_or_b64 s[2:3], s[44:45], s[2:3]
	s_and_saveexec_b64 s[44:45], s[4:5]
	s_cbranch_execz .LBB505_206
; %bb.208:                              ;   in Loop: Header=BB505_207 Depth=1
	s_add_u32 s30, s30, -1
	s_addc_u32 s31, s31, -1
	s_cmp_eq_u64 s[30:31], 0
	s_cselect_b64 s[4:5], -1, 0
	s_andn2_b64 s[28:29], s[28:29], exec
	s_and_b64 s[4:5], s[4:5], exec
	v_lshl_add_u64 v[6:7], v[6:7], 0, 8
	v_lshl_add_u64 v[8:9], v[8:9], 0, 8
	s_andn2_b64 s[2:3], s[2:3], exec
	s_or_b64 s[28:29], s[28:29], s[4:5]
                                        ; implicit-def: $sgpr40_sgpr41
	s_branch .LBB505_206
.LBB505_209:
	s_or_b64 exec, exec, s[24:25]
	s_xor_b64 s[2:3], s[26:27], -1
	s_branch .LBB505_211
.LBB505_210:
	s_mov_b64 s[2:3], -1
.LBB505_211:
	s_andn2_b64 s[4:5], s[12:13], exec
	s_and_b64 s[2:3], s[2:3], exec
	s_or_b64 s[12:13], s[4:5], s[2:3]
.LBB505_212:
	s_or_b64 exec, exec, s[22:23]
	v_cndmask_b32_e64 v6, v24, v23, s[12:13]
	v_cndmask_b32_e64 v7, v27, v26, s[12:13]
	v_add_u32_e32 v8, 1, v6
	v_add_u32_e32 v6, -1, v7
	v_min_u32_e32 v6, v8, v6
	v_lshl_add_u32 v6, v6, 3, v35
	ds_read_b64 v[6:7], v6
	v_cndmask_b32_e64 v12, v8, v24, s[12:13]
	v_cndmask_b32_e64 v13, v23, v8, s[12:13]
	v_cmp_lt_u32_e32 vcc, v12, v27
	s_mov_b64 s[24:25], -1
	s_waitcnt lgkmcnt(0)
	v_cndmask_b32_e64 v14, v7, v5, s[12:13]
	v_cndmask_b32_e64 v15, v6, v4, s[12:13]
	;; [unrolled: 1-line block ×4, first 2 shown]
	s_mov_b64 s[22:23], -1
	s_and_saveexec_b64 s[26:27], vcc
	s_cbranch_execz .LBB505_223
; %bb.213:
	v_cmp_lt_u32_e32 vcc, v13, v26
	s_mov_b64 s[2:3], 0
	s_and_saveexec_b64 s[22:23], vcc
	s_cbranch_execz .LBB505_222
; %bb.214:
	s_and_b64 vcc, exec, s[0:1]
	s_cbranch_vccnz .LBB505_220
; %bb.215:
	v_mul_lo_u32 v8, v14, s36
	v_mul_lo_u32 v9, v15, s37
	v_mad_u64_u32 v[6:7], s[2:3], v15, s36, 0
	v_add3_u32 v7, v7, v9, v8
	v_mul_lo_u32 v10, v16, s36
	v_mul_lo_u32 v11, v22, s37
	v_mad_u64_u32 v[8:9], s[2:3], v22, s36, 0
	v_add3_u32 v9, v9, v11, v10
	v_lshl_add_u64 v[6:7], v[6:7], 3, s[38:39]
	v_lshl_add_u64 v[8:9], v[8:9], 3, s[38:39]
	s_mov_b64 s[28:29], 0
	s_mov_b64 s[42:43], s[36:37]
                                        ; implicit-def: $sgpr30_sgpr31
                                        ; implicit-def: $sgpr40_sgpr41
                                        ; implicit-def: $sgpr2_sgpr3
                                        ; implicit-def: $sgpr44_sgpr45
	s_branch .LBB505_217
.LBB505_216:                            ;   in Loop: Header=BB505_217 Depth=1
	s_or_b64 exec, exec, s[48:49]
	s_and_b64 s[4:5], exec, s[40:41]
	s_or_b64 s[28:29], s[4:5], s[28:29]
	s_andn2_b64 s[4:5], s[44:45], exec
	s_and_b64 s[44:45], s[46:47], exec
	s_or_b64 s[44:45], s[4:5], s[44:45]
	s_andn2_b64 s[4:5], s[30:31], exec
	s_and_b64 s[30:31], s[2:3], exec
	s_or_b64 s[30:31], s[4:5], s[30:31]
	s_andn2_b64 exec, exec, s[28:29]
	s_cbranch_execz .LBB505_219
.LBB505_217:                            ; =>This Inner Loop Header: Depth=1
	global_load_dwordx2 v[10:11], v[6:7], off
	global_load_dwordx2 v[24:25], v[8:9], off
	s_andn2_b64 s[48:49], s[2:3], exec
	s_or_b64 s[40:41], s[40:41], exec
	s_waitcnt vmcnt(0)
	v_cmp_le_i64_e64 s[2:3], v[10:11], v[24:25]
	v_cmp_lt_i64_e32 vcc, v[10:11], v[24:25]
	s_and_b64 s[2:3], s[2:3], s[44:45]
	s_or_b64 s[46:47], vcc, s[2:3]
	s_and_b64 s[2:3], s[46:47], exec
	v_cmp_eq_u64_e64 s[4:5], v[10:11], v[24:25]
	s_or_b64 s[2:3], s[48:49], s[2:3]
	s_and_saveexec_b64 s[48:49], s[4:5]
	s_cbranch_execz .LBB505_216
; %bb.218:                              ;   in Loop: Header=BB505_217 Depth=1
	s_add_u32 s42, s42, -1
	s_addc_u32 s43, s43, -1
	s_cmp_eq_u64 s[42:43], 0
	s_cselect_b64 s[4:5], -1, 0
	s_andn2_b64 s[40:41], s[40:41], exec
	s_and_b64 s[4:5], s[4:5], exec
	v_lshl_add_u64 v[6:7], v[6:7], 0, 8
	v_lshl_add_u64 v[8:9], v[8:9], 0, 8
	s_andn2_b64 s[2:3], s[2:3], exec
	s_or_b64 s[40:41], s[40:41], s[4:5]
                                        ; implicit-def: $sgpr44_sgpr45
	s_branch .LBB505_216
.LBB505_219:
	s_or_b64 exec, exec, s[28:29]
	s_xor_b64 s[2:3], s[30:31], -1
	s_branch .LBB505_221
.LBB505_220:
	s_mov_b64 s[2:3], -1
.LBB505_221:
	s_and_b64 s[2:3], s[2:3], exec
.LBB505_222:
	s_or_b64 exec, exec, s[22:23]
	s_orn2_b64 s[22:23], s[2:3], exec
.LBB505_223:
	s_or_b64 exec, exec, s[26:27]
	v_cndmask_b32_e64 v6, v12, v13, s[22:23]
	v_cndmask_b32_e64 v7, v27, v26, s[22:23]
	v_add_u32_e32 v8, 1, v6
	v_add_u32_e32 v6, -1, v7
	v_min_u32_e32 v6, v8, v6
	v_lshl_add_u32 v6, v6, 3, v35
	ds_read_b64 v[6:7], v6
	v_cndmask_b32_e64 v39, v8, v12, s[22:23]
	v_cndmask_b32_e64 v40, v13, v8, s[22:23]
	v_cmp_lt_u32_e32 vcc, v39, v27
	s_waitcnt lgkmcnt(0)
	v_cndmask_b32_e64 v10, v7, v14, s[22:23]
	v_cndmask_b32_e64 v17, v6, v15, s[22:23]
	v_cndmask_b32_e64 v11, v16, v7, s[22:23]
	v_cndmask_b32_e64 v23, v22, v6, s[22:23]
	s_and_saveexec_b64 s[26:27], vcc
	s_cbranch_execz .LBB505_234
; %bb.224:
	v_cmp_lt_u32_e32 vcc, v40, v26
	s_mov_b64 s[2:3], 0
	s_and_saveexec_b64 s[24:25], vcc
	s_cbranch_execz .LBB505_233
; %bb.225:
	s_and_b64 vcc, exec, s[0:1]
	s_cbranch_vccnz .LBB505_231
; %bb.226:
	v_mul_lo_u32 v8, v10, s36
	v_mul_lo_u32 v9, v17, s37
	v_mad_u64_u32 v[6:7], s[2:3], v17, s36, 0
	v_add3_u32 v7, v7, v9, v8
	v_mul_lo_u32 v12, v11, s36
	v_mul_lo_u32 v13, v23, s37
	v_mad_u64_u32 v[8:9], s[2:3], v23, s36, 0
	v_add3_u32 v9, v9, v13, v12
	v_lshl_add_u64 v[6:7], v[6:7], 3, s[38:39]
	v_lshl_add_u64 v[8:9], v[8:9], 3, s[38:39]
	s_mov_b64 s[28:29], 0
	s_mov_b64 s[42:43], s[36:37]
                                        ; implicit-def: $sgpr30_sgpr31
                                        ; implicit-def: $sgpr40_sgpr41
                                        ; implicit-def: $sgpr2_sgpr3
                                        ; implicit-def: $sgpr44_sgpr45
	s_branch .LBB505_228
.LBB505_227:                            ;   in Loop: Header=BB505_228 Depth=1
	s_or_b64 exec, exec, s[48:49]
	s_and_b64 s[4:5], exec, s[40:41]
	s_or_b64 s[28:29], s[4:5], s[28:29]
	s_andn2_b64 s[4:5], s[44:45], exec
	s_and_b64 s[44:45], s[46:47], exec
	s_or_b64 s[44:45], s[4:5], s[44:45]
	s_andn2_b64 s[4:5], s[30:31], exec
	s_and_b64 s[30:31], s[2:3], exec
	s_or_b64 s[30:31], s[4:5], s[30:31]
	s_andn2_b64 exec, exec, s[28:29]
	s_cbranch_execz .LBB505_230
.LBB505_228:                            ; =>This Inner Loop Header: Depth=1
	global_load_dwordx2 v[12:13], v[6:7], off
	global_load_dwordx2 v[24:25], v[8:9], off
	s_andn2_b64 s[48:49], s[2:3], exec
	s_or_b64 s[40:41], s[40:41], exec
	s_waitcnt vmcnt(0)
	v_cmp_le_i64_e64 s[2:3], v[12:13], v[24:25]
	v_cmp_lt_i64_e32 vcc, v[12:13], v[24:25]
	s_and_b64 s[2:3], s[2:3], s[44:45]
	s_or_b64 s[46:47], vcc, s[2:3]
	s_and_b64 s[2:3], s[46:47], exec
	v_cmp_eq_u64_e64 s[4:5], v[12:13], v[24:25]
	s_or_b64 s[2:3], s[48:49], s[2:3]
	s_and_saveexec_b64 s[48:49], s[4:5]
	s_cbranch_execz .LBB505_227
; %bb.229:                              ;   in Loop: Header=BB505_228 Depth=1
	s_add_u32 s42, s42, -1
	s_addc_u32 s43, s43, -1
	s_cmp_eq_u64 s[42:43], 0
	s_cselect_b64 s[4:5], -1, 0
	s_andn2_b64 s[40:41], s[40:41], exec
	s_and_b64 s[4:5], s[4:5], exec
	v_lshl_add_u64 v[6:7], v[6:7], 0, 8
	v_lshl_add_u64 v[8:9], v[8:9], 0, 8
	s_andn2_b64 s[2:3], s[2:3], exec
	s_or_b64 s[40:41], s[40:41], s[4:5]
                                        ; implicit-def: $sgpr44_sgpr45
	s_branch .LBB505_227
.LBB505_230:
	s_or_b64 exec, exec, s[28:29]
	s_xor_b64 s[2:3], s[30:31], -1
	s_branch .LBB505_232
.LBB505_231:
	s_mov_b64 s[2:3], -1
.LBB505_232:
	s_and_b64 s[2:3], s[2:3], exec
.LBB505_233:
	s_or_b64 exec, exec, s[24:25]
	s_orn2_b64 s[24:25], s[2:3], exec
.LBB505_234:
	s_or_b64 exec, exec, s[26:27]
	v_cndmask_b32_e64 v6, v39, v40, s[24:25]
	v_cndmask_b32_e64 v7, v27, v26, s[24:25]
	v_add_u32_e32 v8, 1, v6
	v_add_u32_e32 v6, -1, v7
	v_min_u32_e32 v6, v8, v6
	v_lshl_add_u32 v6, v6, 3, v35
	ds_read_b64 v[6:7], v6
	v_cndmask_b32_e64 v43, v8, v39, s[24:25]
	v_cndmask_b32_e64 v44, v40, v8, s[24:25]
	v_cmp_lt_u32_e32 vcc, v43, v27
	s_mov_b64 s[28:29], -1
	s_waitcnt lgkmcnt(0)
	v_cndmask_b32_e64 v12, v7, v10, s[24:25]
	v_cndmask_b32_e64 v24, v6, v17, s[24:25]
	;; [unrolled: 1-line block ×4, first 2 shown]
	s_mov_b64 s[26:27], -1
	s_and_saveexec_b64 s[30:31], vcc
	s_cbranch_execz .LBB505_245
; %bb.235:
	v_cmp_lt_u32_e32 vcc, v44, v26
	s_mov_b64 s[2:3], 0
	s_and_saveexec_b64 s[26:27], vcc
	s_cbranch_execz .LBB505_244
; %bb.236:
	s_and_b64 vcc, exec, s[0:1]
	s_cbranch_vccnz .LBB505_242
; %bb.237:
	v_mul_lo_u32 v8, v12, s36
	v_mul_lo_u32 v9, v24, s37
	v_mad_u64_u32 v[6:7], s[2:3], v24, s36, 0
	v_add3_u32 v7, v7, v9, v8
	v_mul_lo_u32 v39, v13, s36
	v_mul_lo_u32 v40, v25, s37
	v_mad_u64_u32 v[8:9], s[2:3], v25, s36, 0
	v_add3_u32 v9, v9, v40, v39
	v_lshl_add_u64 v[6:7], v[6:7], 3, s[38:39]
	v_lshl_add_u64 v[8:9], v[8:9], 3, s[38:39]
	s_mov_b64 s[40:41], 0
	s_mov_b64 s[46:47], s[36:37]
                                        ; implicit-def: $sgpr42_sgpr43
                                        ; implicit-def: $sgpr44_sgpr45
                                        ; implicit-def: $sgpr2_sgpr3
                                        ; implicit-def: $sgpr48_sgpr49
	s_branch .LBB505_239
.LBB505_238:                            ;   in Loop: Header=BB505_239 Depth=1
	s_or_b64 exec, exec, s[52:53]
	s_and_b64 s[4:5], exec, s[44:45]
	s_or_b64 s[40:41], s[4:5], s[40:41]
	s_andn2_b64 s[4:5], s[48:49], exec
	s_and_b64 s[48:49], s[50:51], exec
	s_or_b64 s[48:49], s[4:5], s[48:49]
	s_andn2_b64 s[4:5], s[42:43], exec
	s_and_b64 s[42:43], s[2:3], exec
	s_or_b64 s[42:43], s[4:5], s[42:43]
	s_andn2_b64 exec, exec, s[40:41]
	s_cbranch_execz .LBB505_241
.LBB505_239:                            ; =>This Inner Loop Header: Depth=1
	global_load_dwordx2 v[40:41], v[6:7], off
	global_load_dwordx2 v[46:47], v[8:9], off
	s_andn2_b64 s[52:53], s[2:3], exec
	s_or_b64 s[44:45], s[44:45], exec
	s_waitcnt vmcnt(0)
	v_cmp_le_i64_e64 s[2:3], v[40:41], v[46:47]
	v_cmp_lt_i64_e32 vcc, v[40:41], v[46:47]
	s_and_b64 s[2:3], s[2:3], s[48:49]
	s_or_b64 s[50:51], vcc, s[2:3]
	s_and_b64 s[2:3], s[50:51], exec
	v_cmp_eq_u64_e64 s[4:5], v[40:41], v[46:47]
	s_or_b64 s[2:3], s[52:53], s[2:3]
	s_and_saveexec_b64 s[52:53], s[4:5]
	s_cbranch_execz .LBB505_238
; %bb.240:                              ;   in Loop: Header=BB505_239 Depth=1
	s_add_u32 s46, s46, -1
	s_addc_u32 s47, s47, -1
	s_cmp_eq_u64 s[46:47], 0
	s_cselect_b64 s[4:5], -1, 0
	s_andn2_b64 s[44:45], s[44:45], exec
	s_and_b64 s[4:5], s[4:5], exec
	v_lshl_add_u64 v[6:7], v[6:7], 0, 8
	v_lshl_add_u64 v[8:9], v[8:9], 0, 8
	s_andn2_b64 s[2:3], s[2:3], exec
	s_or_b64 s[44:45], s[44:45], s[4:5]
                                        ; implicit-def: $sgpr48_sgpr49
	s_branch .LBB505_238
.LBB505_241:
	s_or_b64 exec, exec, s[40:41]
	s_xor_b64 s[2:3], s[42:43], -1
	s_branch .LBB505_243
.LBB505_242:
	s_mov_b64 s[2:3], -1
.LBB505_243:
	s_and_b64 s[2:3], s[2:3], exec
.LBB505_244:
	s_or_b64 exec, exec, s[26:27]
	s_orn2_b64 s[26:27], s[2:3], exec
.LBB505_245:
	s_or_b64 exec, exec, s[30:31]
	v_cndmask_b32_e64 v6, v43, v44, s[26:27]
	v_cndmask_b32_e64 v7, v27, v26, s[26:27]
	v_add_u32_e32 v8, 1, v6
	v_add_u32_e32 v6, -1, v7
	v_min_u32_e32 v6, v8, v6
	v_lshl_add_u32 v6, v6, 3, v35
	ds_read_b64 v[6:7], v6
	v_cndmask_b32_e64 v47, v8, v43, s[26:27]
	v_cndmask_b32_e64 v48, v44, v8, s[26:27]
	v_cmp_lt_u32_e32 vcc, v47, v27
	s_waitcnt lgkmcnt(0)
	v_cndmask_b32_e64 v39, v7, v12, s[26:27]
	v_cndmask_b32_e64 v40, v6, v24, s[26:27]
	;; [unrolled: 1-line block ×4, first 2 shown]
	s_and_saveexec_b64 s[30:31], vcc
	s_cbranch_execz .LBB505_256
; %bb.246:
	v_cmp_lt_u32_e32 vcc, v48, v26
	s_mov_b64 s[2:3], 0
	s_and_saveexec_b64 s[28:29], vcc
	s_cbranch_execz .LBB505_255
; %bb.247:
	s_and_b64 vcc, exec, s[0:1]
	s_cbranch_vccnz .LBB505_253
; %bb.248:
	v_mul_lo_u32 v8, v39, s36
	v_mul_lo_u32 v9, v40, s37
	v_mad_u64_u32 v[6:7], s[2:3], v40, s36, 0
	v_add3_u32 v7, v7, v9, v8
	v_mul_lo_u32 v43, v41, s36
	v_mul_lo_u32 v44, v42, s37
	v_mad_u64_u32 v[8:9], s[2:3], v42, s36, 0
	v_add3_u32 v9, v9, v44, v43
	v_lshl_add_u64 v[6:7], v[6:7], 3, s[38:39]
	v_lshl_add_u64 v[8:9], v[8:9], 3, s[38:39]
	s_mov_b64 s[40:41], 0
	s_mov_b64 s[46:47], s[36:37]
                                        ; implicit-def: $sgpr42_sgpr43
                                        ; implicit-def: $sgpr44_sgpr45
                                        ; implicit-def: $sgpr2_sgpr3
                                        ; implicit-def: $sgpr48_sgpr49
	s_branch .LBB505_250
.LBB505_249:                            ;   in Loop: Header=BB505_250 Depth=1
	s_or_b64 exec, exec, s[52:53]
	s_and_b64 s[4:5], exec, s[44:45]
	s_or_b64 s[40:41], s[4:5], s[40:41]
	s_andn2_b64 s[4:5], s[48:49], exec
	s_and_b64 s[48:49], s[50:51], exec
	s_or_b64 s[48:49], s[4:5], s[48:49]
	s_andn2_b64 s[4:5], s[42:43], exec
	s_and_b64 s[42:43], s[2:3], exec
	s_or_b64 s[42:43], s[4:5], s[42:43]
	s_andn2_b64 exec, exec, s[40:41]
	s_cbranch_execz .LBB505_252
.LBB505_250:                            ; =>This Inner Loop Header: Depth=1
	global_load_dwordx2 v[44:45], v[6:7], off
	global_load_dwordx2 v[50:51], v[8:9], off
	s_andn2_b64 s[52:53], s[2:3], exec
	s_or_b64 s[44:45], s[44:45], exec
	s_waitcnt vmcnt(0)
	v_cmp_le_i64_e64 s[2:3], v[44:45], v[50:51]
	v_cmp_lt_i64_e32 vcc, v[44:45], v[50:51]
	s_and_b64 s[2:3], s[2:3], s[48:49]
	s_or_b64 s[50:51], vcc, s[2:3]
	s_and_b64 s[2:3], s[50:51], exec
	v_cmp_eq_u64_e64 s[4:5], v[44:45], v[50:51]
	s_or_b64 s[2:3], s[52:53], s[2:3]
	s_and_saveexec_b64 s[52:53], s[4:5]
	s_cbranch_execz .LBB505_249
; %bb.251:                              ;   in Loop: Header=BB505_250 Depth=1
	s_add_u32 s46, s46, -1
	s_addc_u32 s47, s47, -1
	s_cmp_eq_u64 s[46:47], 0
	s_cselect_b64 s[4:5], -1, 0
	s_andn2_b64 s[44:45], s[44:45], exec
	s_and_b64 s[4:5], s[4:5], exec
	v_lshl_add_u64 v[6:7], v[6:7], 0, 8
	v_lshl_add_u64 v[8:9], v[8:9], 0, 8
	s_andn2_b64 s[2:3], s[2:3], exec
	s_or_b64 s[44:45], s[44:45], s[4:5]
                                        ; implicit-def: $sgpr48_sgpr49
	s_branch .LBB505_249
.LBB505_252:
	s_or_b64 exec, exec, s[40:41]
	s_xor_b64 s[2:3], s[42:43], -1
	s_branch .LBB505_254
.LBB505_253:
	s_mov_b64 s[2:3], -1
.LBB505_254:
	s_and_b64 s[2:3], s[2:3], exec
.LBB505_255:
	s_or_b64 exec, exec, s[28:29]
	s_orn2_b64 s[28:29], s[2:3], exec
.LBB505_256:
	s_or_b64 exec, exec, s[30:31]
	v_cndmask_b32_e64 v6, v47, v48, s[28:29]
	v_cndmask_b32_e64 v7, v27, v26, s[28:29]
	v_add_u32_e32 v8, 1, v6
	v_add_u32_e32 v6, -1, v7
	v_min_u32_e32 v6, v8, v6
	v_lshl_add_u32 v6, v6, 3, v35
	ds_read_b64 v[6:7], v6
	v_cndmask_b32_e64 v49, v8, v47, s[28:29]
	v_cndmask_b32_e64 v53, v48, v8, s[28:29]
	v_cmp_lt_u32_e32 vcc, v49, v27
	s_mov_b64 s[30:31], -1
	s_waitcnt lgkmcnt(0)
	v_cndmask_b32_e64 v43, v7, v39, s[28:29]
	v_cndmask_b32_e64 v44, v6, v40, s[28:29]
	;; [unrolled: 1-line block ×4, first 2 shown]
	s_mov_b64 s[40:41], -1
	s_and_saveexec_b64 s[42:43], vcc
	s_cbranch_execz .LBB505_267
; %bb.257:
	v_cmp_lt_u32_e32 vcc, v53, v26
	s_mov_b64 s[2:3], 0
	s_and_saveexec_b64 s[40:41], vcc
	s_cbranch_execz .LBB505_266
; %bb.258:
	s_and_b64 vcc, exec, s[0:1]
	s_cbranch_vccnz .LBB505_264
; %bb.259:
	v_mul_lo_u32 v8, v43, s36
	v_mul_lo_u32 v9, v44, s37
	v_mad_u64_u32 v[6:7], s[2:3], v44, s36, 0
	v_add3_u32 v7, v7, v9, v8
	v_mul_lo_u32 v47, v45, s36
	v_mul_lo_u32 v48, v46, s37
	v_mad_u64_u32 v[8:9], s[2:3], v46, s36, 0
	v_add3_u32 v9, v9, v48, v47
	v_lshl_add_u64 v[6:7], v[6:7], 3, s[38:39]
	v_lshl_add_u64 v[8:9], v[8:9], 3, s[38:39]
	s_mov_b64 s[44:45], 0
	s_mov_b64 s[50:51], s[36:37]
                                        ; implicit-def: $sgpr46_sgpr47
                                        ; implicit-def: $sgpr48_sgpr49
                                        ; implicit-def: $sgpr2_sgpr3
                                        ; implicit-def: $sgpr52_sgpr53
	s_branch .LBB505_261
.LBB505_260:                            ;   in Loop: Header=BB505_261 Depth=1
	s_or_b64 exec, exec, s[56:57]
	s_and_b64 s[4:5], exec, s[48:49]
	s_or_b64 s[44:45], s[4:5], s[44:45]
	s_andn2_b64 s[4:5], s[52:53], exec
	s_and_b64 s[52:53], s[54:55], exec
	s_or_b64 s[52:53], s[4:5], s[52:53]
	s_andn2_b64 s[4:5], s[46:47], exec
	s_and_b64 s[46:47], s[2:3], exec
	s_or_b64 s[46:47], s[4:5], s[46:47]
	s_andn2_b64 exec, exec, s[44:45]
	s_cbranch_execz .LBB505_263
.LBB505_261:                            ; =>This Inner Loop Header: Depth=1
	global_load_dwordx2 v[50:51], v[6:7], off
	global_load_dwordx2 v[54:55], v[8:9], off
	s_andn2_b64 s[56:57], s[2:3], exec
	s_or_b64 s[48:49], s[48:49], exec
	s_waitcnt vmcnt(0)
	v_cmp_le_i64_e64 s[2:3], v[50:51], v[54:55]
	v_cmp_lt_i64_e32 vcc, v[50:51], v[54:55]
	s_and_b64 s[2:3], s[2:3], s[52:53]
	s_or_b64 s[54:55], vcc, s[2:3]
	s_and_b64 s[2:3], s[54:55], exec
	v_cmp_eq_u64_e64 s[4:5], v[50:51], v[54:55]
	s_or_b64 s[2:3], s[56:57], s[2:3]
	s_and_saveexec_b64 s[56:57], s[4:5]
	s_cbranch_execz .LBB505_260
; %bb.262:                              ;   in Loop: Header=BB505_261 Depth=1
	s_add_u32 s50, s50, -1
	s_addc_u32 s51, s51, -1
	s_cmp_eq_u64 s[50:51], 0
	s_cselect_b64 s[4:5], -1, 0
	s_andn2_b64 s[48:49], s[48:49], exec
	s_and_b64 s[4:5], s[4:5], exec
	v_lshl_add_u64 v[6:7], v[6:7], 0, 8
	v_lshl_add_u64 v[8:9], v[8:9], 0, 8
	s_andn2_b64 s[2:3], s[2:3], exec
	s_or_b64 s[48:49], s[48:49], s[4:5]
                                        ; implicit-def: $sgpr52_sgpr53
	s_branch .LBB505_260
.LBB505_263:
	s_or_b64 exec, exec, s[44:45]
	s_xor_b64 s[2:3], s[46:47], -1
	s_branch .LBB505_265
.LBB505_264:
	s_mov_b64 s[2:3], -1
.LBB505_265:
	s_and_b64 s[2:3], s[2:3], exec
.LBB505_266:
	s_or_b64 exec, exec, s[40:41]
	s_orn2_b64 s[40:41], s[2:3], exec
.LBB505_267:
	s_or_b64 exec, exec, s[42:43]
	v_cndmask_b32_e64 v6, v49, v53, s[40:41]
	v_cndmask_b32_e64 v7, v27, v26, s[40:41]
	v_add_u32_e32 v8, 1, v6
	v_add_u32_e32 v6, -1, v7
	v_min_u32_e32 v6, v8, v6
	v_lshl_add_u32 v6, v6, 3, v35
	ds_read_b64 v[6:7], v6
	v_cndmask_b32_e64 v50, v8, v49, s[40:41]
	v_cndmask_b32_e64 v49, v53, v8, s[40:41]
	v_cmp_lt_u32_e32 vcc, v50, v27
	s_waitcnt lgkmcnt(0)
	v_cndmask_b32_e64 v47, v7, v43, s[40:41]
	v_cndmask_b32_e64 v48, v6, v44, s[40:41]
	v_cndmask_b32_e64 v51, v45, v7, s[40:41]
	v_cndmask_b32_e64 v52, v46, v6, s[40:41]
	s_and_saveexec_b64 s[42:43], vcc
	s_cbranch_execz .LBB505_278
; %bb.268:
	v_cmp_lt_u32_e32 vcc, v49, v26
	s_mov_b64 s[2:3], 0
	s_and_saveexec_b64 s[30:31], vcc
	s_cbranch_execz .LBB505_277
; %bb.269:
	s_and_b64 vcc, exec, s[0:1]
	s_cbranch_vccnz .LBB505_275
; %bb.270:
	v_mul_lo_u32 v8, v47, s36
	v_mul_lo_u32 v9, v48, s37
	v_mad_u64_u32 v[6:7], s[2:3], v48, s36, 0
	v_add3_u32 v7, v7, v9, v8
	v_mul_lo_u32 v53, v51, s36
	v_mul_lo_u32 v54, v52, s37
	v_mad_u64_u32 v[8:9], s[2:3], v52, s36, 0
	v_add3_u32 v9, v9, v54, v53
	v_lshl_add_u64 v[6:7], v[6:7], 3, s[38:39]
	v_lshl_add_u64 v[8:9], v[8:9], 3, s[38:39]
	s_mov_b64 s[44:45], 0
	s_mov_b64 s[50:51], s[36:37]
                                        ; implicit-def: $sgpr46_sgpr47
                                        ; implicit-def: $sgpr48_sgpr49
                                        ; implicit-def: $sgpr2_sgpr3
                                        ; implicit-def: $sgpr52_sgpr53
	s_branch .LBB505_272
.LBB505_271:                            ;   in Loop: Header=BB505_272 Depth=1
	s_or_b64 exec, exec, s[56:57]
	s_and_b64 s[4:5], exec, s[48:49]
	s_or_b64 s[44:45], s[4:5], s[44:45]
	s_andn2_b64 s[4:5], s[52:53], exec
	s_and_b64 s[52:53], s[54:55], exec
	s_or_b64 s[52:53], s[4:5], s[52:53]
	s_andn2_b64 s[4:5], s[46:47], exec
	s_and_b64 s[46:47], s[2:3], exec
	s_or_b64 s[46:47], s[4:5], s[46:47]
	s_andn2_b64 exec, exec, s[44:45]
	s_cbranch_execz .LBB505_274
.LBB505_272:                            ; =>This Inner Loop Header: Depth=1
	global_load_dwordx2 v[54:55], v[6:7], off
	global_load_dwordx2 v[56:57], v[8:9], off
	s_andn2_b64 s[56:57], s[2:3], exec
	s_or_b64 s[48:49], s[48:49], exec
	s_waitcnt vmcnt(0)
	v_cmp_le_i64_e64 s[2:3], v[54:55], v[56:57]
	v_cmp_lt_i64_e32 vcc, v[54:55], v[56:57]
	s_and_b64 s[2:3], s[2:3], s[52:53]
	s_or_b64 s[54:55], vcc, s[2:3]
	s_and_b64 s[2:3], s[54:55], exec
	v_cmp_eq_u64_e64 s[4:5], v[54:55], v[56:57]
	s_or_b64 s[2:3], s[56:57], s[2:3]
	s_and_saveexec_b64 s[56:57], s[4:5]
	s_cbranch_execz .LBB505_271
; %bb.273:                              ;   in Loop: Header=BB505_272 Depth=1
	s_add_u32 s50, s50, -1
	s_addc_u32 s51, s51, -1
	s_cmp_eq_u64 s[50:51], 0
	s_cselect_b64 s[4:5], -1, 0
	s_andn2_b64 s[48:49], s[48:49], exec
	s_and_b64 s[4:5], s[4:5], exec
	v_lshl_add_u64 v[6:7], v[6:7], 0, 8
	v_lshl_add_u64 v[8:9], v[8:9], 0, 8
	s_andn2_b64 s[2:3], s[2:3], exec
	s_or_b64 s[48:49], s[48:49], s[4:5]
                                        ; implicit-def: $sgpr52_sgpr53
	s_branch .LBB505_271
.LBB505_274:
	s_or_b64 exec, exec, s[44:45]
	s_xor_b64 s[2:3], s[46:47], -1
	s_branch .LBB505_276
.LBB505_275:
	s_mov_b64 s[2:3], -1
.LBB505_276:
	s_and_b64 s[2:3], s[2:3], exec
.LBB505_277:
	s_or_b64 exec, exec, s[30:31]
	s_orn2_b64 s[30:31], s[2:3], exec
.LBB505_278:
	s_or_b64 exec, exec, s[42:43]
	v_cndmask_b32_e64 v11, v10, v11, s[24:25]
	v_cndmask_b32_e64 v10, v17, v23, s[24:25]
	v_cndmask_b32_e64 v17, v14, v16, s[22:23]
	v_cndmask_b32_e64 v16, v15, v22, s[22:23]
	v_cndmask_b32_e64 v14, v50, v49, s[30:31]
	v_cndmask_b32_e64 v15, v27, v26, s[30:31]
	v_cndmask_b32_e64 v13, v12, v13, s[26:27]
	v_cndmask_b32_e64 v12, v24, v25, s[26:27]
	v_add_u32_e32 v24, 1, v14
	v_add_u32_e32 v14, -1, v15
	v_min_u32_e32 v14, v24, v14
	v_lshl_add_u32 v14, v14, 3, v35
	ds_read_b64 v[22:23], v14
	v_cndmask_b32_e64 v25, v24, v50, s[30:31]
	v_cndmask_b32_e64 v9, v43, v45, s[40:41]
	;; [unrolled: 1-line block ×9, first 2 shown]
	s_waitcnt lgkmcnt(0)
	v_cndmask_b32_e64 v5, v51, v23, s[30:31]
	v_cndmask_b32_e64 v4, v52, v22, s[30:31]
	v_cmp_lt_u32_e32 vcc, v25, v27
	s_and_saveexec_b64 s[12:13], vcc
	s_cbranch_execz .LBB505_288
; %bb.279:
	v_cndmask_b32_e64 v24, v49, v24, s[30:31]
	v_cndmask_b32_e64 v23, v23, v47, s[30:31]
	;; [unrolled: 1-line block ×3, first 2 shown]
	v_cmp_lt_u32_e32 vcc, v24, v26
	s_and_saveexec_b64 s[22:23], vcc
	s_cbranch_execz .LBB505_287
; %bb.280:
	s_and_b64 vcc, exec, s[0:1]
	s_cbranch_vccnz .LBB505_286
; %bb.281:
	v_mul_lo_u32 v26, v23, s36
	v_mul_lo_u32 v27, v22, s37
	v_mad_u64_u32 v[24:25], s[2:3], v22, s36, 0
	v_add3_u32 v25, v25, v27, v26
	v_mul_lo_u32 v39, v5, s36
	v_mul_lo_u32 v40, v4, s37
	v_mad_u64_u32 v[26:27], s[2:3], v4, s36, 0
	v_add3_u32 v27, v27, v40, v39
	v_lshl_add_u64 v[24:25], v[24:25], 3, s[38:39]
	v_lshl_add_u64 v[26:27], v[26:27], 3, s[38:39]
	s_mov_b64 s[24:25], 0
	s_mov_b64 s[30:31], s[36:37]
                                        ; implicit-def: $sgpr26_sgpr27
                                        ; implicit-def: $sgpr28_sgpr29
                                        ; implicit-def: $sgpr2_sgpr3
                                        ; implicit-def: $sgpr40_sgpr41
	s_branch .LBB505_283
.LBB505_282:                            ;   in Loop: Header=BB505_283 Depth=1
	s_or_b64 exec, exec, s[44:45]
	s_and_b64 s[4:5], exec, s[28:29]
	s_or_b64 s[24:25], s[4:5], s[24:25]
	s_andn2_b64 s[4:5], s[40:41], exec
	s_and_b64 s[40:41], s[42:43], exec
	s_or_b64 s[40:41], s[4:5], s[40:41]
	s_andn2_b64 s[4:5], s[26:27], exec
	s_and_b64 s[26:27], s[2:3], exec
	s_or_b64 s[26:27], s[4:5], s[26:27]
	s_andn2_b64 exec, exec, s[24:25]
	s_cbranch_execz .LBB505_285
.LBB505_283:                            ; =>This Inner Loop Header: Depth=1
	global_load_dwordx2 v[40:41], v[24:25], off
	global_load_dwordx2 v[42:43], v[26:27], off
	s_andn2_b64 s[44:45], s[2:3], exec
	s_or_b64 s[28:29], s[28:29], exec
	s_waitcnt vmcnt(0)
	v_cmp_le_i64_e64 s[2:3], v[40:41], v[42:43]
	v_cmp_lt_i64_e32 vcc, v[40:41], v[42:43]
	s_and_b64 s[2:3], s[2:3], s[40:41]
	s_or_b64 s[42:43], vcc, s[2:3]
	s_and_b64 s[2:3], s[42:43], exec
	v_cmp_eq_u64_e64 s[4:5], v[40:41], v[42:43]
	s_or_b64 s[2:3], s[44:45], s[2:3]
	s_and_saveexec_b64 s[44:45], s[4:5]
	s_cbranch_execz .LBB505_282
; %bb.284:                              ;   in Loop: Header=BB505_283 Depth=1
	s_add_u32 s30, s30, -1
	s_addc_u32 s31, s31, -1
	s_cmp_eq_u64 s[30:31], 0
	s_cselect_b64 s[4:5], -1, 0
	s_andn2_b64 s[28:29], s[28:29], exec
	s_and_b64 s[4:5], s[4:5], exec
	v_lshl_add_u64 v[24:25], v[24:25], 0, 8
	v_lshl_add_u64 v[26:27], v[26:27], 0, 8
	s_andn2_b64 s[2:3], s[2:3], exec
	s_or_b64 s[28:29], s[28:29], s[4:5]
                                        ; implicit-def: $sgpr40_sgpr41
	s_branch .LBB505_282
.LBB505_285:
	s_or_b64 exec, exec, s[24:25]
	v_cndmask_b32_e64 v5, v5, v23, s[26:27]
	v_cndmask_b32_e64 v4, v4, v22, s[26:27]
.LBB505_286:
	v_mov_b64_e32 v[22:23], v[4:5]
.LBB505_287:
	s_or_b64 exec, exec, s[22:23]
	v_mov_b64_e32 v[4:5], v[22:23]
.LBB505_288:
	s_or_b64 exec, exec, s[12:13]
.LBB505_289:
	s_or_b64 exec, exec, s[10:11]
	v_and_b32_e32 v41, 0x3e0, v37
	v_or_b32_e32 v22, 16, v41
	v_min_u32_e32 v26, v36, v22
	v_add_u32_e32 v22, 16, v26
	v_min_u32_e32 v27, v36, v22
	v_and_b32_e32 v22, 24, v37
	v_min_u32_e32 v42, v36, v22
	v_sub_u32_e32 v22, v26, v41
	v_sub_u32_e32 v23, v27, v26
	v_sub_u32_e64 v40, v42, v23 clamp
	v_min_u32_e32 v43, v42, v22
	v_lshl_add_u32 v39, v41, 3, v35
	v_cmp_lt_u32_e32 vcc, v40, v43
	; wave barrier
	ds_write_b128 v38, v[14:17]
	ds_write_b128 v38, v[10:13] offset:16
	ds_write_b128 v38, v[6:9] offset:32
	;; [unrolled: 1-line block ×3, first 2 shown]
	; wave barrier
	s_and_saveexec_b64 s[10:11], vcc
	s_cbranch_execz .LBB505_299
; %bb.290:
	v_lshlrev_b32_e32 v22, 3, v26
	v_lshlrev_b32_e32 v23, 3, v42
	v_add3_u32 v44, v35, v22, v23
	s_lshl_b64 s[22:23], s[36:37], 3
	s_mov_b64 s[12:13], 0
	s_branch .LBB505_293
.LBB505_291:                            ;   in Loop: Header=BB505_293 Depth=1
	s_or_b64 exec, exec, s[26:27]
.LBB505_292:                            ;   in Loop: Header=BB505_293 Depth=1
	v_add_u32_e32 v22, 1, v45
	v_cndmask_b32_e64 v43, v43, v45, s[24:25]
	v_cndmask_b32_e64 v40, v22, v40, s[24:25]
	v_cmp_ge_u32_e32 vcc, v40, v43
	s_or_b64 s[12:13], vcc, s[12:13]
	s_andn2_b64 exec, exec, s[12:13]
	s_cbranch_execz .LBB505_298
.LBB505_293:                            ; =>This Loop Header: Depth=1
                                        ;     Child Loop BB505_296 Depth 2
	v_add_u32_e32 v22, v43, v40
	v_lshrrev_b32_e32 v45, 1, v22
	s_and_b64 vcc, exec, s[0:1]
	s_mov_b64 s[24:25], 0
	s_cbranch_vccnz .LBB505_292
; %bb.294:                              ;   in Loop: Header=BB505_293 Depth=1
	v_not_b32_e32 v22, v45
	v_lshl_add_u32 v22, v22, 3, v44
	ds_read_b64 v[22:23], v22
	v_lshl_add_u32 v46, v45, 3, v39
	ds_read_b64 v[46:47], v46
	v_mov_b64_e32 v[24:25], s[38:39]
	s_mov_b64 s[26:27], 0
	s_waitcnt lgkmcnt(1)
	v_mul_lo_u32 v48, s22, v23
	v_mul_lo_u32 v49, s23, v22
	v_mad_u64_u32 v[22:23], s[2:3], s22, v22, v[24:25]
	v_add3_u32 v23, v49, v23, v48
	s_waitcnt lgkmcnt(0)
	v_mul_lo_u32 v47, s22, v47
	v_mul_lo_u32 v48, s23, v46
	v_mad_u64_u32 v[24:25], s[2:3], s22, v46, v[24:25]
	v_add3_u32 v25, v48, v25, v47
	s_mov_b64 s[30:31], s[36:37]
                                        ; implicit-def: $sgpr24_sgpr25
                                        ; implicit-def: $sgpr28_sgpr29
                                        ; implicit-def: $sgpr2_sgpr3
                                        ; implicit-def: $sgpr40_sgpr41
	s_branch .LBB505_296
.LBB505_295:                            ;   in Loop: Header=BB505_296 Depth=2
	s_or_b64 exec, exec, s[44:45]
	s_and_b64 s[4:5], exec, s[28:29]
	s_or_b64 s[26:27], s[4:5], s[26:27]
	s_andn2_b64 s[4:5], s[40:41], exec
	s_and_b64 s[40:41], s[42:43], exec
	s_or_b64 s[40:41], s[4:5], s[40:41]
	s_andn2_b64 s[4:5], s[24:25], exec
	s_and_b64 s[24:25], s[2:3], exec
	s_or_b64 s[24:25], s[4:5], s[24:25]
	s_andn2_b64 exec, exec, s[26:27]
	s_cbranch_execz .LBB505_291
.LBB505_296:                            ;   Parent Loop BB505_293 Depth=1
                                        ; =>  This Inner Loop Header: Depth=2
	global_load_dwordx2 v[46:47], v[22:23], off
	global_load_dwordx2 v[48:49], v[24:25], off
	s_andn2_b64 s[44:45], s[2:3], exec
	s_or_b64 s[28:29], s[28:29], exec
	s_waitcnt vmcnt(0)
	v_cmp_le_i64_e64 s[2:3], v[46:47], v[48:49]
	v_cmp_lt_i64_e32 vcc, v[46:47], v[48:49]
	s_and_b64 s[2:3], s[2:3], s[40:41]
	s_or_b64 s[42:43], vcc, s[2:3]
	s_and_b64 s[2:3], s[42:43], exec
	v_cmp_eq_u64_e64 s[4:5], v[46:47], v[48:49]
	s_or_b64 s[2:3], s[44:45], s[2:3]
	s_and_saveexec_b64 s[44:45], s[4:5]
	s_cbranch_execz .LBB505_295
; %bb.297:                              ;   in Loop: Header=BB505_296 Depth=2
	s_add_u32 s30, s30, -1
	s_addc_u32 s31, s31, -1
	s_cmp_eq_u64 s[30:31], 0
	s_cselect_b64 s[4:5], -1, 0
	s_andn2_b64 s[28:29], s[28:29], exec
	s_and_b64 s[4:5], s[4:5], exec
	v_lshl_add_u64 v[22:23], v[22:23], 0, 8
	v_lshl_add_u64 v[24:25], v[24:25], 0, 8
	s_andn2_b64 s[2:3], s[2:3], exec
	s_or_b64 s[28:29], s[28:29], s[4:5]
                                        ; implicit-def: $sgpr40_sgpr41
	s_branch .LBB505_295
.LBB505_298:
	s_or_b64 exec, exec, s[12:13]
.LBB505_299:
	s_or_b64 exec, exec, s[10:11]
	v_add_u32_e32 v22, v26, v42
	v_add_u32_e32 v23, v40, v41
	v_sub_u32_e32 v24, v22, v40
	v_cmp_le_u32_e32 vcc, v23, v26
	v_cmp_le_u32_e64 s[2:3], v24, v27
	s_or_b64 s[2:3], vcc, s[2:3]
	s_and_saveexec_b64 s[10:11], s[2:3]
	s_cbranch_execz .LBB505_390
; %bb.300:
	v_cmp_ge_u32_e32 vcc, v23, v26
	v_cmp_lt_u32_e64 s[2:3], v23, v26
                                        ; implicit-def: $vgpr2_vgpr3
	s_and_saveexec_b64 s[4:5], s[2:3]
; %bb.301:
	v_lshl_add_u32 v2, v40, 3, v39
	ds_read_b64 v[2:3], v2
; %bb.302:
	s_or_b64 exec, exec, s[4:5]
	v_cmp_ge_u32_e64 s[12:13], v24, v27
	v_cmp_lt_u32_e64 s[2:3], v24, v27
                                        ; implicit-def: $vgpr4_vgpr5
	s_and_saveexec_b64 s[4:5], s[2:3]
; %bb.303:
	v_lshl_add_u32 v4, v24, 3, v35
	ds_read_b64 v[4:5], v4
; %bb.304:
	s_or_b64 exec, exec, s[4:5]
	s_nor_b64 s[2:3], vcc, s[12:13]
	s_and_saveexec_b64 s[22:23], s[2:3]
	s_cbranch_execz .LBB505_313
; %bb.305:
	s_and_b64 vcc, exec, s[0:1]
	s_cbranch_vccnz .LBB505_311
; %bb.306:
	s_waitcnt lgkmcnt(0)
	v_mul_lo_u32 v8, v5, s36
	v_mul_lo_u32 v9, v4, s37
	v_mad_u64_u32 v[6:7], s[2:3], v4, s36, 0
	v_add3_u32 v7, v7, v9, v8
	v_mul_lo_u32 v10, v3, s36
	v_mul_lo_u32 v11, v2, s37
	v_mad_u64_u32 v[8:9], s[2:3], v2, s36, 0
	v_add3_u32 v9, v9, v11, v10
	v_lshl_add_u64 v[6:7], v[6:7], 3, s[38:39]
	v_lshl_add_u64 v[8:9], v[8:9], 3, s[38:39]
	s_mov_b64 s[24:25], 0
	s_mov_b64 s[30:31], s[36:37]
                                        ; implicit-def: $sgpr26_sgpr27
                                        ; implicit-def: $sgpr28_sgpr29
                                        ; implicit-def: $sgpr2_sgpr3
                                        ; implicit-def: $sgpr40_sgpr41
	s_branch .LBB505_308
.LBB505_307:                            ;   in Loop: Header=BB505_308 Depth=1
	s_or_b64 exec, exec, s[44:45]
	s_and_b64 s[4:5], exec, s[28:29]
	s_or_b64 s[24:25], s[4:5], s[24:25]
	s_andn2_b64 s[4:5], s[40:41], exec
	s_and_b64 s[40:41], s[42:43], exec
	s_or_b64 s[40:41], s[4:5], s[40:41]
	s_andn2_b64 s[4:5], s[26:27], exec
	s_and_b64 s[26:27], s[2:3], exec
	s_or_b64 s[26:27], s[4:5], s[26:27]
	s_andn2_b64 exec, exec, s[24:25]
	s_cbranch_execz .LBB505_310
.LBB505_308:                            ; =>This Inner Loop Header: Depth=1
	global_load_dwordx2 v[10:11], v[6:7], off
	global_load_dwordx2 v[12:13], v[8:9], off
	s_andn2_b64 s[44:45], s[2:3], exec
	s_or_b64 s[28:29], s[28:29], exec
	s_waitcnt vmcnt(0)
	v_cmp_le_i64_e64 s[2:3], v[10:11], v[12:13]
	v_cmp_lt_i64_e32 vcc, v[10:11], v[12:13]
	s_and_b64 s[2:3], s[2:3], s[40:41]
	s_or_b64 s[42:43], vcc, s[2:3]
	s_and_b64 s[2:3], s[42:43], exec
	v_cmp_eq_u64_e64 s[4:5], v[10:11], v[12:13]
	s_or_b64 s[2:3], s[44:45], s[2:3]
	s_and_saveexec_b64 s[44:45], s[4:5]
	s_cbranch_execz .LBB505_307
; %bb.309:                              ;   in Loop: Header=BB505_308 Depth=1
	s_add_u32 s30, s30, -1
	s_addc_u32 s31, s31, -1
	s_cmp_eq_u64 s[30:31], 0
	s_cselect_b64 s[4:5], -1, 0
	s_andn2_b64 s[28:29], s[28:29], exec
	s_and_b64 s[4:5], s[4:5], exec
	v_lshl_add_u64 v[6:7], v[6:7], 0, 8
	v_lshl_add_u64 v[8:9], v[8:9], 0, 8
	s_andn2_b64 s[2:3], s[2:3], exec
	s_or_b64 s[28:29], s[28:29], s[4:5]
                                        ; implicit-def: $sgpr40_sgpr41
	s_branch .LBB505_307
.LBB505_310:
	s_or_b64 exec, exec, s[24:25]
	s_xor_b64 s[2:3], s[26:27], -1
	s_branch .LBB505_312
.LBB505_311:
	s_mov_b64 s[2:3], -1
.LBB505_312:
	s_andn2_b64 s[4:5], s[12:13], exec
	s_and_b64 s[2:3], s[2:3], exec
	s_or_b64 s[12:13], s[4:5], s[2:3]
.LBB505_313:
	s_or_b64 exec, exec, s[22:23]
	v_cndmask_b32_e64 v6, v24, v23, s[12:13]
	v_cndmask_b32_e64 v7, v27, v26, s[12:13]
	v_add_u32_e32 v8, 1, v6
	v_add_u32_e32 v6, -1, v7
	v_min_u32_e32 v6, v8, v6
	v_lshl_add_u32 v6, v6, 3, v35
	ds_read_b64 v[6:7], v6
	v_cndmask_b32_e64 v12, v8, v24, s[12:13]
	v_cndmask_b32_e64 v13, v23, v8, s[12:13]
	v_cmp_lt_u32_e32 vcc, v12, v27
	s_mov_b64 s[24:25], -1
	s_waitcnt lgkmcnt(0)
	v_cndmask_b32_e64 v14, v7, v5, s[12:13]
	v_cndmask_b32_e64 v15, v6, v4, s[12:13]
	;; [unrolled: 1-line block ×4, first 2 shown]
	s_mov_b64 s[22:23], -1
	s_and_saveexec_b64 s[26:27], vcc
	s_cbranch_execz .LBB505_324
; %bb.314:
	v_cmp_lt_u32_e32 vcc, v13, v26
	s_mov_b64 s[2:3], 0
	s_and_saveexec_b64 s[22:23], vcc
	s_cbranch_execz .LBB505_323
; %bb.315:
	s_and_b64 vcc, exec, s[0:1]
	s_cbranch_vccnz .LBB505_321
; %bb.316:
	v_mul_lo_u32 v8, v14, s36
	v_mul_lo_u32 v9, v15, s37
	v_mad_u64_u32 v[6:7], s[2:3], v15, s36, 0
	v_add3_u32 v7, v7, v9, v8
	v_mul_lo_u32 v10, v16, s36
	v_mul_lo_u32 v11, v22, s37
	v_mad_u64_u32 v[8:9], s[2:3], v22, s36, 0
	v_add3_u32 v9, v9, v11, v10
	v_lshl_add_u64 v[6:7], v[6:7], 3, s[38:39]
	v_lshl_add_u64 v[8:9], v[8:9], 3, s[38:39]
	s_mov_b64 s[28:29], 0
	s_mov_b64 s[42:43], s[36:37]
                                        ; implicit-def: $sgpr30_sgpr31
                                        ; implicit-def: $sgpr40_sgpr41
                                        ; implicit-def: $sgpr2_sgpr3
                                        ; implicit-def: $sgpr44_sgpr45
	s_branch .LBB505_318
.LBB505_317:                            ;   in Loop: Header=BB505_318 Depth=1
	s_or_b64 exec, exec, s[48:49]
	s_and_b64 s[4:5], exec, s[40:41]
	s_or_b64 s[28:29], s[4:5], s[28:29]
	s_andn2_b64 s[4:5], s[44:45], exec
	s_and_b64 s[44:45], s[46:47], exec
	s_or_b64 s[44:45], s[4:5], s[44:45]
	s_andn2_b64 s[4:5], s[30:31], exec
	s_and_b64 s[30:31], s[2:3], exec
	s_or_b64 s[30:31], s[4:5], s[30:31]
	s_andn2_b64 exec, exec, s[28:29]
	s_cbranch_execz .LBB505_320
.LBB505_318:                            ; =>This Inner Loop Header: Depth=1
	global_load_dwordx2 v[10:11], v[6:7], off
	global_load_dwordx2 v[24:25], v[8:9], off
	s_andn2_b64 s[48:49], s[2:3], exec
	s_or_b64 s[40:41], s[40:41], exec
	s_waitcnt vmcnt(0)
	v_cmp_le_i64_e64 s[2:3], v[10:11], v[24:25]
	v_cmp_lt_i64_e32 vcc, v[10:11], v[24:25]
	s_and_b64 s[2:3], s[2:3], s[44:45]
	s_or_b64 s[46:47], vcc, s[2:3]
	s_and_b64 s[2:3], s[46:47], exec
	v_cmp_eq_u64_e64 s[4:5], v[10:11], v[24:25]
	s_or_b64 s[2:3], s[48:49], s[2:3]
	s_and_saveexec_b64 s[48:49], s[4:5]
	s_cbranch_execz .LBB505_317
; %bb.319:                              ;   in Loop: Header=BB505_318 Depth=1
	s_add_u32 s42, s42, -1
	s_addc_u32 s43, s43, -1
	s_cmp_eq_u64 s[42:43], 0
	s_cselect_b64 s[4:5], -1, 0
	s_andn2_b64 s[40:41], s[40:41], exec
	s_and_b64 s[4:5], s[4:5], exec
	v_lshl_add_u64 v[6:7], v[6:7], 0, 8
	v_lshl_add_u64 v[8:9], v[8:9], 0, 8
	s_andn2_b64 s[2:3], s[2:3], exec
	s_or_b64 s[40:41], s[40:41], s[4:5]
                                        ; implicit-def: $sgpr44_sgpr45
	s_branch .LBB505_317
.LBB505_320:
	s_or_b64 exec, exec, s[28:29]
	s_xor_b64 s[2:3], s[30:31], -1
	s_branch .LBB505_322
.LBB505_321:
	s_mov_b64 s[2:3], -1
.LBB505_322:
	s_and_b64 s[2:3], s[2:3], exec
.LBB505_323:
	s_or_b64 exec, exec, s[22:23]
	s_orn2_b64 s[22:23], s[2:3], exec
.LBB505_324:
	s_or_b64 exec, exec, s[26:27]
	v_cndmask_b32_e64 v6, v12, v13, s[22:23]
	v_cndmask_b32_e64 v7, v27, v26, s[22:23]
	v_add_u32_e32 v8, 1, v6
	v_add_u32_e32 v6, -1, v7
	v_min_u32_e32 v6, v8, v6
	v_lshl_add_u32 v6, v6, 3, v35
	ds_read_b64 v[6:7], v6
	v_cndmask_b32_e64 v39, v8, v12, s[22:23]
	v_cndmask_b32_e64 v40, v13, v8, s[22:23]
	v_cmp_lt_u32_e32 vcc, v39, v27
	s_waitcnt lgkmcnt(0)
	v_cndmask_b32_e64 v10, v7, v14, s[22:23]
	v_cndmask_b32_e64 v17, v6, v15, s[22:23]
	;; [unrolled: 1-line block ×4, first 2 shown]
	s_and_saveexec_b64 s[26:27], vcc
	s_cbranch_execz .LBB505_335
; %bb.325:
	v_cmp_lt_u32_e32 vcc, v40, v26
	s_mov_b64 s[2:3], 0
	s_and_saveexec_b64 s[24:25], vcc
	s_cbranch_execz .LBB505_334
; %bb.326:
	s_and_b64 vcc, exec, s[0:1]
	s_cbranch_vccnz .LBB505_332
; %bb.327:
	v_mul_lo_u32 v8, v10, s36
	v_mul_lo_u32 v9, v17, s37
	v_mad_u64_u32 v[6:7], s[2:3], v17, s36, 0
	v_add3_u32 v7, v7, v9, v8
	v_mul_lo_u32 v12, v11, s36
	v_mul_lo_u32 v13, v23, s37
	v_mad_u64_u32 v[8:9], s[2:3], v23, s36, 0
	v_add3_u32 v9, v9, v13, v12
	v_lshl_add_u64 v[6:7], v[6:7], 3, s[38:39]
	v_lshl_add_u64 v[8:9], v[8:9], 3, s[38:39]
	s_mov_b64 s[28:29], 0
	s_mov_b64 s[42:43], s[36:37]
                                        ; implicit-def: $sgpr30_sgpr31
                                        ; implicit-def: $sgpr40_sgpr41
                                        ; implicit-def: $sgpr2_sgpr3
                                        ; implicit-def: $sgpr44_sgpr45
	s_branch .LBB505_329
.LBB505_328:                            ;   in Loop: Header=BB505_329 Depth=1
	s_or_b64 exec, exec, s[48:49]
	s_and_b64 s[4:5], exec, s[40:41]
	s_or_b64 s[28:29], s[4:5], s[28:29]
	s_andn2_b64 s[4:5], s[44:45], exec
	s_and_b64 s[44:45], s[46:47], exec
	s_or_b64 s[44:45], s[4:5], s[44:45]
	s_andn2_b64 s[4:5], s[30:31], exec
	s_and_b64 s[30:31], s[2:3], exec
	s_or_b64 s[30:31], s[4:5], s[30:31]
	s_andn2_b64 exec, exec, s[28:29]
	s_cbranch_execz .LBB505_331
.LBB505_329:                            ; =>This Inner Loop Header: Depth=1
	global_load_dwordx2 v[12:13], v[6:7], off
	global_load_dwordx2 v[24:25], v[8:9], off
	s_andn2_b64 s[48:49], s[2:3], exec
	s_or_b64 s[40:41], s[40:41], exec
	s_waitcnt vmcnt(0)
	v_cmp_le_i64_e64 s[2:3], v[12:13], v[24:25]
	v_cmp_lt_i64_e32 vcc, v[12:13], v[24:25]
	s_and_b64 s[2:3], s[2:3], s[44:45]
	s_or_b64 s[46:47], vcc, s[2:3]
	s_and_b64 s[2:3], s[46:47], exec
	v_cmp_eq_u64_e64 s[4:5], v[12:13], v[24:25]
	s_or_b64 s[2:3], s[48:49], s[2:3]
	s_and_saveexec_b64 s[48:49], s[4:5]
	s_cbranch_execz .LBB505_328
; %bb.330:                              ;   in Loop: Header=BB505_329 Depth=1
	s_add_u32 s42, s42, -1
	s_addc_u32 s43, s43, -1
	s_cmp_eq_u64 s[42:43], 0
	s_cselect_b64 s[4:5], -1, 0
	s_andn2_b64 s[40:41], s[40:41], exec
	s_and_b64 s[4:5], s[4:5], exec
	v_lshl_add_u64 v[6:7], v[6:7], 0, 8
	v_lshl_add_u64 v[8:9], v[8:9], 0, 8
	s_andn2_b64 s[2:3], s[2:3], exec
	s_or_b64 s[40:41], s[40:41], s[4:5]
                                        ; implicit-def: $sgpr44_sgpr45
	s_branch .LBB505_328
.LBB505_331:
	s_or_b64 exec, exec, s[28:29]
	s_xor_b64 s[2:3], s[30:31], -1
	s_branch .LBB505_333
.LBB505_332:
	s_mov_b64 s[2:3], -1
.LBB505_333:
	s_and_b64 s[2:3], s[2:3], exec
.LBB505_334:
	s_or_b64 exec, exec, s[24:25]
	s_orn2_b64 s[24:25], s[2:3], exec
.LBB505_335:
	s_or_b64 exec, exec, s[26:27]
	v_cndmask_b32_e64 v6, v39, v40, s[24:25]
	v_cndmask_b32_e64 v7, v27, v26, s[24:25]
	v_add_u32_e32 v8, 1, v6
	v_add_u32_e32 v6, -1, v7
	v_min_u32_e32 v6, v8, v6
	v_lshl_add_u32 v6, v6, 3, v35
	ds_read_b64 v[6:7], v6
	v_cndmask_b32_e64 v43, v8, v39, s[24:25]
	v_cndmask_b32_e64 v44, v40, v8, s[24:25]
	v_cmp_lt_u32_e32 vcc, v43, v27
	s_mov_b64 s[28:29], -1
	s_waitcnt lgkmcnt(0)
	v_cndmask_b32_e64 v12, v7, v10, s[24:25]
	v_cndmask_b32_e64 v24, v6, v17, s[24:25]
	;; [unrolled: 1-line block ×4, first 2 shown]
	s_mov_b64 s[26:27], -1
	s_and_saveexec_b64 s[30:31], vcc
	s_cbranch_execz .LBB505_346
; %bb.336:
	v_cmp_lt_u32_e32 vcc, v44, v26
	s_mov_b64 s[2:3], 0
	s_and_saveexec_b64 s[26:27], vcc
	s_cbranch_execz .LBB505_345
; %bb.337:
	s_and_b64 vcc, exec, s[0:1]
	s_cbranch_vccnz .LBB505_343
; %bb.338:
	v_mul_lo_u32 v8, v12, s36
	v_mul_lo_u32 v9, v24, s37
	v_mad_u64_u32 v[6:7], s[2:3], v24, s36, 0
	v_add3_u32 v7, v7, v9, v8
	v_mul_lo_u32 v39, v13, s36
	v_mul_lo_u32 v40, v25, s37
	v_mad_u64_u32 v[8:9], s[2:3], v25, s36, 0
	v_add3_u32 v9, v9, v40, v39
	v_lshl_add_u64 v[6:7], v[6:7], 3, s[38:39]
	v_lshl_add_u64 v[8:9], v[8:9], 3, s[38:39]
	s_mov_b64 s[40:41], 0
	s_mov_b64 s[46:47], s[36:37]
                                        ; implicit-def: $sgpr42_sgpr43
                                        ; implicit-def: $sgpr44_sgpr45
                                        ; implicit-def: $sgpr2_sgpr3
                                        ; implicit-def: $sgpr48_sgpr49
	s_branch .LBB505_340
.LBB505_339:                            ;   in Loop: Header=BB505_340 Depth=1
	s_or_b64 exec, exec, s[52:53]
	s_and_b64 s[4:5], exec, s[44:45]
	s_or_b64 s[40:41], s[4:5], s[40:41]
	s_andn2_b64 s[4:5], s[48:49], exec
	s_and_b64 s[48:49], s[50:51], exec
	s_or_b64 s[48:49], s[4:5], s[48:49]
	s_andn2_b64 s[4:5], s[42:43], exec
	s_and_b64 s[42:43], s[2:3], exec
	s_or_b64 s[42:43], s[4:5], s[42:43]
	s_andn2_b64 exec, exec, s[40:41]
	s_cbranch_execz .LBB505_342
.LBB505_340:                            ; =>This Inner Loop Header: Depth=1
	global_load_dwordx2 v[40:41], v[6:7], off
	global_load_dwordx2 v[46:47], v[8:9], off
	s_andn2_b64 s[52:53], s[2:3], exec
	s_or_b64 s[44:45], s[44:45], exec
	s_waitcnt vmcnt(0)
	v_cmp_le_i64_e64 s[2:3], v[40:41], v[46:47]
	v_cmp_lt_i64_e32 vcc, v[40:41], v[46:47]
	s_and_b64 s[2:3], s[2:3], s[48:49]
	s_or_b64 s[50:51], vcc, s[2:3]
	s_and_b64 s[2:3], s[50:51], exec
	v_cmp_eq_u64_e64 s[4:5], v[40:41], v[46:47]
	s_or_b64 s[2:3], s[52:53], s[2:3]
	s_and_saveexec_b64 s[52:53], s[4:5]
	s_cbranch_execz .LBB505_339
; %bb.341:                              ;   in Loop: Header=BB505_340 Depth=1
	s_add_u32 s46, s46, -1
	s_addc_u32 s47, s47, -1
	s_cmp_eq_u64 s[46:47], 0
	s_cselect_b64 s[4:5], -1, 0
	s_andn2_b64 s[44:45], s[44:45], exec
	s_and_b64 s[4:5], s[4:5], exec
	v_lshl_add_u64 v[6:7], v[6:7], 0, 8
	v_lshl_add_u64 v[8:9], v[8:9], 0, 8
	s_andn2_b64 s[2:3], s[2:3], exec
	s_or_b64 s[44:45], s[44:45], s[4:5]
                                        ; implicit-def: $sgpr48_sgpr49
	s_branch .LBB505_339
.LBB505_342:
	s_or_b64 exec, exec, s[40:41]
	s_xor_b64 s[2:3], s[42:43], -1
	s_branch .LBB505_344
.LBB505_343:
	s_mov_b64 s[2:3], -1
.LBB505_344:
	s_and_b64 s[2:3], s[2:3], exec
.LBB505_345:
	s_or_b64 exec, exec, s[26:27]
	s_orn2_b64 s[26:27], s[2:3], exec
.LBB505_346:
	s_or_b64 exec, exec, s[30:31]
	v_cndmask_b32_e64 v6, v43, v44, s[26:27]
	v_cndmask_b32_e64 v7, v27, v26, s[26:27]
	v_add_u32_e32 v8, 1, v6
	v_add_u32_e32 v6, -1, v7
	v_min_u32_e32 v6, v8, v6
	v_lshl_add_u32 v6, v6, 3, v35
	ds_read_b64 v[6:7], v6
	v_cndmask_b32_e64 v47, v8, v43, s[26:27]
	v_cndmask_b32_e64 v48, v44, v8, s[26:27]
	v_cmp_lt_u32_e32 vcc, v47, v27
	s_waitcnt lgkmcnt(0)
	v_cndmask_b32_e64 v39, v7, v12, s[26:27]
	v_cndmask_b32_e64 v40, v6, v24, s[26:27]
	;; [unrolled: 1-line block ×4, first 2 shown]
	s_and_saveexec_b64 s[30:31], vcc
	s_cbranch_execz .LBB505_357
; %bb.347:
	v_cmp_lt_u32_e32 vcc, v48, v26
	s_mov_b64 s[2:3], 0
	s_and_saveexec_b64 s[28:29], vcc
	s_cbranch_execz .LBB505_356
; %bb.348:
	s_and_b64 vcc, exec, s[0:1]
	s_cbranch_vccnz .LBB505_354
; %bb.349:
	v_mul_lo_u32 v8, v39, s36
	v_mul_lo_u32 v9, v40, s37
	v_mad_u64_u32 v[6:7], s[2:3], v40, s36, 0
	v_add3_u32 v7, v7, v9, v8
	v_mul_lo_u32 v43, v41, s36
	v_mul_lo_u32 v44, v42, s37
	v_mad_u64_u32 v[8:9], s[2:3], v42, s36, 0
	v_add3_u32 v9, v9, v44, v43
	v_lshl_add_u64 v[6:7], v[6:7], 3, s[38:39]
	v_lshl_add_u64 v[8:9], v[8:9], 3, s[38:39]
	s_mov_b64 s[40:41], 0
	s_mov_b64 s[46:47], s[36:37]
                                        ; implicit-def: $sgpr42_sgpr43
                                        ; implicit-def: $sgpr44_sgpr45
                                        ; implicit-def: $sgpr2_sgpr3
                                        ; implicit-def: $sgpr48_sgpr49
	s_branch .LBB505_351
.LBB505_350:                            ;   in Loop: Header=BB505_351 Depth=1
	s_or_b64 exec, exec, s[52:53]
	s_and_b64 s[4:5], exec, s[44:45]
	s_or_b64 s[40:41], s[4:5], s[40:41]
	s_andn2_b64 s[4:5], s[48:49], exec
	s_and_b64 s[48:49], s[50:51], exec
	s_or_b64 s[48:49], s[4:5], s[48:49]
	s_andn2_b64 s[4:5], s[42:43], exec
	s_and_b64 s[42:43], s[2:3], exec
	s_or_b64 s[42:43], s[4:5], s[42:43]
	s_andn2_b64 exec, exec, s[40:41]
	s_cbranch_execz .LBB505_353
.LBB505_351:                            ; =>This Inner Loop Header: Depth=1
	global_load_dwordx2 v[44:45], v[6:7], off
	global_load_dwordx2 v[50:51], v[8:9], off
	s_andn2_b64 s[52:53], s[2:3], exec
	s_or_b64 s[44:45], s[44:45], exec
	s_waitcnt vmcnt(0)
	v_cmp_le_i64_e64 s[2:3], v[44:45], v[50:51]
	v_cmp_lt_i64_e32 vcc, v[44:45], v[50:51]
	s_and_b64 s[2:3], s[2:3], s[48:49]
	s_or_b64 s[50:51], vcc, s[2:3]
	s_and_b64 s[2:3], s[50:51], exec
	v_cmp_eq_u64_e64 s[4:5], v[44:45], v[50:51]
	s_or_b64 s[2:3], s[52:53], s[2:3]
	s_and_saveexec_b64 s[52:53], s[4:5]
	s_cbranch_execz .LBB505_350
; %bb.352:                              ;   in Loop: Header=BB505_351 Depth=1
	s_add_u32 s46, s46, -1
	s_addc_u32 s47, s47, -1
	s_cmp_eq_u64 s[46:47], 0
	s_cselect_b64 s[4:5], -1, 0
	s_andn2_b64 s[44:45], s[44:45], exec
	s_and_b64 s[4:5], s[4:5], exec
	v_lshl_add_u64 v[6:7], v[6:7], 0, 8
	v_lshl_add_u64 v[8:9], v[8:9], 0, 8
	s_andn2_b64 s[2:3], s[2:3], exec
	s_or_b64 s[44:45], s[44:45], s[4:5]
                                        ; implicit-def: $sgpr48_sgpr49
	s_branch .LBB505_350
.LBB505_353:
	s_or_b64 exec, exec, s[40:41]
	s_xor_b64 s[2:3], s[42:43], -1
	s_branch .LBB505_355
.LBB505_354:
	s_mov_b64 s[2:3], -1
.LBB505_355:
	s_and_b64 s[2:3], s[2:3], exec
.LBB505_356:
	s_or_b64 exec, exec, s[28:29]
	s_orn2_b64 s[28:29], s[2:3], exec
.LBB505_357:
	s_or_b64 exec, exec, s[30:31]
	v_cndmask_b32_e64 v6, v47, v48, s[28:29]
	v_cndmask_b32_e64 v7, v27, v26, s[28:29]
	v_add_u32_e32 v8, 1, v6
	v_add_u32_e32 v6, -1, v7
	v_min_u32_e32 v6, v8, v6
	v_lshl_add_u32 v6, v6, 3, v35
	ds_read_b64 v[6:7], v6
	v_cndmask_b32_e64 v49, v8, v47, s[28:29]
	v_cndmask_b32_e64 v53, v48, v8, s[28:29]
	v_cmp_lt_u32_e32 vcc, v49, v27
	s_mov_b64 s[30:31], -1
	s_waitcnt lgkmcnt(0)
	v_cndmask_b32_e64 v43, v7, v39, s[28:29]
	v_cndmask_b32_e64 v44, v6, v40, s[28:29]
	;; [unrolled: 1-line block ×4, first 2 shown]
	s_mov_b64 s[40:41], -1
	s_and_saveexec_b64 s[42:43], vcc
	s_cbranch_execz .LBB505_368
; %bb.358:
	v_cmp_lt_u32_e32 vcc, v53, v26
	s_mov_b64 s[2:3], 0
	s_and_saveexec_b64 s[40:41], vcc
	s_cbranch_execz .LBB505_367
; %bb.359:
	s_and_b64 vcc, exec, s[0:1]
	s_cbranch_vccnz .LBB505_365
; %bb.360:
	v_mul_lo_u32 v8, v43, s36
	v_mul_lo_u32 v9, v44, s37
	v_mad_u64_u32 v[6:7], s[2:3], v44, s36, 0
	v_add3_u32 v7, v7, v9, v8
	v_mul_lo_u32 v47, v45, s36
	v_mul_lo_u32 v48, v46, s37
	v_mad_u64_u32 v[8:9], s[2:3], v46, s36, 0
	v_add3_u32 v9, v9, v48, v47
	v_lshl_add_u64 v[6:7], v[6:7], 3, s[38:39]
	v_lshl_add_u64 v[8:9], v[8:9], 3, s[38:39]
	s_mov_b64 s[44:45], 0
	s_mov_b64 s[50:51], s[36:37]
                                        ; implicit-def: $sgpr46_sgpr47
                                        ; implicit-def: $sgpr48_sgpr49
                                        ; implicit-def: $sgpr2_sgpr3
                                        ; implicit-def: $sgpr52_sgpr53
	s_branch .LBB505_362
.LBB505_361:                            ;   in Loop: Header=BB505_362 Depth=1
	s_or_b64 exec, exec, s[56:57]
	s_and_b64 s[4:5], exec, s[48:49]
	s_or_b64 s[44:45], s[4:5], s[44:45]
	s_andn2_b64 s[4:5], s[52:53], exec
	s_and_b64 s[52:53], s[54:55], exec
	s_or_b64 s[52:53], s[4:5], s[52:53]
	s_andn2_b64 s[4:5], s[46:47], exec
	s_and_b64 s[46:47], s[2:3], exec
	s_or_b64 s[46:47], s[4:5], s[46:47]
	s_andn2_b64 exec, exec, s[44:45]
	s_cbranch_execz .LBB505_364
.LBB505_362:                            ; =>This Inner Loop Header: Depth=1
	global_load_dwordx2 v[50:51], v[6:7], off
	global_load_dwordx2 v[54:55], v[8:9], off
	s_andn2_b64 s[56:57], s[2:3], exec
	s_or_b64 s[48:49], s[48:49], exec
	s_waitcnt vmcnt(0)
	v_cmp_le_i64_e64 s[2:3], v[50:51], v[54:55]
	v_cmp_lt_i64_e32 vcc, v[50:51], v[54:55]
	s_and_b64 s[2:3], s[2:3], s[52:53]
	s_or_b64 s[54:55], vcc, s[2:3]
	s_and_b64 s[2:3], s[54:55], exec
	v_cmp_eq_u64_e64 s[4:5], v[50:51], v[54:55]
	s_or_b64 s[2:3], s[56:57], s[2:3]
	s_and_saveexec_b64 s[56:57], s[4:5]
	s_cbranch_execz .LBB505_361
; %bb.363:                              ;   in Loop: Header=BB505_362 Depth=1
	s_add_u32 s50, s50, -1
	s_addc_u32 s51, s51, -1
	s_cmp_eq_u64 s[50:51], 0
	s_cselect_b64 s[4:5], -1, 0
	s_andn2_b64 s[48:49], s[48:49], exec
	s_and_b64 s[4:5], s[4:5], exec
	v_lshl_add_u64 v[6:7], v[6:7], 0, 8
	v_lshl_add_u64 v[8:9], v[8:9], 0, 8
	s_andn2_b64 s[2:3], s[2:3], exec
	s_or_b64 s[48:49], s[48:49], s[4:5]
                                        ; implicit-def: $sgpr52_sgpr53
	s_branch .LBB505_361
.LBB505_364:
	s_or_b64 exec, exec, s[44:45]
	s_xor_b64 s[2:3], s[46:47], -1
	s_branch .LBB505_366
.LBB505_365:
	s_mov_b64 s[2:3], -1
.LBB505_366:
	s_and_b64 s[2:3], s[2:3], exec
.LBB505_367:
	s_or_b64 exec, exec, s[40:41]
	s_orn2_b64 s[40:41], s[2:3], exec
.LBB505_368:
	s_or_b64 exec, exec, s[42:43]
	v_cndmask_b32_e64 v6, v49, v53, s[40:41]
	v_cndmask_b32_e64 v7, v27, v26, s[40:41]
	v_add_u32_e32 v8, 1, v6
	v_add_u32_e32 v6, -1, v7
	v_min_u32_e32 v6, v8, v6
	v_lshl_add_u32 v6, v6, 3, v35
	ds_read_b64 v[6:7], v6
	v_cndmask_b32_e64 v50, v8, v49, s[40:41]
	v_cndmask_b32_e64 v49, v53, v8, s[40:41]
	v_cmp_lt_u32_e32 vcc, v50, v27
	s_waitcnt lgkmcnt(0)
	v_cndmask_b32_e64 v47, v7, v43, s[40:41]
	v_cndmask_b32_e64 v48, v6, v44, s[40:41]
	;; [unrolled: 1-line block ×4, first 2 shown]
	s_and_saveexec_b64 s[42:43], vcc
	s_cbranch_execz .LBB505_379
; %bb.369:
	v_cmp_lt_u32_e32 vcc, v49, v26
	s_mov_b64 s[2:3], 0
	s_and_saveexec_b64 s[30:31], vcc
	s_cbranch_execz .LBB505_378
; %bb.370:
	s_and_b64 vcc, exec, s[0:1]
	s_cbranch_vccnz .LBB505_376
; %bb.371:
	v_mul_lo_u32 v8, v47, s36
	v_mul_lo_u32 v9, v48, s37
	v_mad_u64_u32 v[6:7], s[2:3], v48, s36, 0
	v_add3_u32 v7, v7, v9, v8
	v_mul_lo_u32 v53, v51, s36
	v_mul_lo_u32 v54, v52, s37
	v_mad_u64_u32 v[8:9], s[2:3], v52, s36, 0
	v_add3_u32 v9, v9, v54, v53
	v_lshl_add_u64 v[6:7], v[6:7], 3, s[38:39]
	v_lshl_add_u64 v[8:9], v[8:9], 3, s[38:39]
	s_mov_b64 s[44:45], 0
	s_mov_b64 s[50:51], s[36:37]
                                        ; implicit-def: $sgpr46_sgpr47
                                        ; implicit-def: $sgpr48_sgpr49
                                        ; implicit-def: $sgpr2_sgpr3
                                        ; implicit-def: $sgpr52_sgpr53
	s_branch .LBB505_373
.LBB505_372:                            ;   in Loop: Header=BB505_373 Depth=1
	s_or_b64 exec, exec, s[56:57]
	s_and_b64 s[4:5], exec, s[48:49]
	s_or_b64 s[44:45], s[4:5], s[44:45]
	s_andn2_b64 s[4:5], s[52:53], exec
	s_and_b64 s[52:53], s[54:55], exec
	s_or_b64 s[52:53], s[4:5], s[52:53]
	s_andn2_b64 s[4:5], s[46:47], exec
	s_and_b64 s[46:47], s[2:3], exec
	s_or_b64 s[46:47], s[4:5], s[46:47]
	s_andn2_b64 exec, exec, s[44:45]
	s_cbranch_execz .LBB505_375
.LBB505_373:                            ; =>This Inner Loop Header: Depth=1
	global_load_dwordx2 v[54:55], v[6:7], off
	global_load_dwordx2 v[56:57], v[8:9], off
	s_andn2_b64 s[56:57], s[2:3], exec
	s_or_b64 s[48:49], s[48:49], exec
	s_waitcnt vmcnt(0)
	v_cmp_le_i64_e64 s[2:3], v[54:55], v[56:57]
	v_cmp_lt_i64_e32 vcc, v[54:55], v[56:57]
	s_and_b64 s[2:3], s[2:3], s[52:53]
	s_or_b64 s[54:55], vcc, s[2:3]
	s_and_b64 s[2:3], s[54:55], exec
	v_cmp_eq_u64_e64 s[4:5], v[54:55], v[56:57]
	s_or_b64 s[2:3], s[56:57], s[2:3]
	s_and_saveexec_b64 s[56:57], s[4:5]
	s_cbranch_execz .LBB505_372
; %bb.374:                              ;   in Loop: Header=BB505_373 Depth=1
	s_add_u32 s50, s50, -1
	s_addc_u32 s51, s51, -1
	s_cmp_eq_u64 s[50:51], 0
	s_cselect_b64 s[4:5], -1, 0
	s_andn2_b64 s[48:49], s[48:49], exec
	s_and_b64 s[4:5], s[4:5], exec
	v_lshl_add_u64 v[6:7], v[6:7], 0, 8
	v_lshl_add_u64 v[8:9], v[8:9], 0, 8
	s_andn2_b64 s[2:3], s[2:3], exec
	s_or_b64 s[48:49], s[48:49], s[4:5]
                                        ; implicit-def: $sgpr52_sgpr53
	s_branch .LBB505_372
.LBB505_375:
	s_or_b64 exec, exec, s[44:45]
	s_xor_b64 s[2:3], s[46:47], -1
	s_branch .LBB505_377
.LBB505_376:
	s_mov_b64 s[2:3], -1
.LBB505_377:
	s_and_b64 s[2:3], s[2:3], exec
.LBB505_378:
	s_or_b64 exec, exec, s[30:31]
	s_orn2_b64 s[30:31], s[2:3], exec
.LBB505_379:
	s_or_b64 exec, exec, s[42:43]
	v_cndmask_b32_e64 v11, v10, v11, s[24:25]
	v_cndmask_b32_e64 v10, v17, v23, s[24:25]
	;; [unrolled: 1-line block ×8, first 2 shown]
	v_add_u32_e32 v24, 1, v14
	v_add_u32_e32 v14, -1, v15
	v_min_u32_e32 v14, v24, v14
	v_lshl_add_u32 v14, v14, 3, v35
	ds_read_b64 v[22:23], v14
	v_cndmask_b32_e64 v25, v24, v50, s[30:31]
	v_cndmask_b32_e64 v9, v43, v45, s[40:41]
	;; [unrolled: 1-line block ×9, first 2 shown]
	s_waitcnt lgkmcnt(0)
	v_cndmask_b32_e64 v5, v51, v23, s[30:31]
	v_cndmask_b32_e64 v4, v52, v22, s[30:31]
	v_cmp_lt_u32_e32 vcc, v25, v27
	s_and_saveexec_b64 s[12:13], vcc
	s_cbranch_execz .LBB505_389
; %bb.380:
	v_cndmask_b32_e64 v24, v49, v24, s[30:31]
	v_cndmask_b32_e64 v23, v23, v47, s[30:31]
	v_cndmask_b32_e64 v22, v22, v48, s[30:31]
	v_cmp_lt_u32_e32 vcc, v24, v26
	s_and_saveexec_b64 s[22:23], vcc
	s_cbranch_execz .LBB505_388
; %bb.381:
	s_and_b64 vcc, exec, s[0:1]
	s_cbranch_vccnz .LBB505_387
; %bb.382:
	v_mul_lo_u32 v26, v23, s36
	v_mul_lo_u32 v27, v22, s37
	v_mad_u64_u32 v[24:25], s[2:3], v22, s36, 0
	v_add3_u32 v25, v25, v27, v26
	v_mul_lo_u32 v39, v5, s36
	v_mul_lo_u32 v40, v4, s37
	v_mad_u64_u32 v[26:27], s[2:3], v4, s36, 0
	v_add3_u32 v27, v27, v40, v39
	v_lshl_add_u64 v[24:25], v[24:25], 3, s[38:39]
	v_lshl_add_u64 v[26:27], v[26:27], 3, s[38:39]
	s_mov_b64 s[24:25], 0
	s_mov_b64 s[30:31], s[36:37]
                                        ; implicit-def: $sgpr26_sgpr27
                                        ; implicit-def: $sgpr28_sgpr29
                                        ; implicit-def: $sgpr2_sgpr3
                                        ; implicit-def: $sgpr40_sgpr41
	s_branch .LBB505_384
.LBB505_383:                            ;   in Loop: Header=BB505_384 Depth=1
	s_or_b64 exec, exec, s[44:45]
	s_and_b64 s[4:5], exec, s[28:29]
	s_or_b64 s[24:25], s[4:5], s[24:25]
	s_andn2_b64 s[4:5], s[40:41], exec
	s_and_b64 s[40:41], s[42:43], exec
	s_or_b64 s[40:41], s[4:5], s[40:41]
	s_andn2_b64 s[4:5], s[26:27], exec
	s_and_b64 s[26:27], s[2:3], exec
	s_or_b64 s[26:27], s[4:5], s[26:27]
	s_andn2_b64 exec, exec, s[24:25]
	s_cbranch_execz .LBB505_386
.LBB505_384:                            ; =>This Inner Loop Header: Depth=1
	global_load_dwordx2 v[40:41], v[24:25], off
	global_load_dwordx2 v[42:43], v[26:27], off
	s_andn2_b64 s[44:45], s[2:3], exec
	s_or_b64 s[28:29], s[28:29], exec
	s_waitcnt vmcnt(0)
	v_cmp_le_i64_e64 s[2:3], v[40:41], v[42:43]
	v_cmp_lt_i64_e32 vcc, v[40:41], v[42:43]
	s_and_b64 s[2:3], s[2:3], s[40:41]
	s_or_b64 s[42:43], vcc, s[2:3]
	s_and_b64 s[2:3], s[42:43], exec
	v_cmp_eq_u64_e64 s[4:5], v[40:41], v[42:43]
	s_or_b64 s[2:3], s[44:45], s[2:3]
	s_and_saveexec_b64 s[44:45], s[4:5]
	s_cbranch_execz .LBB505_383
; %bb.385:                              ;   in Loop: Header=BB505_384 Depth=1
	s_add_u32 s30, s30, -1
	s_addc_u32 s31, s31, -1
	s_cmp_eq_u64 s[30:31], 0
	s_cselect_b64 s[4:5], -1, 0
	s_andn2_b64 s[28:29], s[28:29], exec
	s_and_b64 s[4:5], s[4:5], exec
	v_lshl_add_u64 v[24:25], v[24:25], 0, 8
	v_lshl_add_u64 v[26:27], v[26:27], 0, 8
	s_andn2_b64 s[2:3], s[2:3], exec
	s_or_b64 s[28:29], s[28:29], s[4:5]
                                        ; implicit-def: $sgpr40_sgpr41
	s_branch .LBB505_383
.LBB505_386:
	s_or_b64 exec, exec, s[24:25]
	v_cndmask_b32_e64 v5, v5, v23, s[26:27]
	v_cndmask_b32_e64 v4, v4, v22, s[26:27]
.LBB505_387:
	v_mov_b64_e32 v[22:23], v[4:5]
.LBB505_388:
	s_or_b64 exec, exec, s[22:23]
	v_mov_b64_e32 v[4:5], v[22:23]
.LBB505_389:
	s_or_b64 exec, exec, s[12:13]
.LBB505_390:
	s_or_b64 exec, exec, s[10:11]
	v_and_b32_e32 v41, 0x3c0, v37
	v_or_b32_e32 v22, 32, v41
	v_min_u32_e32 v26, v36, v22
	v_add_u32_e32 v22, 32, v26
	v_min_u32_e32 v27, v36, v22
	v_and_b32_e32 v22, 56, v37
	v_min_u32_e32 v42, v36, v22
	v_sub_u32_e32 v22, v26, v41
	v_sub_u32_e32 v23, v27, v26
	v_sub_u32_e64 v40, v42, v23 clamp
	v_min_u32_e32 v43, v42, v22
	v_lshl_add_u32 v39, v41, 3, v35
	v_cmp_lt_u32_e32 vcc, v40, v43
	; wave barrier
	ds_write_b128 v38, v[14:17]
	ds_write_b128 v38, v[10:13] offset:16
	ds_write_b128 v38, v[6:9] offset:32
	;; [unrolled: 1-line block ×3, first 2 shown]
	; wave barrier
	s_and_saveexec_b64 s[10:11], vcc
	s_cbranch_execz .LBB505_400
; %bb.391:
	v_lshlrev_b32_e32 v22, 3, v26
	v_lshlrev_b32_e32 v23, 3, v42
	v_add3_u32 v44, v35, v22, v23
	s_lshl_b64 s[22:23], s[36:37], 3
	s_mov_b64 s[12:13], 0
	s_branch .LBB505_394
.LBB505_392:                            ;   in Loop: Header=BB505_394 Depth=1
	s_or_b64 exec, exec, s[26:27]
.LBB505_393:                            ;   in Loop: Header=BB505_394 Depth=1
	v_add_u32_e32 v22, 1, v45
	v_cndmask_b32_e64 v43, v43, v45, s[24:25]
	v_cndmask_b32_e64 v40, v22, v40, s[24:25]
	v_cmp_ge_u32_e32 vcc, v40, v43
	s_or_b64 s[12:13], vcc, s[12:13]
	s_andn2_b64 exec, exec, s[12:13]
	s_cbranch_execz .LBB505_399
.LBB505_394:                            ; =>This Loop Header: Depth=1
                                        ;     Child Loop BB505_397 Depth 2
	v_add_u32_e32 v22, v43, v40
	v_lshrrev_b32_e32 v45, 1, v22
	s_and_b64 vcc, exec, s[0:1]
	s_mov_b64 s[24:25], 0
	s_cbranch_vccnz .LBB505_393
; %bb.395:                              ;   in Loop: Header=BB505_394 Depth=1
	v_not_b32_e32 v22, v45
	v_lshl_add_u32 v22, v22, 3, v44
	ds_read_b64 v[22:23], v22
	v_lshl_add_u32 v46, v45, 3, v39
	ds_read_b64 v[46:47], v46
	v_mov_b64_e32 v[24:25], s[38:39]
	s_mov_b64 s[26:27], 0
	s_waitcnt lgkmcnt(1)
	v_mul_lo_u32 v48, s22, v23
	v_mul_lo_u32 v49, s23, v22
	v_mad_u64_u32 v[22:23], s[2:3], s22, v22, v[24:25]
	v_add3_u32 v23, v49, v23, v48
	s_waitcnt lgkmcnt(0)
	v_mul_lo_u32 v47, s22, v47
	v_mul_lo_u32 v48, s23, v46
	v_mad_u64_u32 v[24:25], s[2:3], s22, v46, v[24:25]
	v_add3_u32 v25, v48, v25, v47
	s_mov_b64 s[30:31], s[36:37]
                                        ; implicit-def: $sgpr24_sgpr25
                                        ; implicit-def: $sgpr28_sgpr29
                                        ; implicit-def: $sgpr2_sgpr3
                                        ; implicit-def: $sgpr40_sgpr41
	s_branch .LBB505_397
.LBB505_396:                            ;   in Loop: Header=BB505_397 Depth=2
	s_or_b64 exec, exec, s[44:45]
	s_and_b64 s[4:5], exec, s[28:29]
	s_or_b64 s[26:27], s[4:5], s[26:27]
	s_andn2_b64 s[4:5], s[40:41], exec
	s_and_b64 s[40:41], s[42:43], exec
	s_or_b64 s[40:41], s[4:5], s[40:41]
	s_andn2_b64 s[4:5], s[24:25], exec
	s_and_b64 s[24:25], s[2:3], exec
	s_or_b64 s[24:25], s[4:5], s[24:25]
	s_andn2_b64 exec, exec, s[26:27]
	s_cbranch_execz .LBB505_392
.LBB505_397:                            ;   Parent Loop BB505_394 Depth=1
                                        ; =>  This Inner Loop Header: Depth=2
	global_load_dwordx2 v[46:47], v[22:23], off
	global_load_dwordx2 v[48:49], v[24:25], off
	s_andn2_b64 s[44:45], s[2:3], exec
	s_or_b64 s[28:29], s[28:29], exec
	s_waitcnt vmcnt(0)
	v_cmp_le_i64_e64 s[2:3], v[46:47], v[48:49]
	v_cmp_lt_i64_e32 vcc, v[46:47], v[48:49]
	s_and_b64 s[2:3], s[2:3], s[40:41]
	s_or_b64 s[42:43], vcc, s[2:3]
	s_and_b64 s[2:3], s[42:43], exec
	v_cmp_eq_u64_e64 s[4:5], v[46:47], v[48:49]
	s_or_b64 s[2:3], s[44:45], s[2:3]
	s_and_saveexec_b64 s[44:45], s[4:5]
	s_cbranch_execz .LBB505_396
; %bb.398:                              ;   in Loop: Header=BB505_397 Depth=2
	s_add_u32 s30, s30, -1
	s_addc_u32 s31, s31, -1
	s_cmp_eq_u64 s[30:31], 0
	s_cselect_b64 s[4:5], -1, 0
	s_andn2_b64 s[28:29], s[28:29], exec
	s_and_b64 s[4:5], s[4:5], exec
	v_lshl_add_u64 v[22:23], v[22:23], 0, 8
	v_lshl_add_u64 v[24:25], v[24:25], 0, 8
	s_andn2_b64 s[2:3], s[2:3], exec
	s_or_b64 s[28:29], s[28:29], s[4:5]
                                        ; implicit-def: $sgpr40_sgpr41
	s_branch .LBB505_396
.LBB505_399:
	s_or_b64 exec, exec, s[12:13]
.LBB505_400:
	s_or_b64 exec, exec, s[10:11]
	v_add_u32_e32 v22, v26, v42
	v_add_u32_e32 v23, v40, v41
	v_sub_u32_e32 v24, v22, v40
	v_cmp_le_u32_e32 vcc, v23, v26
	v_cmp_le_u32_e64 s[2:3], v24, v27
	s_or_b64 s[2:3], vcc, s[2:3]
	s_and_saveexec_b64 s[10:11], s[2:3]
	s_cbranch_execz .LBB505_491
; %bb.401:
	v_cmp_ge_u32_e32 vcc, v23, v26
	v_cmp_lt_u32_e64 s[2:3], v23, v26
                                        ; implicit-def: $vgpr2_vgpr3
	s_and_saveexec_b64 s[4:5], s[2:3]
; %bb.402:
	v_lshl_add_u32 v2, v40, 3, v39
	ds_read_b64 v[2:3], v2
; %bb.403:
	s_or_b64 exec, exec, s[4:5]
	v_cmp_ge_u32_e64 s[12:13], v24, v27
	v_cmp_lt_u32_e64 s[2:3], v24, v27
                                        ; implicit-def: $vgpr4_vgpr5
	s_and_saveexec_b64 s[4:5], s[2:3]
; %bb.404:
	v_lshl_add_u32 v4, v24, 3, v35
	ds_read_b64 v[4:5], v4
; %bb.405:
	s_or_b64 exec, exec, s[4:5]
	s_nor_b64 s[2:3], vcc, s[12:13]
	s_and_saveexec_b64 s[22:23], s[2:3]
	s_cbranch_execz .LBB505_414
; %bb.406:
	s_and_b64 vcc, exec, s[0:1]
	s_cbranch_vccnz .LBB505_412
; %bb.407:
	s_waitcnt lgkmcnt(0)
	v_mul_lo_u32 v8, v5, s36
	v_mul_lo_u32 v9, v4, s37
	v_mad_u64_u32 v[6:7], s[2:3], v4, s36, 0
	v_add3_u32 v7, v7, v9, v8
	v_mul_lo_u32 v10, v3, s36
	v_mul_lo_u32 v11, v2, s37
	v_mad_u64_u32 v[8:9], s[2:3], v2, s36, 0
	v_add3_u32 v9, v9, v11, v10
	v_lshl_add_u64 v[6:7], v[6:7], 3, s[38:39]
	v_lshl_add_u64 v[8:9], v[8:9], 3, s[38:39]
	s_mov_b64 s[24:25], 0
	s_mov_b64 s[30:31], s[36:37]
                                        ; implicit-def: $sgpr26_sgpr27
                                        ; implicit-def: $sgpr28_sgpr29
                                        ; implicit-def: $sgpr2_sgpr3
                                        ; implicit-def: $sgpr40_sgpr41
	s_branch .LBB505_409
.LBB505_408:                            ;   in Loop: Header=BB505_409 Depth=1
	s_or_b64 exec, exec, s[44:45]
	s_and_b64 s[4:5], exec, s[28:29]
	s_or_b64 s[24:25], s[4:5], s[24:25]
	s_andn2_b64 s[4:5], s[40:41], exec
	s_and_b64 s[40:41], s[42:43], exec
	s_or_b64 s[40:41], s[4:5], s[40:41]
	s_andn2_b64 s[4:5], s[26:27], exec
	s_and_b64 s[26:27], s[2:3], exec
	s_or_b64 s[26:27], s[4:5], s[26:27]
	s_andn2_b64 exec, exec, s[24:25]
	s_cbranch_execz .LBB505_411
.LBB505_409:                            ; =>This Inner Loop Header: Depth=1
	global_load_dwordx2 v[10:11], v[6:7], off
	global_load_dwordx2 v[12:13], v[8:9], off
	s_andn2_b64 s[44:45], s[2:3], exec
	s_or_b64 s[28:29], s[28:29], exec
	s_waitcnt vmcnt(0)
	v_cmp_le_i64_e64 s[2:3], v[10:11], v[12:13]
	v_cmp_lt_i64_e32 vcc, v[10:11], v[12:13]
	s_and_b64 s[2:3], s[2:3], s[40:41]
	s_or_b64 s[42:43], vcc, s[2:3]
	s_and_b64 s[2:3], s[42:43], exec
	v_cmp_eq_u64_e64 s[4:5], v[10:11], v[12:13]
	s_or_b64 s[2:3], s[44:45], s[2:3]
	s_and_saveexec_b64 s[44:45], s[4:5]
	s_cbranch_execz .LBB505_408
; %bb.410:                              ;   in Loop: Header=BB505_409 Depth=1
	s_add_u32 s30, s30, -1
	s_addc_u32 s31, s31, -1
	s_cmp_eq_u64 s[30:31], 0
	s_cselect_b64 s[4:5], -1, 0
	s_andn2_b64 s[28:29], s[28:29], exec
	s_and_b64 s[4:5], s[4:5], exec
	v_lshl_add_u64 v[6:7], v[6:7], 0, 8
	v_lshl_add_u64 v[8:9], v[8:9], 0, 8
	s_andn2_b64 s[2:3], s[2:3], exec
	s_or_b64 s[28:29], s[28:29], s[4:5]
                                        ; implicit-def: $sgpr40_sgpr41
	s_branch .LBB505_408
.LBB505_411:
	s_or_b64 exec, exec, s[24:25]
	s_xor_b64 s[2:3], s[26:27], -1
	s_branch .LBB505_413
.LBB505_412:
	s_mov_b64 s[2:3], -1
.LBB505_413:
	s_andn2_b64 s[4:5], s[12:13], exec
	s_and_b64 s[2:3], s[2:3], exec
	s_or_b64 s[12:13], s[4:5], s[2:3]
.LBB505_414:
	s_or_b64 exec, exec, s[22:23]
	v_cndmask_b32_e64 v6, v24, v23, s[12:13]
	v_cndmask_b32_e64 v7, v27, v26, s[12:13]
	v_add_u32_e32 v8, 1, v6
	v_add_u32_e32 v6, -1, v7
	v_min_u32_e32 v6, v8, v6
	v_lshl_add_u32 v6, v6, 3, v35
	ds_read_b64 v[6:7], v6
	v_cndmask_b32_e64 v12, v8, v24, s[12:13]
	v_cndmask_b32_e64 v13, v23, v8, s[12:13]
	v_cmp_lt_u32_e32 vcc, v12, v27
	s_mov_b64 s[24:25], -1
	s_waitcnt lgkmcnt(0)
	v_cndmask_b32_e64 v14, v7, v5, s[12:13]
	v_cndmask_b32_e64 v15, v6, v4, s[12:13]
	;; [unrolled: 1-line block ×4, first 2 shown]
	s_mov_b64 s[22:23], -1
	s_and_saveexec_b64 s[26:27], vcc
	s_cbranch_execz .LBB505_425
; %bb.415:
	v_cmp_lt_u32_e32 vcc, v13, v26
	s_mov_b64 s[2:3], 0
	s_and_saveexec_b64 s[22:23], vcc
	s_cbranch_execz .LBB505_424
; %bb.416:
	s_and_b64 vcc, exec, s[0:1]
	s_cbranch_vccnz .LBB505_422
; %bb.417:
	v_mul_lo_u32 v8, v14, s36
	v_mul_lo_u32 v9, v15, s37
	v_mad_u64_u32 v[6:7], s[2:3], v15, s36, 0
	v_add3_u32 v7, v7, v9, v8
	v_mul_lo_u32 v10, v16, s36
	v_mul_lo_u32 v11, v22, s37
	v_mad_u64_u32 v[8:9], s[2:3], v22, s36, 0
	v_add3_u32 v9, v9, v11, v10
	v_lshl_add_u64 v[6:7], v[6:7], 3, s[38:39]
	v_lshl_add_u64 v[8:9], v[8:9], 3, s[38:39]
	s_mov_b64 s[28:29], 0
	s_mov_b64 s[42:43], s[36:37]
                                        ; implicit-def: $sgpr30_sgpr31
                                        ; implicit-def: $sgpr40_sgpr41
                                        ; implicit-def: $sgpr2_sgpr3
                                        ; implicit-def: $sgpr44_sgpr45
	s_branch .LBB505_419
.LBB505_418:                            ;   in Loop: Header=BB505_419 Depth=1
	s_or_b64 exec, exec, s[48:49]
	s_and_b64 s[4:5], exec, s[40:41]
	s_or_b64 s[28:29], s[4:5], s[28:29]
	s_andn2_b64 s[4:5], s[44:45], exec
	s_and_b64 s[44:45], s[46:47], exec
	s_or_b64 s[44:45], s[4:5], s[44:45]
	s_andn2_b64 s[4:5], s[30:31], exec
	s_and_b64 s[30:31], s[2:3], exec
	s_or_b64 s[30:31], s[4:5], s[30:31]
	s_andn2_b64 exec, exec, s[28:29]
	s_cbranch_execz .LBB505_421
.LBB505_419:                            ; =>This Inner Loop Header: Depth=1
	global_load_dwordx2 v[10:11], v[6:7], off
	global_load_dwordx2 v[24:25], v[8:9], off
	s_andn2_b64 s[48:49], s[2:3], exec
	s_or_b64 s[40:41], s[40:41], exec
	s_waitcnt vmcnt(0)
	v_cmp_le_i64_e64 s[2:3], v[10:11], v[24:25]
	v_cmp_lt_i64_e32 vcc, v[10:11], v[24:25]
	s_and_b64 s[2:3], s[2:3], s[44:45]
	s_or_b64 s[46:47], vcc, s[2:3]
	s_and_b64 s[2:3], s[46:47], exec
	v_cmp_eq_u64_e64 s[4:5], v[10:11], v[24:25]
	s_or_b64 s[2:3], s[48:49], s[2:3]
	s_and_saveexec_b64 s[48:49], s[4:5]
	s_cbranch_execz .LBB505_418
; %bb.420:                              ;   in Loop: Header=BB505_419 Depth=1
	s_add_u32 s42, s42, -1
	s_addc_u32 s43, s43, -1
	s_cmp_eq_u64 s[42:43], 0
	s_cselect_b64 s[4:5], -1, 0
	s_andn2_b64 s[40:41], s[40:41], exec
	s_and_b64 s[4:5], s[4:5], exec
	v_lshl_add_u64 v[6:7], v[6:7], 0, 8
	v_lshl_add_u64 v[8:9], v[8:9], 0, 8
	s_andn2_b64 s[2:3], s[2:3], exec
	s_or_b64 s[40:41], s[40:41], s[4:5]
                                        ; implicit-def: $sgpr44_sgpr45
	s_branch .LBB505_418
.LBB505_421:
	s_or_b64 exec, exec, s[28:29]
	s_xor_b64 s[2:3], s[30:31], -1
	s_branch .LBB505_423
.LBB505_422:
	s_mov_b64 s[2:3], -1
.LBB505_423:
	s_and_b64 s[2:3], s[2:3], exec
.LBB505_424:
	s_or_b64 exec, exec, s[22:23]
	s_orn2_b64 s[22:23], s[2:3], exec
.LBB505_425:
	s_or_b64 exec, exec, s[26:27]
	v_cndmask_b32_e64 v6, v12, v13, s[22:23]
	v_cndmask_b32_e64 v7, v27, v26, s[22:23]
	v_add_u32_e32 v8, 1, v6
	v_add_u32_e32 v6, -1, v7
	v_min_u32_e32 v6, v8, v6
	v_lshl_add_u32 v6, v6, 3, v35
	ds_read_b64 v[6:7], v6
	v_cndmask_b32_e64 v39, v8, v12, s[22:23]
	v_cndmask_b32_e64 v40, v13, v8, s[22:23]
	v_cmp_lt_u32_e32 vcc, v39, v27
	s_waitcnt lgkmcnt(0)
	v_cndmask_b32_e64 v10, v7, v14, s[22:23]
	v_cndmask_b32_e64 v17, v6, v15, s[22:23]
	;; [unrolled: 1-line block ×4, first 2 shown]
	s_and_saveexec_b64 s[26:27], vcc
	s_cbranch_execz .LBB505_436
; %bb.426:
	v_cmp_lt_u32_e32 vcc, v40, v26
	s_mov_b64 s[2:3], 0
	s_and_saveexec_b64 s[24:25], vcc
	s_cbranch_execz .LBB505_435
; %bb.427:
	s_and_b64 vcc, exec, s[0:1]
	s_cbranch_vccnz .LBB505_433
; %bb.428:
	v_mul_lo_u32 v8, v10, s36
	v_mul_lo_u32 v9, v17, s37
	v_mad_u64_u32 v[6:7], s[2:3], v17, s36, 0
	v_add3_u32 v7, v7, v9, v8
	v_mul_lo_u32 v12, v11, s36
	v_mul_lo_u32 v13, v23, s37
	v_mad_u64_u32 v[8:9], s[2:3], v23, s36, 0
	v_add3_u32 v9, v9, v13, v12
	v_lshl_add_u64 v[6:7], v[6:7], 3, s[38:39]
	v_lshl_add_u64 v[8:9], v[8:9], 3, s[38:39]
	s_mov_b64 s[28:29], 0
	s_mov_b64 s[42:43], s[36:37]
                                        ; implicit-def: $sgpr30_sgpr31
                                        ; implicit-def: $sgpr40_sgpr41
                                        ; implicit-def: $sgpr2_sgpr3
                                        ; implicit-def: $sgpr44_sgpr45
	s_branch .LBB505_430
.LBB505_429:                            ;   in Loop: Header=BB505_430 Depth=1
	s_or_b64 exec, exec, s[48:49]
	s_and_b64 s[4:5], exec, s[40:41]
	s_or_b64 s[28:29], s[4:5], s[28:29]
	s_andn2_b64 s[4:5], s[44:45], exec
	s_and_b64 s[44:45], s[46:47], exec
	s_or_b64 s[44:45], s[4:5], s[44:45]
	s_andn2_b64 s[4:5], s[30:31], exec
	s_and_b64 s[30:31], s[2:3], exec
	s_or_b64 s[30:31], s[4:5], s[30:31]
	s_andn2_b64 exec, exec, s[28:29]
	s_cbranch_execz .LBB505_432
.LBB505_430:                            ; =>This Inner Loop Header: Depth=1
	global_load_dwordx2 v[12:13], v[6:7], off
	global_load_dwordx2 v[24:25], v[8:9], off
	s_andn2_b64 s[48:49], s[2:3], exec
	s_or_b64 s[40:41], s[40:41], exec
	s_waitcnt vmcnt(0)
	v_cmp_le_i64_e64 s[2:3], v[12:13], v[24:25]
	v_cmp_lt_i64_e32 vcc, v[12:13], v[24:25]
	s_and_b64 s[2:3], s[2:3], s[44:45]
	s_or_b64 s[46:47], vcc, s[2:3]
	s_and_b64 s[2:3], s[46:47], exec
	v_cmp_eq_u64_e64 s[4:5], v[12:13], v[24:25]
	s_or_b64 s[2:3], s[48:49], s[2:3]
	s_and_saveexec_b64 s[48:49], s[4:5]
	s_cbranch_execz .LBB505_429
; %bb.431:                              ;   in Loop: Header=BB505_430 Depth=1
	s_add_u32 s42, s42, -1
	s_addc_u32 s43, s43, -1
	s_cmp_eq_u64 s[42:43], 0
	s_cselect_b64 s[4:5], -1, 0
	s_andn2_b64 s[40:41], s[40:41], exec
	s_and_b64 s[4:5], s[4:5], exec
	v_lshl_add_u64 v[6:7], v[6:7], 0, 8
	v_lshl_add_u64 v[8:9], v[8:9], 0, 8
	s_andn2_b64 s[2:3], s[2:3], exec
	s_or_b64 s[40:41], s[40:41], s[4:5]
                                        ; implicit-def: $sgpr44_sgpr45
	s_branch .LBB505_429
.LBB505_432:
	s_or_b64 exec, exec, s[28:29]
	s_xor_b64 s[2:3], s[30:31], -1
	s_branch .LBB505_434
.LBB505_433:
	s_mov_b64 s[2:3], -1
.LBB505_434:
	s_and_b64 s[2:3], s[2:3], exec
.LBB505_435:
	s_or_b64 exec, exec, s[24:25]
	s_orn2_b64 s[24:25], s[2:3], exec
.LBB505_436:
	s_or_b64 exec, exec, s[26:27]
	v_cndmask_b32_e64 v6, v39, v40, s[24:25]
	v_cndmask_b32_e64 v7, v27, v26, s[24:25]
	v_add_u32_e32 v8, 1, v6
	v_add_u32_e32 v6, -1, v7
	v_min_u32_e32 v6, v8, v6
	v_lshl_add_u32 v6, v6, 3, v35
	ds_read_b64 v[6:7], v6
	v_cndmask_b32_e64 v43, v8, v39, s[24:25]
	v_cndmask_b32_e64 v44, v40, v8, s[24:25]
	v_cmp_lt_u32_e32 vcc, v43, v27
	s_mov_b64 s[28:29], -1
	s_waitcnt lgkmcnt(0)
	v_cndmask_b32_e64 v12, v7, v10, s[24:25]
	v_cndmask_b32_e64 v24, v6, v17, s[24:25]
	;; [unrolled: 1-line block ×4, first 2 shown]
	s_mov_b64 s[26:27], -1
	s_and_saveexec_b64 s[30:31], vcc
	s_cbranch_execz .LBB505_447
; %bb.437:
	v_cmp_lt_u32_e32 vcc, v44, v26
	s_mov_b64 s[2:3], 0
	s_and_saveexec_b64 s[26:27], vcc
	s_cbranch_execz .LBB505_446
; %bb.438:
	s_and_b64 vcc, exec, s[0:1]
	s_cbranch_vccnz .LBB505_444
; %bb.439:
	v_mul_lo_u32 v8, v12, s36
	v_mul_lo_u32 v9, v24, s37
	v_mad_u64_u32 v[6:7], s[2:3], v24, s36, 0
	v_add3_u32 v7, v7, v9, v8
	v_mul_lo_u32 v39, v13, s36
	v_mul_lo_u32 v40, v25, s37
	v_mad_u64_u32 v[8:9], s[2:3], v25, s36, 0
	v_add3_u32 v9, v9, v40, v39
	v_lshl_add_u64 v[6:7], v[6:7], 3, s[38:39]
	v_lshl_add_u64 v[8:9], v[8:9], 3, s[38:39]
	s_mov_b64 s[40:41], 0
	s_mov_b64 s[46:47], s[36:37]
                                        ; implicit-def: $sgpr42_sgpr43
                                        ; implicit-def: $sgpr44_sgpr45
                                        ; implicit-def: $sgpr2_sgpr3
                                        ; implicit-def: $sgpr48_sgpr49
	s_branch .LBB505_441
.LBB505_440:                            ;   in Loop: Header=BB505_441 Depth=1
	s_or_b64 exec, exec, s[52:53]
	s_and_b64 s[4:5], exec, s[44:45]
	s_or_b64 s[40:41], s[4:5], s[40:41]
	s_andn2_b64 s[4:5], s[48:49], exec
	s_and_b64 s[48:49], s[50:51], exec
	s_or_b64 s[48:49], s[4:5], s[48:49]
	s_andn2_b64 s[4:5], s[42:43], exec
	s_and_b64 s[42:43], s[2:3], exec
	s_or_b64 s[42:43], s[4:5], s[42:43]
	s_andn2_b64 exec, exec, s[40:41]
	s_cbranch_execz .LBB505_443
.LBB505_441:                            ; =>This Inner Loop Header: Depth=1
	global_load_dwordx2 v[40:41], v[6:7], off
	global_load_dwordx2 v[46:47], v[8:9], off
	s_andn2_b64 s[52:53], s[2:3], exec
	s_or_b64 s[44:45], s[44:45], exec
	s_waitcnt vmcnt(0)
	v_cmp_le_i64_e64 s[2:3], v[40:41], v[46:47]
	v_cmp_lt_i64_e32 vcc, v[40:41], v[46:47]
	s_and_b64 s[2:3], s[2:3], s[48:49]
	s_or_b64 s[50:51], vcc, s[2:3]
	s_and_b64 s[2:3], s[50:51], exec
	v_cmp_eq_u64_e64 s[4:5], v[40:41], v[46:47]
	s_or_b64 s[2:3], s[52:53], s[2:3]
	s_and_saveexec_b64 s[52:53], s[4:5]
	s_cbranch_execz .LBB505_440
; %bb.442:                              ;   in Loop: Header=BB505_441 Depth=1
	s_add_u32 s46, s46, -1
	s_addc_u32 s47, s47, -1
	s_cmp_eq_u64 s[46:47], 0
	s_cselect_b64 s[4:5], -1, 0
	s_andn2_b64 s[44:45], s[44:45], exec
	s_and_b64 s[4:5], s[4:5], exec
	v_lshl_add_u64 v[6:7], v[6:7], 0, 8
	v_lshl_add_u64 v[8:9], v[8:9], 0, 8
	s_andn2_b64 s[2:3], s[2:3], exec
	s_or_b64 s[44:45], s[44:45], s[4:5]
                                        ; implicit-def: $sgpr48_sgpr49
	s_branch .LBB505_440
.LBB505_443:
	s_or_b64 exec, exec, s[40:41]
	s_xor_b64 s[2:3], s[42:43], -1
	s_branch .LBB505_445
.LBB505_444:
	s_mov_b64 s[2:3], -1
.LBB505_445:
	s_and_b64 s[2:3], s[2:3], exec
.LBB505_446:
	s_or_b64 exec, exec, s[26:27]
	s_orn2_b64 s[26:27], s[2:3], exec
.LBB505_447:
	s_or_b64 exec, exec, s[30:31]
	v_cndmask_b32_e64 v6, v43, v44, s[26:27]
	v_cndmask_b32_e64 v7, v27, v26, s[26:27]
	v_add_u32_e32 v8, 1, v6
	v_add_u32_e32 v6, -1, v7
	v_min_u32_e32 v6, v8, v6
	v_lshl_add_u32 v6, v6, 3, v35
	ds_read_b64 v[6:7], v6
	v_cndmask_b32_e64 v47, v8, v43, s[26:27]
	v_cndmask_b32_e64 v48, v44, v8, s[26:27]
	v_cmp_lt_u32_e32 vcc, v47, v27
	s_waitcnt lgkmcnt(0)
	v_cndmask_b32_e64 v39, v7, v12, s[26:27]
	v_cndmask_b32_e64 v40, v6, v24, s[26:27]
	;; [unrolled: 1-line block ×4, first 2 shown]
	s_and_saveexec_b64 s[30:31], vcc
	s_cbranch_execz .LBB505_458
; %bb.448:
	v_cmp_lt_u32_e32 vcc, v48, v26
	s_mov_b64 s[2:3], 0
	s_and_saveexec_b64 s[28:29], vcc
	s_cbranch_execz .LBB505_457
; %bb.449:
	s_and_b64 vcc, exec, s[0:1]
	s_cbranch_vccnz .LBB505_455
; %bb.450:
	v_mul_lo_u32 v8, v39, s36
	v_mul_lo_u32 v9, v40, s37
	v_mad_u64_u32 v[6:7], s[2:3], v40, s36, 0
	v_add3_u32 v7, v7, v9, v8
	v_mul_lo_u32 v43, v41, s36
	v_mul_lo_u32 v44, v42, s37
	v_mad_u64_u32 v[8:9], s[2:3], v42, s36, 0
	v_add3_u32 v9, v9, v44, v43
	v_lshl_add_u64 v[6:7], v[6:7], 3, s[38:39]
	v_lshl_add_u64 v[8:9], v[8:9], 3, s[38:39]
	s_mov_b64 s[40:41], 0
	s_mov_b64 s[46:47], s[36:37]
                                        ; implicit-def: $sgpr42_sgpr43
                                        ; implicit-def: $sgpr44_sgpr45
                                        ; implicit-def: $sgpr2_sgpr3
                                        ; implicit-def: $sgpr48_sgpr49
	s_branch .LBB505_452
.LBB505_451:                            ;   in Loop: Header=BB505_452 Depth=1
	s_or_b64 exec, exec, s[52:53]
	s_and_b64 s[4:5], exec, s[44:45]
	s_or_b64 s[40:41], s[4:5], s[40:41]
	s_andn2_b64 s[4:5], s[48:49], exec
	s_and_b64 s[48:49], s[50:51], exec
	s_or_b64 s[48:49], s[4:5], s[48:49]
	s_andn2_b64 s[4:5], s[42:43], exec
	s_and_b64 s[42:43], s[2:3], exec
	s_or_b64 s[42:43], s[4:5], s[42:43]
	s_andn2_b64 exec, exec, s[40:41]
	s_cbranch_execz .LBB505_454
.LBB505_452:                            ; =>This Inner Loop Header: Depth=1
	global_load_dwordx2 v[44:45], v[6:7], off
	global_load_dwordx2 v[50:51], v[8:9], off
	s_andn2_b64 s[52:53], s[2:3], exec
	s_or_b64 s[44:45], s[44:45], exec
	s_waitcnt vmcnt(0)
	v_cmp_le_i64_e64 s[2:3], v[44:45], v[50:51]
	v_cmp_lt_i64_e32 vcc, v[44:45], v[50:51]
	s_and_b64 s[2:3], s[2:3], s[48:49]
	s_or_b64 s[50:51], vcc, s[2:3]
	s_and_b64 s[2:3], s[50:51], exec
	v_cmp_eq_u64_e64 s[4:5], v[44:45], v[50:51]
	s_or_b64 s[2:3], s[52:53], s[2:3]
	s_and_saveexec_b64 s[52:53], s[4:5]
	s_cbranch_execz .LBB505_451
; %bb.453:                              ;   in Loop: Header=BB505_452 Depth=1
	s_add_u32 s46, s46, -1
	s_addc_u32 s47, s47, -1
	s_cmp_eq_u64 s[46:47], 0
	s_cselect_b64 s[4:5], -1, 0
	s_andn2_b64 s[44:45], s[44:45], exec
	s_and_b64 s[4:5], s[4:5], exec
	v_lshl_add_u64 v[6:7], v[6:7], 0, 8
	v_lshl_add_u64 v[8:9], v[8:9], 0, 8
	s_andn2_b64 s[2:3], s[2:3], exec
	s_or_b64 s[44:45], s[44:45], s[4:5]
                                        ; implicit-def: $sgpr48_sgpr49
	s_branch .LBB505_451
.LBB505_454:
	s_or_b64 exec, exec, s[40:41]
	s_xor_b64 s[2:3], s[42:43], -1
	s_branch .LBB505_456
.LBB505_455:
	s_mov_b64 s[2:3], -1
.LBB505_456:
	s_and_b64 s[2:3], s[2:3], exec
.LBB505_457:
	s_or_b64 exec, exec, s[28:29]
	s_orn2_b64 s[28:29], s[2:3], exec
.LBB505_458:
	s_or_b64 exec, exec, s[30:31]
	v_cndmask_b32_e64 v6, v47, v48, s[28:29]
	v_cndmask_b32_e64 v7, v27, v26, s[28:29]
	v_add_u32_e32 v8, 1, v6
	v_add_u32_e32 v6, -1, v7
	v_min_u32_e32 v6, v8, v6
	v_lshl_add_u32 v6, v6, 3, v35
	ds_read_b64 v[6:7], v6
	v_cndmask_b32_e64 v49, v8, v47, s[28:29]
	v_cndmask_b32_e64 v53, v48, v8, s[28:29]
	v_cmp_lt_u32_e32 vcc, v49, v27
	s_mov_b64 s[30:31], -1
	s_waitcnt lgkmcnt(0)
	v_cndmask_b32_e64 v43, v7, v39, s[28:29]
	v_cndmask_b32_e64 v44, v6, v40, s[28:29]
	;; [unrolled: 1-line block ×4, first 2 shown]
	s_mov_b64 s[40:41], -1
	s_and_saveexec_b64 s[42:43], vcc
	s_cbranch_execz .LBB505_469
; %bb.459:
	v_cmp_lt_u32_e32 vcc, v53, v26
	s_mov_b64 s[2:3], 0
	s_and_saveexec_b64 s[40:41], vcc
	s_cbranch_execz .LBB505_468
; %bb.460:
	s_and_b64 vcc, exec, s[0:1]
	s_cbranch_vccnz .LBB505_466
; %bb.461:
	v_mul_lo_u32 v8, v43, s36
	v_mul_lo_u32 v9, v44, s37
	v_mad_u64_u32 v[6:7], s[2:3], v44, s36, 0
	v_add3_u32 v7, v7, v9, v8
	v_mul_lo_u32 v47, v45, s36
	v_mul_lo_u32 v48, v46, s37
	v_mad_u64_u32 v[8:9], s[2:3], v46, s36, 0
	v_add3_u32 v9, v9, v48, v47
	v_lshl_add_u64 v[6:7], v[6:7], 3, s[38:39]
	v_lshl_add_u64 v[8:9], v[8:9], 3, s[38:39]
	s_mov_b64 s[44:45], 0
	s_mov_b64 s[50:51], s[36:37]
                                        ; implicit-def: $sgpr46_sgpr47
                                        ; implicit-def: $sgpr48_sgpr49
                                        ; implicit-def: $sgpr2_sgpr3
                                        ; implicit-def: $sgpr52_sgpr53
	s_branch .LBB505_463
.LBB505_462:                            ;   in Loop: Header=BB505_463 Depth=1
	s_or_b64 exec, exec, s[56:57]
	s_and_b64 s[4:5], exec, s[48:49]
	s_or_b64 s[44:45], s[4:5], s[44:45]
	s_andn2_b64 s[4:5], s[52:53], exec
	s_and_b64 s[52:53], s[54:55], exec
	s_or_b64 s[52:53], s[4:5], s[52:53]
	s_andn2_b64 s[4:5], s[46:47], exec
	s_and_b64 s[46:47], s[2:3], exec
	s_or_b64 s[46:47], s[4:5], s[46:47]
	s_andn2_b64 exec, exec, s[44:45]
	s_cbranch_execz .LBB505_465
.LBB505_463:                            ; =>This Inner Loop Header: Depth=1
	global_load_dwordx2 v[50:51], v[6:7], off
	global_load_dwordx2 v[54:55], v[8:9], off
	s_andn2_b64 s[56:57], s[2:3], exec
	s_or_b64 s[48:49], s[48:49], exec
	s_waitcnt vmcnt(0)
	v_cmp_le_i64_e64 s[2:3], v[50:51], v[54:55]
	v_cmp_lt_i64_e32 vcc, v[50:51], v[54:55]
	s_and_b64 s[2:3], s[2:3], s[52:53]
	s_or_b64 s[54:55], vcc, s[2:3]
	s_and_b64 s[2:3], s[54:55], exec
	v_cmp_eq_u64_e64 s[4:5], v[50:51], v[54:55]
	s_or_b64 s[2:3], s[56:57], s[2:3]
	s_and_saveexec_b64 s[56:57], s[4:5]
	s_cbranch_execz .LBB505_462
; %bb.464:                              ;   in Loop: Header=BB505_463 Depth=1
	s_add_u32 s50, s50, -1
	s_addc_u32 s51, s51, -1
	s_cmp_eq_u64 s[50:51], 0
	s_cselect_b64 s[4:5], -1, 0
	s_andn2_b64 s[48:49], s[48:49], exec
	s_and_b64 s[4:5], s[4:5], exec
	v_lshl_add_u64 v[6:7], v[6:7], 0, 8
	v_lshl_add_u64 v[8:9], v[8:9], 0, 8
	s_andn2_b64 s[2:3], s[2:3], exec
	s_or_b64 s[48:49], s[48:49], s[4:5]
                                        ; implicit-def: $sgpr52_sgpr53
	s_branch .LBB505_462
.LBB505_465:
	s_or_b64 exec, exec, s[44:45]
	s_xor_b64 s[2:3], s[46:47], -1
	s_branch .LBB505_467
.LBB505_466:
	s_mov_b64 s[2:3], -1
.LBB505_467:
	s_and_b64 s[2:3], s[2:3], exec
.LBB505_468:
	s_or_b64 exec, exec, s[40:41]
	s_orn2_b64 s[40:41], s[2:3], exec
.LBB505_469:
	s_or_b64 exec, exec, s[42:43]
	v_cndmask_b32_e64 v6, v49, v53, s[40:41]
	v_cndmask_b32_e64 v7, v27, v26, s[40:41]
	v_add_u32_e32 v8, 1, v6
	v_add_u32_e32 v6, -1, v7
	v_min_u32_e32 v6, v8, v6
	v_lshl_add_u32 v6, v6, 3, v35
	ds_read_b64 v[6:7], v6
	v_cndmask_b32_e64 v50, v8, v49, s[40:41]
	v_cndmask_b32_e64 v49, v53, v8, s[40:41]
	v_cmp_lt_u32_e32 vcc, v50, v27
	s_waitcnt lgkmcnt(0)
	v_cndmask_b32_e64 v47, v7, v43, s[40:41]
	v_cndmask_b32_e64 v48, v6, v44, s[40:41]
	;; [unrolled: 1-line block ×4, first 2 shown]
	s_and_saveexec_b64 s[42:43], vcc
	s_cbranch_execz .LBB505_480
; %bb.470:
	v_cmp_lt_u32_e32 vcc, v49, v26
	s_mov_b64 s[2:3], 0
	s_and_saveexec_b64 s[30:31], vcc
	s_cbranch_execz .LBB505_479
; %bb.471:
	s_and_b64 vcc, exec, s[0:1]
	s_cbranch_vccnz .LBB505_477
; %bb.472:
	v_mul_lo_u32 v8, v47, s36
	v_mul_lo_u32 v9, v48, s37
	v_mad_u64_u32 v[6:7], s[2:3], v48, s36, 0
	v_add3_u32 v7, v7, v9, v8
	v_mul_lo_u32 v53, v51, s36
	v_mul_lo_u32 v54, v52, s37
	v_mad_u64_u32 v[8:9], s[2:3], v52, s36, 0
	v_add3_u32 v9, v9, v54, v53
	v_lshl_add_u64 v[6:7], v[6:7], 3, s[38:39]
	v_lshl_add_u64 v[8:9], v[8:9], 3, s[38:39]
	s_mov_b64 s[44:45], 0
	s_mov_b64 s[50:51], s[36:37]
                                        ; implicit-def: $sgpr46_sgpr47
                                        ; implicit-def: $sgpr48_sgpr49
                                        ; implicit-def: $sgpr2_sgpr3
                                        ; implicit-def: $sgpr52_sgpr53
	s_branch .LBB505_474
.LBB505_473:                            ;   in Loop: Header=BB505_474 Depth=1
	s_or_b64 exec, exec, s[56:57]
	s_and_b64 s[4:5], exec, s[48:49]
	s_or_b64 s[44:45], s[4:5], s[44:45]
	s_andn2_b64 s[4:5], s[52:53], exec
	s_and_b64 s[52:53], s[54:55], exec
	s_or_b64 s[52:53], s[4:5], s[52:53]
	s_andn2_b64 s[4:5], s[46:47], exec
	s_and_b64 s[46:47], s[2:3], exec
	s_or_b64 s[46:47], s[4:5], s[46:47]
	s_andn2_b64 exec, exec, s[44:45]
	s_cbranch_execz .LBB505_476
.LBB505_474:                            ; =>This Inner Loop Header: Depth=1
	global_load_dwordx2 v[54:55], v[6:7], off
	global_load_dwordx2 v[56:57], v[8:9], off
	s_andn2_b64 s[56:57], s[2:3], exec
	s_or_b64 s[48:49], s[48:49], exec
	s_waitcnt vmcnt(0)
	v_cmp_le_i64_e64 s[2:3], v[54:55], v[56:57]
	v_cmp_lt_i64_e32 vcc, v[54:55], v[56:57]
	s_and_b64 s[2:3], s[2:3], s[52:53]
	s_or_b64 s[54:55], vcc, s[2:3]
	s_and_b64 s[2:3], s[54:55], exec
	v_cmp_eq_u64_e64 s[4:5], v[54:55], v[56:57]
	s_or_b64 s[2:3], s[56:57], s[2:3]
	s_and_saveexec_b64 s[56:57], s[4:5]
	s_cbranch_execz .LBB505_473
; %bb.475:                              ;   in Loop: Header=BB505_474 Depth=1
	s_add_u32 s50, s50, -1
	s_addc_u32 s51, s51, -1
	s_cmp_eq_u64 s[50:51], 0
	s_cselect_b64 s[4:5], -1, 0
	s_andn2_b64 s[48:49], s[48:49], exec
	s_and_b64 s[4:5], s[4:5], exec
	v_lshl_add_u64 v[6:7], v[6:7], 0, 8
	v_lshl_add_u64 v[8:9], v[8:9], 0, 8
	s_andn2_b64 s[2:3], s[2:3], exec
	s_or_b64 s[48:49], s[48:49], s[4:5]
                                        ; implicit-def: $sgpr52_sgpr53
	s_branch .LBB505_473
.LBB505_476:
	s_or_b64 exec, exec, s[44:45]
	s_xor_b64 s[2:3], s[46:47], -1
	s_branch .LBB505_478
.LBB505_477:
	s_mov_b64 s[2:3], -1
.LBB505_478:
	s_and_b64 s[2:3], s[2:3], exec
.LBB505_479:
	s_or_b64 exec, exec, s[30:31]
	s_orn2_b64 s[30:31], s[2:3], exec
.LBB505_480:
	s_or_b64 exec, exec, s[42:43]
	v_cndmask_b32_e64 v11, v10, v11, s[24:25]
	v_cndmask_b32_e64 v10, v17, v23, s[24:25]
	;; [unrolled: 1-line block ×8, first 2 shown]
	v_add_u32_e32 v24, 1, v14
	v_add_u32_e32 v14, -1, v15
	v_min_u32_e32 v14, v24, v14
	v_lshl_add_u32 v14, v14, 3, v35
	ds_read_b64 v[22:23], v14
	v_cndmask_b32_e64 v25, v24, v50, s[30:31]
	v_cndmask_b32_e64 v9, v43, v45, s[40:41]
	;; [unrolled: 1-line block ×9, first 2 shown]
	s_waitcnt lgkmcnt(0)
	v_cndmask_b32_e64 v5, v51, v23, s[30:31]
	v_cndmask_b32_e64 v4, v52, v22, s[30:31]
	v_cmp_lt_u32_e32 vcc, v25, v27
	s_and_saveexec_b64 s[12:13], vcc
	s_cbranch_execz .LBB505_490
; %bb.481:
	v_cndmask_b32_e64 v24, v49, v24, s[30:31]
	v_cndmask_b32_e64 v23, v23, v47, s[30:31]
	;; [unrolled: 1-line block ×3, first 2 shown]
	v_cmp_lt_u32_e32 vcc, v24, v26
	s_and_saveexec_b64 s[22:23], vcc
	s_cbranch_execz .LBB505_489
; %bb.482:
	s_and_b64 vcc, exec, s[0:1]
	s_cbranch_vccnz .LBB505_488
; %bb.483:
	v_mul_lo_u32 v26, v23, s36
	v_mul_lo_u32 v27, v22, s37
	v_mad_u64_u32 v[24:25], s[2:3], v22, s36, 0
	v_add3_u32 v25, v25, v27, v26
	v_mul_lo_u32 v39, v5, s36
	v_mul_lo_u32 v40, v4, s37
	v_mad_u64_u32 v[26:27], s[2:3], v4, s36, 0
	v_add3_u32 v27, v27, v40, v39
	v_lshl_add_u64 v[24:25], v[24:25], 3, s[38:39]
	v_lshl_add_u64 v[26:27], v[26:27], 3, s[38:39]
	s_mov_b64 s[24:25], 0
	s_mov_b64 s[30:31], s[36:37]
                                        ; implicit-def: $sgpr26_sgpr27
                                        ; implicit-def: $sgpr28_sgpr29
                                        ; implicit-def: $sgpr2_sgpr3
                                        ; implicit-def: $sgpr40_sgpr41
	s_branch .LBB505_485
.LBB505_484:                            ;   in Loop: Header=BB505_485 Depth=1
	s_or_b64 exec, exec, s[44:45]
	s_and_b64 s[4:5], exec, s[28:29]
	s_or_b64 s[24:25], s[4:5], s[24:25]
	s_andn2_b64 s[4:5], s[40:41], exec
	s_and_b64 s[40:41], s[42:43], exec
	s_or_b64 s[40:41], s[4:5], s[40:41]
	s_andn2_b64 s[4:5], s[26:27], exec
	s_and_b64 s[26:27], s[2:3], exec
	s_or_b64 s[26:27], s[4:5], s[26:27]
	s_andn2_b64 exec, exec, s[24:25]
	s_cbranch_execz .LBB505_487
.LBB505_485:                            ; =>This Inner Loop Header: Depth=1
	global_load_dwordx2 v[40:41], v[24:25], off
	global_load_dwordx2 v[42:43], v[26:27], off
	s_andn2_b64 s[44:45], s[2:3], exec
	s_or_b64 s[28:29], s[28:29], exec
	s_waitcnt vmcnt(0)
	v_cmp_le_i64_e64 s[2:3], v[40:41], v[42:43]
	v_cmp_lt_i64_e32 vcc, v[40:41], v[42:43]
	s_and_b64 s[2:3], s[2:3], s[40:41]
	s_or_b64 s[42:43], vcc, s[2:3]
	s_and_b64 s[2:3], s[42:43], exec
	v_cmp_eq_u64_e64 s[4:5], v[40:41], v[42:43]
	s_or_b64 s[2:3], s[44:45], s[2:3]
	s_and_saveexec_b64 s[44:45], s[4:5]
	s_cbranch_execz .LBB505_484
; %bb.486:                              ;   in Loop: Header=BB505_485 Depth=1
	s_add_u32 s30, s30, -1
	s_addc_u32 s31, s31, -1
	s_cmp_eq_u64 s[30:31], 0
	s_cselect_b64 s[4:5], -1, 0
	s_andn2_b64 s[28:29], s[28:29], exec
	s_and_b64 s[4:5], s[4:5], exec
	v_lshl_add_u64 v[24:25], v[24:25], 0, 8
	v_lshl_add_u64 v[26:27], v[26:27], 0, 8
	s_andn2_b64 s[2:3], s[2:3], exec
	s_or_b64 s[28:29], s[28:29], s[4:5]
                                        ; implicit-def: $sgpr40_sgpr41
	s_branch .LBB505_484
.LBB505_487:
	s_or_b64 exec, exec, s[24:25]
	v_cndmask_b32_e64 v5, v5, v23, s[26:27]
	v_cndmask_b32_e64 v4, v4, v22, s[26:27]
.LBB505_488:
	v_mov_b64_e32 v[22:23], v[4:5]
.LBB505_489:
	s_or_b64 exec, exec, s[22:23]
	v_mov_b64_e32 v[4:5], v[22:23]
.LBB505_490:
	s_or_b64 exec, exec, s[12:13]
.LBB505_491:
	s_or_b64 exec, exec, s[10:11]
	; wave barrier
	ds_write_b128 v38, v[14:17]
	ds_write_b128 v38, v[10:13] offset:16
	ds_write_b128 v38, v[6:9] offset:32
	;; [unrolled: 1-line block ×3, first 2 shown]
	v_and_b32_e32 v38, 0x380, v37
	v_or_b32_e32 v22, 64, v38
	v_min_u32_e32 v26, v36, v22
	v_add_u32_e32 v22, 64, v26
	v_min_u32_e32 v27, v36, v22
	v_and_b32_e32 v22, 0x78, v37
	v_min_u32_e32 v39, v36, v22
	v_sub_u32_e32 v22, v26, v38
	v_sub_u32_e32 v23, v27, v26
	v_sub_u32_e64 v37, v39, v23 clamp
	v_min_u32_e32 v40, v39, v22
	v_lshl_add_u32 v36, v38, 3, v35
	v_cmp_lt_u32_e32 vcc, v37, v40
	; wave barrier
	s_and_saveexec_b64 s[10:11], vcc
	s_cbranch_execz .LBB505_501
; %bb.492:
	v_lshlrev_b32_e32 v22, 3, v26
	v_lshlrev_b32_e32 v23, 3, v39
	v_add3_u32 v41, v35, v22, v23
	s_lshl_b64 s[22:23], s[36:37], 3
	s_mov_b64 s[12:13], 0
	s_branch .LBB505_495
.LBB505_493:                            ;   in Loop: Header=BB505_495 Depth=1
	s_or_b64 exec, exec, s[26:27]
.LBB505_494:                            ;   in Loop: Header=BB505_495 Depth=1
	v_add_u32_e32 v22, 1, v42
	v_cndmask_b32_e64 v40, v40, v42, s[24:25]
	v_cndmask_b32_e64 v37, v22, v37, s[24:25]
	v_cmp_ge_u32_e32 vcc, v37, v40
	s_or_b64 s[12:13], vcc, s[12:13]
	s_andn2_b64 exec, exec, s[12:13]
	s_cbranch_execz .LBB505_500
.LBB505_495:                            ; =>This Loop Header: Depth=1
                                        ;     Child Loop BB505_498 Depth 2
	v_add_u32_e32 v22, v40, v37
	v_lshrrev_b32_e32 v42, 1, v22
	s_and_b64 vcc, exec, s[0:1]
	s_mov_b64 s[24:25], 0
	s_cbranch_vccnz .LBB505_494
; %bb.496:                              ;   in Loop: Header=BB505_495 Depth=1
	v_not_b32_e32 v22, v42
	v_lshl_add_u32 v22, v22, 3, v41
	ds_read_b64 v[22:23], v22
	v_lshl_add_u32 v43, v42, 3, v36
	ds_read_b64 v[44:45], v43
	v_mov_b64_e32 v[24:25], s[38:39]
	s_mov_b64 s[26:27], 0
	s_waitcnt lgkmcnt(1)
	v_mul_lo_u32 v43, s22, v23
	v_mul_lo_u32 v46, s23, v22
	v_mad_u64_u32 v[22:23], s[2:3], s22, v22, v[24:25]
	v_add3_u32 v23, v46, v23, v43
	s_waitcnt lgkmcnt(0)
	v_mul_lo_u32 v43, s22, v45
	v_mul_lo_u32 v45, s23, v44
	v_mad_u64_u32 v[24:25], s[2:3], s22, v44, v[24:25]
	v_add3_u32 v25, v45, v25, v43
	s_mov_b64 s[30:31], s[36:37]
                                        ; implicit-def: $sgpr24_sgpr25
                                        ; implicit-def: $sgpr28_sgpr29
                                        ; implicit-def: $sgpr2_sgpr3
                                        ; implicit-def: $sgpr40_sgpr41
	s_branch .LBB505_498
.LBB505_497:                            ;   in Loop: Header=BB505_498 Depth=2
	s_or_b64 exec, exec, s[44:45]
	s_and_b64 s[4:5], exec, s[28:29]
	s_or_b64 s[26:27], s[4:5], s[26:27]
	s_andn2_b64 s[4:5], s[40:41], exec
	s_and_b64 s[40:41], s[42:43], exec
	s_or_b64 s[40:41], s[4:5], s[40:41]
	s_andn2_b64 s[4:5], s[24:25], exec
	s_and_b64 s[24:25], s[2:3], exec
	s_or_b64 s[24:25], s[4:5], s[24:25]
	s_andn2_b64 exec, exec, s[26:27]
	s_cbranch_execz .LBB505_493
.LBB505_498:                            ;   Parent Loop BB505_495 Depth=1
                                        ; =>  This Inner Loop Header: Depth=2
	global_load_dwordx2 v[44:45], v[22:23], off
	global_load_dwordx2 v[46:47], v[24:25], off
	s_andn2_b64 s[44:45], s[2:3], exec
	s_or_b64 s[28:29], s[28:29], exec
	s_waitcnt vmcnt(0)
	v_cmp_le_i64_e64 s[2:3], v[44:45], v[46:47]
	v_cmp_lt_i64_e32 vcc, v[44:45], v[46:47]
	s_and_b64 s[2:3], s[2:3], s[40:41]
	s_or_b64 s[42:43], vcc, s[2:3]
	s_and_b64 s[2:3], s[42:43], exec
	v_cmp_eq_u64_e64 s[4:5], v[44:45], v[46:47]
	s_or_b64 s[2:3], s[44:45], s[2:3]
	s_and_saveexec_b64 s[44:45], s[4:5]
	s_cbranch_execz .LBB505_497
; %bb.499:                              ;   in Loop: Header=BB505_498 Depth=2
	s_add_u32 s30, s30, -1
	s_addc_u32 s31, s31, -1
	s_cmp_eq_u64 s[30:31], 0
	s_cselect_b64 s[4:5], -1, 0
	s_andn2_b64 s[28:29], s[28:29], exec
	s_and_b64 s[4:5], s[4:5], exec
	v_lshl_add_u64 v[22:23], v[22:23], 0, 8
	v_lshl_add_u64 v[24:25], v[24:25], 0, 8
	s_andn2_b64 s[2:3], s[2:3], exec
	s_or_b64 s[28:29], s[28:29], s[4:5]
                                        ; implicit-def: $sgpr40_sgpr41
	s_branch .LBB505_497
.LBB505_500:
	s_or_b64 exec, exec, s[12:13]
.LBB505_501:
	s_or_b64 exec, exec, s[10:11]
	v_add_u32_e32 v22, v26, v39
	v_add_u32_e32 v23, v37, v38
	v_sub_u32_e32 v24, v22, v37
	v_cmp_le_u32_e32 vcc, v23, v26
	v_cmp_le_u32_e64 s[2:3], v24, v27
	s_or_b64 s[2:3], vcc, s[2:3]
	s_and_saveexec_b64 s[10:11], s[2:3]
	s_cbranch_execz .LBB505_592
; %bb.502:
	v_cmp_ge_u32_e32 vcc, v23, v26
	v_cmp_lt_u32_e64 s[2:3], v23, v26
                                        ; implicit-def: $vgpr2_vgpr3
	s_and_saveexec_b64 s[4:5], s[2:3]
; %bb.503:
	v_lshl_add_u32 v2, v37, 3, v36
	ds_read_b64 v[2:3], v2
; %bb.504:
	s_or_b64 exec, exec, s[4:5]
	v_cmp_ge_u32_e64 s[12:13], v24, v27
	v_cmp_lt_u32_e64 s[2:3], v24, v27
                                        ; implicit-def: $vgpr4_vgpr5
	s_and_saveexec_b64 s[4:5], s[2:3]
; %bb.505:
	v_lshl_add_u32 v4, v24, 3, v35
	ds_read_b64 v[4:5], v4
; %bb.506:
	s_or_b64 exec, exec, s[4:5]
	s_nor_b64 s[2:3], vcc, s[12:13]
	s_and_saveexec_b64 s[22:23], s[2:3]
	s_cbranch_execz .LBB505_515
; %bb.507:
	s_and_b64 vcc, exec, s[0:1]
	s_cbranch_vccnz .LBB505_513
; %bb.508:
	s_waitcnt lgkmcnt(0)
	v_mul_lo_u32 v8, v5, s36
	v_mul_lo_u32 v9, v4, s37
	v_mad_u64_u32 v[6:7], s[2:3], v4, s36, 0
	v_add3_u32 v7, v7, v9, v8
	v_mul_lo_u32 v10, v3, s36
	v_mul_lo_u32 v11, v2, s37
	v_mad_u64_u32 v[8:9], s[2:3], v2, s36, 0
	v_add3_u32 v9, v9, v11, v10
	v_lshl_add_u64 v[6:7], v[6:7], 3, s[38:39]
	v_lshl_add_u64 v[8:9], v[8:9], 3, s[38:39]
	s_mov_b64 s[24:25], 0
	s_mov_b64 s[30:31], s[36:37]
                                        ; implicit-def: $sgpr26_sgpr27
                                        ; implicit-def: $sgpr28_sgpr29
                                        ; implicit-def: $sgpr2_sgpr3
                                        ; implicit-def: $sgpr40_sgpr41
	s_branch .LBB505_510
.LBB505_509:                            ;   in Loop: Header=BB505_510 Depth=1
	s_or_b64 exec, exec, s[44:45]
	s_and_b64 s[4:5], exec, s[28:29]
	s_or_b64 s[24:25], s[4:5], s[24:25]
	s_andn2_b64 s[4:5], s[40:41], exec
	s_and_b64 s[40:41], s[42:43], exec
	s_or_b64 s[40:41], s[4:5], s[40:41]
	s_andn2_b64 s[4:5], s[26:27], exec
	s_and_b64 s[26:27], s[2:3], exec
	s_or_b64 s[26:27], s[4:5], s[26:27]
	s_andn2_b64 exec, exec, s[24:25]
	s_cbranch_execz .LBB505_512
.LBB505_510:                            ; =>This Inner Loop Header: Depth=1
	global_load_dwordx2 v[10:11], v[6:7], off
	global_load_dwordx2 v[12:13], v[8:9], off
	s_andn2_b64 s[44:45], s[2:3], exec
	s_or_b64 s[28:29], s[28:29], exec
	s_waitcnt vmcnt(0)
	v_cmp_le_i64_e64 s[2:3], v[10:11], v[12:13]
	v_cmp_lt_i64_e32 vcc, v[10:11], v[12:13]
	s_and_b64 s[2:3], s[2:3], s[40:41]
	s_or_b64 s[42:43], vcc, s[2:3]
	s_and_b64 s[2:3], s[42:43], exec
	v_cmp_eq_u64_e64 s[4:5], v[10:11], v[12:13]
	s_or_b64 s[2:3], s[44:45], s[2:3]
	s_and_saveexec_b64 s[44:45], s[4:5]
	s_cbranch_execz .LBB505_509
; %bb.511:                              ;   in Loop: Header=BB505_510 Depth=1
	s_add_u32 s30, s30, -1
	s_addc_u32 s31, s31, -1
	s_cmp_eq_u64 s[30:31], 0
	s_cselect_b64 s[4:5], -1, 0
	s_andn2_b64 s[28:29], s[28:29], exec
	s_and_b64 s[4:5], s[4:5], exec
	v_lshl_add_u64 v[6:7], v[6:7], 0, 8
	v_lshl_add_u64 v[8:9], v[8:9], 0, 8
	s_andn2_b64 s[2:3], s[2:3], exec
	s_or_b64 s[28:29], s[28:29], s[4:5]
                                        ; implicit-def: $sgpr40_sgpr41
	s_branch .LBB505_509
.LBB505_512:
	s_or_b64 exec, exec, s[24:25]
	s_xor_b64 s[2:3], s[26:27], -1
	s_branch .LBB505_514
.LBB505_513:
	s_mov_b64 s[2:3], -1
.LBB505_514:
	s_andn2_b64 s[4:5], s[12:13], exec
	s_and_b64 s[2:3], s[2:3], exec
	s_or_b64 s[12:13], s[4:5], s[2:3]
.LBB505_515:
	s_or_b64 exec, exec, s[22:23]
	v_cndmask_b32_e64 v6, v24, v23, s[12:13]
	v_cndmask_b32_e64 v7, v27, v26, s[12:13]
	v_add_u32_e32 v8, 1, v6
	v_add_u32_e32 v6, -1, v7
	v_min_u32_e32 v6, v8, v6
	v_lshl_add_u32 v6, v6, 3, v35
	ds_read_b64 v[6:7], v6
	v_cndmask_b32_e64 v12, v8, v24, s[12:13]
	v_cndmask_b32_e64 v13, v23, v8, s[12:13]
	v_cmp_lt_u32_e32 vcc, v12, v27
	s_mov_b64 s[24:25], -1
	s_waitcnt lgkmcnt(0)
	v_cndmask_b32_e64 v14, v7, v5, s[12:13]
	v_cndmask_b32_e64 v15, v6, v4, s[12:13]
	;; [unrolled: 1-line block ×4, first 2 shown]
	s_mov_b64 s[22:23], -1
	s_and_saveexec_b64 s[26:27], vcc
	s_cbranch_execz .LBB505_526
; %bb.516:
	v_cmp_lt_u32_e32 vcc, v13, v26
	s_mov_b64 s[2:3], 0
	s_and_saveexec_b64 s[22:23], vcc
	s_cbranch_execz .LBB505_525
; %bb.517:
	s_and_b64 vcc, exec, s[0:1]
	s_cbranch_vccnz .LBB505_523
; %bb.518:
	v_mul_lo_u32 v8, v14, s36
	v_mul_lo_u32 v9, v15, s37
	v_mad_u64_u32 v[6:7], s[2:3], v15, s36, 0
	v_add3_u32 v7, v7, v9, v8
	v_mul_lo_u32 v10, v16, s36
	v_mul_lo_u32 v11, v22, s37
	v_mad_u64_u32 v[8:9], s[2:3], v22, s36, 0
	v_add3_u32 v9, v9, v11, v10
	v_lshl_add_u64 v[6:7], v[6:7], 3, s[38:39]
	v_lshl_add_u64 v[8:9], v[8:9], 3, s[38:39]
	s_mov_b64 s[28:29], 0
	s_mov_b64 s[42:43], s[36:37]
                                        ; implicit-def: $sgpr30_sgpr31
                                        ; implicit-def: $sgpr40_sgpr41
                                        ; implicit-def: $sgpr2_sgpr3
                                        ; implicit-def: $sgpr44_sgpr45
	s_branch .LBB505_520
.LBB505_519:                            ;   in Loop: Header=BB505_520 Depth=1
	s_or_b64 exec, exec, s[48:49]
	s_and_b64 s[4:5], exec, s[40:41]
	s_or_b64 s[28:29], s[4:5], s[28:29]
	s_andn2_b64 s[4:5], s[44:45], exec
	s_and_b64 s[44:45], s[46:47], exec
	s_or_b64 s[44:45], s[4:5], s[44:45]
	s_andn2_b64 s[4:5], s[30:31], exec
	s_and_b64 s[30:31], s[2:3], exec
	s_or_b64 s[30:31], s[4:5], s[30:31]
	s_andn2_b64 exec, exec, s[28:29]
	s_cbranch_execz .LBB505_522
.LBB505_520:                            ; =>This Inner Loop Header: Depth=1
	global_load_dwordx2 v[10:11], v[6:7], off
	global_load_dwordx2 v[24:25], v[8:9], off
	s_andn2_b64 s[48:49], s[2:3], exec
	s_or_b64 s[40:41], s[40:41], exec
	s_waitcnt vmcnt(0)
	v_cmp_le_i64_e64 s[2:3], v[10:11], v[24:25]
	v_cmp_lt_i64_e32 vcc, v[10:11], v[24:25]
	s_and_b64 s[2:3], s[2:3], s[44:45]
	s_or_b64 s[46:47], vcc, s[2:3]
	s_and_b64 s[2:3], s[46:47], exec
	v_cmp_eq_u64_e64 s[4:5], v[10:11], v[24:25]
	s_or_b64 s[2:3], s[48:49], s[2:3]
	s_and_saveexec_b64 s[48:49], s[4:5]
	s_cbranch_execz .LBB505_519
; %bb.521:                              ;   in Loop: Header=BB505_520 Depth=1
	s_add_u32 s42, s42, -1
	s_addc_u32 s43, s43, -1
	s_cmp_eq_u64 s[42:43], 0
	s_cselect_b64 s[4:5], -1, 0
	s_andn2_b64 s[40:41], s[40:41], exec
	s_and_b64 s[4:5], s[4:5], exec
	v_lshl_add_u64 v[6:7], v[6:7], 0, 8
	v_lshl_add_u64 v[8:9], v[8:9], 0, 8
	s_andn2_b64 s[2:3], s[2:3], exec
	s_or_b64 s[40:41], s[40:41], s[4:5]
                                        ; implicit-def: $sgpr44_sgpr45
	s_branch .LBB505_519
.LBB505_522:
	s_or_b64 exec, exec, s[28:29]
	s_xor_b64 s[2:3], s[30:31], -1
	s_branch .LBB505_524
.LBB505_523:
	s_mov_b64 s[2:3], -1
.LBB505_524:
	s_and_b64 s[2:3], s[2:3], exec
.LBB505_525:
	s_or_b64 exec, exec, s[22:23]
	s_orn2_b64 s[22:23], s[2:3], exec
.LBB505_526:
	s_or_b64 exec, exec, s[26:27]
	v_cndmask_b32_e64 v6, v12, v13, s[22:23]
	v_cndmask_b32_e64 v7, v27, v26, s[22:23]
	v_add_u32_e32 v8, 1, v6
	v_add_u32_e32 v6, -1, v7
	v_min_u32_e32 v6, v8, v6
	v_lshl_add_u32 v6, v6, 3, v35
	ds_read_b64 v[6:7], v6
	v_cndmask_b32_e64 v36, v8, v12, s[22:23]
	v_cndmask_b32_e64 v37, v13, v8, s[22:23]
	v_cmp_lt_u32_e32 vcc, v36, v27
	s_waitcnt lgkmcnt(0)
	v_cndmask_b32_e64 v10, v7, v14, s[22:23]
	v_cndmask_b32_e64 v17, v6, v15, s[22:23]
	v_cndmask_b32_e64 v11, v16, v7, s[22:23]
	v_cndmask_b32_e64 v23, v22, v6, s[22:23]
	s_and_saveexec_b64 s[26:27], vcc
	s_cbranch_execz .LBB505_537
; %bb.527:
	v_cmp_lt_u32_e32 vcc, v37, v26
	s_mov_b64 s[2:3], 0
	s_and_saveexec_b64 s[24:25], vcc
	s_cbranch_execz .LBB505_536
; %bb.528:
	s_and_b64 vcc, exec, s[0:1]
	s_cbranch_vccnz .LBB505_534
; %bb.529:
	v_mul_lo_u32 v8, v10, s36
	v_mul_lo_u32 v9, v17, s37
	v_mad_u64_u32 v[6:7], s[2:3], v17, s36, 0
	v_add3_u32 v7, v7, v9, v8
	v_mul_lo_u32 v12, v11, s36
	v_mul_lo_u32 v13, v23, s37
	v_mad_u64_u32 v[8:9], s[2:3], v23, s36, 0
	v_add3_u32 v9, v9, v13, v12
	v_lshl_add_u64 v[6:7], v[6:7], 3, s[38:39]
	v_lshl_add_u64 v[8:9], v[8:9], 3, s[38:39]
	s_mov_b64 s[28:29], 0
	s_mov_b64 s[42:43], s[36:37]
                                        ; implicit-def: $sgpr30_sgpr31
                                        ; implicit-def: $sgpr40_sgpr41
                                        ; implicit-def: $sgpr2_sgpr3
                                        ; implicit-def: $sgpr44_sgpr45
	s_branch .LBB505_531
.LBB505_530:                            ;   in Loop: Header=BB505_531 Depth=1
	s_or_b64 exec, exec, s[48:49]
	s_and_b64 s[4:5], exec, s[40:41]
	s_or_b64 s[28:29], s[4:5], s[28:29]
	s_andn2_b64 s[4:5], s[44:45], exec
	s_and_b64 s[44:45], s[46:47], exec
	s_or_b64 s[44:45], s[4:5], s[44:45]
	s_andn2_b64 s[4:5], s[30:31], exec
	s_and_b64 s[30:31], s[2:3], exec
	s_or_b64 s[30:31], s[4:5], s[30:31]
	s_andn2_b64 exec, exec, s[28:29]
	s_cbranch_execz .LBB505_533
.LBB505_531:                            ; =>This Inner Loop Header: Depth=1
	global_load_dwordx2 v[12:13], v[6:7], off
	global_load_dwordx2 v[24:25], v[8:9], off
	s_andn2_b64 s[48:49], s[2:3], exec
	s_or_b64 s[40:41], s[40:41], exec
	s_waitcnt vmcnt(0)
	v_cmp_le_i64_e64 s[2:3], v[12:13], v[24:25]
	v_cmp_lt_i64_e32 vcc, v[12:13], v[24:25]
	s_and_b64 s[2:3], s[2:3], s[44:45]
	s_or_b64 s[46:47], vcc, s[2:3]
	s_and_b64 s[2:3], s[46:47], exec
	v_cmp_eq_u64_e64 s[4:5], v[12:13], v[24:25]
	s_or_b64 s[2:3], s[48:49], s[2:3]
	s_and_saveexec_b64 s[48:49], s[4:5]
	s_cbranch_execz .LBB505_530
; %bb.532:                              ;   in Loop: Header=BB505_531 Depth=1
	s_add_u32 s42, s42, -1
	s_addc_u32 s43, s43, -1
	s_cmp_eq_u64 s[42:43], 0
	s_cselect_b64 s[4:5], -1, 0
	s_andn2_b64 s[40:41], s[40:41], exec
	s_and_b64 s[4:5], s[4:5], exec
	v_lshl_add_u64 v[6:7], v[6:7], 0, 8
	v_lshl_add_u64 v[8:9], v[8:9], 0, 8
	s_andn2_b64 s[2:3], s[2:3], exec
	s_or_b64 s[40:41], s[40:41], s[4:5]
                                        ; implicit-def: $sgpr44_sgpr45
	s_branch .LBB505_530
.LBB505_533:
	s_or_b64 exec, exec, s[28:29]
	s_xor_b64 s[2:3], s[30:31], -1
	s_branch .LBB505_535
.LBB505_534:
	s_mov_b64 s[2:3], -1
.LBB505_535:
	s_and_b64 s[2:3], s[2:3], exec
.LBB505_536:
	s_or_b64 exec, exec, s[24:25]
	s_orn2_b64 s[24:25], s[2:3], exec
.LBB505_537:
	s_or_b64 exec, exec, s[26:27]
	v_cndmask_b32_e64 v6, v36, v37, s[24:25]
	v_cndmask_b32_e64 v7, v27, v26, s[24:25]
	v_add_u32_e32 v8, 1, v6
	v_add_u32_e32 v6, -1, v7
	v_min_u32_e32 v6, v8, v6
	v_lshl_add_u32 v6, v6, 3, v35
	ds_read_b64 v[6:7], v6
	v_cndmask_b32_e64 v40, v8, v36, s[24:25]
	v_cndmask_b32_e64 v41, v37, v8, s[24:25]
	v_cmp_lt_u32_e32 vcc, v40, v27
	s_mov_b64 s[28:29], -1
	s_waitcnt lgkmcnt(0)
	v_cndmask_b32_e64 v12, v7, v10, s[24:25]
	v_cndmask_b32_e64 v24, v6, v17, s[24:25]
	;; [unrolled: 1-line block ×4, first 2 shown]
	s_mov_b64 s[26:27], -1
	s_and_saveexec_b64 s[30:31], vcc
	s_cbranch_execz .LBB505_548
; %bb.538:
	v_cmp_lt_u32_e32 vcc, v41, v26
	s_mov_b64 s[2:3], 0
	s_and_saveexec_b64 s[26:27], vcc
	s_cbranch_execz .LBB505_547
; %bb.539:
	s_and_b64 vcc, exec, s[0:1]
	s_cbranch_vccnz .LBB505_545
; %bb.540:
	v_mul_lo_u32 v8, v12, s36
	v_mul_lo_u32 v9, v24, s37
	v_mad_u64_u32 v[6:7], s[2:3], v24, s36, 0
	v_add3_u32 v7, v7, v9, v8
	v_mul_lo_u32 v36, v13, s36
	v_mul_lo_u32 v37, v25, s37
	v_mad_u64_u32 v[8:9], s[2:3], v25, s36, 0
	v_add3_u32 v9, v9, v37, v36
	v_lshl_add_u64 v[6:7], v[6:7], 3, s[38:39]
	v_lshl_add_u64 v[8:9], v[8:9], 3, s[38:39]
	s_mov_b64 s[40:41], 0
	s_mov_b64 s[46:47], s[36:37]
                                        ; implicit-def: $sgpr42_sgpr43
                                        ; implicit-def: $sgpr44_sgpr45
                                        ; implicit-def: $sgpr2_sgpr3
                                        ; implicit-def: $sgpr48_sgpr49
	s_branch .LBB505_542
.LBB505_541:                            ;   in Loop: Header=BB505_542 Depth=1
	s_or_b64 exec, exec, s[52:53]
	s_and_b64 s[4:5], exec, s[44:45]
	s_or_b64 s[40:41], s[4:5], s[40:41]
	s_andn2_b64 s[4:5], s[48:49], exec
	s_and_b64 s[48:49], s[50:51], exec
	s_or_b64 s[48:49], s[4:5], s[48:49]
	s_andn2_b64 s[4:5], s[42:43], exec
	s_and_b64 s[42:43], s[2:3], exec
	s_or_b64 s[42:43], s[4:5], s[42:43]
	s_andn2_b64 exec, exec, s[40:41]
	s_cbranch_execz .LBB505_544
.LBB505_542:                            ; =>This Inner Loop Header: Depth=1
	global_load_dwordx2 v[36:37], v[6:7], off
	global_load_dwordx2 v[38:39], v[8:9], off
	s_andn2_b64 s[52:53], s[2:3], exec
	s_or_b64 s[44:45], s[44:45], exec
	s_waitcnt vmcnt(0)
	v_cmp_le_i64_e64 s[2:3], v[36:37], v[38:39]
	v_cmp_lt_i64_e32 vcc, v[36:37], v[38:39]
	s_and_b64 s[2:3], s[2:3], s[48:49]
	s_or_b64 s[50:51], vcc, s[2:3]
	s_and_b64 s[2:3], s[50:51], exec
	v_cmp_eq_u64_e64 s[4:5], v[36:37], v[38:39]
	s_or_b64 s[2:3], s[52:53], s[2:3]
	s_and_saveexec_b64 s[52:53], s[4:5]
	s_cbranch_execz .LBB505_541
; %bb.543:                              ;   in Loop: Header=BB505_542 Depth=1
	s_add_u32 s46, s46, -1
	s_addc_u32 s47, s47, -1
	s_cmp_eq_u64 s[46:47], 0
	s_cselect_b64 s[4:5], -1, 0
	s_andn2_b64 s[44:45], s[44:45], exec
	s_and_b64 s[4:5], s[4:5], exec
	v_lshl_add_u64 v[6:7], v[6:7], 0, 8
	v_lshl_add_u64 v[8:9], v[8:9], 0, 8
	s_andn2_b64 s[2:3], s[2:3], exec
	s_or_b64 s[44:45], s[44:45], s[4:5]
                                        ; implicit-def: $sgpr48_sgpr49
	s_branch .LBB505_541
.LBB505_544:
	s_or_b64 exec, exec, s[40:41]
	s_xor_b64 s[2:3], s[42:43], -1
	s_branch .LBB505_546
.LBB505_545:
	s_mov_b64 s[2:3], -1
.LBB505_546:
	s_and_b64 s[2:3], s[2:3], exec
.LBB505_547:
	s_or_b64 exec, exec, s[26:27]
	s_orn2_b64 s[26:27], s[2:3], exec
.LBB505_548:
	s_or_b64 exec, exec, s[30:31]
	v_cndmask_b32_e64 v6, v40, v41, s[26:27]
	v_cndmask_b32_e64 v7, v27, v26, s[26:27]
	v_add_u32_e32 v8, 1, v6
	v_add_u32_e32 v6, -1, v7
	v_min_u32_e32 v6, v8, v6
	v_lshl_add_u32 v6, v6, 3, v35
	ds_read_b64 v[6:7], v6
	v_cndmask_b32_e64 v44, v8, v40, s[26:27]
	v_cndmask_b32_e64 v45, v41, v8, s[26:27]
	v_cmp_lt_u32_e32 vcc, v44, v27
	s_waitcnt lgkmcnt(0)
	v_cndmask_b32_e64 v36, v7, v12, s[26:27]
	v_cndmask_b32_e64 v37, v6, v24, s[26:27]
	;; [unrolled: 1-line block ×4, first 2 shown]
	s_and_saveexec_b64 s[30:31], vcc
	s_cbranch_execz .LBB505_559
; %bb.549:
	v_cmp_lt_u32_e32 vcc, v45, v26
	s_mov_b64 s[2:3], 0
	s_and_saveexec_b64 s[28:29], vcc
	s_cbranch_execz .LBB505_558
; %bb.550:
	s_and_b64 vcc, exec, s[0:1]
	s_cbranch_vccnz .LBB505_556
; %bb.551:
	v_mul_lo_u32 v8, v36, s36
	v_mul_lo_u32 v9, v37, s37
	v_mad_u64_u32 v[6:7], s[2:3], v37, s36, 0
	v_add3_u32 v7, v7, v9, v8
	v_mul_lo_u32 v40, v38, s36
	v_mul_lo_u32 v41, v39, s37
	v_mad_u64_u32 v[8:9], s[2:3], v39, s36, 0
	v_add3_u32 v9, v9, v41, v40
	v_lshl_add_u64 v[6:7], v[6:7], 3, s[38:39]
	v_lshl_add_u64 v[8:9], v[8:9], 3, s[38:39]
	s_mov_b64 s[40:41], 0
	s_mov_b64 s[46:47], s[36:37]
                                        ; implicit-def: $sgpr42_sgpr43
                                        ; implicit-def: $sgpr44_sgpr45
                                        ; implicit-def: $sgpr2_sgpr3
                                        ; implicit-def: $sgpr48_sgpr49
	s_branch .LBB505_553
.LBB505_552:                            ;   in Loop: Header=BB505_553 Depth=1
	s_or_b64 exec, exec, s[52:53]
	s_and_b64 s[4:5], exec, s[44:45]
	s_or_b64 s[40:41], s[4:5], s[40:41]
	s_andn2_b64 s[4:5], s[48:49], exec
	s_and_b64 s[48:49], s[50:51], exec
	s_or_b64 s[48:49], s[4:5], s[48:49]
	s_andn2_b64 s[4:5], s[42:43], exec
	s_and_b64 s[42:43], s[2:3], exec
	s_or_b64 s[42:43], s[4:5], s[42:43]
	s_andn2_b64 exec, exec, s[40:41]
	s_cbranch_execz .LBB505_555
.LBB505_553:                            ; =>This Inner Loop Header: Depth=1
	global_load_dwordx2 v[40:41], v[6:7], off
	global_load_dwordx2 v[42:43], v[8:9], off
	s_andn2_b64 s[52:53], s[2:3], exec
	s_or_b64 s[44:45], s[44:45], exec
	s_waitcnt vmcnt(0)
	v_cmp_le_i64_e64 s[2:3], v[40:41], v[42:43]
	v_cmp_lt_i64_e32 vcc, v[40:41], v[42:43]
	s_and_b64 s[2:3], s[2:3], s[48:49]
	s_or_b64 s[50:51], vcc, s[2:3]
	s_and_b64 s[2:3], s[50:51], exec
	v_cmp_eq_u64_e64 s[4:5], v[40:41], v[42:43]
	s_or_b64 s[2:3], s[52:53], s[2:3]
	s_and_saveexec_b64 s[52:53], s[4:5]
	s_cbranch_execz .LBB505_552
; %bb.554:                              ;   in Loop: Header=BB505_553 Depth=1
	s_add_u32 s46, s46, -1
	s_addc_u32 s47, s47, -1
	s_cmp_eq_u64 s[46:47], 0
	s_cselect_b64 s[4:5], -1, 0
	s_andn2_b64 s[44:45], s[44:45], exec
	s_and_b64 s[4:5], s[4:5], exec
	v_lshl_add_u64 v[6:7], v[6:7], 0, 8
	v_lshl_add_u64 v[8:9], v[8:9], 0, 8
	s_andn2_b64 s[2:3], s[2:3], exec
	s_or_b64 s[44:45], s[44:45], s[4:5]
                                        ; implicit-def: $sgpr48_sgpr49
	s_branch .LBB505_552
.LBB505_555:
	s_or_b64 exec, exec, s[40:41]
	s_xor_b64 s[2:3], s[42:43], -1
	s_branch .LBB505_557
.LBB505_556:
	s_mov_b64 s[2:3], -1
.LBB505_557:
	s_and_b64 s[2:3], s[2:3], exec
.LBB505_558:
	s_or_b64 exec, exec, s[28:29]
	s_orn2_b64 s[28:29], s[2:3], exec
.LBB505_559:
	s_or_b64 exec, exec, s[30:31]
	v_cndmask_b32_e64 v6, v44, v45, s[28:29]
	v_cndmask_b32_e64 v7, v27, v26, s[28:29]
	v_add_u32_e32 v8, 1, v6
	v_add_u32_e32 v6, -1, v7
	v_min_u32_e32 v6, v8, v6
	v_lshl_add_u32 v6, v6, 3, v35
	ds_read_b64 v[6:7], v6
	v_cndmask_b32_e64 v46, v8, v44, s[28:29]
	v_cndmask_b32_e64 v50, v45, v8, s[28:29]
	v_cmp_lt_u32_e32 vcc, v46, v27
	s_mov_b64 s[30:31], -1
	s_waitcnt lgkmcnt(0)
	v_cndmask_b32_e64 v40, v7, v36, s[28:29]
	v_cndmask_b32_e64 v41, v6, v37, s[28:29]
	;; [unrolled: 1-line block ×4, first 2 shown]
	s_mov_b64 s[40:41], -1
	s_and_saveexec_b64 s[42:43], vcc
	s_cbranch_execz .LBB505_570
; %bb.560:
	v_cmp_lt_u32_e32 vcc, v50, v26
	s_mov_b64 s[2:3], 0
	s_and_saveexec_b64 s[40:41], vcc
	s_cbranch_execz .LBB505_569
; %bb.561:
	s_and_b64 vcc, exec, s[0:1]
	s_cbranch_vccnz .LBB505_567
; %bb.562:
	v_mul_lo_u32 v8, v40, s36
	v_mul_lo_u32 v9, v41, s37
	v_mad_u64_u32 v[6:7], s[2:3], v41, s36, 0
	v_add3_u32 v7, v7, v9, v8
	v_mul_lo_u32 v44, v42, s36
	v_mul_lo_u32 v45, v43, s37
	v_mad_u64_u32 v[8:9], s[2:3], v43, s36, 0
	v_add3_u32 v9, v9, v45, v44
	v_lshl_add_u64 v[6:7], v[6:7], 3, s[38:39]
	v_lshl_add_u64 v[8:9], v[8:9], 3, s[38:39]
	s_mov_b64 s[44:45], 0
	s_mov_b64 s[50:51], s[36:37]
                                        ; implicit-def: $sgpr46_sgpr47
                                        ; implicit-def: $sgpr48_sgpr49
                                        ; implicit-def: $sgpr2_sgpr3
                                        ; implicit-def: $sgpr52_sgpr53
	s_branch .LBB505_564
.LBB505_563:                            ;   in Loop: Header=BB505_564 Depth=1
	s_or_b64 exec, exec, s[56:57]
	s_and_b64 s[4:5], exec, s[48:49]
	s_or_b64 s[44:45], s[4:5], s[44:45]
	s_andn2_b64 s[4:5], s[52:53], exec
	s_and_b64 s[52:53], s[54:55], exec
	s_or_b64 s[52:53], s[4:5], s[52:53]
	s_andn2_b64 s[4:5], s[46:47], exec
	s_and_b64 s[46:47], s[2:3], exec
	s_or_b64 s[46:47], s[4:5], s[46:47]
	s_andn2_b64 exec, exec, s[44:45]
	s_cbranch_execz .LBB505_566
.LBB505_564:                            ; =>This Inner Loop Header: Depth=1
	global_load_dwordx2 v[44:45], v[6:7], off
	global_load_dwordx2 v[48:49], v[8:9], off
	s_andn2_b64 s[56:57], s[2:3], exec
	s_or_b64 s[48:49], s[48:49], exec
	s_waitcnt vmcnt(0)
	v_cmp_le_i64_e64 s[2:3], v[44:45], v[48:49]
	v_cmp_lt_i64_e32 vcc, v[44:45], v[48:49]
	s_and_b64 s[2:3], s[2:3], s[52:53]
	s_or_b64 s[54:55], vcc, s[2:3]
	s_and_b64 s[2:3], s[54:55], exec
	v_cmp_eq_u64_e64 s[4:5], v[44:45], v[48:49]
	s_or_b64 s[2:3], s[56:57], s[2:3]
	s_and_saveexec_b64 s[56:57], s[4:5]
	s_cbranch_execz .LBB505_563
; %bb.565:                              ;   in Loop: Header=BB505_564 Depth=1
	s_add_u32 s50, s50, -1
	s_addc_u32 s51, s51, -1
	s_cmp_eq_u64 s[50:51], 0
	s_cselect_b64 s[4:5], -1, 0
	s_andn2_b64 s[48:49], s[48:49], exec
	s_and_b64 s[4:5], s[4:5], exec
	v_lshl_add_u64 v[6:7], v[6:7], 0, 8
	v_lshl_add_u64 v[8:9], v[8:9], 0, 8
	s_andn2_b64 s[2:3], s[2:3], exec
	s_or_b64 s[48:49], s[48:49], s[4:5]
                                        ; implicit-def: $sgpr52_sgpr53
	s_branch .LBB505_563
.LBB505_566:
	s_or_b64 exec, exec, s[44:45]
	s_xor_b64 s[2:3], s[46:47], -1
	s_branch .LBB505_568
.LBB505_567:
	s_mov_b64 s[2:3], -1
.LBB505_568:
	s_and_b64 s[2:3], s[2:3], exec
.LBB505_569:
	s_or_b64 exec, exec, s[40:41]
	s_orn2_b64 s[40:41], s[2:3], exec
.LBB505_570:
	s_or_b64 exec, exec, s[42:43]
	v_cndmask_b32_e64 v6, v46, v50, s[40:41]
	v_cndmask_b32_e64 v7, v27, v26, s[40:41]
	v_add_u32_e32 v8, 1, v6
	v_add_u32_e32 v6, -1, v7
	v_min_u32_e32 v6, v8, v6
	v_lshl_add_u32 v6, v6, 3, v35
	ds_read_b64 v[6:7], v6
	v_cndmask_b32_e64 v47, v8, v46, s[40:41]
	v_cndmask_b32_e64 v46, v50, v8, s[40:41]
	v_cmp_lt_u32_e32 vcc, v47, v27
	s_waitcnt lgkmcnt(0)
	v_cndmask_b32_e64 v44, v7, v40, s[40:41]
	v_cndmask_b32_e64 v45, v6, v41, s[40:41]
	;; [unrolled: 1-line block ×4, first 2 shown]
	s_and_saveexec_b64 s[42:43], vcc
	s_cbranch_execz .LBB505_581
; %bb.571:
	v_cmp_lt_u32_e32 vcc, v46, v26
	s_mov_b64 s[2:3], 0
	s_and_saveexec_b64 s[30:31], vcc
	s_cbranch_execz .LBB505_580
; %bb.572:
	s_and_b64 vcc, exec, s[0:1]
	s_cbranch_vccnz .LBB505_578
; %bb.573:
	v_mul_lo_u32 v8, v44, s36
	v_mul_lo_u32 v9, v45, s37
	v_mad_u64_u32 v[6:7], s[2:3], v45, s36, 0
	v_add3_u32 v7, v7, v9, v8
	v_mul_lo_u32 v50, v48, s36
	v_mul_lo_u32 v51, v49, s37
	v_mad_u64_u32 v[8:9], s[2:3], v49, s36, 0
	v_add3_u32 v9, v9, v51, v50
	v_lshl_add_u64 v[6:7], v[6:7], 3, s[38:39]
	v_lshl_add_u64 v[8:9], v[8:9], 3, s[38:39]
	s_mov_b64 s[44:45], 0
	s_mov_b64 s[50:51], s[36:37]
                                        ; implicit-def: $sgpr46_sgpr47
                                        ; implicit-def: $sgpr48_sgpr49
                                        ; implicit-def: $sgpr2_sgpr3
                                        ; implicit-def: $sgpr52_sgpr53
	s_branch .LBB505_575
.LBB505_574:                            ;   in Loop: Header=BB505_575 Depth=1
	s_or_b64 exec, exec, s[56:57]
	s_and_b64 s[4:5], exec, s[48:49]
	s_or_b64 s[44:45], s[4:5], s[44:45]
	s_andn2_b64 s[4:5], s[52:53], exec
	s_and_b64 s[52:53], s[54:55], exec
	s_or_b64 s[52:53], s[4:5], s[52:53]
	s_andn2_b64 s[4:5], s[46:47], exec
	s_and_b64 s[46:47], s[2:3], exec
	s_or_b64 s[46:47], s[4:5], s[46:47]
	s_andn2_b64 exec, exec, s[44:45]
	s_cbranch_execz .LBB505_577
.LBB505_575:                            ; =>This Inner Loop Header: Depth=1
	global_load_dwordx2 v[50:51], v[6:7], off
	global_load_dwordx2 v[52:53], v[8:9], off
	s_andn2_b64 s[56:57], s[2:3], exec
	s_or_b64 s[48:49], s[48:49], exec
	s_waitcnt vmcnt(0)
	v_cmp_le_i64_e64 s[2:3], v[50:51], v[52:53]
	v_cmp_lt_i64_e32 vcc, v[50:51], v[52:53]
	s_and_b64 s[2:3], s[2:3], s[52:53]
	s_or_b64 s[54:55], vcc, s[2:3]
	s_and_b64 s[2:3], s[54:55], exec
	v_cmp_eq_u64_e64 s[4:5], v[50:51], v[52:53]
	s_or_b64 s[2:3], s[56:57], s[2:3]
	s_and_saveexec_b64 s[56:57], s[4:5]
	s_cbranch_execz .LBB505_574
; %bb.576:                              ;   in Loop: Header=BB505_575 Depth=1
	s_add_u32 s50, s50, -1
	s_addc_u32 s51, s51, -1
	s_cmp_eq_u64 s[50:51], 0
	s_cselect_b64 s[4:5], -1, 0
	s_andn2_b64 s[48:49], s[48:49], exec
	s_and_b64 s[4:5], s[4:5], exec
	v_lshl_add_u64 v[6:7], v[6:7], 0, 8
	v_lshl_add_u64 v[8:9], v[8:9], 0, 8
	s_andn2_b64 s[2:3], s[2:3], exec
	s_or_b64 s[48:49], s[48:49], s[4:5]
                                        ; implicit-def: $sgpr52_sgpr53
	s_branch .LBB505_574
.LBB505_577:
	s_or_b64 exec, exec, s[44:45]
	s_xor_b64 s[2:3], s[46:47], -1
	s_branch .LBB505_579
.LBB505_578:
	s_mov_b64 s[2:3], -1
.LBB505_579:
	s_and_b64 s[2:3], s[2:3], exec
.LBB505_580:
	s_or_b64 exec, exec, s[30:31]
	s_orn2_b64 s[30:31], s[2:3], exec
.LBB505_581:
	s_or_b64 exec, exec, s[42:43]
	v_cndmask_b32_e64 v11, v10, v11, s[24:25]
	v_cndmask_b32_e64 v10, v17, v23, s[24:25]
	;; [unrolled: 1-line block ×8, first 2 shown]
	v_add_u32_e32 v24, 1, v14
	v_add_u32_e32 v14, -1, v15
	v_min_u32_e32 v14, v24, v14
	v_lshl_add_u32 v14, v14, 3, v35
	ds_read_b64 v[22:23], v14
	v_cndmask_b32_e64 v25, v24, v47, s[30:31]
	v_cndmask_b32_e64 v9, v40, v42, s[40:41]
	;; [unrolled: 1-line block ×9, first 2 shown]
	s_waitcnt lgkmcnt(0)
	v_cndmask_b32_e64 v5, v48, v23, s[30:31]
	v_cndmask_b32_e64 v4, v49, v22, s[30:31]
	v_cmp_lt_u32_e32 vcc, v25, v27
	s_and_saveexec_b64 s[12:13], vcc
	s_cbranch_execz .LBB505_591
; %bb.582:
	v_cndmask_b32_e64 v24, v46, v24, s[30:31]
	v_cndmask_b32_e64 v23, v23, v44, s[30:31]
	;; [unrolled: 1-line block ×3, first 2 shown]
	v_cmp_lt_u32_e32 vcc, v24, v26
	s_and_saveexec_b64 s[22:23], vcc
	s_cbranch_execz .LBB505_590
; %bb.583:
	s_and_b64 vcc, exec, s[0:1]
	s_cbranch_vccnz .LBB505_589
; %bb.584:
	v_mul_lo_u32 v26, v23, s36
	v_mul_lo_u32 v27, v22, s37
	v_mad_u64_u32 v[24:25], s[2:3], v22, s36, 0
	v_add3_u32 v25, v25, v27, v26
	v_mul_lo_u32 v35, v5, s36
	v_mul_lo_u32 v36, v4, s37
	v_mad_u64_u32 v[26:27], s[2:3], v4, s36, 0
	v_add3_u32 v27, v27, v36, v35
	v_lshl_add_u64 v[24:25], v[24:25], 3, s[38:39]
	v_lshl_add_u64 v[26:27], v[26:27], 3, s[38:39]
	s_mov_b64 s[24:25], 0
	s_mov_b64 s[30:31], s[36:37]
                                        ; implicit-def: $sgpr26_sgpr27
                                        ; implicit-def: $sgpr28_sgpr29
                                        ; implicit-def: $sgpr2_sgpr3
                                        ; implicit-def: $sgpr40_sgpr41
	s_branch .LBB505_586
.LBB505_585:                            ;   in Loop: Header=BB505_586 Depth=1
	s_or_b64 exec, exec, s[44:45]
	s_and_b64 s[4:5], exec, s[28:29]
	s_or_b64 s[24:25], s[4:5], s[24:25]
	s_andn2_b64 s[4:5], s[40:41], exec
	s_and_b64 s[40:41], s[42:43], exec
	s_or_b64 s[40:41], s[4:5], s[40:41]
	s_andn2_b64 s[4:5], s[26:27], exec
	s_and_b64 s[26:27], s[2:3], exec
	s_or_b64 s[26:27], s[4:5], s[26:27]
	s_andn2_b64 exec, exec, s[24:25]
	s_cbranch_execz .LBB505_588
.LBB505_586:                            ; =>This Inner Loop Header: Depth=1
	global_load_dwordx2 v[36:37], v[24:25], off
	global_load_dwordx2 v[38:39], v[26:27], off
	s_andn2_b64 s[44:45], s[2:3], exec
	s_or_b64 s[28:29], s[28:29], exec
	s_waitcnt vmcnt(0)
	v_cmp_le_i64_e64 s[2:3], v[36:37], v[38:39]
	v_cmp_lt_i64_e32 vcc, v[36:37], v[38:39]
	s_and_b64 s[2:3], s[2:3], s[40:41]
	s_or_b64 s[42:43], vcc, s[2:3]
	s_and_b64 s[2:3], s[42:43], exec
	v_cmp_eq_u64_e64 s[4:5], v[36:37], v[38:39]
	s_or_b64 s[2:3], s[44:45], s[2:3]
	s_and_saveexec_b64 s[44:45], s[4:5]
	s_cbranch_execz .LBB505_585
; %bb.587:                              ;   in Loop: Header=BB505_586 Depth=1
	s_add_u32 s30, s30, -1
	s_addc_u32 s31, s31, -1
	s_cmp_eq_u64 s[30:31], 0
	s_cselect_b64 s[4:5], -1, 0
	s_andn2_b64 s[28:29], s[28:29], exec
	s_and_b64 s[4:5], s[4:5], exec
	v_lshl_add_u64 v[24:25], v[24:25], 0, 8
	v_lshl_add_u64 v[26:27], v[26:27], 0, 8
	s_andn2_b64 s[2:3], s[2:3], exec
	s_or_b64 s[28:29], s[28:29], s[4:5]
                                        ; implicit-def: $sgpr40_sgpr41
	s_branch .LBB505_585
.LBB505_588:
	s_or_b64 exec, exec, s[24:25]
	v_cndmask_b32_e64 v5, v5, v23, s[26:27]
	v_cndmask_b32_e64 v4, v4, v22, s[26:27]
.LBB505_589:
	v_mov_b64_e32 v[22:23], v[4:5]
.LBB505_590:
	s_or_b64 exec, exec, s[22:23]
	v_mov_b64_e32 v[4:5], v[22:23]
.LBB505_591:
	s_or_b64 exec, exec, s[12:13]
.LBB505_592:
	s_or_b64 exec, exec, s[10:11]
	v_lshlrev_b32_e32 v26, 3, v20
	s_lshl_b64 s[10:11], s[36:37], 3
	s_movk_i32 s9, 0x80
	; wave barrier
	s_waitcnt lgkmcnt(0)
	s_barrier
.LBB505_593:                            ; =>This Loop Header: Depth=1
                                        ;     Child Loop BB505_597 Depth 2
                                        ;       Child Loop BB505_600 Depth 3
                                        ;     Child Loop BB505_612 Depth 2
                                        ;     Child Loop BB505_622 Depth 2
	;; [unrolled: 1-line block ×8, first 2 shown]
	s_lshl_b32 s15, s9, 1
	s_sub_i32 s3, 0, s15
	v_and_b32_e32 v38, s3, v20
	v_add_u32_e32 v22, s9, v38
	v_min_u32_e32 v27, 0x800, v22
	s_add_i32 s2, s15, -1
	v_add_u32_e32 v22, s9, v27
	v_min_u32_e32 v35, 0x800, v22
	v_and_b32_e32 v22, s2, v20
	v_min_u32_e32 v39, 0x800, v22
	v_sub_u32_e32 v22, v27, v38
	v_sub_u32_e32 v23, v35, v27
	v_sub_u32_e64 v37, v39, v23 clamp
	v_min_u32_e32 v40, v39, v22
	v_lshlrev_b32_e32 v36, 3, v38
	v_cmp_lt_u32_e32 vcc, v37, v40
	ds_write_b128 v26, v[14:17]
	ds_write_b128 v26, v[10:13] offset:16
	ds_write_b128 v26, v[6:9] offset:32
	;; [unrolled: 1-line block ×3, first 2 shown]
	s_waitcnt lgkmcnt(0)
	s_barrier
	s_and_saveexec_b64 s[12:13], vcc
	s_cbranch_execz .LBB505_603
; %bb.594:                              ;   in Loop: Header=BB505_593 Depth=1
	v_lshlrev_b32_e32 v22, 3, v39
	v_lshl_add_u32 v41, v27, 3, v22
	s_mov_b64 s[22:23], 0
	s_branch .LBB505_597
.LBB505_595:                            ;   in Loop: Header=BB505_597 Depth=2
	s_or_b64 exec, exec, s[26:27]
.LBB505_596:                            ;   in Loop: Header=BB505_597 Depth=2
	v_add_u32_e32 v22, 1, v42
	v_cndmask_b32_e64 v40, v40, v42, s[24:25]
	v_cndmask_b32_e64 v37, v22, v37, s[24:25]
	v_cmp_ge_u32_e32 vcc, v37, v40
	s_or_b64 s[22:23], vcc, s[22:23]
	s_andn2_b64 exec, exec, s[22:23]
	s_cbranch_execz .LBB505_602
.LBB505_597:                            ;   Parent Loop BB505_593 Depth=1
                                        ; =>  This Loop Header: Depth=2
                                        ;       Child Loop BB505_600 Depth 3
	v_add_u32_e32 v22, v40, v37
	v_lshrrev_b32_e32 v42, 1, v22
	s_and_b64 vcc, exec, s[0:1]
	s_mov_b64 s[24:25], 0
	s_cbranch_vccnz .LBB505_596
; %bb.598:                              ;   in Loop: Header=BB505_597 Depth=2
	v_not_b32_e32 v22, v42
	v_lshl_add_u32 v22, v22, 3, v41
	ds_read_b64 v[22:23], v22
	v_lshl_add_u32 v43, v42, 3, v36
	ds_read_b64 v[44:45], v43
	v_mov_b64_e32 v[24:25], s[38:39]
	s_mov_b64 s[26:27], 0
	s_waitcnt lgkmcnt(1)
	v_mul_lo_u32 v43, s10, v23
	v_mul_lo_u32 v46, s11, v22
	v_mad_u64_u32 v[22:23], s[2:3], s10, v22, v[24:25]
	v_add3_u32 v23, v46, v23, v43
	s_waitcnt lgkmcnt(0)
	v_mul_lo_u32 v43, s10, v45
	v_mul_lo_u32 v45, s11, v44
	v_mad_u64_u32 v[24:25], s[2:3], s10, v44, v[24:25]
	v_add3_u32 v25, v45, v25, v43
	s_mov_b64 s[30:31], s[36:37]
                                        ; implicit-def: $sgpr24_sgpr25
                                        ; implicit-def: $sgpr28_sgpr29
                                        ; implicit-def: $sgpr2_sgpr3
                                        ; implicit-def: $sgpr40_sgpr41
	s_branch .LBB505_600
.LBB505_599:                            ;   in Loop: Header=BB505_600 Depth=3
	s_or_b64 exec, exec, s[44:45]
	s_and_b64 s[4:5], exec, s[28:29]
	s_or_b64 s[26:27], s[4:5], s[26:27]
	s_andn2_b64 s[4:5], s[40:41], exec
	s_and_b64 s[40:41], s[42:43], exec
	s_or_b64 s[40:41], s[4:5], s[40:41]
	s_andn2_b64 s[4:5], s[24:25], exec
	s_and_b64 s[24:25], s[2:3], exec
	s_or_b64 s[24:25], s[4:5], s[24:25]
	s_andn2_b64 exec, exec, s[26:27]
	s_cbranch_execz .LBB505_595
.LBB505_600:                            ;   Parent Loop BB505_593 Depth=1
                                        ;     Parent Loop BB505_597 Depth=2
                                        ; =>    This Inner Loop Header: Depth=3
	global_load_dwordx2 v[44:45], v[22:23], off
	global_load_dwordx2 v[46:47], v[24:25], off
	s_andn2_b64 s[44:45], s[2:3], exec
	s_or_b64 s[28:29], s[28:29], exec
	s_waitcnt vmcnt(0)
	v_cmp_le_i64_e64 s[2:3], v[44:45], v[46:47]
	v_cmp_lt_i64_e32 vcc, v[44:45], v[46:47]
	s_and_b64 s[2:3], s[2:3], s[40:41]
	s_or_b64 s[42:43], vcc, s[2:3]
	s_and_b64 s[2:3], s[42:43], exec
	v_cmp_eq_u64_e64 s[4:5], v[44:45], v[46:47]
	s_or_b64 s[2:3], s[44:45], s[2:3]
	s_and_saveexec_b64 s[44:45], s[4:5]
	s_cbranch_execz .LBB505_599
; %bb.601:                              ;   in Loop: Header=BB505_600 Depth=3
	s_add_u32 s30, s30, -1
	s_addc_u32 s31, s31, -1
	s_cmp_eq_u64 s[30:31], 0
	s_cselect_b64 s[4:5], -1, 0
	s_andn2_b64 s[28:29], s[28:29], exec
	s_and_b64 s[4:5], s[4:5], exec
	v_lshl_add_u64 v[22:23], v[22:23], 0, 8
	v_lshl_add_u64 v[24:25], v[24:25], 0, 8
	s_andn2_b64 s[2:3], s[2:3], exec
	s_or_b64 s[28:29], s[28:29], s[4:5]
                                        ; implicit-def: $sgpr40_sgpr41
	s_branch .LBB505_599
.LBB505_602:                            ;   in Loop: Header=BB505_593 Depth=1
	s_or_b64 exec, exec, s[22:23]
.LBB505_603:                            ;   in Loop: Header=BB505_593 Depth=1
	s_or_b64 exec, exec, s[12:13]
	v_sub_u32_e32 v22, v39, v37
	v_add_u32_e32 v24, v37, v38
	v_add_u32_e32 v25, v22, v27
	v_cmp_le_u32_e32 vcc, v24, v27
	v_cmp_le_u32_e64 s[2:3], v25, v35
	s_or_b64 s[2:3], vcc, s[2:3]
	s_and_saveexec_b64 s[12:13], s[2:3]
	s_cbranch_execz .LBB505_694
; %bb.604:                              ;   in Loop: Header=BB505_593 Depth=1
	v_cmp_ge_u32_e32 vcc, v24, v27
	v_cmp_lt_u32_e64 s[2:3], v24, v27
                                        ; implicit-def: $vgpr2_vgpr3
	s_and_saveexec_b64 s[4:5], s[2:3]
; %bb.605:                              ;   in Loop: Header=BB505_593 Depth=1
	v_lshl_add_u32 v2, v37, 3, v36
	ds_read_b64 v[2:3], v2
; %bb.606:                              ;   in Loop: Header=BB505_593 Depth=1
	s_or_b64 exec, exec, s[4:5]
	v_cmp_ge_u32_e64 s[22:23], v25, v35
	v_cmp_lt_u32_e64 s[2:3], v25, v35
                                        ; implicit-def: $vgpr14_vgpr15
	s_and_saveexec_b64 s[4:5], s[2:3]
; %bb.607:                              ;   in Loop: Header=BB505_593 Depth=1
	v_lshlrev_b32_e32 v4, 3, v25
	ds_read_b64 v[14:15], v4
; %bb.608:                              ;   in Loop: Header=BB505_593 Depth=1
	s_or_b64 exec, exec, s[4:5]
	s_nor_b64 s[2:3], vcc, s[22:23]
	s_and_saveexec_b64 s[24:25], s[2:3]
	s_cbranch_execz .LBB505_617
; %bb.609:                              ;   in Loop: Header=BB505_593 Depth=1
	s_and_b64 vcc, exec, s[0:1]
	s_cbranch_vccnz .LBB505_615
; %bb.610:                              ;   in Loop: Header=BB505_593 Depth=1
	v_mov_b64_e32 v[6:7], s[38:39]
	s_waitcnt lgkmcnt(0)
	v_mad_u64_u32 v[4:5], s[2:3], s10, v14, v[6:7]
	v_mul_lo_u32 v8, s10, v15
	v_mul_lo_u32 v9, s11, v14
	v_add3_u32 v5, v9, v5, v8
	v_mad_u64_u32 v[6:7], s[2:3], s10, v2, v[6:7]
	v_mul_lo_u32 v8, s10, v3
	v_mul_lo_u32 v9, s11, v2
	v_add3_u32 v7, v9, v7, v8
	s_mov_b64 s[26:27], 0
	s_mov_b64 s[40:41], s[36:37]
                                        ; implicit-def: $sgpr28_sgpr29
                                        ; implicit-def: $sgpr30_sgpr31
                                        ; implicit-def: $sgpr2_sgpr3
                                        ; implicit-def: $sgpr42_sgpr43
	s_branch .LBB505_612
.LBB505_611:                            ;   in Loop: Header=BB505_612 Depth=2
	s_or_b64 exec, exec, s[46:47]
	s_and_b64 s[4:5], exec, s[30:31]
	s_or_b64 s[26:27], s[4:5], s[26:27]
	s_andn2_b64 s[4:5], s[42:43], exec
	s_and_b64 s[42:43], s[44:45], exec
	s_or_b64 s[42:43], s[4:5], s[42:43]
	s_andn2_b64 s[4:5], s[28:29], exec
	s_and_b64 s[28:29], s[2:3], exec
	s_or_b64 s[28:29], s[4:5], s[28:29]
	s_andn2_b64 exec, exec, s[26:27]
	s_cbranch_execz .LBB505_614
.LBB505_612:                            ;   Parent Loop BB505_593 Depth=1
                                        ; =>  This Inner Loop Header: Depth=2
	global_load_dwordx2 v[8:9], v[4:5], off
	global_load_dwordx2 v[10:11], v[6:7], off
	s_andn2_b64 s[46:47], s[2:3], exec
	s_or_b64 s[30:31], s[30:31], exec
	s_waitcnt vmcnt(0)
	v_cmp_le_i64_e64 s[2:3], v[8:9], v[10:11]
	v_cmp_lt_i64_e32 vcc, v[8:9], v[10:11]
	s_and_b64 s[2:3], s[2:3], s[42:43]
	s_or_b64 s[44:45], vcc, s[2:3]
	s_and_b64 s[2:3], s[44:45], exec
	v_cmp_eq_u64_e64 s[4:5], v[8:9], v[10:11]
	s_or_b64 s[2:3], s[46:47], s[2:3]
	s_and_saveexec_b64 s[46:47], s[4:5]
	s_cbranch_execz .LBB505_611
; %bb.613:                              ;   in Loop: Header=BB505_612 Depth=2
	s_add_u32 s40, s40, -1
	s_addc_u32 s41, s41, -1
	s_cmp_eq_u64 s[40:41], 0
	s_cselect_b64 s[4:5], -1, 0
	s_andn2_b64 s[30:31], s[30:31], exec
	s_and_b64 s[4:5], s[4:5], exec
	v_lshl_add_u64 v[4:5], v[4:5], 0, 8
	v_lshl_add_u64 v[6:7], v[6:7], 0, 8
	s_andn2_b64 s[2:3], s[2:3], exec
	s_or_b64 s[30:31], s[30:31], s[4:5]
                                        ; implicit-def: $sgpr42_sgpr43
	s_branch .LBB505_611
.LBB505_614:                            ;   in Loop: Header=BB505_593 Depth=1
	s_or_b64 exec, exec, s[26:27]
	s_xor_b64 s[2:3], s[28:29], -1
	s_branch .LBB505_616
.LBB505_615:                            ;   in Loop: Header=BB505_593 Depth=1
	s_mov_b64 s[2:3], -1
.LBB505_616:                            ;   in Loop: Header=BB505_593 Depth=1
	s_andn2_b64 s[4:5], s[22:23], exec
	s_and_b64 s[2:3], s[2:3], exec
	s_or_b64 s[22:23], s[4:5], s[2:3]
.LBB505_617:                            ;   in Loop: Header=BB505_593 Depth=1
	s_or_b64 exec, exec, s[24:25]
	v_cndmask_b32_e64 v4, v25, v24, s[22:23]
	v_cndmask_b32_e64 v5, v35, v27, s[22:23]
	v_add_u32_e32 v6, 1, v4
	v_add_u32_e32 v4, -1, v5
	v_min_u32_e32 v4, v6, v4
	v_lshlrev_b32_e32 v4, 3, v4
	ds_read_b64 v[4:5], v4
	v_cndmask_b32_e64 v8, v6, v25, s[22:23]
	v_cndmask_b32_e64 v9, v24, v6, s[22:23]
	v_cmp_lt_u32_e32 vcc, v8, v35
	s_mov_b64 s[26:27], -1
	s_waitcnt lgkmcnt(0)
	v_cndmask_b32_e64 v16, v5, v15, s[22:23]
	v_cndmask_b32_e64 v22, v4, v14, s[22:23]
	;; [unrolled: 1-line block ×4, first 2 shown]
	s_mov_b64 s[24:25], -1
	s_and_saveexec_b64 s[28:29], vcc
	s_cbranch_execz .LBB505_628
; %bb.618:                              ;   in Loop: Header=BB505_593 Depth=1
	v_cmp_lt_u32_e32 vcc, v9, v27
	s_mov_b64 s[2:3], 0
	s_and_saveexec_b64 s[24:25], vcc
	s_cbranch_execz .LBB505_627
; %bb.619:                              ;   in Loop: Header=BB505_593 Depth=1
	s_and_b64 vcc, exec, s[0:1]
	s_cbranch_vccnz .LBB505_625
; %bb.620:                              ;   in Loop: Header=BB505_593 Depth=1
	v_mov_b64_e32 v[6:7], s[38:39]
	v_mad_u64_u32 v[4:5], s[2:3], s10, v22, v[6:7]
	v_mul_lo_u32 v10, s10, v16
	v_mul_lo_u32 v11, s11, v22
	v_add3_u32 v5, v11, v5, v10
	v_mad_u64_u32 v[6:7], s[2:3], s10, v23, v[6:7]
	v_mul_lo_u32 v10, s10, v17
	v_mul_lo_u32 v11, s11, v23
	v_add3_u32 v7, v11, v7, v10
	s_mov_b64 s[30:31], 0
	s_mov_b64 s[44:45], s[36:37]
                                        ; implicit-def: $sgpr40_sgpr41
                                        ; implicit-def: $sgpr42_sgpr43
                                        ; implicit-def: $sgpr2_sgpr3
                                        ; implicit-def: $sgpr46_sgpr47
	s_branch .LBB505_622
.LBB505_621:                            ;   in Loop: Header=BB505_622 Depth=2
	s_or_b64 exec, exec, s[50:51]
	s_and_b64 s[4:5], exec, s[42:43]
	s_or_b64 s[30:31], s[4:5], s[30:31]
	s_andn2_b64 s[4:5], s[46:47], exec
	s_and_b64 s[46:47], s[48:49], exec
	s_or_b64 s[46:47], s[4:5], s[46:47]
	s_andn2_b64 s[4:5], s[40:41], exec
	s_and_b64 s[40:41], s[2:3], exec
	s_or_b64 s[40:41], s[4:5], s[40:41]
	s_andn2_b64 exec, exec, s[30:31]
	s_cbranch_execz .LBB505_624
.LBB505_622:                            ;   Parent Loop BB505_593 Depth=1
                                        ; =>  This Inner Loop Header: Depth=2
	global_load_dwordx2 v[10:11], v[4:5], off
	global_load_dwordx2 v[12:13], v[6:7], off
	s_andn2_b64 s[50:51], s[2:3], exec
	s_or_b64 s[42:43], s[42:43], exec
	s_waitcnt vmcnt(0)
	v_cmp_le_i64_e64 s[2:3], v[10:11], v[12:13]
	v_cmp_lt_i64_e32 vcc, v[10:11], v[12:13]
	s_and_b64 s[2:3], s[2:3], s[46:47]
	s_or_b64 s[48:49], vcc, s[2:3]
	s_and_b64 s[2:3], s[48:49], exec
	v_cmp_eq_u64_e64 s[4:5], v[10:11], v[12:13]
	s_or_b64 s[2:3], s[50:51], s[2:3]
	s_and_saveexec_b64 s[50:51], s[4:5]
	s_cbranch_execz .LBB505_621
; %bb.623:                              ;   in Loop: Header=BB505_622 Depth=2
	s_add_u32 s44, s44, -1
	s_addc_u32 s45, s45, -1
	s_cmp_eq_u64 s[44:45], 0
	s_cselect_b64 s[4:5], -1, 0
	s_andn2_b64 s[42:43], s[42:43], exec
	s_and_b64 s[4:5], s[4:5], exec
	v_lshl_add_u64 v[4:5], v[4:5], 0, 8
	v_lshl_add_u64 v[6:7], v[6:7], 0, 8
	s_andn2_b64 s[2:3], s[2:3], exec
	s_or_b64 s[42:43], s[42:43], s[4:5]
                                        ; implicit-def: $sgpr46_sgpr47
	s_branch .LBB505_621
.LBB505_624:                            ;   in Loop: Header=BB505_593 Depth=1
	s_or_b64 exec, exec, s[30:31]
	s_xor_b64 s[2:3], s[40:41], -1
	s_branch .LBB505_626
.LBB505_625:                            ;   in Loop: Header=BB505_593 Depth=1
	s_mov_b64 s[2:3], -1
.LBB505_626:                            ;   in Loop: Header=BB505_593 Depth=1
	s_and_b64 s[2:3], s[2:3], exec
.LBB505_627:                            ;   in Loop: Header=BB505_593 Depth=1
	s_or_b64 exec, exec, s[24:25]
	s_orn2_b64 s[24:25], s[2:3], exec
.LBB505_628:                            ;   in Loop: Header=BB505_593 Depth=1
	s_or_b64 exec, exec, s[28:29]
	v_cndmask_b32_e64 v4, v8, v9, s[24:25]
	v_cndmask_b32_e64 v5, v35, v27, s[24:25]
	v_add_u32_e32 v6, 1, v4
	v_add_u32_e32 v4, -1, v5
	v_min_u32_e32 v4, v6, v4
	v_lshlrev_b32_e32 v4, 3, v4
	ds_read_b64 v[4:5], v4
	v_cndmask_b32_e64 v8, v6, v8, s[24:25]
	v_cndmask_b32_e64 v9, v9, v6, s[24:25]
	v_cmp_lt_u32_e32 vcc, v8, v35
	s_waitcnt lgkmcnt(0)
	v_cndmask_b32_e64 v24, v5, v16, s[24:25]
	v_cndmask_b32_e64 v25, v4, v22, s[24:25]
	;; [unrolled: 1-line block ×4, first 2 shown]
	s_and_saveexec_b64 s[28:29], vcc
	s_cbranch_execz .LBB505_639
; %bb.629:                              ;   in Loop: Header=BB505_593 Depth=1
	v_cmp_lt_u32_e32 vcc, v9, v27
	s_mov_b64 s[2:3], 0
	s_and_saveexec_b64 s[26:27], vcc
	s_cbranch_execz .LBB505_638
; %bb.630:                              ;   in Loop: Header=BB505_593 Depth=1
	s_and_b64 vcc, exec, s[0:1]
	s_cbranch_vccnz .LBB505_636
; %bb.631:                              ;   in Loop: Header=BB505_593 Depth=1
	v_mov_b64_e32 v[6:7], s[38:39]
	v_mad_u64_u32 v[4:5], s[2:3], s10, v25, v[6:7]
	v_mul_lo_u32 v10, s10, v24
	v_mul_lo_u32 v11, s11, v25
	v_add3_u32 v5, v11, v5, v10
	v_mad_u64_u32 v[6:7], s[2:3], s10, v37, v[6:7]
	v_mul_lo_u32 v10, s10, v36
	v_mul_lo_u32 v11, s11, v37
	v_add3_u32 v7, v11, v7, v10
	s_mov_b64 s[30:31], 0
	s_mov_b64 s[44:45], s[36:37]
                                        ; implicit-def: $sgpr40_sgpr41
                                        ; implicit-def: $sgpr42_sgpr43
                                        ; implicit-def: $sgpr2_sgpr3
                                        ; implicit-def: $sgpr46_sgpr47
	s_branch .LBB505_633
.LBB505_632:                            ;   in Loop: Header=BB505_633 Depth=2
	s_or_b64 exec, exec, s[50:51]
	s_and_b64 s[4:5], exec, s[42:43]
	s_or_b64 s[30:31], s[4:5], s[30:31]
	s_andn2_b64 s[4:5], s[46:47], exec
	s_and_b64 s[46:47], s[48:49], exec
	s_or_b64 s[46:47], s[4:5], s[46:47]
	s_andn2_b64 s[4:5], s[40:41], exec
	s_and_b64 s[40:41], s[2:3], exec
	s_or_b64 s[40:41], s[4:5], s[40:41]
	s_andn2_b64 exec, exec, s[30:31]
	s_cbranch_execz .LBB505_635
.LBB505_633:                            ;   Parent Loop BB505_593 Depth=1
                                        ; =>  This Inner Loop Header: Depth=2
	global_load_dwordx2 v[10:11], v[4:5], off
	global_load_dwordx2 v[12:13], v[6:7], off
	s_andn2_b64 s[50:51], s[2:3], exec
	s_or_b64 s[42:43], s[42:43], exec
	s_waitcnt vmcnt(0)
	v_cmp_le_i64_e64 s[2:3], v[10:11], v[12:13]
	v_cmp_lt_i64_e32 vcc, v[10:11], v[12:13]
	s_and_b64 s[2:3], s[2:3], s[46:47]
	s_or_b64 s[48:49], vcc, s[2:3]
	s_and_b64 s[2:3], s[48:49], exec
	v_cmp_eq_u64_e64 s[4:5], v[10:11], v[12:13]
	s_or_b64 s[2:3], s[50:51], s[2:3]
	s_and_saveexec_b64 s[50:51], s[4:5]
	s_cbranch_execz .LBB505_632
; %bb.634:                              ;   in Loop: Header=BB505_633 Depth=2
	s_add_u32 s44, s44, -1
	s_addc_u32 s45, s45, -1
	s_cmp_eq_u64 s[44:45], 0
	s_cselect_b64 s[4:5], -1, 0
	s_andn2_b64 s[42:43], s[42:43], exec
	s_and_b64 s[4:5], s[4:5], exec
	v_lshl_add_u64 v[4:5], v[4:5], 0, 8
	v_lshl_add_u64 v[6:7], v[6:7], 0, 8
	s_andn2_b64 s[2:3], s[2:3], exec
	s_or_b64 s[42:43], s[42:43], s[4:5]
                                        ; implicit-def: $sgpr46_sgpr47
	s_branch .LBB505_632
.LBB505_635:                            ;   in Loop: Header=BB505_593 Depth=1
	s_or_b64 exec, exec, s[30:31]
	s_xor_b64 s[2:3], s[40:41], -1
	s_branch .LBB505_637
.LBB505_636:                            ;   in Loop: Header=BB505_593 Depth=1
	s_mov_b64 s[2:3], -1
.LBB505_637:                            ;   in Loop: Header=BB505_593 Depth=1
	s_and_b64 s[2:3], s[2:3], exec
.LBB505_638:                            ;   in Loop: Header=BB505_593 Depth=1
	s_or_b64 exec, exec, s[26:27]
	s_orn2_b64 s[26:27], s[2:3], exec
.LBB505_639:                            ;   in Loop: Header=BB505_593 Depth=1
	s_or_b64 exec, exec, s[28:29]
	v_cndmask_b32_e64 v4, v8, v9, s[26:27]
	v_cndmask_b32_e64 v5, v35, v27, s[26:27]
	v_add_u32_e32 v6, 1, v4
	v_add_u32_e32 v4, -1, v5
	v_min_u32_e32 v4, v6, v4
	v_lshlrev_b32_e32 v4, 3, v4
	ds_read_b64 v[4:5], v4
	v_cndmask_b32_e64 v8, v6, v8, s[26:27]
	v_cndmask_b32_e64 v9, v9, v6, s[26:27]
	v_cmp_lt_u32_e32 vcc, v8, v35
	s_mov_b64 s[30:31], -1
	s_waitcnt lgkmcnt(0)
	v_cndmask_b32_e64 v12, v5, v24, s[26:27]
	v_cndmask_b32_e64 v38, v4, v25, s[26:27]
	;; [unrolled: 1-line block ×4, first 2 shown]
	s_mov_b64 s[28:29], -1
	s_and_saveexec_b64 s[40:41], vcc
	s_cbranch_execz .LBB505_650
; %bb.640:                              ;   in Loop: Header=BB505_593 Depth=1
	v_cmp_lt_u32_e32 vcc, v9, v27
	s_mov_b64 s[2:3], 0
	s_and_saveexec_b64 s[28:29], vcc
	s_cbranch_execz .LBB505_649
; %bb.641:                              ;   in Loop: Header=BB505_593 Depth=1
	s_and_b64 vcc, exec, s[0:1]
	s_cbranch_vccnz .LBB505_647
; %bb.642:                              ;   in Loop: Header=BB505_593 Depth=1
	v_mov_b64_e32 v[6:7], s[38:39]
	v_mad_u64_u32 v[4:5], s[2:3], s10, v38, v[6:7]
	v_mul_lo_u32 v10, s10, v12
	v_mul_lo_u32 v11, s11, v38
	v_add3_u32 v5, v11, v5, v10
	v_mad_u64_u32 v[6:7], s[2:3], s10, v39, v[6:7]
	v_mul_lo_u32 v10, s10, v13
	v_mul_lo_u32 v11, s11, v39
	v_add3_u32 v7, v11, v7, v10
	s_mov_b64 s[42:43], 0
	s_mov_b64 s[48:49], s[36:37]
                                        ; implicit-def: $sgpr44_sgpr45
                                        ; implicit-def: $sgpr46_sgpr47
                                        ; implicit-def: $sgpr2_sgpr3
                                        ; implicit-def: $sgpr50_sgpr51
	s_branch .LBB505_644
.LBB505_643:                            ;   in Loop: Header=BB505_644 Depth=2
	s_or_b64 exec, exec, s[54:55]
	s_and_b64 s[4:5], exec, s[46:47]
	s_or_b64 s[42:43], s[4:5], s[42:43]
	s_andn2_b64 s[4:5], s[50:51], exec
	s_and_b64 s[50:51], s[52:53], exec
	s_or_b64 s[50:51], s[4:5], s[50:51]
	s_andn2_b64 s[4:5], s[44:45], exec
	s_and_b64 s[44:45], s[2:3], exec
	s_or_b64 s[44:45], s[4:5], s[44:45]
	s_andn2_b64 exec, exec, s[42:43]
	s_cbranch_execz .LBB505_646
.LBB505_644:                            ;   Parent Loop BB505_593 Depth=1
                                        ; =>  This Inner Loop Header: Depth=2
	global_load_dwordx2 v[10:11], v[4:5], off
	global_load_dwordx2 v[40:41], v[6:7], off
	s_andn2_b64 s[54:55], s[2:3], exec
	s_or_b64 s[46:47], s[46:47], exec
	s_waitcnt vmcnt(0)
	v_cmp_le_i64_e64 s[2:3], v[10:11], v[40:41]
	v_cmp_lt_i64_e32 vcc, v[10:11], v[40:41]
	s_and_b64 s[2:3], s[2:3], s[50:51]
	s_or_b64 s[52:53], vcc, s[2:3]
	s_and_b64 s[2:3], s[52:53], exec
	v_cmp_eq_u64_e64 s[4:5], v[10:11], v[40:41]
	s_or_b64 s[2:3], s[54:55], s[2:3]
	s_and_saveexec_b64 s[54:55], s[4:5]
	s_cbranch_execz .LBB505_643
; %bb.645:                              ;   in Loop: Header=BB505_644 Depth=2
	s_add_u32 s48, s48, -1
	s_addc_u32 s49, s49, -1
	s_cmp_eq_u64 s[48:49], 0
	s_cselect_b64 s[4:5], -1, 0
	s_andn2_b64 s[46:47], s[46:47], exec
	s_and_b64 s[4:5], s[4:5], exec
	v_lshl_add_u64 v[4:5], v[4:5], 0, 8
	v_lshl_add_u64 v[6:7], v[6:7], 0, 8
	s_andn2_b64 s[2:3], s[2:3], exec
	s_or_b64 s[46:47], s[46:47], s[4:5]
                                        ; implicit-def: $sgpr50_sgpr51
	s_branch .LBB505_643
.LBB505_646:                            ;   in Loop: Header=BB505_593 Depth=1
	s_or_b64 exec, exec, s[42:43]
	s_xor_b64 s[2:3], s[44:45], -1
	s_branch .LBB505_648
.LBB505_647:                            ;   in Loop: Header=BB505_593 Depth=1
	s_mov_b64 s[2:3], -1
.LBB505_648:                            ;   in Loop: Header=BB505_593 Depth=1
	s_and_b64 s[2:3], s[2:3], exec
.LBB505_649:                            ;   in Loop: Header=BB505_593 Depth=1
	s_or_b64 exec, exec, s[28:29]
	s_orn2_b64 s[28:29], s[2:3], exec
.LBB505_650:                            ;   in Loop: Header=BB505_593 Depth=1
	s_or_b64 exec, exec, s[40:41]
	v_cndmask_b32_e64 v4, v8, v9, s[28:29]
	v_cndmask_b32_e64 v5, v35, v27, s[28:29]
	v_add_u32_e32 v6, 1, v4
	v_add_u32_e32 v4, -1, v5
	v_min_u32_e32 v4, v6, v4
	v_lshlrev_b32_e32 v4, 3, v4
	ds_read_b64 v[4:5], v4
	v_cndmask_b32_e64 v8, v6, v8, s[28:29]
	v_cndmask_b32_e64 v9, v9, v6, s[28:29]
	v_cmp_lt_u32_e32 vcc, v8, v35
	s_waitcnt lgkmcnt(0)
	v_cndmask_b32_e64 v40, v5, v12, s[28:29]
	v_cndmask_b32_e64 v41, v4, v38, s[28:29]
	;; [unrolled: 1-line block ×4, first 2 shown]
	s_and_saveexec_b64 s[40:41], vcc
	s_cbranch_execz .LBB505_661
; %bb.651:                              ;   in Loop: Header=BB505_593 Depth=1
	v_cmp_lt_u32_e32 vcc, v9, v27
	s_mov_b64 s[2:3], 0
	s_and_saveexec_b64 s[30:31], vcc
	s_cbranch_execz .LBB505_660
; %bb.652:                              ;   in Loop: Header=BB505_593 Depth=1
	s_and_b64 vcc, exec, s[0:1]
	s_cbranch_vccnz .LBB505_658
; %bb.653:                              ;   in Loop: Header=BB505_593 Depth=1
	v_mov_b64_e32 v[6:7], s[38:39]
	v_mad_u64_u32 v[4:5], s[2:3], s10, v41, v[6:7]
	v_mul_lo_u32 v10, s10, v40
	v_mul_lo_u32 v11, s11, v41
	v_add3_u32 v5, v11, v5, v10
	v_mad_u64_u32 v[6:7], s[2:3], s10, v43, v[6:7]
	v_mul_lo_u32 v10, s10, v42
	v_mul_lo_u32 v11, s11, v43
	v_add3_u32 v7, v11, v7, v10
	s_mov_b64 s[42:43], 0
	s_mov_b64 s[48:49], s[36:37]
                                        ; implicit-def: $sgpr44_sgpr45
                                        ; implicit-def: $sgpr46_sgpr47
                                        ; implicit-def: $sgpr2_sgpr3
                                        ; implicit-def: $sgpr50_sgpr51
	s_branch .LBB505_655
.LBB505_654:                            ;   in Loop: Header=BB505_655 Depth=2
	s_or_b64 exec, exec, s[54:55]
	s_and_b64 s[4:5], exec, s[46:47]
	s_or_b64 s[42:43], s[4:5], s[42:43]
	s_andn2_b64 s[4:5], s[50:51], exec
	s_and_b64 s[50:51], s[52:53], exec
	s_or_b64 s[50:51], s[4:5], s[50:51]
	s_andn2_b64 s[4:5], s[44:45], exec
	s_and_b64 s[44:45], s[2:3], exec
	s_or_b64 s[44:45], s[4:5], s[44:45]
	s_andn2_b64 exec, exec, s[42:43]
	s_cbranch_execz .LBB505_657
.LBB505_655:                            ;   Parent Loop BB505_593 Depth=1
                                        ; =>  This Inner Loop Header: Depth=2
	global_load_dwordx2 v[10:11], v[4:5], off
	global_load_dwordx2 v[44:45], v[6:7], off
	s_andn2_b64 s[54:55], s[2:3], exec
	s_or_b64 s[46:47], s[46:47], exec
	s_waitcnt vmcnt(0)
	v_cmp_le_i64_e64 s[2:3], v[10:11], v[44:45]
	v_cmp_lt_i64_e32 vcc, v[10:11], v[44:45]
	s_and_b64 s[2:3], s[2:3], s[50:51]
	s_or_b64 s[52:53], vcc, s[2:3]
	s_and_b64 s[2:3], s[52:53], exec
	v_cmp_eq_u64_e64 s[4:5], v[10:11], v[44:45]
	s_or_b64 s[2:3], s[54:55], s[2:3]
	s_and_saveexec_b64 s[54:55], s[4:5]
	s_cbranch_execz .LBB505_654
; %bb.656:                              ;   in Loop: Header=BB505_655 Depth=2
	s_add_u32 s48, s48, -1
	s_addc_u32 s49, s49, -1
	s_cmp_eq_u64 s[48:49], 0
	s_cselect_b64 s[4:5], -1, 0
	s_andn2_b64 s[46:47], s[46:47], exec
	s_and_b64 s[4:5], s[4:5], exec
	v_lshl_add_u64 v[4:5], v[4:5], 0, 8
	v_lshl_add_u64 v[6:7], v[6:7], 0, 8
	s_andn2_b64 s[2:3], s[2:3], exec
	s_or_b64 s[46:47], s[46:47], s[4:5]
                                        ; implicit-def: $sgpr50_sgpr51
	s_branch .LBB505_654
.LBB505_657:                            ;   in Loop: Header=BB505_593 Depth=1
	s_or_b64 exec, exec, s[42:43]
	s_xor_b64 s[2:3], s[44:45], -1
	s_branch .LBB505_659
.LBB505_658:                            ;   in Loop: Header=BB505_593 Depth=1
	s_mov_b64 s[2:3], -1
.LBB505_659:                            ;   in Loop: Header=BB505_593 Depth=1
	s_and_b64 s[2:3], s[2:3], exec
.LBB505_660:                            ;   in Loop: Header=BB505_593 Depth=1
	s_or_b64 exec, exec, s[30:31]
	s_orn2_b64 s[30:31], s[2:3], exec
.LBB505_661:                            ;   in Loop: Header=BB505_593 Depth=1
	s_or_b64 exec, exec, s[40:41]
	v_cndmask_b32_e64 v4, v8, v9, s[30:31]
	v_cndmask_b32_e64 v5, v35, v27, s[30:31]
	v_add_u32_e32 v6, 1, v4
	v_add_u32_e32 v4, -1, v5
	v_min_u32_e32 v4, v6, v4
	v_lshlrev_b32_e32 v4, 3, v4
	ds_read_b64 v[4:5], v4
	v_cndmask_b32_e64 v8, v6, v8, s[30:31]
	v_cndmask_b32_e64 v9, v9, v6, s[30:31]
	v_cmp_lt_u32_e32 vcc, v8, v35
	s_mov_b64 s[40:41], -1
	s_waitcnt lgkmcnt(0)
	v_cndmask_b32_e64 v44, v5, v40, s[30:31]
	v_cndmask_b32_e64 v45, v4, v41, s[30:31]
	;; [unrolled: 1-line block ×4, first 2 shown]
	s_mov_b64 s[42:43], -1
	s_and_saveexec_b64 s[44:45], vcc
	s_cbranch_execz .LBB505_672
; %bb.662:                              ;   in Loop: Header=BB505_593 Depth=1
	v_cmp_lt_u32_e32 vcc, v9, v27
	s_mov_b64 s[2:3], 0
	s_and_saveexec_b64 s[42:43], vcc
	s_cbranch_execz .LBB505_671
; %bb.663:                              ;   in Loop: Header=BB505_593 Depth=1
	s_and_b64 vcc, exec, s[0:1]
	s_cbranch_vccnz .LBB505_669
; %bb.664:                              ;   in Loop: Header=BB505_593 Depth=1
	v_mov_b64_e32 v[6:7], s[38:39]
	v_mad_u64_u32 v[4:5], s[2:3], s10, v45, v[6:7]
	v_mul_lo_u32 v10, s10, v44
	v_mul_lo_u32 v11, s11, v45
	v_add3_u32 v5, v11, v5, v10
	v_mad_u64_u32 v[6:7], s[2:3], s10, v47, v[6:7]
	v_mul_lo_u32 v10, s10, v46
	v_mul_lo_u32 v11, s11, v47
	v_add3_u32 v7, v11, v7, v10
	s_mov_b64 s[46:47], 0
	s_mov_b64 s[52:53], s[36:37]
                                        ; implicit-def: $sgpr48_sgpr49
                                        ; implicit-def: $sgpr50_sgpr51
                                        ; implicit-def: $sgpr2_sgpr3
                                        ; implicit-def: $sgpr54_sgpr55
	s_branch .LBB505_666
.LBB505_665:                            ;   in Loop: Header=BB505_666 Depth=2
	s_or_b64 exec, exec, s[58:59]
	s_and_b64 s[4:5], exec, s[50:51]
	s_or_b64 s[46:47], s[4:5], s[46:47]
	s_andn2_b64 s[4:5], s[54:55], exec
	s_and_b64 s[54:55], s[56:57], exec
	s_or_b64 s[54:55], s[4:5], s[54:55]
	s_andn2_b64 s[4:5], s[48:49], exec
	s_and_b64 s[48:49], s[2:3], exec
	s_or_b64 s[48:49], s[4:5], s[48:49]
	s_andn2_b64 exec, exec, s[46:47]
	s_cbranch_execz .LBB505_668
.LBB505_666:                            ;   Parent Loop BB505_593 Depth=1
                                        ; =>  This Inner Loop Header: Depth=2
	global_load_dwordx2 v[10:11], v[4:5], off
	global_load_dwordx2 v[48:49], v[6:7], off
	s_andn2_b64 s[58:59], s[2:3], exec
	s_or_b64 s[50:51], s[50:51], exec
	s_waitcnt vmcnt(0)
	v_cmp_le_i64_e64 s[2:3], v[10:11], v[48:49]
	v_cmp_lt_i64_e32 vcc, v[10:11], v[48:49]
	s_and_b64 s[2:3], s[2:3], s[54:55]
	s_or_b64 s[56:57], vcc, s[2:3]
	s_and_b64 s[2:3], s[56:57], exec
	v_cmp_eq_u64_e64 s[4:5], v[10:11], v[48:49]
	s_or_b64 s[2:3], s[58:59], s[2:3]
	s_and_saveexec_b64 s[58:59], s[4:5]
	s_cbranch_execz .LBB505_665
; %bb.667:                              ;   in Loop: Header=BB505_666 Depth=2
	s_add_u32 s52, s52, -1
	s_addc_u32 s53, s53, -1
	s_cmp_eq_u64 s[52:53], 0
	s_cselect_b64 s[4:5], -1, 0
	s_andn2_b64 s[50:51], s[50:51], exec
	s_and_b64 s[4:5], s[4:5], exec
	v_lshl_add_u64 v[4:5], v[4:5], 0, 8
	v_lshl_add_u64 v[6:7], v[6:7], 0, 8
	s_andn2_b64 s[2:3], s[2:3], exec
	s_or_b64 s[50:51], s[50:51], s[4:5]
                                        ; implicit-def: $sgpr54_sgpr55
	s_branch .LBB505_665
.LBB505_668:                            ;   in Loop: Header=BB505_593 Depth=1
	s_or_b64 exec, exec, s[46:47]
	s_xor_b64 s[2:3], s[48:49], -1
	s_branch .LBB505_670
.LBB505_669:                            ;   in Loop: Header=BB505_593 Depth=1
	s_mov_b64 s[2:3], -1
.LBB505_670:                            ;   in Loop: Header=BB505_593 Depth=1
	s_and_b64 s[2:3], s[2:3], exec
.LBB505_671:                            ;   in Loop: Header=BB505_593 Depth=1
	s_or_b64 exec, exec, s[42:43]
	s_orn2_b64 s[42:43], s[2:3], exec
.LBB505_672:                            ;   in Loop: Header=BB505_593 Depth=1
	s_or_b64 exec, exec, s[44:45]
	v_cndmask_b32_e64 v4, v8, v9, s[42:43]
	v_cndmask_b32_e64 v5, v35, v27, s[42:43]
	v_add_u32_e32 v6, 1, v4
	v_add_u32_e32 v4, -1, v5
	v_min_u32_e32 v4, v6, v4
	v_lshlrev_b32_e32 v4, 3, v4
	ds_read_b64 v[4:5], v4
	v_cndmask_b32_e64 v10, v6, v8, s[42:43]
	v_cndmask_b32_e64 v8, v9, v6, s[42:43]
	v_cmp_lt_u32_e32 vcc, v10, v35
	s_waitcnt lgkmcnt(0)
	v_cndmask_b32_e64 v48, v5, v44, s[42:43]
	v_cndmask_b32_e64 v49, v4, v45, s[42:43]
	;; [unrolled: 1-line block ×4, first 2 shown]
	s_and_saveexec_b64 s[44:45], vcc
	s_cbranch_execz .LBB505_683
; %bb.673:                              ;   in Loop: Header=BB505_593 Depth=1
	v_cmp_lt_u32_e32 vcc, v8, v27
	s_mov_b64 s[2:3], 0
	s_and_saveexec_b64 s[40:41], vcc
	s_cbranch_execz .LBB505_682
; %bb.674:                              ;   in Loop: Header=BB505_593 Depth=1
	s_and_b64 vcc, exec, s[0:1]
	s_cbranch_vccnz .LBB505_680
; %bb.675:                              ;   in Loop: Header=BB505_593 Depth=1
	v_mov_b64_e32 v[6:7], s[38:39]
	v_mad_u64_u32 v[4:5], s[2:3], s10, v49, v[6:7]
	v_mul_lo_u32 v9, s10, v48
	v_mul_lo_u32 v11, s11, v49
	v_add3_u32 v5, v11, v5, v9
	v_mad_u64_u32 v[6:7], s[2:3], s10, v51, v[6:7]
	v_mul_lo_u32 v9, s10, v50
	v_mul_lo_u32 v11, s11, v51
	v_add3_u32 v7, v11, v7, v9
	s_mov_b64 s[46:47], 0
	s_mov_b64 s[52:53], s[36:37]
                                        ; implicit-def: $sgpr48_sgpr49
                                        ; implicit-def: $sgpr50_sgpr51
                                        ; implicit-def: $sgpr2_sgpr3
                                        ; implicit-def: $sgpr54_sgpr55
	s_branch .LBB505_677
.LBB505_676:                            ;   in Loop: Header=BB505_677 Depth=2
	s_or_b64 exec, exec, s[58:59]
	s_and_b64 s[4:5], exec, s[50:51]
	s_or_b64 s[46:47], s[4:5], s[46:47]
	s_andn2_b64 s[4:5], s[54:55], exec
	s_and_b64 s[54:55], s[56:57], exec
	s_or_b64 s[54:55], s[4:5], s[54:55]
	s_andn2_b64 s[4:5], s[48:49], exec
	s_and_b64 s[48:49], s[2:3], exec
	s_or_b64 s[48:49], s[4:5], s[48:49]
	s_andn2_b64 exec, exec, s[46:47]
	s_cbranch_execz .LBB505_679
.LBB505_677:                            ;   Parent Loop BB505_593 Depth=1
                                        ; =>  This Inner Loop Header: Depth=2
	global_load_dwordx2 v[52:53], v[4:5], off
	global_load_dwordx2 v[54:55], v[6:7], off
	s_andn2_b64 s[58:59], s[2:3], exec
	s_or_b64 s[50:51], s[50:51], exec
	s_waitcnt vmcnt(0)
	v_cmp_le_i64_e64 s[2:3], v[52:53], v[54:55]
	v_cmp_lt_i64_e32 vcc, v[52:53], v[54:55]
	s_and_b64 s[2:3], s[2:3], s[54:55]
	s_or_b64 s[56:57], vcc, s[2:3]
	s_and_b64 s[2:3], s[56:57], exec
	v_cmp_eq_u64_e64 s[4:5], v[52:53], v[54:55]
	s_or_b64 s[2:3], s[58:59], s[2:3]
	s_and_saveexec_b64 s[58:59], s[4:5]
	s_cbranch_execz .LBB505_676
; %bb.678:                              ;   in Loop: Header=BB505_677 Depth=2
	s_add_u32 s52, s52, -1
	s_addc_u32 s53, s53, -1
	s_cmp_eq_u64 s[52:53], 0
	s_cselect_b64 s[4:5], -1, 0
	s_andn2_b64 s[50:51], s[50:51], exec
	s_and_b64 s[4:5], s[4:5], exec
	v_lshl_add_u64 v[4:5], v[4:5], 0, 8
	v_lshl_add_u64 v[6:7], v[6:7], 0, 8
	s_andn2_b64 s[2:3], s[2:3], exec
	s_or_b64 s[50:51], s[50:51], s[4:5]
                                        ; implicit-def: $sgpr54_sgpr55
	s_branch .LBB505_676
.LBB505_679:                            ;   in Loop: Header=BB505_593 Depth=1
	s_or_b64 exec, exec, s[46:47]
	s_xor_b64 s[2:3], s[48:49], -1
	s_branch .LBB505_681
.LBB505_680:                            ;   in Loop: Header=BB505_593 Depth=1
	s_mov_b64 s[2:3], -1
.LBB505_681:                            ;   in Loop: Header=BB505_593 Depth=1
	s_and_b64 s[2:3], s[2:3], exec
.LBB505_682:                            ;   in Loop: Header=BB505_593 Depth=1
	s_or_b64 exec, exec, s[40:41]
	s_orn2_b64 s[40:41], s[2:3], exec
.LBB505_683:                            ;   in Loop: Header=BB505_593 Depth=1
	s_or_b64 exec, exec, s[44:45]
	v_cndmask_b32_e64 v4, v10, v8, s[40:41]
	v_cndmask_b32_e64 v5, v35, v27, s[40:41]
	v_add_u32_e32 v9, 1, v4
	v_add_u32_e32 v4, -1, v5
	v_min_u32_e32 v4, v9, v4
	v_lshlrev_b32_e32 v4, 3, v4
	ds_read_b64 v[6:7], v4
	v_cndmask_b32_e64 v10, v9, v10, s[40:41]
	v_cmp_lt_u32_e32 vcc, v10, v35
	s_waitcnt lgkmcnt(0)
	v_cndmask_b32_e64 v5, v50, v7, s[40:41]
	v_cndmask_b32_e64 v4, v51, v6, s[40:41]
	s_and_saveexec_b64 s[44:45], vcc
	s_cbranch_execz .LBB505_693
; %bb.684:                              ;   in Loop: Header=BB505_593 Depth=1
	v_cndmask_b32_e64 v8, v8, v9, s[40:41]
	v_cndmask_b32_e64 v7, v7, v48, s[40:41]
	;; [unrolled: 1-line block ×3, first 2 shown]
	v_cmp_lt_u32_e32 vcc, v8, v27
	s_and_saveexec_b64 s[46:47], vcc
	s_cbranch_execz .LBB505_692
; %bb.685:                              ;   in Loop: Header=BB505_593 Depth=1
	s_and_b64 vcc, exec, s[0:1]
	s_cbranch_vccnz .LBB505_691
; %bb.686:                              ;   in Loop: Header=BB505_593 Depth=1
	v_mov_b64_e32 v[10:11], s[38:39]
	v_mad_u64_u32 v[8:9], s[2:3], s10, v6, v[10:11]
	v_mul_lo_u32 v27, s10, v7
	v_mul_lo_u32 v35, s11, v6
	v_add3_u32 v9, v35, v9, v27
	v_mad_u64_u32 v[10:11], s[2:3], s10, v4, v[10:11]
	v_mul_lo_u32 v27, s10, v5
	v_mul_lo_u32 v35, s11, v4
	v_add3_u32 v11, v35, v11, v27
	s_mov_b64 s[48:49], 0
	s_mov_b64 s[54:55], s[36:37]
                                        ; implicit-def: $sgpr50_sgpr51
                                        ; implicit-def: $sgpr52_sgpr53
                                        ; implicit-def: $sgpr2_sgpr3
                                        ; implicit-def: $sgpr56_sgpr57
	s_branch .LBB505_688
.LBB505_687:                            ;   in Loop: Header=BB505_688 Depth=2
	s_or_b64 exec, exec, s[60:61]
	s_and_b64 s[4:5], exec, s[52:53]
	s_or_b64 s[48:49], s[4:5], s[48:49]
	s_andn2_b64 s[4:5], s[56:57], exec
	s_and_b64 s[56:57], s[58:59], exec
	s_or_b64 s[56:57], s[4:5], s[56:57]
	s_andn2_b64 s[4:5], s[50:51], exec
	s_and_b64 s[50:51], s[2:3], exec
	s_or_b64 s[50:51], s[4:5], s[50:51]
	s_andn2_b64 exec, exec, s[48:49]
	s_cbranch_execz .LBB505_690
.LBB505_688:                            ;   Parent Loop BB505_593 Depth=1
                                        ; =>  This Inner Loop Header: Depth=2
	global_load_dwordx2 v[52:53], v[8:9], off
	global_load_dwordx2 v[54:55], v[10:11], off
	s_andn2_b64 s[60:61], s[2:3], exec
	s_or_b64 s[52:53], s[52:53], exec
	s_waitcnt vmcnt(0)
	v_cmp_le_i64_e64 s[2:3], v[52:53], v[54:55]
	v_cmp_lt_i64_e32 vcc, v[52:53], v[54:55]
	s_and_b64 s[2:3], s[2:3], s[56:57]
	s_or_b64 s[58:59], vcc, s[2:3]
	s_and_b64 s[2:3], s[58:59], exec
	v_cmp_eq_u64_e64 s[4:5], v[52:53], v[54:55]
	s_or_b64 s[2:3], s[60:61], s[2:3]
	s_and_saveexec_b64 s[60:61], s[4:5]
	s_cbranch_execz .LBB505_687
; %bb.689:                              ;   in Loop: Header=BB505_688 Depth=2
	s_add_u32 s54, s54, -1
	s_addc_u32 s55, s55, -1
	s_cmp_eq_u64 s[54:55], 0
	s_cselect_b64 s[4:5], -1, 0
	s_andn2_b64 s[52:53], s[52:53], exec
	s_and_b64 s[4:5], s[4:5], exec
	v_lshl_add_u64 v[8:9], v[8:9], 0, 8
	v_lshl_add_u64 v[10:11], v[10:11], 0, 8
	s_andn2_b64 s[2:3], s[2:3], exec
	s_or_b64 s[52:53], s[52:53], s[4:5]
                                        ; implicit-def: $sgpr56_sgpr57
	s_branch .LBB505_687
.LBB505_690:                            ;   in Loop: Header=BB505_593 Depth=1
	s_or_b64 exec, exec, s[48:49]
	v_cndmask_b32_e64 v5, v5, v7, s[50:51]
	v_cndmask_b32_e64 v4, v4, v6, s[50:51]
.LBB505_691:                            ;   in Loop: Header=BB505_593 Depth=1
	v_mov_b64_e32 v[6:7], v[4:5]
.LBB505_692:                            ;   in Loop: Header=BB505_593 Depth=1
	s_or_b64 exec, exec, s[46:47]
	v_mov_b64_e32 v[4:5], v[6:7]
.LBB505_693:                            ;   in Loop: Header=BB505_593 Depth=1
	s_or_b64 exec, exec, s[44:45]
	v_cndmask_b32_e64 v9, v44, v46, s[42:43]
	v_cndmask_b32_e64 v8, v45, v47, s[42:43]
	;; [unrolled: 1-line block ×14, first 2 shown]
.LBB505_694:                            ;   in Loop: Header=BB505_593 Depth=1
	s_or_b64 exec, exec, s[12:13]
	s_cmpk_lt_u32 s9, 0x400
	s_barrier
	s_cbranch_scc0 .LBB505_696
; %bb.695:                              ;   in Loop: Header=BB505_593 Depth=1
	s_mov_b32 s9, s15
	s_branch .LBB505_593
.LBB505_696:
	s_barrier
	ds_write2_b64 v34, v[14:15], v[16:17] offset1:1
	ds_write2_b64 v34, v[10:11], v[12:13] offset0:2 offset1:3
	ds_write2_b64 v34, v[6:7], v[8:9] offset0:4 offset1:5
	;; [unrolled: 1-line block ×3, first 2 shown]
	s_waitcnt lgkmcnt(0)
	s_barrier
	ds_read_b64 v[2:3], v1
	ds_read_b64 v[4:5], v21 offset:2048
	ds_read_b64 v[6:7], v28 offset:4096
	;; [unrolled: 1-line block ×7, first 2 shown]
	v_mov_b32_e32 v21, 0
	v_lshl_add_u64 v[22:23], s[34:35], 0, v[20:21]
	s_movk_i32 s0, 0x1000
	s_waitcnt lgkmcnt(7)
	global_store_dwordx2 v20, v[2:3], s[34:35]
	s_waitcnt lgkmcnt(6)
	global_store_dwordx2 v20, v[4:5], s[34:35] offset:2048
	v_add_co_u32_e32 v2, vcc, s0, v22
	s_nop 1
	v_addc_co_u32_e32 v3, vcc, 0, v23, vcc
	s_waitcnt lgkmcnt(5)
	global_store_dwordx2 v[2:3], v[6:7], off
	s_waitcnt lgkmcnt(4)
	global_store_dwordx2 v[2:3], v[8:9], off offset:2048
	v_add_co_u32_e32 v2, vcc, 0x2000, v22
	s_mov_b64 s[40:41], -1
	s_nop 0
	v_addc_co_u32_e32 v3, vcc, 0, v23, vcc
	s_waitcnt lgkmcnt(3)
	global_store_dwordx2 v[2:3], v[10:11], off
	s_waitcnt lgkmcnt(2)
	global_store_dwordx2 v[2:3], v[12:13], off offset:2048
	v_add_co_u32_e32 v2, vcc, 0x3000, v22
	s_nop 1
	v_addc_co_u32_e32 v3, vcc, 0, v23, vcc
	s_waitcnt lgkmcnt(1)
	global_store_dwordx2 v[2:3], v[16:17], off
	s_branch .LBB505_1482
.LBB505_697:
	s_lshl_b64 s[0:1], s[6:7], 11
	s_sub_i32 s33, s8, s0
	v_cmp_gt_u32_e64 s[0:1], s33, v18
	v_lshlrev_b32_e32 v20, 3, v18
                                        ; implicit-def: $vgpr8_vgpr9
	s_and_saveexec_b64 s[2:3], s[0:1]
	s_cbranch_execz .LBB505_699
; %bb.698:
	global_load_dwordx2 v[8:9], v20, s[20:21]
.LBB505_699:
	s_or_b64 exec, exec, s[2:3]
	v_add_u32_e32 v1, 0x100, v18
	v_cmp_gt_u32_e64 s[2:3], s33, v1
                                        ; implicit-def: $vgpr10_vgpr11
	s_and_saveexec_b64 s[4:5], s[2:3]
	s_cbranch_execz .LBB505_701
; %bb.700:
	global_load_dwordx2 v[10:11], v20, s[20:21] offset:2048
.LBB505_701:
	s_or_b64 exec, exec, s[4:5]
	v_add_u32_e32 v2, 0x200, v18
	v_cmp_gt_u32_e64 s[4:5], s33, v2
                                        ; implicit-def: $vgpr12_vgpr13
	s_and_saveexec_b64 s[6:7], s[4:5]
	s_cbranch_execz .LBB505_703
; %bb.702:
	v_lshlrev_b32_e32 v3, 3, v2
	global_load_dwordx2 v[12:13], v3, s[20:21]
.LBB505_703:
	s_or_b64 exec, exec, s[6:7]
	v_add_u32_e32 v3, 0x300, v18
	v_cmp_gt_u32_e64 s[6:7], s33, v3
                                        ; implicit-def: $vgpr14_vgpr15
	s_and_saveexec_b64 s[8:9], s[6:7]
	s_cbranch_execz .LBB505_705
; %bb.704:
	v_lshlrev_b32_e32 v4, 3, v3
	s_waitcnt lgkmcnt(0)
	global_load_dwordx2 v[14:15], v4, s[20:21]
.LBB505_705:
	s_or_b64 exec, exec, s[8:9]
	v_or_b32_e32 v4, 0x400, v18
	v_cmp_gt_u32_e64 s[8:9], s33, v4
                                        ; implicit-def: $vgpr16_vgpr17
	s_and_saveexec_b64 s[10:11], s[8:9]
	s_cbranch_execz .LBB505_707
; %bb.706:
	v_lshlrev_b32_e32 v5, 3, v4
	global_load_dwordx2 v[16:17], v5, s[20:21]
.LBB505_707:
	s_or_b64 exec, exec, s[10:11]
	v_add_u32_e32 v5, 0x500, v18
	v_cmp_gt_u32_e64 s[10:11], s33, v5
                                        ; implicit-def: $vgpr22_vgpr23
	s_and_saveexec_b64 s[12:13], s[10:11]
	s_cbranch_execz .LBB505_709
; %bb.708:
	v_lshlrev_b32_e32 v6, 3, v5
	global_load_dwordx2 v[22:23], v6, s[20:21]
.LBB505_709:
	s_or_b64 exec, exec, s[12:13]
	v_add_u32_e32 v6, 0x600, v18
	v_cmp_gt_u32_e64 s[12:13], s33, v6
                                        ; implicit-def: $vgpr24_vgpr25
	s_and_saveexec_b64 s[22:23], s[12:13]
	s_cbranch_execz .LBB505_711
; %bb.710:
	v_lshlrev_b32_e32 v7, 3, v6
	global_load_dwordx2 v[24:25], v7, s[20:21]
.LBB505_711:
	s_or_b64 exec, exec, s[22:23]
	v_add_u32_e32 v7, 0x700, v18
	v_cmp_gt_u32_e64 s[40:41], s33, v7
                                        ; implicit-def: $vgpr32_vgpr33
	s_and_saveexec_b64 s[22:23], s[40:41]
	s_cbranch_execz .LBB505_713
; %bb.712:
	v_lshlrev_b32_e32 v19, 3, v7
	global_load_dwordx2 v[32:33], v19, s[20:21]
.LBB505_713:
	s_or_b64 exec, exec, s[22:23]
	v_lshrrev_b32_e32 v1, 2, v1
	v_and_b32_e32 v1, 0x1f8, v1
	v_add_u32_e32 v21, v1, v20
	v_lshrrev_b32_e32 v1, 2, v2
	v_and_b32_e32 v1, 0x1f8, v1
	v_add_u32_e32 v26, v1, v20
	;; [unrolled: 3-line block ×6, first 2 shown]
	v_lshrrev_b32_e32 v1, 2, v7
	v_and_b32_e32 v1, 0x3f8, v1
	v_lshrrev_b32_e32 v19, 2, v18
	v_add_u32_e32 v31, v1, v20
	v_lshlrev_b32_e32 v1, 1, v18
	v_and_b32_e32 v19, 0xf8, v19
	v_and_b32_e32 v1, 0x7f8, v1
	v_add_u32_e32 v19, v19, v20
	s_waitcnt vmcnt(0)
	ds_write_b64 v31, v[32:33] offset:14336
	v_lshl_add_u32 v32, v18, 6, v1
	ds_write_b64 v19, v[8:9]
	ds_write_b64 v21, v[10:11] offset:2048
	ds_write_b64 v26, v[12:13] offset:4096
	s_waitcnt lgkmcnt(4)
	ds_write_b64 v27, v[14:15] offset:6144
	ds_write_b64 v28, v[16:17] offset:8192
	;; [unrolled: 1-line block ×4, first 2 shown]
	s_waitcnt lgkmcnt(0)
	s_barrier
	ds_read2_b64 v[14:17], v32 offset1:1
	ds_read2_b64 v[10:13], v32 offset0:2 offset1:3
	ds_read2_b64 v[6:9], v32 offset0:4 offset1:5
	;; [unrolled: 1-line block ×3, first 2 shown]
	s_waitcnt lgkmcnt(0)
	s_barrier
	s_load_dword s15, s[16:17], 0xc
	v_mov_b32_e32 v1, 0
	v_bfe_u32 v22, v0, 10, 10
	v_bfe_u32 v0, v0, 20, 10
	v_cmp_gt_i64_e64 s[42:43], s[36:37], 0
	s_waitcnt lgkmcnt(0)
	s_lshr_b32 s19, s15, 16
	s_cmp_lt_u32 s14, s18
	s_cselect_b32 s14, 12, 18
	s_add_u32 s14, s16, s14
	s_addc_u32 s15, s17, 0
	global_load_ushort v1, v1, s[14:15]
	v_mad_u32_u24 v0, v0, s19, v22
	s_waitcnt vmcnt(0)
	v_mul_lo_u32 v0, v0, v1
	v_add_lshl_u32 v24, v0, v18, 3
	v_sub_u32_e64 v25, s33, v24 clamp
	v_cmp_lt_u32_e64 s[14:15], 1, v25
	s_and_saveexec_b64 s[20:21], s[14:15]
	s_cbranch_execz .LBB505_722
; %bb.714:
	s_andn2_b64 vcc, exec, s[42:43]
	s_cbranch_vccnz .LBB505_722
; %bb.715:
	v_mul_lo_u32 v22, v17, s36
	v_mul_lo_u32 v23, v16, s37
	v_mad_u64_u32 v[0:1], s[16:17], v16, s36, 0
	v_add3_u32 v1, v1, v23, v22
	v_mul_lo_u32 v33, v15, s36
	v_mul_lo_u32 v34, v14, s37
	v_mad_u64_u32 v[22:23], s[16:17], v14, s36, 0
	v_add3_u32 v23, v23, v34, v33
	v_lshl_add_u64 v[0:1], v[0:1], 3, s[38:39]
	v_lshl_add_u64 v[22:23], v[22:23], 3, s[38:39]
	s_mov_b64 s[24:25], 0
	s_mov_b64 s[46:47], s[36:37]
                                        ; implicit-def: $sgpr22_sgpr23
                                        ; implicit-def: $sgpr26_sgpr27
                                        ; implicit-def: $sgpr30_sgpr31
                                        ; implicit-def: $sgpr28_sgpr29
                                        ; implicit-def: $sgpr44_sgpr45
	s_branch .LBB505_717
.LBB505_716:                            ;   in Loop: Header=BB505_717 Depth=1
	s_or_b64 exec, exec, s[48:49]
	s_and_b64 s[16:17], s[16:17], s[44:45]
	s_or_b64 s[16:17], vcc, s[16:17]
	s_and_b64 s[18:19], exec, s[30:31]
	s_or_b64 s[24:25], s[18:19], s[24:25]
	s_andn2_b64 s[18:19], s[44:45], exec
	s_and_b64 s[16:17], s[16:17], exec
	s_or_b64 s[44:45], s[18:19], s[16:17]
	s_andn2_b64 s[18:19], s[26:27], exec
	s_and_b64 s[26:27], s[28:29], exec
	s_or_b64 s[26:27], s[18:19], s[26:27]
	s_andn2_b64 s[18:19], s[22:23], exec
	s_or_b64 s[22:23], s[18:19], s[16:17]
	s_andn2_b64 exec, exec, s[24:25]
	s_cbranch_execz .LBB505_719
.LBB505_717:                            ; =>This Inner Loop Header: Depth=1
	global_load_dwordx2 v[34:35], v[0:1], off
	global_load_dwordx2 v[36:37], v[22:23], off
	s_or_b64 s[28:29], s[28:29], exec
	s_or_b64 s[30:31], s[30:31], exec
	s_waitcnt vmcnt(0)
	v_cmp_lt_i64_e32 vcc, v[34:35], v[36:37]
	v_cmp_le_i64_e64 s[16:17], v[34:35], v[36:37]
	v_cmp_eq_u64_e64 s[18:19], v[34:35], v[36:37]
	s_and_saveexec_b64 s[48:49], s[18:19]
	s_cbranch_execz .LBB505_716
; %bb.718:                              ;   in Loop: Header=BB505_717 Depth=1
	s_add_u32 s46, s46, -1
	s_addc_u32 s47, s47, -1
	s_cmp_eq_u64 s[46:47], 0
	s_cselect_b64 s[18:19], -1, 0
	s_andn2_b64 s[30:31], s[30:31], exec
	s_and_b64 s[18:19], s[18:19], exec
	v_lshl_add_u64 v[0:1], v[0:1], 0, 8
	v_lshl_add_u64 v[22:23], v[22:23], 0, 8
	s_andn2_b64 s[28:29], s[28:29], exec
	s_or_b64 s[30:31], s[30:31], s[18:19]
	s_branch .LBB505_716
.LBB505_719:
	s_or_b64 exec, exec, s[24:25]
	s_and_saveexec_b64 s[16:17], s[26:27]
	s_xor_b64 s[16:17], exec, s[16:17]
; %bb.720:
	v_cndmask_b32_e64 v1, v17, v15, s[22:23]
	v_cndmask_b32_e64 v0, v16, v14, s[22:23]
	;; [unrolled: 1-line block ×4, first 2 shown]
	v_mov_b64_e32 v[16:17], v[0:1]
; %bb.721:
	s_or_b64 exec, exec, s[16:17]
.LBB505_722:
	s_or_b64 exec, exec, s[20:21]
	v_cmp_lt_u32_e64 s[16:17], 3, v25
	s_and_saveexec_b64 s[22:23], s[16:17]
	s_cbranch_execz .LBB505_731
; %bb.723:
	s_andn2_b64 vcc, exec, s[42:43]
	s_cbranch_vccnz .LBB505_731
; %bb.724:
	v_mul_lo_u32 v22, v13, s36
	v_mul_lo_u32 v23, v12, s37
	v_mad_u64_u32 v[0:1], s[18:19], v12, s36, 0
	v_add3_u32 v1, v1, v23, v22
	v_mul_lo_u32 v33, v11, s36
	v_mul_lo_u32 v34, v10, s37
	v_mad_u64_u32 v[22:23], s[18:19], v10, s36, 0
	v_add3_u32 v23, v23, v34, v33
	v_lshl_add_u64 v[0:1], v[0:1], 3, s[38:39]
	v_lshl_add_u64 v[22:23], v[22:23], 3, s[38:39]
	s_mov_b64 s[26:27], 0
	s_mov_b64 s[48:49], s[36:37]
                                        ; implicit-def: $sgpr24_sgpr25
                                        ; implicit-def: $sgpr28_sgpr29
                                        ; implicit-def: $sgpr44_sgpr45
                                        ; implicit-def: $sgpr30_sgpr31
                                        ; implicit-def: $sgpr46_sgpr47
	s_branch .LBB505_726
.LBB505_725:                            ;   in Loop: Header=BB505_726 Depth=1
	s_or_b64 exec, exec, s[50:51]
	s_and_b64 s[18:19], s[18:19], s[46:47]
	s_or_b64 s[18:19], vcc, s[18:19]
	s_and_b64 s[20:21], exec, s[44:45]
	s_or_b64 s[26:27], s[20:21], s[26:27]
	s_andn2_b64 s[20:21], s[46:47], exec
	s_and_b64 s[18:19], s[18:19], exec
	s_or_b64 s[46:47], s[20:21], s[18:19]
	s_andn2_b64 s[20:21], s[28:29], exec
	s_and_b64 s[28:29], s[30:31], exec
	s_or_b64 s[28:29], s[20:21], s[28:29]
	s_andn2_b64 s[20:21], s[24:25], exec
	s_or_b64 s[24:25], s[20:21], s[18:19]
	s_andn2_b64 exec, exec, s[26:27]
	s_cbranch_execz .LBB505_728
.LBB505_726:                            ; =>This Inner Loop Header: Depth=1
	global_load_dwordx2 v[34:35], v[0:1], off
	global_load_dwordx2 v[36:37], v[22:23], off
	s_or_b64 s[30:31], s[30:31], exec
	s_or_b64 s[44:45], s[44:45], exec
	s_waitcnt vmcnt(0)
	v_cmp_lt_i64_e32 vcc, v[34:35], v[36:37]
	v_cmp_le_i64_e64 s[18:19], v[34:35], v[36:37]
	v_cmp_eq_u64_e64 s[20:21], v[34:35], v[36:37]
	s_and_saveexec_b64 s[50:51], s[20:21]
	s_cbranch_execz .LBB505_725
; %bb.727:                              ;   in Loop: Header=BB505_726 Depth=1
	s_add_u32 s48, s48, -1
	s_addc_u32 s49, s49, -1
	s_cmp_eq_u64 s[48:49], 0
	s_cselect_b64 s[20:21], -1, 0
	s_andn2_b64 s[44:45], s[44:45], exec
	s_and_b64 s[20:21], s[20:21], exec
	v_lshl_add_u64 v[0:1], v[0:1], 0, 8
	v_lshl_add_u64 v[22:23], v[22:23], 0, 8
	s_andn2_b64 s[30:31], s[30:31], exec
	s_or_b64 s[44:45], s[44:45], s[20:21]
	s_branch .LBB505_725
.LBB505_728:
	s_or_b64 exec, exec, s[26:27]
	s_and_saveexec_b64 s[18:19], s[28:29]
	s_xor_b64 s[18:19], exec, s[18:19]
; %bb.729:
	v_cndmask_b32_e64 v1, v11, v13, s[24:25]
	v_cndmask_b32_e64 v0, v10, v12, s[24:25]
	;; [unrolled: 1-line block ×4, first 2 shown]
	v_mov_b64_e32 v[10:11], v[0:1]
; %bb.730:
	s_or_b64 exec, exec, s[18:19]
.LBB505_731:
	s_or_b64 exec, exec, s[22:23]
	v_cmp_lt_u32_e64 s[18:19], 5, v25
	s_and_saveexec_b64 s[24:25], s[18:19]
	s_cbranch_execz .LBB505_740
; %bb.732:
	s_andn2_b64 vcc, exec, s[42:43]
	s_cbranch_vccnz .LBB505_740
; %bb.733:
	v_mul_lo_u32 v22, v9, s36
	v_mul_lo_u32 v23, v8, s37
	v_mad_u64_u32 v[0:1], s[20:21], v8, s36, 0
	v_add3_u32 v1, v1, v23, v22
	v_mul_lo_u32 v33, v7, s36
	v_mul_lo_u32 v34, v6, s37
	v_mad_u64_u32 v[22:23], s[20:21], v6, s36, 0
	v_add3_u32 v23, v23, v34, v33
	v_lshl_add_u64 v[0:1], v[0:1], 3, s[38:39]
	v_lshl_add_u64 v[22:23], v[22:23], 3, s[38:39]
	s_mov_b64 s[28:29], 0
	s_mov_b64 s[50:51], s[36:37]
                                        ; implicit-def: $sgpr26_sgpr27
                                        ; implicit-def: $sgpr30_sgpr31
                                        ; implicit-def: $sgpr46_sgpr47
                                        ; implicit-def: $sgpr44_sgpr45
                                        ; implicit-def: $sgpr48_sgpr49
	s_branch .LBB505_735
.LBB505_734:                            ;   in Loop: Header=BB505_735 Depth=1
	s_or_b64 exec, exec, s[52:53]
	s_and_b64 s[20:21], s[20:21], s[48:49]
	s_or_b64 s[20:21], vcc, s[20:21]
	s_and_b64 s[22:23], exec, s[46:47]
	s_or_b64 s[28:29], s[22:23], s[28:29]
	s_andn2_b64 s[22:23], s[48:49], exec
	s_and_b64 s[20:21], s[20:21], exec
	s_or_b64 s[48:49], s[22:23], s[20:21]
	s_andn2_b64 s[22:23], s[30:31], exec
	s_and_b64 s[30:31], s[44:45], exec
	s_or_b64 s[30:31], s[22:23], s[30:31]
	s_andn2_b64 s[22:23], s[26:27], exec
	s_or_b64 s[26:27], s[22:23], s[20:21]
	s_andn2_b64 exec, exec, s[28:29]
	s_cbranch_execz .LBB505_737
.LBB505_735:                            ; =>This Inner Loop Header: Depth=1
	global_load_dwordx2 v[34:35], v[0:1], off
	global_load_dwordx2 v[36:37], v[22:23], off
	s_or_b64 s[44:45], s[44:45], exec
	s_or_b64 s[46:47], s[46:47], exec
	s_waitcnt vmcnt(0)
	v_cmp_lt_i64_e32 vcc, v[34:35], v[36:37]
	v_cmp_le_i64_e64 s[20:21], v[34:35], v[36:37]
	v_cmp_eq_u64_e64 s[22:23], v[34:35], v[36:37]
	s_and_saveexec_b64 s[52:53], s[22:23]
	s_cbranch_execz .LBB505_734
; %bb.736:                              ;   in Loop: Header=BB505_735 Depth=1
	s_add_u32 s50, s50, -1
	s_addc_u32 s51, s51, -1
	s_cmp_eq_u64 s[50:51], 0
	s_cselect_b64 s[22:23], -1, 0
	s_andn2_b64 s[46:47], s[46:47], exec
	s_and_b64 s[22:23], s[22:23], exec
	v_lshl_add_u64 v[0:1], v[0:1], 0, 8
	v_lshl_add_u64 v[22:23], v[22:23], 0, 8
	s_andn2_b64 s[44:45], s[44:45], exec
	s_or_b64 s[46:47], s[46:47], s[22:23]
	s_branch .LBB505_734
.LBB505_737:
	s_or_b64 exec, exec, s[28:29]
	s_and_saveexec_b64 s[20:21], s[30:31]
	s_xor_b64 s[20:21], exec, s[20:21]
; %bb.738:
	v_cndmask_b32_e64 v1, v7, v9, s[26:27]
	v_cndmask_b32_e64 v0, v6, v8, s[26:27]
	;; [unrolled: 1-line block ×4, first 2 shown]
	v_mov_b64_e32 v[6:7], v[0:1]
; %bb.739:
	s_or_b64 exec, exec, s[20:21]
.LBB505_740:
	s_or_b64 exec, exec, s[24:25]
	v_cmp_lt_u32_e64 s[20:21], 7, v25
	s_and_saveexec_b64 s[26:27], s[20:21]
	s_cbranch_execz .LBB505_749
; %bb.741:
	s_andn2_b64 vcc, exec, s[42:43]
	s_cbranch_vccnz .LBB505_749
; %bb.742:
	v_mul_lo_u32 v22, v5, s36
	v_mul_lo_u32 v23, v4, s37
	v_mad_u64_u32 v[0:1], s[22:23], v4, s36, 0
	v_add3_u32 v1, v1, v23, v22
	v_mul_lo_u32 v33, v3, s36
	v_mul_lo_u32 v34, v2, s37
	v_mad_u64_u32 v[22:23], s[22:23], v2, s36, 0
	v_add3_u32 v23, v23, v34, v33
	v_lshl_add_u64 v[0:1], v[0:1], 3, s[38:39]
	v_lshl_add_u64 v[22:23], v[22:23], 3, s[38:39]
	s_mov_b64 s[30:31], 0
	s_mov_b64 s[52:53], s[36:37]
                                        ; implicit-def: $sgpr28_sgpr29
                                        ; implicit-def: $sgpr44_sgpr45
                                        ; implicit-def: $sgpr48_sgpr49
                                        ; implicit-def: $sgpr46_sgpr47
                                        ; implicit-def: $sgpr50_sgpr51
	s_branch .LBB505_744
.LBB505_743:                            ;   in Loop: Header=BB505_744 Depth=1
	s_or_b64 exec, exec, s[54:55]
	s_and_b64 s[22:23], s[22:23], s[50:51]
	s_or_b64 s[22:23], vcc, s[22:23]
	s_and_b64 s[24:25], exec, s[48:49]
	s_or_b64 s[30:31], s[24:25], s[30:31]
	s_andn2_b64 s[24:25], s[50:51], exec
	s_and_b64 s[22:23], s[22:23], exec
	s_or_b64 s[50:51], s[24:25], s[22:23]
	s_andn2_b64 s[24:25], s[44:45], exec
	s_and_b64 s[44:45], s[46:47], exec
	s_or_b64 s[44:45], s[24:25], s[44:45]
	s_andn2_b64 s[24:25], s[28:29], exec
	s_or_b64 s[28:29], s[24:25], s[22:23]
	s_andn2_b64 exec, exec, s[30:31]
	s_cbranch_execz .LBB505_746
.LBB505_744:                            ; =>This Inner Loop Header: Depth=1
	global_load_dwordx2 v[34:35], v[0:1], off
	global_load_dwordx2 v[36:37], v[22:23], off
	s_or_b64 s[46:47], s[46:47], exec
	s_or_b64 s[48:49], s[48:49], exec
	s_waitcnt vmcnt(0)
	v_cmp_lt_i64_e32 vcc, v[34:35], v[36:37]
	v_cmp_le_i64_e64 s[22:23], v[34:35], v[36:37]
	v_cmp_eq_u64_e64 s[24:25], v[34:35], v[36:37]
	s_and_saveexec_b64 s[54:55], s[24:25]
	s_cbranch_execz .LBB505_743
; %bb.745:                              ;   in Loop: Header=BB505_744 Depth=1
	s_add_u32 s52, s52, -1
	s_addc_u32 s53, s53, -1
	s_cmp_eq_u64 s[52:53], 0
	s_cselect_b64 s[24:25], -1, 0
	s_andn2_b64 s[48:49], s[48:49], exec
	s_and_b64 s[24:25], s[24:25], exec
	v_lshl_add_u64 v[0:1], v[0:1], 0, 8
	v_lshl_add_u64 v[22:23], v[22:23], 0, 8
	s_andn2_b64 s[46:47], s[46:47], exec
	s_or_b64 s[48:49], s[48:49], s[24:25]
	s_branch .LBB505_743
.LBB505_746:
	s_or_b64 exec, exec, s[30:31]
	s_and_saveexec_b64 s[22:23], s[44:45]
	s_xor_b64 s[22:23], exec, s[22:23]
; %bb.747:
	v_cndmask_b32_e64 v1, v3, v5, s[28:29]
	v_cndmask_b32_e64 v0, v2, v4, s[28:29]
	v_cndmask_b32_e64 v5, v5, v3, s[28:29]
	v_cndmask_b32_e64 v4, v4, v2, s[28:29]
	v_mov_b64_e32 v[2:3], v[0:1]
; %bb.748:
	s_or_b64 exec, exec, s[22:23]
.LBB505_749:
	s_or_b64 exec, exec, s[26:27]
	v_cmp_lt_u32_e64 s[22:23], 2, v25
	s_and_saveexec_b64 s[24:25], s[22:23]
	s_xor_b64 s[28:29], exec, s[24:25]
	s_cbranch_execz .LBB505_758
; %bb.750:
	s_andn2_b64 vcc, exec, s[42:43]
	s_cbranch_vccnz .LBB505_758
; %bb.751:
	v_mul_lo_u32 v22, v11, s36
	v_mul_lo_u32 v23, v10, s37
	v_mad_u64_u32 v[0:1], s[24:25], v10, s36, 0
	v_add3_u32 v1, v1, v23, v22
	v_mul_lo_u32 v33, v17, s36
	v_mul_lo_u32 v34, v16, s37
	v_mad_u64_u32 v[22:23], s[24:25], v16, s36, 0
	v_add3_u32 v23, v23, v34, v33
	v_lshl_add_u64 v[0:1], v[0:1], 3, s[38:39]
	v_lshl_add_u64 v[22:23], v[22:23], 3, s[38:39]
	s_mov_b64 s[44:45], 0
	s_mov_b64 s[54:55], s[36:37]
                                        ; implicit-def: $sgpr30_sgpr31
                                        ; implicit-def: $sgpr46_sgpr47
                                        ; implicit-def: $sgpr50_sgpr51
                                        ; implicit-def: $sgpr48_sgpr49
                                        ; implicit-def: $sgpr52_sgpr53
	s_branch .LBB505_753
.LBB505_752:                            ;   in Loop: Header=BB505_753 Depth=1
	s_or_b64 exec, exec, s[56:57]
	s_and_b64 s[24:25], s[24:25], s[52:53]
	s_or_b64 s[24:25], vcc, s[24:25]
	s_and_b64 s[26:27], exec, s[50:51]
	s_or_b64 s[44:45], s[26:27], s[44:45]
	s_andn2_b64 s[26:27], s[52:53], exec
	s_and_b64 s[24:25], s[24:25], exec
	s_or_b64 s[52:53], s[26:27], s[24:25]
	s_andn2_b64 s[26:27], s[46:47], exec
	s_and_b64 s[46:47], s[48:49], exec
	s_or_b64 s[46:47], s[26:27], s[46:47]
	s_andn2_b64 s[26:27], s[30:31], exec
	s_or_b64 s[30:31], s[26:27], s[24:25]
	s_andn2_b64 exec, exec, s[44:45]
	s_cbranch_execz .LBB505_755
.LBB505_753:                            ; =>This Inner Loop Header: Depth=1
	global_load_dwordx2 v[34:35], v[0:1], off
	global_load_dwordx2 v[36:37], v[22:23], off
	s_or_b64 s[48:49], s[48:49], exec
	s_or_b64 s[50:51], s[50:51], exec
	s_waitcnt vmcnt(0)
	v_cmp_lt_i64_e32 vcc, v[34:35], v[36:37]
	v_cmp_le_i64_e64 s[24:25], v[34:35], v[36:37]
	v_cmp_eq_u64_e64 s[26:27], v[34:35], v[36:37]
	s_and_saveexec_b64 s[56:57], s[26:27]
	s_cbranch_execz .LBB505_752
; %bb.754:                              ;   in Loop: Header=BB505_753 Depth=1
	s_add_u32 s54, s54, -1
	s_addc_u32 s55, s55, -1
	s_cmp_eq_u64 s[54:55], 0
	s_cselect_b64 s[26:27], -1, 0
	s_andn2_b64 s[50:51], s[50:51], exec
	s_and_b64 s[26:27], s[26:27], exec
	v_lshl_add_u64 v[0:1], v[0:1], 0, 8
	v_lshl_add_u64 v[22:23], v[22:23], 0, 8
	s_andn2_b64 s[48:49], s[48:49], exec
	s_or_b64 s[50:51], s[50:51], s[26:27]
	s_branch .LBB505_752
.LBB505_755:
	s_or_b64 exec, exec, s[44:45]
	s_and_saveexec_b64 s[24:25], s[46:47]
	s_xor_b64 s[24:25], exec, s[24:25]
; %bb.756:
	v_cndmask_b32_e64 v1, v17, v11, s[30:31]
	v_cndmask_b32_e64 v0, v16, v10, s[30:31]
	;; [unrolled: 1-line block ×4, first 2 shown]
	v_mov_b64_e32 v[16:17], v[0:1]
; %bb.757:
	s_or_b64 exec, exec, s[24:25]
.LBB505_758:
	s_or_b64 exec, exec, s[28:29]
	v_cmp_lt_u32_e64 s[24:25], 4, v25
	s_and_saveexec_b64 s[30:31], s[24:25]
	s_cbranch_execz .LBB505_767
; %bb.759:
	s_andn2_b64 vcc, exec, s[42:43]
	s_cbranch_vccnz .LBB505_767
; %bb.760:
	v_mul_lo_u32 v22, v7, s36
	v_mul_lo_u32 v23, v6, s37
	v_mad_u64_u32 v[0:1], s[26:27], v6, s36, 0
	v_add3_u32 v1, v1, v23, v22
	v_mul_lo_u32 v33, v13, s36
	v_mul_lo_u32 v34, v12, s37
	v_mad_u64_u32 v[22:23], s[26:27], v12, s36, 0
	v_add3_u32 v23, v23, v34, v33
	v_lshl_add_u64 v[0:1], v[0:1], 3, s[38:39]
	v_lshl_add_u64 v[22:23], v[22:23], 3, s[38:39]
	s_mov_b64 s[46:47], 0
	s_mov_b64 s[56:57], s[36:37]
                                        ; implicit-def: $sgpr44_sgpr45
                                        ; implicit-def: $sgpr48_sgpr49
                                        ; implicit-def: $sgpr52_sgpr53
                                        ; implicit-def: $sgpr50_sgpr51
                                        ; implicit-def: $sgpr54_sgpr55
	s_branch .LBB505_762
.LBB505_761:                            ;   in Loop: Header=BB505_762 Depth=1
	s_or_b64 exec, exec, s[58:59]
	s_and_b64 s[26:27], s[26:27], s[54:55]
	s_or_b64 s[26:27], vcc, s[26:27]
	s_and_b64 s[28:29], exec, s[52:53]
	s_or_b64 s[46:47], s[28:29], s[46:47]
	s_andn2_b64 s[28:29], s[54:55], exec
	s_and_b64 s[26:27], s[26:27], exec
	s_or_b64 s[54:55], s[28:29], s[26:27]
	s_andn2_b64 s[28:29], s[48:49], exec
	s_and_b64 s[48:49], s[50:51], exec
	s_or_b64 s[48:49], s[28:29], s[48:49]
	s_andn2_b64 s[28:29], s[44:45], exec
	s_or_b64 s[44:45], s[28:29], s[26:27]
	s_andn2_b64 exec, exec, s[46:47]
	s_cbranch_execz .LBB505_764
.LBB505_762:                            ; =>This Inner Loop Header: Depth=1
	global_load_dwordx2 v[34:35], v[0:1], off
	global_load_dwordx2 v[36:37], v[22:23], off
	s_or_b64 s[50:51], s[50:51], exec
	s_or_b64 s[52:53], s[52:53], exec
	s_waitcnt vmcnt(0)
	v_cmp_lt_i64_e32 vcc, v[34:35], v[36:37]
	v_cmp_le_i64_e64 s[26:27], v[34:35], v[36:37]
	v_cmp_eq_u64_e64 s[28:29], v[34:35], v[36:37]
	s_and_saveexec_b64 s[58:59], s[28:29]
	s_cbranch_execz .LBB505_761
; %bb.763:                              ;   in Loop: Header=BB505_762 Depth=1
	s_add_u32 s56, s56, -1
	s_addc_u32 s57, s57, -1
	s_cmp_eq_u64 s[56:57], 0
	s_cselect_b64 s[28:29], -1, 0
	s_andn2_b64 s[52:53], s[52:53], exec
	s_and_b64 s[28:29], s[28:29], exec
	v_lshl_add_u64 v[0:1], v[0:1], 0, 8
	v_lshl_add_u64 v[22:23], v[22:23], 0, 8
	s_andn2_b64 s[50:51], s[50:51], exec
	s_or_b64 s[52:53], s[52:53], s[28:29]
	s_branch .LBB505_761
.LBB505_764:
	s_or_b64 exec, exec, s[46:47]
	s_and_saveexec_b64 s[26:27], s[48:49]
	s_xor_b64 s[26:27], exec, s[26:27]
; %bb.765:
	v_cndmask_b32_e64 v1, v13, v7, s[44:45]
	v_cndmask_b32_e64 v0, v12, v6, s[44:45]
	;; [unrolled: 1-line block ×4, first 2 shown]
	v_mov_b64_e32 v[12:13], v[0:1]
; %bb.766:
	s_or_b64 exec, exec, s[26:27]
.LBB505_767:
	s_or_b64 exec, exec, s[30:31]
	v_cmp_lt_u32_e64 s[26:27], 6, v25
	s_and_saveexec_b64 s[44:45], s[26:27]
	s_cbranch_execz .LBB505_776
; %bb.768:
	s_andn2_b64 vcc, exec, s[42:43]
	s_cbranch_vccnz .LBB505_776
; %bb.769:
	v_mul_lo_u32 v22, v3, s36
	v_mul_lo_u32 v23, v2, s37
	v_mad_u64_u32 v[0:1], s[28:29], v2, s36, 0
	v_add3_u32 v1, v1, v23, v22
	v_mul_lo_u32 v25, v9, s36
	v_mul_lo_u32 v33, v8, s37
	v_mad_u64_u32 v[22:23], s[28:29], v8, s36, 0
	v_add3_u32 v23, v23, v33, v25
	v_lshl_add_u64 v[0:1], v[0:1], 3, s[38:39]
	v_lshl_add_u64 v[22:23], v[22:23], 3, s[38:39]
	s_mov_b64 s[48:49], 0
	s_mov_b64 s[58:59], s[36:37]
                                        ; implicit-def: $sgpr46_sgpr47
                                        ; implicit-def: $sgpr50_sgpr51
                                        ; implicit-def: $sgpr54_sgpr55
                                        ; implicit-def: $sgpr52_sgpr53
                                        ; implicit-def: $sgpr56_sgpr57
	s_branch .LBB505_771
.LBB505_770:                            ;   in Loop: Header=BB505_771 Depth=1
	s_or_b64 exec, exec, s[60:61]
	s_and_b64 s[28:29], s[28:29], s[56:57]
	s_or_b64 s[28:29], vcc, s[28:29]
	s_and_b64 s[30:31], exec, s[54:55]
	s_or_b64 s[48:49], s[30:31], s[48:49]
	s_andn2_b64 s[30:31], s[56:57], exec
	s_and_b64 s[28:29], s[28:29], exec
	s_or_b64 s[56:57], s[30:31], s[28:29]
	s_andn2_b64 s[30:31], s[50:51], exec
	s_and_b64 s[50:51], s[52:53], exec
	s_or_b64 s[50:51], s[30:31], s[50:51]
	s_andn2_b64 s[30:31], s[46:47], exec
	s_or_b64 s[46:47], s[30:31], s[28:29]
	s_andn2_b64 exec, exec, s[48:49]
	s_cbranch_execz .LBB505_773
.LBB505_771:                            ; =>This Inner Loop Header: Depth=1
	global_load_dwordx2 v[34:35], v[0:1], off
	global_load_dwordx2 v[36:37], v[22:23], off
	s_or_b64 s[52:53], s[52:53], exec
	s_or_b64 s[54:55], s[54:55], exec
	s_waitcnt vmcnt(0)
	v_cmp_lt_i64_e32 vcc, v[34:35], v[36:37]
	v_cmp_le_i64_e64 s[28:29], v[34:35], v[36:37]
	v_cmp_eq_u64_e64 s[30:31], v[34:35], v[36:37]
	s_and_saveexec_b64 s[60:61], s[30:31]
	s_cbranch_execz .LBB505_770
; %bb.772:                              ;   in Loop: Header=BB505_771 Depth=1
	s_add_u32 s58, s58, -1
	s_addc_u32 s59, s59, -1
	s_cmp_eq_u64 s[58:59], 0
	s_cselect_b64 s[30:31], -1, 0
	s_andn2_b64 s[54:55], s[54:55], exec
	s_and_b64 s[30:31], s[30:31], exec
	v_lshl_add_u64 v[0:1], v[0:1], 0, 8
	v_lshl_add_u64 v[22:23], v[22:23], 0, 8
	s_andn2_b64 s[52:53], s[52:53], exec
	s_or_b64 s[54:55], s[54:55], s[30:31]
	s_branch .LBB505_770
.LBB505_773:
	s_or_b64 exec, exec, s[48:49]
	s_and_saveexec_b64 s[28:29], s[50:51]
	s_xor_b64 s[28:29], exec, s[28:29]
; %bb.774:
	v_cndmask_b32_e64 v1, v9, v3, s[46:47]
	v_cndmask_b32_e64 v0, v8, v2, s[46:47]
	;; [unrolled: 1-line block ×4, first 2 shown]
	v_mov_b64_e32 v[8:9], v[0:1]
; %bb.775:
	s_or_b64 exec, exec, s[28:29]
.LBB505_776:
	s_or_b64 exec, exec, s[44:45]
	s_and_saveexec_b64 s[44:45], s[14:15]
	s_cbranch_execz .LBB505_785
; %bb.777:
	s_andn2_b64 vcc, exec, s[42:43]
	s_cbranch_vccnz .LBB505_785
; %bb.778:
	v_mul_lo_u32 v22, v17, s36
	v_mul_lo_u32 v23, v16, s37
	v_mad_u64_u32 v[0:1], s[28:29], v16, s36, 0
	v_add3_u32 v1, v1, v23, v22
	v_mul_lo_u32 v25, v15, s36
	v_mul_lo_u32 v33, v14, s37
	v_mad_u64_u32 v[22:23], s[28:29], v14, s36, 0
	v_add3_u32 v23, v23, v33, v25
	v_lshl_add_u64 v[0:1], v[0:1], 3, s[38:39]
	v_lshl_add_u64 v[22:23], v[22:23], 3, s[38:39]
	s_mov_b64 s[48:49], 0
	s_mov_b64 s[58:59], s[36:37]
                                        ; implicit-def: $sgpr46_sgpr47
                                        ; implicit-def: $sgpr50_sgpr51
                                        ; implicit-def: $sgpr54_sgpr55
                                        ; implicit-def: $sgpr52_sgpr53
                                        ; implicit-def: $sgpr56_sgpr57
	s_branch .LBB505_780
.LBB505_779:                            ;   in Loop: Header=BB505_780 Depth=1
	s_or_b64 exec, exec, s[60:61]
	s_and_b64 s[28:29], s[28:29], s[56:57]
	s_or_b64 s[28:29], vcc, s[28:29]
	s_and_b64 s[30:31], exec, s[54:55]
	s_or_b64 s[48:49], s[30:31], s[48:49]
	s_andn2_b64 s[30:31], s[56:57], exec
	s_and_b64 s[28:29], s[28:29], exec
	s_or_b64 s[56:57], s[30:31], s[28:29]
	s_andn2_b64 s[30:31], s[50:51], exec
	s_and_b64 s[50:51], s[52:53], exec
	s_or_b64 s[50:51], s[30:31], s[50:51]
	s_andn2_b64 s[30:31], s[46:47], exec
	s_or_b64 s[46:47], s[30:31], s[28:29]
	s_andn2_b64 exec, exec, s[48:49]
	s_cbranch_execz .LBB505_782
.LBB505_780:                            ; =>This Inner Loop Header: Depth=1
	global_load_dwordx2 v[34:35], v[0:1], off
	global_load_dwordx2 v[36:37], v[22:23], off
	s_or_b64 s[52:53], s[52:53], exec
	s_or_b64 s[54:55], s[54:55], exec
	s_waitcnt vmcnt(0)
	v_cmp_lt_i64_e32 vcc, v[34:35], v[36:37]
	v_cmp_le_i64_e64 s[28:29], v[34:35], v[36:37]
	v_cmp_eq_u64_e64 s[30:31], v[34:35], v[36:37]
	s_and_saveexec_b64 s[60:61], s[30:31]
	s_cbranch_execz .LBB505_779
; %bb.781:                              ;   in Loop: Header=BB505_780 Depth=1
	s_add_u32 s58, s58, -1
	s_addc_u32 s59, s59, -1
	s_cmp_eq_u64 s[58:59], 0
	s_cselect_b64 s[30:31], -1, 0
	s_andn2_b64 s[54:55], s[54:55], exec
	s_and_b64 s[30:31], s[30:31], exec
	v_lshl_add_u64 v[0:1], v[0:1], 0, 8
	v_lshl_add_u64 v[22:23], v[22:23], 0, 8
	s_andn2_b64 s[52:53], s[52:53], exec
	s_or_b64 s[54:55], s[54:55], s[30:31]
	s_branch .LBB505_779
.LBB505_782:
	s_or_b64 exec, exec, s[48:49]
	s_and_saveexec_b64 s[28:29], s[50:51]
	s_xor_b64 s[28:29], exec, s[28:29]
; %bb.783:
	v_cndmask_b32_e64 v1, v17, v15, s[46:47]
	v_cndmask_b32_e64 v0, v16, v14, s[46:47]
	;; [unrolled: 1-line block ×4, first 2 shown]
	v_mov_b64_e32 v[16:17], v[0:1]
; %bb.784:
	s_or_b64 exec, exec, s[28:29]
.LBB505_785:
	s_or_b64 exec, exec, s[44:45]
	s_and_saveexec_b64 s[44:45], s[16:17]
	s_cbranch_execz .LBB505_794
; %bb.786:
	s_andn2_b64 vcc, exec, s[42:43]
	s_cbranch_vccnz .LBB505_794
; %bb.787:
	v_mul_lo_u32 v22, v13, s36
	v_mul_lo_u32 v23, v12, s37
	v_mad_u64_u32 v[0:1], s[28:29], v12, s36, 0
	v_add3_u32 v1, v1, v23, v22
	v_mul_lo_u32 v25, v11, s36
	v_mul_lo_u32 v33, v10, s37
	v_mad_u64_u32 v[22:23], s[28:29], v10, s36, 0
	v_add3_u32 v23, v23, v33, v25
	v_lshl_add_u64 v[0:1], v[0:1], 3, s[38:39]
	v_lshl_add_u64 v[22:23], v[22:23], 3, s[38:39]
	s_mov_b64 s[48:49], 0
	s_mov_b64 s[58:59], s[36:37]
                                        ; implicit-def: $sgpr46_sgpr47
                                        ; implicit-def: $sgpr50_sgpr51
                                        ; implicit-def: $sgpr54_sgpr55
                                        ; implicit-def: $sgpr52_sgpr53
                                        ; implicit-def: $sgpr56_sgpr57
	s_branch .LBB505_789
.LBB505_788:                            ;   in Loop: Header=BB505_789 Depth=1
	s_or_b64 exec, exec, s[60:61]
	s_and_b64 s[28:29], s[28:29], s[56:57]
	s_or_b64 s[28:29], vcc, s[28:29]
	s_and_b64 s[30:31], exec, s[54:55]
	s_or_b64 s[48:49], s[30:31], s[48:49]
	s_andn2_b64 s[30:31], s[56:57], exec
	s_and_b64 s[28:29], s[28:29], exec
	s_or_b64 s[56:57], s[30:31], s[28:29]
	s_andn2_b64 s[30:31], s[50:51], exec
	s_and_b64 s[50:51], s[52:53], exec
	s_or_b64 s[50:51], s[30:31], s[50:51]
	s_andn2_b64 s[30:31], s[46:47], exec
	s_or_b64 s[46:47], s[30:31], s[28:29]
	s_andn2_b64 exec, exec, s[48:49]
	s_cbranch_execz .LBB505_791
.LBB505_789:                            ; =>This Inner Loop Header: Depth=1
	global_load_dwordx2 v[34:35], v[0:1], off
	global_load_dwordx2 v[36:37], v[22:23], off
	s_or_b64 s[52:53], s[52:53], exec
	s_or_b64 s[54:55], s[54:55], exec
	s_waitcnt vmcnt(0)
	v_cmp_lt_i64_e32 vcc, v[34:35], v[36:37]
	v_cmp_le_i64_e64 s[28:29], v[34:35], v[36:37]
	v_cmp_eq_u64_e64 s[30:31], v[34:35], v[36:37]
	s_and_saveexec_b64 s[60:61], s[30:31]
	s_cbranch_execz .LBB505_788
; %bb.790:                              ;   in Loop: Header=BB505_789 Depth=1
	s_add_u32 s58, s58, -1
	s_addc_u32 s59, s59, -1
	s_cmp_eq_u64 s[58:59], 0
	s_cselect_b64 s[30:31], -1, 0
	s_andn2_b64 s[54:55], s[54:55], exec
	s_and_b64 s[30:31], s[30:31], exec
	v_lshl_add_u64 v[0:1], v[0:1], 0, 8
	v_lshl_add_u64 v[22:23], v[22:23], 0, 8
	s_andn2_b64 s[52:53], s[52:53], exec
	s_or_b64 s[54:55], s[54:55], s[30:31]
	s_branch .LBB505_788
.LBB505_791:
	s_or_b64 exec, exec, s[48:49]
	s_and_saveexec_b64 s[28:29], s[50:51]
	s_xor_b64 s[28:29], exec, s[28:29]
; %bb.792:
	v_cndmask_b32_e64 v1, v11, v13, s[46:47]
	v_cndmask_b32_e64 v0, v10, v12, s[46:47]
	v_cndmask_b32_e64 v13, v13, v11, s[46:47]
	v_cndmask_b32_e64 v12, v12, v10, s[46:47]
	v_mov_b64_e32 v[10:11], v[0:1]
; %bb.793:
	s_or_b64 exec, exec, s[28:29]
.LBB505_794:
	s_or_b64 exec, exec, s[44:45]
	s_and_saveexec_b64 s[44:45], s[18:19]
	s_cbranch_execz .LBB505_803
; %bb.795:
	s_andn2_b64 vcc, exec, s[42:43]
	s_cbranch_vccnz .LBB505_803
; %bb.796:
	v_mul_lo_u32 v22, v9, s36
	v_mul_lo_u32 v23, v8, s37
	v_mad_u64_u32 v[0:1], s[28:29], v8, s36, 0
	v_add3_u32 v1, v1, v23, v22
	v_mul_lo_u32 v25, v7, s36
	v_mul_lo_u32 v33, v6, s37
	v_mad_u64_u32 v[22:23], s[28:29], v6, s36, 0
	v_add3_u32 v23, v23, v33, v25
	v_lshl_add_u64 v[0:1], v[0:1], 3, s[38:39]
	v_lshl_add_u64 v[22:23], v[22:23], 3, s[38:39]
	s_mov_b64 s[48:49], 0
	s_mov_b64 s[58:59], s[36:37]
                                        ; implicit-def: $sgpr46_sgpr47
                                        ; implicit-def: $sgpr50_sgpr51
                                        ; implicit-def: $sgpr54_sgpr55
                                        ; implicit-def: $sgpr52_sgpr53
                                        ; implicit-def: $sgpr56_sgpr57
	s_branch .LBB505_798
.LBB505_797:                            ;   in Loop: Header=BB505_798 Depth=1
	s_or_b64 exec, exec, s[60:61]
	s_and_b64 s[28:29], s[28:29], s[56:57]
	s_or_b64 s[28:29], vcc, s[28:29]
	s_and_b64 s[30:31], exec, s[54:55]
	s_or_b64 s[48:49], s[30:31], s[48:49]
	s_andn2_b64 s[30:31], s[56:57], exec
	s_and_b64 s[28:29], s[28:29], exec
	s_or_b64 s[56:57], s[30:31], s[28:29]
	s_andn2_b64 s[30:31], s[50:51], exec
	s_and_b64 s[50:51], s[52:53], exec
	s_or_b64 s[50:51], s[30:31], s[50:51]
	s_andn2_b64 s[30:31], s[46:47], exec
	s_or_b64 s[46:47], s[30:31], s[28:29]
	s_andn2_b64 exec, exec, s[48:49]
	s_cbranch_execz .LBB505_800
.LBB505_798:                            ; =>This Inner Loop Header: Depth=1
	global_load_dwordx2 v[34:35], v[0:1], off
	global_load_dwordx2 v[36:37], v[22:23], off
	s_or_b64 s[52:53], s[52:53], exec
	s_or_b64 s[54:55], s[54:55], exec
	s_waitcnt vmcnt(0)
	v_cmp_lt_i64_e32 vcc, v[34:35], v[36:37]
	v_cmp_le_i64_e64 s[28:29], v[34:35], v[36:37]
	v_cmp_eq_u64_e64 s[30:31], v[34:35], v[36:37]
	s_and_saveexec_b64 s[60:61], s[30:31]
	s_cbranch_execz .LBB505_797
; %bb.799:                              ;   in Loop: Header=BB505_798 Depth=1
	s_add_u32 s58, s58, -1
	s_addc_u32 s59, s59, -1
	s_cmp_eq_u64 s[58:59], 0
	s_cselect_b64 s[30:31], -1, 0
	s_andn2_b64 s[54:55], s[54:55], exec
	s_and_b64 s[30:31], s[30:31], exec
	v_lshl_add_u64 v[0:1], v[0:1], 0, 8
	v_lshl_add_u64 v[22:23], v[22:23], 0, 8
	s_andn2_b64 s[52:53], s[52:53], exec
	s_or_b64 s[54:55], s[54:55], s[30:31]
	s_branch .LBB505_797
.LBB505_800:
	s_or_b64 exec, exec, s[48:49]
	s_and_saveexec_b64 s[28:29], s[50:51]
	s_xor_b64 s[28:29], exec, s[28:29]
; %bb.801:
	v_cndmask_b32_e64 v1, v7, v9, s[46:47]
	v_cndmask_b32_e64 v0, v6, v8, s[46:47]
	;; [unrolled: 1-line block ×4, first 2 shown]
	v_mov_b64_e32 v[6:7], v[0:1]
; %bb.802:
	s_or_b64 exec, exec, s[28:29]
.LBB505_803:
	s_or_b64 exec, exec, s[44:45]
	s_and_saveexec_b64 s[44:45], s[20:21]
	s_cbranch_execz .LBB505_812
; %bb.804:
	s_andn2_b64 vcc, exec, s[42:43]
	s_cbranch_vccnz .LBB505_812
; %bb.805:
	v_mul_lo_u32 v22, v5, s36
	v_mul_lo_u32 v23, v4, s37
	v_mad_u64_u32 v[0:1], s[28:29], v4, s36, 0
	v_add3_u32 v1, v1, v23, v22
	v_mul_lo_u32 v25, v3, s36
	v_mul_lo_u32 v33, v2, s37
	v_mad_u64_u32 v[22:23], s[28:29], v2, s36, 0
	v_add3_u32 v23, v23, v33, v25
	v_lshl_add_u64 v[0:1], v[0:1], 3, s[38:39]
	v_lshl_add_u64 v[22:23], v[22:23], 3, s[38:39]
	s_mov_b64 s[48:49], 0
	s_mov_b64 s[58:59], s[36:37]
                                        ; implicit-def: $sgpr46_sgpr47
                                        ; implicit-def: $sgpr50_sgpr51
                                        ; implicit-def: $sgpr54_sgpr55
                                        ; implicit-def: $sgpr52_sgpr53
                                        ; implicit-def: $sgpr56_sgpr57
	s_branch .LBB505_807
.LBB505_806:                            ;   in Loop: Header=BB505_807 Depth=1
	s_or_b64 exec, exec, s[60:61]
	s_and_b64 s[28:29], s[28:29], s[56:57]
	s_or_b64 s[28:29], vcc, s[28:29]
	s_and_b64 s[30:31], exec, s[54:55]
	s_or_b64 s[48:49], s[30:31], s[48:49]
	s_andn2_b64 s[30:31], s[56:57], exec
	s_and_b64 s[28:29], s[28:29], exec
	s_or_b64 s[56:57], s[30:31], s[28:29]
	s_andn2_b64 s[30:31], s[50:51], exec
	s_and_b64 s[50:51], s[52:53], exec
	s_or_b64 s[50:51], s[30:31], s[50:51]
	s_andn2_b64 s[30:31], s[46:47], exec
	s_or_b64 s[46:47], s[30:31], s[28:29]
	s_andn2_b64 exec, exec, s[48:49]
	s_cbranch_execz .LBB505_809
.LBB505_807:                            ; =>This Inner Loop Header: Depth=1
	global_load_dwordx2 v[34:35], v[0:1], off
	global_load_dwordx2 v[36:37], v[22:23], off
	s_or_b64 s[52:53], s[52:53], exec
	s_or_b64 s[54:55], s[54:55], exec
	s_waitcnt vmcnt(0)
	v_cmp_lt_i64_e32 vcc, v[34:35], v[36:37]
	v_cmp_le_i64_e64 s[28:29], v[34:35], v[36:37]
	v_cmp_eq_u64_e64 s[30:31], v[34:35], v[36:37]
	s_and_saveexec_b64 s[60:61], s[30:31]
	s_cbranch_execz .LBB505_806
; %bb.808:                              ;   in Loop: Header=BB505_807 Depth=1
	s_add_u32 s58, s58, -1
	s_addc_u32 s59, s59, -1
	s_cmp_eq_u64 s[58:59], 0
	s_cselect_b64 s[30:31], -1, 0
	s_andn2_b64 s[54:55], s[54:55], exec
	s_and_b64 s[30:31], s[30:31], exec
	v_lshl_add_u64 v[0:1], v[0:1], 0, 8
	v_lshl_add_u64 v[22:23], v[22:23], 0, 8
	s_andn2_b64 s[52:53], s[52:53], exec
	s_or_b64 s[54:55], s[54:55], s[30:31]
	s_branch .LBB505_806
.LBB505_809:
	s_or_b64 exec, exec, s[48:49]
	s_and_saveexec_b64 s[28:29], s[50:51]
	s_xor_b64 s[28:29], exec, s[28:29]
; %bb.810:
	v_cndmask_b32_e64 v1, v3, v5, s[46:47]
	v_cndmask_b32_e64 v0, v2, v4, s[46:47]
	;; [unrolled: 1-line block ×4, first 2 shown]
	v_mov_b64_e32 v[2:3], v[0:1]
; %bb.811:
	s_or_b64 exec, exec, s[28:29]
.LBB505_812:
	s_or_b64 exec, exec, s[44:45]
	s_and_saveexec_b64 s[44:45], s[22:23]
	s_cbranch_execz .LBB505_821
; %bb.813:
	s_andn2_b64 vcc, exec, s[42:43]
	s_cbranch_vccnz .LBB505_821
; %bb.814:
	v_mul_lo_u32 v22, v11, s36
	v_mul_lo_u32 v23, v10, s37
	v_mad_u64_u32 v[0:1], s[28:29], v10, s36, 0
	v_add3_u32 v1, v1, v23, v22
	v_mul_lo_u32 v25, v17, s36
	v_mul_lo_u32 v33, v16, s37
	v_mad_u64_u32 v[22:23], s[28:29], v16, s36, 0
	v_add3_u32 v23, v23, v33, v25
	v_lshl_add_u64 v[0:1], v[0:1], 3, s[38:39]
	v_lshl_add_u64 v[22:23], v[22:23], 3, s[38:39]
	s_mov_b64 s[48:49], 0
	s_mov_b64 s[58:59], s[36:37]
                                        ; implicit-def: $sgpr46_sgpr47
                                        ; implicit-def: $sgpr50_sgpr51
                                        ; implicit-def: $sgpr54_sgpr55
                                        ; implicit-def: $sgpr52_sgpr53
                                        ; implicit-def: $sgpr56_sgpr57
	s_branch .LBB505_816
.LBB505_815:                            ;   in Loop: Header=BB505_816 Depth=1
	s_or_b64 exec, exec, s[60:61]
	s_and_b64 s[28:29], s[28:29], s[56:57]
	s_or_b64 s[28:29], vcc, s[28:29]
	s_and_b64 s[30:31], exec, s[54:55]
	s_or_b64 s[48:49], s[30:31], s[48:49]
	s_andn2_b64 s[30:31], s[56:57], exec
	s_and_b64 s[28:29], s[28:29], exec
	s_or_b64 s[56:57], s[30:31], s[28:29]
	s_andn2_b64 s[30:31], s[50:51], exec
	s_and_b64 s[50:51], s[52:53], exec
	s_or_b64 s[50:51], s[30:31], s[50:51]
	s_andn2_b64 s[30:31], s[46:47], exec
	s_or_b64 s[46:47], s[30:31], s[28:29]
	s_andn2_b64 exec, exec, s[48:49]
	s_cbranch_execz .LBB505_818
.LBB505_816:                            ; =>This Inner Loop Header: Depth=1
	global_load_dwordx2 v[34:35], v[0:1], off
	global_load_dwordx2 v[36:37], v[22:23], off
	s_or_b64 s[52:53], s[52:53], exec
	s_or_b64 s[54:55], s[54:55], exec
	s_waitcnt vmcnt(0)
	v_cmp_lt_i64_e32 vcc, v[34:35], v[36:37]
	v_cmp_le_i64_e64 s[28:29], v[34:35], v[36:37]
	v_cmp_eq_u64_e64 s[30:31], v[34:35], v[36:37]
	s_and_saveexec_b64 s[60:61], s[30:31]
	s_cbranch_execz .LBB505_815
; %bb.817:                              ;   in Loop: Header=BB505_816 Depth=1
	s_add_u32 s58, s58, -1
	s_addc_u32 s59, s59, -1
	s_cmp_eq_u64 s[58:59], 0
	s_cselect_b64 s[30:31], -1, 0
	s_andn2_b64 s[54:55], s[54:55], exec
	s_and_b64 s[30:31], s[30:31], exec
	v_lshl_add_u64 v[0:1], v[0:1], 0, 8
	v_lshl_add_u64 v[22:23], v[22:23], 0, 8
	s_andn2_b64 s[52:53], s[52:53], exec
	s_or_b64 s[54:55], s[54:55], s[30:31]
	s_branch .LBB505_815
.LBB505_818:
	s_or_b64 exec, exec, s[48:49]
	s_and_saveexec_b64 s[28:29], s[50:51]
	s_xor_b64 s[28:29], exec, s[28:29]
; %bb.819:
	v_cndmask_b32_e64 v1, v17, v11, s[46:47]
	v_cndmask_b32_e64 v0, v16, v10, s[46:47]
	;; [unrolled: 1-line block ×4, first 2 shown]
	v_mov_b64_e32 v[16:17], v[0:1]
; %bb.820:
	s_or_b64 exec, exec, s[28:29]
.LBB505_821:
	s_or_b64 exec, exec, s[44:45]
	s_and_saveexec_b64 s[44:45], s[24:25]
	s_cbranch_execz .LBB505_830
; %bb.822:
	s_andn2_b64 vcc, exec, s[42:43]
	s_cbranch_vccnz .LBB505_830
; %bb.823:
	v_mul_lo_u32 v22, v7, s36
	v_mul_lo_u32 v23, v6, s37
	v_mad_u64_u32 v[0:1], s[28:29], v6, s36, 0
	v_add3_u32 v1, v1, v23, v22
	v_mul_lo_u32 v25, v13, s36
	v_mul_lo_u32 v33, v12, s37
	v_mad_u64_u32 v[22:23], s[28:29], v12, s36, 0
	v_add3_u32 v23, v23, v33, v25
	v_lshl_add_u64 v[0:1], v[0:1], 3, s[38:39]
	v_lshl_add_u64 v[22:23], v[22:23], 3, s[38:39]
	s_mov_b64 s[48:49], 0
	s_mov_b64 s[58:59], s[36:37]
                                        ; implicit-def: $sgpr46_sgpr47
                                        ; implicit-def: $sgpr50_sgpr51
                                        ; implicit-def: $sgpr54_sgpr55
                                        ; implicit-def: $sgpr52_sgpr53
                                        ; implicit-def: $sgpr56_sgpr57
	s_branch .LBB505_825
.LBB505_824:                            ;   in Loop: Header=BB505_825 Depth=1
	s_or_b64 exec, exec, s[60:61]
	s_and_b64 s[28:29], s[28:29], s[56:57]
	s_or_b64 s[28:29], vcc, s[28:29]
	s_and_b64 s[30:31], exec, s[54:55]
	s_or_b64 s[48:49], s[30:31], s[48:49]
	s_andn2_b64 s[30:31], s[56:57], exec
	s_and_b64 s[28:29], s[28:29], exec
	s_or_b64 s[56:57], s[30:31], s[28:29]
	s_andn2_b64 s[30:31], s[50:51], exec
	s_and_b64 s[50:51], s[52:53], exec
	s_or_b64 s[50:51], s[30:31], s[50:51]
	s_andn2_b64 s[30:31], s[46:47], exec
	s_or_b64 s[46:47], s[30:31], s[28:29]
	s_andn2_b64 exec, exec, s[48:49]
	s_cbranch_execz .LBB505_827
.LBB505_825:                            ; =>This Inner Loop Header: Depth=1
	global_load_dwordx2 v[34:35], v[0:1], off
	global_load_dwordx2 v[36:37], v[22:23], off
	s_or_b64 s[52:53], s[52:53], exec
	s_or_b64 s[54:55], s[54:55], exec
	s_waitcnt vmcnt(0)
	v_cmp_lt_i64_e32 vcc, v[34:35], v[36:37]
	v_cmp_le_i64_e64 s[28:29], v[34:35], v[36:37]
	v_cmp_eq_u64_e64 s[30:31], v[34:35], v[36:37]
	s_and_saveexec_b64 s[60:61], s[30:31]
	s_cbranch_execz .LBB505_824
; %bb.826:                              ;   in Loop: Header=BB505_825 Depth=1
	s_add_u32 s58, s58, -1
	s_addc_u32 s59, s59, -1
	s_cmp_eq_u64 s[58:59], 0
	s_cselect_b64 s[30:31], -1, 0
	s_andn2_b64 s[54:55], s[54:55], exec
	s_and_b64 s[30:31], s[30:31], exec
	v_lshl_add_u64 v[0:1], v[0:1], 0, 8
	v_lshl_add_u64 v[22:23], v[22:23], 0, 8
	s_andn2_b64 s[52:53], s[52:53], exec
	s_or_b64 s[54:55], s[54:55], s[30:31]
	s_branch .LBB505_824
.LBB505_827:
	s_or_b64 exec, exec, s[48:49]
	s_and_saveexec_b64 s[28:29], s[50:51]
	s_xor_b64 s[28:29], exec, s[28:29]
; %bb.828:
	v_cndmask_b32_e64 v1, v13, v7, s[46:47]
	v_cndmask_b32_e64 v0, v12, v6, s[46:47]
	;; [unrolled: 1-line block ×4, first 2 shown]
	v_mov_b64_e32 v[12:13], v[0:1]
; %bb.829:
	s_or_b64 exec, exec, s[28:29]
.LBB505_830:
	s_or_b64 exec, exec, s[44:45]
	s_and_saveexec_b64 s[44:45], s[26:27]
	s_cbranch_execz .LBB505_839
; %bb.831:
	s_andn2_b64 vcc, exec, s[42:43]
	s_cbranch_vccnz .LBB505_839
; %bb.832:
	v_mul_lo_u32 v22, v3, s36
	v_mul_lo_u32 v23, v2, s37
	v_mad_u64_u32 v[0:1], s[28:29], v2, s36, 0
	v_add3_u32 v1, v1, v23, v22
	v_mul_lo_u32 v25, v9, s36
	v_mul_lo_u32 v33, v8, s37
	v_mad_u64_u32 v[22:23], s[28:29], v8, s36, 0
	v_add3_u32 v23, v23, v33, v25
	v_lshl_add_u64 v[0:1], v[0:1], 3, s[38:39]
	v_lshl_add_u64 v[22:23], v[22:23], 3, s[38:39]
	s_mov_b64 s[48:49], 0
	s_mov_b64 s[58:59], s[36:37]
                                        ; implicit-def: $sgpr46_sgpr47
                                        ; implicit-def: $sgpr50_sgpr51
                                        ; implicit-def: $sgpr54_sgpr55
                                        ; implicit-def: $sgpr52_sgpr53
                                        ; implicit-def: $sgpr56_sgpr57
	s_branch .LBB505_834
.LBB505_833:                            ;   in Loop: Header=BB505_834 Depth=1
	s_or_b64 exec, exec, s[60:61]
	s_and_b64 s[28:29], s[28:29], s[56:57]
	s_or_b64 s[28:29], vcc, s[28:29]
	s_and_b64 s[30:31], exec, s[54:55]
	s_or_b64 s[48:49], s[30:31], s[48:49]
	s_andn2_b64 s[30:31], s[56:57], exec
	s_and_b64 s[28:29], s[28:29], exec
	s_or_b64 s[56:57], s[30:31], s[28:29]
	s_andn2_b64 s[30:31], s[50:51], exec
	s_and_b64 s[50:51], s[52:53], exec
	s_or_b64 s[50:51], s[30:31], s[50:51]
	s_andn2_b64 s[30:31], s[46:47], exec
	s_or_b64 s[46:47], s[30:31], s[28:29]
	s_andn2_b64 exec, exec, s[48:49]
	s_cbranch_execz .LBB505_836
.LBB505_834:                            ; =>This Inner Loop Header: Depth=1
	global_load_dwordx2 v[34:35], v[0:1], off
	global_load_dwordx2 v[36:37], v[22:23], off
	s_or_b64 s[52:53], s[52:53], exec
	s_or_b64 s[54:55], s[54:55], exec
	s_waitcnt vmcnt(0)
	v_cmp_lt_i64_e32 vcc, v[34:35], v[36:37]
	v_cmp_le_i64_e64 s[28:29], v[34:35], v[36:37]
	v_cmp_eq_u64_e64 s[30:31], v[34:35], v[36:37]
	s_and_saveexec_b64 s[60:61], s[30:31]
	s_cbranch_execz .LBB505_833
; %bb.835:                              ;   in Loop: Header=BB505_834 Depth=1
	s_add_u32 s58, s58, -1
	s_addc_u32 s59, s59, -1
	s_cmp_eq_u64 s[58:59], 0
	s_cselect_b64 s[30:31], -1, 0
	s_andn2_b64 s[54:55], s[54:55], exec
	s_and_b64 s[30:31], s[30:31], exec
	v_lshl_add_u64 v[0:1], v[0:1], 0, 8
	v_lshl_add_u64 v[22:23], v[22:23], 0, 8
	s_andn2_b64 s[52:53], s[52:53], exec
	s_or_b64 s[54:55], s[54:55], s[30:31]
	s_branch .LBB505_833
.LBB505_836:
	s_or_b64 exec, exec, s[48:49]
	s_and_saveexec_b64 s[28:29], s[50:51]
	s_xor_b64 s[28:29], exec, s[28:29]
; %bb.837:
	v_cndmask_b32_e64 v1, v9, v3, s[46:47]
	v_cndmask_b32_e64 v0, v8, v2, s[46:47]
	;; [unrolled: 1-line block ×4, first 2 shown]
	v_mov_b64_e32 v[8:9], v[0:1]
; %bb.838:
	s_or_b64 exec, exec, s[28:29]
.LBB505_839:
	s_or_b64 exec, exec, s[44:45]
	s_and_saveexec_b64 s[44:45], s[14:15]
	s_cbranch_execz .LBB505_848
; %bb.840:
	s_andn2_b64 vcc, exec, s[42:43]
	s_cbranch_vccnz .LBB505_848
; %bb.841:
	v_mul_lo_u32 v22, v17, s36
	v_mul_lo_u32 v23, v16, s37
	v_mad_u64_u32 v[0:1], s[28:29], v16, s36, 0
	v_add3_u32 v1, v1, v23, v22
	v_mul_lo_u32 v25, v15, s36
	v_mul_lo_u32 v33, v14, s37
	v_mad_u64_u32 v[22:23], s[28:29], v14, s36, 0
	v_add3_u32 v23, v23, v33, v25
	v_lshl_add_u64 v[0:1], v[0:1], 3, s[38:39]
	v_lshl_add_u64 v[22:23], v[22:23], 3, s[38:39]
	s_mov_b64 s[48:49], 0
	s_mov_b64 s[58:59], s[36:37]
                                        ; implicit-def: $sgpr46_sgpr47
                                        ; implicit-def: $sgpr50_sgpr51
                                        ; implicit-def: $sgpr54_sgpr55
                                        ; implicit-def: $sgpr52_sgpr53
                                        ; implicit-def: $sgpr56_sgpr57
	s_branch .LBB505_843
.LBB505_842:                            ;   in Loop: Header=BB505_843 Depth=1
	s_or_b64 exec, exec, s[60:61]
	s_and_b64 s[28:29], s[28:29], s[56:57]
	s_or_b64 s[28:29], vcc, s[28:29]
	s_and_b64 s[30:31], exec, s[54:55]
	s_or_b64 s[48:49], s[30:31], s[48:49]
	s_andn2_b64 s[30:31], s[56:57], exec
	s_and_b64 s[28:29], s[28:29], exec
	s_or_b64 s[56:57], s[30:31], s[28:29]
	s_andn2_b64 s[30:31], s[50:51], exec
	s_and_b64 s[50:51], s[52:53], exec
	s_or_b64 s[50:51], s[30:31], s[50:51]
	s_andn2_b64 s[30:31], s[46:47], exec
	s_or_b64 s[46:47], s[30:31], s[28:29]
	s_andn2_b64 exec, exec, s[48:49]
	s_cbranch_execz .LBB505_845
.LBB505_843:                            ; =>This Inner Loop Header: Depth=1
	global_load_dwordx2 v[34:35], v[0:1], off
	global_load_dwordx2 v[36:37], v[22:23], off
	s_or_b64 s[52:53], s[52:53], exec
	s_or_b64 s[54:55], s[54:55], exec
	s_waitcnt vmcnt(0)
	v_cmp_lt_i64_e32 vcc, v[34:35], v[36:37]
	v_cmp_le_i64_e64 s[28:29], v[34:35], v[36:37]
	v_cmp_eq_u64_e64 s[30:31], v[34:35], v[36:37]
	s_and_saveexec_b64 s[60:61], s[30:31]
	s_cbranch_execz .LBB505_842
; %bb.844:                              ;   in Loop: Header=BB505_843 Depth=1
	s_add_u32 s58, s58, -1
	s_addc_u32 s59, s59, -1
	s_cmp_eq_u64 s[58:59], 0
	s_cselect_b64 s[30:31], -1, 0
	s_andn2_b64 s[54:55], s[54:55], exec
	s_and_b64 s[30:31], s[30:31], exec
	v_lshl_add_u64 v[0:1], v[0:1], 0, 8
	v_lshl_add_u64 v[22:23], v[22:23], 0, 8
	s_andn2_b64 s[52:53], s[52:53], exec
	s_or_b64 s[54:55], s[54:55], s[30:31]
	s_branch .LBB505_842
.LBB505_845:
	s_or_b64 exec, exec, s[48:49]
	s_and_saveexec_b64 s[28:29], s[50:51]
	s_xor_b64 s[28:29], exec, s[28:29]
; %bb.846:
	v_cndmask_b32_e64 v1, v17, v15, s[46:47]
	v_cndmask_b32_e64 v0, v16, v14, s[46:47]
	;; [unrolled: 1-line block ×4, first 2 shown]
	v_mov_b64_e32 v[16:17], v[0:1]
; %bb.847:
	s_or_b64 exec, exec, s[28:29]
.LBB505_848:
	s_or_b64 exec, exec, s[44:45]
	s_and_saveexec_b64 s[44:45], s[16:17]
	s_cbranch_execz .LBB505_857
; %bb.849:
	s_andn2_b64 vcc, exec, s[42:43]
	s_cbranch_vccnz .LBB505_857
; %bb.850:
	v_mul_lo_u32 v22, v13, s36
	v_mul_lo_u32 v23, v12, s37
	v_mad_u64_u32 v[0:1], s[28:29], v12, s36, 0
	v_add3_u32 v1, v1, v23, v22
	v_mul_lo_u32 v25, v11, s36
	v_mul_lo_u32 v33, v10, s37
	v_mad_u64_u32 v[22:23], s[28:29], v10, s36, 0
	v_add3_u32 v23, v23, v33, v25
	v_lshl_add_u64 v[0:1], v[0:1], 3, s[38:39]
	v_lshl_add_u64 v[22:23], v[22:23], 3, s[38:39]
	s_mov_b64 s[48:49], 0
	s_mov_b64 s[58:59], s[36:37]
                                        ; implicit-def: $sgpr46_sgpr47
                                        ; implicit-def: $sgpr50_sgpr51
                                        ; implicit-def: $sgpr54_sgpr55
                                        ; implicit-def: $sgpr52_sgpr53
                                        ; implicit-def: $sgpr56_sgpr57
	s_branch .LBB505_852
.LBB505_851:                            ;   in Loop: Header=BB505_852 Depth=1
	s_or_b64 exec, exec, s[60:61]
	s_and_b64 s[28:29], s[28:29], s[56:57]
	s_or_b64 s[28:29], vcc, s[28:29]
	s_and_b64 s[30:31], exec, s[54:55]
	s_or_b64 s[48:49], s[30:31], s[48:49]
	s_andn2_b64 s[30:31], s[56:57], exec
	s_and_b64 s[28:29], s[28:29], exec
	s_or_b64 s[56:57], s[30:31], s[28:29]
	s_andn2_b64 s[30:31], s[50:51], exec
	s_and_b64 s[50:51], s[52:53], exec
	s_or_b64 s[50:51], s[30:31], s[50:51]
	s_andn2_b64 s[30:31], s[46:47], exec
	s_or_b64 s[46:47], s[30:31], s[28:29]
	s_andn2_b64 exec, exec, s[48:49]
	s_cbranch_execz .LBB505_854
.LBB505_852:                            ; =>This Inner Loop Header: Depth=1
	global_load_dwordx2 v[34:35], v[0:1], off
	global_load_dwordx2 v[36:37], v[22:23], off
	s_or_b64 s[52:53], s[52:53], exec
	s_or_b64 s[54:55], s[54:55], exec
	s_waitcnt vmcnt(0)
	v_cmp_lt_i64_e32 vcc, v[34:35], v[36:37]
	v_cmp_le_i64_e64 s[28:29], v[34:35], v[36:37]
	v_cmp_eq_u64_e64 s[30:31], v[34:35], v[36:37]
	s_and_saveexec_b64 s[60:61], s[30:31]
	s_cbranch_execz .LBB505_851
; %bb.853:                              ;   in Loop: Header=BB505_852 Depth=1
	s_add_u32 s58, s58, -1
	s_addc_u32 s59, s59, -1
	s_cmp_eq_u64 s[58:59], 0
	s_cselect_b64 s[30:31], -1, 0
	s_andn2_b64 s[54:55], s[54:55], exec
	s_and_b64 s[30:31], s[30:31], exec
	v_lshl_add_u64 v[0:1], v[0:1], 0, 8
	v_lshl_add_u64 v[22:23], v[22:23], 0, 8
	s_andn2_b64 s[52:53], s[52:53], exec
	s_or_b64 s[54:55], s[54:55], s[30:31]
	s_branch .LBB505_851
.LBB505_854:
	s_or_b64 exec, exec, s[48:49]
	s_and_saveexec_b64 s[28:29], s[50:51]
	s_xor_b64 s[28:29], exec, s[28:29]
; %bb.855:
	v_cndmask_b32_e64 v1, v11, v13, s[46:47]
	v_cndmask_b32_e64 v0, v10, v12, s[46:47]
	;; [unrolled: 1-line block ×4, first 2 shown]
	v_mov_b64_e32 v[10:11], v[0:1]
; %bb.856:
	s_or_b64 exec, exec, s[28:29]
.LBB505_857:
	s_or_b64 exec, exec, s[44:45]
	s_and_saveexec_b64 s[44:45], s[18:19]
	s_cbranch_execz .LBB505_866
; %bb.858:
	s_andn2_b64 vcc, exec, s[42:43]
	s_cbranch_vccnz .LBB505_866
; %bb.859:
	v_mul_lo_u32 v22, v9, s36
	v_mul_lo_u32 v23, v8, s37
	v_mad_u64_u32 v[0:1], s[28:29], v8, s36, 0
	v_add3_u32 v1, v1, v23, v22
	v_mul_lo_u32 v25, v7, s36
	v_mul_lo_u32 v33, v6, s37
	v_mad_u64_u32 v[22:23], s[28:29], v6, s36, 0
	v_add3_u32 v23, v23, v33, v25
	v_lshl_add_u64 v[0:1], v[0:1], 3, s[38:39]
	v_lshl_add_u64 v[22:23], v[22:23], 3, s[38:39]
	s_mov_b64 s[48:49], 0
	s_mov_b64 s[58:59], s[36:37]
                                        ; implicit-def: $sgpr46_sgpr47
                                        ; implicit-def: $sgpr50_sgpr51
                                        ; implicit-def: $sgpr54_sgpr55
                                        ; implicit-def: $sgpr52_sgpr53
                                        ; implicit-def: $sgpr56_sgpr57
	s_branch .LBB505_861
.LBB505_860:                            ;   in Loop: Header=BB505_861 Depth=1
	s_or_b64 exec, exec, s[60:61]
	s_and_b64 s[28:29], s[28:29], s[56:57]
	s_or_b64 s[28:29], vcc, s[28:29]
	s_and_b64 s[30:31], exec, s[54:55]
	s_or_b64 s[48:49], s[30:31], s[48:49]
	s_andn2_b64 s[30:31], s[56:57], exec
	s_and_b64 s[28:29], s[28:29], exec
	s_or_b64 s[56:57], s[30:31], s[28:29]
	s_andn2_b64 s[30:31], s[50:51], exec
	s_and_b64 s[50:51], s[52:53], exec
	s_or_b64 s[50:51], s[30:31], s[50:51]
	s_andn2_b64 s[30:31], s[46:47], exec
	s_or_b64 s[46:47], s[30:31], s[28:29]
	s_andn2_b64 exec, exec, s[48:49]
	s_cbranch_execz .LBB505_863
.LBB505_861:                            ; =>This Inner Loop Header: Depth=1
	global_load_dwordx2 v[34:35], v[0:1], off
	global_load_dwordx2 v[36:37], v[22:23], off
	s_or_b64 s[52:53], s[52:53], exec
	s_or_b64 s[54:55], s[54:55], exec
	s_waitcnt vmcnt(0)
	v_cmp_lt_i64_e32 vcc, v[34:35], v[36:37]
	v_cmp_le_i64_e64 s[28:29], v[34:35], v[36:37]
	v_cmp_eq_u64_e64 s[30:31], v[34:35], v[36:37]
	s_and_saveexec_b64 s[60:61], s[30:31]
	s_cbranch_execz .LBB505_860
; %bb.862:                              ;   in Loop: Header=BB505_861 Depth=1
	s_add_u32 s58, s58, -1
	s_addc_u32 s59, s59, -1
	s_cmp_eq_u64 s[58:59], 0
	s_cselect_b64 s[30:31], -1, 0
	s_andn2_b64 s[54:55], s[54:55], exec
	s_and_b64 s[30:31], s[30:31], exec
	v_lshl_add_u64 v[0:1], v[0:1], 0, 8
	v_lshl_add_u64 v[22:23], v[22:23], 0, 8
	s_andn2_b64 s[52:53], s[52:53], exec
	s_or_b64 s[54:55], s[54:55], s[30:31]
	s_branch .LBB505_860
.LBB505_863:
	s_or_b64 exec, exec, s[48:49]
	s_and_saveexec_b64 s[28:29], s[50:51]
	s_xor_b64 s[28:29], exec, s[28:29]
; %bb.864:
	v_cndmask_b32_e64 v1, v7, v9, s[46:47]
	v_cndmask_b32_e64 v0, v6, v8, s[46:47]
	;; [unrolled: 1-line block ×4, first 2 shown]
	v_mov_b64_e32 v[6:7], v[0:1]
; %bb.865:
	s_or_b64 exec, exec, s[28:29]
.LBB505_866:
	s_or_b64 exec, exec, s[44:45]
	s_and_saveexec_b64 s[44:45], s[20:21]
	s_cbranch_execz .LBB505_875
; %bb.867:
	s_andn2_b64 vcc, exec, s[42:43]
	s_cbranch_vccnz .LBB505_875
; %bb.868:
	v_mul_lo_u32 v22, v5, s36
	v_mul_lo_u32 v23, v4, s37
	v_mad_u64_u32 v[0:1], s[28:29], v4, s36, 0
	v_add3_u32 v1, v1, v23, v22
	v_mul_lo_u32 v25, v3, s36
	v_mul_lo_u32 v33, v2, s37
	v_mad_u64_u32 v[22:23], s[28:29], v2, s36, 0
	v_add3_u32 v23, v23, v33, v25
	v_lshl_add_u64 v[0:1], v[0:1], 3, s[38:39]
	v_lshl_add_u64 v[22:23], v[22:23], 3, s[38:39]
	s_mov_b64 s[48:49], 0
	s_mov_b64 s[58:59], s[36:37]
                                        ; implicit-def: $sgpr46_sgpr47
                                        ; implicit-def: $sgpr50_sgpr51
                                        ; implicit-def: $sgpr54_sgpr55
                                        ; implicit-def: $sgpr52_sgpr53
                                        ; implicit-def: $sgpr56_sgpr57
	s_branch .LBB505_870
.LBB505_869:                            ;   in Loop: Header=BB505_870 Depth=1
	s_or_b64 exec, exec, s[60:61]
	s_and_b64 s[28:29], s[28:29], s[56:57]
	s_or_b64 s[28:29], vcc, s[28:29]
	s_and_b64 s[30:31], exec, s[54:55]
	s_or_b64 s[48:49], s[30:31], s[48:49]
	s_andn2_b64 s[30:31], s[56:57], exec
	s_and_b64 s[28:29], s[28:29], exec
	s_or_b64 s[56:57], s[30:31], s[28:29]
	s_andn2_b64 s[30:31], s[50:51], exec
	s_and_b64 s[50:51], s[52:53], exec
	s_or_b64 s[50:51], s[30:31], s[50:51]
	s_andn2_b64 s[30:31], s[46:47], exec
	s_or_b64 s[46:47], s[30:31], s[28:29]
	s_andn2_b64 exec, exec, s[48:49]
	s_cbranch_execz .LBB505_872
.LBB505_870:                            ; =>This Inner Loop Header: Depth=1
	global_load_dwordx2 v[34:35], v[0:1], off
	global_load_dwordx2 v[36:37], v[22:23], off
	s_or_b64 s[52:53], s[52:53], exec
	s_or_b64 s[54:55], s[54:55], exec
	s_waitcnt vmcnt(0)
	v_cmp_lt_i64_e32 vcc, v[34:35], v[36:37]
	v_cmp_le_i64_e64 s[28:29], v[34:35], v[36:37]
	v_cmp_eq_u64_e64 s[30:31], v[34:35], v[36:37]
	s_and_saveexec_b64 s[60:61], s[30:31]
	s_cbranch_execz .LBB505_869
; %bb.871:                              ;   in Loop: Header=BB505_870 Depth=1
	s_add_u32 s58, s58, -1
	s_addc_u32 s59, s59, -1
	s_cmp_eq_u64 s[58:59], 0
	s_cselect_b64 s[30:31], -1, 0
	s_andn2_b64 s[54:55], s[54:55], exec
	s_and_b64 s[30:31], s[30:31], exec
	v_lshl_add_u64 v[0:1], v[0:1], 0, 8
	v_lshl_add_u64 v[22:23], v[22:23], 0, 8
	s_andn2_b64 s[52:53], s[52:53], exec
	s_or_b64 s[54:55], s[54:55], s[30:31]
	s_branch .LBB505_869
.LBB505_872:
	s_or_b64 exec, exec, s[48:49]
	s_and_saveexec_b64 s[28:29], s[50:51]
	s_xor_b64 s[28:29], exec, s[28:29]
; %bb.873:
	v_cndmask_b32_e64 v1, v3, v5, s[46:47]
	v_cndmask_b32_e64 v0, v2, v4, s[46:47]
	;; [unrolled: 1-line block ×4, first 2 shown]
	v_mov_b64_e32 v[2:3], v[0:1]
; %bb.874:
	s_or_b64 exec, exec, s[28:29]
.LBB505_875:
	s_or_b64 exec, exec, s[44:45]
	s_and_saveexec_b64 s[44:45], s[22:23]
	s_cbranch_execz .LBB505_884
; %bb.876:
	s_andn2_b64 vcc, exec, s[42:43]
	s_cbranch_vccnz .LBB505_884
; %bb.877:
	v_mul_lo_u32 v22, v11, s36
	v_mul_lo_u32 v23, v10, s37
	v_mad_u64_u32 v[0:1], s[28:29], v10, s36, 0
	v_add3_u32 v1, v1, v23, v22
	v_mul_lo_u32 v25, v17, s36
	v_mul_lo_u32 v33, v16, s37
	v_mad_u64_u32 v[22:23], s[28:29], v16, s36, 0
	v_add3_u32 v23, v23, v33, v25
	v_lshl_add_u64 v[0:1], v[0:1], 3, s[38:39]
	v_lshl_add_u64 v[22:23], v[22:23], 3, s[38:39]
	s_mov_b64 s[48:49], 0
	s_mov_b64 s[58:59], s[36:37]
                                        ; implicit-def: $sgpr46_sgpr47
                                        ; implicit-def: $sgpr50_sgpr51
                                        ; implicit-def: $sgpr54_sgpr55
                                        ; implicit-def: $sgpr52_sgpr53
                                        ; implicit-def: $sgpr56_sgpr57
	s_branch .LBB505_879
.LBB505_878:                            ;   in Loop: Header=BB505_879 Depth=1
	s_or_b64 exec, exec, s[60:61]
	s_and_b64 s[28:29], s[28:29], s[56:57]
	s_or_b64 s[28:29], vcc, s[28:29]
	s_and_b64 s[30:31], exec, s[54:55]
	s_or_b64 s[48:49], s[30:31], s[48:49]
	s_andn2_b64 s[30:31], s[56:57], exec
	s_and_b64 s[28:29], s[28:29], exec
	s_or_b64 s[56:57], s[30:31], s[28:29]
	s_andn2_b64 s[30:31], s[50:51], exec
	s_and_b64 s[50:51], s[52:53], exec
	s_or_b64 s[50:51], s[30:31], s[50:51]
	s_andn2_b64 s[30:31], s[46:47], exec
	s_or_b64 s[46:47], s[30:31], s[28:29]
	s_andn2_b64 exec, exec, s[48:49]
	s_cbranch_execz .LBB505_881
.LBB505_879:                            ; =>This Inner Loop Header: Depth=1
	global_load_dwordx2 v[34:35], v[0:1], off
	global_load_dwordx2 v[36:37], v[22:23], off
	s_or_b64 s[52:53], s[52:53], exec
	s_or_b64 s[54:55], s[54:55], exec
	s_waitcnt vmcnt(0)
	v_cmp_lt_i64_e32 vcc, v[34:35], v[36:37]
	v_cmp_le_i64_e64 s[28:29], v[34:35], v[36:37]
	v_cmp_eq_u64_e64 s[30:31], v[34:35], v[36:37]
	s_and_saveexec_b64 s[60:61], s[30:31]
	s_cbranch_execz .LBB505_878
; %bb.880:                              ;   in Loop: Header=BB505_879 Depth=1
	s_add_u32 s58, s58, -1
	s_addc_u32 s59, s59, -1
	s_cmp_eq_u64 s[58:59], 0
	s_cselect_b64 s[30:31], -1, 0
	s_andn2_b64 s[54:55], s[54:55], exec
	s_and_b64 s[30:31], s[30:31], exec
	v_lshl_add_u64 v[0:1], v[0:1], 0, 8
	v_lshl_add_u64 v[22:23], v[22:23], 0, 8
	s_andn2_b64 s[52:53], s[52:53], exec
	s_or_b64 s[54:55], s[54:55], s[30:31]
	s_branch .LBB505_878
.LBB505_881:
	s_or_b64 exec, exec, s[48:49]
	s_and_saveexec_b64 s[28:29], s[50:51]
	s_xor_b64 s[28:29], exec, s[28:29]
; %bb.882:
	v_cndmask_b32_e64 v1, v17, v11, s[46:47]
	v_cndmask_b32_e64 v0, v16, v10, s[46:47]
	;; [unrolled: 1-line block ×4, first 2 shown]
	v_mov_b64_e32 v[16:17], v[0:1]
; %bb.883:
	s_or_b64 exec, exec, s[28:29]
.LBB505_884:
	s_or_b64 exec, exec, s[44:45]
	s_and_saveexec_b64 s[44:45], s[24:25]
	s_cbranch_execz .LBB505_893
; %bb.885:
	s_andn2_b64 vcc, exec, s[42:43]
	s_cbranch_vccnz .LBB505_893
; %bb.886:
	v_mul_lo_u32 v22, v7, s36
	v_mul_lo_u32 v23, v6, s37
	v_mad_u64_u32 v[0:1], s[28:29], v6, s36, 0
	v_add3_u32 v1, v1, v23, v22
	v_mul_lo_u32 v25, v13, s36
	v_mul_lo_u32 v33, v12, s37
	v_mad_u64_u32 v[22:23], s[28:29], v12, s36, 0
	v_add3_u32 v23, v23, v33, v25
	v_lshl_add_u64 v[0:1], v[0:1], 3, s[38:39]
	v_lshl_add_u64 v[22:23], v[22:23], 3, s[38:39]
	s_mov_b64 s[48:49], 0
	s_mov_b64 s[58:59], s[36:37]
                                        ; implicit-def: $sgpr46_sgpr47
                                        ; implicit-def: $sgpr50_sgpr51
                                        ; implicit-def: $sgpr54_sgpr55
                                        ; implicit-def: $sgpr52_sgpr53
                                        ; implicit-def: $sgpr56_sgpr57
	s_branch .LBB505_888
.LBB505_887:                            ;   in Loop: Header=BB505_888 Depth=1
	s_or_b64 exec, exec, s[60:61]
	s_and_b64 s[28:29], s[28:29], s[56:57]
	s_or_b64 s[28:29], vcc, s[28:29]
	s_and_b64 s[30:31], exec, s[54:55]
	s_or_b64 s[48:49], s[30:31], s[48:49]
	s_andn2_b64 s[30:31], s[56:57], exec
	s_and_b64 s[28:29], s[28:29], exec
	s_or_b64 s[56:57], s[30:31], s[28:29]
	s_andn2_b64 s[30:31], s[50:51], exec
	s_and_b64 s[50:51], s[52:53], exec
	s_or_b64 s[50:51], s[30:31], s[50:51]
	s_andn2_b64 s[30:31], s[46:47], exec
	s_or_b64 s[46:47], s[30:31], s[28:29]
	s_andn2_b64 exec, exec, s[48:49]
	s_cbranch_execz .LBB505_890
.LBB505_888:                            ; =>This Inner Loop Header: Depth=1
	global_load_dwordx2 v[34:35], v[0:1], off
	global_load_dwordx2 v[36:37], v[22:23], off
	s_or_b64 s[52:53], s[52:53], exec
	s_or_b64 s[54:55], s[54:55], exec
	s_waitcnt vmcnt(0)
	v_cmp_lt_i64_e32 vcc, v[34:35], v[36:37]
	v_cmp_le_i64_e64 s[28:29], v[34:35], v[36:37]
	v_cmp_eq_u64_e64 s[30:31], v[34:35], v[36:37]
	s_and_saveexec_b64 s[60:61], s[30:31]
	s_cbranch_execz .LBB505_887
; %bb.889:                              ;   in Loop: Header=BB505_888 Depth=1
	s_add_u32 s58, s58, -1
	s_addc_u32 s59, s59, -1
	s_cmp_eq_u64 s[58:59], 0
	s_cselect_b64 s[30:31], -1, 0
	s_andn2_b64 s[54:55], s[54:55], exec
	s_and_b64 s[30:31], s[30:31], exec
	v_lshl_add_u64 v[0:1], v[0:1], 0, 8
	v_lshl_add_u64 v[22:23], v[22:23], 0, 8
	s_andn2_b64 s[52:53], s[52:53], exec
	s_or_b64 s[54:55], s[54:55], s[30:31]
	s_branch .LBB505_887
.LBB505_890:
	s_or_b64 exec, exec, s[48:49]
	s_and_saveexec_b64 s[28:29], s[50:51]
	s_xor_b64 s[28:29], exec, s[28:29]
; %bb.891:
	v_cndmask_b32_e64 v1, v13, v7, s[46:47]
	v_cndmask_b32_e64 v0, v12, v6, s[46:47]
	;; [unrolled: 1-line block ×4, first 2 shown]
	v_mov_b64_e32 v[12:13], v[0:1]
; %bb.892:
	s_or_b64 exec, exec, s[28:29]
.LBB505_893:
	s_or_b64 exec, exec, s[44:45]
	s_and_saveexec_b64 s[44:45], s[26:27]
	s_cbranch_execz .LBB505_902
; %bb.894:
	s_andn2_b64 vcc, exec, s[42:43]
	s_cbranch_vccnz .LBB505_902
; %bb.895:
	v_mul_lo_u32 v22, v3, s36
	v_mul_lo_u32 v23, v2, s37
	v_mad_u64_u32 v[0:1], s[28:29], v2, s36, 0
	v_add3_u32 v1, v1, v23, v22
	v_mul_lo_u32 v25, v9, s36
	v_mul_lo_u32 v33, v8, s37
	v_mad_u64_u32 v[22:23], s[28:29], v8, s36, 0
	v_add3_u32 v23, v23, v33, v25
	v_lshl_add_u64 v[0:1], v[0:1], 3, s[38:39]
	v_lshl_add_u64 v[22:23], v[22:23], 3, s[38:39]
	s_mov_b64 s[48:49], 0
	s_mov_b64 s[58:59], s[36:37]
                                        ; implicit-def: $sgpr46_sgpr47
                                        ; implicit-def: $sgpr50_sgpr51
                                        ; implicit-def: $sgpr54_sgpr55
                                        ; implicit-def: $sgpr52_sgpr53
                                        ; implicit-def: $sgpr56_sgpr57
	s_branch .LBB505_897
.LBB505_896:                            ;   in Loop: Header=BB505_897 Depth=1
	s_or_b64 exec, exec, s[60:61]
	s_and_b64 s[28:29], s[28:29], s[56:57]
	s_or_b64 s[28:29], vcc, s[28:29]
	s_and_b64 s[30:31], exec, s[54:55]
	s_or_b64 s[48:49], s[30:31], s[48:49]
	s_andn2_b64 s[30:31], s[56:57], exec
	s_and_b64 s[28:29], s[28:29], exec
	s_or_b64 s[56:57], s[30:31], s[28:29]
	s_andn2_b64 s[30:31], s[50:51], exec
	s_and_b64 s[50:51], s[52:53], exec
	s_or_b64 s[50:51], s[30:31], s[50:51]
	s_andn2_b64 s[30:31], s[46:47], exec
	s_or_b64 s[46:47], s[30:31], s[28:29]
	s_andn2_b64 exec, exec, s[48:49]
	s_cbranch_execz .LBB505_899
.LBB505_897:                            ; =>This Inner Loop Header: Depth=1
	global_load_dwordx2 v[34:35], v[0:1], off
	global_load_dwordx2 v[36:37], v[22:23], off
	s_or_b64 s[52:53], s[52:53], exec
	s_or_b64 s[54:55], s[54:55], exec
	s_waitcnt vmcnt(0)
	v_cmp_lt_i64_e32 vcc, v[34:35], v[36:37]
	v_cmp_le_i64_e64 s[28:29], v[34:35], v[36:37]
	v_cmp_eq_u64_e64 s[30:31], v[34:35], v[36:37]
	s_and_saveexec_b64 s[60:61], s[30:31]
	s_cbranch_execz .LBB505_896
; %bb.898:                              ;   in Loop: Header=BB505_897 Depth=1
	s_add_u32 s58, s58, -1
	s_addc_u32 s59, s59, -1
	s_cmp_eq_u64 s[58:59], 0
	s_cselect_b64 s[30:31], -1, 0
	s_andn2_b64 s[54:55], s[54:55], exec
	s_and_b64 s[30:31], s[30:31], exec
	v_lshl_add_u64 v[0:1], v[0:1], 0, 8
	v_lshl_add_u64 v[22:23], v[22:23], 0, 8
	s_andn2_b64 s[52:53], s[52:53], exec
	s_or_b64 s[54:55], s[54:55], s[30:31]
	s_branch .LBB505_896
.LBB505_899:
	s_or_b64 exec, exec, s[48:49]
	s_and_saveexec_b64 s[28:29], s[50:51]
	s_xor_b64 s[28:29], exec, s[28:29]
; %bb.900:
	v_cndmask_b32_e64 v1, v9, v3, s[46:47]
	v_cndmask_b32_e64 v0, v8, v2, s[46:47]
	;; [unrolled: 1-line block ×4, first 2 shown]
	v_mov_b64_e32 v[8:9], v[0:1]
; %bb.901:
	s_or_b64 exec, exec, s[28:29]
.LBB505_902:
	s_or_b64 exec, exec, s[44:45]
	s_and_saveexec_b64 s[30:31], s[14:15]
	s_cbranch_execz .LBB505_911
; %bb.903:
	s_andn2_b64 vcc, exec, s[42:43]
	s_cbranch_vccnz .LBB505_911
; %bb.904:
	v_mul_lo_u32 v22, v17, s36
	v_mul_lo_u32 v23, v16, s37
	v_mad_u64_u32 v[0:1], s[14:15], v16, s36, 0
	v_add3_u32 v1, v1, v23, v22
	v_mul_lo_u32 v25, v15, s36
	v_mul_lo_u32 v33, v14, s37
	v_mad_u64_u32 v[22:23], s[14:15], v14, s36, 0
	v_add3_u32 v23, v23, v33, v25
	v_lshl_add_u64 v[0:1], v[0:1], 3, s[38:39]
	v_lshl_add_u64 v[22:23], v[22:23], 3, s[38:39]
	s_mov_b64 s[46:47], 0
	s_mov_b64 s[56:57], s[36:37]
                                        ; implicit-def: $sgpr44_sgpr45
                                        ; implicit-def: $sgpr48_sgpr49
                                        ; implicit-def: $sgpr52_sgpr53
                                        ; implicit-def: $sgpr50_sgpr51
                                        ; implicit-def: $sgpr54_sgpr55
	s_branch .LBB505_906
.LBB505_905:                            ;   in Loop: Header=BB505_906 Depth=1
	s_or_b64 exec, exec, s[58:59]
	s_and_b64 s[14:15], s[14:15], s[54:55]
	s_or_b64 s[14:15], vcc, s[14:15]
	s_and_b64 s[28:29], exec, s[52:53]
	s_or_b64 s[46:47], s[28:29], s[46:47]
	s_andn2_b64 s[28:29], s[54:55], exec
	s_and_b64 s[14:15], s[14:15], exec
	s_or_b64 s[54:55], s[28:29], s[14:15]
	s_andn2_b64 s[28:29], s[48:49], exec
	s_and_b64 s[48:49], s[50:51], exec
	s_or_b64 s[48:49], s[28:29], s[48:49]
	s_andn2_b64 s[28:29], s[44:45], exec
	s_or_b64 s[44:45], s[28:29], s[14:15]
	s_andn2_b64 exec, exec, s[46:47]
	s_cbranch_execz .LBB505_908
.LBB505_906:                            ; =>This Inner Loop Header: Depth=1
	global_load_dwordx2 v[34:35], v[0:1], off
	global_load_dwordx2 v[36:37], v[22:23], off
	s_or_b64 s[50:51], s[50:51], exec
	s_or_b64 s[52:53], s[52:53], exec
	s_waitcnt vmcnt(0)
	v_cmp_lt_i64_e32 vcc, v[34:35], v[36:37]
	v_cmp_le_i64_e64 s[14:15], v[34:35], v[36:37]
	v_cmp_eq_u64_e64 s[28:29], v[34:35], v[36:37]
	s_and_saveexec_b64 s[58:59], s[28:29]
	s_cbranch_execz .LBB505_905
; %bb.907:                              ;   in Loop: Header=BB505_906 Depth=1
	s_add_u32 s56, s56, -1
	s_addc_u32 s57, s57, -1
	s_cmp_eq_u64 s[56:57], 0
	s_cselect_b64 s[28:29], -1, 0
	s_andn2_b64 s[52:53], s[52:53], exec
	s_and_b64 s[28:29], s[28:29], exec
	v_lshl_add_u64 v[0:1], v[0:1], 0, 8
	v_lshl_add_u64 v[22:23], v[22:23], 0, 8
	s_andn2_b64 s[50:51], s[50:51], exec
	s_or_b64 s[52:53], s[52:53], s[28:29]
	s_branch .LBB505_905
.LBB505_908:
	s_or_b64 exec, exec, s[46:47]
	s_and_saveexec_b64 s[14:15], s[48:49]
	s_xor_b64 s[14:15], exec, s[14:15]
; %bb.909:
	v_cndmask_b32_e64 v1, v17, v15, s[44:45]
	v_cndmask_b32_e64 v0, v16, v14, s[44:45]
	;; [unrolled: 1-line block ×4, first 2 shown]
	v_mov_b64_e32 v[16:17], v[0:1]
; %bb.910:
	s_or_b64 exec, exec, s[14:15]
.LBB505_911:
	s_or_b64 exec, exec, s[30:31]
	s_and_saveexec_b64 s[28:29], s[16:17]
	s_cbranch_execz .LBB505_920
; %bb.912:
	s_andn2_b64 vcc, exec, s[42:43]
	s_cbranch_vccnz .LBB505_920
; %bb.913:
	v_mul_lo_u32 v22, v13, s36
	v_mul_lo_u32 v23, v12, s37
	v_mad_u64_u32 v[0:1], s[14:15], v12, s36, 0
	v_add3_u32 v1, v1, v23, v22
	v_mul_lo_u32 v25, v11, s36
	v_mul_lo_u32 v33, v10, s37
	v_mad_u64_u32 v[22:23], s[14:15], v10, s36, 0
	v_add3_u32 v23, v23, v33, v25
	v_lshl_add_u64 v[0:1], v[0:1], 3, s[38:39]
	v_lshl_add_u64 v[22:23], v[22:23], 3, s[38:39]
	s_mov_b64 s[44:45], 0
	s_mov_b64 s[54:55], s[36:37]
                                        ; implicit-def: $sgpr30_sgpr31
                                        ; implicit-def: $sgpr46_sgpr47
                                        ; implicit-def: $sgpr50_sgpr51
                                        ; implicit-def: $sgpr48_sgpr49
                                        ; implicit-def: $sgpr52_sgpr53
	s_branch .LBB505_915
.LBB505_914:                            ;   in Loop: Header=BB505_915 Depth=1
	s_or_b64 exec, exec, s[56:57]
	s_and_b64 s[14:15], s[14:15], s[52:53]
	s_or_b64 s[14:15], vcc, s[14:15]
	s_and_b64 s[16:17], exec, s[50:51]
	s_or_b64 s[44:45], s[16:17], s[44:45]
	s_andn2_b64 s[16:17], s[52:53], exec
	s_and_b64 s[14:15], s[14:15], exec
	s_or_b64 s[52:53], s[16:17], s[14:15]
	s_andn2_b64 s[16:17], s[46:47], exec
	s_and_b64 s[46:47], s[48:49], exec
	s_or_b64 s[46:47], s[16:17], s[46:47]
	s_andn2_b64 s[16:17], s[30:31], exec
	s_or_b64 s[30:31], s[16:17], s[14:15]
	s_andn2_b64 exec, exec, s[44:45]
	s_cbranch_execz .LBB505_917
.LBB505_915:                            ; =>This Inner Loop Header: Depth=1
	global_load_dwordx2 v[34:35], v[0:1], off
	global_load_dwordx2 v[36:37], v[22:23], off
	s_or_b64 s[48:49], s[48:49], exec
	s_or_b64 s[50:51], s[50:51], exec
	s_waitcnt vmcnt(0)
	v_cmp_lt_i64_e32 vcc, v[34:35], v[36:37]
	v_cmp_le_i64_e64 s[14:15], v[34:35], v[36:37]
	v_cmp_eq_u64_e64 s[16:17], v[34:35], v[36:37]
	s_and_saveexec_b64 s[56:57], s[16:17]
	s_cbranch_execz .LBB505_914
; %bb.916:                              ;   in Loop: Header=BB505_915 Depth=1
	s_add_u32 s54, s54, -1
	s_addc_u32 s55, s55, -1
	s_cmp_eq_u64 s[54:55], 0
	s_cselect_b64 s[16:17], -1, 0
	s_andn2_b64 s[50:51], s[50:51], exec
	s_and_b64 s[16:17], s[16:17], exec
	v_lshl_add_u64 v[0:1], v[0:1], 0, 8
	v_lshl_add_u64 v[22:23], v[22:23], 0, 8
	s_andn2_b64 s[48:49], s[48:49], exec
	s_or_b64 s[50:51], s[50:51], s[16:17]
	s_branch .LBB505_914
.LBB505_917:
	s_or_b64 exec, exec, s[44:45]
	s_and_saveexec_b64 s[14:15], s[46:47]
	s_xor_b64 s[14:15], exec, s[14:15]
; %bb.918:
	v_cndmask_b32_e64 v1, v11, v13, s[30:31]
	v_cndmask_b32_e64 v0, v10, v12, s[30:31]
	v_cndmask_b32_e64 v13, v13, v11, s[30:31]
	v_cndmask_b32_e64 v12, v12, v10, s[30:31]
	v_mov_b64_e32 v[10:11], v[0:1]
; %bb.919:
	s_or_b64 exec, exec, s[14:15]
.LBB505_920:
	s_or_b64 exec, exec, s[28:29]
	s_and_saveexec_b64 s[28:29], s[18:19]
	s_cbranch_execz .LBB505_929
; %bb.921:
	s_andn2_b64 vcc, exec, s[42:43]
	s_cbranch_vccnz .LBB505_929
; %bb.922:
	v_mul_lo_u32 v22, v9, s36
	v_mul_lo_u32 v23, v8, s37
	v_mad_u64_u32 v[0:1], s[14:15], v8, s36, 0
	v_add3_u32 v1, v1, v23, v22
	v_mul_lo_u32 v25, v7, s36
	v_mul_lo_u32 v33, v6, s37
	v_mad_u64_u32 v[22:23], s[14:15], v6, s36, 0
	v_add3_u32 v23, v23, v33, v25
	v_lshl_add_u64 v[0:1], v[0:1], 3, s[38:39]
	v_lshl_add_u64 v[22:23], v[22:23], 3, s[38:39]
	s_mov_b64 s[30:31], 0
	s_mov_b64 s[52:53], s[36:37]
                                        ; implicit-def: $sgpr18_sgpr19
                                        ; implicit-def: $sgpr44_sgpr45
                                        ; implicit-def: $sgpr48_sgpr49
                                        ; implicit-def: $sgpr46_sgpr47
                                        ; implicit-def: $sgpr50_sgpr51
	s_branch .LBB505_924
.LBB505_923:                            ;   in Loop: Header=BB505_924 Depth=1
	s_or_b64 exec, exec, s[54:55]
	s_and_b64 s[14:15], s[14:15], s[50:51]
	s_or_b64 s[14:15], vcc, s[14:15]
	s_and_b64 s[16:17], exec, s[48:49]
	s_or_b64 s[30:31], s[16:17], s[30:31]
	s_andn2_b64 s[16:17], s[50:51], exec
	s_and_b64 s[14:15], s[14:15], exec
	s_or_b64 s[50:51], s[16:17], s[14:15]
	s_andn2_b64 s[16:17], s[44:45], exec
	s_and_b64 s[44:45], s[46:47], exec
	s_or_b64 s[44:45], s[16:17], s[44:45]
	s_andn2_b64 s[16:17], s[18:19], exec
	s_or_b64 s[18:19], s[16:17], s[14:15]
	s_andn2_b64 exec, exec, s[30:31]
	s_cbranch_execz .LBB505_926
.LBB505_924:                            ; =>This Inner Loop Header: Depth=1
	global_load_dwordx2 v[34:35], v[0:1], off
	global_load_dwordx2 v[36:37], v[22:23], off
	s_or_b64 s[46:47], s[46:47], exec
	s_or_b64 s[48:49], s[48:49], exec
	s_waitcnt vmcnt(0)
	v_cmp_lt_i64_e32 vcc, v[34:35], v[36:37]
	v_cmp_le_i64_e64 s[14:15], v[34:35], v[36:37]
	v_cmp_eq_u64_e64 s[16:17], v[34:35], v[36:37]
	s_and_saveexec_b64 s[54:55], s[16:17]
	s_cbranch_execz .LBB505_923
; %bb.925:                              ;   in Loop: Header=BB505_924 Depth=1
	s_add_u32 s52, s52, -1
	s_addc_u32 s53, s53, -1
	s_cmp_eq_u64 s[52:53], 0
	s_cselect_b64 s[16:17], -1, 0
	s_andn2_b64 s[48:49], s[48:49], exec
	s_and_b64 s[16:17], s[16:17], exec
	v_lshl_add_u64 v[0:1], v[0:1], 0, 8
	v_lshl_add_u64 v[22:23], v[22:23], 0, 8
	s_andn2_b64 s[46:47], s[46:47], exec
	s_or_b64 s[48:49], s[48:49], s[16:17]
	s_branch .LBB505_923
.LBB505_926:
	s_or_b64 exec, exec, s[30:31]
	s_and_saveexec_b64 s[14:15], s[44:45]
	s_xor_b64 s[14:15], exec, s[14:15]
; %bb.927:
	v_cndmask_b32_e64 v1, v7, v9, s[18:19]
	v_cndmask_b32_e64 v0, v6, v8, s[18:19]
	;; [unrolled: 1-line block ×4, first 2 shown]
	v_mov_b64_e32 v[6:7], v[0:1]
; %bb.928:
	s_or_b64 exec, exec, s[14:15]
.LBB505_929:
	s_or_b64 exec, exec, s[28:29]
	s_and_saveexec_b64 s[18:19], s[20:21]
	s_cbranch_execz .LBB505_938
; %bb.930:
	s_andn2_b64 vcc, exec, s[42:43]
	s_cbranch_vccnz .LBB505_938
; %bb.931:
	v_mul_lo_u32 v22, v5, s36
	v_mul_lo_u32 v23, v4, s37
	v_mad_u64_u32 v[0:1], s[14:15], v4, s36, 0
	v_add3_u32 v1, v1, v23, v22
	v_mul_lo_u32 v25, v3, s36
	v_mul_lo_u32 v33, v2, s37
	v_mad_u64_u32 v[22:23], s[14:15], v2, s36, 0
	v_add3_u32 v23, v23, v33, v25
	v_lshl_add_u64 v[0:1], v[0:1], 3, s[38:39]
	v_lshl_add_u64 v[22:23], v[22:23], 3, s[38:39]
	s_mov_b64 s[28:29], 0
	s_mov_b64 s[50:51], s[36:37]
                                        ; implicit-def: $sgpr20_sgpr21
                                        ; implicit-def: $sgpr30_sgpr31
                                        ; implicit-def: $sgpr46_sgpr47
                                        ; implicit-def: $sgpr44_sgpr45
                                        ; implicit-def: $sgpr48_sgpr49
	s_branch .LBB505_933
.LBB505_932:                            ;   in Loop: Header=BB505_933 Depth=1
	s_or_b64 exec, exec, s[52:53]
	s_and_b64 s[14:15], s[14:15], s[48:49]
	s_or_b64 s[14:15], vcc, s[14:15]
	s_and_b64 s[16:17], exec, s[46:47]
	s_or_b64 s[28:29], s[16:17], s[28:29]
	s_andn2_b64 s[16:17], s[48:49], exec
	s_and_b64 s[14:15], s[14:15], exec
	s_or_b64 s[48:49], s[16:17], s[14:15]
	s_andn2_b64 s[16:17], s[30:31], exec
	s_and_b64 s[30:31], s[44:45], exec
	s_or_b64 s[30:31], s[16:17], s[30:31]
	s_andn2_b64 s[16:17], s[20:21], exec
	s_or_b64 s[20:21], s[16:17], s[14:15]
	s_andn2_b64 exec, exec, s[28:29]
	s_cbranch_execz .LBB505_935
.LBB505_933:                            ; =>This Inner Loop Header: Depth=1
	global_load_dwordx2 v[34:35], v[0:1], off
	global_load_dwordx2 v[36:37], v[22:23], off
	s_or_b64 s[44:45], s[44:45], exec
	s_or_b64 s[46:47], s[46:47], exec
	s_waitcnt vmcnt(0)
	v_cmp_lt_i64_e32 vcc, v[34:35], v[36:37]
	v_cmp_le_i64_e64 s[14:15], v[34:35], v[36:37]
	v_cmp_eq_u64_e64 s[16:17], v[34:35], v[36:37]
	s_and_saveexec_b64 s[52:53], s[16:17]
	s_cbranch_execz .LBB505_932
; %bb.934:                              ;   in Loop: Header=BB505_933 Depth=1
	s_add_u32 s50, s50, -1
	s_addc_u32 s51, s51, -1
	s_cmp_eq_u64 s[50:51], 0
	s_cselect_b64 s[16:17], -1, 0
	s_andn2_b64 s[46:47], s[46:47], exec
	s_and_b64 s[16:17], s[16:17], exec
	v_lshl_add_u64 v[0:1], v[0:1], 0, 8
	v_lshl_add_u64 v[22:23], v[22:23], 0, 8
	s_andn2_b64 s[44:45], s[44:45], exec
	s_or_b64 s[46:47], s[46:47], s[16:17]
	s_branch .LBB505_932
.LBB505_935:
	s_or_b64 exec, exec, s[28:29]
	s_and_saveexec_b64 s[14:15], s[30:31]
	s_xor_b64 s[14:15], exec, s[14:15]
; %bb.936:
	v_cndmask_b32_e64 v1, v3, v5, s[20:21]
	v_cndmask_b32_e64 v0, v2, v4, s[20:21]
	v_cndmask_b32_e64 v5, v5, v3, s[20:21]
	v_cndmask_b32_e64 v4, v4, v2, s[20:21]
	v_mov_b64_e32 v[2:3], v[0:1]
; %bb.937:
	s_or_b64 exec, exec, s[14:15]
.LBB505_938:
	s_or_b64 exec, exec, s[18:19]
	s_and_saveexec_b64 s[18:19], s[22:23]
	s_cbranch_execz .LBB505_947
; %bb.939:
	s_andn2_b64 vcc, exec, s[42:43]
	s_cbranch_vccnz .LBB505_947
; %bb.940:
	v_mul_lo_u32 v22, v11, s36
	v_mul_lo_u32 v23, v10, s37
	v_mad_u64_u32 v[0:1], s[14:15], v10, s36, 0
	v_add3_u32 v1, v1, v23, v22
	v_mul_lo_u32 v25, v17, s36
	v_mul_lo_u32 v33, v16, s37
	v_mad_u64_u32 v[22:23], s[14:15], v16, s36, 0
	v_add3_u32 v23, v23, v33, v25
	v_lshl_add_u64 v[0:1], v[0:1], 3, s[38:39]
	v_lshl_add_u64 v[22:23], v[22:23], 3, s[38:39]
	s_mov_b64 s[22:23], 0
	s_mov_b64 s[48:49], s[36:37]
                                        ; implicit-def: $sgpr20_sgpr21
                                        ; implicit-def: $sgpr28_sgpr29
                                        ; implicit-def: $sgpr44_sgpr45
                                        ; implicit-def: $sgpr30_sgpr31
                                        ; implicit-def: $sgpr46_sgpr47
	s_branch .LBB505_942
.LBB505_941:                            ;   in Loop: Header=BB505_942 Depth=1
	s_or_b64 exec, exec, s[50:51]
	s_and_b64 s[14:15], s[14:15], s[46:47]
	s_or_b64 s[14:15], vcc, s[14:15]
	s_and_b64 s[16:17], exec, s[44:45]
	s_or_b64 s[22:23], s[16:17], s[22:23]
	s_andn2_b64 s[16:17], s[46:47], exec
	s_and_b64 s[14:15], s[14:15], exec
	s_or_b64 s[46:47], s[16:17], s[14:15]
	s_andn2_b64 s[16:17], s[28:29], exec
	s_and_b64 s[28:29], s[30:31], exec
	s_or_b64 s[28:29], s[16:17], s[28:29]
	s_andn2_b64 s[16:17], s[20:21], exec
	s_or_b64 s[20:21], s[16:17], s[14:15]
	s_andn2_b64 exec, exec, s[22:23]
	s_cbranch_execz .LBB505_944
.LBB505_942:                            ; =>This Inner Loop Header: Depth=1
	global_load_dwordx2 v[34:35], v[0:1], off
	global_load_dwordx2 v[36:37], v[22:23], off
	s_or_b64 s[30:31], s[30:31], exec
	s_or_b64 s[44:45], s[44:45], exec
	s_waitcnt vmcnt(0)
	v_cmp_lt_i64_e32 vcc, v[34:35], v[36:37]
	v_cmp_le_i64_e64 s[14:15], v[34:35], v[36:37]
	v_cmp_eq_u64_e64 s[16:17], v[34:35], v[36:37]
	s_and_saveexec_b64 s[50:51], s[16:17]
	s_cbranch_execz .LBB505_941
; %bb.943:                              ;   in Loop: Header=BB505_942 Depth=1
	s_add_u32 s48, s48, -1
	s_addc_u32 s49, s49, -1
	s_cmp_eq_u64 s[48:49], 0
	s_cselect_b64 s[16:17], -1, 0
	s_andn2_b64 s[44:45], s[44:45], exec
	s_and_b64 s[16:17], s[16:17], exec
	v_lshl_add_u64 v[0:1], v[0:1], 0, 8
	v_lshl_add_u64 v[22:23], v[22:23], 0, 8
	s_andn2_b64 s[30:31], s[30:31], exec
	s_or_b64 s[44:45], s[44:45], s[16:17]
	s_branch .LBB505_941
.LBB505_944:
	s_or_b64 exec, exec, s[22:23]
	s_and_saveexec_b64 s[14:15], s[28:29]
	s_xor_b64 s[14:15], exec, s[14:15]
; %bb.945:
	v_cndmask_b32_e64 v1, v17, v11, s[20:21]
	v_cndmask_b32_e64 v0, v16, v10, s[20:21]
	;; [unrolled: 1-line block ×4, first 2 shown]
	v_mov_b64_e32 v[16:17], v[0:1]
; %bb.946:
	s_or_b64 exec, exec, s[14:15]
.LBB505_947:
	s_or_b64 exec, exec, s[18:19]
	s_and_saveexec_b64 s[18:19], s[24:25]
	s_cbranch_execz .LBB505_956
; %bb.948:
	s_andn2_b64 vcc, exec, s[42:43]
	s_cbranch_vccnz .LBB505_956
; %bb.949:
	v_mul_lo_u32 v22, v7, s36
	v_mul_lo_u32 v23, v6, s37
	v_mad_u64_u32 v[0:1], s[14:15], v6, s36, 0
	v_add3_u32 v1, v1, v23, v22
	v_mul_lo_u32 v25, v13, s36
	v_mul_lo_u32 v33, v12, s37
	v_mad_u64_u32 v[22:23], s[14:15], v12, s36, 0
	v_add3_u32 v23, v23, v33, v25
	v_lshl_add_u64 v[0:1], v[0:1], 3, s[38:39]
	v_lshl_add_u64 v[22:23], v[22:23], 3, s[38:39]
	s_mov_b64 s[22:23], 0
	s_mov_b64 s[46:47], s[36:37]
                                        ; implicit-def: $sgpr20_sgpr21
                                        ; implicit-def: $sgpr24_sgpr25
                                        ; implicit-def: $sgpr30_sgpr31
                                        ; implicit-def: $sgpr28_sgpr29
                                        ; implicit-def: $sgpr44_sgpr45
	s_branch .LBB505_951
.LBB505_950:                            ;   in Loop: Header=BB505_951 Depth=1
	s_or_b64 exec, exec, s[48:49]
	s_and_b64 s[14:15], s[14:15], s[44:45]
	s_or_b64 s[14:15], vcc, s[14:15]
	s_and_b64 s[16:17], exec, s[30:31]
	s_or_b64 s[22:23], s[16:17], s[22:23]
	s_andn2_b64 s[16:17], s[44:45], exec
	s_and_b64 s[14:15], s[14:15], exec
	s_or_b64 s[44:45], s[16:17], s[14:15]
	s_andn2_b64 s[16:17], s[24:25], exec
	s_and_b64 s[24:25], s[28:29], exec
	s_or_b64 s[24:25], s[16:17], s[24:25]
	s_andn2_b64 s[16:17], s[20:21], exec
	s_or_b64 s[20:21], s[16:17], s[14:15]
	s_andn2_b64 exec, exec, s[22:23]
	s_cbranch_execz .LBB505_953
.LBB505_951:                            ; =>This Inner Loop Header: Depth=1
	global_load_dwordx2 v[34:35], v[0:1], off
	global_load_dwordx2 v[36:37], v[22:23], off
	s_or_b64 s[28:29], s[28:29], exec
	s_or_b64 s[30:31], s[30:31], exec
	s_waitcnt vmcnt(0)
	v_cmp_lt_i64_e32 vcc, v[34:35], v[36:37]
	v_cmp_le_i64_e64 s[14:15], v[34:35], v[36:37]
	v_cmp_eq_u64_e64 s[16:17], v[34:35], v[36:37]
	s_and_saveexec_b64 s[48:49], s[16:17]
	s_cbranch_execz .LBB505_950
; %bb.952:                              ;   in Loop: Header=BB505_951 Depth=1
	s_add_u32 s46, s46, -1
	s_addc_u32 s47, s47, -1
	s_cmp_eq_u64 s[46:47], 0
	s_cselect_b64 s[16:17], -1, 0
	s_andn2_b64 s[30:31], s[30:31], exec
	s_and_b64 s[16:17], s[16:17], exec
	v_lshl_add_u64 v[0:1], v[0:1], 0, 8
	v_lshl_add_u64 v[22:23], v[22:23], 0, 8
	s_andn2_b64 s[28:29], s[28:29], exec
	s_or_b64 s[30:31], s[30:31], s[16:17]
	s_branch .LBB505_950
.LBB505_953:
	s_or_b64 exec, exec, s[22:23]
	s_and_saveexec_b64 s[14:15], s[24:25]
	s_xor_b64 s[14:15], exec, s[14:15]
; %bb.954:
	v_cndmask_b32_e64 v1, v13, v7, s[20:21]
	v_cndmask_b32_e64 v0, v12, v6, s[20:21]
	;; [unrolled: 1-line block ×4, first 2 shown]
	v_mov_b64_e32 v[12:13], v[0:1]
; %bb.955:
	s_or_b64 exec, exec, s[14:15]
.LBB505_956:
	s_or_b64 exec, exec, s[18:19]
	s_and_saveexec_b64 s[18:19], s[26:27]
	s_cbranch_execz .LBB505_965
; %bb.957:
	s_andn2_b64 vcc, exec, s[42:43]
	s_cbranch_vccnz .LBB505_965
; %bb.958:
	v_mul_lo_u32 v22, v3, s36
	v_mul_lo_u32 v23, v2, s37
	v_mad_u64_u32 v[0:1], s[14:15], v2, s36, 0
	v_add3_u32 v1, v1, v23, v22
	v_mul_lo_u32 v25, v9, s36
	v_mul_lo_u32 v33, v8, s37
	v_mad_u64_u32 v[22:23], s[14:15], v8, s36, 0
	v_add3_u32 v23, v23, v33, v25
	v_lshl_add_u64 v[0:1], v[0:1], 3, s[38:39]
	v_lshl_add_u64 v[22:23], v[22:23], 3, s[38:39]
	s_mov_b64 s[22:23], 0
	s_mov_b64 s[44:45], s[36:37]
                                        ; implicit-def: $sgpr20_sgpr21
                                        ; implicit-def: $sgpr24_sgpr25
                                        ; implicit-def: $sgpr28_sgpr29
                                        ; implicit-def: $sgpr26_sgpr27
                                        ; implicit-def: $sgpr30_sgpr31
	s_branch .LBB505_960
.LBB505_959:                            ;   in Loop: Header=BB505_960 Depth=1
	s_or_b64 exec, exec, s[46:47]
	s_and_b64 s[14:15], s[14:15], s[30:31]
	s_or_b64 s[14:15], vcc, s[14:15]
	s_and_b64 s[16:17], exec, s[28:29]
	s_or_b64 s[22:23], s[16:17], s[22:23]
	s_andn2_b64 s[16:17], s[30:31], exec
	s_and_b64 s[14:15], s[14:15], exec
	s_or_b64 s[30:31], s[16:17], s[14:15]
	s_andn2_b64 s[16:17], s[24:25], exec
	s_and_b64 s[24:25], s[26:27], exec
	s_or_b64 s[24:25], s[16:17], s[24:25]
	s_andn2_b64 s[16:17], s[20:21], exec
	s_or_b64 s[20:21], s[16:17], s[14:15]
	s_andn2_b64 exec, exec, s[22:23]
	s_cbranch_execz .LBB505_962
.LBB505_960:                            ; =>This Inner Loop Header: Depth=1
	global_load_dwordx2 v[34:35], v[0:1], off
	global_load_dwordx2 v[36:37], v[22:23], off
	s_or_b64 s[26:27], s[26:27], exec
	s_or_b64 s[28:29], s[28:29], exec
	s_waitcnt vmcnt(0)
	v_cmp_lt_i64_e32 vcc, v[34:35], v[36:37]
	v_cmp_le_i64_e64 s[14:15], v[34:35], v[36:37]
	v_cmp_eq_u64_e64 s[16:17], v[34:35], v[36:37]
	s_and_saveexec_b64 s[46:47], s[16:17]
	s_cbranch_execz .LBB505_959
; %bb.961:                              ;   in Loop: Header=BB505_960 Depth=1
	s_add_u32 s44, s44, -1
	s_addc_u32 s45, s45, -1
	s_cmp_eq_u64 s[44:45], 0
	s_cselect_b64 s[16:17], -1, 0
	s_andn2_b64 s[28:29], s[28:29], exec
	s_and_b64 s[16:17], s[16:17], exec
	v_lshl_add_u64 v[0:1], v[0:1], 0, 8
	v_lshl_add_u64 v[22:23], v[22:23], 0, 8
	s_andn2_b64 s[26:27], s[26:27], exec
	s_or_b64 s[28:29], s[28:29], s[16:17]
	s_branch .LBB505_959
.LBB505_962:
	s_or_b64 exec, exec, s[22:23]
	s_and_saveexec_b64 s[14:15], s[24:25]
	s_xor_b64 s[14:15], exec, s[14:15]
; %bb.963:
	v_cndmask_b32_e64 v1, v9, v3, s[20:21]
	v_cndmask_b32_e64 v0, v8, v2, s[20:21]
	;; [unrolled: 1-line block ×4, first 2 shown]
	v_mov_b64_e32 v[8:9], v[0:1]
; %bb.964:
	s_or_b64 exec, exec, s[14:15]
.LBB505_965:
	s_or_b64 exec, exec, s[18:19]
	v_mbcnt_lo_u32_b32 v0, -1, 0
	v_mbcnt_hi_u32_b32 v0, -1, v0
	v_and_b32_e32 v1, 0xfffffe00, v24
	v_lshlrev_b32_e32 v33, 3, v1
	v_lshlrev_b32_e32 v35, 3, v0
	v_sub_u32_e64 v34, s33, v1 clamp
	v_lshl_add_u32 v36, v0, 6, v33
	v_or_b32_e32 v0, 8, v35
	v_min_u32_e32 v24, v34, v0
	v_add_u32_e32 v0, 8, v24
	v_and_b32_e32 v39, 0x3f0, v35
	v_min_u32_e32 v25, v34, v0
	v_and_b32_e32 v0, 8, v35
	v_min_u32_e32 v40, v34, v0
	v_sub_u32_e32 v0, v24, v39
	v_sub_u32_e32 v1, v25, v24
	v_sub_u32_e64 v38, v40, v1 clamp
	v_min_u32_e32 v41, v40, v0
	v_lshl_add_u32 v37, v39, 3, v33
	v_cmp_lt_u32_e32 vcc, v38, v41
	ds_write_b128 v36, v[14:17]
	ds_write_b128 v36, v[10:13] offset:16
	ds_write_b128 v36, v[6:9] offset:32
	ds_write_b128 v36, v[2:5] offset:48
	; wave barrier
	s_and_saveexec_b64 s[20:21], vcc
	s_cbranch_execz .LBB505_975
; %bb.966:
	v_lshlrev_b32_e32 v0, 3, v24
	v_lshlrev_b32_e32 v1, 3, v40
	v_add3_u32 v42, v33, v0, v1
	v_cndmask_b32_e64 v0, 0, 1, s[42:43]
	s_lshl_b64 s[24:25], s[36:37], 3
	s_mov_b64 s[22:23], 0
	v_cmp_ne_u32_e64 s[14:15], 1, v0
	s_branch .LBB505_969
.LBB505_967:                            ;   in Loop: Header=BB505_969 Depth=1
	s_or_b64 exec, exec, s[28:29]
.LBB505_968:                            ;   in Loop: Header=BB505_969 Depth=1
	v_add_u32_e32 v0, 1, v43
	v_cndmask_b32_e64 v41, v41, v43, s[26:27]
	v_cndmask_b32_e64 v38, v0, v38, s[26:27]
	v_cmp_ge_u32_e32 vcc, v38, v41
	s_or_b64 s[22:23], vcc, s[22:23]
	s_andn2_b64 exec, exec, s[22:23]
	s_cbranch_execz .LBB505_974
.LBB505_969:                            ; =>This Loop Header: Depth=1
                                        ;     Child Loop BB505_972 Depth 2
	v_add_u32_e32 v0, v41, v38
	v_lshrrev_b32_e32 v43, 1, v0
	s_and_b64 vcc, exec, s[14:15]
	s_mov_b64 s[26:27], 0
	s_cbranch_vccnz .LBB505_968
; %bb.970:                              ;   in Loop: Header=BB505_969 Depth=1
	v_not_b32_e32 v0, v43
	v_lshl_add_u32 v0, v0, 3, v42
	ds_read_b64 v[0:1], v0
	v_lshl_add_u32 v44, v43, 3, v37
	ds_read_b64 v[44:45], v44
	v_mov_b64_e32 v[22:23], s[38:39]
	s_mov_b64 s[28:29], 0
	s_waitcnt lgkmcnt(1)
	v_mul_lo_u32 v46, s24, v1
	v_mul_lo_u32 v47, s25, v0
	v_mad_u64_u32 v[0:1], s[16:17], s24, v0, v[22:23]
	v_add3_u32 v1, v47, v1, v46
	s_waitcnt lgkmcnt(0)
	v_mul_lo_u32 v45, s24, v45
	v_mul_lo_u32 v46, s25, v44
	v_mad_u64_u32 v[22:23], s[16:17], s24, v44, v[22:23]
	v_add3_u32 v23, v46, v23, v45
	s_mov_b64 s[44:45], s[36:37]
                                        ; implicit-def: $sgpr26_sgpr27
                                        ; implicit-def: $sgpr30_sgpr31
                                        ; implicit-def: $sgpr16_sgpr17
                                        ; implicit-def: $sgpr46_sgpr47
	s_branch .LBB505_972
.LBB505_971:                            ;   in Loop: Header=BB505_972 Depth=2
	s_or_b64 exec, exec, s[50:51]
	s_and_b64 s[18:19], exec, s[30:31]
	s_or_b64 s[28:29], s[18:19], s[28:29]
	s_andn2_b64 s[18:19], s[46:47], exec
	s_and_b64 s[46:47], s[48:49], exec
	s_or_b64 s[46:47], s[18:19], s[46:47]
	s_andn2_b64 s[18:19], s[26:27], exec
	s_and_b64 s[26:27], s[16:17], exec
	s_or_b64 s[26:27], s[18:19], s[26:27]
	s_andn2_b64 exec, exec, s[28:29]
	s_cbranch_execz .LBB505_967
.LBB505_972:                            ;   Parent Loop BB505_969 Depth=1
                                        ; =>  This Inner Loop Header: Depth=2
	global_load_dwordx2 v[44:45], v[0:1], off
	global_load_dwordx2 v[46:47], v[22:23], off
	s_andn2_b64 s[50:51], s[16:17], exec
	s_or_b64 s[30:31], s[30:31], exec
	s_waitcnt vmcnt(0)
	v_cmp_le_i64_e64 s[16:17], v[44:45], v[46:47]
	v_cmp_lt_i64_e32 vcc, v[44:45], v[46:47]
	s_and_b64 s[16:17], s[16:17], s[46:47]
	s_or_b64 s[48:49], vcc, s[16:17]
	s_and_b64 s[16:17], s[48:49], exec
	v_cmp_eq_u64_e64 s[18:19], v[44:45], v[46:47]
	s_or_b64 s[16:17], s[50:51], s[16:17]
	s_and_saveexec_b64 s[50:51], s[18:19]
	s_cbranch_execz .LBB505_971
; %bb.973:                              ;   in Loop: Header=BB505_972 Depth=2
	s_add_u32 s44, s44, -1
	s_addc_u32 s45, s45, -1
	s_cmp_eq_u64 s[44:45], 0
	s_cselect_b64 s[18:19], -1, 0
	s_andn2_b64 s[30:31], s[30:31], exec
	s_and_b64 s[18:19], s[18:19], exec
	v_lshl_add_u64 v[0:1], v[0:1], 0, 8
	v_lshl_add_u64 v[22:23], v[22:23], 0, 8
	s_andn2_b64 s[16:17], s[16:17], exec
	s_or_b64 s[30:31], s[30:31], s[18:19]
                                        ; implicit-def: $sgpr46_sgpr47
	s_branch .LBB505_971
.LBB505_974:
	s_or_b64 exec, exec, s[22:23]
.LBB505_975:
	s_or_b64 exec, exec, s[20:21]
	v_add_u32_e32 v0, v24, v40
	v_add_u32_e32 v23, v38, v39
	v_sub_u32_e32 v39, v0, v38
	v_cmp_le_u32_e32 vcc, v23, v24
	v_cmp_le_u32_e64 s[14:15], v39, v25
	s_or_b64 s[14:15], vcc, s[14:15]
	s_and_saveexec_b64 s[18:19], s[14:15]
	s_cbranch_execz .LBB505_1066
; %bb.976:
	v_cmp_ge_u32_e32 vcc, v23, v24
	v_cmp_lt_u32_e64 s[14:15], v23, v24
                                        ; implicit-def: $vgpr0_vgpr1
	s_and_saveexec_b64 s[16:17], s[14:15]
; %bb.977:
	v_lshl_add_u32 v0, v38, 3, v37
	ds_read_b64 v[0:1], v0
; %bb.978:
	s_or_b64 exec, exec, s[16:17]
	v_cmp_ge_u32_e64 s[20:21], v39, v25
	v_cmp_lt_u32_e64 s[14:15], v39, v25
                                        ; implicit-def: $vgpr2_vgpr3
	s_and_saveexec_b64 s[16:17], s[14:15]
; %bb.979:
	v_lshl_add_u32 v2, v39, 3, v33
	ds_read_b64 v[2:3], v2
; %bb.980:
	s_or_b64 exec, exec, s[16:17]
	s_nor_b64 s[14:15], vcc, s[20:21]
	s_and_saveexec_b64 s[22:23], s[14:15]
	s_cbranch_execz .LBB505_989
; %bb.981:
	s_andn2_b64 vcc, exec, s[42:43]
	s_cbranch_vccnz .LBB505_987
; %bb.982:
	s_waitcnt lgkmcnt(0)
	v_mul_lo_u32 v6, v3, s36
	v_mul_lo_u32 v7, v2, s37
	v_mad_u64_u32 v[4:5], s[14:15], v2, s36, 0
	v_add3_u32 v5, v5, v7, v6
	v_mul_lo_u32 v8, v1, s36
	v_mul_lo_u32 v9, v0, s37
	v_mad_u64_u32 v[6:7], s[14:15], v0, s36, 0
	v_add3_u32 v7, v7, v9, v8
	v_lshl_add_u64 v[4:5], v[4:5], 3, s[38:39]
	v_lshl_add_u64 v[6:7], v[6:7], 3, s[38:39]
	s_mov_b64 s[24:25], 0
	s_mov_b64 s[30:31], s[36:37]
                                        ; implicit-def: $sgpr26_sgpr27
                                        ; implicit-def: $sgpr28_sgpr29
                                        ; implicit-def: $sgpr14_sgpr15
                                        ; implicit-def: $sgpr44_sgpr45
	s_branch .LBB505_984
.LBB505_983:                            ;   in Loop: Header=BB505_984 Depth=1
	s_or_b64 exec, exec, s[48:49]
	s_and_b64 s[16:17], exec, s[28:29]
	s_or_b64 s[24:25], s[16:17], s[24:25]
	s_andn2_b64 s[16:17], s[44:45], exec
	s_and_b64 s[44:45], s[46:47], exec
	s_or_b64 s[44:45], s[16:17], s[44:45]
	s_andn2_b64 s[16:17], s[26:27], exec
	s_and_b64 s[26:27], s[14:15], exec
	s_or_b64 s[26:27], s[16:17], s[26:27]
	s_andn2_b64 exec, exec, s[24:25]
	s_cbranch_execz .LBB505_986
.LBB505_984:                            ; =>This Inner Loop Header: Depth=1
	global_load_dwordx2 v[8:9], v[4:5], off
	global_load_dwordx2 v[10:11], v[6:7], off
	s_andn2_b64 s[48:49], s[14:15], exec
	s_or_b64 s[28:29], s[28:29], exec
	s_waitcnt vmcnt(0)
	v_cmp_le_i64_e64 s[14:15], v[8:9], v[10:11]
	v_cmp_lt_i64_e32 vcc, v[8:9], v[10:11]
	s_and_b64 s[14:15], s[14:15], s[44:45]
	s_or_b64 s[46:47], vcc, s[14:15]
	s_and_b64 s[14:15], s[46:47], exec
	v_cmp_eq_u64_e64 s[16:17], v[8:9], v[10:11]
	s_or_b64 s[14:15], s[48:49], s[14:15]
	s_and_saveexec_b64 s[48:49], s[16:17]
	s_cbranch_execz .LBB505_983
; %bb.985:                              ;   in Loop: Header=BB505_984 Depth=1
	s_add_u32 s30, s30, -1
	s_addc_u32 s31, s31, -1
	s_cmp_eq_u64 s[30:31], 0
	s_cselect_b64 s[16:17], -1, 0
	s_andn2_b64 s[28:29], s[28:29], exec
	s_and_b64 s[16:17], s[16:17], exec
	v_lshl_add_u64 v[4:5], v[4:5], 0, 8
	v_lshl_add_u64 v[6:7], v[6:7], 0, 8
	s_andn2_b64 s[14:15], s[14:15], exec
	s_or_b64 s[28:29], s[28:29], s[16:17]
                                        ; implicit-def: $sgpr44_sgpr45
	s_branch .LBB505_983
.LBB505_986:
	s_or_b64 exec, exec, s[24:25]
	s_xor_b64 s[14:15], s[26:27], -1
	s_branch .LBB505_988
.LBB505_987:
	s_mov_b64 s[14:15], -1
.LBB505_988:
	s_andn2_b64 s[16:17], s[20:21], exec
	s_and_b64 s[14:15], s[14:15], exec
	s_or_b64 s[20:21], s[16:17], s[14:15]
.LBB505_989:
	s_or_b64 exec, exec, s[22:23]
	v_cndmask_b32_e64 v4, v39, v23, s[20:21]
	v_cndmask_b32_e64 v5, v25, v24, s[20:21]
	v_add_u32_e32 v6, 1, v4
	v_add_u32_e32 v4, -1, v5
	v_min_u32_e32 v4, v6, v4
	v_lshl_add_u32 v4, v4, 3, v33
	ds_read_b64 v[4:5], v4
	v_cndmask_b32_e64 v8, v6, v39, s[20:21]
	v_cndmask_b32_e64 v9, v23, v6, s[20:21]
	v_cmp_lt_u32_e32 vcc, v8, v25
	s_mov_b64 s[24:25], -1
	s_waitcnt lgkmcnt(0)
	v_cndmask_b32_e64 v14, v5, v3, s[20:21]
	v_cndmask_b32_e64 v15, v4, v2, s[20:21]
	;; [unrolled: 1-line block ×4, first 2 shown]
	s_mov_b64 s[22:23], -1
	s_and_saveexec_b64 s[26:27], vcc
	s_cbranch_execz .LBB505_1000
; %bb.990:
	v_cmp_lt_u32_e32 vcc, v9, v24
	s_mov_b64 s[14:15], 0
	s_and_saveexec_b64 s[22:23], vcc
	s_cbranch_execz .LBB505_999
; %bb.991:
	s_andn2_b64 vcc, exec, s[42:43]
	s_cbranch_vccnz .LBB505_997
; %bb.992:
	v_mul_lo_u32 v6, v14, s36
	v_mul_lo_u32 v7, v15, s37
	v_mad_u64_u32 v[4:5], s[14:15], v15, s36, 0
	v_add3_u32 v5, v5, v7, v6
	v_mul_lo_u32 v10, v16, s36
	v_mul_lo_u32 v11, v22, s37
	v_mad_u64_u32 v[6:7], s[14:15], v22, s36, 0
	v_add3_u32 v7, v7, v11, v10
	v_lshl_add_u64 v[4:5], v[4:5], 3, s[38:39]
	v_lshl_add_u64 v[6:7], v[6:7], 3, s[38:39]
	s_mov_b64 s[28:29], 0
	s_mov_b64 s[46:47], s[36:37]
                                        ; implicit-def: $sgpr30_sgpr31
                                        ; implicit-def: $sgpr44_sgpr45
                                        ; implicit-def: $sgpr14_sgpr15
                                        ; implicit-def: $sgpr48_sgpr49
	s_branch .LBB505_994
.LBB505_993:                            ;   in Loop: Header=BB505_994 Depth=1
	s_or_b64 exec, exec, s[52:53]
	s_and_b64 s[16:17], exec, s[44:45]
	s_or_b64 s[28:29], s[16:17], s[28:29]
	s_andn2_b64 s[16:17], s[48:49], exec
	s_and_b64 s[48:49], s[50:51], exec
	s_or_b64 s[48:49], s[16:17], s[48:49]
	s_andn2_b64 s[16:17], s[30:31], exec
	s_and_b64 s[30:31], s[14:15], exec
	s_or_b64 s[30:31], s[16:17], s[30:31]
	s_andn2_b64 exec, exec, s[28:29]
	s_cbranch_execz .LBB505_996
.LBB505_994:                            ; =>This Inner Loop Header: Depth=1
	global_load_dwordx2 v[10:11], v[4:5], off
	global_load_dwordx2 v[12:13], v[6:7], off
	s_andn2_b64 s[52:53], s[14:15], exec
	s_or_b64 s[44:45], s[44:45], exec
	s_waitcnt vmcnt(0)
	v_cmp_le_i64_e64 s[14:15], v[10:11], v[12:13]
	v_cmp_lt_i64_e32 vcc, v[10:11], v[12:13]
	s_and_b64 s[14:15], s[14:15], s[48:49]
	s_or_b64 s[50:51], vcc, s[14:15]
	s_and_b64 s[14:15], s[50:51], exec
	v_cmp_eq_u64_e64 s[16:17], v[10:11], v[12:13]
	s_or_b64 s[14:15], s[52:53], s[14:15]
	s_and_saveexec_b64 s[52:53], s[16:17]
	s_cbranch_execz .LBB505_993
; %bb.995:                              ;   in Loop: Header=BB505_994 Depth=1
	s_add_u32 s46, s46, -1
	s_addc_u32 s47, s47, -1
	s_cmp_eq_u64 s[46:47], 0
	s_cselect_b64 s[16:17], -1, 0
	s_andn2_b64 s[44:45], s[44:45], exec
	s_and_b64 s[16:17], s[16:17], exec
	v_lshl_add_u64 v[4:5], v[4:5], 0, 8
	v_lshl_add_u64 v[6:7], v[6:7], 0, 8
	s_andn2_b64 s[14:15], s[14:15], exec
	s_or_b64 s[44:45], s[44:45], s[16:17]
                                        ; implicit-def: $sgpr48_sgpr49
	s_branch .LBB505_993
.LBB505_996:
	s_or_b64 exec, exec, s[28:29]
	s_xor_b64 s[14:15], s[30:31], -1
	s_branch .LBB505_998
.LBB505_997:
	s_mov_b64 s[14:15], -1
.LBB505_998:
	s_and_b64 s[14:15], s[14:15], exec
.LBB505_999:
	s_or_b64 exec, exec, s[22:23]
	s_orn2_b64 s[22:23], s[14:15], exec
.LBB505_1000:
	s_or_b64 exec, exec, s[26:27]
	v_cndmask_b32_e64 v4, v8, v9, s[22:23]
	v_cndmask_b32_e64 v5, v25, v24, s[22:23]
	v_add_u32_e32 v6, 1, v4
	v_add_u32_e32 v4, -1, v5
	v_min_u32_e32 v4, v6, v4
	v_lshl_add_u32 v4, v4, 3, v33
	ds_read_b64 v[4:5], v4
	v_cndmask_b32_e64 v8, v6, v8, s[22:23]
	v_cndmask_b32_e64 v9, v9, v6, s[22:23]
	v_cmp_lt_u32_e32 vcc, v8, v25
	s_waitcnt lgkmcnt(0)
	v_cndmask_b32_e64 v10, v5, v14, s[22:23]
	v_cndmask_b32_e64 v17, v4, v15, s[22:23]
	v_cndmask_b32_e64 v11, v16, v5, s[22:23]
	v_cndmask_b32_e64 v23, v22, v4, s[22:23]
	s_and_saveexec_b64 s[26:27], vcc
	s_cbranch_execz .LBB505_1011
; %bb.1001:
	v_cmp_lt_u32_e32 vcc, v9, v24
	s_mov_b64 s[14:15], 0
	s_and_saveexec_b64 s[24:25], vcc
	s_cbranch_execz .LBB505_1010
; %bb.1002:
	s_andn2_b64 vcc, exec, s[42:43]
	s_cbranch_vccnz .LBB505_1008
; %bb.1003:
	v_mul_lo_u32 v6, v10, s36
	v_mul_lo_u32 v7, v17, s37
	v_mad_u64_u32 v[4:5], s[14:15], v17, s36, 0
	v_add3_u32 v5, v5, v7, v6
	v_mul_lo_u32 v12, v11, s36
	v_mul_lo_u32 v13, v23, s37
	v_mad_u64_u32 v[6:7], s[14:15], v23, s36, 0
	v_add3_u32 v7, v7, v13, v12
	v_lshl_add_u64 v[4:5], v[4:5], 3, s[38:39]
	v_lshl_add_u64 v[6:7], v[6:7], 3, s[38:39]
	s_mov_b64 s[28:29], 0
	s_mov_b64 s[46:47], s[36:37]
                                        ; implicit-def: $sgpr30_sgpr31
                                        ; implicit-def: $sgpr44_sgpr45
                                        ; implicit-def: $sgpr14_sgpr15
                                        ; implicit-def: $sgpr48_sgpr49
	s_branch .LBB505_1005
.LBB505_1004:                           ;   in Loop: Header=BB505_1005 Depth=1
	s_or_b64 exec, exec, s[52:53]
	s_and_b64 s[16:17], exec, s[44:45]
	s_or_b64 s[28:29], s[16:17], s[28:29]
	s_andn2_b64 s[16:17], s[48:49], exec
	s_and_b64 s[48:49], s[50:51], exec
	s_or_b64 s[48:49], s[16:17], s[48:49]
	s_andn2_b64 s[16:17], s[30:31], exec
	s_and_b64 s[30:31], s[14:15], exec
	s_or_b64 s[30:31], s[16:17], s[30:31]
	s_andn2_b64 exec, exec, s[28:29]
	s_cbranch_execz .LBB505_1007
.LBB505_1005:                           ; =>This Inner Loop Header: Depth=1
	global_load_dwordx2 v[12:13], v[4:5], off
	global_load_dwordx2 v[38:39], v[6:7], off
	s_andn2_b64 s[52:53], s[14:15], exec
	s_or_b64 s[44:45], s[44:45], exec
	s_waitcnt vmcnt(0)
	v_cmp_le_i64_e64 s[14:15], v[12:13], v[38:39]
	v_cmp_lt_i64_e32 vcc, v[12:13], v[38:39]
	s_and_b64 s[14:15], s[14:15], s[48:49]
	s_or_b64 s[50:51], vcc, s[14:15]
	s_and_b64 s[14:15], s[50:51], exec
	v_cmp_eq_u64_e64 s[16:17], v[12:13], v[38:39]
	s_or_b64 s[14:15], s[52:53], s[14:15]
	s_and_saveexec_b64 s[52:53], s[16:17]
	s_cbranch_execz .LBB505_1004
; %bb.1006:                             ;   in Loop: Header=BB505_1005 Depth=1
	s_add_u32 s46, s46, -1
	s_addc_u32 s47, s47, -1
	s_cmp_eq_u64 s[46:47], 0
	s_cselect_b64 s[16:17], -1, 0
	s_andn2_b64 s[44:45], s[44:45], exec
	s_and_b64 s[16:17], s[16:17], exec
	v_lshl_add_u64 v[4:5], v[4:5], 0, 8
	v_lshl_add_u64 v[6:7], v[6:7], 0, 8
	s_andn2_b64 s[14:15], s[14:15], exec
	s_or_b64 s[44:45], s[44:45], s[16:17]
                                        ; implicit-def: $sgpr48_sgpr49
	s_branch .LBB505_1004
.LBB505_1007:
	s_or_b64 exec, exec, s[28:29]
	s_xor_b64 s[14:15], s[30:31], -1
	s_branch .LBB505_1009
.LBB505_1008:
	s_mov_b64 s[14:15], -1
.LBB505_1009:
	s_and_b64 s[14:15], s[14:15], exec
.LBB505_1010:
	s_or_b64 exec, exec, s[24:25]
	s_orn2_b64 s[24:25], s[14:15], exec
.LBB505_1011:
	s_or_b64 exec, exec, s[26:27]
	v_cndmask_b32_e64 v4, v8, v9, s[24:25]
	v_cndmask_b32_e64 v5, v25, v24, s[24:25]
	v_add_u32_e32 v6, 1, v4
	v_add_u32_e32 v4, -1, v5
	v_min_u32_e32 v4, v6, v4
	v_lshl_add_u32 v4, v4, 3, v33
	ds_read_b64 v[4:5], v4
	v_cndmask_b32_e64 v8, v6, v8, s[24:25]
	v_cndmask_b32_e64 v9, v9, v6, s[24:25]
	v_cmp_lt_u32_e32 vcc, v8, v25
	s_mov_b64 s[28:29], -1
	s_waitcnt lgkmcnt(0)
	v_cndmask_b32_e64 v12, v5, v10, s[24:25]
	v_cndmask_b32_e64 v37, v4, v17, s[24:25]
	;; [unrolled: 1-line block ×4, first 2 shown]
	s_mov_b64 s[26:27], -1
	s_and_saveexec_b64 s[30:31], vcc
	s_cbranch_execz .LBB505_1022
; %bb.1012:
	v_cmp_lt_u32_e32 vcc, v9, v24
	s_mov_b64 s[14:15], 0
	s_and_saveexec_b64 s[26:27], vcc
	s_cbranch_execz .LBB505_1021
; %bb.1013:
	s_andn2_b64 vcc, exec, s[42:43]
	s_cbranch_vccnz .LBB505_1019
; %bb.1014:
	v_mul_lo_u32 v6, v12, s36
	v_mul_lo_u32 v7, v37, s37
	v_mad_u64_u32 v[4:5], s[14:15], v37, s36, 0
	v_add3_u32 v5, v5, v7, v6
	v_mul_lo_u32 v39, v13, s36
	v_mul_lo_u32 v40, v38, s37
	v_mad_u64_u32 v[6:7], s[14:15], v38, s36, 0
	v_add3_u32 v7, v7, v40, v39
	v_lshl_add_u64 v[4:5], v[4:5], 3, s[38:39]
	v_lshl_add_u64 v[6:7], v[6:7], 3, s[38:39]
	s_mov_b64 s[44:45], 0
	s_mov_b64 s[50:51], s[36:37]
                                        ; implicit-def: $sgpr46_sgpr47
                                        ; implicit-def: $sgpr48_sgpr49
                                        ; implicit-def: $sgpr14_sgpr15
                                        ; implicit-def: $sgpr52_sgpr53
	s_branch .LBB505_1016
.LBB505_1015:                           ;   in Loop: Header=BB505_1016 Depth=1
	s_or_b64 exec, exec, s[56:57]
	s_and_b64 s[16:17], exec, s[48:49]
	s_or_b64 s[44:45], s[16:17], s[44:45]
	s_andn2_b64 s[16:17], s[52:53], exec
	s_and_b64 s[52:53], s[54:55], exec
	s_or_b64 s[52:53], s[16:17], s[52:53]
	s_andn2_b64 s[16:17], s[46:47], exec
	s_and_b64 s[46:47], s[14:15], exec
	s_or_b64 s[46:47], s[16:17], s[46:47]
	s_andn2_b64 exec, exec, s[44:45]
	s_cbranch_execz .LBB505_1018
.LBB505_1016:                           ; =>This Inner Loop Header: Depth=1
	global_load_dwordx2 v[40:41], v[4:5], off
	global_load_dwordx2 v[42:43], v[6:7], off
	s_andn2_b64 s[56:57], s[14:15], exec
	s_or_b64 s[48:49], s[48:49], exec
	s_waitcnt vmcnt(0)
	v_cmp_le_i64_e64 s[14:15], v[40:41], v[42:43]
	v_cmp_lt_i64_e32 vcc, v[40:41], v[42:43]
	s_and_b64 s[14:15], s[14:15], s[52:53]
	s_or_b64 s[54:55], vcc, s[14:15]
	s_and_b64 s[14:15], s[54:55], exec
	v_cmp_eq_u64_e64 s[16:17], v[40:41], v[42:43]
	s_or_b64 s[14:15], s[56:57], s[14:15]
	s_and_saveexec_b64 s[56:57], s[16:17]
	s_cbranch_execz .LBB505_1015
; %bb.1017:                             ;   in Loop: Header=BB505_1016 Depth=1
	s_add_u32 s50, s50, -1
	s_addc_u32 s51, s51, -1
	s_cmp_eq_u64 s[50:51], 0
	s_cselect_b64 s[16:17], -1, 0
	s_andn2_b64 s[48:49], s[48:49], exec
	s_and_b64 s[16:17], s[16:17], exec
	v_lshl_add_u64 v[4:5], v[4:5], 0, 8
	v_lshl_add_u64 v[6:7], v[6:7], 0, 8
	s_andn2_b64 s[14:15], s[14:15], exec
	s_or_b64 s[48:49], s[48:49], s[16:17]
                                        ; implicit-def: $sgpr52_sgpr53
	s_branch .LBB505_1015
.LBB505_1018:
	s_or_b64 exec, exec, s[44:45]
	s_xor_b64 s[14:15], s[46:47], -1
	s_branch .LBB505_1020
.LBB505_1019:
	s_mov_b64 s[14:15], -1
.LBB505_1020:
	s_and_b64 s[14:15], s[14:15], exec
.LBB505_1021:
	s_or_b64 exec, exec, s[26:27]
	s_orn2_b64 s[26:27], s[14:15], exec
.LBB505_1022:
	s_or_b64 exec, exec, s[30:31]
	v_cndmask_b32_e64 v4, v8, v9, s[26:27]
	v_cndmask_b32_e64 v5, v25, v24, s[26:27]
	v_add_u32_e32 v6, 1, v4
	v_add_u32_e32 v4, -1, v5
	v_min_u32_e32 v4, v6, v4
	v_lshl_add_u32 v4, v4, 3, v33
	ds_read_b64 v[4:5], v4
	v_cndmask_b32_e64 v45, v6, v8, s[26:27]
	v_cndmask_b32_e64 v46, v9, v6, s[26:27]
	v_cmp_lt_u32_e32 vcc, v45, v25
	s_waitcnt lgkmcnt(0)
	v_cndmask_b32_e64 v39, v5, v12, s[26:27]
	v_cndmask_b32_e64 v40, v4, v37, s[26:27]
	;; [unrolled: 1-line block ×4, first 2 shown]
	s_and_saveexec_b64 s[30:31], vcc
	s_cbranch_execz .LBB505_1033
; %bb.1023:
	v_cmp_lt_u32_e32 vcc, v46, v24
	s_mov_b64 s[14:15], 0
	s_and_saveexec_b64 s[28:29], vcc
	s_cbranch_execz .LBB505_1032
; %bb.1024:
	s_andn2_b64 vcc, exec, s[42:43]
	s_cbranch_vccnz .LBB505_1030
; %bb.1025:
	v_mul_lo_u32 v6, v39, s36
	v_mul_lo_u32 v7, v40, s37
	v_mad_u64_u32 v[4:5], s[14:15], v40, s36, 0
	v_add3_u32 v5, v5, v7, v6
	v_mul_lo_u32 v8, v41, s36
	v_mul_lo_u32 v9, v42, s37
	v_mad_u64_u32 v[6:7], s[14:15], v42, s36, 0
	v_add3_u32 v7, v7, v9, v8
	v_lshl_add_u64 v[4:5], v[4:5], 3, s[38:39]
	v_lshl_add_u64 v[6:7], v[6:7], 3, s[38:39]
	s_mov_b64 s[44:45], 0
	s_mov_b64 s[50:51], s[36:37]
                                        ; implicit-def: $sgpr46_sgpr47
                                        ; implicit-def: $sgpr48_sgpr49
                                        ; implicit-def: $sgpr14_sgpr15
                                        ; implicit-def: $sgpr52_sgpr53
	s_branch .LBB505_1027
.LBB505_1026:                           ;   in Loop: Header=BB505_1027 Depth=1
	s_or_b64 exec, exec, s[56:57]
	s_and_b64 s[16:17], exec, s[48:49]
	s_or_b64 s[44:45], s[16:17], s[44:45]
	s_andn2_b64 s[16:17], s[52:53], exec
	s_and_b64 s[52:53], s[54:55], exec
	s_or_b64 s[52:53], s[16:17], s[52:53]
	s_andn2_b64 s[16:17], s[46:47], exec
	s_and_b64 s[46:47], s[14:15], exec
	s_or_b64 s[46:47], s[16:17], s[46:47]
	s_andn2_b64 exec, exec, s[44:45]
	s_cbranch_execz .LBB505_1029
.LBB505_1027:                           ; =>This Inner Loop Header: Depth=1
	global_load_dwordx2 v[8:9], v[4:5], off
	global_load_dwordx2 v[48:49], v[6:7], off
	s_andn2_b64 s[56:57], s[14:15], exec
	s_or_b64 s[48:49], s[48:49], exec
	s_waitcnt vmcnt(0)
	v_cmp_le_i64_e64 s[14:15], v[8:9], v[48:49]
	v_cmp_lt_i64_e32 vcc, v[8:9], v[48:49]
	s_and_b64 s[14:15], s[14:15], s[52:53]
	s_or_b64 s[54:55], vcc, s[14:15]
	s_and_b64 s[14:15], s[54:55], exec
	v_cmp_eq_u64_e64 s[16:17], v[8:9], v[48:49]
	s_or_b64 s[14:15], s[56:57], s[14:15]
	s_and_saveexec_b64 s[56:57], s[16:17]
	s_cbranch_execz .LBB505_1026
; %bb.1028:                             ;   in Loop: Header=BB505_1027 Depth=1
	s_add_u32 s50, s50, -1
	s_addc_u32 s51, s51, -1
	s_cmp_eq_u64 s[50:51], 0
	s_cselect_b64 s[16:17], -1, 0
	s_andn2_b64 s[48:49], s[48:49], exec
	s_and_b64 s[16:17], s[16:17], exec
	v_lshl_add_u64 v[4:5], v[4:5], 0, 8
	v_lshl_add_u64 v[6:7], v[6:7], 0, 8
	s_andn2_b64 s[14:15], s[14:15], exec
	s_or_b64 s[48:49], s[48:49], s[16:17]
                                        ; implicit-def: $sgpr52_sgpr53
	s_branch .LBB505_1026
.LBB505_1029:
	s_or_b64 exec, exec, s[44:45]
	s_xor_b64 s[14:15], s[46:47], -1
	s_branch .LBB505_1031
.LBB505_1030:
	s_mov_b64 s[14:15], -1
.LBB505_1031:
	s_and_b64 s[14:15], s[14:15], exec
.LBB505_1032:
	s_or_b64 exec, exec, s[28:29]
	s_orn2_b64 s[28:29], s[14:15], exec
.LBB505_1033:
	s_or_b64 exec, exec, s[30:31]
	v_cndmask_b32_e64 v4, v45, v46, s[28:29]
	v_cndmask_b32_e64 v5, v25, v24, s[28:29]
	v_add_u32_e32 v6, 1, v4
	v_add_u32_e32 v4, -1, v5
	v_min_u32_e32 v4, v6, v4
	v_lshl_add_u32 v4, v4, 3, v33
	ds_read_b64 v[4:5], v4
	v_cndmask_b32_e64 v47, v6, v45, s[28:29]
	v_cndmask_b32_e64 v51, v46, v6, s[28:29]
	v_cmp_lt_u32_e32 vcc, v47, v25
	s_mov_b64 s[30:31], -1
	s_waitcnt lgkmcnt(0)
	v_cndmask_b32_e64 v8, v5, v39, s[28:29]
	v_cndmask_b32_e64 v43, v4, v40, s[28:29]
	;; [unrolled: 1-line block ×4, first 2 shown]
	s_mov_b64 s[44:45], -1
	s_and_saveexec_b64 s[46:47], vcc
	s_cbranch_execz .LBB505_1044
; %bb.1034:
	v_cmp_lt_u32_e32 vcc, v51, v24
	s_mov_b64 s[14:15], 0
	s_and_saveexec_b64 s[44:45], vcc
	s_cbranch_execz .LBB505_1043
; %bb.1035:
	s_andn2_b64 vcc, exec, s[42:43]
	s_cbranch_vccnz .LBB505_1041
; %bb.1036:
	v_mul_lo_u32 v6, v8, s36
	v_mul_lo_u32 v7, v43, s37
	v_mad_u64_u32 v[4:5], s[14:15], v43, s36, 0
	v_add3_u32 v5, v5, v7, v6
	v_mul_lo_u32 v45, v9, s36
	v_mul_lo_u32 v46, v44, s37
	v_mad_u64_u32 v[6:7], s[14:15], v44, s36, 0
	v_add3_u32 v7, v7, v46, v45
	v_lshl_add_u64 v[4:5], v[4:5], 3, s[38:39]
	v_lshl_add_u64 v[6:7], v[6:7], 3, s[38:39]
	s_mov_b64 s[48:49], 0
	s_mov_b64 s[54:55], s[36:37]
                                        ; implicit-def: $sgpr50_sgpr51
                                        ; implicit-def: $sgpr52_sgpr53
                                        ; implicit-def: $sgpr14_sgpr15
                                        ; implicit-def: $sgpr56_sgpr57
	s_branch .LBB505_1038
.LBB505_1037:                           ;   in Loop: Header=BB505_1038 Depth=1
	s_or_b64 exec, exec, s[60:61]
	s_and_b64 s[16:17], exec, s[52:53]
	s_or_b64 s[48:49], s[16:17], s[48:49]
	s_andn2_b64 s[16:17], s[56:57], exec
	s_and_b64 s[56:57], s[58:59], exec
	s_or_b64 s[56:57], s[16:17], s[56:57]
	s_andn2_b64 s[16:17], s[50:51], exec
	s_and_b64 s[50:51], s[14:15], exec
	s_or_b64 s[50:51], s[16:17], s[50:51]
	s_andn2_b64 exec, exec, s[48:49]
	s_cbranch_execz .LBB505_1040
.LBB505_1038:                           ; =>This Inner Loop Header: Depth=1
	global_load_dwordx2 v[48:49], v[4:5], off
	global_load_dwordx2 v[52:53], v[6:7], off
	s_andn2_b64 s[60:61], s[14:15], exec
	s_or_b64 s[52:53], s[52:53], exec
	s_waitcnt vmcnt(0)
	v_cmp_le_i64_e64 s[14:15], v[48:49], v[52:53]
	v_cmp_lt_i64_e32 vcc, v[48:49], v[52:53]
	s_and_b64 s[14:15], s[14:15], s[56:57]
	s_or_b64 s[58:59], vcc, s[14:15]
	s_and_b64 s[14:15], s[58:59], exec
	v_cmp_eq_u64_e64 s[16:17], v[48:49], v[52:53]
	s_or_b64 s[14:15], s[60:61], s[14:15]
	s_and_saveexec_b64 s[60:61], s[16:17]
	s_cbranch_execz .LBB505_1037
; %bb.1039:                             ;   in Loop: Header=BB505_1038 Depth=1
	s_add_u32 s54, s54, -1
	s_addc_u32 s55, s55, -1
	s_cmp_eq_u64 s[54:55], 0
	s_cselect_b64 s[16:17], -1, 0
	s_andn2_b64 s[52:53], s[52:53], exec
	s_and_b64 s[16:17], s[16:17], exec
	v_lshl_add_u64 v[4:5], v[4:5], 0, 8
	v_lshl_add_u64 v[6:7], v[6:7], 0, 8
	s_andn2_b64 s[14:15], s[14:15], exec
	s_or_b64 s[52:53], s[52:53], s[16:17]
                                        ; implicit-def: $sgpr56_sgpr57
	s_branch .LBB505_1037
.LBB505_1040:
	s_or_b64 exec, exec, s[48:49]
	s_xor_b64 s[14:15], s[50:51], -1
	s_branch .LBB505_1042
.LBB505_1041:
	s_mov_b64 s[14:15], -1
.LBB505_1042:
	s_and_b64 s[14:15], s[14:15], exec
.LBB505_1043:
	s_or_b64 exec, exec, s[44:45]
	s_orn2_b64 s[44:45], s[14:15], exec
.LBB505_1044:
	s_or_b64 exec, exec, s[46:47]
	v_cndmask_b32_e64 v4, v47, v51, s[44:45]
	v_cndmask_b32_e64 v5, v25, v24, s[44:45]
	v_add_u32_e32 v6, 1, v4
	v_add_u32_e32 v4, -1, v5
	v_min_u32_e32 v4, v6, v4
	v_lshl_add_u32 v4, v4, 3, v33
	ds_read_b64 v[4:5], v4
	v_cndmask_b32_e64 v48, v6, v47, s[44:45]
	v_cndmask_b32_e64 v47, v51, v6, s[44:45]
	v_cmp_lt_u32_e32 vcc, v48, v25
	s_waitcnt lgkmcnt(0)
	v_cndmask_b32_e64 v45, v5, v8, s[44:45]
	v_cndmask_b32_e64 v46, v4, v43, s[44:45]
	;; [unrolled: 1-line block ×4, first 2 shown]
	s_and_saveexec_b64 s[46:47], vcc
	s_cbranch_execz .LBB505_1055
; %bb.1045:
	v_cmp_lt_u32_e32 vcc, v47, v24
	s_mov_b64 s[14:15], 0
	s_and_saveexec_b64 s[30:31], vcc
	s_cbranch_execz .LBB505_1054
; %bb.1046:
	s_andn2_b64 vcc, exec, s[42:43]
	s_cbranch_vccnz .LBB505_1052
; %bb.1047:
	v_mul_lo_u32 v6, v45, s36
	v_mul_lo_u32 v7, v46, s37
	v_mad_u64_u32 v[4:5], s[14:15], v46, s36, 0
	v_add3_u32 v5, v5, v7, v6
	v_mul_lo_u32 v51, v49, s36
	v_mul_lo_u32 v52, v50, s37
	v_mad_u64_u32 v[6:7], s[14:15], v50, s36, 0
	v_add3_u32 v7, v7, v52, v51
	v_lshl_add_u64 v[4:5], v[4:5], 3, s[38:39]
	v_lshl_add_u64 v[6:7], v[6:7], 3, s[38:39]
	s_mov_b64 s[48:49], 0
	s_mov_b64 s[54:55], s[36:37]
                                        ; implicit-def: $sgpr50_sgpr51
                                        ; implicit-def: $sgpr52_sgpr53
                                        ; implicit-def: $sgpr14_sgpr15
                                        ; implicit-def: $sgpr56_sgpr57
	s_branch .LBB505_1049
.LBB505_1048:                           ;   in Loop: Header=BB505_1049 Depth=1
	s_or_b64 exec, exec, s[60:61]
	s_and_b64 s[16:17], exec, s[52:53]
	s_or_b64 s[48:49], s[16:17], s[48:49]
	s_andn2_b64 s[16:17], s[56:57], exec
	s_and_b64 s[56:57], s[58:59], exec
	s_or_b64 s[56:57], s[16:17], s[56:57]
	s_andn2_b64 s[16:17], s[50:51], exec
	s_and_b64 s[50:51], s[14:15], exec
	s_or_b64 s[50:51], s[16:17], s[50:51]
	s_andn2_b64 exec, exec, s[48:49]
	s_cbranch_execz .LBB505_1051
.LBB505_1049:                           ; =>This Inner Loop Header: Depth=1
	global_load_dwordx2 v[52:53], v[4:5], off
	global_load_dwordx2 v[54:55], v[6:7], off
	s_andn2_b64 s[60:61], s[14:15], exec
	s_or_b64 s[52:53], s[52:53], exec
	s_waitcnt vmcnt(0)
	v_cmp_le_i64_e64 s[14:15], v[52:53], v[54:55]
	v_cmp_lt_i64_e32 vcc, v[52:53], v[54:55]
	s_and_b64 s[14:15], s[14:15], s[56:57]
	s_or_b64 s[58:59], vcc, s[14:15]
	s_and_b64 s[14:15], s[58:59], exec
	v_cmp_eq_u64_e64 s[16:17], v[52:53], v[54:55]
	s_or_b64 s[14:15], s[60:61], s[14:15]
	s_and_saveexec_b64 s[60:61], s[16:17]
	s_cbranch_execz .LBB505_1048
; %bb.1050:                             ;   in Loop: Header=BB505_1049 Depth=1
	s_add_u32 s54, s54, -1
	s_addc_u32 s55, s55, -1
	s_cmp_eq_u64 s[54:55], 0
	s_cselect_b64 s[16:17], -1, 0
	s_andn2_b64 s[52:53], s[52:53], exec
	s_and_b64 s[16:17], s[16:17], exec
	v_lshl_add_u64 v[4:5], v[4:5], 0, 8
	v_lshl_add_u64 v[6:7], v[6:7], 0, 8
	s_andn2_b64 s[14:15], s[14:15], exec
	s_or_b64 s[52:53], s[52:53], s[16:17]
                                        ; implicit-def: $sgpr56_sgpr57
	s_branch .LBB505_1048
.LBB505_1051:
	s_or_b64 exec, exec, s[48:49]
	s_xor_b64 s[14:15], s[50:51], -1
	s_branch .LBB505_1053
.LBB505_1052:
	s_mov_b64 s[14:15], -1
.LBB505_1053:
	s_and_b64 s[14:15], s[14:15], exec
.LBB505_1054:
	s_or_b64 exec, exec, s[30:31]
	s_orn2_b64 s[30:31], s[14:15], exec
.LBB505_1055:
	s_or_b64 exec, exec, s[46:47]
	v_cndmask_b32_e64 v4, v48, v47, s[30:31]
	v_cndmask_b32_e64 v5, v25, v24, s[30:31]
	;; [unrolled: 1-line block ×4, first 2 shown]
	v_add_u32_e32 v37, 1, v4
	v_add_u32_e32 v4, -1, v5
	v_min_u32_e32 v4, v37, v4
	v_lshl_add_u32 v4, v4, 3, v33
	v_cndmask_b32_e64 v11, v10, v11, s[24:25]
	v_cndmask_b32_e64 v10, v17, v23, s[24:25]
	;; [unrolled: 1-line block ×4, first 2 shown]
	ds_read_b64 v[22:23], v4
	v_cndmask_b32_e64 v14, v2, v0, s[20:21]
	v_cndmask_b32_e64 v0, v37, v48, s[30:31]
	;; [unrolled: 1-line block ×9, first 2 shown]
	s_waitcnt lgkmcnt(0)
	v_cndmask_b32_e64 v5, v49, v23, s[30:31]
	v_cndmask_b32_e64 v4, v50, v22, s[30:31]
	v_cmp_lt_u32_e32 vcc, v0, v25
	s_and_saveexec_b64 s[20:21], vcc
	s_cbranch_execz .LBB505_1065
; %bb.1056:
	v_cndmask_b32_e64 v0, v22, v46, s[30:31]
	v_cndmask_b32_e64 v22, v47, v37, s[30:31]
	;; [unrolled: 1-line block ×3, first 2 shown]
	v_cmp_lt_u32_e32 vcc, v22, v24
	s_and_saveexec_b64 s[22:23], vcc
	s_cbranch_execz .LBB505_1064
; %bb.1057:
	s_andn2_b64 vcc, exec, s[42:43]
	s_cbranch_vccnz .LBB505_1063
; %bb.1058:
	v_mul_lo_u32 v24, v1, s36
	v_mul_lo_u32 v25, v0, s37
	v_mad_u64_u32 v[22:23], s[14:15], v0, s36, 0
	v_add3_u32 v23, v23, v25, v24
	v_mul_lo_u32 v37, v5, s36
	v_mul_lo_u32 v38, v4, s37
	v_mad_u64_u32 v[24:25], s[14:15], v4, s36, 0
	v_add3_u32 v25, v25, v38, v37
	v_lshl_add_u64 v[22:23], v[22:23], 3, s[38:39]
	v_lshl_add_u64 v[24:25], v[24:25], 3, s[38:39]
	s_mov_b64 s[24:25], 0
	s_mov_b64 s[30:31], s[36:37]
                                        ; implicit-def: $sgpr26_sgpr27
                                        ; implicit-def: $sgpr28_sgpr29
                                        ; implicit-def: $sgpr14_sgpr15
                                        ; implicit-def: $sgpr44_sgpr45
	s_branch .LBB505_1060
.LBB505_1059:                           ;   in Loop: Header=BB505_1060 Depth=1
	s_or_b64 exec, exec, s[48:49]
	s_and_b64 s[16:17], exec, s[28:29]
	s_or_b64 s[24:25], s[16:17], s[24:25]
	s_andn2_b64 s[16:17], s[44:45], exec
	s_and_b64 s[44:45], s[46:47], exec
	s_or_b64 s[44:45], s[16:17], s[44:45]
	s_andn2_b64 s[16:17], s[26:27], exec
	s_and_b64 s[26:27], s[14:15], exec
	s_or_b64 s[26:27], s[16:17], s[26:27]
	s_andn2_b64 exec, exec, s[24:25]
	s_cbranch_execz .LBB505_1062
.LBB505_1060:                           ; =>This Inner Loop Header: Depth=1
	global_load_dwordx2 v[38:39], v[22:23], off
	global_load_dwordx2 v[40:41], v[24:25], off
	s_andn2_b64 s[48:49], s[14:15], exec
	s_or_b64 s[28:29], s[28:29], exec
	s_waitcnt vmcnt(0)
	v_cmp_le_i64_e64 s[14:15], v[38:39], v[40:41]
	v_cmp_lt_i64_e32 vcc, v[38:39], v[40:41]
	s_and_b64 s[14:15], s[14:15], s[44:45]
	s_or_b64 s[46:47], vcc, s[14:15]
	s_and_b64 s[14:15], s[46:47], exec
	v_cmp_eq_u64_e64 s[16:17], v[38:39], v[40:41]
	s_or_b64 s[14:15], s[48:49], s[14:15]
	s_and_saveexec_b64 s[48:49], s[16:17]
	s_cbranch_execz .LBB505_1059
; %bb.1061:                             ;   in Loop: Header=BB505_1060 Depth=1
	s_add_u32 s30, s30, -1
	s_addc_u32 s31, s31, -1
	s_cmp_eq_u64 s[30:31], 0
	s_cselect_b64 s[16:17], -1, 0
	s_andn2_b64 s[28:29], s[28:29], exec
	s_and_b64 s[16:17], s[16:17], exec
	v_lshl_add_u64 v[22:23], v[22:23], 0, 8
	v_lshl_add_u64 v[24:25], v[24:25], 0, 8
	s_andn2_b64 s[14:15], s[14:15], exec
	s_or_b64 s[28:29], s[28:29], s[16:17]
                                        ; implicit-def: $sgpr44_sgpr45
	s_branch .LBB505_1059
.LBB505_1062:
	s_or_b64 exec, exec, s[24:25]
	v_cndmask_b32_e64 v5, v5, v1, s[26:27]
	v_cndmask_b32_e64 v4, v4, v0, s[26:27]
.LBB505_1063:
	v_mov_b64_e32 v[0:1], v[4:5]
.LBB505_1064:
	s_or_b64 exec, exec, s[22:23]
	v_mov_b64_e32 v[4:5], v[0:1]
.LBB505_1065:
	s_or_b64 exec, exec, s[20:21]
.LBB505_1066:
	s_or_b64 exec, exec, s[18:19]
	v_and_b32_e32 v39, 0x3e0, v35
	v_or_b32_e32 v0, 16, v39
	v_min_u32_e32 v24, v34, v0
	v_add_u32_e32 v0, 16, v24
	v_min_u32_e32 v25, v34, v0
	v_and_b32_e32 v0, 24, v35
	v_min_u32_e32 v40, v34, v0
	v_sub_u32_e32 v0, v24, v39
	v_sub_u32_e32 v1, v25, v24
	v_sub_u32_e64 v38, v40, v1 clamp
	v_min_u32_e32 v41, v40, v0
	v_lshl_add_u32 v37, v39, 3, v33
	v_cmp_lt_u32_e32 vcc, v38, v41
	; wave barrier
	ds_write_b128 v36, v[14:17]
	ds_write_b128 v36, v[10:13] offset:16
	ds_write_b128 v36, v[6:9] offset:32
	;; [unrolled: 1-line block ×3, first 2 shown]
	; wave barrier
	s_and_saveexec_b64 s[20:21], vcc
	s_cbranch_execz .LBB505_1076
; %bb.1067:
	v_lshlrev_b32_e32 v0, 3, v24
	v_lshlrev_b32_e32 v1, 3, v40
	v_add3_u32 v42, v33, v0, v1
	v_cndmask_b32_e64 v0, 0, 1, s[42:43]
	s_lshl_b64 s[24:25], s[36:37], 3
	s_mov_b64 s[22:23], 0
	v_cmp_ne_u32_e64 s[14:15], 1, v0
	s_branch .LBB505_1070
.LBB505_1068:                           ;   in Loop: Header=BB505_1070 Depth=1
	s_or_b64 exec, exec, s[28:29]
.LBB505_1069:                           ;   in Loop: Header=BB505_1070 Depth=1
	v_add_u32_e32 v0, 1, v43
	v_cndmask_b32_e64 v41, v41, v43, s[26:27]
	v_cndmask_b32_e64 v38, v0, v38, s[26:27]
	v_cmp_ge_u32_e32 vcc, v38, v41
	s_or_b64 s[22:23], vcc, s[22:23]
	s_andn2_b64 exec, exec, s[22:23]
	s_cbranch_execz .LBB505_1075
.LBB505_1070:                           ; =>This Loop Header: Depth=1
                                        ;     Child Loop BB505_1073 Depth 2
	v_add_u32_e32 v0, v41, v38
	v_lshrrev_b32_e32 v43, 1, v0
	s_and_b64 vcc, exec, s[14:15]
	s_mov_b64 s[26:27], 0
	s_cbranch_vccnz .LBB505_1069
; %bb.1071:                             ;   in Loop: Header=BB505_1070 Depth=1
	v_not_b32_e32 v0, v43
	v_lshl_add_u32 v0, v0, 3, v42
	ds_read_b64 v[0:1], v0
	v_lshl_add_u32 v44, v43, 3, v37
	ds_read_b64 v[44:45], v44
	v_mov_b64_e32 v[22:23], s[38:39]
	s_mov_b64 s[28:29], 0
	s_waitcnt lgkmcnt(1)
	v_mul_lo_u32 v46, s24, v1
	v_mul_lo_u32 v47, s25, v0
	v_mad_u64_u32 v[0:1], s[16:17], s24, v0, v[22:23]
	v_add3_u32 v1, v47, v1, v46
	s_waitcnt lgkmcnt(0)
	v_mul_lo_u32 v45, s24, v45
	v_mul_lo_u32 v46, s25, v44
	v_mad_u64_u32 v[22:23], s[16:17], s24, v44, v[22:23]
	v_add3_u32 v23, v46, v23, v45
	s_mov_b64 s[44:45], s[36:37]
                                        ; implicit-def: $sgpr26_sgpr27
                                        ; implicit-def: $sgpr30_sgpr31
                                        ; implicit-def: $sgpr16_sgpr17
                                        ; implicit-def: $sgpr46_sgpr47
	s_branch .LBB505_1073
.LBB505_1072:                           ;   in Loop: Header=BB505_1073 Depth=2
	s_or_b64 exec, exec, s[50:51]
	s_and_b64 s[18:19], exec, s[30:31]
	s_or_b64 s[28:29], s[18:19], s[28:29]
	s_andn2_b64 s[18:19], s[46:47], exec
	s_and_b64 s[46:47], s[48:49], exec
	s_or_b64 s[46:47], s[18:19], s[46:47]
	s_andn2_b64 s[18:19], s[26:27], exec
	s_and_b64 s[26:27], s[16:17], exec
	s_or_b64 s[26:27], s[18:19], s[26:27]
	s_andn2_b64 exec, exec, s[28:29]
	s_cbranch_execz .LBB505_1068
.LBB505_1073:                           ;   Parent Loop BB505_1070 Depth=1
                                        ; =>  This Inner Loop Header: Depth=2
	global_load_dwordx2 v[44:45], v[0:1], off
	global_load_dwordx2 v[46:47], v[22:23], off
	s_andn2_b64 s[50:51], s[16:17], exec
	s_or_b64 s[30:31], s[30:31], exec
	s_waitcnt vmcnt(0)
	v_cmp_le_i64_e64 s[16:17], v[44:45], v[46:47]
	v_cmp_lt_i64_e32 vcc, v[44:45], v[46:47]
	s_and_b64 s[16:17], s[16:17], s[46:47]
	s_or_b64 s[48:49], vcc, s[16:17]
	s_and_b64 s[16:17], s[48:49], exec
	v_cmp_eq_u64_e64 s[18:19], v[44:45], v[46:47]
	s_or_b64 s[16:17], s[50:51], s[16:17]
	s_and_saveexec_b64 s[50:51], s[18:19]
	s_cbranch_execz .LBB505_1072
; %bb.1074:                             ;   in Loop: Header=BB505_1073 Depth=2
	s_add_u32 s44, s44, -1
	s_addc_u32 s45, s45, -1
	s_cmp_eq_u64 s[44:45], 0
	s_cselect_b64 s[18:19], -1, 0
	s_andn2_b64 s[30:31], s[30:31], exec
	s_and_b64 s[18:19], s[18:19], exec
	v_lshl_add_u64 v[0:1], v[0:1], 0, 8
	v_lshl_add_u64 v[22:23], v[22:23], 0, 8
	s_andn2_b64 s[16:17], s[16:17], exec
	s_or_b64 s[30:31], s[30:31], s[18:19]
                                        ; implicit-def: $sgpr46_sgpr47
	s_branch .LBB505_1072
.LBB505_1075:
	s_or_b64 exec, exec, s[22:23]
.LBB505_1076:
	s_or_b64 exec, exec, s[20:21]
	v_add_u32_e32 v0, v24, v40
	v_add_u32_e32 v23, v38, v39
	v_sub_u32_e32 v39, v0, v38
	v_cmp_le_u32_e32 vcc, v23, v24
	v_cmp_le_u32_e64 s[14:15], v39, v25
	s_or_b64 s[14:15], vcc, s[14:15]
	s_and_saveexec_b64 s[18:19], s[14:15]
	s_cbranch_execz .LBB505_1167
; %bb.1077:
	v_cmp_ge_u32_e32 vcc, v23, v24
	v_cmp_lt_u32_e64 s[14:15], v23, v24
                                        ; implicit-def: $vgpr0_vgpr1
	s_and_saveexec_b64 s[16:17], s[14:15]
; %bb.1078:
	v_lshl_add_u32 v0, v38, 3, v37
	ds_read_b64 v[0:1], v0
; %bb.1079:
	s_or_b64 exec, exec, s[16:17]
	v_cmp_ge_u32_e64 s[20:21], v39, v25
	v_cmp_lt_u32_e64 s[14:15], v39, v25
                                        ; implicit-def: $vgpr2_vgpr3
	s_and_saveexec_b64 s[16:17], s[14:15]
; %bb.1080:
	v_lshl_add_u32 v2, v39, 3, v33
	ds_read_b64 v[2:3], v2
; %bb.1081:
	s_or_b64 exec, exec, s[16:17]
	s_nor_b64 s[14:15], vcc, s[20:21]
	s_and_saveexec_b64 s[22:23], s[14:15]
	s_cbranch_execz .LBB505_1090
; %bb.1082:
	s_andn2_b64 vcc, exec, s[42:43]
	s_cbranch_vccnz .LBB505_1088
; %bb.1083:
	s_waitcnt lgkmcnt(0)
	v_mul_lo_u32 v6, v3, s36
	v_mul_lo_u32 v7, v2, s37
	v_mad_u64_u32 v[4:5], s[14:15], v2, s36, 0
	v_add3_u32 v5, v5, v7, v6
	v_mul_lo_u32 v8, v1, s36
	v_mul_lo_u32 v9, v0, s37
	v_mad_u64_u32 v[6:7], s[14:15], v0, s36, 0
	v_add3_u32 v7, v7, v9, v8
	v_lshl_add_u64 v[4:5], v[4:5], 3, s[38:39]
	v_lshl_add_u64 v[6:7], v[6:7], 3, s[38:39]
	s_mov_b64 s[24:25], 0
	s_mov_b64 s[30:31], s[36:37]
                                        ; implicit-def: $sgpr26_sgpr27
                                        ; implicit-def: $sgpr28_sgpr29
                                        ; implicit-def: $sgpr14_sgpr15
                                        ; implicit-def: $sgpr44_sgpr45
	s_branch .LBB505_1085
.LBB505_1084:                           ;   in Loop: Header=BB505_1085 Depth=1
	s_or_b64 exec, exec, s[48:49]
	s_and_b64 s[16:17], exec, s[28:29]
	s_or_b64 s[24:25], s[16:17], s[24:25]
	s_andn2_b64 s[16:17], s[44:45], exec
	s_and_b64 s[44:45], s[46:47], exec
	s_or_b64 s[44:45], s[16:17], s[44:45]
	s_andn2_b64 s[16:17], s[26:27], exec
	s_and_b64 s[26:27], s[14:15], exec
	s_or_b64 s[26:27], s[16:17], s[26:27]
	s_andn2_b64 exec, exec, s[24:25]
	s_cbranch_execz .LBB505_1087
.LBB505_1085:                           ; =>This Inner Loop Header: Depth=1
	global_load_dwordx2 v[8:9], v[4:5], off
	global_load_dwordx2 v[10:11], v[6:7], off
	s_andn2_b64 s[48:49], s[14:15], exec
	s_or_b64 s[28:29], s[28:29], exec
	s_waitcnt vmcnt(0)
	v_cmp_le_i64_e64 s[14:15], v[8:9], v[10:11]
	v_cmp_lt_i64_e32 vcc, v[8:9], v[10:11]
	s_and_b64 s[14:15], s[14:15], s[44:45]
	s_or_b64 s[46:47], vcc, s[14:15]
	s_and_b64 s[14:15], s[46:47], exec
	v_cmp_eq_u64_e64 s[16:17], v[8:9], v[10:11]
	s_or_b64 s[14:15], s[48:49], s[14:15]
	s_and_saveexec_b64 s[48:49], s[16:17]
	s_cbranch_execz .LBB505_1084
; %bb.1086:                             ;   in Loop: Header=BB505_1085 Depth=1
	s_add_u32 s30, s30, -1
	s_addc_u32 s31, s31, -1
	s_cmp_eq_u64 s[30:31], 0
	s_cselect_b64 s[16:17], -1, 0
	s_andn2_b64 s[28:29], s[28:29], exec
	s_and_b64 s[16:17], s[16:17], exec
	v_lshl_add_u64 v[4:5], v[4:5], 0, 8
	v_lshl_add_u64 v[6:7], v[6:7], 0, 8
	s_andn2_b64 s[14:15], s[14:15], exec
	s_or_b64 s[28:29], s[28:29], s[16:17]
                                        ; implicit-def: $sgpr44_sgpr45
	s_branch .LBB505_1084
.LBB505_1087:
	s_or_b64 exec, exec, s[24:25]
	s_xor_b64 s[14:15], s[26:27], -1
	s_branch .LBB505_1089
.LBB505_1088:
	s_mov_b64 s[14:15], -1
.LBB505_1089:
	s_andn2_b64 s[16:17], s[20:21], exec
	s_and_b64 s[14:15], s[14:15], exec
	s_or_b64 s[20:21], s[16:17], s[14:15]
.LBB505_1090:
	s_or_b64 exec, exec, s[22:23]
	v_cndmask_b32_e64 v4, v39, v23, s[20:21]
	v_cndmask_b32_e64 v5, v25, v24, s[20:21]
	v_add_u32_e32 v6, 1, v4
	v_add_u32_e32 v4, -1, v5
	v_min_u32_e32 v4, v6, v4
	v_lshl_add_u32 v4, v4, 3, v33
	ds_read_b64 v[4:5], v4
	v_cndmask_b32_e64 v8, v6, v39, s[20:21]
	v_cndmask_b32_e64 v9, v23, v6, s[20:21]
	v_cmp_lt_u32_e32 vcc, v8, v25
	s_mov_b64 s[24:25], -1
	s_waitcnt lgkmcnt(0)
	v_cndmask_b32_e64 v14, v5, v3, s[20:21]
	v_cndmask_b32_e64 v15, v4, v2, s[20:21]
	;; [unrolled: 1-line block ×4, first 2 shown]
	s_mov_b64 s[22:23], -1
	s_and_saveexec_b64 s[26:27], vcc
	s_cbranch_execz .LBB505_1101
; %bb.1091:
	v_cmp_lt_u32_e32 vcc, v9, v24
	s_mov_b64 s[14:15], 0
	s_and_saveexec_b64 s[22:23], vcc
	s_cbranch_execz .LBB505_1100
; %bb.1092:
	s_andn2_b64 vcc, exec, s[42:43]
	s_cbranch_vccnz .LBB505_1098
; %bb.1093:
	v_mul_lo_u32 v6, v14, s36
	v_mul_lo_u32 v7, v15, s37
	v_mad_u64_u32 v[4:5], s[14:15], v15, s36, 0
	v_add3_u32 v5, v5, v7, v6
	v_mul_lo_u32 v10, v16, s36
	v_mul_lo_u32 v11, v22, s37
	v_mad_u64_u32 v[6:7], s[14:15], v22, s36, 0
	v_add3_u32 v7, v7, v11, v10
	v_lshl_add_u64 v[4:5], v[4:5], 3, s[38:39]
	v_lshl_add_u64 v[6:7], v[6:7], 3, s[38:39]
	s_mov_b64 s[28:29], 0
	s_mov_b64 s[46:47], s[36:37]
                                        ; implicit-def: $sgpr30_sgpr31
                                        ; implicit-def: $sgpr44_sgpr45
                                        ; implicit-def: $sgpr14_sgpr15
                                        ; implicit-def: $sgpr48_sgpr49
	s_branch .LBB505_1095
.LBB505_1094:                           ;   in Loop: Header=BB505_1095 Depth=1
	s_or_b64 exec, exec, s[52:53]
	s_and_b64 s[16:17], exec, s[44:45]
	s_or_b64 s[28:29], s[16:17], s[28:29]
	s_andn2_b64 s[16:17], s[48:49], exec
	s_and_b64 s[48:49], s[50:51], exec
	s_or_b64 s[48:49], s[16:17], s[48:49]
	s_andn2_b64 s[16:17], s[30:31], exec
	s_and_b64 s[30:31], s[14:15], exec
	s_or_b64 s[30:31], s[16:17], s[30:31]
	s_andn2_b64 exec, exec, s[28:29]
	s_cbranch_execz .LBB505_1097
.LBB505_1095:                           ; =>This Inner Loop Header: Depth=1
	global_load_dwordx2 v[10:11], v[4:5], off
	global_load_dwordx2 v[12:13], v[6:7], off
	s_andn2_b64 s[52:53], s[14:15], exec
	s_or_b64 s[44:45], s[44:45], exec
	s_waitcnt vmcnt(0)
	v_cmp_le_i64_e64 s[14:15], v[10:11], v[12:13]
	v_cmp_lt_i64_e32 vcc, v[10:11], v[12:13]
	s_and_b64 s[14:15], s[14:15], s[48:49]
	s_or_b64 s[50:51], vcc, s[14:15]
	s_and_b64 s[14:15], s[50:51], exec
	v_cmp_eq_u64_e64 s[16:17], v[10:11], v[12:13]
	s_or_b64 s[14:15], s[52:53], s[14:15]
	s_and_saveexec_b64 s[52:53], s[16:17]
	s_cbranch_execz .LBB505_1094
; %bb.1096:                             ;   in Loop: Header=BB505_1095 Depth=1
	s_add_u32 s46, s46, -1
	s_addc_u32 s47, s47, -1
	s_cmp_eq_u64 s[46:47], 0
	s_cselect_b64 s[16:17], -1, 0
	s_andn2_b64 s[44:45], s[44:45], exec
	s_and_b64 s[16:17], s[16:17], exec
	v_lshl_add_u64 v[4:5], v[4:5], 0, 8
	v_lshl_add_u64 v[6:7], v[6:7], 0, 8
	s_andn2_b64 s[14:15], s[14:15], exec
	s_or_b64 s[44:45], s[44:45], s[16:17]
                                        ; implicit-def: $sgpr48_sgpr49
	s_branch .LBB505_1094
.LBB505_1097:
	s_or_b64 exec, exec, s[28:29]
	s_xor_b64 s[14:15], s[30:31], -1
	s_branch .LBB505_1099
.LBB505_1098:
	s_mov_b64 s[14:15], -1
.LBB505_1099:
	s_and_b64 s[14:15], s[14:15], exec
.LBB505_1100:
	s_or_b64 exec, exec, s[22:23]
	s_orn2_b64 s[22:23], s[14:15], exec
.LBB505_1101:
	s_or_b64 exec, exec, s[26:27]
	v_cndmask_b32_e64 v4, v8, v9, s[22:23]
	v_cndmask_b32_e64 v5, v25, v24, s[22:23]
	v_add_u32_e32 v6, 1, v4
	v_add_u32_e32 v4, -1, v5
	v_min_u32_e32 v4, v6, v4
	v_lshl_add_u32 v4, v4, 3, v33
	ds_read_b64 v[4:5], v4
	v_cndmask_b32_e64 v8, v6, v8, s[22:23]
	v_cndmask_b32_e64 v9, v9, v6, s[22:23]
	v_cmp_lt_u32_e32 vcc, v8, v25
	s_waitcnt lgkmcnt(0)
	v_cndmask_b32_e64 v10, v5, v14, s[22:23]
	v_cndmask_b32_e64 v17, v4, v15, s[22:23]
	v_cndmask_b32_e64 v11, v16, v5, s[22:23]
	v_cndmask_b32_e64 v23, v22, v4, s[22:23]
	s_and_saveexec_b64 s[26:27], vcc
	s_cbranch_execz .LBB505_1112
; %bb.1102:
	v_cmp_lt_u32_e32 vcc, v9, v24
	s_mov_b64 s[14:15], 0
	s_and_saveexec_b64 s[24:25], vcc
	s_cbranch_execz .LBB505_1111
; %bb.1103:
	s_andn2_b64 vcc, exec, s[42:43]
	s_cbranch_vccnz .LBB505_1109
; %bb.1104:
	v_mul_lo_u32 v6, v10, s36
	v_mul_lo_u32 v7, v17, s37
	v_mad_u64_u32 v[4:5], s[14:15], v17, s36, 0
	v_add3_u32 v5, v5, v7, v6
	v_mul_lo_u32 v12, v11, s36
	v_mul_lo_u32 v13, v23, s37
	v_mad_u64_u32 v[6:7], s[14:15], v23, s36, 0
	v_add3_u32 v7, v7, v13, v12
	v_lshl_add_u64 v[4:5], v[4:5], 3, s[38:39]
	v_lshl_add_u64 v[6:7], v[6:7], 3, s[38:39]
	s_mov_b64 s[28:29], 0
	s_mov_b64 s[46:47], s[36:37]
                                        ; implicit-def: $sgpr30_sgpr31
                                        ; implicit-def: $sgpr44_sgpr45
                                        ; implicit-def: $sgpr14_sgpr15
                                        ; implicit-def: $sgpr48_sgpr49
	s_branch .LBB505_1106
.LBB505_1105:                           ;   in Loop: Header=BB505_1106 Depth=1
	s_or_b64 exec, exec, s[52:53]
	s_and_b64 s[16:17], exec, s[44:45]
	s_or_b64 s[28:29], s[16:17], s[28:29]
	s_andn2_b64 s[16:17], s[48:49], exec
	s_and_b64 s[48:49], s[50:51], exec
	s_or_b64 s[48:49], s[16:17], s[48:49]
	s_andn2_b64 s[16:17], s[30:31], exec
	s_and_b64 s[30:31], s[14:15], exec
	s_or_b64 s[30:31], s[16:17], s[30:31]
	s_andn2_b64 exec, exec, s[28:29]
	s_cbranch_execz .LBB505_1108
.LBB505_1106:                           ; =>This Inner Loop Header: Depth=1
	global_load_dwordx2 v[12:13], v[4:5], off
	global_load_dwordx2 v[38:39], v[6:7], off
	s_andn2_b64 s[52:53], s[14:15], exec
	s_or_b64 s[44:45], s[44:45], exec
	s_waitcnt vmcnt(0)
	v_cmp_le_i64_e64 s[14:15], v[12:13], v[38:39]
	v_cmp_lt_i64_e32 vcc, v[12:13], v[38:39]
	s_and_b64 s[14:15], s[14:15], s[48:49]
	s_or_b64 s[50:51], vcc, s[14:15]
	s_and_b64 s[14:15], s[50:51], exec
	v_cmp_eq_u64_e64 s[16:17], v[12:13], v[38:39]
	s_or_b64 s[14:15], s[52:53], s[14:15]
	s_and_saveexec_b64 s[52:53], s[16:17]
	s_cbranch_execz .LBB505_1105
; %bb.1107:                             ;   in Loop: Header=BB505_1106 Depth=1
	s_add_u32 s46, s46, -1
	s_addc_u32 s47, s47, -1
	s_cmp_eq_u64 s[46:47], 0
	s_cselect_b64 s[16:17], -1, 0
	s_andn2_b64 s[44:45], s[44:45], exec
	s_and_b64 s[16:17], s[16:17], exec
	v_lshl_add_u64 v[4:5], v[4:5], 0, 8
	v_lshl_add_u64 v[6:7], v[6:7], 0, 8
	s_andn2_b64 s[14:15], s[14:15], exec
	s_or_b64 s[44:45], s[44:45], s[16:17]
                                        ; implicit-def: $sgpr48_sgpr49
	s_branch .LBB505_1105
.LBB505_1108:
	s_or_b64 exec, exec, s[28:29]
	s_xor_b64 s[14:15], s[30:31], -1
	s_branch .LBB505_1110
.LBB505_1109:
	s_mov_b64 s[14:15], -1
.LBB505_1110:
	s_and_b64 s[14:15], s[14:15], exec
.LBB505_1111:
	s_or_b64 exec, exec, s[24:25]
	s_orn2_b64 s[24:25], s[14:15], exec
.LBB505_1112:
	s_or_b64 exec, exec, s[26:27]
	v_cndmask_b32_e64 v4, v8, v9, s[24:25]
	v_cndmask_b32_e64 v5, v25, v24, s[24:25]
	v_add_u32_e32 v6, 1, v4
	v_add_u32_e32 v4, -1, v5
	v_min_u32_e32 v4, v6, v4
	v_lshl_add_u32 v4, v4, 3, v33
	ds_read_b64 v[4:5], v4
	v_cndmask_b32_e64 v8, v6, v8, s[24:25]
	v_cndmask_b32_e64 v9, v9, v6, s[24:25]
	v_cmp_lt_u32_e32 vcc, v8, v25
	s_mov_b64 s[28:29], -1
	s_waitcnt lgkmcnt(0)
	v_cndmask_b32_e64 v12, v5, v10, s[24:25]
	v_cndmask_b32_e64 v37, v4, v17, s[24:25]
	;; [unrolled: 1-line block ×4, first 2 shown]
	s_mov_b64 s[26:27], -1
	s_and_saveexec_b64 s[30:31], vcc
	s_cbranch_execz .LBB505_1123
; %bb.1113:
	v_cmp_lt_u32_e32 vcc, v9, v24
	s_mov_b64 s[14:15], 0
	s_and_saveexec_b64 s[26:27], vcc
	s_cbranch_execz .LBB505_1122
; %bb.1114:
	s_andn2_b64 vcc, exec, s[42:43]
	s_cbranch_vccnz .LBB505_1120
; %bb.1115:
	v_mul_lo_u32 v6, v12, s36
	v_mul_lo_u32 v7, v37, s37
	v_mad_u64_u32 v[4:5], s[14:15], v37, s36, 0
	v_add3_u32 v5, v5, v7, v6
	v_mul_lo_u32 v39, v13, s36
	v_mul_lo_u32 v40, v38, s37
	v_mad_u64_u32 v[6:7], s[14:15], v38, s36, 0
	v_add3_u32 v7, v7, v40, v39
	v_lshl_add_u64 v[4:5], v[4:5], 3, s[38:39]
	v_lshl_add_u64 v[6:7], v[6:7], 3, s[38:39]
	s_mov_b64 s[44:45], 0
	s_mov_b64 s[50:51], s[36:37]
                                        ; implicit-def: $sgpr46_sgpr47
                                        ; implicit-def: $sgpr48_sgpr49
                                        ; implicit-def: $sgpr14_sgpr15
                                        ; implicit-def: $sgpr52_sgpr53
	s_branch .LBB505_1117
.LBB505_1116:                           ;   in Loop: Header=BB505_1117 Depth=1
	s_or_b64 exec, exec, s[56:57]
	s_and_b64 s[16:17], exec, s[48:49]
	s_or_b64 s[44:45], s[16:17], s[44:45]
	s_andn2_b64 s[16:17], s[52:53], exec
	s_and_b64 s[52:53], s[54:55], exec
	s_or_b64 s[52:53], s[16:17], s[52:53]
	s_andn2_b64 s[16:17], s[46:47], exec
	s_and_b64 s[46:47], s[14:15], exec
	s_or_b64 s[46:47], s[16:17], s[46:47]
	s_andn2_b64 exec, exec, s[44:45]
	s_cbranch_execz .LBB505_1119
.LBB505_1117:                           ; =>This Inner Loop Header: Depth=1
	global_load_dwordx2 v[40:41], v[4:5], off
	global_load_dwordx2 v[42:43], v[6:7], off
	s_andn2_b64 s[56:57], s[14:15], exec
	s_or_b64 s[48:49], s[48:49], exec
	s_waitcnt vmcnt(0)
	v_cmp_le_i64_e64 s[14:15], v[40:41], v[42:43]
	v_cmp_lt_i64_e32 vcc, v[40:41], v[42:43]
	s_and_b64 s[14:15], s[14:15], s[52:53]
	s_or_b64 s[54:55], vcc, s[14:15]
	s_and_b64 s[14:15], s[54:55], exec
	v_cmp_eq_u64_e64 s[16:17], v[40:41], v[42:43]
	s_or_b64 s[14:15], s[56:57], s[14:15]
	s_and_saveexec_b64 s[56:57], s[16:17]
	s_cbranch_execz .LBB505_1116
; %bb.1118:                             ;   in Loop: Header=BB505_1117 Depth=1
	s_add_u32 s50, s50, -1
	s_addc_u32 s51, s51, -1
	s_cmp_eq_u64 s[50:51], 0
	s_cselect_b64 s[16:17], -1, 0
	s_andn2_b64 s[48:49], s[48:49], exec
	s_and_b64 s[16:17], s[16:17], exec
	v_lshl_add_u64 v[4:5], v[4:5], 0, 8
	v_lshl_add_u64 v[6:7], v[6:7], 0, 8
	s_andn2_b64 s[14:15], s[14:15], exec
	s_or_b64 s[48:49], s[48:49], s[16:17]
                                        ; implicit-def: $sgpr52_sgpr53
	s_branch .LBB505_1116
.LBB505_1119:
	s_or_b64 exec, exec, s[44:45]
	s_xor_b64 s[14:15], s[46:47], -1
	s_branch .LBB505_1121
.LBB505_1120:
	s_mov_b64 s[14:15], -1
.LBB505_1121:
	s_and_b64 s[14:15], s[14:15], exec
.LBB505_1122:
	s_or_b64 exec, exec, s[26:27]
	s_orn2_b64 s[26:27], s[14:15], exec
.LBB505_1123:
	s_or_b64 exec, exec, s[30:31]
	v_cndmask_b32_e64 v4, v8, v9, s[26:27]
	v_cndmask_b32_e64 v5, v25, v24, s[26:27]
	v_add_u32_e32 v6, 1, v4
	v_add_u32_e32 v4, -1, v5
	v_min_u32_e32 v4, v6, v4
	v_lshl_add_u32 v4, v4, 3, v33
	ds_read_b64 v[4:5], v4
	v_cndmask_b32_e64 v45, v6, v8, s[26:27]
	v_cndmask_b32_e64 v46, v9, v6, s[26:27]
	v_cmp_lt_u32_e32 vcc, v45, v25
	s_waitcnt lgkmcnt(0)
	v_cndmask_b32_e64 v39, v5, v12, s[26:27]
	v_cndmask_b32_e64 v40, v4, v37, s[26:27]
	;; [unrolled: 1-line block ×4, first 2 shown]
	s_and_saveexec_b64 s[30:31], vcc
	s_cbranch_execz .LBB505_1134
; %bb.1124:
	v_cmp_lt_u32_e32 vcc, v46, v24
	s_mov_b64 s[14:15], 0
	s_and_saveexec_b64 s[28:29], vcc
	s_cbranch_execz .LBB505_1133
; %bb.1125:
	s_andn2_b64 vcc, exec, s[42:43]
	s_cbranch_vccnz .LBB505_1131
; %bb.1126:
	v_mul_lo_u32 v6, v39, s36
	v_mul_lo_u32 v7, v40, s37
	v_mad_u64_u32 v[4:5], s[14:15], v40, s36, 0
	v_add3_u32 v5, v5, v7, v6
	v_mul_lo_u32 v8, v41, s36
	v_mul_lo_u32 v9, v42, s37
	v_mad_u64_u32 v[6:7], s[14:15], v42, s36, 0
	v_add3_u32 v7, v7, v9, v8
	v_lshl_add_u64 v[4:5], v[4:5], 3, s[38:39]
	v_lshl_add_u64 v[6:7], v[6:7], 3, s[38:39]
	s_mov_b64 s[44:45], 0
	s_mov_b64 s[50:51], s[36:37]
                                        ; implicit-def: $sgpr46_sgpr47
                                        ; implicit-def: $sgpr48_sgpr49
                                        ; implicit-def: $sgpr14_sgpr15
                                        ; implicit-def: $sgpr52_sgpr53
	s_branch .LBB505_1128
.LBB505_1127:                           ;   in Loop: Header=BB505_1128 Depth=1
	s_or_b64 exec, exec, s[56:57]
	s_and_b64 s[16:17], exec, s[48:49]
	s_or_b64 s[44:45], s[16:17], s[44:45]
	s_andn2_b64 s[16:17], s[52:53], exec
	s_and_b64 s[52:53], s[54:55], exec
	s_or_b64 s[52:53], s[16:17], s[52:53]
	s_andn2_b64 s[16:17], s[46:47], exec
	s_and_b64 s[46:47], s[14:15], exec
	s_or_b64 s[46:47], s[16:17], s[46:47]
	s_andn2_b64 exec, exec, s[44:45]
	s_cbranch_execz .LBB505_1130
.LBB505_1128:                           ; =>This Inner Loop Header: Depth=1
	global_load_dwordx2 v[8:9], v[4:5], off
	global_load_dwordx2 v[48:49], v[6:7], off
	s_andn2_b64 s[56:57], s[14:15], exec
	s_or_b64 s[48:49], s[48:49], exec
	s_waitcnt vmcnt(0)
	v_cmp_le_i64_e64 s[14:15], v[8:9], v[48:49]
	v_cmp_lt_i64_e32 vcc, v[8:9], v[48:49]
	s_and_b64 s[14:15], s[14:15], s[52:53]
	s_or_b64 s[54:55], vcc, s[14:15]
	s_and_b64 s[14:15], s[54:55], exec
	v_cmp_eq_u64_e64 s[16:17], v[8:9], v[48:49]
	s_or_b64 s[14:15], s[56:57], s[14:15]
	s_and_saveexec_b64 s[56:57], s[16:17]
	s_cbranch_execz .LBB505_1127
; %bb.1129:                             ;   in Loop: Header=BB505_1128 Depth=1
	s_add_u32 s50, s50, -1
	s_addc_u32 s51, s51, -1
	s_cmp_eq_u64 s[50:51], 0
	s_cselect_b64 s[16:17], -1, 0
	s_andn2_b64 s[48:49], s[48:49], exec
	s_and_b64 s[16:17], s[16:17], exec
	v_lshl_add_u64 v[4:5], v[4:5], 0, 8
	v_lshl_add_u64 v[6:7], v[6:7], 0, 8
	s_andn2_b64 s[14:15], s[14:15], exec
	s_or_b64 s[48:49], s[48:49], s[16:17]
                                        ; implicit-def: $sgpr52_sgpr53
	s_branch .LBB505_1127
.LBB505_1130:
	s_or_b64 exec, exec, s[44:45]
	s_xor_b64 s[14:15], s[46:47], -1
	s_branch .LBB505_1132
.LBB505_1131:
	s_mov_b64 s[14:15], -1
.LBB505_1132:
	s_and_b64 s[14:15], s[14:15], exec
.LBB505_1133:
	s_or_b64 exec, exec, s[28:29]
	s_orn2_b64 s[28:29], s[14:15], exec
.LBB505_1134:
	s_or_b64 exec, exec, s[30:31]
	v_cndmask_b32_e64 v4, v45, v46, s[28:29]
	v_cndmask_b32_e64 v5, v25, v24, s[28:29]
	v_add_u32_e32 v6, 1, v4
	v_add_u32_e32 v4, -1, v5
	v_min_u32_e32 v4, v6, v4
	v_lshl_add_u32 v4, v4, 3, v33
	ds_read_b64 v[4:5], v4
	v_cndmask_b32_e64 v47, v6, v45, s[28:29]
	v_cndmask_b32_e64 v51, v46, v6, s[28:29]
	v_cmp_lt_u32_e32 vcc, v47, v25
	s_mov_b64 s[30:31], -1
	s_waitcnt lgkmcnt(0)
	v_cndmask_b32_e64 v8, v5, v39, s[28:29]
	v_cndmask_b32_e64 v43, v4, v40, s[28:29]
	;; [unrolled: 1-line block ×4, first 2 shown]
	s_mov_b64 s[44:45], -1
	s_and_saveexec_b64 s[46:47], vcc
	s_cbranch_execz .LBB505_1145
; %bb.1135:
	v_cmp_lt_u32_e32 vcc, v51, v24
	s_mov_b64 s[14:15], 0
	s_and_saveexec_b64 s[44:45], vcc
	s_cbranch_execz .LBB505_1144
; %bb.1136:
	s_andn2_b64 vcc, exec, s[42:43]
	s_cbranch_vccnz .LBB505_1142
; %bb.1137:
	v_mul_lo_u32 v6, v8, s36
	v_mul_lo_u32 v7, v43, s37
	v_mad_u64_u32 v[4:5], s[14:15], v43, s36, 0
	v_add3_u32 v5, v5, v7, v6
	v_mul_lo_u32 v45, v9, s36
	v_mul_lo_u32 v46, v44, s37
	v_mad_u64_u32 v[6:7], s[14:15], v44, s36, 0
	v_add3_u32 v7, v7, v46, v45
	v_lshl_add_u64 v[4:5], v[4:5], 3, s[38:39]
	v_lshl_add_u64 v[6:7], v[6:7], 3, s[38:39]
	s_mov_b64 s[48:49], 0
	s_mov_b64 s[54:55], s[36:37]
                                        ; implicit-def: $sgpr50_sgpr51
                                        ; implicit-def: $sgpr52_sgpr53
                                        ; implicit-def: $sgpr14_sgpr15
                                        ; implicit-def: $sgpr56_sgpr57
	s_branch .LBB505_1139
.LBB505_1138:                           ;   in Loop: Header=BB505_1139 Depth=1
	s_or_b64 exec, exec, s[60:61]
	s_and_b64 s[16:17], exec, s[52:53]
	s_or_b64 s[48:49], s[16:17], s[48:49]
	s_andn2_b64 s[16:17], s[56:57], exec
	s_and_b64 s[56:57], s[58:59], exec
	s_or_b64 s[56:57], s[16:17], s[56:57]
	s_andn2_b64 s[16:17], s[50:51], exec
	s_and_b64 s[50:51], s[14:15], exec
	s_or_b64 s[50:51], s[16:17], s[50:51]
	s_andn2_b64 exec, exec, s[48:49]
	s_cbranch_execz .LBB505_1141
.LBB505_1139:                           ; =>This Inner Loop Header: Depth=1
	global_load_dwordx2 v[48:49], v[4:5], off
	global_load_dwordx2 v[52:53], v[6:7], off
	s_andn2_b64 s[60:61], s[14:15], exec
	s_or_b64 s[52:53], s[52:53], exec
	s_waitcnt vmcnt(0)
	v_cmp_le_i64_e64 s[14:15], v[48:49], v[52:53]
	v_cmp_lt_i64_e32 vcc, v[48:49], v[52:53]
	s_and_b64 s[14:15], s[14:15], s[56:57]
	s_or_b64 s[58:59], vcc, s[14:15]
	s_and_b64 s[14:15], s[58:59], exec
	v_cmp_eq_u64_e64 s[16:17], v[48:49], v[52:53]
	s_or_b64 s[14:15], s[60:61], s[14:15]
	s_and_saveexec_b64 s[60:61], s[16:17]
	s_cbranch_execz .LBB505_1138
; %bb.1140:                             ;   in Loop: Header=BB505_1139 Depth=1
	s_add_u32 s54, s54, -1
	s_addc_u32 s55, s55, -1
	s_cmp_eq_u64 s[54:55], 0
	s_cselect_b64 s[16:17], -1, 0
	s_andn2_b64 s[52:53], s[52:53], exec
	s_and_b64 s[16:17], s[16:17], exec
	v_lshl_add_u64 v[4:5], v[4:5], 0, 8
	v_lshl_add_u64 v[6:7], v[6:7], 0, 8
	s_andn2_b64 s[14:15], s[14:15], exec
	s_or_b64 s[52:53], s[52:53], s[16:17]
                                        ; implicit-def: $sgpr56_sgpr57
	s_branch .LBB505_1138
.LBB505_1141:
	s_or_b64 exec, exec, s[48:49]
	s_xor_b64 s[14:15], s[50:51], -1
	s_branch .LBB505_1143
.LBB505_1142:
	s_mov_b64 s[14:15], -1
.LBB505_1143:
	s_and_b64 s[14:15], s[14:15], exec
.LBB505_1144:
	s_or_b64 exec, exec, s[44:45]
	s_orn2_b64 s[44:45], s[14:15], exec
.LBB505_1145:
	s_or_b64 exec, exec, s[46:47]
	v_cndmask_b32_e64 v4, v47, v51, s[44:45]
	v_cndmask_b32_e64 v5, v25, v24, s[44:45]
	v_add_u32_e32 v6, 1, v4
	v_add_u32_e32 v4, -1, v5
	v_min_u32_e32 v4, v6, v4
	v_lshl_add_u32 v4, v4, 3, v33
	ds_read_b64 v[4:5], v4
	v_cndmask_b32_e64 v48, v6, v47, s[44:45]
	v_cndmask_b32_e64 v47, v51, v6, s[44:45]
	v_cmp_lt_u32_e32 vcc, v48, v25
	s_waitcnt lgkmcnt(0)
	v_cndmask_b32_e64 v45, v5, v8, s[44:45]
	v_cndmask_b32_e64 v46, v4, v43, s[44:45]
	;; [unrolled: 1-line block ×4, first 2 shown]
	s_and_saveexec_b64 s[46:47], vcc
	s_cbranch_execz .LBB505_1156
; %bb.1146:
	v_cmp_lt_u32_e32 vcc, v47, v24
	s_mov_b64 s[14:15], 0
	s_and_saveexec_b64 s[30:31], vcc
	s_cbranch_execz .LBB505_1155
; %bb.1147:
	s_andn2_b64 vcc, exec, s[42:43]
	s_cbranch_vccnz .LBB505_1153
; %bb.1148:
	v_mul_lo_u32 v6, v45, s36
	v_mul_lo_u32 v7, v46, s37
	v_mad_u64_u32 v[4:5], s[14:15], v46, s36, 0
	v_add3_u32 v5, v5, v7, v6
	v_mul_lo_u32 v51, v49, s36
	v_mul_lo_u32 v52, v50, s37
	v_mad_u64_u32 v[6:7], s[14:15], v50, s36, 0
	v_add3_u32 v7, v7, v52, v51
	v_lshl_add_u64 v[4:5], v[4:5], 3, s[38:39]
	v_lshl_add_u64 v[6:7], v[6:7], 3, s[38:39]
	s_mov_b64 s[48:49], 0
	s_mov_b64 s[54:55], s[36:37]
                                        ; implicit-def: $sgpr50_sgpr51
                                        ; implicit-def: $sgpr52_sgpr53
                                        ; implicit-def: $sgpr14_sgpr15
                                        ; implicit-def: $sgpr56_sgpr57
	s_branch .LBB505_1150
.LBB505_1149:                           ;   in Loop: Header=BB505_1150 Depth=1
	s_or_b64 exec, exec, s[60:61]
	s_and_b64 s[16:17], exec, s[52:53]
	s_or_b64 s[48:49], s[16:17], s[48:49]
	s_andn2_b64 s[16:17], s[56:57], exec
	s_and_b64 s[56:57], s[58:59], exec
	s_or_b64 s[56:57], s[16:17], s[56:57]
	s_andn2_b64 s[16:17], s[50:51], exec
	s_and_b64 s[50:51], s[14:15], exec
	s_or_b64 s[50:51], s[16:17], s[50:51]
	s_andn2_b64 exec, exec, s[48:49]
	s_cbranch_execz .LBB505_1152
.LBB505_1150:                           ; =>This Inner Loop Header: Depth=1
	global_load_dwordx2 v[52:53], v[4:5], off
	global_load_dwordx2 v[54:55], v[6:7], off
	s_andn2_b64 s[60:61], s[14:15], exec
	s_or_b64 s[52:53], s[52:53], exec
	s_waitcnt vmcnt(0)
	v_cmp_le_i64_e64 s[14:15], v[52:53], v[54:55]
	v_cmp_lt_i64_e32 vcc, v[52:53], v[54:55]
	s_and_b64 s[14:15], s[14:15], s[56:57]
	s_or_b64 s[58:59], vcc, s[14:15]
	s_and_b64 s[14:15], s[58:59], exec
	v_cmp_eq_u64_e64 s[16:17], v[52:53], v[54:55]
	s_or_b64 s[14:15], s[60:61], s[14:15]
	s_and_saveexec_b64 s[60:61], s[16:17]
	s_cbranch_execz .LBB505_1149
; %bb.1151:                             ;   in Loop: Header=BB505_1150 Depth=1
	s_add_u32 s54, s54, -1
	s_addc_u32 s55, s55, -1
	s_cmp_eq_u64 s[54:55], 0
	s_cselect_b64 s[16:17], -1, 0
	s_andn2_b64 s[52:53], s[52:53], exec
	s_and_b64 s[16:17], s[16:17], exec
	v_lshl_add_u64 v[4:5], v[4:5], 0, 8
	v_lshl_add_u64 v[6:7], v[6:7], 0, 8
	s_andn2_b64 s[14:15], s[14:15], exec
	s_or_b64 s[52:53], s[52:53], s[16:17]
                                        ; implicit-def: $sgpr56_sgpr57
	s_branch .LBB505_1149
.LBB505_1152:
	s_or_b64 exec, exec, s[48:49]
	s_xor_b64 s[14:15], s[50:51], -1
	s_branch .LBB505_1154
.LBB505_1153:
	s_mov_b64 s[14:15], -1
.LBB505_1154:
	s_and_b64 s[14:15], s[14:15], exec
.LBB505_1155:
	s_or_b64 exec, exec, s[30:31]
	s_orn2_b64 s[30:31], s[14:15], exec
.LBB505_1156:
	s_or_b64 exec, exec, s[46:47]
	v_cndmask_b32_e64 v4, v48, v47, s[30:31]
	v_cndmask_b32_e64 v5, v25, v24, s[30:31]
	;; [unrolled: 1-line block ×4, first 2 shown]
	v_add_u32_e32 v37, 1, v4
	v_add_u32_e32 v4, -1, v5
	v_min_u32_e32 v4, v37, v4
	v_lshl_add_u32 v4, v4, 3, v33
	v_cndmask_b32_e64 v11, v10, v11, s[24:25]
	v_cndmask_b32_e64 v10, v17, v23, s[24:25]
	;; [unrolled: 1-line block ×4, first 2 shown]
	ds_read_b64 v[22:23], v4
	v_cndmask_b32_e64 v14, v2, v0, s[20:21]
	v_cndmask_b32_e64 v0, v37, v48, s[30:31]
	;; [unrolled: 1-line block ×9, first 2 shown]
	s_waitcnt lgkmcnt(0)
	v_cndmask_b32_e64 v5, v49, v23, s[30:31]
	v_cndmask_b32_e64 v4, v50, v22, s[30:31]
	v_cmp_lt_u32_e32 vcc, v0, v25
	s_and_saveexec_b64 s[20:21], vcc
	s_cbranch_execz .LBB505_1166
; %bb.1157:
	v_cndmask_b32_e64 v0, v22, v46, s[30:31]
	v_cndmask_b32_e64 v22, v47, v37, s[30:31]
	;; [unrolled: 1-line block ×3, first 2 shown]
	v_cmp_lt_u32_e32 vcc, v22, v24
	s_and_saveexec_b64 s[22:23], vcc
	s_cbranch_execz .LBB505_1165
; %bb.1158:
	s_andn2_b64 vcc, exec, s[42:43]
	s_cbranch_vccnz .LBB505_1164
; %bb.1159:
	v_mul_lo_u32 v24, v1, s36
	v_mul_lo_u32 v25, v0, s37
	v_mad_u64_u32 v[22:23], s[14:15], v0, s36, 0
	v_add3_u32 v23, v23, v25, v24
	v_mul_lo_u32 v37, v5, s36
	v_mul_lo_u32 v38, v4, s37
	v_mad_u64_u32 v[24:25], s[14:15], v4, s36, 0
	v_add3_u32 v25, v25, v38, v37
	v_lshl_add_u64 v[22:23], v[22:23], 3, s[38:39]
	v_lshl_add_u64 v[24:25], v[24:25], 3, s[38:39]
	s_mov_b64 s[24:25], 0
	s_mov_b64 s[30:31], s[36:37]
                                        ; implicit-def: $sgpr26_sgpr27
                                        ; implicit-def: $sgpr28_sgpr29
                                        ; implicit-def: $sgpr14_sgpr15
                                        ; implicit-def: $sgpr44_sgpr45
	s_branch .LBB505_1161
.LBB505_1160:                           ;   in Loop: Header=BB505_1161 Depth=1
	s_or_b64 exec, exec, s[48:49]
	s_and_b64 s[16:17], exec, s[28:29]
	s_or_b64 s[24:25], s[16:17], s[24:25]
	s_andn2_b64 s[16:17], s[44:45], exec
	s_and_b64 s[44:45], s[46:47], exec
	s_or_b64 s[44:45], s[16:17], s[44:45]
	s_andn2_b64 s[16:17], s[26:27], exec
	s_and_b64 s[26:27], s[14:15], exec
	s_or_b64 s[26:27], s[16:17], s[26:27]
	s_andn2_b64 exec, exec, s[24:25]
	s_cbranch_execz .LBB505_1163
.LBB505_1161:                           ; =>This Inner Loop Header: Depth=1
	global_load_dwordx2 v[38:39], v[22:23], off
	global_load_dwordx2 v[40:41], v[24:25], off
	s_andn2_b64 s[48:49], s[14:15], exec
	s_or_b64 s[28:29], s[28:29], exec
	s_waitcnt vmcnt(0)
	v_cmp_le_i64_e64 s[14:15], v[38:39], v[40:41]
	v_cmp_lt_i64_e32 vcc, v[38:39], v[40:41]
	s_and_b64 s[14:15], s[14:15], s[44:45]
	s_or_b64 s[46:47], vcc, s[14:15]
	s_and_b64 s[14:15], s[46:47], exec
	v_cmp_eq_u64_e64 s[16:17], v[38:39], v[40:41]
	s_or_b64 s[14:15], s[48:49], s[14:15]
	s_and_saveexec_b64 s[48:49], s[16:17]
	s_cbranch_execz .LBB505_1160
; %bb.1162:                             ;   in Loop: Header=BB505_1161 Depth=1
	s_add_u32 s30, s30, -1
	s_addc_u32 s31, s31, -1
	s_cmp_eq_u64 s[30:31], 0
	s_cselect_b64 s[16:17], -1, 0
	s_andn2_b64 s[28:29], s[28:29], exec
	s_and_b64 s[16:17], s[16:17], exec
	v_lshl_add_u64 v[22:23], v[22:23], 0, 8
	v_lshl_add_u64 v[24:25], v[24:25], 0, 8
	s_andn2_b64 s[14:15], s[14:15], exec
	s_or_b64 s[28:29], s[28:29], s[16:17]
                                        ; implicit-def: $sgpr44_sgpr45
	s_branch .LBB505_1160
.LBB505_1163:
	s_or_b64 exec, exec, s[24:25]
	v_cndmask_b32_e64 v5, v5, v1, s[26:27]
	v_cndmask_b32_e64 v4, v4, v0, s[26:27]
.LBB505_1164:
	v_mov_b64_e32 v[0:1], v[4:5]
.LBB505_1165:
	s_or_b64 exec, exec, s[22:23]
	v_mov_b64_e32 v[4:5], v[0:1]
.LBB505_1166:
	s_or_b64 exec, exec, s[20:21]
.LBB505_1167:
	s_or_b64 exec, exec, s[18:19]
	v_and_b32_e32 v39, 0x3c0, v35
	v_or_b32_e32 v0, 32, v39
	v_min_u32_e32 v24, v34, v0
	v_add_u32_e32 v0, 32, v24
	v_min_u32_e32 v25, v34, v0
	v_and_b32_e32 v0, 56, v35
	v_min_u32_e32 v40, v34, v0
	v_sub_u32_e32 v0, v24, v39
	v_sub_u32_e32 v1, v25, v24
	v_sub_u32_e64 v38, v40, v1 clamp
	v_min_u32_e32 v41, v40, v0
	v_lshl_add_u32 v37, v39, 3, v33
	v_cmp_lt_u32_e32 vcc, v38, v41
	; wave barrier
	ds_write_b128 v36, v[14:17]
	ds_write_b128 v36, v[10:13] offset:16
	ds_write_b128 v36, v[6:9] offset:32
	;; [unrolled: 1-line block ×3, first 2 shown]
	; wave barrier
	s_and_saveexec_b64 s[20:21], vcc
	s_cbranch_execz .LBB505_1177
; %bb.1168:
	v_lshlrev_b32_e32 v0, 3, v24
	v_lshlrev_b32_e32 v1, 3, v40
	v_add3_u32 v42, v33, v0, v1
	v_cndmask_b32_e64 v0, 0, 1, s[42:43]
	s_lshl_b64 s[24:25], s[36:37], 3
	s_mov_b64 s[22:23], 0
	v_cmp_ne_u32_e64 s[14:15], 1, v0
	s_branch .LBB505_1171
.LBB505_1169:                           ;   in Loop: Header=BB505_1171 Depth=1
	s_or_b64 exec, exec, s[28:29]
.LBB505_1170:                           ;   in Loop: Header=BB505_1171 Depth=1
	v_add_u32_e32 v0, 1, v43
	v_cndmask_b32_e64 v41, v41, v43, s[26:27]
	v_cndmask_b32_e64 v38, v0, v38, s[26:27]
	v_cmp_ge_u32_e32 vcc, v38, v41
	s_or_b64 s[22:23], vcc, s[22:23]
	s_andn2_b64 exec, exec, s[22:23]
	s_cbranch_execz .LBB505_1176
.LBB505_1171:                           ; =>This Loop Header: Depth=1
                                        ;     Child Loop BB505_1174 Depth 2
	v_add_u32_e32 v0, v41, v38
	v_lshrrev_b32_e32 v43, 1, v0
	s_and_b64 vcc, exec, s[14:15]
	s_mov_b64 s[26:27], 0
	s_cbranch_vccnz .LBB505_1170
; %bb.1172:                             ;   in Loop: Header=BB505_1171 Depth=1
	v_not_b32_e32 v0, v43
	v_lshl_add_u32 v0, v0, 3, v42
	ds_read_b64 v[0:1], v0
	v_lshl_add_u32 v44, v43, 3, v37
	ds_read_b64 v[44:45], v44
	v_mov_b64_e32 v[22:23], s[38:39]
	s_mov_b64 s[28:29], 0
	s_waitcnt lgkmcnt(1)
	v_mul_lo_u32 v46, s24, v1
	v_mul_lo_u32 v47, s25, v0
	v_mad_u64_u32 v[0:1], s[16:17], s24, v0, v[22:23]
	v_add3_u32 v1, v47, v1, v46
	s_waitcnt lgkmcnt(0)
	v_mul_lo_u32 v45, s24, v45
	v_mul_lo_u32 v46, s25, v44
	v_mad_u64_u32 v[22:23], s[16:17], s24, v44, v[22:23]
	v_add3_u32 v23, v46, v23, v45
	s_mov_b64 s[44:45], s[36:37]
                                        ; implicit-def: $sgpr26_sgpr27
                                        ; implicit-def: $sgpr30_sgpr31
                                        ; implicit-def: $sgpr16_sgpr17
                                        ; implicit-def: $sgpr46_sgpr47
	s_branch .LBB505_1174
.LBB505_1173:                           ;   in Loop: Header=BB505_1174 Depth=2
	s_or_b64 exec, exec, s[50:51]
	s_and_b64 s[18:19], exec, s[30:31]
	s_or_b64 s[28:29], s[18:19], s[28:29]
	s_andn2_b64 s[18:19], s[46:47], exec
	s_and_b64 s[46:47], s[48:49], exec
	s_or_b64 s[46:47], s[18:19], s[46:47]
	s_andn2_b64 s[18:19], s[26:27], exec
	s_and_b64 s[26:27], s[16:17], exec
	s_or_b64 s[26:27], s[18:19], s[26:27]
	s_andn2_b64 exec, exec, s[28:29]
	s_cbranch_execz .LBB505_1169
.LBB505_1174:                           ;   Parent Loop BB505_1171 Depth=1
                                        ; =>  This Inner Loop Header: Depth=2
	global_load_dwordx2 v[44:45], v[0:1], off
	global_load_dwordx2 v[46:47], v[22:23], off
	s_andn2_b64 s[50:51], s[16:17], exec
	s_or_b64 s[30:31], s[30:31], exec
	s_waitcnt vmcnt(0)
	v_cmp_le_i64_e64 s[16:17], v[44:45], v[46:47]
	v_cmp_lt_i64_e32 vcc, v[44:45], v[46:47]
	s_and_b64 s[16:17], s[16:17], s[46:47]
	s_or_b64 s[48:49], vcc, s[16:17]
	s_and_b64 s[16:17], s[48:49], exec
	v_cmp_eq_u64_e64 s[18:19], v[44:45], v[46:47]
	s_or_b64 s[16:17], s[50:51], s[16:17]
	s_and_saveexec_b64 s[50:51], s[18:19]
	s_cbranch_execz .LBB505_1173
; %bb.1175:                             ;   in Loop: Header=BB505_1174 Depth=2
	s_add_u32 s44, s44, -1
	s_addc_u32 s45, s45, -1
	s_cmp_eq_u64 s[44:45], 0
	s_cselect_b64 s[18:19], -1, 0
	s_andn2_b64 s[30:31], s[30:31], exec
	s_and_b64 s[18:19], s[18:19], exec
	v_lshl_add_u64 v[0:1], v[0:1], 0, 8
	v_lshl_add_u64 v[22:23], v[22:23], 0, 8
	s_andn2_b64 s[16:17], s[16:17], exec
	s_or_b64 s[30:31], s[30:31], s[18:19]
                                        ; implicit-def: $sgpr46_sgpr47
	s_branch .LBB505_1173
.LBB505_1176:
	s_or_b64 exec, exec, s[22:23]
.LBB505_1177:
	s_or_b64 exec, exec, s[20:21]
	v_add_u32_e32 v0, v24, v40
	v_add_u32_e32 v23, v38, v39
	v_sub_u32_e32 v39, v0, v38
	v_cmp_le_u32_e32 vcc, v23, v24
	v_cmp_le_u32_e64 s[14:15], v39, v25
	s_or_b64 s[14:15], vcc, s[14:15]
	s_and_saveexec_b64 s[18:19], s[14:15]
	s_cbranch_execz .LBB505_1268
; %bb.1178:
	v_cmp_ge_u32_e32 vcc, v23, v24
	v_cmp_lt_u32_e64 s[14:15], v23, v24
                                        ; implicit-def: $vgpr0_vgpr1
	s_and_saveexec_b64 s[16:17], s[14:15]
; %bb.1179:
	v_lshl_add_u32 v0, v38, 3, v37
	ds_read_b64 v[0:1], v0
; %bb.1180:
	s_or_b64 exec, exec, s[16:17]
	v_cmp_ge_u32_e64 s[20:21], v39, v25
	v_cmp_lt_u32_e64 s[14:15], v39, v25
                                        ; implicit-def: $vgpr2_vgpr3
	s_and_saveexec_b64 s[16:17], s[14:15]
; %bb.1181:
	v_lshl_add_u32 v2, v39, 3, v33
	ds_read_b64 v[2:3], v2
; %bb.1182:
	s_or_b64 exec, exec, s[16:17]
	s_nor_b64 s[14:15], vcc, s[20:21]
	s_and_saveexec_b64 s[22:23], s[14:15]
	s_cbranch_execz .LBB505_1191
; %bb.1183:
	s_andn2_b64 vcc, exec, s[42:43]
	s_cbranch_vccnz .LBB505_1189
; %bb.1184:
	s_waitcnt lgkmcnt(0)
	v_mul_lo_u32 v6, v3, s36
	v_mul_lo_u32 v7, v2, s37
	v_mad_u64_u32 v[4:5], s[14:15], v2, s36, 0
	v_add3_u32 v5, v5, v7, v6
	v_mul_lo_u32 v8, v1, s36
	v_mul_lo_u32 v9, v0, s37
	v_mad_u64_u32 v[6:7], s[14:15], v0, s36, 0
	v_add3_u32 v7, v7, v9, v8
	v_lshl_add_u64 v[4:5], v[4:5], 3, s[38:39]
	v_lshl_add_u64 v[6:7], v[6:7], 3, s[38:39]
	s_mov_b64 s[24:25], 0
	s_mov_b64 s[30:31], s[36:37]
                                        ; implicit-def: $sgpr26_sgpr27
                                        ; implicit-def: $sgpr28_sgpr29
                                        ; implicit-def: $sgpr14_sgpr15
                                        ; implicit-def: $sgpr44_sgpr45
	s_branch .LBB505_1186
.LBB505_1185:                           ;   in Loop: Header=BB505_1186 Depth=1
	s_or_b64 exec, exec, s[48:49]
	s_and_b64 s[16:17], exec, s[28:29]
	s_or_b64 s[24:25], s[16:17], s[24:25]
	s_andn2_b64 s[16:17], s[44:45], exec
	s_and_b64 s[44:45], s[46:47], exec
	s_or_b64 s[44:45], s[16:17], s[44:45]
	s_andn2_b64 s[16:17], s[26:27], exec
	s_and_b64 s[26:27], s[14:15], exec
	s_or_b64 s[26:27], s[16:17], s[26:27]
	s_andn2_b64 exec, exec, s[24:25]
	s_cbranch_execz .LBB505_1188
.LBB505_1186:                           ; =>This Inner Loop Header: Depth=1
	global_load_dwordx2 v[8:9], v[4:5], off
	global_load_dwordx2 v[10:11], v[6:7], off
	s_andn2_b64 s[48:49], s[14:15], exec
	s_or_b64 s[28:29], s[28:29], exec
	s_waitcnt vmcnt(0)
	v_cmp_le_i64_e64 s[14:15], v[8:9], v[10:11]
	v_cmp_lt_i64_e32 vcc, v[8:9], v[10:11]
	s_and_b64 s[14:15], s[14:15], s[44:45]
	s_or_b64 s[46:47], vcc, s[14:15]
	s_and_b64 s[14:15], s[46:47], exec
	v_cmp_eq_u64_e64 s[16:17], v[8:9], v[10:11]
	s_or_b64 s[14:15], s[48:49], s[14:15]
	s_and_saveexec_b64 s[48:49], s[16:17]
	s_cbranch_execz .LBB505_1185
; %bb.1187:                             ;   in Loop: Header=BB505_1186 Depth=1
	s_add_u32 s30, s30, -1
	s_addc_u32 s31, s31, -1
	s_cmp_eq_u64 s[30:31], 0
	s_cselect_b64 s[16:17], -1, 0
	s_andn2_b64 s[28:29], s[28:29], exec
	s_and_b64 s[16:17], s[16:17], exec
	v_lshl_add_u64 v[4:5], v[4:5], 0, 8
	v_lshl_add_u64 v[6:7], v[6:7], 0, 8
	s_andn2_b64 s[14:15], s[14:15], exec
	s_or_b64 s[28:29], s[28:29], s[16:17]
                                        ; implicit-def: $sgpr44_sgpr45
	s_branch .LBB505_1185
.LBB505_1188:
	s_or_b64 exec, exec, s[24:25]
	s_xor_b64 s[14:15], s[26:27], -1
	s_branch .LBB505_1190
.LBB505_1189:
	s_mov_b64 s[14:15], -1
.LBB505_1190:
	s_andn2_b64 s[16:17], s[20:21], exec
	s_and_b64 s[14:15], s[14:15], exec
	s_or_b64 s[20:21], s[16:17], s[14:15]
.LBB505_1191:
	s_or_b64 exec, exec, s[22:23]
	v_cndmask_b32_e64 v4, v39, v23, s[20:21]
	v_cndmask_b32_e64 v5, v25, v24, s[20:21]
	v_add_u32_e32 v6, 1, v4
	v_add_u32_e32 v4, -1, v5
	v_min_u32_e32 v4, v6, v4
	v_lshl_add_u32 v4, v4, 3, v33
	ds_read_b64 v[4:5], v4
	v_cndmask_b32_e64 v8, v6, v39, s[20:21]
	v_cndmask_b32_e64 v9, v23, v6, s[20:21]
	v_cmp_lt_u32_e32 vcc, v8, v25
	s_mov_b64 s[24:25], -1
	s_waitcnt lgkmcnt(0)
	v_cndmask_b32_e64 v14, v5, v3, s[20:21]
	v_cndmask_b32_e64 v15, v4, v2, s[20:21]
	;; [unrolled: 1-line block ×4, first 2 shown]
	s_mov_b64 s[22:23], -1
	s_and_saveexec_b64 s[26:27], vcc
	s_cbranch_execz .LBB505_1202
; %bb.1192:
	v_cmp_lt_u32_e32 vcc, v9, v24
	s_mov_b64 s[14:15], 0
	s_and_saveexec_b64 s[22:23], vcc
	s_cbranch_execz .LBB505_1201
; %bb.1193:
	s_andn2_b64 vcc, exec, s[42:43]
	s_cbranch_vccnz .LBB505_1199
; %bb.1194:
	v_mul_lo_u32 v6, v14, s36
	v_mul_lo_u32 v7, v15, s37
	v_mad_u64_u32 v[4:5], s[14:15], v15, s36, 0
	v_add3_u32 v5, v5, v7, v6
	v_mul_lo_u32 v10, v16, s36
	v_mul_lo_u32 v11, v22, s37
	v_mad_u64_u32 v[6:7], s[14:15], v22, s36, 0
	v_add3_u32 v7, v7, v11, v10
	v_lshl_add_u64 v[4:5], v[4:5], 3, s[38:39]
	v_lshl_add_u64 v[6:7], v[6:7], 3, s[38:39]
	s_mov_b64 s[28:29], 0
	s_mov_b64 s[46:47], s[36:37]
                                        ; implicit-def: $sgpr30_sgpr31
                                        ; implicit-def: $sgpr44_sgpr45
                                        ; implicit-def: $sgpr14_sgpr15
                                        ; implicit-def: $sgpr48_sgpr49
	s_branch .LBB505_1196
.LBB505_1195:                           ;   in Loop: Header=BB505_1196 Depth=1
	s_or_b64 exec, exec, s[52:53]
	s_and_b64 s[16:17], exec, s[44:45]
	s_or_b64 s[28:29], s[16:17], s[28:29]
	s_andn2_b64 s[16:17], s[48:49], exec
	s_and_b64 s[48:49], s[50:51], exec
	s_or_b64 s[48:49], s[16:17], s[48:49]
	s_andn2_b64 s[16:17], s[30:31], exec
	s_and_b64 s[30:31], s[14:15], exec
	s_or_b64 s[30:31], s[16:17], s[30:31]
	s_andn2_b64 exec, exec, s[28:29]
	s_cbranch_execz .LBB505_1198
.LBB505_1196:                           ; =>This Inner Loop Header: Depth=1
	global_load_dwordx2 v[10:11], v[4:5], off
	global_load_dwordx2 v[12:13], v[6:7], off
	s_andn2_b64 s[52:53], s[14:15], exec
	s_or_b64 s[44:45], s[44:45], exec
	s_waitcnt vmcnt(0)
	v_cmp_le_i64_e64 s[14:15], v[10:11], v[12:13]
	v_cmp_lt_i64_e32 vcc, v[10:11], v[12:13]
	s_and_b64 s[14:15], s[14:15], s[48:49]
	s_or_b64 s[50:51], vcc, s[14:15]
	s_and_b64 s[14:15], s[50:51], exec
	v_cmp_eq_u64_e64 s[16:17], v[10:11], v[12:13]
	s_or_b64 s[14:15], s[52:53], s[14:15]
	s_and_saveexec_b64 s[52:53], s[16:17]
	s_cbranch_execz .LBB505_1195
; %bb.1197:                             ;   in Loop: Header=BB505_1196 Depth=1
	s_add_u32 s46, s46, -1
	s_addc_u32 s47, s47, -1
	s_cmp_eq_u64 s[46:47], 0
	s_cselect_b64 s[16:17], -1, 0
	s_andn2_b64 s[44:45], s[44:45], exec
	s_and_b64 s[16:17], s[16:17], exec
	v_lshl_add_u64 v[4:5], v[4:5], 0, 8
	v_lshl_add_u64 v[6:7], v[6:7], 0, 8
	s_andn2_b64 s[14:15], s[14:15], exec
	s_or_b64 s[44:45], s[44:45], s[16:17]
                                        ; implicit-def: $sgpr48_sgpr49
	s_branch .LBB505_1195
.LBB505_1198:
	s_or_b64 exec, exec, s[28:29]
	s_xor_b64 s[14:15], s[30:31], -1
	s_branch .LBB505_1200
.LBB505_1199:
	s_mov_b64 s[14:15], -1
.LBB505_1200:
	s_and_b64 s[14:15], s[14:15], exec
.LBB505_1201:
	s_or_b64 exec, exec, s[22:23]
	s_orn2_b64 s[22:23], s[14:15], exec
.LBB505_1202:
	s_or_b64 exec, exec, s[26:27]
	v_cndmask_b32_e64 v4, v8, v9, s[22:23]
	v_cndmask_b32_e64 v5, v25, v24, s[22:23]
	v_add_u32_e32 v6, 1, v4
	v_add_u32_e32 v4, -1, v5
	v_min_u32_e32 v4, v6, v4
	v_lshl_add_u32 v4, v4, 3, v33
	ds_read_b64 v[4:5], v4
	v_cndmask_b32_e64 v8, v6, v8, s[22:23]
	v_cndmask_b32_e64 v9, v9, v6, s[22:23]
	v_cmp_lt_u32_e32 vcc, v8, v25
	s_waitcnt lgkmcnt(0)
	v_cndmask_b32_e64 v10, v5, v14, s[22:23]
	v_cndmask_b32_e64 v17, v4, v15, s[22:23]
	;; [unrolled: 1-line block ×4, first 2 shown]
	s_and_saveexec_b64 s[26:27], vcc
	s_cbranch_execz .LBB505_1213
; %bb.1203:
	v_cmp_lt_u32_e32 vcc, v9, v24
	s_mov_b64 s[14:15], 0
	s_and_saveexec_b64 s[24:25], vcc
	s_cbranch_execz .LBB505_1212
; %bb.1204:
	s_andn2_b64 vcc, exec, s[42:43]
	s_cbranch_vccnz .LBB505_1210
; %bb.1205:
	v_mul_lo_u32 v6, v10, s36
	v_mul_lo_u32 v7, v17, s37
	v_mad_u64_u32 v[4:5], s[14:15], v17, s36, 0
	v_add3_u32 v5, v5, v7, v6
	v_mul_lo_u32 v12, v11, s36
	v_mul_lo_u32 v13, v23, s37
	v_mad_u64_u32 v[6:7], s[14:15], v23, s36, 0
	v_add3_u32 v7, v7, v13, v12
	v_lshl_add_u64 v[4:5], v[4:5], 3, s[38:39]
	v_lshl_add_u64 v[6:7], v[6:7], 3, s[38:39]
	s_mov_b64 s[28:29], 0
	s_mov_b64 s[46:47], s[36:37]
                                        ; implicit-def: $sgpr30_sgpr31
                                        ; implicit-def: $sgpr44_sgpr45
                                        ; implicit-def: $sgpr14_sgpr15
                                        ; implicit-def: $sgpr48_sgpr49
	s_branch .LBB505_1207
.LBB505_1206:                           ;   in Loop: Header=BB505_1207 Depth=1
	s_or_b64 exec, exec, s[52:53]
	s_and_b64 s[16:17], exec, s[44:45]
	s_or_b64 s[28:29], s[16:17], s[28:29]
	s_andn2_b64 s[16:17], s[48:49], exec
	s_and_b64 s[48:49], s[50:51], exec
	s_or_b64 s[48:49], s[16:17], s[48:49]
	s_andn2_b64 s[16:17], s[30:31], exec
	s_and_b64 s[30:31], s[14:15], exec
	s_or_b64 s[30:31], s[16:17], s[30:31]
	s_andn2_b64 exec, exec, s[28:29]
	s_cbranch_execz .LBB505_1209
.LBB505_1207:                           ; =>This Inner Loop Header: Depth=1
	global_load_dwordx2 v[12:13], v[4:5], off
	global_load_dwordx2 v[38:39], v[6:7], off
	s_andn2_b64 s[52:53], s[14:15], exec
	s_or_b64 s[44:45], s[44:45], exec
	s_waitcnt vmcnt(0)
	v_cmp_le_i64_e64 s[14:15], v[12:13], v[38:39]
	v_cmp_lt_i64_e32 vcc, v[12:13], v[38:39]
	s_and_b64 s[14:15], s[14:15], s[48:49]
	s_or_b64 s[50:51], vcc, s[14:15]
	s_and_b64 s[14:15], s[50:51], exec
	v_cmp_eq_u64_e64 s[16:17], v[12:13], v[38:39]
	s_or_b64 s[14:15], s[52:53], s[14:15]
	s_and_saveexec_b64 s[52:53], s[16:17]
	s_cbranch_execz .LBB505_1206
; %bb.1208:                             ;   in Loop: Header=BB505_1207 Depth=1
	s_add_u32 s46, s46, -1
	s_addc_u32 s47, s47, -1
	s_cmp_eq_u64 s[46:47], 0
	s_cselect_b64 s[16:17], -1, 0
	s_andn2_b64 s[44:45], s[44:45], exec
	s_and_b64 s[16:17], s[16:17], exec
	v_lshl_add_u64 v[4:5], v[4:5], 0, 8
	v_lshl_add_u64 v[6:7], v[6:7], 0, 8
	s_andn2_b64 s[14:15], s[14:15], exec
	s_or_b64 s[44:45], s[44:45], s[16:17]
                                        ; implicit-def: $sgpr48_sgpr49
	s_branch .LBB505_1206
.LBB505_1209:
	s_or_b64 exec, exec, s[28:29]
	s_xor_b64 s[14:15], s[30:31], -1
	s_branch .LBB505_1211
.LBB505_1210:
	s_mov_b64 s[14:15], -1
.LBB505_1211:
	s_and_b64 s[14:15], s[14:15], exec
.LBB505_1212:
	s_or_b64 exec, exec, s[24:25]
	s_orn2_b64 s[24:25], s[14:15], exec
.LBB505_1213:
	s_or_b64 exec, exec, s[26:27]
	v_cndmask_b32_e64 v4, v8, v9, s[24:25]
	v_cndmask_b32_e64 v5, v25, v24, s[24:25]
	v_add_u32_e32 v6, 1, v4
	v_add_u32_e32 v4, -1, v5
	v_min_u32_e32 v4, v6, v4
	v_lshl_add_u32 v4, v4, 3, v33
	ds_read_b64 v[4:5], v4
	v_cndmask_b32_e64 v8, v6, v8, s[24:25]
	v_cndmask_b32_e64 v9, v9, v6, s[24:25]
	v_cmp_lt_u32_e32 vcc, v8, v25
	s_mov_b64 s[28:29], -1
	s_waitcnt lgkmcnt(0)
	v_cndmask_b32_e64 v12, v5, v10, s[24:25]
	v_cndmask_b32_e64 v37, v4, v17, s[24:25]
	;; [unrolled: 1-line block ×4, first 2 shown]
	s_mov_b64 s[26:27], -1
	s_and_saveexec_b64 s[30:31], vcc
	s_cbranch_execz .LBB505_1224
; %bb.1214:
	v_cmp_lt_u32_e32 vcc, v9, v24
	s_mov_b64 s[14:15], 0
	s_and_saveexec_b64 s[26:27], vcc
	s_cbranch_execz .LBB505_1223
; %bb.1215:
	s_andn2_b64 vcc, exec, s[42:43]
	s_cbranch_vccnz .LBB505_1221
; %bb.1216:
	v_mul_lo_u32 v6, v12, s36
	v_mul_lo_u32 v7, v37, s37
	v_mad_u64_u32 v[4:5], s[14:15], v37, s36, 0
	v_add3_u32 v5, v5, v7, v6
	v_mul_lo_u32 v39, v13, s36
	v_mul_lo_u32 v40, v38, s37
	v_mad_u64_u32 v[6:7], s[14:15], v38, s36, 0
	v_add3_u32 v7, v7, v40, v39
	v_lshl_add_u64 v[4:5], v[4:5], 3, s[38:39]
	v_lshl_add_u64 v[6:7], v[6:7], 3, s[38:39]
	s_mov_b64 s[44:45], 0
	s_mov_b64 s[50:51], s[36:37]
                                        ; implicit-def: $sgpr46_sgpr47
                                        ; implicit-def: $sgpr48_sgpr49
                                        ; implicit-def: $sgpr14_sgpr15
                                        ; implicit-def: $sgpr52_sgpr53
	s_branch .LBB505_1218
.LBB505_1217:                           ;   in Loop: Header=BB505_1218 Depth=1
	s_or_b64 exec, exec, s[56:57]
	s_and_b64 s[16:17], exec, s[48:49]
	s_or_b64 s[44:45], s[16:17], s[44:45]
	s_andn2_b64 s[16:17], s[52:53], exec
	s_and_b64 s[52:53], s[54:55], exec
	s_or_b64 s[52:53], s[16:17], s[52:53]
	s_andn2_b64 s[16:17], s[46:47], exec
	s_and_b64 s[46:47], s[14:15], exec
	s_or_b64 s[46:47], s[16:17], s[46:47]
	s_andn2_b64 exec, exec, s[44:45]
	s_cbranch_execz .LBB505_1220
.LBB505_1218:                           ; =>This Inner Loop Header: Depth=1
	global_load_dwordx2 v[40:41], v[4:5], off
	global_load_dwordx2 v[42:43], v[6:7], off
	s_andn2_b64 s[56:57], s[14:15], exec
	s_or_b64 s[48:49], s[48:49], exec
	s_waitcnt vmcnt(0)
	v_cmp_le_i64_e64 s[14:15], v[40:41], v[42:43]
	v_cmp_lt_i64_e32 vcc, v[40:41], v[42:43]
	s_and_b64 s[14:15], s[14:15], s[52:53]
	s_or_b64 s[54:55], vcc, s[14:15]
	s_and_b64 s[14:15], s[54:55], exec
	v_cmp_eq_u64_e64 s[16:17], v[40:41], v[42:43]
	s_or_b64 s[14:15], s[56:57], s[14:15]
	s_and_saveexec_b64 s[56:57], s[16:17]
	s_cbranch_execz .LBB505_1217
; %bb.1219:                             ;   in Loop: Header=BB505_1218 Depth=1
	s_add_u32 s50, s50, -1
	s_addc_u32 s51, s51, -1
	s_cmp_eq_u64 s[50:51], 0
	s_cselect_b64 s[16:17], -1, 0
	s_andn2_b64 s[48:49], s[48:49], exec
	s_and_b64 s[16:17], s[16:17], exec
	v_lshl_add_u64 v[4:5], v[4:5], 0, 8
	v_lshl_add_u64 v[6:7], v[6:7], 0, 8
	s_andn2_b64 s[14:15], s[14:15], exec
	s_or_b64 s[48:49], s[48:49], s[16:17]
                                        ; implicit-def: $sgpr52_sgpr53
	s_branch .LBB505_1217
.LBB505_1220:
	s_or_b64 exec, exec, s[44:45]
	s_xor_b64 s[14:15], s[46:47], -1
	s_branch .LBB505_1222
.LBB505_1221:
	s_mov_b64 s[14:15], -1
.LBB505_1222:
	s_and_b64 s[14:15], s[14:15], exec
.LBB505_1223:
	s_or_b64 exec, exec, s[26:27]
	s_orn2_b64 s[26:27], s[14:15], exec
.LBB505_1224:
	s_or_b64 exec, exec, s[30:31]
	v_cndmask_b32_e64 v4, v8, v9, s[26:27]
	v_cndmask_b32_e64 v5, v25, v24, s[26:27]
	v_add_u32_e32 v6, 1, v4
	v_add_u32_e32 v4, -1, v5
	v_min_u32_e32 v4, v6, v4
	v_lshl_add_u32 v4, v4, 3, v33
	ds_read_b64 v[4:5], v4
	v_cndmask_b32_e64 v45, v6, v8, s[26:27]
	v_cndmask_b32_e64 v46, v9, v6, s[26:27]
	v_cmp_lt_u32_e32 vcc, v45, v25
	s_waitcnt lgkmcnt(0)
	v_cndmask_b32_e64 v39, v5, v12, s[26:27]
	v_cndmask_b32_e64 v40, v4, v37, s[26:27]
	;; [unrolled: 1-line block ×4, first 2 shown]
	s_and_saveexec_b64 s[30:31], vcc
	s_cbranch_execz .LBB505_1235
; %bb.1225:
	v_cmp_lt_u32_e32 vcc, v46, v24
	s_mov_b64 s[14:15], 0
	s_and_saveexec_b64 s[28:29], vcc
	s_cbranch_execz .LBB505_1234
; %bb.1226:
	s_andn2_b64 vcc, exec, s[42:43]
	s_cbranch_vccnz .LBB505_1232
; %bb.1227:
	v_mul_lo_u32 v6, v39, s36
	v_mul_lo_u32 v7, v40, s37
	v_mad_u64_u32 v[4:5], s[14:15], v40, s36, 0
	v_add3_u32 v5, v5, v7, v6
	v_mul_lo_u32 v8, v41, s36
	v_mul_lo_u32 v9, v42, s37
	v_mad_u64_u32 v[6:7], s[14:15], v42, s36, 0
	v_add3_u32 v7, v7, v9, v8
	v_lshl_add_u64 v[4:5], v[4:5], 3, s[38:39]
	v_lshl_add_u64 v[6:7], v[6:7], 3, s[38:39]
	s_mov_b64 s[44:45], 0
	s_mov_b64 s[50:51], s[36:37]
                                        ; implicit-def: $sgpr46_sgpr47
                                        ; implicit-def: $sgpr48_sgpr49
                                        ; implicit-def: $sgpr14_sgpr15
                                        ; implicit-def: $sgpr52_sgpr53
	s_branch .LBB505_1229
.LBB505_1228:                           ;   in Loop: Header=BB505_1229 Depth=1
	s_or_b64 exec, exec, s[56:57]
	s_and_b64 s[16:17], exec, s[48:49]
	s_or_b64 s[44:45], s[16:17], s[44:45]
	s_andn2_b64 s[16:17], s[52:53], exec
	s_and_b64 s[52:53], s[54:55], exec
	s_or_b64 s[52:53], s[16:17], s[52:53]
	s_andn2_b64 s[16:17], s[46:47], exec
	s_and_b64 s[46:47], s[14:15], exec
	s_or_b64 s[46:47], s[16:17], s[46:47]
	s_andn2_b64 exec, exec, s[44:45]
	s_cbranch_execz .LBB505_1231
.LBB505_1229:                           ; =>This Inner Loop Header: Depth=1
	global_load_dwordx2 v[8:9], v[4:5], off
	global_load_dwordx2 v[48:49], v[6:7], off
	s_andn2_b64 s[56:57], s[14:15], exec
	s_or_b64 s[48:49], s[48:49], exec
	s_waitcnt vmcnt(0)
	v_cmp_le_i64_e64 s[14:15], v[8:9], v[48:49]
	v_cmp_lt_i64_e32 vcc, v[8:9], v[48:49]
	s_and_b64 s[14:15], s[14:15], s[52:53]
	s_or_b64 s[54:55], vcc, s[14:15]
	s_and_b64 s[14:15], s[54:55], exec
	v_cmp_eq_u64_e64 s[16:17], v[8:9], v[48:49]
	s_or_b64 s[14:15], s[56:57], s[14:15]
	s_and_saveexec_b64 s[56:57], s[16:17]
	s_cbranch_execz .LBB505_1228
; %bb.1230:                             ;   in Loop: Header=BB505_1229 Depth=1
	s_add_u32 s50, s50, -1
	s_addc_u32 s51, s51, -1
	s_cmp_eq_u64 s[50:51], 0
	s_cselect_b64 s[16:17], -1, 0
	s_andn2_b64 s[48:49], s[48:49], exec
	s_and_b64 s[16:17], s[16:17], exec
	v_lshl_add_u64 v[4:5], v[4:5], 0, 8
	v_lshl_add_u64 v[6:7], v[6:7], 0, 8
	s_andn2_b64 s[14:15], s[14:15], exec
	s_or_b64 s[48:49], s[48:49], s[16:17]
                                        ; implicit-def: $sgpr52_sgpr53
	s_branch .LBB505_1228
.LBB505_1231:
	s_or_b64 exec, exec, s[44:45]
	s_xor_b64 s[14:15], s[46:47], -1
	s_branch .LBB505_1233
.LBB505_1232:
	s_mov_b64 s[14:15], -1
.LBB505_1233:
	s_and_b64 s[14:15], s[14:15], exec
.LBB505_1234:
	s_or_b64 exec, exec, s[28:29]
	s_orn2_b64 s[28:29], s[14:15], exec
.LBB505_1235:
	s_or_b64 exec, exec, s[30:31]
	v_cndmask_b32_e64 v4, v45, v46, s[28:29]
	v_cndmask_b32_e64 v5, v25, v24, s[28:29]
	v_add_u32_e32 v6, 1, v4
	v_add_u32_e32 v4, -1, v5
	v_min_u32_e32 v4, v6, v4
	v_lshl_add_u32 v4, v4, 3, v33
	ds_read_b64 v[4:5], v4
	v_cndmask_b32_e64 v47, v6, v45, s[28:29]
	v_cndmask_b32_e64 v51, v46, v6, s[28:29]
	v_cmp_lt_u32_e32 vcc, v47, v25
	s_mov_b64 s[30:31], -1
	s_waitcnt lgkmcnt(0)
	v_cndmask_b32_e64 v8, v5, v39, s[28:29]
	v_cndmask_b32_e64 v43, v4, v40, s[28:29]
	;; [unrolled: 1-line block ×4, first 2 shown]
	s_mov_b64 s[44:45], -1
	s_and_saveexec_b64 s[46:47], vcc
	s_cbranch_execz .LBB505_1246
; %bb.1236:
	v_cmp_lt_u32_e32 vcc, v51, v24
	s_mov_b64 s[14:15], 0
	s_and_saveexec_b64 s[44:45], vcc
	s_cbranch_execz .LBB505_1245
; %bb.1237:
	s_andn2_b64 vcc, exec, s[42:43]
	s_cbranch_vccnz .LBB505_1243
; %bb.1238:
	v_mul_lo_u32 v6, v8, s36
	v_mul_lo_u32 v7, v43, s37
	v_mad_u64_u32 v[4:5], s[14:15], v43, s36, 0
	v_add3_u32 v5, v5, v7, v6
	v_mul_lo_u32 v45, v9, s36
	v_mul_lo_u32 v46, v44, s37
	v_mad_u64_u32 v[6:7], s[14:15], v44, s36, 0
	v_add3_u32 v7, v7, v46, v45
	v_lshl_add_u64 v[4:5], v[4:5], 3, s[38:39]
	v_lshl_add_u64 v[6:7], v[6:7], 3, s[38:39]
	s_mov_b64 s[48:49], 0
	s_mov_b64 s[54:55], s[36:37]
                                        ; implicit-def: $sgpr50_sgpr51
                                        ; implicit-def: $sgpr52_sgpr53
                                        ; implicit-def: $sgpr14_sgpr15
                                        ; implicit-def: $sgpr56_sgpr57
	s_branch .LBB505_1240
.LBB505_1239:                           ;   in Loop: Header=BB505_1240 Depth=1
	s_or_b64 exec, exec, s[60:61]
	s_and_b64 s[16:17], exec, s[52:53]
	s_or_b64 s[48:49], s[16:17], s[48:49]
	s_andn2_b64 s[16:17], s[56:57], exec
	s_and_b64 s[56:57], s[58:59], exec
	s_or_b64 s[56:57], s[16:17], s[56:57]
	s_andn2_b64 s[16:17], s[50:51], exec
	s_and_b64 s[50:51], s[14:15], exec
	s_or_b64 s[50:51], s[16:17], s[50:51]
	s_andn2_b64 exec, exec, s[48:49]
	s_cbranch_execz .LBB505_1242
.LBB505_1240:                           ; =>This Inner Loop Header: Depth=1
	global_load_dwordx2 v[48:49], v[4:5], off
	global_load_dwordx2 v[52:53], v[6:7], off
	s_andn2_b64 s[60:61], s[14:15], exec
	s_or_b64 s[52:53], s[52:53], exec
	s_waitcnt vmcnt(0)
	v_cmp_le_i64_e64 s[14:15], v[48:49], v[52:53]
	v_cmp_lt_i64_e32 vcc, v[48:49], v[52:53]
	s_and_b64 s[14:15], s[14:15], s[56:57]
	s_or_b64 s[58:59], vcc, s[14:15]
	s_and_b64 s[14:15], s[58:59], exec
	v_cmp_eq_u64_e64 s[16:17], v[48:49], v[52:53]
	s_or_b64 s[14:15], s[60:61], s[14:15]
	s_and_saveexec_b64 s[60:61], s[16:17]
	s_cbranch_execz .LBB505_1239
; %bb.1241:                             ;   in Loop: Header=BB505_1240 Depth=1
	s_add_u32 s54, s54, -1
	s_addc_u32 s55, s55, -1
	s_cmp_eq_u64 s[54:55], 0
	s_cselect_b64 s[16:17], -1, 0
	s_andn2_b64 s[52:53], s[52:53], exec
	s_and_b64 s[16:17], s[16:17], exec
	v_lshl_add_u64 v[4:5], v[4:5], 0, 8
	v_lshl_add_u64 v[6:7], v[6:7], 0, 8
	s_andn2_b64 s[14:15], s[14:15], exec
	s_or_b64 s[52:53], s[52:53], s[16:17]
                                        ; implicit-def: $sgpr56_sgpr57
	s_branch .LBB505_1239
.LBB505_1242:
	s_or_b64 exec, exec, s[48:49]
	s_xor_b64 s[14:15], s[50:51], -1
	s_branch .LBB505_1244
.LBB505_1243:
	s_mov_b64 s[14:15], -1
.LBB505_1244:
	s_and_b64 s[14:15], s[14:15], exec
.LBB505_1245:
	s_or_b64 exec, exec, s[44:45]
	s_orn2_b64 s[44:45], s[14:15], exec
.LBB505_1246:
	s_or_b64 exec, exec, s[46:47]
	v_cndmask_b32_e64 v4, v47, v51, s[44:45]
	v_cndmask_b32_e64 v5, v25, v24, s[44:45]
	v_add_u32_e32 v6, 1, v4
	v_add_u32_e32 v4, -1, v5
	v_min_u32_e32 v4, v6, v4
	v_lshl_add_u32 v4, v4, 3, v33
	ds_read_b64 v[4:5], v4
	v_cndmask_b32_e64 v48, v6, v47, s[44:45]
	v_cndmask_b32_e64 v47, v51, v6, s[44:45]
	v_cmp_lt_u32_e32 vcc, v48, v25
	s_waitcnt lgkmcnt(0)
	v_cndmask_b32_e64 v45, v5, v8, s[44:45]
	v_cndmask_b32_e64 v46, v4, v43, s[44:45]
	;; [unrolled: 1-line block ×4, first 2 shown]
	s_and_saveexec_b64 s[46:47], vcc
	s_cbranch_execz .LBB505_1257
; %bb.1247:
	v_cmp_lt_u32_e32 vcc, v47, v24
	s_mov_b64 s[14:15], 0
	s_and_saveexec_b64 s[30:31], vcc
	s_cbranch_execz .LBB505_1256
; %bb.1248:
	s_andn2_b64 vcc, exec, s[42:43]
	s_cbranch_vccnz .LBB505_1254
; %bb.1249:
	v_mul_lo_u32 v6, v45, s36
	v_mul_lo_u32 v7, v46, s37
	v_mad_u64_u32 v[4:5], s[14:15], v46, s36, 0
	v_add3_u32 v5, v5, v7, v6
	v_mul_lo_u32 v51, v49, s36
	v_mul_lo_u32 v52, v50, s37
	v_mad_u64_u32 v[6:7], s[14:15], v50, s36, 0
	v_add3_u32 v7, v7, v52, v51
	v_lshl_add_u64 v[4:5], v[4:5], 3, s[38:39]
	v_lshl_add_u64 v[6:7], v[6:7], 3, s[38:39]
	s_mov_b64 s[48:49], 0
	s_mov_b64 s[54:55], s[36:37]
                                        ; implicit-def: $sgpr50_sgpr51
                                        ; implicit-def: $sgpr52_sgpr53
                                        ; implicit-def: $sgpr14_sgpr15
                                        ; implicit-def: $sgpr56_sgpr57
	s_branch .LBB505_1251
.LBB505_1250:                           ;   in Loop: Header=BB505_1251 Depth=1
	s_or_b64 exec, exec, s[60:61]
	s_and_b64 s[16:17], exec, s[52:53]
	s_or_b64 s[48:49], s[16:17], s[48:49]
	s_andn2_b64 s[16:17], s[56:57], exec
	s_and_b64 s[56:57], s[58:59], exec
	s_or_b64 s[56:57], s[16:17], s[56:57]
	s_andn2_b64 s[16:17], s[50:51], exec
	s_and_b64 s[50:51], s[14:15], exec
	s_or_b64 s[50:51], s[16:17], s[50:51]
	s_andn2_b64 exec, exec, s[48:49]
	s_cbranch_execz .LBB505_1253
.LBB505_1251:                           ; =>This Inner Loop Header: Depth=1
	global_load_dwordx2 v[52:53], v[4:5], off
	global_load_dwordx2 v[54:55], v[6:7], off
	s_andn2_b64 s[60:61], s[14:15], exec
	s_or_b64 s[52:53], s[52:53], exec
	s_waitcnt vmcnt(0)
	v_cmp_le_i64_e64 s[14:15], v[52:53], v[54:55]
	v_cmp_lt_i64_e32 vcc, v[52:53], v[54:55]
	s_and_b64 s[14:15], s[14:15], s[56:57]
	s_or_b64 s[58:59], vcc, s[14:15]
	s_and_b64 s[14:15], s[58:59], exec
	v_cmp_eq_u64_e64 s[16:17], v[52:53], v[54:55]
	s_or_b64 s[14:15], s[60:61], s[14:15]
	s_and_saveexec_b64 s[60:61], s[16:17]
	s_cbranch_execz .LBB505_1250
; %bb.1252:                             ;   in Loop: Header=BB505_1251 Depth=1
	s_add_u32 s54, s54, -1
	s_addc_u32 s55, s55, -1
	s_cmp_eq_u64 s[54:55], 0
	s_cselect_b64 s[16:17], -1, 0
	s_andn2_b64 s[52:53], s[52:53], exec
	s_and_b64 s[16:17], s[16:17], exec
	v_lshl_add_u64 v[4:5], v[4:5], 0, 8
	v_lshl_add_u64 v[6:7], v[6:7], 0, 8
	s_andn2_b64 s[14:15], s[14:15], exec
	s_or_b64 s[52:53], s[52:53], s[16:17]
                                        ; implicit-def: $sgpr56_sgpr57
	s_branch .LBB505_1250
.LBB505_1253:
	s_or_b64 exec, exec, s[48:49]
	s_xor_b64 s[14:15], s[50:51], -1
	s_branch .LBB505_1255
.LBB505_1254:
	s_mov_b64 s[14:15], -1
.LBB505_1255:
	s_and_b64 s[14:15], s[14:15], exec
.LBB505_1256:
	s_or_b64 exec, exec, s[30:31]
	s_orn2_b64 s[30:31], s[14:15], exec
.LBB505_1257:
	s_or_b64 exec, exec, s[46:47]
	v_cndmask_b32_e64 v4, v48, v47, s[30:31]
	v_cndmask_b32_e64 v5, v25, v24, s[30:31]
	;; [unrolled: 1-line block ×4, first 2 shown]
	v_add_u32_e32 v37, 1, v4
	v_add_u32_e32 v4, -1, v5
	v_min_u32_e32 v4, v37, v4
	v_lshl_add_u32 v4, v4, 3, v33
	v_cndmask_b32_e64 v11, v10, v11, s[24:25]
	v_cndmask_b32_e64 v10, v17, v23, s[24:25]
	;; [unrolled: 1-line block ×4, first 2 shown]
	ds_read_b64 v[22:23], v4
	v_cndmask_b32_e64 v14, v2, v0, s[20:21]
	v_cndmask_b32_e64 v0, v37, v48, s[30:31]
	;; [unrolled: 1-line block ×9, first 2 shown]
	s_waitcnt lgkmcnt(0)
	v_cndmask_b32_e64 v5, v49, v23, s[30:31]
	v_cndmask_b32_e64 v4, v50, v22, s[30:31]
	v_cmp_lt_u32_e32 vcc, v0, v25
	s_and_saveexec_b64 s[20:21], vcc
	s_cbranch_execz .LBB505_1267
; %bb.1258:
	v_cndmask_b32_e64 v0, v22, v46, s[30:31]
	v_cndmask_b32_e64 v22, v47, v37, s[30:31]
	;; [unrolled: 1-line block ×3, first 2 shown]
	v_cmp_lt_u32_e32 vcc, v22, v24
	s_and_saveexec_b64 s[22:23], vcc
	s_cbranch_execz .LBB505_1266
; %bb.1259:
	s_andn2_b64 vcc, exec, s[42:43]
	s_cbranch_vccnz .LBB505_1265
; %bb.1260:
	v_mul_lo_u32 v24, v1, s36
	v_mul_lo_u32 v25, v0, s37
	v_mad_u64_u32 v[22:23], s[14:15], v0, s36, 0
	v_add3_u32 v23, v23, v25, v24
	v_mul_lo_u32 v37, v5, s36
	v_mul_lo_u32 v38, v4, s37
	v_mad_u64_u32 v[24:25], s[14:15], v4, s36, 0
	v_add3_u32 v25, v25, v38, v37
	v_lshl_add_u64 v[22:23], v[22:23], 3, s[38:39]
	v_lshl_add_u64 v[24:25], v[24:25], 3, s[38:39]
	s_mov_b64 s[24:25], 0
	s_mov_b64 s[30:31], s[36:37]
                                        ; implicit-def: $sgpr26_sgpr27
                                        ; implicit-def: $sgpr28_sgpr29
                                        ; implicit-def: $sgpr14_sgpr15
                                        ; implicit-def: $sgpr44_sgpr45
	s_branch .LBB505_1262
.LBB505_1261:                           ;   in Loop: Header=BB505_1262 Depth=1
	s_or_b64 exec, exec, s[48:49]
	s_and_b64 s[16:17], exec, s[28:29]
	s_or_b64 s[24:25], s[16:17], s[24:25]
	s_andn2_b64 s[16:17], s[44:45], exec
	s_and_b64 s[44:45], s[46:47], exec
	s_or_b64 s[44:45], s[16:17], s[44:45]
	s_andn2_b64 s[16:17], s[26:27], exec
	s_and_b64 s[26:27], s[14:15], exec
	s_or_b64 s[26:27], s[16:17], s[26:27]
	s_andn2_b64 exec, exec, s[24:25]
	s_cbranch_execz .LBB505_1264
.LBB505_1262:                           ; =>This Inner Loop Header: Depth=1
	global_load_dwordx2 v[38:39], v[22:23], off
	global_load_dwordx2 v[40:41], v[24:25], off
	s_andn2_b64 s[48:49], s[14:15], exec
	s_or_b64 s[28:29], s[28:29], exec
	s_waitcnt vmcnt(0)
	v_cmp_le_i64_e64 s[14:15], v[38:39], v[40:41]
	v_cmp_lt_i64_e32 vcc, v[38:39], v[40:41]
	s_and_b64 s[14:15], s[14:15], s[44:45]
	s_or_b64 s[46:47], vcc, s[14:15]
	s_and_b64 s[14:15], s[46:47], exec
	v_cmp_eq_u64_e64 s[16:17], v[38:39], v[40:41]
	s_or_b64 s[14:15], s[48:49], s[14:15]
	s_and_saveexec_b64 s[48:49], s[16:17]
	s_cbranch_execz .LBB505_1261
; %bb.1263:                             ;   in Loop: Header=BB505_1262 Depth=1
	s_add_u32 s30, s30, -1
	s_addc_u32 s31, s31, -1
	s_cmp_eq_u64 s[30:31], 0
	s_cselect_b64 s[16:17], -1, 0
	s_andn2_b64 s[28:29], s[28:29], exec
	s_and_b64 s[16:17], s[16:17], exec
	v_lshl_add_u64 v[22:23], v[22:23], 0, 8
	v_lshl_add_u64 v[24:25], v[24:25], 0, 8
	s_andn2_b64 s[14:15], s[14:15], exec
	s_or_b64 s[28:29], s[28:29], s[16:17]
                                        ; implicit-def: $sgpr44_sgpr45
	s_branch .LBB505_1261
.LBB505_1264:
	s_or_b64 exec, exec, s[24:25]
	v_cndmask_b32_e64 v5, v5, v1, s[26:27]
	v_cndmask_b32_e64 v4, v4, v0, s[26:27]
.LBB505_1265:
	v_mov_b64_e32 v[0:1], v[4:5]
.LBB505_1266:
	s_or_b64 exec, exec, s[22:23]
	v_mov_b64_e32 v[4:5], v[0:1]
.LBB505_1267:
	s_or_b64 exec, exec, s[20:21]
.LBB505_1268:
	s_or_b64 exec, exec, s[18:19]
	; wave barrier
	ds_write_b128 v36, v[14:17]
	ds_write_b128 v36, v[10:13] offset:16
	ds_write_b128 v36, v[6:9] offset:32
	;; [unrolled: 1-line block ×3, first 2 shown]
	v_and_b32_e32 v36, 0x380, v35
	v_or_b32_e32 v0, 64, v36
	v_min_u32_e32 v24, v34, v0
	v_add_u32_e32 v0, 64, v24
	v_min_u32_e32 v25, v34, v0
	v_and_b32_e32 v0, 0x78, v35
	v_min_u32_e32 v37, v34, v0
	v_sub_u32_e32 v0, v24, v36
	v_sub_u32_e32 v1, v25, v24
	v_sub_u32_e64 v35, v37, v1 clamp
	v_min_u32_e32 v38, v37, v0
	v_lshl_add_u32 v34, v36, 3, v33
	v_cmp_lt_u32_e32 vcc, v35, v38
	; wave barrier
	s_and_saveexec_b64 s[20:21], vcc
	s_cbranch_execz .LBB505_1278
; %bb.1269:
	v_lshlrev_b32_e32 v0, 3, v24
	v_lshlrev_b32_e32 v1, 3, v37
	v_add3_u32 v39, v33, v0, v1
	v_cndmask_b32_e64 v0, 0, 1, s[42:43]
	s_lshl_b64 s[24:25], s[36:37], 3
	s_mov_b64 s[22:23], 0
	v_cmp_ne_u32_e64 s[14:15], 1, v0
	s_branch .LBB505_1272
.LBB505_1270:                           ;   in Loop: Header=BB505_1272 Depth=1
	s_or_b64 exec, exec, s[28:29]
.LBB505_1271:                           ;   in Loop: Header=BB505_1272 Depth=1
	v_add_u32_e32 v0, 1, v40
	v_cndmask_b32_e64 v38, v38, v40, s[26:27]
	v_cndmask_b32_e64 v35, v0, v35, s[26:27]
	v_cmp_ge_u32_e32 vcc, v35, v38
	s_or_b64 s[22:23], vcc, s[22:23]
	s_andn2_b64 exec, exec, s[22:23]
	s_cbranch_execz .LBB505_1277
.LBB505_1272:                           ; =>This Loop Header: Depth=1
                                        ;     Child Loop BB505_1275 Depth 2
	v_add_u32_e32 v0, v38, v35
	v_lshrrev_b32_e32 v40, 1, v0
	s_and_b64 vcc, exec, s[14:15]
	s_mov_b64 s[26:27], 0
	s_cbranch_vccnz .LBB505_1271
; %bb.1273:                             ;   in Loop: Header=BB505_1272 Depth=1
	v_not_b32_e32 v0, v40
	v_lshl_add_u32 v0, v0, 3, v39
	ds_read_b64 v[0:1], v0
	v_lshl_add_u32 v41, v40, 3, v34
	ds_read_b64 v[42:43], v41
	v_mov_b64_e32 v[22:23], s[38:39]
	s_mov_b64 s[28:29], 0
	s_waitcnt lgkmcnt(1)
	v_mul_lo_u32 v41, s24, v1
	v_mul_lo_u32 v44, s25, v0
	v_mad_u64_u32 v[0:1], s[16:17], s24, v0, v[22:23]
	v_add3_u32 v1, v44, v1, v41
	s_waitcnt lgkmcnt(0)
	v_mul_lo_u32 v41, s24, v43
	v_mul_lo_u32 v43, s25, v42
	v_mad_u64_u32 v[22:23], s[16:17], s24, v42, v[22:23]
	v_add3_u32 v23, v43, v23, v41
	s_mov_b64 s[44:45], s[36:37]
                                        ; implicit-def: $sgpr26_sgpr27
                                        ; implicit-def: $sgpr30_sgpr31
                                        ; implicit-def: $sgpr16_sgpr17
                                        ; implicit-def: $sgpr46_sgpr47
	s_branch .LBB505_1275
.LBB505_1274:                           ;   in Loop: Header=BB505_1275 Depth=2
	s_or_b64 exec, exec, s[50:51]
	s_and_b64 s[18:19], exec, s[30:31]
	s_or_b64 s[28:29], s[18:19], s[28:29]
	s_andn2_b64 s[18:19], s[46:47], exec
	s_and_b64 s[46:47], s[48:49], exec
	s_or_b64 s[46:47], s[18:19], s[46:47]
	s_andn2_b64 s[18:19], s[26:27], exec
	s_and_b64 s[26:27], s[16:17], exec
	s_or_b64 s[26:27], s[18:19], s[26:27]
	s_andn2_b64 exec, exec, s[28:29]
	s_cbranch_execz .LBB505_1270
.LBB505_1275:                           ;   Parent Loop BB505_1272 Depth=1
                                        ; =>  This Inner Loop Header: Depth=2
	global_load_dwordx2 v[42:43], v[0:1], off
	global_load_dwordx2 v[44:45], v[22:23], off
	s_andn2_b64 s[50:51], s[16:17], exec
	s_or_b64 s[30:31], s[30:31], exec
	s_waitcnt vmcnt(0)
	v_cmp_le_i64_e64 s[16:17], v[42:43], v[44:45]
	v_cmp_lt_i64_e32 vcc, v[42:43], v[44:45]
	s_and_b64 s[16:17], s[16:17], s[46:47]
	s_or_b64 s[48:49], vcc, s[16:17]
	s_and_b64 s[16:17], s[48:49], exec
	v_cmp_eq_u64_e64 s[18:19], v[42:43], v[44:45]
	s_or_b64 s[16:17], s[50:51], s[16:17]
	s_and_saveexec_b64 s[50:51], s[18:19]
	s_cbranch_execz .LBB505_1274
; %bb.1276:                             ;   in Loop: Header=BB505_1275 Depth=2
	s_add_u32 s44, s44, -1
	s_addc_u32 s45, s45, -1
	s_cmp_eq_u64 s[44:45], 0
	s_cselect_b64 s[18:19], -1, 0
	s_andn2_b64 s[30:31], s[30:31], exec
	s_and_b64 s[18:19], s[18:19], exec
	v_lshl_add_u64 v[0:1], v[0:1], 0, 8
	v_lshl_add_u64 v[22:23], v[22:23], 0, 8
	s_andn2_b64 s[16:17], s[16:17], exec
	s_or_b64 s[30:31], s[30:31], s[18:19]
                                        ; implicit-def: $sgpr46_sgpr47
	s_branch .LBB505_1274
.LBB505_1277:
	s_or_b64 exec, exec, s[22:23]
.LBB505_1278:
	s_or_b64 exec, exec, s[20:21]
	v_add_u32_e32 v0, v24, v37
	v_add_u32_e32 v23, v35, v36
	v_sub_u32_e32 v36, v0, v35
	v_cmp_le_u32_e32 vcc, v23, v24
	v_cmp_le_u32_e64 s[14:15], v36, v25
	s_or_b64 s[14:15], vcc, s[14:15]
	s_and_saveexec_b64 s[18:19], s[14:15]
	s_cbranch_execz .LBB505_1369
; %bb.1279:
	v_cmp_ge_u32_e32 vcc, v23, v24
	v_cmp_lt_u32_e64 s[14:15], v23, v24
                                        ; implicit-def: $vgpr0_vgpr1
	s_and_saveexec_b64 s[16:17], s[14:15]
; %bb.1280:
	v_lshl_add_u32 v0, v35, 3, v34
	ds_read_b64 v[0:1], v0
; %bb.1281:
	s_or_b64 exec, exec, s[16:17]
	v_cmp_ge_u32_e64 s[20:21], v36, v25
	v_cmp_lt_u32_e64 s[14:15], v36, v25
                                        ; implicit-def: $vgpr2_vgpr3
	s_and_saveexec_b64 s[16:17], s[14:15]
; %bb.1282:
	v_lshl_add_u32 v2, v36, 3, v33
	ds_read_b64 v[2:3], v2
; %bb.1283:
	s_or_b64 exec, exec, s[16:17]
	s_nor_b64 s[14:15], vcc, s[20:21]
	s_and_saveexec_b64 s[22:23], s[14:15]
	s_cbranch_execz .LBB505_1292
; %bb.1284:
	s_andn2_b64 vcc, exec, s[42:43]
	s_cbranch_vccnz .LBB505_1290
; %bb.1285:
	s_waitcnt lgkmcnt(0)
	v_mul_lo_u32 v6, v3, s36
	v_mul_lo_u32 v7, v2, s37
	v_mad_u64_u32 v[4:5], s[14:15], v2, s36, 0
	v_add3_u32 v5, v5, v7, v6
	v_mul_lo_u32 v8, v1, s36
	v_mul_lo_u32 v9, v0, s37
	v_mad_u64_u32 v[6:7], s[14:15], v0, s36, 0
	v_add3_u32 v7, v7, v9, v8
	v_lshl_add_u64 v[4:5], v[4:5], 3, s[38:39]
	v_lshl_add_u64 v[6:7], v[6:7], 3, s[38:39]
	s_mov_b64 s[24:25], 0
	s_mov_b64 s[30:31], s[36:37]
                                        ; implicit-def: $sgpr26_sgpr27
                                        ; implicit-def: $sgpr28_sgpr29
                                        ; implicit-def: $sgpr14_sgpr15
                                        ; implicit-def: $sgpr44_sgpr45
	s_branch .LBB505_1287
.LBB505_1286:                           ;   in Loop: Header=BB505_1287 Depth=1
	s_or_b64 exec, exec, s[48:49]
	s_and_b64 s[16:17], exec, s[28:29]
	s_or_b64 s[24:25], s[16:17], s[24:25]
	s_andn2_b64 s[16:17], s[44:45], exec
	s_and_b64 s[44:45], s[46:47], exec
	s_or_b64 s[44:45], s[16:17], s[44:45]
	s_andn2_b64 s[16:17], s[26:27], exec
	s_and_b64 s[26:27], s[14:15], exec
	s_or_b64 s[26:27], s[16:17], s[26:27]
	s_andn2_b64 exec, exec, s[24:25]
	s_cbranch_execz .LBB505_1289
.LBB505_1287:                           ; =>This Inner Loop Header: Depth=1
	global_load_dwordx2 v[8:9], v[4:5], off
	global_load_dwordx2 v[10:11], v[6:7], off
	s_andn2_b64 s[48:49], s[14:15], exec
	s_or_b64 s[28:29], s[28:29], exec
	s_waitcnt vmcnt(0)
	v_cmp_le_i64_e64 s[14:15], v[8:9], v[10:11]
	v_cmp_lt_i64_e32 vcc, v[8:9], v[10:11]
	s_and_b64 s[14:15], s[14:15], s[44:45]
	s_or_b64 s[46:47], vcc, s[14:15]
	s_and_b64 s[14:15], s[46:47], exec
	v_cmp_eq_u64_e64 s[16:17], v[8:9], v[10:11]
	s_or_b64 s[14:15], s[48:49], s[14:15]
	s_and_saveexec_b64 s[48:49], s[16:17]
	s_cbranch_execz .LBB505_1286
; %bb.1288:                             ;   in Loop: Header=BB505_1287 Depth=1
	s_add_u32 s30, s30, -1
	s_addc_u32 s31, s31, -1
	s_cmp_eq_u64 s[30:31], 0
	s_cselect_b64 s[16:17], -1, 0
	s_andn2_b64 s[28:29], s[28:29], exec
	s_and_b64 s[16:17], s[16:17], exec
	v_lshl_add_u64 v[4:5], v[4:5], 0, 8
	v_lshl_add_u64 v[6:7], v[6:7], 0, 8
	s_andn2_b64 s[14:15], s[14:15], exec
	s_or_b64 s[28:29], s[28:29], s[16:17]
                                        ; implicit-def: $sgpr44_sgpr45
	s_branch .LBB505_1286
.LBB505_1289:
	s_or_b64 exec, exec, s[24:25]
	s_xor_b64 s[14:15], s[26:27], -1
	s_branch .LBB505_1291
.LBB505_1290:
	s_mov_b64 s[14:15], -1
.LBB505_1291:
	s_andn2_b64 s[16:17], s[20:21], exec
	s_and_b64 s[14:15], s[14:15], exec
	s_or_b64 s[20:21], s[16:17], s[14:15]
.LBB505_1292:
	s_or_b64 exec, exec, s[22:23]
	v_cndmask_b32_e64 v4, v36, v23, s[20:21]
	v_cndmask_b32_e64 v5, v25, v24, s[20:21]
	v_add_u32_e32 v6, 1, v4
	v_add_u32_e32 v4, -1, v5
	v_min_u32_e32 v4, v6, v4
	v_lshl_add_u32 v4, v4, 3, v33
	ds_read_b64 v[4:5], v4
	v_cndmask_b32_e64 v8, v6, v36, s[20:21]
	v_cndmask_b32_e64 v9, v23, v6, s[20:21]
	v_cmp_lt_u32_e32 vcc, v8, v25
	s_mov_b64 s[24:25], -1
	s_waitcnt lgkmcnt(0)
	v_cndmask_b32_e64 v14, v5, v3, s[20:21]
	v_cndmask_b32_e64 v15, v4, v2, s[20:21]
	v_cndmask_b32_e64 v16, v1, v5, s[20:21]
	v_cndmask_b32_e64 v22, v0, v4, s[20:21]
	s_mov_b64 s[22:23], -1
	s_and_saveexec_b64 s[26:27], vcc
	s_cbranch_execz .LBB505_1303
; %bb.1293:
	v_cmp_lt_u32_e32 vcc, v9, v24
	s_mov_b64 s[14:15], 0
	s_and_saveexec_b64 s[22:23], vcc
	s_cbranch_execz .LBB505_1302
; %bb.1294:
	s_andn2_b64 vcc, exec, s[42:43]
	s_cbranch_vccnz .LBB505_1300
; %bb.1295:
	v_mul_lo_u32 v6, v14, s36
	v_mul_lo_u32 v7, v15, s37
	v_mad_u64_u32 v[4:5], s[14:15], v15, s36, 0
	v_add3_u32 v5, v5, v7, v6
	v_mul_lo_u32 v10, v16, s36
	v_mul_lo_u32 v11, v22, s37
	v_mad_u64_u32 v[6:7], s[14:15], v22, s36, 0
	v_add3_u32 v7, v7, v11, v10
	v_lshl_add_u64 v[4:5], v[4:5], 3, s[38:39]
	v_lshl_add_u64 v[6:7], v[6:7], 3, s[38:39]
	s_mov_b64 s[28:29], 0
	s_mov_b64 s[46:47], s[36:37]
                                        ; implicit-def: $sgpr30_sgpr31
                                        ; implicit-def: $sgpr44_sgpr45
                                        ; implicit-def: $sgpr14_sgpr15
                                        ; implicit-def: $sgpr48_sgpr49
	s_branch .LBB505_1297
.LBB505_1296:                           ;   in Loop: Header=BB505_1297 Depth=1
	s_or_b64 exec, exec, s[52:53]
	s_and_b64 s[16:17], exec, s[44:45]
	s_or_b64 s[28:29], s[16:17], s[28:29]
	s_andn2_b64 s[16:17], s[48:49], exec
	s_and_b64 s[48:49], s[50:51], exec
	s_or_b64 s[48:49], s[16:17], s[48:49]
	s_andn2_b64 s[16:17], s[30:31], exec
	s_and_b64 s[30:31], s[14:15], exec
	s_or_b64 s[30:31], s[16:17], s[30:31]
	s_andn2_b64 exec, exec, s[28:29]
	s_cbranch_execz .LBB505_1299
.LBB505_1297:                           ; =>This Inner Loop Header: Depth=1
	global_load_dwordx2 v[10:11], v[4:5], off
	global_load_dwordx2 v[12:13], v[6:7], off
	s_andn2_b64 s[52:53], s[14:15], exec
	s_or_b64 s[44:45], s[44:45], exec
	s_waitcnt vmcnt(0)
	v_cmp_le_i64_e64 s[14:15], v[10:11], v[12:13]
	v_cmp_lt_i64_e32 vcc, v[10:11], v[12:13]
	s_and_b64 s[14:15], s[14:15], s[48:49]
	s_or_b64 s[50:51], vcc, s[14:15]
	s_and_b64 s[14:15], s[50:51], exec
	v_cmp_eq_u64_e64 s[16:17], v[10:11], v[12:13]
	s_or_b64 s[14:15], s[52:53], s[14:15]
	s_and_saveexec_b64 s[52:53], s[16:17]
	s_cbranch_execz .LBB505_1296
; %bb.1298:                             ;   in Loop: Header=BB505_1297 Depth=1
	s_add_u32 s46, s46, -1
	s_addc_u32 s47, s47, -1
	s_cmp_eq_u64 s[46:47], 0
	s_cselect_b64 s[16:17], -1, 0
	s_andn2_b64 s[44:45], s[44:45], exec
	s_and_b64 s[16:17], s[16:17], exec
	v_lshl_add_u64 v[4:5], v[4:5], 0, 8
	v_lshl_add_u64 v[6:7], v[6:7], 0, 8
	s_andn2_b64 s[14:15], s[14:15], exec
	s_or_b64 s[44:45], s[44:45], s[16:17]
                                        ; implicit-def: $sgpr48_sgpr49
	s_branch .LBB505_1296
.LBB505_1299:
	s_or_b64 exec, exec, s[28:29]
	s_xor_b64 s[14:15], s[30:31], -1
	s_branch .LBB505_1301
.LBB505_1300:
	s_mov_b64 s[14:15], -1
.LBB505_1301:
	s_and_b64 s[14:15], s[14:15], exec
.LBB505_1302:
	s_or_b64 exec, exec, s[22:23]
	s_orn2_b64 s[22:23], s[14:15], exec
.LBB505_1303:
	s_or_b64 exec, exec, s[26:27]
	v_cndmask_b32_e64 v4, v8, v9, s[22:23]
	v_cndmask_b32_e64 v5, v25, v24, s[22:23]
	v_add_u32_e32 v6, 1, v4
	v_add_u32_e32 v4, -1, v5
	v_min_u32_e32 v4, v6, v4
	v_lshl_add_u32 v4, v4, 3, v33
	ds_read_b64 v[4:5], v4
	v_cndmask_b32_e64 v8, v6, v8, s[22:23]
	v_cndmask_b32_e64 v9, v9, v6, s[22:23]
	v_cmp_lt_u32_e32 vcc, v8, v25
	s_waitcnt lgkmcnt(0)
	v_cndmask_b32_e64 v10, v5, v14, s[22:23]
	v_cndmask_b32_e64 v17, v4, v15, s[22:23]
	;; [unrolled: 1-line block ×4, first 2 shown]
	s_and_saveexec_b64 s[26:27], vcc
	s_cbranch_execz .LBB505_1314
; %bb.1304:
	v_cmp_lt_u32_e32 vcc, v9, v24
	s_mov_b64 s[14:15], 0
	s_and_saveexec_b64 s[24:25], vcc
	s_cbranch_execz .LBB505_1313
; %bb.1305:
	s_andn2_b64 vcc, exec, s[42:43]
	s_cbranch_vccnz .LBB505_1311
; %bb.1306:
	v_mul_lo_u32 v6, v10, s36
	v_mul_lo_u32 v7, v17, s37
	v_mad_u64_u32 v[4:5], s[14:15], v17, s36, 0
	v_add3_u32 v5, v5, v7, v6
	v_mul_lo_u32 v12, v11, s36
	v_mul_lo_u32 v13, v23, s37
	v_mad_u64_u32 v[6:7], s[14:15], v23, s36, 0
	v_add3_u32 v7, v7, v13, v12
	v_lshl_add_u64 v[4:5], v[4:5], 3, s[38:39]
	v_lshl_add_u64 v[6:7], v[6:7], 3, s[38:39]
	s_mov_b64 s[28:29], 0
	s_mov_b64 s[46:47], s[36:37]
                                        ; implicit-def: $sgpr30_sgpr31
                                        ; implicit-def: $sgpr44_sgpr45
                                        ; implicit-def: $sgpr14_sgpr15
                                        ; implicit-def: $sgpr48_sgpr49
	s_branch .LBB505_1308
.LBB505_1307:                           ;   in Loop: Header=BB505_1308 Depth=1
	s_or_b64 exec, exec, s[52:53]
	s_and_b64 s[16:17], exec, s[44:45]
	s_or_b64 s[28:29], s[16:17], s[28:29]
	s_andn2_b64 s[16:17], s[48:49], exec
	s_and_b64 s[48:49], s[50:51], exec
	s_or_b64 s[48:49], s[16:17], s[48:49]
	s_andn2_b64 s[16:17], s[30:31], exec
	s_and_b64 s[30:31], s[14:15], exec
	s_or_b64 s[30:31], s[16:17], s[30:31]
	s_andn2_b64 exec, exec, s[28:29]
	s_cbranch_execz .LBB505_1310
.LBB505_1308:                           ; =>This Inner Loop Header: Depth=1
	global_load_dwordx2 v[12:13], v[4:5], off
	global_load_dwordx2 v[34:35], v[6:7], off
	s_andn2_b64 s[52:53], s[14:15], exec
	s_or_b64 s[44:45], s[44:45], exec
	s_waitcnt vmcnt(0)
	v_cmp_le_i64_e64 s[14:15], v[12:13], v[34:35]
	v_cmp_lt_i64_e32 vcc, v[12:13], v[34:35]
	s_and_b64 s[14:15], s[14:15], s[48:49]
	s_or_b64 s[50:51], vcc, s[14:15]
	s_and_b64 s[14:15], s[50:51], exec
	v_cmp_eq_u64_e64 s[16:17], v[12:13], v[34:35]
	s_or_b64 s[14:15], s[52:53], s[14:15]
	s_and_saveexec_b64 s[52:53], s[16:17]
	s_cbranch_execz .LBB505_1307
; %bb.1309:                             ;   in Loop: Header=BB505_1308 Depth=1
	s_add_u32 s46, s46, -1
	s_addc_u32 s47, s47, -1
	s_cmp_eq_u64 s[46:47], 0
	s_cselect_b64 s[16:17], -1, 0
	s_andn2_b64 s[44:45], s[44:45], exec
	s_and_b64 s[16:17], s[16:17], exec
	v_lshl_add_u64 v[4:5], v[4:5], 0, 8
	v_lshl_add_u64 v[6:7], v[6:7], 0, 8
	s_andn2_b64 s[14:15], s[14:15], exec
	s_or_b64 s[44:45], s[44:45], s[16:17]
                                        ; implicit-def: $sgpr48_sgpr49
	s_branch .LBB505_1307
.LBB505_1310:
	s_or_b64 exec, exec, s[28:29]
	s_xor_b64 s[14:15], s[30:31], -1
	s_branch .LBB505_1312
.LBB505_1311:
	s_mov_b64 s[14:15], -1
.LBB505_1312:
	s_and_b64 s[14:15], s[14:15], exec
.LBB505_1313:
	s_or_b64 exec, exec, s[24:25]
	s_orn2_b64 s[24:25], s[14:15], exec
.LBB505_1314:
	s_or_b64 exec, exec, s[26:27]
	v_cndmask_b32_e64 v4, v8, v9, s[24:25]
	v_cndmask_b32_e64 v5, v25, v24, s[24:25]
	v_add_u32_e32 v6, 1, v4
	v_add_u32_e32 v4, -1, v5
	v_min_u32_e32 v4, v6, v4
	v_lshl_add_u32 v4, v4, 3, v33
	ds_read_b64 v[4:5], v4
	v_cndmask_b32_e64 v8, v6, v8, s[24:25]
	v_cndmask_b32_e64 v9, v9, v6, s[24:25]
	v_cmp_lt_u32_e32 vcc, v8, v25
	s_mov_b64 s[28:29], -1
	s_waitcnt lgkmcnt(0)
	v_cndmask_b32_e64 v12, v5, v10, s[24:25]
	v_cndmask_b32_e64 v34, v4, v17, s[24:25]
	;; [unrolled: 1-line block ×4, first 2 shown]
	s_mov_b64 s[26:27], -1
	s_and_saveexec_b64 s[30:31], vcc
	s_cbranch_execz .LBB505_1325
; %bb.1315:
	v_cmp_lt_u32_e32 vcc, v9, v24
	s_mov_b64 s[14:15], 0
	s_and_saveexec_b64 s[26:27], vcc
	s_cbranch_execz .LBB505_1324
; %bb.1316:
	s_andn2_b64 vcc, exec, s[42:43]
	s_cbranch_vccnz .LBB505_1322
; %bb.1317:
	v_mul_lo_u32 v6, v12, s36
	v_mul_lo_u32 v7, v34, s37
	v_mad_u64_u32 v[4:5], s[14:15], v34, s36, 0
	v_add3_u32 v5, v5, v7, v6
	v_mul_lo_u32 v36, v13, s36
	v_mul_lo_u32 v37, v35, s37
	v_mad_u64_u32 v[6:7], s[14:15], v35, s36, 0
	v_add3_u32 v7, v7, v37, v36
	v_lshl_add_u64 v[4:5], v[4:5], 3, s[38:39]
	v_lshl_add_u64 v[6:7], v[6:7], 3, s[38:39]
	s_mov_b64 s[44:45], 0
	s_mov_b64 s[50:51], s[36:37]
                                        ; implicit-def: $sgpr46_sgpr47
                                        ; implicit-def: $sgpr48_sgpr49
                                        ; implicit-def: $sgpr14_sgpr15
                                        ; implicit-def: $sgpr52_sgpr53
	s_branch .LBB505_1319
.LBB505_1318:                           ;   in Loop: Header=BB505_1319 Depth=1
	s_or_b64 exec, exec, s[56:57]
	s_and_b64 s[16:17], exec, s[48:49]
	s_or_b64 s[44:45], s[16:17], s[44:45]
	s_andn2_b64 s[16:17], s[52:53], exec
	s_and_b64 s[52:53], s[54:55], exec
	s_or_b64 s[52:53], s[16:17], s[52:53]
	s_andn2_b64 s[16:17], s[46:47], exec
	s_and_b64 s[46:47], s[14:15], exec
	s_or_b64 s[46:47], s[16:17], s[46:47]
	s_andn2_b64 exec, exec, s[44:45]
	s_cbranch_execz .LBB505_1321
.LBB505_1319:                           ; =>This Inner Loop Header: Depth=1
	global_load_dwordx2 v[36:37], v[4:5], off
	global_load_dwordx2 v[38:39], v[6:7], off
	s_andn2_b64 s[56:57], s[14:15], exec
	s_or_b64 s[48:49], s[48:49], exec
	s_waitcnt vmcnt(0)
	v_cmp_le_i64_e64 s[14:15], v[36:37], v[38:39]
	v_cmp_lt_i64_e32 vcc, v[36:37], v[38:39]
	s_and_b64 s[14:15], s[14:15], s[52:53]
	s_or_b64 s[54:55], vcc, s[14:15]
	s_and_b64 s[14:15], s[54:55], exec
	v_cmp_eq_u64_e64 s[16:17], v[36:37], v[38:39]
	s_or_b64 s[14:15], s[56:57], s[14:15]
	s_and_saveexec_b64 s[56:57], s[16:17]
	s_cbranch_execz .LBB505_1318
; %bb.1320:                             ;   in Loop: Header=BB505_1319 Depth=1
	s_add_u32 s50, s50, -1
	s_addc_u32 s51, s51, -1
	s_cmp_eq_u64 s[50:51], 0
	s_cselect_b64 s[16:17], -1, 0
	s_andn2_b64 s[48:49], s[48:49], exec
	s_and_b64 s[16:17], s[16:17], exec
	v_lshl_add_u64 v[4:5], v[4:5], 0, 8
	v_lshl_add_u64 v[6:7], v[6:7], 0, 8
	s_andn2_b64 s[14:15], s[14:15], exec
	s_or_b64 s[48:49], s[48:49], s[16:17]
                                        ; implicit-def: $sgpr52_sgpr53
	s_branch .LBB505_1318
.LBB505_1321:
	s_or_b64 exec, exec, s[44:45]
	s_xor_b64 s[14:15], s[46:47], -1
	s_branch .LBB505_1323
.LBB505_1322:
	s_mov_b64 s[14:15], -1
.LBB505_1323:
	s_and_b64 s[14:15], s[14:15], exec
.LBB505_1324:
	s_or_b64 exec, exec, s[26:27]
	s_orn2_b64 s[26:27], s[14:15], exec
.LBB505_1325:
	s_or_b64 exec, exec, s[30:31]
	v_cndmask_b32_e64 v4, v8, v9, s[26:27]
	v_cndmask_b32_e64 v5, v25, v24, s[26:27]
	v_add_u32_e32 v6, 1, v4
	v_add_u32_e32 v4, -1, v5
	v_min_u32_e32 v4, v6, v4
	v_lshl_add_u32 v4, v4, 3, v33
	ds_read_b64 v[4:5], v4
	v_cndmask_b32_e64 v42, v6, v8, s[26:27]
	v_cndmask_b32_e64 v43, v9, v6, s[26:27]
	v_cmp_lt_u32_e32 vcc, v42, v25
	s_waitcnt lgkmcnt(0)
	v_cndmask_b32_e64 v36, v5, v12, s[26:27]
	v_cndmask_b32_e64 v37, v4, v34, s[26:27]
	;; [unrolled: 1-line block ×4, first 2 shown]
	s_and_saveexec_b64 s[30:31], vcc
	s_cbranch_execz .LBB505_1336
; %bb.1326:
	v_cmp_lt_u32_e32 vcc, v43, v24
	s_mov_b64 s[14:15], 0
	s_and_saveexec_b64 s[28:29], vcc
	s_cbranch_execz .LBB505_1335
; %bb.1327:
	s_andn2_b64 vcc, exec, s[42:43]
	s_cbranch_vccnz .LBB505_1333
; %bb.1328:
	v_mul_lo_u32 v6, v36, s36
	v_mul_lo_u32 v7, v37, s37
	v_mad_u64_u32 v[4:5], s[14:15], v37, s36, 0
	v_add3_u32 v5, v5, v7, v6
	v_mul_lo_u32 v8, v38, s36
	v_mul_lo_u32 v9, v39, s37
	v_mad_u64_u32 v[6:7], s[14:15], v39, s36, 0
	v_add3_u32 v7, v7, v9, v8
	v_lshl_add_u64 v[4:5], v[4:5], 3, s[38:39]
	v_lshl_add_u64 v[6:7], v[6:7], 3, s[38:39]
	s_mov_b64 s[44:45], 0
	s_mov_b64 s[50:51], s[36:37]
                                        ; implicit-def: $sgpr46_sgpr47
                                        ; implicit-def: $sgpr48_sgpr49
                                        ; implicit-def: $sgpr14_sgpr15
                                        ; implicit-def: $sgpr52_sgpr53
	s_branch .LBB505_1330
.LBB505_1329:                           ;   in Loop: Header=BB505_1330 Depth=1
	s_or_b64 exec, exec, s[56:57]
	s_and_b64 s[16:17], exec, s[48:49]
	s_or_b64 s[44:45], s[16:17], s[44:45]
	s_andn2_b64 s[16:17], s[52:53], exec
	s_and_b64 s[52:53], s[54:55], exec
	s_or_b64 s[52:53], s[16:17], s[52:53]
	s_andn2_b64 s[16:17], s[46:47], exec
	s_and_b64 s[46:47], s[14:15], exec
	s_or_b64 s[46:47], s[16:17], s[46:47]
	s_andn2_b64 exec, exec, s[44:45]
	s_cbranch_execz .LBB505_1332
.LBB505_1330:                           ; =>This Inner Loop Header: Depth=1
	global_load_dwordx2 v[8:9], v[4:5], off
	global_load_dwordx2 v[40:41], v[6:7], off
	s_andn2_b64 s[56:57], s[14:15], exec
	s_or_b64 s[48:49], s[48:49], exec
	s_waitcnt vmcnt(0)
	v_cmp_le_i64_e64 s[14:15], v[8:9], v[40:41]
	v_cmp_lt_i64_e32 vcc, v[8:9], v[40:41]
	s_and_b64 s[14:15], s[14:15], s[52:53]
	s_or_b64 s[54:55], vcc, s[14:15]
	s_and_b64 s[14:15], s[54:55], exec
	v_cmp_eq_u64_e64 s[16:17], v[8:9], v[40:41]
	s_or_b64 s[14:15], s[56:57], s[14:15]
	s_and_saveexec_b64 s[56:57], s[16:17]
	s_cbranch_execz .LBB505_1329
; %bb.1331:                             ;   in Loop: Header=BB505_1330 Depth=1
	s_add_u32 s50, s50, -1
	s_addc_u32 s51, s51, -1
	s_cmp_eq_u64 s[50:51], 0
	s_cselect_b64 s[16:17], -1, 0
	s_andn2_b64 s[48:49], s[48:49], exec
	s_and_b64 s[16:17], s[16:17], exec
	v_lshl_add_u64 v[4:5], v[4:5], 0, 8
	v_lshl_add_u64 v[6:7], v[6:7], 0, 8
	s_andn2_b64 s[14:15], s[14:15], exec
	s_or_b64 s[48:49], s[48:49], s[16:17]
                                        ; implicit-def: $sgpr52_sgpr53
	s_branch .LBB505_1329
.LBB505_1332:
	s_or_b64 exec, exec, s[44:45]
	s_xor_b64 s[14:15], s[46:47], -1
	s_branch .LBB505_1334
.LBB505_1333:
	s_mov_b64 s[14:15], -1
.LBB505_1334:
	s_and_b64 s[14:15], s[14:15], exec
.LBB505_1335:
	s_or_b64 exec, exec, s[28:29]
	s_orn2_b64 s[28:29], s[14:15], exec
.LBB505_1336:
	s_or_b64 exec, exec, s[30:31]
	v_cndmask_b32_e64 v4, v42, v43, s[28:29]
	v_cndmask_b32_e64 v5, v25, v24, s[28:29]
	v_add_u32_e32 v6, 1, v4
	v_add_u32_e32 v4, -1, v5
	v_min_u32_e32 v4, v6, v4
	v_lshl_add_u32 v4, v4, 3, v33
	ds_read_b64 v[4:5], v4
	v_cndmask_b32_e64 v44, v6, v42, s[28:29]
	v_cndmask_b32_e64 v48, v43, v6, s[28:29]
	v_cmp_lt_u32_e32 vcc, v44, v25
	s_mov_b64 s[30:31], -1
	s_waitcnt lgkmcnt(0)
	v_cndmask_b32_e64 v8, v5, v36, s[28:29]
	v_cndmask_b32_e64 v40, v4, v37, s[28:29]
	;; [unrolled: 1-line block ×4, first 2 shown]
	s_mov_b64 s[44:45], -1
	s_and_saveexec_b64 s[46:47], vcc
	s_cbranch_execz .LBB505_1347
; %bb.1337:
	v_cmp_lt_u32_e32 vcc, v48, v24
	s_mov_b64 s[14:15], 0
	s_and_saveexec_b64 s[44:45], vcc
	s_cbranch_execz .LBB505_1346
; %bb.1338:
	s_andn2_b64 vcc, exec, s[42:43]
	s_cbranch_vccnz .LBB505_1344
; %bb.1339:
	v_mul_lo_u32 v6, v8, s36
	v_mul_lo_u32 v7, v40, s37
	v_mad_u64_u32 v[4:5], s[14:15], v40, s36, 0
	v_add3_u32 v5, v5, v7, v6
	v_mul_lo_u32 v42, v9, s36
	v_mul_lo_u32 v43, v41, s37
	v_mad_u64_u32 v[6:7], s[14:15], v41, s36, 0
	v_add3_u32 v7, v7, v43, v42
	v_lshl_add_u64 v[4:5], v[4:5], 3, s[38:39]
	v_lshl_add_u64 v[6:7], v[6:7], 3, s[38:39]
	s_mov_b64 s[48:49], 0
	s_mov_b64 s[54:55], s[36:37]
                                        ; implicit-def: $sgpr50_sgpr51
                                        ; implicit-def: $sgpr52_sgpr53
                                        ; implicit-def: $sgpr14_sgpr15
                                        ; implicit-def: $sgpr56_sgpr57
	s_branch .LBB505_1341
.LBB505_1340:                           ;   in Loop: Header=BB505_1341 Depth=1
	s_or_b64 exec, exec, s[60:61]
	s_and_b64 s[16:17], exec, s[52:53]
	s_or_b64 s[48:49], s[16:17], s[48:49]
	s_andn2_b64 s[16:17], s[56:57], exec
	s_and_b64 s[56:57], s[58:59], exec
	s_or_b64 s[56:57], s[16:17], s[56:57]
	s_andn2_b64 s[16:17], s[50:51], exec
	s_and_b64 s[50:51], s[14:15], exec
	s_or_b64 s[50:51], s[16:17], s[50:51]
	s_andn2_b64 exec, exec, s[48:49]
	s_cbranch_execz .LBB505_1343
.LBB505_1341:                           ; =>This Inner Loop Header: Depth=1
	global_load_dwordx2 v[42:43], v[4:5], off
	global_load_dwordx2 v[46:47], v[6:7], off
	s_andn2_b64 s[60:61], s[14:15], exec
	s_or_b64 s[52:53], s[52:53], exec
	s_waitcnt vmcnt(0)
	v_cmp_le_i64_e64 s[14:15], v[42:43], v[46:47]
	v_cmp_lt_i64_e32 vcc, v[42:43], v[46:47]
	s_and_b64 s[14:15], s[14:15], s[56:57]
	s_or_b64 s[58:59], vcc, s[14:15]
	s_and_b64 s[14:15], s[58:59], exec
	v_cmp_eq_u64_e64 s[16:17], v[42:43], v[46:47]
	s_or_b64 s[14:15], s[60:61], s[14:15]
	s_and_saveexec_b64 s[60:61], s[16:17]
	s_cbranch_execz .LBB505_1340
; %bb.1342:                             ;   in Loop: Header=BB505_1341 Depth=1
	s_add_u32 s54, s54, -1
	s_addc_u32 s55, s55, -1
	s_cmp_eq_u64 s[54:55], 0
	s_cselect_b64 s[16:17], -1, 0
	s_andn2_b64 s[52:53], s[52:53], exec
	s_and_b64 s[16:17], s[16:17], exec
	v_lshl_add_u64 v[4:5], v[4:5], 0, 8
	v_lshl_add_u64 v[6:7], v[6:7], 0, 8
	s_andn2_b64 s[14:15], s[14:15], exec
	s_or_b64 s[52:53], s[52:53], s[16:17]
                                        ; implicit-def: $sgpr56_sgpr57
	s_branch .LBB505_1340
.LBB505_1343:
	s_or_b64 exec, exec, s[48:49]
	s_xor_b64 s[14:15], s[50:51], -1
	s_branch .LBB505_1345
.LBB505_1344:
	s_mov_b64 s[14:15], -1
.LBB505_1345:
	s_and_b64 s[14:15], s[14:15], exec
.LBB505_1346:
	s_or_b64 exec, exec, s[44:45]
	s_orn2_b64 s[44:45], s[14:15], exec
.LBB505_1347:
	s_or_b64 exec, exec, s[46:47]
	v_cndmask_b32_e64 v4, v44, v48, s[44:45]
	v_cndmask_b32_e64 v5, v25, v24, s[44:45]
	v_add_u32_e32 v6, 1, v4
	v_add_u32_e32 v4, -1, v5
	v_min_u32_e32 v4, v6, v4
	v_lshl_add_u32 v4, v4, 3, v33
	ds_read_b64 v[4:5], v4
	v_cndmask_b32_e64 v45, v6, v44, s[44:45]
	v_cndmask_b32_e64 v44, v48, v6, s[44:45]
	v_cmp_lt_u32_e32 vcc, v45, v25
	s_waitcnt lgkmcnt(0)
	v_cndmask_b32_e64 v42, v5, v8, s[44:45]
	v_cndmask_b32_e64 v43, v4, v40, s[44:45]
	;; [unrolled: 1-line block ×4, first 2 shown]
	s_and_saveexec_b64 s[46:47], vcc
	s_cbranch_execz .LBB505_1358
; %bb.1348:
	v_cmp_lt_u32_e32 vcc, v44, v24
	s_mov_b64 s[14:15], 0
	s_and_saveexec_b64 s[30:31], vcc
	s_cbranch_execz .LBB505_1357
; %bb.1349:
	s_andn2_b64 vcc, exec, s[42:43]
	s_cbranch_vccnz .LBB505_1355
; %bb.1350:
	v_mul_lo_u32 v6, v42, s36
	v_mul_lo_u32 v7, v43, s37
	v_mad_u64_u32 v[4:5], s[14:15], v43, s36, 0
	v_add3_u32 v5, v5, v7, v6
	v_mul_lo_u32 v48, v46, s36
	v_mul_lo_u32 v49, v47, s37
	v_mad_u64_u32 v[6:7], s[14:15], v47, s36, 0
	v_add3_u32 v7, v7, v49, v48
	v_lshl_add_u64 v[4:5], v[4:5], 3, s[38:39]
	v_lshl_add_u64 v[6:7], v[6:7], 3, s[38:39]
	s_mov_b64 s[48:49], 0
	s_mov_b64 s[54:55], s[36:37]
                                        ; implicit-def: $sgpr50_sgpr51
                                        ; implicit-def: $sgpr52_sgpr53
                                        ; implicit-def: $sgpr14_sgpr15
                                        ; implicit-def: $sgpr56_sgpr57
	s_branch .LBB505_1352
.LBB505_1351:                           ;   in Loop: Header=BB505_1352 Depth=1
	s_or_b64 exec, exec, s[60:61]
	s_and_b64 s[16:17], exec, s[52:53]
	s_or_b64 s[48:49], s[16:17], s[48:49]
	s_andn2_b64 s[16:17], s[56:57], exec
	s_and_b64 s[56:57], s[58:59], exec
	s_or_b64 s[56:57], s[16:17], s[56:57]
	s_andn2_b64 s[16:17], s[50:51], exec
	s_and_b64 s[50:51], s[14:15], exec
	s_or_b64 s[50:51], s[16:17], s[50:51]
	s_andn2_b64 exec, exec, s[48:49]
	s_cbranch_execz .LBB505_1354
.LBB505_1352:                           ; =>This Inner Loop Header: Depth=1
	global_load_dwordx2 v[48:49], v[4:5], off
	global_load_dwordx2 v[50:51], v[6:7], off
	s_andn2_b64 s[60:61], s[14:15], exec
	s_or_b64 s[52:53], s[52:53], exec
	s_waitcnt vmcnt(0)
	v_cmp_le_i64_e64 s[14:15], v[48:49], v[50:51]
	v_cmp_lt_i64_e32 vcc, v[48:49], v[50:51]
	s_and_b64 s[14:15], s[14:15], s[56:57]
	s_or_b64 s[58:59], vcc, s[14:15]
	s_and_b64 s[14:15], s[58:59], exec
	v_cmp_eq_u64_e64 s[16:17], v[48:49], v[50:51]
	s_or_b64 s[14:15], s[60:61], s[14:15]
	s_and_saveexec_b64 s[60:61], s[16:17]
	s_cbranch_execz .LBB505_1351
; %bb.1353:                             ;   in Loop: Header=BB505_1352 Depth=1
	s_add_u32 s54, s54, -1
	s_addc_u32 s55, s55, -1
	s_cmp_eq_u64 s[54:55], 0
	s_cselect_b64 s[16:17], -1, 0
	s_andn2_b64 s[52:53], s[52:53], exec
	s_and_b64 s[16:17], s[16:17], exec
	v_lshl_add_u64 v[4:5], v[4:5], 0, 8
	v_lshl_add_u64 v[6:7], v[6:7], 0, 8
	s_andn2_b64 s[14:15], s[14:15], exec
	s_or_b64 s[52:53], s[52:53], s[16:17]
                                        ; implicit-def: $sgpr56_sgpr57
	s_branch .LBB505_1351
.LBB505_1354:
	s_or_b64 exec, exec, s[48:49]
	s_xor_b64 s[14:15], s[50:51], -1
	s_branch .LBB505_1356
.LBB505_1355:
	s_mov_b64 s[14:15], -1
.LBB505_1356:
	s_and_b64 s[14:15], s[14:15], exec
.LBB505_1357:
	s_or_b64 exec, exec, s[30:31]
	s_orn2_b64 s[30:31], s[14:15], exec
.LBB505_1358:
	s_or_b64 exec, exec, s[46:47]
	v_cndmask_b32_e64 v4, v45, v44, s[30:31]
	v_cndmask_b32_e64 v5, v25, v24, s[30:31]
	;; [unrolled: 1-line block ×4, first 2 shown]
	v_add_u32_e32 v34, 1, v4
	v_add_u32_e32 v4, -1, v5
	v_min_u32_e32 v4, v34, v4
	v_lshl_add_u32 v4, v4, 3, v33
	v_cndmask_b32_e64 v11, v10, v11, s[24:25]
	v_cndmask_b32_e64 v10, v17, v23, s[24:25]
	;; [unrolled: 1-line block ×4, first 2 shown]
	ds_read_b64 v[22:23], v4
	v_cndmask_b32_e64 v14, v2, v0, s[20:21]
	v_cndmask_b32_e64 v0, v34, v45, s[30:31]
	;; [unrolled: 1-line block ×9, first 2 shown]
	s_waitcnt lgkmcnt(0)
	v_cndmask_b32_e64 v5, v46, v23, s[30:31]
	v_cndmask_b32_e64 v4, v47, v22, s[30:31]
	v_cmp_lt_u32_e32 vcc, v0, v25
	s_and_saveexec_b64 s[20:21], vcc
	s_cbranch_execz .LBB505_1368
; %bb.1359:
	v_cndmask_b32_e64 v0, v22, v43, s[30:31]
	v_cndmask_b32_e64 v22, v44, v34, s[30:31]
	;; [unrolled: 1-line block ×3, first 2 shown]
	v_cmp_lt_u32_e32 vcc, v22, v24
	s_and_saveexec_b64 s[22:23], vcc
	s_cbranch_execz .LBB505_1367
; %bb.1360:
	s_andn2_b64 vcc, exec, s[42:43]
	s_cbranch_vccnz .LBB505_1366
; %bb.1361:
	v_mul_lo_u32 v24, v1, s36
	v_mul_lo_u32 v25, v0, s37
	v_mad_u64_u32 v[22:23], s[14:15], v0, s36, 0
	v_add3_u32 v23, v23, v25, v24
	v_mul_lo_u32 v33, v5, s36
	v_mul_lo_u32 v34, v4, s37
	v_mad_u64_u32 v[24:25], s[14:15], v4, s36, 0
	v_add3_u32 v25, v25, v34, v33
	v_lshl_add_u64 v[22:23], v[22:23], 3, s[38:39]
	v_lshl_add_u64 v[24:25], v[24:25], 3, s[38:39]
	s_mov_b64 s[24:25], 0
	s_mov_b64 s[30:31], s[36:37]
                                        ; implicit-def: $sgpr26_sgpr27
                                        ; implicit-def: $sgpr28_sgpr29
                                        ; implicit-def: $sgpr14_sgpr15
                                        ; implicit-def: $sgpr44_sgpr45
	s_branch .LBB505_1363
.LBB505_1362:                           ;   in Loop: Header=BB505_1363 Depth=1
	s_or_b64 exec, exec, s[48:49]
	s_and_b64 s[16:17], exec, s[28:29]
	s_or_b64 s[24:25], s[16:17], s[24:25]
	s_andn2_b64 s[16:17], s[44:45], exec
	s_and_b64 s[44:45], s[46:47], exec
	s_or_b64 s[44:45], s[16:17], s[44:45]
	s_andn2_b64 s[16:17], s[26:27], exec
	s_and_b64 s[26:27], s[14:15], exec
	s_or_b64 s[26:27], s[16:17], s[26:27]
	s_andn2_b64 exec, exec, s[24:25]
	s_cbranch_execz .LBB505_1365
.LBB505_1363:                           ; =>This Inner Loop Header: Depth=1
	global_load_dwordx2 v[34:35], v[22:23], off
	global_load_dwordx2 v[36:37], v[24:25], off
	s_andn2_b64 s[48:49], s[14:15], exec
	s_or_b64 s[28:29], s[28:29], exec
	s_waitcnt vmcnt(0)
	v_cmp_le_i64_e64 s[14:15], v[34:35], v[36:37]
	v_cmp_lt_i64_e32 vcc, v[34:35], v[36:37]
	s_and_b64 s[14:15], s[14:15], s[44:45]
	s_or_b64 s[46:47], vcc, s[14:15]
	s_and_b64 s[14:15], s[46:47], exec
	v_cmp_eq_u64_e64 s[16:17], v[34:35], v[36:37]
	s_or_b64 s[14:15], s[48:49], s[14:15]
	s_and_saveexec_b64 s[48:49], s[16:17]
	s_cbranch_execz .LBB505_1362
; %bb.1364:                             ;   in Loop: Header=BB505_1363 Depth=1
	s_add_u32 s30, s30, -1
	s_addc_u32 s31, s31, -1
	s_cmp_eq_u64 s[30:31], 0
	s_cselect_b64 s[16:17], -1, 0
	s_andn2_b64 s[28:29], s[28:29], exec
	s_and_b64 s[16:17], s[16:17], exec
	v_lshl_add_u64 v[22:23], v[22:23], 0, 8
	v_lshl_add_u64 v[24:25], v[24:25], 0, 8
	s_andn2_b64 s[14:15], s[14:15], exec
	s_or_b64 s[28:29], s[28:29], s[16:17]
                                        ; implicit-def: $sgpr44_sgpr45
	s_branch .LBB505_1362
.LBB505_1365:
	s_or_b64 exec, exec, s[24:25]
	v_cndmask_b32_e64 v5, v5, v1, s[26:27]
	v_cndmask_b32_e64 v4, v4, v0, s[26:27]
.LBB505_1366:
	v_mov_b64_e32 v[0:1], v[4:5]
.LBB505_1367:
	s_or_b64 exec, exec, s[22:23]
	v_mov_b64_e32 v[4:5], v[0:1]
.LBB505_1368:
	s_or_b64 exec, exec, s[20:21]
.LBB505_1369:
	s_or_b64 exec, exec, s[18:19]
	s_cmpk_lt_u32 s33, 0x81
	; wave barrier
	s_waitcnt lgkmcnt(0)
	s_barrier
	s_cbranch_scc1 .LBB505_1473
; %bb.1370:
	v_cndmask_b32_e64 v0, 0, 1, s[42:43]
	v_lshlrev_b32_e32 v24, 3, v20
	s_lshl_b64 s[20:21], s[36:37], 3
	s_movk_i32 s66, 0x80
	v_cmp_ne_u32_e64 s[14:15], 1, v0
	s_branch .LBB505_1376
.LBB505_1371:                           ;   in Loop: Header=BB505_1376 Depth=1
	s_or_b64 exec, exec, s[52:53]
	v_cndmask_b32_e64 v5, v5, v7, s[54:55]
	v_cndmask_b32_e64 v4, v4, v6, s[54:55]
.LBB505_1372:                           ;   in Loop: Header=BB505_1376 Depth=1
	v_mov_b64_e32 v[6:7], v[4:5]
.LBB505_1373:                           ;   in Loop: Header=BB505_1376 Depth=1
	s_or_b64 exec, exec, s[50:51]
	v_mov_b64_e32 v[4:5], v[6:7]
.LBB505_1374:                           ;   in Loop: Header=BB505_1376 Depth=1
	s_or_b64 exec, exec, s[48:49]
	v_cndmask_b32_e64 v9, v42, v44, s[46:47]
	v_cndmask_b32_e64 v8, v43, v45, s[46:47]
	;; [unrolled: 1-line block ×14, first 2 shown]
.LBB505_1375:                           ;   in Loop: Header=BB505_1376 Depth=1
	s_or_b64 exec, exec, s[22:23]
	s_cmp_lt_u32 s66, s33
	s_barrier
	s_cbranch_scc0 .LBB505_1473
.LBB505_1376:                           ; =>This Loop Header: Depth=1
                                        ;     Child Loop BB505_1380 Depth 2
                                        ;       Child Loop BB505_1383 Depth 3
                                        ;     Child Loop BB505_1395 Depth 2
                                        ;     Child Loop BB505_1405 Depth 2
	;; [unrolled: 1-line block ×8, first 2 shown]
	s_mov_b32 s16, s66
	s_lshl_b32 s66, s66, 1
	s_sub_i32 s18, 0, s66
	v_and_b32_e32 v36, s18, v20
	v_add_u32_e32 v0, s16, v36
	v_min_u32_e32 v25, s33, v0
	s_add_i32 s17, s66, -1
	v_add_u32_e32 v0, s16, v25
	v_min_u32_e32 v33, s33, v0
	v_and_b32_e32 v0, s17, v20
	v_min_u32_e32 v37, s33, v0
	v_sub_u32_e32 v0, v25, v36
	v_sub_u32_e32 v1, v33, v25
	v_sub_u32_e64 v35, v37, v1 clamp
	v_min_u32_e32 v38, v37, v0
	v_lshlrev_b32_e32 v34, 3, v36
	v_cmp_lt_u32_e32 vcc, v35, v38
	ds_write_b128 v24, v[14:17]
	ds_write_b128 v24, v[10:13] offset:16
	ds_write_b128 v24, v[6:9] offset:32
	;; [unrolled: 1-line block ×3, first 2 shown]
	s_waitcnt lgkmcnt(0)
	s_barrier
	s_and_saveexec_b64 s[22:23], vcc
	s_cbranch_execz .LBB505_1386
; %bb.1377:                             ;   in Loop: Header=BB505_1376 Depth=1
	v_lshlrev_b32_e32 v0, 3, v37
	v_lshl_add_u32 v39, v25, 3, v0
	s_mov_b64 s[24:25], 0
	s_branch .LBB505_1380
.LBB505_1378:                           ;   in Loop: Header=BB505_1380 Depth=2
	s_or_b64 exec, exec, s[28:29]
.LBB505_1379:                           ;   in Loop: Header=BB505_1380 Depth=2
	v_add_u32_e32 v0, 1, v40
	v_cndmask_b32_e64 v38, v38, v40, s[26:27]
	v_cndmask_b32_e64 v35, v0, v35, s[26:27]
	v_cmp_ge_u32_e32 vcc, v35, v38
	s_or_b64 s[24:25], vcc, s[24:25]
	s_andn2_b64 exec, exec, s[24:25]
	s_cbranch_execz .LBB505_1385
.LBB505_1380:                           ;   Parent Loop BB505_1376 Depth=1
                                        ; =>  This Loop Header: Depth=2
                                        ;       Child Loop BB505_1383 Depth 3
	v_add_u32_e32 v0, v38, v35
	v_lshrrev_b32_e32 v40, 1, v0
	s_and_b64 vcc, exec, s[14:15]
	s_mov_b64 s[26:27], 0
	s_cbranch_vccnz .LBB505_1379
; %bb.1381:                             ;   in Loop: Header=BB505_1380 Depth=2
	v_not_b32_e32 v0, v40
	v_lshl_add_u32 v0, v0, 3, v39
	ds_read_b64 v[0:1], v0
	v_lshl_add_u32 v41, v40, 3, v34
	ds_read_b64 v[42:43], v41
	v_mov_b64_e32 v[22:23], s[38:39]
	s_mov_b64 s[28:29], 0
	s_waitcnt lgkmcnt(1)
	v_mul_lo_u32 v41, s20, v1
	v_mul_lo_u32 v44, s21, v0
	v_mad_u64_u32 v[0:1], s[16:17], s20, v0, v[22:23]
	v_add3_u32 v1, v44, v1, v41
	s_waitcnt lgkmcnt(0)
	v_mul_lo_u32 v41, s20, v43
	v_mul_lo_u32 v43, s21, v42
	v_mad_u64_u32 v[22:23], s[16:17], s20, v42, v[22:23]
	v_add3_u32 v23, v43, v23, v41
	s_mov_b64 s[42:43], s[36:37]
                                        ; implicit-def: $sgpr26_sgpr27
                                        ; implicit-def: $sgpr30_sgpr31
                                        ; implicit-def: $sgpr16_sgpr17
                                        ; implicit-def: $sgpr44_sgpr45
	s_branch .LBB505_1383
.LBB505_1382:                           ;   in Loop: Header=BB505_1383 Depth=3
	s_or_b64 exec, exec, s[48:49]
	s_and_b64 s[18:19], exec, s[30:31]
	s_or_b64 s[28:29], s[18:19], s[28:29]
	s_andn2_b64 s[18:19], s[44:45], exec
	s_and_b64 s[44:45], s[46:47], exec
	s_or_b64 s[44:45], s[18:19], s[44:45]
	s_andn2_b64 s[18:19], s[26:27], exec
	s_and_b64 s[26:27], s[16:17], exec
	s_or_b64 s[26:27], s[18:19], s[26:27]
	s_andn2_b64 exec, exec, s[28:29]
	s_cbranch_execz .LBB505_1378
.LBB505_1383:                           ;   Parent Loop BB505_1376 Depth=1
                                        ;     Parent Loop BB505_1380 Depth=2
                                        ; =>    This Inner Loop Header: Depth=3
	global_load_dwordx2 v[42:43], v[0:1], off
	global_load_dwordx2 v[44:45], v[22:23], off
	s_andn2_b64 s[48:49], s[16:17], exec
	s_or_b64 s[30:31], s[30:31], exec
	s_waitcnt vmcnt(0)
	v_cmp_le_i64_e64 s[16:17], v[42:43], v[44:45]
	v_cmp_lt_i64_e32 vcc, v[42:43], v[44:45]
	s_and_b64 s[16:17], s[16:17], s[44:45]
	s_or_b64 s[46:47], vcc, s[16:17]
	s_and_b64 s[16:17], s[46:47], exec
	v_cmp_eq_u64_e64 s[18:19], v[42:43], v[44:45]
	s_or_b64 s[16:17], s[48:49], s[16:17]
	s_and_saveexec_b64 s[48:49], s[18:19]
	s_cbranch_execz .LBB505_1382
; %bb.1384:                             ;   in Loop: Header=BB505_1383 Depth=3
	s_add_u32 s42, s42, -1
	s_addc_u32 s43, s43, -1
	s_cmp_eq_u64 s[42:43], 0
	s_cselect_b64 s[18:19], -1, 0
	s_andn2_b64 s[30:31], s[30:31], exec
	s_and_b64 s[18:19], s[18:19], exec
	v_lshl_add_u64 v[0:1], v[0:1], 0, 8
	v_lshl_add_u64 v[22:23], v[22:23], 0, 8
	s_andn2_b64 s[16:17], s[16:17], exec
	s_or_b64 s[30:31], s[30:31], s[18:19]
                                        ; implicit-def: $sgpr44_sgpr45
	s_branch .LBB505_1382
.LBB505_1385:                           ;   in Loop: Header=BB505_1376 Depth=1
	s_or_b64 exec, exec, s[24:25]
.LBB505_1386:                           ;   in Loop: Header=BB505_1376 Depth=1
	s_or_b64 exec, exec, s[22:23]
	v_sub_u32_e32 v0, v37, v35
	v_add_u32_e32 v23, v35, v36
	v_add_u32_e32 v36, v0, v25
	v_cmp_le_u32_e32 vcc, v23, v25
	v_cmp_le_u32_e64 s[16:17], v36, v33
	s_or_b64 s[16:17], vcc, s[16:17]
	s_and_saveexec_b64 s[22:23], s[16:17]
	s_cbranch_execz .LBB505_1375
; %bb.1387:                             ;   in Loop: Header=BB505_1376 Depth=1
	v_cmp_ge_u32_e32 vcc, v23, v25
	v_cmp_lt_u32_e64 s[16:17], v23, v25
                                        ; implicit-def: $vgpr0_vgpr1
	s_and_saveexec_b64 s[18:19], s[16:17]
; %bb.1388:                             ;   in Loop: Header=BB505_1376 Depth=1
	v_lshl_add_u32 v0, v35, 3, v34
	ds_read_b64 v[0:1], v0
; %bb.1389:                             ;   in Loop: Header=BB505_1376 Depth=1
	s_or_b64 exec, exec, s[18:19]
	v_cmp_ge_u32_e64 s[24:25], v36, v33
	v_cmp_lt_u32_e64 s[16:17], v36, v33
                                        ; implicit-def: $vgpr2_vgpr3
	s_and_saveexec_b64 s[18:19], s[16:17]
; %bb.1390:                             ;   in Loop: Header=BB505_1376 Depth=1
	v_lshlrev_b32_e32 v2, 3, v36
	ds_read_b64 v[2:3], v2
; %bb.1391:                             ;   in Loop: Header=BB505_1376 Depth=1
	s_or_b64 exec, exec, s[18:19]
	s_nor_b64 s[16:17], vcc, s[24:25]
	s_and_saveexec_b64 s[26:27], s[16:17]
	s_cbranch_execz .LBB505_1400
; %bb.1392:                             ;   in Loop: Header=BB505_1376 Depth=1
	s_and_b64 vcc, exec, s[14:15]
	s_cbranch_vccnz .LBB505_1398
; %bb.1393:                             ;   in Loop: Header=BB505_1376 Depth=1
	v_mov_b64_e32 v[6:7], s[38:39]
	s_waitcnt lgkmcnt(0)
	v_mad_u64_u32 v[4:5], s[16:17], s20, v2, v[6:7]
	v_mul_lo_u32 v8, s20, v3
	v_mul_lo_u32 v9, s21, v2
	v_add3_u32 v5, v9, v5, v8
	v_mad_u64_u32 v[6:7], s[16:17], s20, v0, v[6:7]
	v_mul_lo_u32 v8, s20, v1
	v_mul_lo_u32 v9, s21, v0
	v_add3_u32 v7, v9, v7, v8
	s_mov_b64 s[28:29], 0
	s_mov_b64 s[44:45], s[36:37]
                                        ; implicit-def: $sgpr30_sgpr31
                                        ; implicit-def: $sgpr42_sgpr43
                                        ; implicit-def: $sgpr16_sgpr17
                                        ; implicit-def: $sgpr46_sgpr47
	s_branch .LBB505_1395
.LBB505_1394:                           ;   in Loop: Header=BB505_1395 Depth=2
	s_or_b64 exec, exec, s[50:51]
	s_and_b64 s[18:19], exec, s[42:43]
	s_or_b64 s[28:29], s[18:19], s[28:29]
	s_andn2_b64 s[18:19], s[46:47], exec
	s_and_b64 s[46:47], s[48:49], exec
	s_or_b64 s[46:47], s[18:19], s[46:47]
	s_andn2_b64 s[18:19], s[30:31], exec
	s_and_b64 s[30:31], s[16:17], exec
	s_or_b64 s[30:31], s[18:19], s[30:31]
	s_andn2_b64 exec, exec, s[28:29]
	s_cbranch_execz .LBB505_1397
.LBB505_1395:                           ;   Parent Loop BB505_1376 Depth=1
                                        ; =>  This Inner Loop Header: Depth=2
	global_load_dwordx2 v[8:9], v[4:5], off
	global_load_dwordx2 v[10:11], v[6:7], off
	s_andn2_b64 s[50:51], s[16:17], exec
	s_or_b64 s[42:43], s[42:43], exec
	s_waitcnt vmcnt(0)
	v_cmp_le_i64_e64 s[16:17], v[8:9], v[10:11]
	v_cmp_lt_i64_e32 vcc, v[8:9], v[10:11]
	s_and_b64 s[16:17], s[16:17], s[46:47]
	s_or_b64 s[48:49], vcc, s[16:17]
	s_and_b64 s[16:17], s[48:49], exec
	v_cmp_eq_u64_e64 s[18:19], v[8:9], v[10:11]
	s_or_b64 s[16:17], s[50:51], s[16:17]
	s_and_saveexec_b64 s[50:51], s[18:19]
	s_cbranch_execz .LBB505_1394
; %bb.1396:                             ;   in Loop: Header=BB505_1395 Depth=2
	s_add_u32 s44, s44, -1
	s_addc_u32 s45, s45, -1
	s_cmp_eq_u64 s[44:45], 0
	s_cselect_b64 s[18:19], -1, 0
	s_andn2_b64 s[42:43], s[42:43], exec
	s_and_b64 s[18:19], s[18:19], exec
	v_lshl_add_u64 v[4:5], v[4:5], 0, 8
	v_lshl_add_u64 v[6:7], v[6:7], 0, 8
	s_andn2_b64 s[16:17], s[16:17], exec
	s_or_b64 s[42:43], s[42:43], s[18:19]
                                        ; implicit-def: $sgpr46_sgpr47
	s_branch .LBB505_1394
.LBB505_1397:                           ;   in Loop: Header=BB505_1376 Depth=1
	s_or_b64 exec, exec, s[28:29]
	s_xor_b64 s[16:17], s[30:31], -1
	s_branch .LBB505_1399
.LBB505_1398:                           ;   in Loop: Header=BB505_1376 Depth=1
	s_mov_b64 s[16:17], -1
.LBB505_1399:                           ;   in Loop: Header=BB505_1376 Depth=1
	s_andn2_b64 s[18:19], s[24:25], exec
	s_and_b64 s[16:17], s[16:17], exec
	s_or_b64 s[24:25], s[18:19], s[16:17]
.LBB505_1400:                           ;   in Loop: Header=BB505_1376 Depth=1
	s_or_b64 exec, exec, s[26:27]
	v_cndmask_b32_e64 v4, v36, v23, s[24:25]
	v_cndmask_b32_e64 v5, v33, v25, s[24:25]
	v_add_u32_e32 v6, 1, v4
	v_add_u32_e32 v4, -1, v5
	v_min_u32_e32 v4, v6, v4
	v_lshlrev_b32_e32 v4, 3, v4
	ds_read_b64 v[4:5], v4
	v_cndmask_b32_e64 v8, v6, v36, s[24:25]
	v_cndmask_b32_e64 v9, v23, v6, s[24:25]
	v_cmp_lt_u32_e32 vcc, v8, v33
	s_mov_b64 s[28:29], -1
	s_waitcnt lgkmcnt(0)
	v_cndmask_b32_e64 v14, v5, v3, s[24:25]
	v_cndmask_b32_e64 v15, v4, v2, s[24:25]
	;; [unrolled: 1-line block ×4, first 2 shown]
	s_mov_b64 s[26:27], -1
	s_and_saveexec_b64 s[30:31], vcc
	s_cbranch_execz .LBB505_1411
; %bb.1401:                             ;   in Loop: Header=BB505_1376 Depth=1
	v_cmp_lt_u32_e32 vcc, v9, v25
	s_mov_b64 s[16:17], 0
	s_and_saveexec_b64 s[26:27], vcc
	s_cbranch_execz .LBB505_1410
; %bb.1402:                             ;   in Loop: Header=BB505_1376 Depth=1
	s_and_b64 vcc, exec, s[14:15]
	s_cbranch_vccnz .LBB505_1408
; %bb.1403:                             ;   in Loop: Header=BB505_1376 Depth=1
	v_mov_b64_e32 v[6:7], s[38:39]
	v_mad_u64_u32 v[4:5], s[16:17], s20, v15, v[6:7]
	v_mul_lo_u32 v10, s20, v14
	v_mul_lo_u32 v11, s21, v15
	v_add3_u32 v5, v11, v5, v10
	v_mad_u64_u32 v[6:7], s[16:17], s20, v22, v[6:7]
	v_mul_lo_u32 v10, s20, v16
	v_mul_lo_u32 v11, s21, v22
	v_add3_u32 v7, v11, v7, v10
	s_mov_b64 s[42:43], 0
	s_mov_b64 s[48:49], s[36:37]
                                        ; implicit-def: $sgpr44_sgpr45
                                        ; implicit-def: $sgpr46_sgpr47
                                        ; implicit-def: $sgpr16_sgpr17
                                        ; implicit-def: $sgpr50_sgpr51
	s_branch .LBB505_1405
.LBB505_1404:                           ;   in Loop: Header=BB505_1405 Depth=2
	s_or_b64 exec, exec, s[54:55]
	s_and_b64 s[18:19], exec, s[46:47]
	s_or_b64 s[42:43], s[18:19], s[42:43]
	s_andn2_b64 s[18:19], s[50:51], exec
	s_and_b64 s[50:51], s[52:53], exec
	s_or_b64 s[50:51], s[18:19], s[50:51]
	s_andn2_b64 s[18:19], s[44:45], exec
	s_and_b64 s[44:45], s[16:17], exec
	s_or_b64 s[44:45], s[18:19], s[44:45]
	s_andn2_b64 exec, exec, s[42:43]
	s_cbranch_execz .LBB505_1407
.LBB505_1405:                           ;   Parent Loop BB505_1376 Depth=1
                                        ; =>  This Inner Loop Header: Depth=2
	global_load_dwordx2 v[10:11], v[4:5], off
	global_load_dwordx2 v[12:13], v[6:7], off
	s_andn2_b64 s[54:55], s[16:17], exec
	s_or_b64 s[46:47], s[46:47], exec
	s_waitcnt vmcnt(0)
	v_cmp_le_i64_e64 s[16:17], v[10:11], v[12:13]
	v_cmp_lt_i64_e32 vcc, v[10:11], v[12:13]
	s_and_b64 s[16:17], s[16:17], s[50:51]
	s_or_b64 s[52:53], vcc, s[16:17]
	s_and_b64 s[16:17], s[52:53], exec
	v_cmp_eq_u64_e64 s[18:19], v[10:11], v[12:13]
	s_or_b64 s[16:17], s[54:55], s[16:17]
	s_and_saveexec_b64 s[54:55], s[18:19]
	s_cbranch_execz .LBB505_1404
; %bb.1406:                             ;   in Loop: Header=BB505_1405 Depth=2
	s_add_u32 s48, s48, -1
	s_addc_u32 s49, s49, -1
	s_cmp_eq_u64 s[48:49], 0
	s_cselect_b64 s[18:19], -1, 0
	s_andn2_b64 s[46:47], s[46:47], exec
	s_and_b64 s[18:19], s[18:19], exec
	v_lshl_add_u64 v[4:5], v[4:5], 0, 8
	v_lshl_add_u64 v[6:7], v[6:7], 0, 8
	s_andn2_b64 s[16:17], s[16:17], exec
	s_or_b64 s[46:47], s[46:47], s[18:19]
                                        ; implicit-def: $sgpr50_sgpr51
	s_branch .LBB505_1404
.LBB505_1407:                           ;   in Loop: Header=BB505_1376 Depth=1
	s_or_b64 exec, exec, s[42:43]
	s_xor_b64 s[16:17], s[44:45], -1
	s_branch .LBB505_1409
.LBB505_1408:                           ;   in Loop: Header=BB505_1376 Depth=1
	s_mov_b64 s[16:17], -1
.LBB505_1409:                           ;   in Loop: Header=BB505_1376 Depth=1
	s_and_b64 s[16:17], s[16:17], exec
.LBB505_1410:                           ;   in Loop: Header=BB505_1376 Depth=1
	s_or_b64 exec, exec, s[26:27]
	s_orn2_b64 s[26:27], s[16:17], exec
.LBB505_1411:                           ;   in Loop: Header=BB505_1376 Depth=1
	s_or_b64 exec, exec, s[30:31]
	v_cndmask_b32_e64 v4, v8, v9, s[26:27]
	v_cndmask_b32_e64 v5, v33, v25, s[26:27]
	v_add_u32_e32 v6, 1, v4
	v_add_u32_e32 v4, -1, v5
	v_min_u32_e32 v4, v6, v4
	v_lshlrev_b32_e32 v4, 3, v4
	ds_read_b64 v[4:5], v4
	v_cndmask_b32_e64 v8, v6, v8, s[26:27]
	v_cndmask_b32_e64 v9, v9, v6, s[26:27]
	v_cmp_lt_u32_e32 vcc, v8, v33
	s_waitcnt lgkmcnt(0)
	v_cndmask_b32_e64 v17, v5, v14, s[26:27]
	v_cndmask_b32_e64 v23, v4, v15, s[26:27]
	v_cndmask_b32_e64 v34, v16, v5, s[26:27]
	v_cndmask_b32_e64 v35, v22, v4, s[26:27]
	s_and_saveexec_b64 s[30:31], vcc
	s_cbranch_execz .LBB505_1422
; %bb.1412:                             ;   in Loop: Header=BB505_1376 Depth=1
	v_cmp_lt_u32_e32 vcc, v9, v25
	s_mov_b64 s[16:17], 0
	s_and_saveexec_b64 s[28:29], vcc
	s_cbranch_execz .LBB505_1421
; %bb.1413:                             ;   in Loop: Header=BB505_1376 Depth=1
	s_and_b64 vcc, exec, s[14:15]
	s_cbranch_vccnz .LBB505_1419
; %bb.1414:                             ;   in Loop: Header=BB505_1376 Depth=1
	v_mov_b64_e32 v[6:7], s[38:39]
	v_mad_u64_u32 v[4:5], s[16:17], s20, v23, v[6:7]
	v_mul_lo_u32 v10, s20, v17
	v_mul_lo_u32 v11, s21, v23
	v_add3_u32 v5, v11, v5, v10
	v_mad_u64_u32 v[6:7], s[16:17], s20, v35, v[6:7]
	v_mul_lo_u32 v10, s20, v34
	v_mul_lo_u32 v11, s21, v35
	v_add3_u32 v7, v11, v7, v10
	s_mov_b64 s[42:43], 0
	s_mov_b64 s[48:49], s[36:37]
                                        ; implicit-def: $sgpr44_sgpr45
                                        ; implicit-def: $sgpr46_sgpr47
                                        ; implicit-def: $sgpr16_sgpr17
                                        ; implicit-def: $sgpr50_sgpr51
	s_branch .LBB505_1416
.LBB505_1415:                           ;   in Loop: Header=BB505_1416 Depth=2
	s_or_b64 exec, exec, s[54:55]
	s_and_b64 s[18:19], exec, s[46:47]
	s_or_b64 s[42:43], s[18:19], s[42:43]
	s_andn2_b64 s[18:19], s[50:51], exec
	s_and_b64 s[50:51], s[52:53], exec
	s_or_b64 s[50:51], s[18:19], s[50:51]
	s_andn2_b64 s[18:19], s[44:45], exec
	s_and_b64 s[44:45], s[16:17], exec
	s_or_b64 s[44:45], s[18:19], s[44:45]
	s_andn2_b64 exec, exec, s[42:43]
	s_cbranch_execz .LBB505_1418
.LBB505_1416:                           ;   Parent Loop BB505_1376 Depth=1
                                        ; =>  This Inner Loop Header: Depth=2
	global_load_dwordx2 v[10:11], v[4:5], off
	global_load_dwordx2 v[12:13], v[6:7], off
	s_andn2_b64 s[54:55], s[16:17], exec
	s_or_b64 s[46:47], s[46:47], exec
	s_waitcnt vmcnt(0)
	v_cmp_le_i64_e64 s[16:17], v[10:11], v[12:13]
	v_cmp_lt_i64_e32 vcc, v[10:11], v[12:13]
	s_and_b64 s[16:17], s[16:17], s[50:51]
	s_or_b64 s[52:53], vcc, s[16:17]
	s_and_b64 s[16:17], s[52:53], exec
	v_cmp_eq_u64_e64 s[18:19], v[10:11], v[12:13]
	s_or_b64 s[16:17], s[54:55], s[16:17]
	s_and_saveexec_b64 s[54:55], s[18:19]
	s_cbranch_execz .LBB505_1415
; %bb.1417:                             ;   in Loop: Header=BB505_1416 Depth=2
	s_add_u32 s48, s48, -1
	s_addc_u32 s49, s49, -1
	s_cmp_eq_u64 s[48:49], 0
	s_cselect_b64 s[18:19], -1, 0
	s_andn2_b64 s[46:47], s[46:47], exec
	s_and_b64 s[18:19], s[18:19], exec
	v_lshl_add_u64 v[4:5], v[4:5], 0, 8
	v_lshl_add_u64 v[6:7], v[6:7], 0, 8
	s_andn2_b64 s[16:17], s[16:17], exec
	s_or_b64 s[46:47], s[46:47], s[18:19]
                                        ; implicit-def: $sgpr50_sgpr51
	s_branch .LBB505_1415
.LBB505_1418:                           ;   in Loop: Header=BB505_1376 Depth=1
	s_or_b64 exec, exec, s[42:43]
	s_xor_b64 s[16:17], s[44:45], -1
	s_branch .LBB505_1420
.LBB505_1419:                           ;   in Loop: Header=BB505_1376 Depth=1
	s_mov_b64 s[16:17], -1
.LBB505_1420:                           ;   in Loop: Header=BB505_1376 Depth=1
	s_and_b64 s[16:17], s[16:17], exec
.LBB505_1421:                           ;   in Loop: Header=BB505_1376 Depth=1
	s_or_b64 exec, exec, s[28:29]
	s_orn2_b64 s[28:29], s[16:17], exec
.LBB505_1422:                           ;   in Loop: Header=BB505_1376 Depth=1
	s_or_b64 exec, exec, s[30:31]
	v_cndmask_b32_e64 v4, v8, v9, s[28:29]
	v_cndmask_b32_e64 v5, v33, v25, s[28:29]
	v_add_u32_e32 v6, 1, v4
	v_add_u32_e32 v4, -1, v5
	v_min_u32_e32 v4, v6, v4
	v_lshlrev_b32_e32 v4, 3, v4
	ds_read_b64 v[4:5], v4
	v_cndmask_b32_e64 v8, v6, v8, s[28:29]
	v_cndmask_b32_e64 v9, v9, v6, s[28:29]
	v_cmp_lt_u32_e32 vcc, v8, v33
	s_mov_b64 s[42:43], -1
	s_waitcnt lgkmcnt(0)
	v_cndmask_b32_e64 v12, v5, v17, s[28:29]
	v_cndmask_b32_e64 v36, v4, v23, s[28:29]
	;; [unrolled: 1-line block ×4, first 2 shown]
	s_mov_b64 s[30:31], -1
	s_and_saveexec_b64 s[44:45], vcc
	s_cbranch_execz .LBB505_1433
; %bb.1423:                             ;   in Loop: Header=BB505_1376 Depth=1
	v_cmp_lt_u32_e32 vcc, v9, v25
	s_mov_b64 s[16:17], 0
	s_and_saveexec_b64 s[30:31], vcc
	s_cbranch_execz .LBB505_1432
; %bb.1424:                             ;   in Loop: Header=BB505_1376 Depth=1
	s_and_b64 vcc, exec, s[14:15]
	s_cbranch_vccnz .LBB505_1430
; %bb.1425:                             ;   in Loop: Header=BB505_1376 Depth=1
	v_mov_b64_e32 v[6:7], s[38:39]
	v_mad_u64_u32 v[4:5], s[16:17], s20, v36, v[6:7]
	v_mul_lo_u32 v10, s20, v12
	v_mul_lo_u32 v11, s21, v36
	v_add3_u32 v5, v11, v5, v10
	v_mad_u64_u32 v[6:7], s[16:17], s20, v37, v[6:7]
	v_mul_lo_u32 v10, s20, v13
	v_mul_lo_u32 v11, s21, v37
	v_add3_u32 v7, v11, v7, v10
	s_mov_b64 s[46:47], 0
	s_mov_b64 s[52:53], s[36:37]
                                        ; implicit-def: $sgpr48_sgpr49
                                        ; implicit-def: $sgpr50_sgpr51
                                        ; implicit-def: $sgpr16_sgpr17
                                        ; implicit-def: $sgpr54_sgpr55
	s_branch .LBB505_1427
.LBB505_1426:                           ;   in Loop: Header=BB505_1427 Depth=2
	s_or_b64 exec, exec, s[58:59]
	s_and_b64 s[18:19], exec, s[50:51]
	s_or_b64 s[46:47], s[18:19], s[46:47]
	s_andn2_b64 s[18:19], s[54:55], exec
	s_and_b64 s[54:55], s[56:57], exec
	s_or_b64 s[54:55], s[18:19], s[54:55]
	s_andn2_b64 s[18:19], s[48:49], exec
	s_and_b64 s[48:49], s[16:17], exec
	s_or_b64 s[48:49], s[18:19], s[48:49]
	s_andn2_b64 exec, exec, s[46:47]
	s_cbranch_execz .LBB505_1429
.LBB505_1427:                           ;   Parent Loop BB505_1376 Depth=1
                                        ; =>  This Inner Loop Header: Depth=2
	global_load_dwordx2 v[10:11], v[4:5], off
	global_load_dwordx2 v[38:39], v[6:7], off
	s_andn2_b64 s[58:59], s[16:17], exec
	s_or_b64 s[50:51], s[50:51], exec
	s_waitcnt vmcnt(0)
	v_cmp_le_i64_e64 s[16:17], v[10:11], v[38:39]
	v_cmp_lt_i64_e32 vcc, v[10:11], v[38:39]
	s_and_b64 s[16:17], s[16:17], s[54:55]
	s_or_b64 s[56:57], vcc, s[16:17]
	s_and_b64 s[16:17], s[56:57], exec
	v_cmp_eq_u64_e64 s[18:19], v[10:11], v[38:39]
	s_or_b64 s[16:17], s[58:59], s[16:17]
	s_and_saveexec_b64 s[58:59], s[18:19]
	s_cbranch_execz .LBB505_1426
; %bb.1428:                             ;   in Loop: Header=BB505_1427 Depth=2
	s_add_u32 s52, s52, -1
	s_addc_u32 s53, s53, -1
	s_cmp_eq_u64 s[52:53], 0
	s_cselect_b64 s[18:19], -1, 0
	s_andn2_b64 s[50:51], s[50:51], exec
	s_and_b64 s[18:19], s[18:19], exec
	v_lshl_add_u64 v[4:5], v[4:5], 0, 8
	v_lshl_add_u64 v[6:7], v[6:7], 0, 8
	s_andn2_b64 s[16:17], s[16:17], exec
	s_or_b64 s[50:51], s[50:51], s[18:19]
                                        ; implicit-def: $sgpr54_sgpr55
	s_branch .LBB505_1426
.LBB505_1429:                           ;   in Loop: Header=BB505_1376 Depth=1
	s_or_b64 exec, exec, s[46:47]
	s_xor_b64 s[16:17], s[48:49], -1
	s_branch .LBB505_1431
.LBB505_1430:                           ;   in Loop: Header=BB505_1376 Depth=1
	s_mov_b64 s[16:17], -1
.LBB505_1431:                           ;   in Loop: Header=BB505_1376 Depth=1
	s_and_b64 s[16:17], s[16:17], exec
.LBB505_1432:                           ;   in Loop: Header=BB505_1376 Depth=1
	s_or_b64 exec, exec, s[30:31]
	s_orn2_b64 s[30:31], s[16:17], exec
.LBB505_1433:                           ;   in Loop: Header=BB505_1376 Depth=1
	s_or_b64 exec, exec, s[44:45]
	v_cndmask_b32_e64 v4, v8, v9, s[30:31]
	v_cndmask_b32_e64 v5, v33, v25, s[30:31]
	v_add_u32_e32 v6, 1, v4
	v_add_u32_e32 v4, -1, v5
	v_min_u32_e32 v4, v6, v4
	v_lshlrev_b32_e32 v4, 3, v4
	ds_read_b64 v[4:5], v4
	v_cndmask_b32_e64 v8, v6, v8, s[30:31]
	v_cndmask_b32_e64 v9, v9, v6, s[30:31]
	v_cmp_lt_u32_e32 vcc, v8, v33
	s_waitcnt lgkmcnt(0)
	v_cndmask_b32_e64 v38, v5, v12, s[30:31]
	v_cndmask_b32_e64 v39, v4, v36, s[30:31]
	;; [unrolled: 1-line block ×4, first 2 shown]
	s_and_saveexec_b64 s[44:45], vcc
	s_cbranch_execz .LBB505_1444
; %bb.1434:                             ;   in Loop: Header=BB505_1376 Depth=1
	v_cmp_lt_u32_e32 vcc, v9, v25
	s_mov_b64 s[16:17], 0
	s_and_saveexec_b64 s[42:43], vcc
	s_cbranch_execz .LBB505_1443
; %bb.1435:                             ;   in Loop: Header=BB505_1376 Depth=1
	s_and_b64 vcc, exec, s[14:15]
	s_cbranch_vccnz .LBB505_1441
; %bb.1436:                             ;   in Loop: Header=BB505_1376 Depth=1
	v_mov_b64_e32 v[6:7], s[38:39]
	v_mad_u64_u32 v[4:5], s[16:17], s20, v39, v[6:7]
	v_mul_lo_u32 v10, s20, v38
	v_mul_lo_u32 v11, s21, v39
	v_add3_u32 v5, v11, v5, v10
	v_mad_u64_u32 v[6:7], s[16:17], s20, v41, v[6:7]
	v_mul_lo_u32 v10, s20, v40
	v_mul_lo_u32 v11, s21, v41
	v_add3_u32 v7, v11, v7, v10
	s_mov_b64 s[46:47], 0
	s_mov_b64 s[52:53], s[36:37]
                                        ; implicit-def: $sgpr48_sgpr49
                                        ; implicit-def: $sgpr50_sgpr51
                                        ; implicit-def: $sgpr16_sgpr17
                                        ; implicit-def: $sgpr54_sgpr55
	s_branch .LBB505_1438
.LBB505_1437:                           ;   in Loop: Header=BB505_1438 Depth=2
	s_or_b64 exec, exec, s[58:59]
	s_and_b64 s[18:19], exec, s[50:51]
	s_or_b64 s[46:47], s[18:19], s[46:47]
	s_andn2_b64 s[18:19], s[54:55], exec
	s_and_b64 s[54:55], s[56:57], exec
	s_or_b64 s[54:55], s[18:19], s[54:55]
	s_andn2_b64 s[18:19], s[48:49], exec
	s_and_b64 s[48:49], s[16:17], exec
	s_or_b64 s[48:49], s[18:19], s[48:49]
	s_andn2_b64 exec, exec, s[46:47]
	s_cbranch_execz .LBB505_1440
.LBB505_1438:                           ;   Parent Loop BB505_1376 Depth=1
                                        ; =>  This Inner Loop Header: Depth=2
	global_load_dwordx2 v[10:11], v[4:5], off
	global_load_dwordx2 v[42:43], v[6:7], off
	s_andn2_b64 s[58:59], s[16:17], exec
	s_or_b64 s[50:51], s[50:51], exec
	s_waitcnt vmcnt(0)
	v_cmp_le_i64_e64 s[16:17], v[10:11], v[42:43]
	v_cmp_lt_i64_e32 vcc, v[10:11], v[42:43]
	s_and_b64 s[16:17], s[16:17], s[54:55]
	s_or_b64 s[56:57], vcc, s[16:17]
	s_and_b64 s[16:17], s[56:57], exec
	v_cmp_eq_u64_e64 s[18:19], v[10:11], v[42:43]
	s_or_b64 s[16:17], s[58:59], s[16:17]
	s_and_saveexec_b64 s[58:59], s[18:19]
	s_cbranch_execz .LBB505_1437
; %bb.1439:                             ;   in Loop: Header=BB505_1438 Depth=2
	s_add_u32 s52, s52, -1
	s_addc_u32 s53, s53, -1
	s_cmp_eq_u64 s[52:53], 0
	s_cselect_b64 s[18:19], -1, 0
	s_andn2_b64 s[50:51], s[50:51], exec
	s_and_b64 s[18:19], s[18:19], exec
	v_lshl_add_u64 v[4:5], v[4:5], 0, 8
	v_lshl_add_u64 v[6:7], v[6:7], 0, 8
	s_andn2_b64 s[16:17], s[16:17], exec
	s_or_b64 s[50:51], s[50:51], s[18:19]
                                        ; implicit-def: $sgpr54_sgpr55
	s_branch .LBB505_1437
.LBB505_1440:                           ;   in Loop: Header=BB505_1376 Depth=1
	s_or_b64 exec, exec, s[46:47]
	s_xor_b64 s[16:17], s[48:49], -1
	s_branch .LBB505_1442
.LBB505_1441:                           ;   in Loop: Header=BB505_1376 Depth=1
	s_mov_b64 s[16:17], -1
.LBB505_1442:                           ;   in Loop: Header=BB505_1376 Depth=1
	s_and_b64 s[16:17], s[16:17], exec
.LBB505_1443:                           ;   in Loop: Header=BB505_1376 Depth=1
	s_or_b64 exec, exec, s[42:43]
	s_orn2_b64 s[42:43], s[16:17], exec
.LBB505_1444:                           ;   in Loop: Header=BB505_1376 Depth=1
	s_or_b64 exec, exec, s[44:45]
	v_cndmask_b32_e64 v4, v8, v9, s[42:43]
	v_cndmask_b32_e64 v5, v33, v25, s[42:43]
	v_add_u32_e32 v6, 1, v4
	v_add_u32_e32 v4, -1, v5
	v_min_u32_e32 v4, v6, v4
	v_lshlrev_b32_e32 v4, 3, v4
	ds_read_b64 v[4:5], v4
	v_cndmask_b32_e64 v8, v6, v8, s[42:43]
	v_cndmask_b32_e64 v9, v9, v6, s[42:43]
	v_cmp_lt_u32_e32 vcc, v8, v33
	s_mov_b64 s[44:45], -1
	s_waitcnt lgkmcnt(0)
	v_cndmask_b32_e64 v42, v5, v38, s[42:43]
	v_cndmask_b32_e64 v43, v4, v39, s[42:43]
	;; [unrolled: 1-line block ×4, first 2 shown]
	s_mov_b64 s[46:47], -1
	s_and_saveexec_b64 s[48:49], vcc
	s_cbranch_execz .LBB505_1455
; %bb.1445:                             ;   in Loop: Header=BB505_1376 Depth=1
	v_cmp_lt_u32_e32 vcc, v9, v25
	s_mov_b64 s[16:17], 0
	s_and_saveexec_b64 s[46:47], vcc
	s_cbranch_execz .LBB505_1454
; %bb.1446:                             ;   in Loop: Header=BB505_1376 Depth=1
	s_and_b64 vcc, exec, s[14:15]
	s_cbranch_vccnz .LBB505_1452
; %bb.1447:                             ;   in Loop: Header=BB505_1376 Depth=1
	v_mov_b64_e32 v[6:7], s[38:39]
	v_mad_u64_u32 v[4:5], s[16:17], s20, v43, v[6:7]
	v_mul_lo_u32 v10, s20, v42
	v_mul_lo_u32 v11, s21, v43
	v_add3_u32 v5, v11, v5, v10
	v_mad_u64_u32 v[6:7], s[16:17], s20, v45, v[6:7]
	v_mul_lo_u32 v10, s20, v44
	v_mul_lo_u32 v11, s21, v45
	v_add3_u32 v7, v11, v7, v10
	s_mov_b64 s[50:51], 0
	s_mov_b64 s[56:57], s[36:37]
                                        ; implicit-def: $sgpr52_sgpr53
                                        ; implicit-def: $sgpr54_sgpr55
                                        ; implicit-def: $sgpr16_sgpr17
                                        ; implicit-def: $sgpr58_sgpr59
	s_branch .LBB505_1449
.LBB505_1448:                           ;   in Loop: Header=BB505_1449 Depth=2
	s_or_b64 exec, exec, s[62:63]
	s_and_b64 s[18:19], exec, s[54:55]
	s_or_b64 s[50:51], s[18:19], s[50:51]
	s_andn2_b64 s[18:19], s[58:59], exec
	s_and_b64 s[58:59], s[60:61], exec
	s_or_b64 s[58:59], s[18:19], s[58:59]
	s_andn2_b64 s[18:19], s[52:53], exec
	s_and_b64 s[52:53], s[16:17], exec
	s_or_b64 s[52:53], s[18:19], s[52:53]
	s_andn2_b64 exec, exec, s[50:51]
	s_cbranch_execz .LBB505_1451
.LBB505_1449:                           ;   Parent Loop BB505_1376 Depth=1
                                        ; =>  This Inner Loop Header: Depth=2
	global_load_dwordx2 v[10:11], v[4:5], off
	global_load_dwordx2 v[46:47], v[6:7], off
	s_andn2_b64 s[62:63], s[16:17], exec
	s_or_b64 s[54:55], s[54:55], exec
	s_waitcnt vmcnt(0)
	v_cmp_le_i64_e64 s[16:17], v[10:11], v[46:47]
	v_cmp_lt_i64_e32 vcc, v[10:11], v[46:47]
	s_and_b64 s[16:17], s[16:17], s[58:59]
	s_or_b64 s[60:61], vcc, s[16:17]
	s_and_b64 s[16:17], s[60:61], exec
	v_cmp_eq_u64_e64 s[18:19], v[10:11], v[46:47]
	s_or_b64 s[16:17], s[62:63], s[16:17]
	s_and_saveexec_b64 s[62:63], s[18:19]
	s_cbranch_execz .LBB505_1448
; %bb.1450:                             ;   in Loop: Header=BB505_1449 Depth=2
	s_add_u32 s56, s56, -1
	s_addc_u32 s57, s57, -1
	s_cmp_eq_u64 s[56:57], 0
	s_cselect_b64 s[18:19], -1, 0
	s_andn2_b64 s[54:55], s[54:55], exec
	s_and_b64 s[18:19], s[18:19], exec
	v_lshl_add_u64 v[4:5], v[4:5], 0, 8
	v_lshl_add_u64 v[6:7], v[6:7], 0, 8
	s_andn2_b64 s[16:17], s[16:17], exec
	s_or_b64 s[54:55], s[54:55], s[18:19]
                                        ; implicit-def: $sgpr58_sgpr59
	s_branch .LBB505_1448
.LBB505_1451:                           ;   in Loop: Header=BB505_1376 Depth=1
	s_or_b64 exec, exec, s[50:51]
	s_xor_b64 s[16:17], s[52:53], -1
	s_branch .LBB505_1453
.LBB505_1452:                           ;   in Loop: Header=BB505_1376 Depth=1
	s_mov_b64 s[16:17], -1
.LBB505_1453:                           ;   in Loop: Header=BB505_1376 Depth=1
	s_and_b64 s[16:17], s[16:17], exec
.LBB505_1454:                           ;   in Loop: Header=BB505_1376 Depth=1
	s_or_b64 exec, exec, s[46:47]
	s_orn2_b64 s[46:47], s[16:17], exec
.LBB505_1455:                           ;   in Loop: Header=BB505_1376 Depth=1
	s_or_b64 exec, exec, s[48:49]
	v_cndmask_b32_e64 v4, v8, v9, s[46:47]
	v_cndmask_b32_e64 v5, v33, v25, s[46:47]
	v_add_u32_e32 v6, 1, v4
	v_add_u32_e32 v4, -1, v5
	v_min_u32_e32 v4, v6, v4
	v_lshlrev_b32_e32 v4, 3, v4
	ds_read_b64 v[4:5], v4
	v_cndmask_b32_e64 v10, v6, v8, s[46:47]
	v_cndmask_b32_e64 v8, v9, v6, s[46:47]
	v_cmp_lt_u32_e32 vcc, v10, v33
	s_waitcnt lgkmcnt(0)
	v_cndmask_b32_e64 v46, v5, v42, s[46:47]
	v_cndmask_b32_e64 v47, v4, v43, s[46:47]
	;; [unrolled: 1-line block ×4, first 2 shown]
	s_and_saveexec_b64 s[48:49], vcc
	s_cbranch_execz .LBB505_1466
; %bb.1456:                             ;   in Loop: Header=BB505_1376 Depth=1
	v_cmp_lt_u32_e32 vcc, v8, v25
	s_mov_b64 s[16:17], 0
	s_and_saveexec_b64 s[44:45], vcc
	s_cbranch_execz .LBB505_1465
; %bb.1457:                             ;   in Loop: Header=BB505_1376 Depth=1
	s_and_b64 vcc, exec, s[14:15]
	s_cbranch_vccnz .LBB505_1463
; %bb.1458:                             ;   in Loop: Header=BB505_1376 Depth=1
	v_mov_b64_e32 v[6:7], s[38:39]
	v_mad_u64_u32 v[4:5], s[16:17], s20, v47, v[6:7]
	v_mul_lo_u32 v9, s20, v46
	v_mul_lo_u32 v11, s21, v47
	v_add3_u32 v5, v11, v5, v9
	v_mad_u64_u32 v[6:7], s[16:17], s20, v49, v[6:7]
	v_mul_lo_u32 v9, s20, v48
	v_mul_lo_u32 v11, s21, v49
	v_add3_u32 v7, v11, v7, v9
	s_mov_b64 s[50:51], 0
	s_mov_b64 s[56:57], s[36:37]
                                        ; implicit-def: $sgpr52_sgpr53
                                        ; implicit-def: $sgpr54_sgpr55
                                        ; implicit-def: $sgpr16_sgpr17
                                        ; implicit-def: $sgpr58_sgpr59
	s_branch .LBB505_1460
.LBB505_1459:                           ;   in Loop: Header=BB505_1460 Depth=2
	s_or_b64 exec, exec, s[62:63]
	s_and_b64 s[18:19], exec, s[54:55]
	s_or_b64 s[50:51], s[18:19], s[50:51]
	s_andn2_b64 s[18:19], s[58:59], exec
	s_and_b64 s[58:59], s[60:61], exec
	s_or_b64 s[58:59], s[18:19], s[58:59]
	s_andn2_b64 s[18:19], s[52:53], exec
	s_and_b64 s[52:53], s[16:17], exec
	s_or_b64 s[52:53], s[18:19], s[52:53]
	s_andn2_b64 exec, exec, s[50:51]
	s_cbranch_execz .LBB505_1462
.LBB505_1460:                           ;   Parent Loop BB505_1376 Depth=1
                                        ; =>  This Inner Loop Header: Depth=2
	global_load_dwordx2 v[50:51], v[4:5], off
	global_load_dwordx2 v[52:53], v[6:7], off
	s_andn2_b64 s[62:63], s[16:17], exec
	s_or_b64 s[54:55], s[54:55], exec
	s_waitcnt vmcnt(0)
	v_cmp_le_i64_e64 s[16:17], v[50:51], v[52:53]
	v_cmp_lt_i64_e32 vcc, v[50:51], v[52:53]
	s_and_b64 s[16:17], s[16:17], s[58:59]
	s_or_b64 s[60:61], vcc, s[16:17]
	s_and_b64 s[16:17], s[60:61], exec
	v_cmp_eq_u64_e64 s[18:19], v[50:51], v[52:53]
	s_or_b64 s[16:17], s[62:63], s[16:17]
	s_and_saveexec_b64 s[62:63], s[18:19]
	s_cbranch_execz .LBB505_1459
; %bb.1461:                             ;   in Loop: Header=BB505_1460 Depth=2
	s_add_u32 s56, s56, -1
	s_addc_u32 s57, s57, -1
	s_cmp_eq_u64 s[56:57], 0
	s_cselect_b64 s[18:19], -1, 0
	s_andn2_b64 s[54:55], s[54:55], exec
	s_and_b64 s[18:19], s[18:19], exec
	v_lshl_add_u64 v[4:5], v[4:5], 0, 8
	v_lshl_add_u64 v[6:7], v[6:7], 0, 8
	s_andn2_b64 s[16:17], s[16:17], exec
	s_or_b64 s[54:55], s[54:55], s[18:19]
                                        ; implicit-def: $sgpr58_sgpr59
	s_branch .LBB505_1459
.LBB505_1462:                           ;   in Loop: Header=BB505_1376 Depth=1
	s_or_b64 exec, exec, s[50:51]
	s_xor_b64 s[16:17], s[52:53], -1
	s_branch .LBB505_1464
.LBB505_1463:                           ;   in Loop: Header=BB505_1376 Depth=1
	s_mov_b64 s[16:17], -1
.LBB505_1464:                           ;   in Loop: Header=BB505_1376 Depth=1
	s_and_b64 s[16:17], s[16:17], exec
.LBB505_1465:                           ;   in Loop: Header=BB505_1376 Depth=1
	s_or_b64 exec, exec, s[44:45]
	s_orn2_b64 s[44:45], s[16:17], exec
.LBB505_1466:                           ;   in Loop: Header=BB505_1376 Depth=1
	s_or_b64 exec, exec, s[48:49]
	v_cndmask_b32_e64 v4, v10, v8, s[44:45]
	v_cndmask_b32_e64 v5, v33, v25, s[44:45]
	v_add_u32_e32 v9, 1, v4
	v_add_u32_e32 v4, -1, v5
	v_min_u32_e32 v4, v9, v4
	v_lshlrev_b32_e32 v4, 3, v4
	ds_read_b64 v[6:7], v4
	v_cndmask_b32_e64 v10, v9, v10, s[44:45]
	v_cmp_lt_u32_e32 vcc, v10, v33
	s_waitcnt lgkmcnt(0)
	v_cndmask_b32_e64 v5, v48, v7, s[44:45]
	v_cndmask_b32_e64 v4, v49, v6, s[44:45]
	s_and_saveexec_b64 s[48:49], vcc
	s_cbranch_execz .LBB505_1374
; %bb.1467:                             ;   in Loop: Header=BB505_1376 Depth=1
	v_cndmask_b32_e64 v8, v8, v9, s[44:45]
	v_cndmask_b32_e64 v7, v7, v46, s[44:45]
	;; [unrolled: 1-line block ×3, first 2 shown]
	v_cmp_lt_u32_e32 vcc, v8, v25
	s_and_saveexec_b64 s[50:51], vcc
	s_cbranch_execz .LBB505_1373
; %bb.1468:                             ;   in Loop: Header=BB505_1376 Depth=1
	s_and_b64 vcc, exec, s[14:15]
	s_cbranch_vccnz .LBB505_1372
; %bb.1469:                             ;   in Loop: Header=BB505_1376 Depth=1
	v_mov_b64_e32 v[10:11], s[38:39]
	v_mad_u64_u32 v[8:9], s[16:17], s20, v6, v[10:11]
	v_mul_lo_u32 v25, s20, v7
	v_mul_lo_u32 v33, s21, v6
	v_add3_u32 v9, v33, v9, v25
	v_mad_u64_u32 v[10:11], s[16:17], s20, v4, v[10:11]
	v_mul_lo_u32 v25, s20, v5
	v_mul_lo_u32 v33, s21, v4
	v_add3_u32 v11, v33, v11, v25
	s_mov_b64 s[52:53], 0
	s_mov_b64 s[58:59], s[36:37]
                                        ; implicit-def: $sgpr54_sgpr55
                                        ; implicit-def: $sgpr56_sgpr57
                                        ; implicit-def: $sgpr16_sgpr17
                                        ; implicit-def: $sgpr60_sgpr61
	s_branch .LBB505_1471
.LBB505_1470:                           ;   in Loop: Header=BB505_1471 Depth=2
	s_or_b64 exec, exec, s[64:65]
	s_and_b64 s[18:19], exec, s[56:57]
	s_or_b64 s[52:53], s[18:19], s[52:53]
	s_andn2_b64 s[18:19], s[60:61], exec
	s_and_b64 s[60:61], s[62:63], exec
	s_or_b64 s[60:61], s[18:19], s[60:61]
	s_andn2_b64 s[18:19], s[54:55], exec
	s_and_b64 s[54:55], s[16:17], exec
	s_or_b64 s[54:55], s[18:19], s[54:55]
	s_andn2_b64 exec, exec, s[52:53]
	s_cbranch_execz .LBB505_1371
.LBB505_1471:                           ;   Parent Loop BB505_1376 Depth=1
                                        ; =>  This Inner Loop Header: Depth=2
	global_load_dwordx2 v[50:51], v[8:9], off
	global_load_dwordx2 v[52:53], v[10:11], off
	s_andn2_b64 s[64:65], s[16:17], exec
	s_or_b64 s[56:57], s[56:57], exec
	s_waitcnt vmcnt(0)
	v_cmp_le_i64_e64 s[16:17], v[50:51], v[52:53]
	v_cmp_lt_i64_e32 vcc, v[50:51], v[52:53]
	s_and_b64 s[16:17], s[16:17], s[60:61]
	s_or_b64 s[62:63], vcc, s[16:17]
	s_and_b64 s[16:17], s[62:63], exec
	v_cmp_eq_u64_e64 s[18:19], v[50:51], v[52:53]
	s_or_b64 s[16:17], s[64:65], s[16:17]
	s_and_saveexec_b64 s[64:65], s[18:19]
	s_cbranch_execz .LBB505_1470
; %bb.1472:                             ;   in Loop: Header=BB505_1471 Depth=2
	s_add_u32 s58, s58, -1
	s_addc_u32 s59, s59, -1
	s_cmp_eq_u64 s[58:59], 0
	s_cselect_b64 s[18:19], -1, 0
	s_andn2_b64 s[56:57], s[56:57], exec
	s_and_b64 s[18:19], s[18:19], exec
	v_lshl_add_u64 v[8:9], v[8:9], 0, 8
	v_lshl_add_u64 v[10:11], v[10:11], 0, 8
	s_andn2_b64 s[16:17], s[16:17], exec
	s_or_b64 s[56:57], s[56:57], s[18:19]
                                        ; implicit-def: $sgpr60_sgpr61
	s_branch .LBB505_1470
.LBB505_1473:
	s_barrier
	ds_write2_b64 v32, v[14:15], v[16:17] offset1:1
	ds_write2_b64 v32, v[10:11], v[12:13] offset0:2 offset1:3
	ds_write2_b64 v32, v[6:7], v[8:9] offset0:4 offset1:5
	;; [unrolled: 1-line block ×3, first 2 shown]
	s_waitcnt lgkmcnt(0)
	s_barrier
	ds_read_b64 v[12:13], v21 offset:2048
	ds_read_b64 v[10:11], v26 offset:4096
	;; [unrolled: 1-line block ×7, first 2 shown]
	v_mov_b32_e32 v21, 0
	v_lshl_add_u64 v[2:3], s[34:35], 0, v[20:21]
	s_and_saveexec_b64 s[14:15], s[0:1]
	s_cbranch_execnz .LBB505_1485
; %bb.1474:
	s_or_b64 exec, exec, s[14:15]
	s_and_saveexec_b64 s[0:1], s[2:3]
	s_cbranch_execnz .LBB505_1486
.LBB505_1475:
	s_or_b64 exec, exec, s[0:1]
	s_and_saveexec_b64 s[0:1], s[4:5]
	s_cbranch_execnz .LBB505_1487
.LBB505_1476:
	s_or_b64 exec, exec, s[0:1]
	s_and_saveexec_b64 s[0:1], s[6:7]
	s_cbranch_execnz .LBB505_1488
.LBB505_1477:
	s_or_b64 exec, exec, s[0:1]
	s_and_saveexec_b64 s[0:1], s[8:9]
	s_cbranch_execnz .LBB505_1489
.LBB505_1478:
	s_or_b64 exec, exec, s[0:1]
	s_and_saveexec_b64 s[0:1], s[10:11]
	s_cbranch_execnz .LBB505_1490
.LBB505_1479:
	s_or_b64 exec, exec, s[0:1]
	s_and_saveexec_b64 s[0:1], s[12:13]
	s_cbranch_execz .LBB505_1481
.LBB505_1480:
	v_add_co_u32_e32 v2, vcc, 0x3000, v2
	s_nop 1
	v_addc_co_u32_e32 v3, vcc, 0, v3, vcc
	s_waitcnt lgkmcnt(1)
	global_store_dwordx2 v[2:3], v[0:1], off
.LBB505_1481:
	s_or_b64 exec, exec, s[0:1]
	v_mov_b32_e32 v19, v21
.LBB505_1482:
	s_and_saveexec_b64 s[0:1], s[40:41]
	s_cbranch_execz .LBB505_1484
; %bb.1483:
	s_waitcnt lgkmcnt(1)
	v_lshl_add_u64 v[0:1], v[18:19], 3, s[34:35]
	v_add_co_u32_e32 v0, vcc, 0x3000, v0
	s_nop 1
	v_addc_co_u32_e32 v1, vcc, 0, v1, vcc
	s_waitcnt lgkmcnt(0)
	global_store_dwordx2 v[0:1], v[14:15], off offset:2048
.LBB505_1484:
	s_endpgm
.LBB505_1485:
	ds_read_b64 v[16:17], v19
	s_waitcnt lgkmcnt(0)
	global_store_dwordx2 v[2:3], v[16:17], off
	s_or_b64 exec, exec, s[14:15]
	s_and_saveexec_b64 s[0:1], s[2:3]
	s_cbranch_execz .LBB505_1475
.LBB505_1486:
	s_waitcnt lgkmcnt(6)
	global_store_dwordx2 v[2:3], v[12:13], off offset:2048
	s_or_b64 exec, exec, s[0:1]
	s_and_saveexec_b64 s[0:1], s[4:5]
	s_cbranch_execz .LBB505_1476
.LBB505_1487:
	s_waitcnt lgkmcnt(6)
	v_add_co_u32_e32 v12, vcc, 0x1000, v2
	s_nop 1
	v_addc_co_u32_e32 v13, vcc, 0, v3, vcc
	s_waitcnt lgkmcnt(5)
	global_store_dwordx2 v[12:13], v[10:11], off
	s_or_b64 exec, exec, s[0:1]
	s_and_saveexec_b64 s[0:1], s[6:7]
	s_cbranch_execz .LBB505_1477
.LBB505_1488:
	s_waitcnt lgkmcnt(5)
	v_add_co_u32_e32 v10, vcc, 0x1000, v2
	s_nop 1
	v_addc_co_u32_e32 v11, vcc, 0, v3, vcc
	s_waitcnt lgkmcnt(4)
	global_store_dwordx2 v[10:11], v[8:9], off offset:2048
	s_or_b64 exec, exec, s[0:1]
	s_and_saveexec_b64 s[0:1], s[8:9]
	s_cbranch_execz .LBB505_1478
.LBB505_1489:
	s_waitcnt lgkmcnt(4)
	v_add_co_u32_e32 v8, vcc, 0x2000, v2
	s_nop 1
	v_addc_co_u32_e32 v9, vcc, 0, v3, vcc
	s_waitcnt lgkmcnt(3)
	global_store_dwordx2 v[8:9], v[6:7], off
	s_or_b64 exec, exec, s[0:1]
	s_and_saveexec_b64 s[0:1], s[10:11]
	s_cbranch_execz .LBB505_1479
.LBB505_1490:
	s_waitcnt lgkmcnt(3)
	v_add_co_u32_e32 v6, vcc, 0x2000, v2
	s_nop 1
	v_addc_co_u32_e32 v7, vcc, 0, v3, vcc
	s_waitcnt lgkmcnt(2)
	global_store_dwordx2 v[6:7], v[4:5], off offset:2048
	s_or_b64 exec, exec, s[0:1]
	s_and_saveexec_b64 s[0:1], s[12:13]
	s_cbranch_execnz .LBB505_1480
	s_branch .LBB505_1481
	.section	.rodata,"a",@progbits
	.p2align	6, 0x0
	.amdhsa_kernel _ZN7rocprim17ROCPRIM_400000_NS6detail17trampoline_kernelINS0_14default_configENS1_37merge_sort_block_sort_config_selectorIlNS0_10empty_typeEEEZNS1_21merge_sort_block_sortIS3_PlS8_PS5_S9_ZN2at6native12_GLOBAL__N_124unique_dim_cuda_templateIlEESt5tupleIJNSA_6TensorESF_SF_EERKSF_lbbbEUlllE_EE10hipError_tT0_T1_T2_T3_mRjT4_P12ihipStream_tbNS1_7vsmem_tEEUlT_E_NS1_11comp_targetILNS1_3genE0ELNS1_11target_archE4294967295ELNS1_3gpuE0ELNS1_3repE0EEENS1_30default_config_static_selectorELNS0_4arch9wavefront6targetE1EEEvSM_
		.amdhsa_group_segment_fixed_size 16896
		.amdhsa_private_segment_fixed_size 0
		.amdhsa_kernarg_size 328
		.amdhsa_user_sgpr_count 2
		.amdhsa_user_sgpr_dispatch_ptr 0
		.amdhsa_user_sgpr_queue_ptr 0
		.amdhsa_user_sgpr_kernarg_segment_ptr 1
		.amdhsa_user_sgpr_dispatch_id 0
		.amdhsa_user_sgpr_kernarg_preload_length 0
		.amdhsa_user_sgpr_kernarg_preload_offset 0
		.amdhsa_user_sgpr_private_segment_size 0
		.amdhsa_uses_dynamic_stack 0
		.amdhsa_enable_private_segment 0
		.amdhsa_system_sgpr_workgroup_id_x 1
		.amdhsa_system_sgpr_workgroup_id_y 1
		.amdhsa_system_sgpr_workgroup_id_z 1
		.amdhsa_system_sgpr_workgroup_info 0
		.amdhsa_system_vgpr_workitem_id 2
		.amdhsa_next_free_vgpr 58
		.amdhsa_next_free_sgpr 67
		.amdhsa_accum_offset 60
		.amdhsa_reserve_vcc 1
		.amdhsa_float_round_mode_32 0
		.amdhsa_float_round_mode_16_64 0
		.amdhsa_float_denorm_mode_32 3
		.amdhsa_float_denorm_mode_16_64 3
		.amdhsa_dx10_clamp 1
		.amdhsa_ieee_mode 1
		.amdhsa_fp16_overflow 0
		.amdhsa_tg_split 0
		.amdhsa_exception_fp_ieee_invalid_op 0
		.amdhsa_exception_fp_denorm_src 0
		.amdhsa_exception_fp_ieee_div_zero 0
		.amdhsa_exception_fp_ieee_overflow 0
		.amdhsa_exception_fp_ieee_underflow 0
		.amdhsa_exception_fp_ieee_inexact 0
		.amdhsa_exception_int_div_zero 0
	.end_amdhsa_kernel
	.section	.text._ZN7rocprim17ROCPRIM_400000_NS6detail17trampoline_kernelINS0_14default_configENS1_37merge_sort_block_sort_config_selectorIlNS0_10empty_typeEEEZNS1_21merge_sort_block_sortIS3_PlS8_PS5_S9_ZN2at6native12_GLOBAL__N_124unique_dim_cuda_templateIlEESt5tupleIJNSA_6TensorESF_SF_EERKSF_lbbbEUlllE_EE10hipError_tT0_T1_T2_T3_mRjT4_P12ihipStream_tbNS1_7vsmem_tEEUlT_E_NS1_11comp_targetILNS1_3genE0ELNS1_11target_archE4294967295ELNS1_3gpuE0ELNS1_3repE0EEENS1_30default_config_static_selectorELNS0_4arch9wavefront6targetE1EEEvSM_,"axG",@progbits,_ZN7rocprim17ROCPRIM_400000_NS6detail17trampoline_kernelINS0_14default_configENS1_37merge_sort_block_sort_config_selectorIlNS0_10empty_typeEEEZNS1_21merge_sort_block_sortIS3_PlS8_PS5_S9_ZN2at6native12_GLOBAL__N_124unique_dim_cuda_templateIlEESt5tupleIJNSA_6TensorESF_SF_EERKSF_lbbbEUlllE_EE10hipError_tT0_T1_T2_T3_mRjT4_P12ihipStream_tbNS1_7vsmem_tEEUlT_E_NS1_11comp_targetILNS1_3genE0ELNS1_11target_archE4294967295ELNS1_3gpuE0ELNS1_3repE0EEENS1_30default_config_static_selectorELNS0_4arch9wavefront6targetE1EEEvSM_,comdat
.Lfunc_end505:
	.size	_ZN7rocprim17ROCPRIM_400000_NS6detail17trampoline_kernelINS0_14default_configENS1_37merge_sort_block_sort_config_selectorIlNS0_10empty_typeEEEZNS1_21merge_sort_block_sortIS3_PlS8_PS5_S9_ZN2at6native12_GLOBAL__N_124unique_dim_cuda_templateIlEESt5tupleIJNSA_6TensorESF_SF_EERKSF_lbbbEUlllE_EE10hipError_tT0_T1_T2_T3_mRjT4_P12ihipStream_tbNS1_7vsmem_tEEUlT_E_NS1_11comp_targetILNS1_3genE0ELNS1_11target_archE4294967295ELNS1_3gpuE0ELNS1_3repE0EEENS1_30default_config_static_selectorELNS0_4arch9wavefront6targetE1EEEvSM_, .Lfunc_end505-_ZN7rocprim17ROCPRIM_400000_NS6detail17trampoline_kernelINS0_14default_configENS1_37merge_sort_block_sort_config_selectorIlNS0_10empty_typeEEEZNS1_21merge_sort_block_sortIS3_PlS8_PS5_S9_ZN2at6native12_GLOBAL__N_124unique_dim_cuda_templateIlEESt5tupleIJNSA_6TensorESF_SF_EERKSF_lbbbEUlllE_EE10hipError_tT0_T1_T2_T3_mRjT4_P12ihipStream_tbNS1_7vsmem_tEEUlT_E_NS1_11comp_targetILNS1_3genE0ELNS1_11target_archE4294967295ELNS1_3gpuE0ELNS1_3repE0EEENS1_30default_config_static_selectorELNS0_4arch9wavefront6targetE1EEEvSM_
                                        ; -- End function
	.set _ZN7rocprim17ROCPRIM_400000_NS6detail17trampoline_kernelINS0_14default_configENS1_37merge_sort_block_sort_config_selectorIlNS0_10empty_typeEEEZNS1_21merge_sort_block_sortIS3_PlS8_PS5_S9_ZN2at6native12_GLOBAL__N_124unique_dim_cuda_templateIlEESt5tupleIJNSA_6TensorESF_SF_EERKSF_lbbbEUlllE_EE10hipError_tT0_T1_T2_T3_mRjT4_P12ihipStream_tbNS1_7vsmem_tEEUlT_E_NS1_11comp_targetILNS1_3genE0ELNS1_11target_archE4294967295ELNS1_3gpuE0ELNS1_3repE0EEENS1_30default_config_static_selectorELNS0_4arch9wavefront6targetE1EEEvSM_.num_vgpr, 58
	.set _ZN7rocprim17ROCPRIM_400000_NS6detail17trampoline_kernelINS0_14default_configENS1_37merge_sort_block_sort_config_selectorIlNS0_10empty_typeEEEZNS1_21merge_sort_block_sortIS3_PlS8_PS5_S9_ZN2at6native12_GLOBAL__N_124unique_dim_cuda_templateIlEESt5tupleIJNSA_6TensorESF_SF_EERKSF_lbbbEUlllE_EE10hipError_tT0_T1_T2_T3_mRjT4_P12ihipStream_tbNS1_7vsmem_tEEUlT_E_NS1_11comp_targetILNS1_3genE0ELNS1_11target_archE4294967295ELNS1_3gpuE0ELNS1_3repE0EEENS1_30default_config_static_selectorELNS0_4arch9wavefront6targetE1EEEvSM_.num_agpr, 0
	.set _ZN7rocprim17ROCPRIM_400000_NS6detail17trampoline_kernelINS0_14default_configENS1_37merge_sort_block_sort_config_selectorIlNS0_10empty_typeEEEZNS1_21merge_sort_block_sortIS3_PlS8_PS5_S9_ZN2at6native12_GLOBAL__N_124unique_dim_cuda_templateIlEESt5tupleIJNSA_6TensorESF_SF_EERKSF_lbbbEUlllE_EE10hipError_tT0_T1_T2_T3_mRjT4_P12ihipStream_tbNS1_7vsmem_tEEUlT_E_NS1_11comp_targetILNS1_3genE0ELNS1_11target_archE4294967295ELNS1_3gpuE0ELNS1_3repE0EEENS1_30default_config_static_selectorELNS0_4arch9wavefront6targetE1EEEvSM_.numbered_sgpr, 67
	.set _ZN7rocprim17ROCPRIM_400000_NS6detail17trampoline_kernelINS0_14default_configENS1_37merge_sort_block_sort_config_selectorIlNS0_10empty_typeEEEZNS1_21merge_sort_block_sortIS3_PlS8_PS5_S9_ZN2at6native12_GLOBAL__N_124unique_dim_cuda_templateIlEESt5tupleIJNSA_6TensorESF_SF_EERKSF_lbbbEUlllE_EE10hipError_tT0_T1_T2_T3_mRjT4_P12ihipStream_tbNS1_7vsmem_tEEUlT_E_NS1_11comp_targetILNS1_3genE0ELNS1_11target_archE4294967295ELNS1_3gpuE0ELNS1_3repE0EEENS1_30default_config_static_selectorELNS0_4arch9wavefront6targetE1EEEvSM_.num_named_barrier, 0
	.set _ZN7rocprim17ROCPRIM_400000_NS6detail17trampoline_kernelINS0_14default_configENS1_37merge_sort_block_sort_config_selectorIlNS0_10empty_typeEEEZNS1_21merge_sort_block_sortIS3_PlS8_PS5_S9_ZN2at6native12_GLOBAL__N_124unique_dim_cuda_templateIlEESt5tupleIJNSA_6TensorESF_SF_EERKSF_lbbbEUlllE_EE10hipError_tT0_T1_T2_T3_mRjT4_P12ihipStream_tbNS1_7vsmem_tEEUlT_E_NS1_11comp_targetILNS1_3genE0ELNS1_11target_archE4294967295ELNS1_3gpuE0ELNS1_3repE0EEENS1_30default_config_static_selectorELNS0_4arch9wavefront6targetE1EEEvSM_.private_seg_size, 0
	.set _ZN7rocprim17ROCPRIM_400000_NS6detail17trampoline_kernelINS0_14default_configENS1_37merge_sort_block_sort_config_selectorIlNS0_10empty_typeEEEZNS1_21merge_sort_block_sortIS3_PlS8_PS5_S9_ZN2at6native12_GLOBAL__N_124unique_dim_cuda_templateIlEESt5tupleIJNSA_6TensorESF_SF_EERKSF_lbbbEUlllE_EE10hipError_tT0_T1_T2_T3_mRjT4_P12ihipStream_tbNS1_7vsmem_tEEUlT_E_NS1_11comp_targetILNS1_3genE0ELNS1_11target_archE4294967295ELNS1_3gpuE0ELNS1_3repE0EEENS1_30default_config_static_selectorELNS0_4arch9wavefront6targetE1EEEvSM_.uses_vcc, 1
	.set _ZN7rocprim17ROCPRIM_400000_NS6detail17trampoline_kernelINS0_14default_configENS1_37merge_sort_block_sort_config_selectorIlNS0_10empty_typeEEEZNS1_21merge_sort_block_sortIS3_PlS8_PS5_S9_ZN2at6native12_GLOBAL__N_124unique_dim_cuda_templateIlEESt5tupleIJNSA_6TensorESF_SF_EERKSF_lbbbEUlllE_EE10hipError_tT0_T1_T2_T3_mRjT4_P12ihipStream_tbNS1_7vsmem_tEEUlT_E_NS1_11comp_targetILNS1_3genE0ELNS1_11target_archE4294967295ELNS1_3gpuE0ELNS1_3repE0EEENS1_30default_config_static_selectorELNS0_4arch9wavefront6targetE1EEEvSM_.uses_flat_scratch, 0
	.set _ZN7rocprim17ROCPRIM_400000_NS6detail17trampoline_kernelINS0_14default_configENS1_37merge_sort_block_sort_config_selectorIlNS0_10empty_typeEEEZNS1_21merge_sort_block_sortIS3_PlS8_PS5_S9_ZN2at6native12_GLOBAL__N_124unique_dim_cuda_templateIlEESt5tupleIJNSA_6TensorESF_SF_EERKSF_lbbbEUlllE_EE10hipError_tT0_T1_T2_T3_mRjT4_P12ihipStream_tbNS1_7vsmem_tEEUlT_E_NS1_11comp_targetILNS1_3genE0ELNS1_11target_archE4294967295ELNS1_3gpuE0ELNS1_3repE0EEENS1_30default_config_static_selectorELNS0_4arch9wavefront6targetE1EEEvSM_.has_dyn_sized_stack, 0
	.set _ZN7rocprim17ROCPRIM_400000_NS6detail17trampoline_kernelINS0_14default_configENS1_37merge_sort_block_sort_config_selectorIlNS0_10empty_typeEEEZNS1_21merge_sort_block_sortIS3_PlS8_PS5_S9_ZN2at6native12_GLOBAL__N_124unique_dim_cuda_templateIlEESt5tupleIJNSA_6TensorESF_SF_EERKSF_lbbbEUlllE_EE10hipError_tT0_T1_T2_T3_mRjT4_P12ihipStream_tbNS1_7vsmem_tEEUlT_E_NS1_11comp_targetILNS1_3genE0ELNS1_11target_archE4294967295ELNS1_3gpuE0ELNS1_3repE0EEENS1_30default_config_static_selectorELNS0_4arch9wavefront6targetE1EEEvSM_.has_recursion, 0
	.set _ZN7rocprim17ROCPRIM_400000_NS6detail17trampoline_kernelINS0_14default_configENS1_37merge_sort_block_sort_config_selectorIlNS0_10empty_typeEEEZNS1_21merge_sort_block_sortIS3_PlS8_PS5_S9_ZN2at6native12_GLOBAL__N_124unique_dim_cuda_templateIlEESt5tupleIJNSA_6TensorESF_SF_EERKSF_lbbbEUlllE_EE10hipError_tT0_T1_T2_T3_mRjT4_P12ihipStream_tbNS1_7vsmem_tEEUlT_E_NS1_11comp_targetILNS1_3genE0ELNS1_11target_archE4294967295ELNS1_3gpuE0ELNS1_3repE0EEENS1_30default_config_static_selectorELNS0_4arch9wavefront6targetE1EEEvSM_.has_indirect_call, 0
	.section	.AMDGPU.csdata,"",@progbits
; Kernel info:
; codeLenInByte = 60688
; TotalNumSgprs: 73
; NumVgprs: 58
; NumAgprs: 0
; TotalNumVgprs: 58
; ScratchSize: 0
; MemoryBound: 0
; FloatMode: 240
; IeeeMode: 1
; LDSByteSize: 16896 bytes/workgroup (compile time only)
; SGPRBlocks: 9
; VGPRBlocks: 7
; NumSGPRsForWavesPerEU: 73
; NumVGPRsForWavesPerEU: 58
; AccumOffset: 60
; Occupancy: 8
; WaveLimiterHint : 1
; COMPUTE_PGM_RSRC2:SCRATCH_EN: 0
; COMPUTE_PGM_RSRC2:USER_SGPR: 2
; COMPUTE_PGM_RSRC2:TRAP_HANDLER: 0
; COMPUTE_PGM_RSRC2:TGID_X_EN: 1
; COMPUTE_PGM_RSRC2:TGID_Y_EN: 1
; COMPUTE_PGM_RSRC2:TGID_Z_EN: 1
; COMPUTE_PGM_RSRC2:TIDIG_COMP_CNT: 2
; COMPUTE_PGM_RSRC3_GFX90A:ACCUM_OFFSET: 14
; COMPUTE_PGM_RSRC3_GFX90A:TG_SPLIT: 0
	.section	.text._ZN7rocprim17ROCPRIM_400000_NS6detail17trampoline_kernelINS0_14default_configENS1_37merge_sort_block_sort_config_selectorIlNS0_10empty_typeEEEZNS1_21merge_sort_block_sortIS3_PlS8_PS5_S9_ZN2at6native12_GLOBAL__N_124unique_dim_cuda_templateIlEESt5tupleIJNSA_6TensorESF_SF_EERKSF_lbbbEUlllE_EE10hipError_tT0_T1_T2_T3_mRjT4_P12ihipStream_tbNS1_7vsmem_tEEUlT_E_NS1_11comp_targetILNS1_3genE5ELNS1_11target_archE942ELNS1_3gpuE9ELNS1_3repE0EEENS1_30default_config_static_selectorELNS0_4arch9wavefront6targetE1EEEvSM_,"axG",@progbits,_ZN7rocprim17ROCPRIM_400000_NS6detail17trampoline_kernelINS0_14default_configENS1_37merge_sort_block_sort_config_selectorIlNS0_10empty_typeEEEZNS1_21merge_sort_block_sortIS3_PlS8_PS5_S9_ZN2at6native12_GLOBAL__N_124unique_dim_cuda_templateIlEESt5tupleIJNSA_6TensorESF_SF_EERKSF_lbbbEUlllE_EE10hipError_tT0_T1_T2_T3_mRjT4_P12ihipStream_tbNS1_7vsmem_tEEUlT_E_NS1_11comp_targetILNS1_3genE5ELNS1_11target_archE942ELNS1_3gpuE9ELNS1_3repE0EEENS1_30default_config_static_selectorELNS0_4arch9wavefront6targetE1EEEvSM_,comdat
	.globl	_ZN7rocprim17ROCPRIM_400000_NS6detail17trampoline_kernelINS0_14default_configENS1_37merge_sort_block_sort_config_selectorIlNS0_10empty_typeEEEZNS1_21merge_sort_block_sortIS3_PlS8_PS5_S9_ZN2at6native12_GLOBAL__N_124unique_dim_cuda_templateIlEESt5tupleIJNSA_6TensorESF_SF_EERKSF_lbbbEUlllE_EE10hipError_tT0_T1_T2_T3_mRjT4_P12ihipStream_tbNS1_7vsmem_tEEUlT_E_NS1_11comp_targetILNS1_3genE5ELNS1_11target_archE942ELNS1_3gpuE9ELNS1_3repE0EEENS1_30default_config_static_selectorELNS0_4arch9wavefront6targetE1EEEvSM_ ; -- Begin function _ZN7rocprim17ROCPRIM_400000_NS6detail17trampoline_kernelINS0_14default_configENS1_37merge_sort_block_sort_config_selectorIlNS0_10empty_typeEEEZNS1_21merge_sort_block_sortIS3_PlS8_PS5_S9_ZN2at6native12_GLOBAL__N_124unique_dim_cuda_templateIlEESt5tupleIJNSA_6TensorESF_SF_EERKSF_lbbbEUlllE_EE10hipError_tT0_T1_T2_T3_mRjT4_P12ihipStream_tbNS1_7vsmem_tEEUlT_E_NS1_11comp_targetILNS1_3genE5ELNS1_11target_archE942ELNS1_3gpuE9ELNS1_3repE0EEENS1_30default_config_static_selectorELNS0_4arch9wavefront6targetE1EEEvSM_
	.p2align	8
	.type	_ZN7rocprim17ROCPRIM_400000_NS6detail17trampoline_kernelINS0_14default_configENS1_37merge_sort_block_sort_config_selectorIlNS0_10empty_typeEEEZNS1_21merge_sort_block_sortIS3_PlS8_PS5_S9_ZN2at6native12_GLOBAL__N_124unique_dim_cuda_templateIlEESt5tupleIJNSA_6TensorESF_SF_EERKSF_lbbbEUlllE_EE10hipError_tT0_T1_T2_T3_mRjT4_P12ihipStream_tbNS1_7vsmem_tEEUlT_E_NS1_11comp_targetILNS1_3genE5ELNS1_11target_archE942ELNS1_3gpuE9ELNS1_3repE0EEENS1_30default_config_static_selectorELNS0_4arch9wavefront6targetE1EEEvSM_,@function
_ZN7rocprim17ROCPRIM_400000_NS6detail17trampoline_kernelINS0_14default_configENS1_37merge_sort_block_sort_config_selectorIlNS0_10empty_typeEEEZNS1_21merge_sort_block_sortIS3_PlS8_PS5_S9_ZN2at6native12_GLOBAL__N_124unique_dim_cuda_templateIlEESt5tupleIJNSA_6TensorESF_SF_EERKSF_lbbbEUlllE_EE10hipError_tT0_T1_T2_T3_mRjT4_P12ihipStream_tbNS1_7vsmem_tEEUlT_E_NS1_11comp_targetILNS1_3genE5ELNS1_11target_archE942ELNS1_3gpuE9ELNS1_3repE0EEENS1_30default_config_static_selectorELNS0_4arch9wavefront6targetE1EEEvSM_: ; @_ZN7rocprim17ROCPRIM_400000_NS6detail17trampoline_kernelINS0_14default_configENS1_37merge_sort_block_sort_config_selectorIlNS0_10empty_typeEEEZNS1_21merge_sort_block_sortIS3_PlS8_PS5_S9_ZN2at6native12_GLOBAL__N_124unique_dim_cuda_templateIlEESt5tupleIJNSA_6TensorESF_SF_EERKSF_lbbbEUlllE_EE10hipError_tT0_T1_T2_T3_mRjT4_P12ihipStream_tbNS1_7vsmem_tEEUlT_E_NS1_11comp_targetILNS1_3genE5ELNS1_11target_archE942ELNS1_3gpuE9ELNS1_3repE0EEENS1_30default_config_static_selectorELNS0_4arch9wavefront6targetE1EEEvSM_
; %bb.0:
	.section	.rodata,"a",@progbits
	.p2align	6, 0x0
	.amdhsa_kernel _ZN7rocprim17ROCPRIM_400000_NS6detail17trampoline_kernelINS0_14default_configENS1_37merge_sort_block_sort_config_selectorIlNS0_10empty_typeEEEZNS1_21merge_sort_block_sortIS3_PlS8_PS5_S9_ZN2at6native12_GLOBAL__N_124unique_dim_cuda_templateIlEESt5tupleIJNSA_6TensorESF_SF_EERKSF_lbbbEUlllE_EE10hipError_tT0_T1_T2_T3_mRjT4_P12ihipStream_tbNS1_7vsmem_tEEUlT_E_NS1_11comp_targetILNS1_3genE5ELNS1_11target_archE942ELNS1_3gpuE9ELNS1_3repE0EEENS1_30default_config_static_selectorELNS0_4arch9wavefront6targetE1EEEvSM_
		.amdhsa_group_segment_fixed_size 0
		.amdhsa_private_segment_fixed_size 0
		.amdhsa_kernarg_size 72
		.amdhsa_user_sgpr_count 2
		.amdhsa_user_sgpr_dispatch_ptr 0
		.amdhsa_user_sgpr_queue_ptr 0
		.amdhsa_user_sgpr_kernarg_segment_ptr 1
		.amdhsa_user_sgpr_dispatch_id 0
		.amdhsa_user_sgpr_kernarg_preload_length 0
		.amdhsa_user_sgpr_kernarg_preload_offset 0
		.amdhsa_user_sgpr_private_segment_size 0
		.amdhsa_uses_dynamic_stack 0
		.amdhsa_enable_private_segment 0
		.amdhsa_system_sgpr_workgroup_id_x 1
		.amdhsa_system_sgpr_workgroup_id_y 0
		.amdhsa_system_sgpr_workgroup_id_z 0
		.amdhsa_system_sgpr_workgroup_info 0
		.amdhsa_system_vgpr_workitem_id 0
		.amdhsa_next_free_vgpr 1
		.amdhsa_next_free_sgpr 0
		.amdhsa_accum_offset 4
		.amdhsa_reserve_vcc 0
		.amdhsa_float_round_mode_32 0
		.amdhsa_float_round_mode_16_64 0
		.amdhsa_float_denorm_mode_32 3
		.amdhsa_float_denorm_mode_16_64 3
		.amdhsa_dx10_clamp 1
		.amdhsa_ieee_mode 1
		.amdhsa_fp16_overflow 0
		.amdhsa_tg_split 0
		.amdhsa_exception_fp_ieee_invalid_op 0
		.amdhsa_exception_fp_denorm_src 0
		.amdhsa_exception_fp_ieee_div_zero 0
		.amdhsa_exception_fp_ieee_overflow 0
		.amdhsa_exception_fp_ieee_underflow 0
		.amdhsa_exception_fp_ieee_inexact 0
		.amdhsa_exception_int_div_zero 0
	.end_amdhsa_kernel
	.section	.text._ZN7rocprim17ROCPRIM_400000_NS6detail17trampoline_kernelINS0_14default_configENS1_37merge_sort_block_sort_config_selectorIlNS0_10empty_typeEEEZNS1_21merge_sort_block_sortIS3_PlS8_PS5_S9_ZN2at6native12_GLOBAL__N_124unique_dim_cuda_templateIlEESt5tupleIJNSA_6TensorESF_SF_EERKSF_lbbbEUlllE_EE10hipError_tT0_T1_T2_T3_mRjT4_P12ihipStream_tbNS1_7vsmem_tEEUlT_E_NS1_11comp_targetILNS1_3genE5ELNS1_11target_archE942ELNS1_3gpuE9ELNS1_3repE0EEENS1_30default_config_static_selectorELNS0_4arch9wavefront6targetE1EEEvSM_,"axG",@progbits,_ZN7rocprim17ROCPRIM_400000_NS6detail17trampoline_kernelINS0_14default_configENS1_37merge_sort_block_sort_config_selectorIlNS0_10empty_typeEEEZNS1_21merge_sort_block_sortIS3_PlS8_PS5_S9_ZN2at6native12_GLOBAL__N_124unique_dim_cuda_templateIlEESt5tupleIJNSA_6TensorESF_SF_EERKSF_lbbbEUlllE_EE10hipError_tT0_T1_T2_T3_mRjT4_P12ihipStream_tbNS1_7vsmem_tEEUlT_E_NS1_11comp_targetILNS1_3genE5ELNS1_11target_archE942ELNS1_3gpuE9ELNS1_3repE0EEENS1_30default_config_static_selectorELNS0_4arch9wavefront6targetE1EEEvSM_,comdat
.Lfunc_end506:
	.size	_ZN7rocprim17ROCPRIM_400000_NS6detail17trampoline_kernelINS0_14default_configENS1_37merge_sort_block_sort_config_selectorIlNS0_10empty_typeEEEZNS1_21merge_sort_block_sortIS3_PlS8_PS5_S9_ZN2at6native12_GLOBAL__N_124unique_dim_cuda_templateIlEESt5tupleIJNSA_6TensorESF_SF_EERKSF_lbbbEUlllE_EE10hipError_tT0_T1_T2_T3_mRjT4_P12ihipStream_tbNS1_7vsmem_tEEUlT_E_NS1_11comp_targetILNS1_3genE5ELNS1_11target_archE942ELNS1_3gpuE9ELNS1_3repE0EEENS1_30default_config_static_selectorELNS0_4arch9wavefront6targetE1EEEvSM_, .Lfunc_end506-_ZN7rocprim17ROCPRIM_400000_NS6detail17trampoline_kernelINS0_14default_configENS1_37merge_sort_block_sort_config_selectorIlNS0_10empty_typeEEEZNS1_21merge_sort_block_sortIS3_PlS8_PS5_S9_ZN2at6native12_GLOBAL__N_124unique_dim_cuda_templateIlEESt5tupleIJNSA_6TensorESF_SF_EERKSF_lbbbEUlllE_EE10hipError_tT0_T1_T2_T3_mRjT4_P12ihipStream_tbNS1_7vsmem_tEEUlT_E_NS1_11comp_targetILNS1_3genE5ELNS1_11target_archE942ELNS1_3gpuE9ELNS1_3repE0EEENS1_30default_config_static_selectorELNS0_4arch9wavefront6targetE1EEEvSM_
                                        ; -- End function
	.set _ZN7rocprim17ROCPRIM_400000_NS6detail17trampoline_kernelINS0_14default_configENS1_37merge_sort_block_sort_config_selectorIlNS0_10empty_typeEEEZNS1_21merge_sort_block_sortIS3_PlS8_PS5_S9_ZN2at6native12_GLOBAL__N_124unique_dim_cuda_templateIlEESt5tupleIJNSA_6TensorESF_SF_EERKSF_lbbbEUlllE_EE10hipError_tT0_T1_T2_T3_mRjT4_P12ihipStream_tbNS1_7vsmem_tEEUlT_E_NS1_11comp_targetILNS1_3genE5ELNS1_11target_archE942ELNS1_3gpuE9ELNS1_3repE0EEENS1_30default_config_static_selectorELNS0_4arch9wavefront6targetE1EEEvSM_.num_vgpr, 0
	.set _ZN7rocprim17ROCPRIM_400000_NS6detail17trampoline_kernelINS0_14default_configENS1_37merge_sort_block_sort_config_selectorIlNS0_10empty_typeEEEZNS1_21merge_sort_block_sortIS3_PlS8_PS5_S9_ZN2at6native12_GLOBAL__N_124unique_dim_cuda_templateIlEESt5tupleIJNSA_6TensorESF_SF_EERKSF_lbbbEUlllE_EE10hipError_tT0_T1_T2_T3_mRjT4_P12ihipStream_tbNS1_7vsmem_tEEUlT_E_NS1_11comp_targetILNS1_3genE5ELNS1_11target_archE942ELNS1_3gpuE9ELNS1_3repE0EEENS1_30default_config_static_selectorELNS0_4arch9wavefront6targetE1EEEvSM_.num_agpr, 0
	.set _ZN7rocprim17ROCPRIM_400000_NS6detail17trampoline_kernelINS0_14default_configENS1_37merge_sort_block_sort_config_selectorIlNS0_10empty_typeEEEZNS1_21merge_sort_block_sortIS3_PlS8_PS5_S9_ZN2at6native12_GLOBAL__N_124unique_dim_cuda_templateIlEESt5tupleIJNSA_6TensorESF_SF_EERKSF_lbbbEUlllE_EE10hipError_tT0_T1_T2_T3_mRjT4_P12ihipStream_tbNS1_7vsmem_tEEUlT_E_NS1_11comp_targetILNS1_3genE5ELNS1_11target_archE942ELNS1_3gpuE9ELNS1_3repE0EEENS1_30default_config_static_selectorELNS0_4arch9wavefront6targetE1EEEvSM_.numbered_sgpr, 0
	.set _ZN7rocprim17ROCPRIM_400000_NS6detail17trampoline_kernelINS0_14default_configENS1_37merge_sort_block_sort_config_selectorIlNS0_10empty_typeEEEZNS1_21merge_sort_block_sortIS3_PlS8_PS5_S9_ZN2at6native12_GLOBAL__N_124unique_dim_cuda_templateIlEESt5tupleIJNSA_6TensorESF_SF_EERKSF_lbbbEUlllE_EE10hipError_tT0_T1_T2_T3_mRjT4_P12ihipStream_tbNS1_7vsmem_tEEUlT_E_NS1_11comp_targetILNS1_3genE5ELNS1_11target_archE942ELNS1_3gpuE9ELNS1_3repE0EEENS1_30default_config_static_selectorELNS0_4arch9wavefront6targetE1EEEvSM_.num_named_barrier, 0
	.set _ZN7rocprim17ROCPRIM_400000_NS6detail17trampoline_kernelINS0_14default_configENS1_37merge_sort_block_sort_config_selectorIlNS0_10empty_typeEEEZNS1_21merge_sort_block_sortIS3_PlS8_PS5_S9_ZN2at6native12_GLOBAL__N_124unique_dim_cuda_templateIlEESt5tupleIJNSA_6TensorESF_SF_EERKSF_lbbbEUlllE_EE10hipError_tT0_T1_T2_T3_mRjT4_P12ihipStream_tbNS1_7vsmem_tEEUlT_E_NS1_11comp_targetILNS1_3genE5ELNS1_11target_archE942ELNS1_3gpuE9ELNS1_3repE0EEENS1_30default_config_static_selectorELNS0_4arch9wavefront6targetE1EEEvSM_.private_seg_size, 0
	.set _ZN7rocprim17ROCPRIM_400000_NS6detail17trampoline_kernelINS0_14default_configENS1_37merge_sort_block_sort_config_selectorIlNS0_10empty_typeEEEZNS1_21merge_sort_block_sortIS3_PlS8_PS5_S9_ZN2at6native12_GLOBAL__N_124unique_dim_cuda_templateIlEESt5tupleIJNSA_6TensorESF_SF_EERKSF_lbbbEUlllE_EE10hipError_tT0_T1_T2_T3_mRjT4_P12ihipStream_tbNS1_7vsmem_tEEUlT_E_NS1_11comp_targetILNS1_3genE5ELNS1_11target_archE942ELNS1_3gpuE9ELNS1_3repE0EEENS1_30default_config_static_selectorELNS0_4arch9wavefront6targetE1EEEvSM_.uses_vcc, 0
	.set _ZN7rocprim17ROCPRIM_400000_NS6detail17trampoline_kernelINS0_14default_configENS1_37merge_sort_block_sort_config_selectorIlNS0_10empty_typeEEEZNS1_21merge_sort_block_sortIS3_PlS8_PS5_S9_ZN2at6native12_GLOBAL__N_124unique_dim_cuda_templateIlEESt5tupleIJNSA_6TensorESF_SF_EERKSF_lbbbEUlllE_EE10hipError_tT0_T1_T2_T3_mRjT4_P12ihipStream_tbNS1_7vsmem_tEEUlT_E_NS1_11comp_targetILNS1_3genE5ELNS1_11target_archE942ELNS1_3gpuE9ELNS1_3repE0EEENS1_30default_config_static_selectorELNS0_4arch9wavefront6targetE1EEEvSM_.uses_flat_scratch, 0
	.set _ZN7rocprim17ROCPRIM_400000_NS6detail17trampoline_kernelINS0_14default_configENS1_37merge_sort_block_sort_config_selectorIlNS0_10empty_typeEEEZNS1_21merge_sort_block_sortIS3_PlS8_PS5_S9_ZN2at6native12_GLOBAL__N_124unique_dim_cuda_templateIlEESt5tupleIJNSA_6TensorESF_SF_EERKSF_lbbbEUlllE_EE10hipError_tT0_T1_T2_T3_mRjT4_P12ihipStream_tbNS1_7vsmem_tEEUlT_E_NS1_11comp_targetILNS1_3genE5ELNS1_11target_archE942ELNS1_3gpuE9ELNS1_3repE0EEENS1_30default_config_static_selectorELNS0_4arch9wavefront6targetE1EEEvSM_.has_dyn_sized_stack, 0
	.set _ZN7rocprim17ROCPRIM_400000_NS6detail17trampoline_kernelINS0_14default_configENS1_37merge_sort_block_sort_config_selectorIlNS0_10empty_typeEEEZNS1_21merge_sort_block_sortIS3_PlS8_PS5_S9_ZN2at6native12_GLOBAL__N_124unique_dim_cuda_templateIlEESt5tupleIJNSA_6TensorESF_SF_EERKSF_lbbbEUlllE_EE10hipError_tT0_T1_T2_T3_mRjT4_P12ihipStream_tbNS1_7vsmem_tEEUlT_E_NS1_11comp_targetILNS1_3genE5ELNS1_11target_archE942ELNS1_3gpuE9ELNS1_3repE0EEENS1_30default_config_static_selectorELNS0_4arch9wavefront6targetE1EEEvSM_.has_recursion, 0
	.set _ZN7rocprim17ROCPRIM_400000_NS6detail17trampoline_kernelINS0_14default_configENS1_37merge_sort_block_sort_config_selectorIlNS0_10empty_typeEEEZNS1_21merge_sort_block_sortIS3_PlS8_PS5_S9_ZN2at6native12_GLOBAL__N_124unique_dim_cuda_templateIlEESt5tupleIJNSA_6TensorESF_SF_EERKSF_lbbbEUlllE_EE10hipError_tT0_T1_T2_T3_mRjT4_P12ihipStream_tbNS1_7vsmem_tEEUlT_E_NS1_11comp_targetILNS1_3genE5ELNS1_11target_archE942ELNS1_3gpuE9ELNS1_3repE0EEENS1_30default_config_static_selectorELNS0_4arch9wavefront6targetE1EEEvSM_.has_indirect_call, 0
	.section	.AMDGPU.csdata,"",@progbits
; Kernel info:
; codeLenInByte = 0
; TotalNumSgprs: 6
; NumVgprs: 0
; NumAgprs: 0
; TotalNumVgprs: 0
; ScratchSize: 0
; MemoryBound: 0
; FloatMode: 240
; IeeeMode: 1
; LDSByteSize: 0 bytes/workgroup (compile time only)
; SGPRBlocks: 0
; VGPRBlocks: 0
; NumSGPRsForWavesPerEU: 6
; NumVGPRsForWavesPerEU: 1
; AccumOffset: 4
; Occupancy: 8
; WaveLimiterHint : 0
; COMPUTE_PGM_RSRC2:SCRATCH_EN: 0
; COMPUTE_PGM_RSRC2:USER_SGPR: 2
; COMPUTE_PGM_RSRC2:TRAP_HANDLER: 0
; COMPUTE_PGM_RSRC2:TGID_X_EN: 1
; COMPUTE_PGM_RSRC2:TGID_Y_EN: 0
; COMPUTE_PGM_RSRC2:TGID_Z_EN: 0
; COMPUTE_PGM_RSRC2:TIDIG_COMP_CNT: 0
; COMPUTE_PGM_RSRC3_GFX90A:ACCUM_OFFSET: 0
; COMPUTE_PGM_RSRC3_GFX90A:TG_SPLIT: 0
	.section	.text._ZN7rocprim17ROCPRIM_400000_NS6detail17trampoline_kernelINS0_14default_configENS1_37merge_sort_block_sort_config_selectorIlNS0_10empty_typeEEEZNS1_21merge_sort_block_sortIS3_PlS8_PS5_S9_ZN2at6native12_GLOBAL__N_124unique_dim_cuda_templateIlEESt5tupleIJNSA_6TensorESF_SF_EERKSF_lbbbEUlllE_EE10hipError_tT0_T1_T2_T3_mRjT4_P12ihipStream_tbNS1_7vsmem_tEEUlT_E_NS1_11comp_targetILNS1_3genE4ELNS1_11target_archE910ELNS1_3gpuE8ELNS1_3repE0EEENS1_30default_config_static_selectorELNS0_4arch9wavefront6targetE1EEEvSM_,"axG",@progbits,_ZN7rocprim17ROCPRIM_400000_NS6detail17trampoline_kernelINS0_14default_configENS1_37merge_sort_block_sort_config_selectorIlNS0_10empty_typeEEEZNS1_21merge_sort_block_sortIS3_PlS8_PS5_S9_ZN2at6native12_GLOBAL__N_124unique_dim_cuda_templateIlEESt5tupleIJNSA_6TensorESF_SF_EERKSF_lbbbEUlllE_EE10hipError_tT0_T1_T2_T3_mRjT4_P12ihipStream_tbNS1_7vsmem_tEEUlT_E_NS1_11comp_targetILNS1_3genE4ELNS1_11target_archE910ELNS1_3gpuE8ELNS1_3repE0EEENS1_30default_config_static_selectorELNS0_4arch9wavefront6targetE1EEEvSM_,comdat
	.globl	_ZN7rocprim17ROCPRIM_400000_NS6detail17trampoline_kernelINS0_14default_configENS1_37merge_sort_block_sort_config_selectorIlNS0_10empty_typeEEEZNS1_21merge_sort_block_sortIS3_PlS8_PS5_S9_ZN2at6native12_GLOBAL__N_124unique_dim_cuda_templateIlEESt5tupleIJNSA_6TensorESF_SF_EERKSF_lbbbEUlllE_EE10hipError_tT0_T1_T2_T3_mRjT4_P12ihipStream_tbNS1_7vsmem_tEEUlT_E_NS1_11comp_targetILNS1_3genE4ELNS1_11target_archE910ELNS1_3gpuE8ELNS1_3repE0EEENS1_30default_config_static_selectorELNS0_4arch9wavefront6targetE1EEEvSM_ ; -- Begin function _ZN7rocprim17ROCPRIM_400000_NS6detail17trampoline_kernelINS0_14default_configENS1_37merge_sort_block_sort_config_selectorIlNS0_10empty_typeEEEZNS1_21merge_sort_block_sortIS3_PlS8_PS5_S9_ZN2at6native12_GLOBAL__N_124unique_dim_cuda_templateIlEESt5tupleIJNSA_6TensorESF_SF_EERKSF_lbbbEUlllE_EE10hipError_tT0_T1_T2_T3_mRjT4_P12ihipStream_tbNS1_7vsmem_tEEUlT_E_NS1_11comp_targetILNS1_3genE4ELNS1_11target_archE910ELNS1_3gpuE8ELNS1_3repE0EEENS1_30default_config_static_selectorELNS0_4arch9wavefront6targetE1EEEvSM_
	.p2align	8
	.type	_ZN7rocprim17ROCPRIM_400000_NS6detail17trampoline_kernelINS0_14default_configENS1_37merge_sort_block_sort_config_selectorIlNS0_10empty_typeEEEZNS1_21merge_sort_block_sortIS3_PlS8_PS5_S9_ZN2at6native12_GLOBAL__N_124unique_dim_cuda_templateIlEESt5tupleIJNSA_6TensorESF_SF_EERKSF_lbbbEUlllE_EE10hipError_tT0_T1_T2_T3_mRjT4_P12ihipStream_tbNS1_7vsmem_tEEUlT_E_NS1_11comp_targetILNS1_3genE4ELNS1_11target_archE910ELNS1_3gpuE8ELNS1_3repE0EEENS1_30default_config_static_selectorELNS0_4arch9wavefront6targetE1EEEvSM_,@function
_ZN7rocprim17ROCPRIM_400000_NS6detail17trampoline_kernelINS0_14default_configENS1_37merge_sort_block_sort_config_selectorIlNS0_10empty_typeEEEZNS1_21merge_sort_block_sortIS3_PlS8_PS5_S9_ZN2at6native12_GLOBAL__N_124unique_dim_cuda_templateIlEESt5tupleIJNSA_6TensorESF_SF_EERKSF_lbbbEUlllE_EE10hipError_tT0_T1_T2_T3_mRjT4_P12ihipStream_tbNS1_7vsmem_tEEUlT_E_NS1_11comp_targetILNS1_3genE4ELNS1_11target_archE910ELNS1_3gpuE8ELNS1_3repE0EEENS1_30default_config_static_selectorELNS0_4arch9wavefront6targetE1EEEvSM_: ; @_ZN7rocprim17ROCPRIM_400000_NS6detail17trampoline_kernelINS0_14default_configENS1_37merge_sort_block_sort_config_selectorIlNS0_10empty_typeEEEZNS1_21merge_sort_block_sortIS3_PlS8_PS5_S9_ZN2at6native12_GLOBAL__N_124unique_dim_cuda_templateIlEESt5tupleIJNSA_6TensorESF_SF_EERKSF_lbbbEUlllE_EE10hipError_tT0_T1_T2_T3_mRjT4_P12ihipStream_tbNS1_7vsmem_tEEUlT_E_NS1_11comp_targetILNS1_3genE4ELNS1_11target_archE910ELNS1_3gpuE8ELNS1_3repE0EEENS1_30default_config_static_selectorELNS0_4arch9wavefront6targetE1EEEvSM_
; %bb.0:
	.section	.rodata,"a",@progbits
	.p2align	6, 0x0
	.amdhsa_kernel _ZN7rocprim17ROCPRIM_400000_NS6detail17trampoline_kernelINS0_14default_configENS1_37merge_sort_block_sort_config_selectorIlNS0_10empty_typeEEEZNS1_21merge_sort_block_sortIS3_PlS8_PS5_S9_ZN2at6native12_GLOBAL__N_124unique_dim_cuda_templateIlEESt5tupleIJNSA_6TensorESF_SF_EERKSF_lbbbEUlllE_EE10hipError_tT0_T1_T2_T3_mRjT4_P12ihipStream_tbNS1_7vsmem_tEEUlT_E_NS1_11comp_targetILNS1_3genE4ELNS1_11target_archE910ELNS1_3gpuE8ELNS1_3repE0EEENS1_30default_config_static_selectorELNS0_4arch9wavefront6targetE1EEEvSM_
		.amdhsa_group_segment_fixed_size 0
		.amdhsa_private_segment_fixed_size 0
		.amdhsa_kernarg_size 72
		.amdhsa_user_sgpr_count 2
		.amdhsa_user_sgpr_dispatch_ptr 0
		.amdhsa_user_sgpr_queue_ptr 0
		.amdhsa_user_sgpr_kernarg_segment_ptr 1
		.amdhsa_user_sgpr_dispatch_id 0
		.amdhsa_user_sgpr_kernarg_preload_length 0
		.amdhsa_user_sgpr_kernarg_preload_offset 0
		.amdhsa_user_sgpr_private_segment_size 0
		.amdhsa_uses_dynamic_stack 0
		.amdhsa_enable_private_segment 0
		.amdhsa_system_sgpr_workgroup_id_x 1
		.amdhsa_system_sgpr_workgroup_id_y 0
		.amdhsa_system_sgpr_workgroup_id_z 0
		.amdhsa_system_sgpr_workgroup_info 0
		.amdhsa_system_vgpr_workitem_id 0
		.amdhsa_next_free_vgpr 1
		.amdhsa_next_free_sgpr 0
		.amdhsa_accum_offset 4
		.amdhsa_reserve_vcc 0
		.amdhsa_float_round_mode_32 0
		.amdhsa_float_round_mode_16_64 0
		.amdhsa_float_denorm_mode_32 3
		.amdhsa_float_denorm_mode_16_64 3
		.amdhsa_dx10_clamp 1
		.amdhsa_ieee_mode 1
		.amdhsa_fp16_overflow 0
		.amdhsa_tg_split 0
		.amdhsa_exception_fp_ieee_invalid_op 0
		.amdhsa_exception_fp_denorm_src 0
		.amdhsa_exception_fp_ieee_div_zero 0
		.amdhsa_exception_fp_ieee_overflow 0
		.amdhsa_exception_fp_ieee_underflow 0
		.amdhsa_exception_fp_ieee_inexact 0
		.amdhsa_exception_int_div_zero 0
	.end_amdhsa_kernel
	.section	.text._ZN7rocprim17ROCPRIM_400000_NS6detail17trampoline_kernelINS0_14default_configENS1_37merge_sort_block_sort_config_selectorIlNS0_10empty_typeEEEZNS1_21merge_sort_block_sortIS3_PlS8_PS5_S9_ZN2at6native12_GLOBAL__N_124unique_dim_cuda_templateIlEESt5tupleIJNSA_6TensorESF_SF_EERKSF_lbbbEUlllE_EE10hipError_tT0_T1_T2_T3_mRjT4_P12ihipStream_tbNS1_7vsmem_tEEUlT_E_NS1_11comp_targetILNS1_3genE4ELNS1_11target_archE910ELNS1_3gpuE8ELNS1_3repE0EEENS1_30default_config_static_selectorELNS0_4arch9wavefront6targetE1EEEvSM_,"axG",@progbits,_ZN7rocprim17ROCPRIM_400000_NS6detail17trampoline_kernelINS0_14default_configENS1_37merge_sort_block_sort_config_selectorIlNS0_10empty_typeEEEZNS1_21merge_sort_block_sortIS3_PlS8_PS5_S9_ZN2at6native12_GLOBAL__N_124unique_dim_cuda_templateIlEESt5tupleIJNSA_6TensorESF_SF_EERKSF_lbbbEUlllE_EE10hipError_tT0_T1_T2_T3_mRjT4_P12ihipStream_tbNS1_7vsmem_tEEUlT_E_NS1_11comp_targetILNS1_3genE4ELNS1_11target_archE910ELNS1_3gpuE8ELNS1_3repE0EEENS1_30default_config_static_selectorELNS0_4arch9wavefront6targetE1EEEvSM_,comdat
.Lfunc_end507:
	.size	_ZN7rocprim17ROCPRIM_400000_NS6detail17trampoline_kernelINS0_14default_configENS1_37merge_sort_block_sort_config_selectorIlNS0_10empty_typeEEEZNS1_21merge_sort_block_sortIS3_PlS8_PS5_S9_ZN2at6native12_GLOBAL__N_124unique_dim_cuda_templateIlEESt5tupleIJNSA_6TensorESF_SF_EERKSF_lbbbEUlllE_EE10hipError_tT0_T1_T2_T3_mRjT4_P12ihipStream_tbNS1_7vsmem_tEEUlT_E_NS1_11comp_targetILNS1_3genE4ELNS1_11target_archE910ELNS1_3gpuE8ELNS1_3repE0EEENS1_30default_config_static_selectorELNS0_4arch9wavefront6targetE1EEEvSM_, .Lfunc_end507-_ZN7rocprim17ROCPRIM_400000_NS6detail17trampoline_kernelINS0_14default_configENS1_37merge_sort_block_sort_config_selectorIlNS0_10empty_typeEEEZNS1_21merge_sort_block_sortIS3_PlS8_PS5_S9_ZN2at6native12_GLOBAL__N_124unique_dim_cuda_templateIlEESt5tupleIJNSA_6TensorESF_SF_EERKSF_lbbbEUlllE_EE10hipError_tT0_T1_T2_T3_mRjT4_P12ihipStream_tbNS1_7vsmem_tEEUlT_E_NS1_11comp_targetILNS1_3genE4ELNS1_11target_archE910ELNS1_3gpuE8ELNS1_3repE0EEENS1_30default_config_static_selectorELNS0_4arch9wavefront6targetE1EEEvSM_
                                        ; -- End function
	.set _ZN7rocprim17ROCPRIM_400000_NS6detail17trampoline_kernelINS0_14default_configENS1_37merge_sort_block_sort_config_selectorIlNS0_10empty_typeEEEZNS1_21merge_sort_block_sortIS3_PlS8_PS5_S9_ZN2at6native12_GLOBAL__N_124unique_dim_cuda_templateIlEESt5tupleIJNSA_6TensorESF_SF_EERKSF_lbbbEUlllE_EE10hipError_tT0_T1_T2_T3_mRjT4_P12ihipStream_tbNS1_7vsmem_tEEUlT_E_NS1_11comp_targetILNS1_3genE4ELNS1_11target_archE910ELNS1_3gpuE8ELNS1_3repE0EEENS1_30default_config_static_selectorELNS0_4arch9wavefront6targetE1EEEvSM_.num_vgpr, 0
	.set _ZN7rocprim17ROCPRIM_400000_NS6detail17trampoline_kernelINS0_14default_configENS1_37merge_sort_block_sort_config_selectorIlNS0_10empty_typeEEEZNS1_21merge_sort_block_sortIS3_PlS8_PS5_S9_ZN2at6native12_GLOBAL__N_124unique_dim_cuda_templateIlEESt5tupleIJNSA_6TensorESF_SF_EERKSF_lbbbEUlllE_EE10hipError_tT0_T1_T2_T3_mRjT4_P12ihipStream_tbNS1_7vsmem_tEEUlT_E_NS1_11comp_targetILNS1_3genE4ELNS1_11target_archE910ELNS1_3gpuE8ELNS1_3repE0EEENS1_30default_config_static_selectorELNS0_4arch9wavefront6targetE1EEEvSM_.num_agpr, 0
	.set _ZN7rocprim17ROCPRIM_400000_NS6detail17trampoline_kernelINS0_14default_configENS1_37merge_sort_block_sort_config_selectorIlNS0_10empty_typeEEEZNS1_21merge_sort_block_sortIS3_PlS8_PS5_S9_ZN2at6native12_GLOBAL__N_124unique_dim_cuda_templateIlEESt5tupleIJNSA_6TensorESF_SF_EERKSF_lbbbEUlllE_EE10hipError_tT0_T1_T2_T3_mRjT4_P12ihipStream_tbNS1_7vsmem_tEEUlT_E_NS1_11comp_targetILNS1_3genE4ELNS1_11target_archE910ELNS1_3gpuE8ELNS1_3repE0EEENS1_30default_config_static_selectorELNS0_4arch9wavefront6targetE1EEEvSM_.numbered_sgpr, 0
	.set _ZN7rocprim17ROCPRIM_400000_NS6detail17trampoline_kernelINS0_14default_configENS1_37merge_sort_block_sort_config_selectorIlNS0_10empty_typeEEEZNS1_21merge_sort_block_sortIS3_PlS8_PS5_S9_ZN2at6native12_GLOBAL__N_124unique_dim_cuda_templateIlEESt5tupleIJNSA_6TensorESF_SF_EERKSF_lbbbEUlllE_EE10hipError_tT0_T1_T2_T3_mRjT4_P12ihipStream_tbNS1_7vsmem_tEEUlT_E_NS1_11comp_targetILNS1_3genE4ELNS1_11target_archE910ELNS1_3gpuE8ELNS1_3repE0EEENS1_30default_config_static_selectorELNS0_4arch9wavefront6targetE1EEEvSM_.num_named_barrier, 0
	.set _ZN7rocprim17ROCPRIM_400000_NS6detail17trampoline_kernelINS0_14default_configENS1_37merge_sort_block_sort_config_selectorIlNS0_10empty_typeEEEZNS1_21merge_sort_block_sortIS3_PlS8_PS5_S9_ZN2at6native12_GLOBAL__N_124unique_dim_cuda_templateIlEESt5tupleIJNSA_6TensorESF_SF_EERKSF_lbbbEUlllE_EE10hipError_tT0_T1_T2_T3_mRjT4_P12ihipStream_tbNS1_7vsmem_tEEUlT_E_NS1_11comp_targetILNS1_3genE4ELNS1_11target_archE910ELNS1_3gpuE8ELNS1_3repE0EEENS1_30default_config_static_selectorELNS0_4arch9wavefront6targetE1EEEvSM_.private_seg_size, 0
	.set _ZN7rocprim17ROCPRIM_400000_NS6detail17trampoline_kernelINS0_14default_configENS1_37merge_sort_block_sort_config_selectorIlNS0_10empty_typeEEEZNS1_21merge_sort_block_sortIS3_PlS8_PS5_S9_ZN2at6native12_GLOBAL__N_124unique_dim_cuda_templateIlEESt5tupleIJNSA_6TensorESF_SF_EERKSF_lbbbEUlllE_EE10hipError_tT0_T1_T2_T3_mRjT4_P12ihipStream_tbNS1_7vsmem_tEEUlT_E_NS1_11comp_targetILNS1_3genE4ELNS1_11target_archE910ELNS1_3gpuE8ELNS1_3repE0EEENS1_30default_config_static_selectorELNS0_4arch9wavefront6targetE1EEEvSM_.uses_vcc, 0
	.set _ZN7rocprim17ROCPRIM_400000_NS6detail17trampoline_kernelINS0_14default_configENS1_37merge_sort_block_sort_config_selectorIlNS0_10empty_typeEEEZNS1_21merge_sort_block_sortIS3_PlS8_PS5_S9_ZN2at6native12_GLOBAL__N_124unique_dim_cuda_templateIlEESt5tupleIJNSA_6TensorESF_SF_EERKSF_lbbbEUlllE_EE10hipError_tT0_T1_T2_T3_mRjT4_P12ihipStream_tbNS1_7vsmem_tEEUlT_E_NS1_11comp_targetILNS1_3genE4ELNS1_11target_archE910ELNS1_3gpuE8ELNS1_3repE0EEENS1_30default_config_static_selectorELNS0_4arch9wavefront6targetE1EEEvSM_.uses_flat_scratch, 0
	.set _ZN7rocprim17ROCPRIM_400000_NS6detail17trampoline_kernelINS0_14default_configENS1_37merge_sort_block_sort_config_selectorIlNS0_10empty_typeEEEZNS1_21merge_sort_block_sortIS3_PlS8_PS5_S9_ZN2at6native12_GLOBAL__N_124unique_dim_cuda_templateIlEESt5tupleIJNSA_6TensorESF_SF_EERKSF_lbbbEUlllE_EE10hipError_tT0_T1_T2_T3_mRjT4_P12ihipStream_tbNS1_7vsmem_tEEUlT_E_NS1_11comp_targetILNS1_3genE4ELNS1_11target_archE910ELNS1_3gpuE8ELNS1_3repE0EEENS1_30default_config_static_selectorELNS0_4arch9wavefront6targetE1EEEvSM_.has_dyn_sized_stack, 0
	.set _ZN7rocprim17ROCPRIM_400000_NS6detail17trampoline_kernelINS0_14default_configENS1_37merge_sort_block_sort_config_selectorIlNS0_10empty_typeEEEZNS1_21merge_sort_block_sortIS3_PlS8_PS5_S9_ZN2at6native12_GLOBAL__N_124unique_dim_cuda_templateIlEESt5tupleIJNSA_6TensorESF_SF_EERKSF_lbbbEUlllE_EE10hipError_tT0_T1_T2_T3_mRjT4_P12ihipStream_tbNS1_7vsmem_tEEUlT_E_NS1_11comp_targetILNS1_3genE4ELNS1_11target_archE910ELNS1_3gpuE8ELNS1_3repE0EEENS1_30default_config_static_selectorELNS0_4arch9wavefront6targetE1EEEvSM_.has_recursion, 0
	.set _ZN7rocprim17ROCPRIM_400000_NS6detail17trampoline_kernelINS0_14default_configENS1_37merge_sort_block_sort_config_selectorIlNS0_10empty_typeEEEZNS1_21merge_sort_block_sortIS3_PlS8_PS5_S9_ZN2at6native12_GLOBAL__N_124unique_dim_cuda_templateIlEESt5tupleIJNSA_6TensorESF_SF_EERKSF_lbbbEUlllE_EE10hipError_tT0_T1_T2_T3_mRjT4_P12ihipStream_tbNS1_7vsmem_tEEUlT_E_NS1_11comp_targetILNS1_3genE4ELNS1_11target_archE910ELNS1_3gpuE8ELNS1_3repE0EEENS1_30default_config_static_selectorELNS0_4arch9wavefront6targetE1EEEvSM_.has_indirect_call, 0
	.section	.AMDGPU.csdata,"",@progbits
; Kernel info:
; codeLenInByte = 0
; TotalNumSgprs: 6
; NumVgprs: 0
; NumAgprs: 0
; TotalNumVgprs: 0
; ScratchSize: 0
; MemoryBound: 0
; FloatMode: 240
; IeeeMode: 1
; LDSByteSize: 0 bytes/workgroup (compile time only)
; SGPRBlocks: 0
; VGPRBlocks: 0
; NumSGPRsForWavesPerEU: 6
; NumVGPRsForWavesPerEU: 1
; AccumOffset: 4
; Occupancy: 8
; WaveLimiterHint : 0
; COMPUTE_PGM_RSRC2:SCRATCH_EN: 0
; COMPUTE_PGM_RSRC2:USER_SGPR: 2
; COMPUTE_PGM_RSRC2:TRAP_HANDLER: 0
; COMPUTE_PGM_RSRC2:TGID_X_EN: 1
; COMPUTE_PGM_RSRC2:TGID_Y_EN: 0
; COMPUTE_PGM_RSRC2:TGID_Z_EN: 0
; COMPUTE_PGM_RSRC2:TIDIG_COMP_CNT: 0
; COMPUTE_PGM_RSRC3_GFX90A:ACCUM_OFFSET: 0
; COMPUTE_PGM_RSRC3_GFX90A:TG_SPLIT: 0
	.section	.text._ZN7rocprim17ROCPRIM_400000_NS6detail17trampoline_kernelINS0_14default_configENS1_37merge_sort_block_sort_config_selectorIlNS0_10empty_typeEEEZNS1_21merge_sort_block_sortIS3_PlS8_PS5_S9_ZN2at6native12_GLOBAL__N_124unique_dim_cuda_templateIlEESt5tupleIJNSA_6TensorESF_SF_EERKSF_lbbbEUlllE_EE10hipError_tT0_T1_T2_T3_mRjT4_P12ihipStream_tbNS1_7vsmem_tEEUlT_E_NS1_11comp_targetILNS1_3genE3ELNS1_11target_archE908ELNS1_3gpuE7ELNS1_3repE0EEENS1_30default_config_static_selectorELNS0_4arch9wavefront6targetE1EEEvSM_,"axG",@progbits,_ZN7rocprim17ROCPRIM_400000_NS6detail17trampoline_kernelINS0_14default_configENS1_37merge_sort_block_sort_config_selectorIlNS0_10empty_typeEEEZNS1_21merge_sort_block_sortIS3_PlS8_PS5_S9_ZN2at6native12_GLOBAL__N_124unique_dim_cuda_templateIlEESt5tupleIJNSA_6TensorESF_SF_EERKSF_lbbbEUlllE_EE10hipError_tT0_T1_T2_T3_mRjT4_P12ihipStream_tbNS1_7vsmem_tEEUlT_E_NS1_11comp_targetILNS1_3genE3ELNS1_11target_archE908ELNS1_3gpuE7ELNS1_3repE0EEENS1_30default_config_static_selectorELNS0_4arch9wavefront6targetE1EEEvSM_,comdat
	.globl	_ZN7rocprim17ROCPRIM_400000_NS6detail17trampoline_kernelINS0_14default_configENS1_37merge_sort_block_sort_config_selectorIlNS0_10empty_typeEEEZNS1_21merge_sort_block_sortIS3_PlS8_PS5_S9_ZN2at6native12_GLOBAL__N_124unique_dim_cuda_templateIlEESt5tupleIJNSA_6TensorESF_SF_EERKSF_lbbbEUlllE_EE10hipError_tT0_T1_T2_T3_mRjT4_P12ihipStream_tbNS1_7vsmem_tEEUlT_E_NS1_11comp_targetILNS1_3genE3ELNS1_11target_archE908ELNS1_3gpuE7ELNS1_3repE0EEENS1_30default_config_static_selectorELNS0_4arch9wavefront6targetE1EEEvSM_ ; -- Begin function _ZN7rocprim17ROCPRIM_400000_NS6detail17trampoline_kernelINS0_14default_configENS1_37merge_sort_block_sort_config_selectorIlNS0_10empty_typeEEEZNS1_21merge_sort_block_sortIS3_PlS8_PS5_S9_ZN2at6native12_GLOBAL__N_124unique_dim_cuda_templateIlEESt5tupleIJNSA_6TensorESF_SF_EERKSF_lbbbEUlllE_EE10hipError_tT0_T1_T2_T3_mRjT4_P12ihipStream_tbNS1_7vsmem_tEEUlT_E_NS1_11comp_targetILNS1_3genE3ELNS1_11target_archE908ELNS1_3gpuE7ELNS1_3repE0EEENS1_30default_config_static_selectorELNS0_4arch9wavefront6targetE1EEEvSM_
	.p2align	8
	.type	_ZN7rocprim17ROCPRIM_400000_NS6detail17trampoline_kernelINS0_14default_configENS1_37merge_sort_block_sort_config_selectorIlNS0_10empty_typeEEEZNS1_21merge_sort_block_sortIS3_PlS8_PS5_S9_ZN2at6native12_GLOBAL__N_124unique_dim_cuda_templateIlEESt5tupleIJNSA_6TensorESF_SF_EERKSF_lbbbEUlllE_EE10hipError_tT0_T1_T2_T3_mRjT4_P12ihipStream_tbNS1_7vsmem_tEEUlT_E_NS1_11comp_targetILNS1_3genE3ELNS1_11target_archE908ELNS1_3gpuE7ELNS1_3repE0EEENS1_30default_config_static_selectorELNS0_4arch9wavefront6targetE1EEEvSM_,@function
_ZN7rocprim17ROCPRIM_400000_NS6detail17trampoline_kernelINS0_14default_configENS1_37merge_sort_block_sort_config_selectorIlNS0_10empty_typeEEEZNS1_21merge_sort_block_sortIS3_PlS8_PS5_S9_ZN2at6native12_GLOBAL__N_124unique_dim_cuda_templateIlEESt5tupleIJNSA_6TensorESF_SF_EERKSF_lbbbEUlllE_EE10hipError_tT0_T1_T2_T3_mRjT4_P12ihipStream_tbNS1_7vsmem_tEEUlT_E_NS1_11comp_targetILNS1_3genE3ELNS1_11target_archE908ELNS1_3gpuE7ELNS1_3repE0EEENS1_30default_config_static_selectorELNS0_4arch9wavefront6targetE1EEEvSM_: ; @_ZN7rocprim17ROCPRIM_400000_NS6detail17trampoline_kernelINS0_14default_configENS1_37merge_sort_block_sort_config_selectorIlNS0_10empty_typeEEEZNS1_21merge_sort_block_sortIS3_PlS8_PS5_S9_ZN2at6native12_GLOBAL__N_124unique_dim_cuda_templateIlEESt5tupleIJNSA_6TensorESF_SF_EERKSF_lbbbEUlllE_EE10hipError_tT0_T1_T2_T3_mRjT4_P12ihipStream_tbNS1_7vsmem_tEEUlT_E_NS1_11comp_targetILNS1_3genE3ELNS1_11target_archE908ELNS1_3gpuE7ELNS1_3repE0EEENS1_30default_config_static_selectorELNS0_4arch9wavefront6targetE1EEEvSM_
; %bb.0:
	.section	.rodata,"a",@progbits
	.p2align	6, 0x0
	.amdhsa_kernel _ZN7rocprim17ROCPRIM_400000_NS6detail17trampoline_kernelINS0_14default_configENS1_37merge_sort_block_sort_config_selectorIlNS0_10empty_typeEEEZNS1_21merge_sort_block_sortIS3_PlS8_PS5_S9_ZN2at6native12_GLOBAL__N_124unique_dim_cuda_templateIlEESt5tupleIJNSA_6TensorESF_SF_EERKSF_lbbbEUlllE_EE10hipError_tT0_T1_T2_T3_mRjT4_P12ihipStream_tbNS1_7vsmem_tEEUlT_E_NS1_11comp_targetILNS1_3genE3ELNS1_11target_archE908ELNS1_3gpuE7ELNS1_3repE0EEENS1_30default_config_static_selectorELNS0_4arch9wavefront6targetE1EEEvSM_
		.amdhsa_group_segment_fixed_size 0
		.amdhsa_private_segment_fixed_size 0
		.amdhsa_kernarg_size 72
		.amdhsa_user_sgpr_count 2
		.amdhsa_user_sgpr_dispatch_ptr 0
		.amdhsa_user_sgpr_queue_ptr 0
		.amdhsa_user_sgpr_kernarg_segment_ptr 1
		.amdhsa_user_sgpr_dispatch_id 0
		.amdhsa_user_sgpr_kernarg_preload_length 0
		.amdhsa_user_sgpr_kernarg_preload_offset 0
		.amdhsa_user_sgpr_private_segment_size 0
		.amdhsa_uses_dynamic_stack 0
		.amdhsa_enable_private_segment 0
		.amdhsa_system_sgpr_workgroup_id_x 1
		.amdhsa_system_sgpr_workgroup_id_y 0
		.amdhsa_system_sgpr_workgroup_id_z 0
		.amdhsa_system_sgpr_workgroup_info 0
		.amdhsa_system_vgpr_workitem_id 0
		.amdhsa_next_free_vgpr 1
		.amdhsa_next_free_sgpr 0
		.amdhsa_accum_offset 4
		.amdhsa_reserve_vcc 0
		.amdhsa_float_round_mode_32 0
		.amdhsa_float_round_mode_16_64 0
		.amdhsa_float_denorm_mode_32 3
		.amdhsa_float_denorm_mode_16_64 3
		.amdhsa_dx10_clamp 1
		.amdhsa_ieee_mode 1
		.amdhsa_fp16_overflow 0
		.amdhsa_tg_split 0
		.amdhsa_exception_fp_ieee_invalid_op 0
		.amdhsa_exception_fp_denorm_src 0
		.amdhsa_exception_fp_ieee_div_zero 0
		.amdhsa_exception_fp_ieee_overflow 0
		.amdhsa_exception_fp_ieee_underflow 0
		.amdhsa_exception_fp_ieee_inexact 0
		.amdhsa_exception_int_div_zero 0
	.end_amdhsa_kernel
	.section	.text._ZN7rocprim17ROCPRIM_400000_NS6detail17trampoline_kernelINS0_14default_configENS1_37merge_sort_block_sort_config_selectorIlNS0_10empty_typeEEEZNS1_21merge_sort_block_sortIS3_PlS8_PS5_S9_ZN2at6native12_GLOBAL__N_124unique_dim_cuda_templateIlEESt5tupleIJNSA_6TensorESF_SF_EERKSF_lbbbEUlllE_EE10hipError_tT0_T1_T2_T3_mRjT4_P12ihipStream_tbNS1_7vsmem_tEEUlT_E_NS1_11comp_targetILNS1_3genE3ELNS1_11target_archE908ELNS1_3gpuE7ELNS1_3repE0EEENS1_30default_config_static_selectorELNS0_4arch9wavefront6targetE1EEEvSM_,"axG",@progbits,_ZN7rocprim17ROCPRIM_400000_NS6detail17trampoline_kernelINS0_14default_configENS1_37merge_sort_block_sort_config_selectorIlNS0_10empty_typeEEEZNS1_21merge_sort_block_sortIS3_PlS8_PS5_S9_ZN2at6native12_GLOBAL__N_124unique_dim_cuda_templateIlEESt5tupleIJNSA_6TensorESF_SF_EERKSF_lbbbEUlllE_EE10hipError_tT0_T1_T2_T3_mRjT4_P12ihipStream_tbNS1_7vsmem_tEEUlT_E_NS1_11comp_targetILNS1_3genE3ELNS1_11target_archE908ELNS1_3gpuE7ELNS1_3repE0EEENS1_30default_config_static_selectorELNS0_4arch9wavefront6targetE1EEEvSM_,comdat
.Lfunc_end508:
	.size	_ZN7rocprim17ROCPRIM_400000_NS6detail17trampoline_kernelINS0_14default_configENS1_37merge_sort_block_sort_config_selectorIlNS0_10empty_typeEEEZNS1_21merge_sort_block_sortIS3_PlS8_PS5_S9_ZN2at6native12_GLOBAL__N_124unique_dim_cuda_templateIlEESt5tupleIJNSA_6TensorESF_SF_EERKSF_lbbbEUlllE_EE10hipError_tT0_T1_T2_T3_mRjT4_P12ihipStream_tbNS1_7vsmem_tEEUlT_E_NS1_11comp_targetILNS1_3genE3ELNS1_11target_archE908ELNS1_3gpuE7ELNS1_3repE0EEENS1_30default_config_static_selectorELNS0_4arch9wavefront6targetE1EEEvSM_, .Lfunc_end508-_ZN7rocprim17ROCPRIM_400000_NS6detail17trampoline_kernelINS0_14default_configENS1_37merge_sort_block_sort_config_selectorIlNS0_10empty_typeEEEZNS1_21merge_sort_block_sortIS3_PlS8_PS5_S9_ZN2at6native12_GLOBAL__N_124unique_dim_cuda_templateIlEESt5tupleIJNSA_6TensorESF_SF_EERKSF_lbbbEUlllE_EE10hipError_tT0_T1_T2_T3_mRjT4_P12ihipStream_tbNS1_7vsmem_tEEUlT_E_NS1_11comp_targetILNS1_3genE3ELNS1_11target_archE908ELNS1_3gpuE7ELNS1_3repE0EEENS1_30default_config_static_selectorELNS0_4arch9wavefront6targetE1EEEvSM_
                                        ; -- End function
	.set _ZN7rocprim17ROCPRIM_400000_NS6detail17trampoline_kernelINS0_14default_configENS1_37merge_sort_block_sort_config_selectorIlNS0_10empty_typeEEEZNS1_21merge_sort_block_sortIS3_PlS8_PS5_S9_ZN2at6native12_GLOBAL__N_124unique_dim_cuda_templateIlEESt5tupleIJNSA_6TensorESF_SF_EERKSF_lbbbEUlllE_EE10hipError_tT0_T1_T2_T3_mRjT4_P12ihipStream_tbNS1_7vsmem_tEEUlT_E_NS1_11comp_targetILNS1_3genE3ELNS1_11target_archE908ELNS1_3gpuE7ELNS1_3repE0EEENS1_30default_config_static_selectorELNS0_4arch9wavefront6targetE1EEEvSM_.num_vgpr, 0
	.set _ZN7rocprim17ROCPRIM_400000_NS6detail17trampoline_kernelINS0_14default_configENS1_37merge_sort_block_sort_config_selectorIlNS0_10empty_typeEEEZNS1_21merge_sort_block_sortIS3_PlS8_PS5_S9_ZN2at6native12_GLOBAL__N_124unique_dim_cuda_templateIlEESt5tupleIJNSA_6TensorESF_SF_EERKSF_lbbbEUlllE_EE10hipError_tT0_T1_T2_T3_mRjT4_P12ihipStream_tbNS1_7vsmem_tEEUlT_E_NS1_11comp_targetILNS1_3genE3ELNS1_11target_archE908ELNS1_3gpuE7ELNS1_3repE0EEENS1_30default_config_static_selectorELNS0_4arch9wavefront6targetE1EEEvSM_.num_agpr, 0
	.set _ZN7rocprim17ROCPRIM_400000_NS6detail17trampoline_kernelINS0_14default_configENS1_37merge_sort_block_sort_config_selectorIlNS0_10empty_typeEEEZNS1_21merge_sort_block_sortIS3_PlS8_PS5_S9_ZN2at6native12_GLOBAL__N_124unique_dim_cuda_templateIlEESt5tupleIJNSA_6TensorESF_SF_EERKSF_lbbbEUlllE_EE10hipError_tT0_T1_T2_T3_mRjT4_P12ihipStream_tbNS1_7vsmem_tEEUlT_E_NS1_11comp_targetILNS1_3genE3ELNS1_11target_archE908ELNS1_3gpuE7ELNS1_3repE0EEENS1_30default_config_static_selectorELNS0_4arch9wavefront6targetE1EEEvSM_.numbered_sgpr, 0
	.set _ZN7rocprim17ROCPRIM_400000_NS6detail17trampoline_kernelINS0_14default_configENS1_37merge_sort_block_sort_config_selectorIlNS0_10empty_typeEEEZNS1_21merge_sort_block_sortIS3_PlS8_PS5_S9_ZN2at6native12_GLOBAL__N_124unique_dim_cuda_templateIlEESt5tupleIJNSA_6TensorESF_SF_EERKSF_lbbbEUlllE_EE10hipError_tT0_T1_T2_T3_mRjT4_P12ihipStream_tbNS1_7vsmem_tEEUlT_E_NS1_11comp_targetILNS1_3genE3ELNS1_11target_archE908ELNS1_3gpuE7ELNS1_3repE0EEENS1_30default_config_static_selectorELNS0_4arch9wavefront6targetE1EEEvSM_.num_named_barrier, 0
	.set _ZN7rocprim17ROCPRIM_400000_NS6detail17trampoline_kernelINS0_14default_configENS1_37merge_sort_block_sort_config_selectorIlNS0_10empty_typeEEEZNS1_21merge_sort_block_sortIS3_PlS8_PS5_S9_ZN2at6native12_GLOBAL__N_124unique_dim_cuda_templateIlEESt5tupleIJNSA_6TensorESF_SF_EERKSF_lbbbEUlllE_EE10hipError_tT0_T1_T2_T3_mRjT4_P12ihipStream_tbNS1_7vsmem_tEEUlT_E_NS1_11comp_targetILNS1_3genE3ELNS1_11target_archE908ELNS1_3gpuE7ELNS1_3repE0EEENS1_30default_config_static_selectorELNS0_4arch9wavefront6targetE1EEEvSM_.private_seg_size, 0
	.set _ZN7rocprim17ROCPRIM_400000_NS6detail17trampoline_kernelINS0_14default_configENS1_37merge_sort_block_sort_config_selectorIlNS0_10empty_typeEEEZNS1_21merge_sort_block_sortIS3_PlS8_PS5_S9_ZN2at6native12_GLOBAL__N_124unique_dim_cuda_templateIlEESt5tupleIJNSA_6TensorESF_SF_EERKSF_lbbbEUlllE_EE10hipError_tT0_T1_T2_T3_mRjT4_P12ihipStream_tbNS1_7vsmem_tEEUlT_E_NS1_11comp_targetILNS1_3genE3ELNS1_11target_archE908ELNS1_3gpuE7ELNS1_3repE0EEENS1_30default_config_static_selectorELNS0_4arch9wavefront6targetE1EEEvSM_.uses_vcc, 0
	.set _ZN7rocprim17ROCPRIM_400000_NS6detail17trampoline_kernelINS0_14default_configENS1_37merge_sort_block_sort_config_selectorIlNS0_10empty_typeEEEZNS1_21merge_sort_block_sortIS3_PlS8_PS5_S9_ZN2at6native12_GLOBAL__N_124unique_dim_cuda_templateIlEESt5tupleIJNSA_6TensorESF_SF_EERKSF_lbbbEUlllE_EE10hipError_tT0_T1_T2_T3_mRjT4_P12ihipStream_tbNS1_7vsmem_tEEUlT_E_NS1_11comp_targetILNS1_3genE3ELNS1_11target_archE908ELNS1_3gpuE7ELNS1_3repE0EEENS1_30default_config_static_selectorELNS0_4arch9wavefront6targetE1EEEvSM_.uses_flat_scratch, 0
	.set _ZN7rocprim17ROCPRIM_400000_NS6detail17trampoline_kernelINS0_14default_configENS1_37merge_sort_block_sort_config_selectorIlNS0_10empty_typeEEEZNS1_21merge_sort_block_sortIS3_PlS8_PS5_S9_ZN2at6native12_GLOBAL__N_124unique_dim_cuda_templateIlEESt5tupleIJNSA_6TensorESF_SF_EERKSF_lbbbEUlllE_EE10hipError_tT0_T1_T2_T3_mRjT4_P12ihipStream_tbNS1_7vsmem_tEEUlT_E_NS1_11comp_targetILNS1_3genE3ELNS1_11target_archE908ELNS1_3gpuE7ELNS1_3repE0EEENS1_30default_config_static_selectorELNS0_4arch9wavefront6targetE1EEEvSM_.has_dyn_sized_stack, 0
	.set _ZN7rocprim17ROCPRIM_400000_NS6detail17trampoline_kernelINS0_14default_configENS1_37merge_sort_block_sort_config_selectorIlNS0_10empty_typeEEEZNS1_21merge_sort_block_sortIS3_PlS8_PS5_S9_ZN2at6native12_GLOBAL__N_124unique_dim_cuda_templateIlEESt5tupleIJNSA_6TensorESF_SF_EERKSF_lbbbEUlllE_EE10hipError_tT0_T1_T2_T3_mRjT4_P12ihipStream_tbNS1_7vsmem_tEEUlT_E_NS1_11comp_targetILNS1_3genE3ELNS1_11target_archE908ELNS1_3gpuE7ELNS1_3repE0EEENS1_30default_config_static_selectorELNS0_4arch9wavefront6targetE1EEEvSM_.has_recursion, 0
	.set _ZN7rocprim17ROCPRIM_400000_NS6detail17trampoline_kernelINS0_14default_configENS1_37merge_sort_block_sort_config_selectorIlNS0_10empty_typeEEEZNS1_21merge_sort_block_sortIS3_PlS8_PS5_S9_ZN2at6native12_GLOBAL__N_124unique_dim_cuda_templateIlEESt5tupleIJNSA_6TensorESF_SF_EERKSF_lbbbEUlllE_EE10hipError_tT0_T1_T2_T3_mRjT4_P12ihipStream_tbNS1_7vsmem_tEEUlT_E_NS1_11comp_targetILNS1_3genE3ELNS1_11target_archE908ELNS1_3gpuE7ELNS1_3repE0EEENS1_30default_config_static_selectorELNS0_4arch9wavefront6targetE1EEEvSM_.has_indirect_call, 0
	.section	.AMDGPU.csdata,"",@progbits
; Kernel info:
; codeLenInByte = 0
; TotalNumSgprs: 6
; NumVgprs: 0
; NumAgprs: 0
; TotalNumVgprs: 0
; ScratchSize: 0
; MemoryBound: 0
; FloatMode: 240
; IeeeMode: 1
; LDSByteSize: 0 bytes/workgroup (compile time only)
; SGPRBlocks: 0
; VGPRBlocks: 0
; NumSGPRsForWavesPerEU: 6
; NumVGPRsForWavesPerEU: 1
; AccumOffset: 4
; Occupancy: 8
; WaveLimiterHint : 0
; COMPUTE_PGM_RSRC2:SCRATCH_EN: 0
; COMPUTE_PGM_RSRC2:USER_SGPR: 2
; COMPUTE_PGM_RSRC2:TRAP_HANDLER: 0
; COMPUTE_PGM_RSRC2:TGID_X_EN: 1
; COMPUTE_PGM_RSRC2:TGID_Y_EN: 0
; COMPUTE_PGM_RSRC2:TGID_Z_EN: 0
; COMPUTE_PGM_RSRC2:TIDIG_COMP_CNT: 0
; COMPUTE_PGM_RSRC3_GFX90A:ACCUM_OFFSET: 0
; COMPUTE_PGM_RSRC3_GFX90A:TG_SPLIT: 0
	.section	.text._ZN7rocprim17ROCPRIM_400000_NS6detail17trampoline_kernelINS0_14default_configENS1_37merge_sort_block_sort_config_selectorIlNS0_10empty_typeEEEZNS1_21merge_sort_block_sortIS3_PlS8_PS5_S9_ZN2at6native12_GLOBAL__N_124unique_dim_cuda_templateIlEESt5tupleIJNSA_6TensorESF_SF_EERKSF_lbbbEUlllE_EE10hipError_tT0_T1_T2_T3_mRjT4_P12ihipStream_tbNS1_7vsmem_tEEUlT_E_NS1_11comp_targetILNS1_3genE2ELNS1_11target_archE906ELNS1_3gpuE6ELNS1_3repE0EEENS1_30default_config_static_selectorELNS0_4arch9wavefront6targetE1EEEvSM_,"axG",@progbits,_ZN7rocprim17ROCPRIM_400000_NS6detail17trampoline_kernelINS0_14default_configENS1_37merge_sort_block_sort_config_selectorIlNS0_10empty_typeEEEZNS1_21merge_sort_block_sortIS3_PlS8_PS5_S9_ZN2at6native12_GLOBAL__N_124unique_dim_cuda_templateIlEESt5tupleIJNSA_6TensorESF_SF_EERKSF_lbbbEUlllE_EE10hipError_tT0_T1_T2_T3_mRjT4_P12ihipStream_tbNS1_7vsmem_tEEUlT_E_NS1_11comp_targetILNS1_3genE2ELNS1_11target_archE906ELNS1_3gpuE6ELNS1_3repE0EEENS1_30default_config_static_selectorELNS0_4arch9wavefront6targetE1EEEvSM_,comdat
	.globl	_ZN7rocprim17ROCPRIM_400000_NS6detail17trampoline_kernelINS0_14default_configENS1_37merge_sort_block_sort_config_selectorIlNS0_10empty_typeEEEZNS1_21merge_sort_block_sortIS3_PlS8_PS5_S9_ZN2at6native12_GLOBAL__N_124unique_dim_cuda_templateIlEESt5tupleIJNSA_6TensorESF_SF_EERKSF_lbbbEUlllE_EE10hipError_tT0_T1_T2_T3_mRjT4_P12ihipStream_tbNS1_7vsmem_tEEUlT_E_NS1_11comp_targetILNS1_3genE2ELNS1_11target_archE906ELNS1_3gpuE6ELNS1_3repE0EEENS1_30default_config_static_selectorELNS0_4arch9wavefront6targetE1EEEvSM_ ; -- Begin function _ZN7rocprim17ROCPRIM_400000_NS6detail17trampoline_kernelINS0_14default_configENS1_37merge_sort_block_sort_config_selectorIlNS0_10empty_typeEEEZNS1_21merge_sort_block_sortIS3_PlS8_PS5_S9_ZN2at6native12_GLOBAL__N_124unique_dim_cuda_templateIlEESt5tupleIJNSA_6TensorESF_SF_EERKSF_lbbbEUlllE_EE10hipError_tT0_T1_T2_T3_mRjT4_P12ihipStream_tbNS1_7vsmem_tEEUlT_E_NS1_11comp_targetILNS1_3genE2ELNS1_11target_archE906ELNS1_3gpuE6ELNS1_3repE0EEENS1_30default_config_static_selectorELNS0_4arch9wavefront6targetE1EEEvSM_
	.p2align	8
	.type	_ZN7rocprim17ROCPRIM_400000_NS6detail17trampoline_kernelINS0_14default_configENS1_37merge_sort_block_sort_config_selectorIlNS0_10empty_typeEEEZNS1_21merge_sort_block_sortIS3_PlS8_PS5_S9_ZN2at6native12_GLOBAL__N_124unique_dim_cuda_templateIlEESt5tupleIJNSA_6TensorESF_SF_EERKSF_lbbbEUlllE_EE10hipError_tT0_T1_T2_T3_mRjT4_P12ihipStream_tbNS1_7vsmem_tEEUlT_E_NS1_11comp_targetILNS1_3genE2ELNS1_11target_archE906ELNS1_3gpuE6ELNS1_3repE0EEENS1_30default_config_static_selectorELNS0_4arch9wavefront6targetE1EEEvSM_,@function
_ZN7rocprim17ROCPRIM_400000_NS6detail17trampoline_kernelINS0_14default_configENS1_37merge_sort_block_sort_config_selectorIlNS0_10empty_typeEEEZNS1_21merge_sort_block_sortIS3_PlS8_PS5_S9_ZN2at6native12_GLOBAL__N_124unique_dim_cuda_templateIlEESt5tupleIJNSA_6TensorESF_SF_EERKSF_lbbbEUlllE_EE10hipError_tT0_T1_T2_T3_mRjT4_P12ihipStream_tbNS1_7vsmem_tEEUlT_E_NS1_11comp_targetILNS1_3genE2ELNS1_11target_archE906ELNS1_3gpuE6ELNS1_3repE0EEENS1_30default_config_static_selectorELNS0_4arch9wavefront6targetE1EEEvSM_: ; @_ZN7rocprim17ROCPRIM_400000_NS6detail17trampoline_kernelINS0_14default_configENS1_37merge_sort_block_sort_config_selectorIlNS0_10empty_typeEEEZNS1_21merge_sort_block_sortIS3_PlS8_PS5_S9_ZN2at6native12_GLOBAL__N_124unique_dim_cuda_templateIlEESt5tupleIJNSA_6TensorESF_SF_EERKSF_lbbbEUlllE_EE10hipError_tT0_T1_T2_T3_mRjT4_P12ihipStream_tbNS1_7vsmem_tEEUlT_E_NS1_11comp_targetILNS1_3genE2ELNS1_11target_archE906ELNS1_3gpuE6ELNS1_3repE0EEENS1_30default_config_static_selectorELNS0_4arch9wavefront6targetE1EEEvSM_
; %bb.0:
	.section	.rodata,"a",@progbits
	.p2align	6, 0x0
	.amdhsa_kernel _ZN7rocprim17ROCPRIM_400000_NS6detail17trampoline_kernelINS0_14default_configENS1_37merge_sort_block_sort_config_selectorIlNS0_10empty_typeEEEZNS1_21merge_sort_block_sortIS3_PlS8_PS5_S9_ZN2at6native12_GLOBAL__N_124unique_dim_cuda_templateIlEESt5tupleIJNSA_6TensorESF_SF_EERKSF_lbbbEUlllE_EE10hipError_tT0_T1_T2_T3_mRjT4_P12ihipStream_tbNS1_7vsmem_tEEUlT_E_NS1_11comp_targetILNS1_3genE2ELNS1_11target_archE906ELNS1_3gpuE6ELNS1_3repE0EEENS1_30default_config_static_selectorELNS0_4arch9wavefront6targetE1EEEvSM_
		.amdhsa_group_segment_fixed_size 0
		.amdhsa_private_segment_fixed_size 0
		.amdhsa_kernarg_size 72
		.amdhsa_user_sgpr_count 2
		.amdhsa_user_sgpr_dispatch_ptr 0
		.amdhsa_user_sgpr_queue_ptr 0
		.amdhsa_user_sgpr_kernarg_segment_ptr 1
		.amdhsa_user_sgpr_dispatch_id 0
		.amdhsa_user_sgpr_kernarg_preload_length 0
		.amdhsa_user_sgpr_kernarg_preload_offset 0
		.amdhsa_user_sgpr_private_segment_size 0
		.amdhsa_uses_dynamic_stack 0
		.amdhsa_enable_private_segment 0
		.amdhsa_system_sgpr_workgroup_id_x 1
		.amdhsa_system_sgpr_workgroup_id_y 0
		.amdhsa_system_sgpr_workgroup_id_z 0
		.amdhsa_system_sgpr_workgroup_info 0
		.amdhsa_system_vgpr_workitem_id 0
		.amdhsa_next_free_vgpr 1
		.amdhsa_next_free_sgpr 0
		.amdhsa_accum_offset 4
		.amdhsa_reserve_vcc 0
		.amdhsa_float_round_mode_32 0
		.amdhsa_float_round_mode_16_64 0
		.amdhsa_float_denorm_mode_32 3
		.amdhsa_float_denorm_mode_16_64 3
		.amdhsa_dx10_clamp 1
		.amdhsa_ieee_mode 1
		.amdhsa_fp16_overflow 0
		.amdhsa_tg_split 0
		.amdhsa_exception_fp_ieee_invalid_op 0
		.amdhsa_exception_fp_denorm_src 0
		.amdhsa_exception_fp_ieee_div_zero 0
		.amdhsa_exception_fp_ieee_overflow 0
		.amdhsa_exception_fp_ieee_underflow 0
		.amdhsa_exception_fp_ieee_inexact 0
		.amdhsa_exception_int_div_zero 0
	.end_amdhsa_kernel
	.section	.text._ZN7rocprim17ROCPRIM_400000_NS6detail17trampoline_kernelINS0_14default_configENS1_37merge_sort_block_sort_config_selectorIlNS0_10empty_typeEEEZNS1_21merge_sort_block_sortIS3_PlS8_PS5_S9_ZN2at6native12_GLOBAL__N_124unique_dim_cuda_templateIlEESt5tupleIJNSA_6TensorESF_SF_EERKSF_lbbbEUlllE_EE10hipError_tT0_T1_T2_T3_mRjT4_P12ihipStream_tbNS1_7vsmem_tEEUlT_E_NS1_11comp_targetILNS1_3genE2ELNS1_11target_archE906ELNS1_3gpuE6ELNS1_3repE0EEENS1_30default_config_static_selectorELNS0_4arch9wavefront6targetE1EEEvSM_,"axG",@progbits,_ZN7rocprim17ROCPRIM_400000_NS6detail17trampoline_kernelINS0_14default_configENS1_37merge_sort_block_sort_config_selectorIlNS0_10empty_typeEEEZNS1_21merge_sort_block_sortIS3_PlS8_PS5_S9_ZN2at6native12_GLOBAL__N_124unique_dim_cuda_templateIlEESt5tupleIJNSA_6TensorESF_SF_EERKSF_lbbbEUlllE_EE10hipError_tT0_T1_T2_T3_mRjT4_P12ihipStream_tbNS1_7vsmem_tEEUlT_E_NS1_11comp_targetILNS1_3genE2ELNS1_11target_archE906ELNS1_3gpuE6ELNS1_3repE0EEENS1_30default_config_static_selectorELNS0_4arch9wavefront6targetE1EEEvSM_,comdat
.Lfunc_end509:
	.size	_ZN7rocprim17ROCPRIM_400000_NS6detail17trampoline_kernelINS0_14default_configENS1_37merge_sort_block_sort_config_selectorIlNS0_10empty_typeEEEZNS1_21merge_sort_block_sortIS3_PlS8_PS5_S9_ZN2at6native12_GLOBAL__N_124unique_dim_cuda_templateIlEESt5tupleIJNSA_6TensorESF_SF_EERKSF_lbbbEUlllE_EE10hipError_tT0_T1_T2_T3_mRjT4_P12ihipStream_tbNS1_7vsmem_tEEUlT_E_NS1_11comp_targetILNS1_3genE2ELNS1_11target_archE906ELNS1_3gpuE6ELNS1_3repE0EEENS1_30default_config_static_selectorELNS0_4arch9wavefront6targetE1EEEvSM_, .Lfunc_end509-_ZN7rocprim17ROCPRIM_400000_NS6detail17trampoline_kernelINS0_14default_configENS1_37merge_sort_block_sort_config_selectorIlNS0_10empty_typeEEEZNS1_21merge_sort_block_sortIS3_PlS8_PS5_S9_ZN2at6native12_GLOBAL__N_124unique_dim_cuda_templateIlEESt5tupleIJNSA_6TensorESF_SF_EERKSF_lbbbEUlllE_EE10hipError_tT0_T1_T2_T3_mRjT4_P12ihipStream_tbNS1_7vsmem_tEEUlT_E_NS1_11comp_targetILNS1_3genE2ELNS1_11target_archE906ELNS1_3gpuE6ELNS1_3repE0EEENS1_30default_config_static_selectorELNS0_4arch9wavefront6targetE1EEEvSM_
                                        ; -- End function
	.set _ZN7rocprim17ROCPRIM_400000_NS6detail17trampoline_kernelINS0_14default_configENS1_37merge_sort_block_sort_config_selectorIlNS0_10empty_typeEEEZNS1_21merge_sort_block_sortIS3_PlS8_PS5_S9_ZN2at6native12_GLOBAL__N_124unique_dim_cuda_templateIlEESt5tupleIJNSA_6TensorESF_SF_EERKSF_lbbbEUlllE_EE10hipError_tT0_T1_T2_T3_mRjT4_P12ihipStream_tbNS1_7vsmem_tEEUlT_E_NS1_11comp_targetILNS1_3genE2ELNS1_11target_archE906ELNS1_3gpuE6ELNS1_3repE0EEENS1_30default_config_static_selectorELNS0_4arch9wavefront6targetE1EEEvSM_.num_vgpr, 0
	.set _ZN7rocprim17ROCPRIM_400000_NS6detail17trampoline_kernelINS0_14default_configENS1_37merge_sort_block_sort_config_selectorIlNS0_10empty_typeEEEZNS1_21merge_sort_block_sortIS3_PlS8_PS5_S9_ZN2at6native12_GLOBAL__N_124unique_dim_cuda_templateIlEESt5tupleIJNSA_6TensorESF_SF_EERKSF_lbbbEUlllE_EE10hipError_tT0_T1_T2_T3_mRjT4_P12ihipStream_tbNS1_7vsmem_tEEUlT_E_NS1_11comp_targetILNS1_3genE2ELNS1_11target_archE906ELNS1_3gpuE6ELNS1_3repE0EEENS1_30default_config_static_selectorELNS0_4arch9wavefront6targetE1EEEvSM_.num_agpr, 0
	.set _ZN7rocprim17ROCPRIM_400000_NS6detail17trampoline_kernelINS0_14default_configENS1_37merge_sort_block_sort_config_selectorIlNS0_10empty_typeEEEZNS1_21merge_sort_block_sortIS3_PlS8_PS5_S9_ZN2at6native12_GLOBAL__N_124unique_dim_cuda_templateIlEESt5tupleIJNSA_6TensorESF_SF_EERKSF_lbbbEUlllE_EE10hipError_tT0_T1_T2_T3_mRjT4_P12ihipStream_tbNS1_7vsmem_tEEUlT_E_NS1_11comp_targetILNS1_3genE2ELNS1_11target_archE906ELNS1_3gpuE6ELNS1_3repE0EEENS1_30default_config_static_selectorELNS0_4arch9wavefront6targetE1EEEvSM_.numbered_sgpr, 0
	.set _ZN7rocprim17ROCPRIM_400000_NS6detail17trampoline_kernelINS0_14default_configENS1_37merge_sort_block_sort_config_selectorIlNS0_10empty_typeEEEZNS1_21merge_sort_block_sortIS3_PlS8_PS5_S9_ZN2at6native12_GLOBAL__N_124unique_dim_cuda_templateIlEESt5tupleIJNSA_6TensorESF_SF_EERKSF_lbbbEUlllE_EE10hipError_tT0_T1_T2_T3_mRjT4_P12ihipStream_tbNS1_7vsmem_tEEUlT_E_NS1_11comp_targetILNS1_3genE2ELNS1_11target_archE906ELNS1_3gpuE6ELNS1_3repE0EEENS1_30default_config_static_selectorELNS0_4arch9wavefront6targetE1EEEvSM_.num_named_barrier, 0
	.set _ZN7rocprim17ROCPRIM_400000_NS6detail17trampoline_kernelINS0_14default_configENS1_37merge_sort_block_sort_config_selectorIlNS0_10empty_typeEEEZNS1_21merge_sort_block_sortIS3_PlS8_PS5_S9_ZN2at6native12_GLOBAL__N_124unique_dim_cuda_templateIlEESt5tupleIJNSA_6TensorESF_SF_EERKSF_lbbbEUlllE_EE10hipError_tT0_T1_T2_T3_mRjT4_P12ihipStream_tbNS1_7vsmem_tEEUlT_E_NS1_11comp_targetILNS1_3genE2ELNS1_11target_archE906ELNS1_3gpuE6ELNS1_3repE0EEENS1_30default_config_static_selectorELNS0_4arch9wavefront6targetE1EEEvSM_.private_seg_size, 0
	.set _ZN7rocprim17ROCPRIM_400000_NS6detail17trampoline_kernelINS0_14default_configENS1_37merge_sort_block_sort_config_selectorIlNS0_10empty_typeEEEZNS1_21merge_sort_block_sortIS3_PlS8_PS5_S9_ZN2at6native12_GLOBAL__N_124unique_dim_cuda_templateIlEESt5tupleIJNSA_6TensorESF_SF_EERKSF_lbbbEUlllE_EE10hipError_tT0_T1_T2_T3_mRjT4_P12ihipStream_tbNS1_7vsmem_tEEUlT_E_NS1_11comp_targetILNS1_3genE2ELNS1_11target_archE906ELNS1_3gpuE6ELNS1_3repE0EEENS1_30default_config_static_selectorELNS0_4arch9wavefront6targetE1EEEvSM_.uses_vcc, 0
	.set _ZN7rocprim17ROCPRIM_400000_NS6detail17trampoline_kernelINS0_14default_configENS1_37merge_sort_block_sort_config_selectorIlNS0_10empty_typeEEEZNS1_21merge_sort_block_sortIS3_PlS8_PS5_S9_ZN2at6native12_GLOBAL__N_124unique_dim_cuda_templateIlEESt5tupleIJNSA_6TensorESF_SF_EERKSF_lbbbEUlllE_EE10hipError_tT0_T1_T2_T3_mRjT4_P12ihipStream_tbNS1_7vsmem_tEEUlT_E_NS1_11comp_targetILNS1_3genE2ELNS1_11target_archE906ELNS1_3gpuE6ELNS1_3repE0EEENS1_30default_config_static_selectorELNS0_4arch9wavefront6targetE1EEEvSM_.uses_flat_scratch, 0
	.set _ZN7rocprim17ROCPRIM_400000_NS6detail17trampoline_kernelINS0_14default_configENS1_37merge_sort_block_sort_config_selectorIlNS0_10empty_typeEEEZNS1_21merge_sort_block_sortIS3_PlS8_PS5_S9_ZN2at6native12_GLOBAL__N_124unique_dim_cuda_templateIlEESt5tupleIJNSA_6TensorESF_SF_EERKSF_lbbbEUlllE_EE10hipError_tT0_T1_T2_T3_mRjT4_P12ihipStream_tbNS1_7vsmem_tEEUlT_E_NS1_11comp_targetILNS1_3genE2ELNS1_11target_archE906ELNS1_3gpuE6ELNS1_3repE0EEENS1_30default_config_static_selectorELNS0_4arch9wavefront6targetE1EEEvSM_.has_dyn_sized_stack, 0
	.set _ZN7rocprim17ROCPRIM_400000_NS6detail17trampoline_kernelINS0_14default_configENS1_37merge_sort_block_sort_config_selectorIlNS0_10empty_typeEEEZNS1_21merge_sort_block_sortIS3_PlS8_PS5_S9_ZN2at6native12_GLOBAL__N_124unique_dim_cuda_templateIlEESt5tupleIJNSA_6TensorESF_SF_EERKSF_lbbbEUlllE_EE10hipError_tT0_T1_T2_T3_mRjT4_P12ihipStream_tbNS1_7vsmem_tEEUlT_E_NS1_11comp_targetILNS1_3genE2ELNS1_11target_archE906ELNS1_3gpuE6ELNS1_3repE0EEENS1_30default_config_static_selectorELNS0_4arch9wavefront6targetE1EEEvSM_.has_recursion, 0
	.set _ZN7rocprim17ROCPRIM_400000_NS6detail17trampoline_kernelINS0_14default_configENS1_37merge_sort_block_sort_config_selectorIlNS0_10empty_typeEEEZNS1_21merge_sort_block_sortIS3_PlS8_PS5_S9_ZN2at6native12_GLOBAL__N_124unique_dim_cuda_templateIlEESt5tupleIJNSA_6TensorESF_SF_EERKSF_lbbbEUlllE_EE10hipError_tT0_T1_T2_T3_mRjT4_P12ihipStream_tbNS1_7vsmem_tEEUlT_E_NS1_11comp_targetILNS1_3genE2ELNS1_11target_archE906ELNS1_3gpuE6ELNS1_3repE0EEENS1_30default_config_static_selectorELNS0_4arch9wavefront6targetE1EEEvSM_.has_indirect_call, 0
	.section	.AMDGPU.csdata,"",@progbits
; Kernel info:
; codeLenInByte = 0
; TotalNumSgprs: 6
; NumVgprs: 0
; NumAgprs: 0
; TotalNumVgprs: 0
; ScratchSize: 0
; MemoryBound: 0
; FloatMode: 240
; IeeeMode: 1
; LDSByteSize: 0 bytes/workgroup (compile time only)
; SGPRBlocks: 0
; VGPRBlocks: 0
; NumSGPRsForWavesPerEU: 6
; NumVGPRsForWavesPerEU: 1
; AccumOffset: 4
; Occupancy: 8
; WaveLimiterHint : 0
; COMPUTE_PGM_RSRC2:SCRATCH_EN: 0
; COMPUTE_PGM_RSRC2:USER_SGPR: 2
; COMPUTE_PGM_RSRC2:TRAP_HANDLER: 0
; COMPUTE_PGM_RSRC2:TGID_X_EN: 1
; COMPUTE_PGM_RSRC2:TGID_Y_EN: 0
; COMPUTE_PGM_RSRC2:TGID_Z_EN: 0
; COMPUTE_PGM_RSRC2:TIDIG_COMP_CNT: 0
; COMPUTE_PGM_RSRC3_GFX90A:ACCUM_OFFSET: 0
; COMPUTE_PGM_RSRC3_GFX90A:TG_SPLIT: 0
	.section	.text._ZN7rocprim17ROCPRIM_400000_NS6detail17trampoline_kernelINS0_14default_configENS1_37merge_sort_block_sort_config_selectorIlNS0_10empty_typeEEEZNS1_21merge_sort_block_sortIS3_PlS8_PS5_S9_ZN2at6native12_GLOBAL__N_124unique_dim_cuda_templateIlEESt5tupleIJNSA_6TensorESF_SF_EERKSF_lbbbEUlllE_EE10hipError_tT0_T1_T2_T3_mRjT4_P12ihipStream_tbNS1_7vsmem_tEEUlT_E_NS1_11comp_targetILNS1_3genE10ELNS1_11target_archE1201ELNS1_3gpuE5ELNS1_3repE0EEENS1_30default_config_static_selectorELNS0_4arch9wavefront6targetE1EEEvSM_,"axG",@progbits,_ZN7rocprim17ROCPRIM_400000_NS6detail17trampoline_kernelINS0_14default_configENS1_37merge_sort_block_sort_config_selectorIlNS0_10empty_typeEEEZNS1_21merge_sort_block_sortIS3_PlS8_PS5_S9_ZN2at6native12_GLOBAL__N_124unique_dim_cuda_templateIlEESt5tupleIJNSA_6TensorESF_SF_EERKSF_lbbbEUlllE_EE10hipError_tT0_T1_T2_T3_mRjT4_P12ihipStream_tbNS1_7vsmem_tEEUlT_E_NS1_11comp_targetILNS1_3genE10ELNS1_11target_archE1201ELNS1_3gpuE5ELNS1_3repE0EEENS1_30default_config_static_selectorELNS0_4arch9wavefront6targetE1EEEvSM_,comdat
	.globl	_ZN7rocprim17ROCPRIM_400000_NS6detail17trampoline_kernelINS0_14default_configENS1_37merge_sort_block_sort_config_selectorIlNS0_10empty_typeEEEZNS1_21merge_sort_block_sortIS3_PlS8_PS5_S9_ZN2at6native12_GLOBAL__N_124unique_dim_cuda_templateIlEESt5tupleIJNSA_6TensorESF_SF_EERKSF_lbbbEUlllE_EE10hipError_tT0_T1_T2_T3_mRjT4_P12ihipStream_tbNS1_7vsmem_tEEUlT_E_NS1_11comp_targetILNS1_3genE10ELNS1_11target_archE1201ELNS1_3gpuE5ELNS1_3repE0EEENS1_30default_config_static_selectorELNS0_4arch9wavefront6targetE1EEEvSM_ ; -- Begin function _ZN7rocprim17ROCPRIM_400000_NS6detail17trampoline_kernelINS0_14default_configENS1_37merge_sort_block_sort_config_selectorIlNS0_10empty_typeEEEZNS1_21merge_sort_block_sortIS3_PlS8_PS5_S9_ZN2at6native12_GLOBAL__N_124unique_dim_cuda_templateIlEESt5tupleIJNSA_6TensorESF_SF_EERKSF_lbbbEUlllE_EE10hipError_tT0_T1_T2_T3_mRjT4_P12ihipStream_tbNS1_7vsmem_tEEUlT_E_NS1_11comp_targetILNS1_3genE10ELNS1_11target_archE1201ELNS1_3gpuE5ELNS1_3repE0EEENS1_30default_config_static_selectorELNS0_4arch9wavefront6targetE1EEEvSM_
	.p2align	8
	.type	_ZN7rocprim17ROCPRIM_400000_NS6detail17trampoline_kernelINS0_14default_configENS1_37merge_sort_block_sort_config_selectorIlNS0_10empty_typeEEEZNS1_21merge_sort_block_sortIS3_PlS8_PS5_S9_ZN2at6native12_GLOBAL__N_124unique_dim_cuda_templateIlEESt5tupleIJNSA_6TensorESF_SF_EERKSF_lbbbEUlllE_EE10hipError_tT0_T1_T2_T3_mRjT4_P12ihipStream_tbNS1_7vsmem_tEEUlT_E_NS1_11comp_targetILNS1_3genE10ELNS1_11target_archE1201ELNS1_3gpuE5ELNS1_3repE0EEENS1_30default_config_static_selectorELNS0_4arch9wavefront6targetE1EEEvSM_,@function
_ZN7rocprim17ROCPRIM_400000_NS6detail17trampoline_kernelINS0_14default_configENS1_37merge_sort_block_sort_config_selectorIlNS0_10empty_typeEEEZNS1_21merge_sort_block_sortIS3_PlS8_PS5_S9_ZN2at6native12_GLOBAL__N_124unique_dim_cuda_templateIlEESt5tupleIJNSA_6TensorESF_SF_EERKSF_lbbbEUlllE_EE10hipError_tT0_T1_T2_T3_mRjT4_P12ihipStream_tbNS1_7vsmem_tEEUlT_E_NS1_11comp_targetILNS1_3genE10ELNS1_11target_archE1201ELNS1_3gpuE5ELNS1_3repE0EEENS1_30default_config_static_selectorELNS0_4arch9wavefront6targetE1EEEvSM_: ; @_ZN7rocprim17ROCPRIM_400000_NS6detail17trampoline_kernelINS0_14default_configENS1_37merge_sort_block_sort_config_selectorIlNS0_10empty_typeEEEZNS1_21merge_sort_block_sortIS3_PlS8_PS5_S9_ZN2at6native12_GLOBAL__N_124unique_dim_cuda_templateIlEESt5tupleIJNSA_6TensorESF_SF_EERKSF_lbbbEUlllE_EE10hipError_tT0_T1_T2_T3_mRjT4_P12ihipStream_tbNS1_7vsmem_tEEUlT_E_NS1_11comp_targetILNS1_3genE10ELNS1_11target_archE1201ELNS1_3gpuE5ELNS1_3repE0EEENS1_30default_config_static_selectorELNS0_4arch9wavefront6targetE1EEEvSM_
; %bb.0:
	.section	.rodata,"a",@progbits
	.p2align	6, 0x0
	.amdhsa_kernel _ZN7rocprim17ROCPRIM_400000_NS6detail17trampoline_kernelINS0_14default_configENS1_37merge_sort_block_sort_config_selectorIlNS0_10empty_typeEEEZNS1_21merge_sort_block_sortIS3_PlS8_PS5_S9_ZN2at6native12_GLOBAL__N_124unique_dim_cuda_templateIlEESt5tupleIJNSA_6TensorESF_SF_EERKSF_lbbbEUlllE_EE10hipError_tT0_T1_T2_T3_mRjT4_P12ihipStream_tbNS1_7vsmem_tEEUlT_E_NS1_11comp_targetILNS1_3genE10ELNS1_11target_archE1201ELNS1_3gpuE5ELNS1_3repE0EEENS1_30default_config_static_selectorELNS0_4arch9wavefront6targetE1EEEvSM_
		.amdhsa_group_segment_fixed_size 0
		.amdhsa_private_segment_fixed_size 0
		.amdhsa_kernarg_size 72
		.amdhsa_user_sgpr_count 2
		.amdhsa_user_sgpr_dispatch_ptr 0
		.amdhsa_user_sgpr_queue_ptr 0
		.amdhsa_user_sgpr_kernarg_segment_ptr 1
		.amdhsa_user_sgpr_dispatch_id 0
		.amdhsa_user_sgpr_kernarg_preload_length 0
		.amdhsa_user_sgpr_kernarg_preload_offset 0
		.amdhsa_user_sgpr_private_segment_size 0
		.amdhsa_uses_dynamic_stack 0
		.amdhsa_enable_private_segment 0
		.amdhsa_system_sgpr_workgroup_id_x 1
		.amdhsa_system_sgpr_workgroup_id_y 0
		.amdhsa_system_sgpr_workgroup_id_z 0
		.amdhsa_system_sgpr_workgroup_info 0
		.amdhsa_system_vgpr_workitem_id 0
		.amdhsa_next_free_vgpr 1
		.amdhsa_next_free_sgpr 0
		.amdhsa_accum_offset 4
		.amdhsa_reserve_vcc 0
		.amdhsa_float_round_mode_32 0
		.amdhsa_float_round_mode_16_64 0
		.amdhsa_float_denorm_mode_32 3
		.amdhsa_float_denorm_mode_16_64 3
		.amdhsa_dx10_clamp 1
		.amdhsa_ieee_mode 1
		.amdhsa_fp16_overflow 0
		.amdhsa_tg_split 0
		.amdhsa_exception_fp_ieee_invalid_op 0
		.amdhsa_exception_fp_denorm_src 0
		.amdhsa_exception_fp_ieee_div_zero 0
		.amdhsa_exception_fp_ieee_overflow 0
		.amdhsa_exception_fp_ieee_underflow 0
		.amdhsa_exception_fp_ieee_inexact 0
		.amdhsa_exception_int_div_zero 0
	.end_amdhsa_kernel
	.section	.text._ZN7rocprim17ROCPRIM_400000_NS6detail17trampoline_kernelINS0_14default_configENS1_37merge_sort_block_sort_config_selectorIlNS0_10empty_typeEEEZNS1_21merge_sort_block_sortIS3_PlS8_PS5_S9_ZN2at6native12_GLOBAL__N_124unique_dim_cuda_templateIlEESt5tupleIJNSA_6TensorESF_SF_EERKSF_lbbbEUlllE_EE10hipError_tT0_T1_T2_T3_mRjT4_P12ihipStream_tbNS1_7vsmem_tEEUlT_E_NS1_11comp_targetILNS1_3genE10ELNS1_11target_archE1201ELNS1_3gpuE5ELNS1_3repE0EEENS1_30default_config_static_selectorELNS0_4arch9wavefront6targetE1EEEvSM_,"axG",@progbits,_ZN7rocprim17ROCPRIM_400000_NS6detail17trampoline_kernelINS0_14default_configENS1_37merge_sort_block_sort_config_selectorIlNS0_10empty_typeEEEZNS1_21merge_sort_block_sortIS3_PlS8_PS5_S9_ZN2at6native12_GLOBAL__N_124unique_dim_cuda_templateIlEESt5tupleIJNSA_6TensorESF_SF_EERKSF_lbbbEUlllE_EE10hipError_tT0_T1_T2_T3_mRjT4_P12ihipStream_tbNS1_7vsmem_tEEUlT_E_NS1_11comp_targetILNS1_3genE10ELNS1_11target_archE1201ELNS1_3gpuE5ELNS1_3repE0EEENS1_30default_config_static_selectorELNS0_4arch9wavefront6targetE1EEEvSM_,comdat
.Lfunc_end510:
	.size	_ZN7rocprim17ROCPRIM_400000_NS6detail17trampoline_kernelINS0_14default_configENS1_37merge_sort_block_sort_config_selectorIlNS0_10empty_typeEEEZNS1_21merge_sort_block_sortIS3_PlS8_PS5_S9_ZN2at6native12_GLOBAL__N_124unique_dim_cuda_templateIlEESt5tupleIJNSA_6TensorESF_SF_EERKSF_lbbbEUlllE_EE10hipError_tT0_T1_T2_T3_mRjT4_P12ihipStream_tbNS1_7vsmem_tEEUlT_E_NS1_11comp_targetILNS1_3genE10ELNS1_11target_archE1201ELNS1_3gpuE5ELNS1_3repE0EEENS1_30default_config_static_selectorELNS0_4arch9wavefront6targetE1EEEvSM_, .Lfunc_end510-_ZN7rocprim17ROCPRIM_400000_NS6detail17trampoline_kernelINS0_14default_configENS1_37merge_sort_block_sort_config_selectorIlNS0_10empty_typeEEEZNS1_21merge_sort_block_sortIS3_PlS8_PS5_S9_ZN2at6native12_GLOBAL__N_124unique_dim_cuda_templateIlEESt5tupleIJNSA_6TensorESF_SF_EERKSF_lbbbEUlllE_EE10hipError_tT0_T1_T2_T3_mRjT4_P12ihipStream_tbNS1_7vsmem_tEEUlT_E_NS1_11comp_targetILNS1_3genE10ELNS1_11target_archE1201ELNS1_3gpuE5ELNS1_3repE0EEENS1_30default_config_static_selectorELNS0_4arch9wavefront6targetE1EEEvSM_
                                        ; -- End function
	.set _ZN7rocprim17ROCPRIM_400000_NS6detail17trampoline_kernelINS0_14default_configENS1_37merge_sort_block_sort_config_selectorIlNS0_10empty_typeEEEZNS1_21merge_sort_block_sortIS3_PlS8_PS5_S9_ZN2at6native12_GLOBAL__N_124unique_dim_cuda_templateIlEESt5tupleIJNSA_6TensorESF_SF_EERKSF_lbbbEUlllE_EE10hipError_tT0_T1_T2_T3_mRjT4_P12ihipStream_tbNS1_7vsmem_tEEUlT_E_NS1_11comp_targetILNS1_3genE10ELNS1_11target_archE1201ELNS1_3gpuE5ELNS1_3repE0EEENS1_30default_config_static_selectorELNS0_4arch9wavefront6targetE1EEEvSM_.num_vgpr, 0
	.set _ZN7rocprim17ROCPRIM_400000_NS6detail17trampoline_kernelINS0_14default_configENS1_37merge_sort_block_sort_config_selectorIlNS0_10empty_typeEEEZNS1_21merge_sort_block_sortIS3_PlS8_PS5_S9_ZN2at6native12_GLOBAL__N_124unique_dim_cuda_templateIlEESt5tupleIJNSA_6TensorESF_SF_EERKSF_lbbbEUlllE_EE10hipError_tT0_T1_T2_T3_mRjT4_P12ihipStream_tbNS1_7vsmem_tEEUlT_E_NS1_11comp_targetILNS1_3genE10ELNS1_11target_archE1201ELNS1_3gpuE5ELNS1_3repE0EEENS1_30default_config_static_selectorELNS0_4arch9wavefront6targetE1EEEvSM_.num_agpr, 0
	.set _ZN7rocprim17ROCPRIM_400000_NS6detail17trampoline_kernelINS0_14default_configENS1_37merge_sort_block_sort_config_selectorIlNS0_10empty_typeEEEZNS1_21merge_sort_block_sortIS3_PlS8_PS5_S9_ZN2at6native12_GLOBAL__N_124unique_dim_cuda_templateIlEESt5tupleIJNSA_6TensorESF_SF_EERKSF_lbbbEUlllE_EE10hipError_tT0_T1_T2_T3_mRjT4_P12ihipStream_tbNS1_7vsmem_tEEUlT_E_NS1_11comp_targetILNS1_3genE10ELNS1_11target_archE1201ELNS1_3gpuE5ELNS1_3repE0EEENS1_30default_config_static_selectorELNS0_4arch9wavefront6targetE1EEEvSM_.numbered_sgpr, 0
	.set _ZN7rocprim17ROCPRIM_400000_NS6detail17trampoline_kernelINS0_14default_configENS1_37merge_sort_block_sort_config_selectorIlNS0_10empty_typeEEEZNS1_21merge_sort_block_sortIS3_PlS8_PS5_S9_ZN2at6native12_GLOBAL__N_124unique_dim_cuda_templateIlEESt5tupleIJNSA_6TensorESF_SF_EERKSF_lbbbEUlllE_EE10hipError_tT0_T1_T2_T3_mRjT4_P12ihipStream_tbNS1_7vsmem_tEEUlT_E_NS1_11comp_targetILNS1_3genE10ELNS1_11target_archE1201ELNS1_3gpuE5ELNS1_3repE0EEENS1_30default_config_static_selectorELNS0_4arch9wavefront6targetE1EEEvSM_.num_named_barrier, 0
	.set _ZN7rocprim17ROCPRIM_400000_NS6detail17trampoline_kernelINS0_14default_configENS1_37merge_sort_block_sort_config_selectorIlNS0_10empty_typeEEEZNS1_21merge_sort_block_sortIS3_PlS8_PS5_S9_ZN2at6native12_GLOBAL__N_124unique_dim_cuda_templateIlEESt5tupleIJNSA_6TensorESF_SF_EERKSF_lbbbEUlllE_EE10hipError_tT0_T1_T2_T3_mRjT4_P12ihipStream_tbNS1_7vsmem_tEEUlT_E_NS1_11comp_targetILNS1_3genE10ELNS1_11target_archE1201ELNS1_3gpuE5ELNS1_3repE0EEENS1_30default_config_static_selectorELNS0_4arch9wavefront6targetE1EEEvSM_.private_seg_size, 0
	.set _ZN7rocprim17ROCPRIM_400000_NS6detail17trampoline_kernelINS0_14default_configENS1_37merge_sort_block_sort_config_selectorIlNS0_10empty_typeEEEZNS1_21merge_sort_block_sortIS3_PlS8_PS5_S9_ZN2at6native12_GLOBAL__N_124unique_dim_cuda_templateIlEESt5tupleIJNSA_6TensorESF_SF_EERKSF_lbbbEUlllE_EE10hipError_tT0_T1_T2_T3_mRjT4_P12ihipStream_tbNS1_7vsmem_tEEUlT_E_NS1_11comp_targetILNS1_3genE10ELNS1_11target_archE1201ELNS1_3gpuE5ELNS1_3repE0EEENS1_30default_config_static_selectorELNS0_4arch9wavefront6targetE1EEEvSM_.uses_vcc, 0
	.set _ZN7rocprim17ROCPRIM_400000_NS6detail17trampoline_kernelINS0_14default_configENS1_37merge_sort_block_sort_config_selectorIlNS0_10empty_typeEEEZNS1_21merge_sort_block_sortIS3_PlS8_PS5_S9_ZN2at6native12_GLOBAL__N_124unique_dim_cuda_templateIlEESt5tupleIJNSA_6TensorESF_SF_EERKSF_lbbbEUlllE_EE10hipError_tT0_T1_T2_T3_mRjT4_P12ihipStream_tbNS1_7vsmem_tEEUlT_E_NS1_11comp_targetILNS1_3genE10ELNS1_11target_archE1201ELNS1_3gpuE5ELNS1_3repE0EEENS1_30default_config_static_selectorELNS0_4arch9wavefront6targetE1EEEvSM_.uses_flat_scratch, 0
	.set _ZN7rocprim17ROCPRIM_400000_NS6detail17trampoline_kernelINS0_14default_configENS1_37merge_sort_block_sort_config_selectorIlNS0_10empty_typeEEEZNS1_21merge_sort_block_sortIS3_PlS8_PS5_S9_ZN2at6native12_GLOBAL__N_124unique_dim_cuda_templateIlEESt5tupleIJNSA_6TensorESF_SF_EERKSF_lbbbEUlllE_EE10hipError_tT0_T1_T2_T3_mRjT4_P12ihipStream_tbNS1_7vsmem_tEEUlT_E_NS1_11comp_targetILNS1_3genE10ELNS1_11target_archE1201ELNS1_3gpuE5ELNS1_3repE0EEENS1_30default_config_static_selectorELNS0_4arch9wavefront6targetE1EEEvSM_.has_dyn_sized_stack, 0
	.set _ZN7rocprim17ROCPRIM_400000_NS6detail17trampoline_kernelINS0_14default_configENS1_37merge_sort_block_sort_config_selectorIlNS0_10empty_typeEEEZNS1_21merge_sort_block_sortIS3_PlS8_PS5_S9_ZN2at6native12_GLOBAL__N_124unique_dim_cuda_templateIlEESt5tupleIJNSA_6TensorESF_SF_EERKSF_lbbbEUlllE_EE10hipError_tT0_T1_T2_T3_mRjT4_P12ihipStream_tbNS1_7vsmem_tEEUlT_E_NS1_11comp_targetILNS1_3genE10ELNS1_11target_archE1201ELNS1_3gpuE5ELNS1_3repE0EEENS1_30default_config_static_selectorELNS0_4arch9wavefront6targetE1EEEvSM_.has_recursion, 0
	.set _ZN7rocprim17ROCPRIM_400000_NS6detail17trampoline_kernelINS0_14default_configENS1_37merge_sort_block_sort_config_selectorIlNS0_10empty_typeEEEZNS1_21merge_sort_block_sortIS3_PlS8_PS5_S9_ZN2at6native12_GLOBAL__N_124unique_dim_cuda_templateIlEESt5tupleIJNSA_6TensorESF_SF_EERKSF_lbbbEUlllE_EE10hipError_tT0_T1_T2_T3_mRjT4_P12ihipStream_tbNS1_7vsmem_tEEUlT_E_NS1_11comp_targetILNS1_3genE10ELNS1_11target_archE1201ELNS1_3gpuE5ELNS1_3repE0EEENS1_30default_config_static_selectorELNS0_4arch9wavefront6targetE1EEEvSM_.has_indirect_call, 0
	.section	.AMDGPU.csdata,"",@progbits
; Kernel info:
; codeLenInByte = 0
; TotalNumSgprs: 6
; NumVgprs: 0
; NumAgprs: 0
; TotalNumVgprs: 0
; ScratchSize: 0
; MemoryBound: 0
; FloatMode: 240
; IeeeMode: 1
; LDSByteSize: 0 bytes/workgroup (compile time only)
; SGPRBlocks: 0
; VGPRBlocks: 0
; NumSGPRsForWavesPerEU: 6
; NumVGPRsForWavesPerEU: 1
; AccumOffset: 4
; Occupancy: 8
; WaveLimiterHint : 0
; COMPUTE_PGM_RSRC2:SCRATCH_EN: 0
; COMPUTE_PGM_RSRC2:USER_SGPR: 2
; COMPUTE_PGM_RSRC2:TRAP_HANDLER: 0
; COMPUTE_PGM_RSRC2:TGID_X_EN: 1
; COMPUTE_PGM_RSRC2:TGID_Y_EN: 0
; COMPUTE_PGM_RSRC2:TGID_Z_EN: 0
; COMPUTE_PGM_RSRC2:TIDIG_COMP_CNT: 0
; COMPUTE_PGM_RSRC3_GFX90A:ACCUM_OFFSET: 0
; COMPUTE_PGM_RSRC3_GFX90A:TG_SPLIT: 0
	.section	.text._ZN7rocprim17ROCPRIM_400000_NS6detail17trampoline_kernelINS0_14default_configENS1_37merge_sort_block_sort_config_selectorIlNS0_10empty_typeEEEZNS1_21merge_sort_block_sortIS3_PlS8_PS5_S9_ZN2at6native12_GLOBAL__N_124unique_dim_cuda_templateIlEESt5tupleIJNSA_6TensorESF_SF_EERKSF_lbbbEUlllE_EE10hipError_tT0_T1_T2_T3_mRjT4_P12ihipStream_tbNS1_7vsmem_tEEUlT_E_NS1_11comp_targetILNS1_3genE10ELNS1_11target_archE1200ELNS1_3gpuE4ELNS1_3repE0EEENS1_30default_config_static_selectorELNS0_4arch9wavefront6targetE1EEEvSM_,"axG",@progbits,_ZN7rocprim17ROCPRIM_400000_NS6detail17trampoline_kernelINS0_14default_configENS1_37merge_sort_block_sort_config_selectorIlNS0_10empty_typeEEEZNS1_21merge_sort_block_sortIS3_PlS8_PS5_S9_ZN2at6native12_GLOBAL__N_124unique_dim_cuda_templateIlEESt5tupleIJNSA_6TensorESF_SF_EERKSF_lbbbEUlllE_EE10hipError_tT0_T1_T2_T3_mRjT4_P12ihipStream_tbNS1_7vsmem_tEEUlT_E_NS1_11comp_targetILNS1_3genE10ELNS1_11target_archE1200ELNS1_3gpuE4ELNS1_3repE0EEENS1_30default_config_static_selectorELNS0_4arch9wavefront6targetE1EEEvSM_,comdat
	.globl	_ZN7rocprim17ROCPRIM_400000_NS6detail17trampoline_kernelINS0_14default_configENS1_37merge_sort_block_sort_config_selectorIlNS0_10empty_typeEEEZNS1_21merge_sort_block_sortIS3_PlS8_PS5_S9_ZN2at6native12_GLOBAL__N_124unique_dim_cuda_templateIlEESt5tupleIJNSA_6TensorESF_SF_EERKSF_lbbbEUlllE_EE10hipError_tT0_T1_T2_T3_mRjT4_P12ihipStream_tbNS1_7vsmem_tEEUlT_E_NS1_11comp_targetILNS1_3genE10ELNS1_11target_archE1200ELNS1_3gpuE4ELNS1_3repE0EEENS1_30default_config_static_selectorELNS0_4arch9wavefront6targetE1EEEvSM_ ; -- Begin function _ZN7rocprim17ROCPRIM_400000_NS6detail17trampoline_kernelINS0_14default_configENS1_37merge_sort_block_sort_config_selectorIlNS0_10empty_typeEEEZNS1_21merge_sort_block_sortIS3_PlS8_PS5_S9_ZN2at6native12_GLOBAL__N_124unique_dim_cuda_templateIlEESt5tupleIJNSA_6TensorESF_SF_EERKSF_lbbbEUlllE_EE10hipError_tT0_T1_T2_T3_mRjT4_P12ihipStream_tbNS1_7vsmem_tEEUlT_E_NS1_11comp_targetILNS1_3genE10ELNS1_11target_archE1200ELNS1_3gpuE4ELNS1_3repE0EEENS1_30default_config_static_selectorELNS0_4arch9wavefront6targetE1EEEvSM_
	.p2align	8
	.type	_ZN7rocprim17ROCPRIM_400000_NS6detail17trampoline_kernelINS0_14default_configENS1_37merge_sort_block_sort_config_selectorIlNS0_10empty_typeEEEZNS1_21merge_sort_block_sortIS3_PlS8_PS5_S9_ZN2at6native12_GLOBAL__N_124unique_dim_cuda_templateIlEESt5tupleIJNSA_6TensorESF_SF_EERKSF_lbbbEUlllE_EE10hipError_tT0_T1_T2_T3_mRjT4_P12ihipStream_tbNS1_7vsmem_tEEUlT_E_NS1_11comp_targetILNS1_3genE10ELNS1_11target_archE1200ELNS1_3gpuE4ELNS1_3repE0EEENS1_30default_config_static_selectorELNS0_4arch9wavefront6targetE1EEEvSM_,@function
_ZN7rocprim17ROCPRIM_400000_NS6detail17trampoline_kernelINS0_14default_configENS1_37merge_sort_block_sort_config_selectorIlNS0_10empty_typeEEEZNS1_21merge_sort_block_sortIS3_PlS8_PS5_S9_ZN2at6native12_GLOBAL__N_124unique_dim_cuda_templateIlEESt5tupleIJNSA_6TensorESF_SF_EERKSF_lbbbEUlllE_EE10hipError_tT0_T1_T2_T3_mRjT4_P12ihipStream_tbNS1_7vsmem_tEEUlT_E_NS1_11comp_targetILNS1_3genE10ELNS1_11target_archE1200ELNS1_3gpuE4ELNS1_3repE0EEENS1_30default_config_static_selectorELNS0_4arch9wavefront6targetE1EEEvSM_: ; @_ZN7rocprim17ROCPRIM_400000_NS6detail17trampoline_kernelINS0_14default_configENS1_37merge_sort_block_sort_config_selectorIlNS0_10empty_typeEEEZNS1_21merge_sort_block_sortIS3_PlS8_PS5_S9_ZN2at6native12_GLOBAL__N_124unique_dim_cuda_templateIlEESt5tupleIJNSA_6TensorESF_SF_EERKSF_lbbbEUlllE_EE10hipError_tT0_T1_T2_T3_mRjT4_P12ihipStream_tbNS1_7vsmem_tEEUlT_E_NS1_11comp_targetILNS1_3genE10ELNS1_11target_archE1200ELNS1_3gpuE4ELNS1_3repE0EEENS1_30default_config_static_selectorELNS0_4arch9wavefront6targetE1EEEvSM_
; %bb.0:
	.section	.rodata,"a",@progbits
	.p2align	6, 0x0
	.amdhsa_kernel _ZN7rocprim17ROCPRIM_400000_NS6detail17trampoline_kernelINS0_14default_configENS1_37merge_sort_block_sort_config_selectorIlNS0_10empty_typeEEEZNS1_21merge_sort_block_sortIS3_PlS8_PS5_S9_ZN2at6native12_GLOBAL__N_124unique_dim_cuda_templateIlEESt5tupleIJNSA_6TensorESF_SF_EERKSF_lbbbEUlllE_EE10hipError_tT0_T1_T2_T3_mRjT4_P12ihipStream_tbNS1_7vsmem_tEEUlT_E_NS1_11comp_targetILNS1_3genE10ELNS1_11target_archE1200ELNS1_3gpuE4ELNS1_3repE0EEENS1_30default_config_static_selectorELNS0_4arch9wavefront6targetE1EEEvSM_
		.amdhsa_group_segment_fixed_size 0
		.amdhsa_private_segment_fixed_size 0
		.amdhsa_kernarg_size 72
		.amdhsa_user_sgpr_count 2
		.amdhsa_user_sgpr_dispatch_ptr 0
		.amdhsa_user_sgpr_queue_ptr 0
		.amdhsa_user_sgpr_kernarg_segment_ptr 1
		.amdhsa_user_sgpr_dispatch_id 0
		.amdhsa_user_sgpr_kernarg_preload_length 0
		.amdhsa_user_sgpr_kernarg_preload_offset 0
		.amdhsa_user_sgpr_private_segment_size 0
		.amdhsa_uses_dynamic_stack 0
		.amdhsa_enable_private_segment 0
		.amdhsa_system_sgpr_workgroup_id_x 1
		.amdhsa_system_sgpr_workgroup_id_y 0
		.amdhsa_system_sgpr_workgroup_id_z 0
		.amdhsa_system_sgpr_workgroup_info 0
		.amdhsa_system_vgpr_workitem_id 0
		.amdhsa_next_free_vgpr 1
		.amdhsa_next_free_sgpr 0
		.amdhsa_accum_offset 4
		.amdhsa_reserve_vcc 0
		.amdhsa_float_round_mode_32 0
		.amdhsa_float_round_mode_16_64 0
		.amdhsa_float_denorm_mode_32 3
		.amdhsa_float_denorm_mode_16_64 3
		.amdhsa_dx10_clamp 1
		.amdhsa_ieee_mode 1
		.amdhsa_fp16_overflow 0
		.amdhsa_tg_split 0
		.amdhsa_exception_fp_ieee_invalid_op 0
		.amdhsa_exception_fp_denorm_src 0
		.amdhsa_exception_fp_ieee_div_zero 0
		.amdhsa_exception_fp_ieee_overflow 0
		.amdhsa_exception_fp_ieee_underflow 0
		.amdhsa_exception_fp_ieee_inexact 0
		.amdhsa_exception_int_div_zero 0
	.end_amdhsa_kernel
	.section	.text._ZN7rocprim17ROCPRIM_400000_NS6detail17trampoline_kernelINS0_14default_configENS1_37merge_sort_block_sort_config_selectorIlNS0_10empty_typeEEEZNS1_21merge_sort_block_sortIS3_PlS8_PS5_S9_ZN2at6native12_GLOBAL__N_124unique_dim_cuda_templateIlEESt5tupleIJNSA_6TensorESF_SF_EERKSF_lbbbEUlllE_EE10hipError_tT0_T1_T2_T3_mRjT4_P12ihipStream_tbNS1_7vsmem_tEEUlT_E_NS1_11comp_targetILNS1_3genE10ELNS1_11target_archE1200ELNS1_3gpuE4ELNS1_3repE0EEENS1_30default_config_static_selectorELNS0_4arch9wavefront6targetE1EEEvSM_,"axG",@progbits,_ZN7rocprim17ROCPRIM_400000_NS6detail17trampoline_kernelINS0_14default_configENS1_37merge_sort_block_sort_config_selectorIlNS0_10empty_typeEEEZNS1_21merge_sort_block_sortIS3_PlS8_PS5_S9_ZN2at6native12_GLOBAL__N_124unique_dim_cuda_templateIlEESt5tupleIJNSA_6TensorESF_SF_EERKSF_lbbbEUlllE_EE10hipError_tT0_T1_T2_T3_mRjT4_P12ihipStream_tbNS1_7vsmem_tEEUlT_E_NS1_11comp_targetILNS1_3genE10ELNS1_11target_archE1200ELNS1_3gpuE4ELNS1_3repE0EEENS1_30default_config_static_selectorELNS0_4arch9wavefront6targetE1EEEvSM_,comdat
.Lfunc_end511:
	.size	_ZN7rocprim17ROCPRIM_400000_NS6detail17trampoline_kernelINS0_14default_configENS1_37merge_sort_block_sort_config_selectorIlNS0_10empty_typeEEEZNS1_21merge_sort_block_sortIS3_PlS8_PS5_S9_ZN2at6native12_GLOBAL__N_124unique_dim_cuda_templateIlEESt5tupleIJNSA_6TensorESF_SF_EERKSF_lbbbEUlllE_EE10hipError_tT0_T1_T2_T3_mRjT4_P12ihipStream_tbNS1_7vsmem_tEEUlT_E_NS1_11comp_targetILNS1_3genE10ELNS1_11target_archE1200ELNS1_3gpuE4ELNS1_3repE0EEENS1_30default_config_static_selectorELNS0_4arch9wavefront6targetE1EEEvSM_, .Lfunc_end511-_ZN7rocprim17ROCPRIM_400000_NS6detail17trampoline_kernelINS0_14default_configENS1_37merge_sort_block_sort_config_selectorIlNS0_10empty_typeEEEZNS1_21merge_sort_block_sortIS3_PlS8_PS5_S9_ZN2at6native12_GLOBAL__N_124unique_dim_cuda_templateIlEESt5tupleIJNSA_6TensorESF_SF_EERKSF_lbbbEUlllE_EE10hipError_tT0_T1_T2_T3_mRjT4_P12ihipStream_tbNS1_7vsmem_tEEUlT_E_NS1_11comp_targetILNS1_3genE10ELNS1_11target_archE1200ELNS1_3gpuE4ELNS1_3repE0EEENS1_30default_config_static_selectorELNS0_4arch9wavefront6targetE1EEEvSM_
                                        ; -- End function
	.set _ZN7rocprim17ROCPRIM_400000_NS6detail17trampoline_kernelINS0_14default_configENS1_37merge_sort_block_sort_config_selectorIlNS0_10empty_typeEEEZNS1_21merge_sort_block_sortIS3_PlS8_PS5_S9_ZN2at6native12_GLOBAL__N_124unique_dim_cuda_templateIlEESt5tupleIJNSA_6TensorESF_SF_EERKSF_lbbbEUlllE_EE10hipError_tT0_T1_T2_T3_mRjT4_P12ihipStream_tbNS1_7vsmem_tEEUlT_E_NS1_11comp_targetILNS1_3genE10ELNS1_11target_archE1200ELNS1_3gpuE4ELNS1_3repE0EEENS1_30default_config_static_selectorELNS0_4arch9wavefront6targetE1EEEvSM_.num_vgpr, 0
	.set _ZN7rocprim17ROCPRIM_400000_NS6detail17trampoline_kernelINS0_14default_configENS1_37merge_sort_block_sort_config_selectorIlNS0_10empty_typeEEEZNS1_21merge_sort_block_sortIS3_PlS8_PS5_S9_ZN2at6native12_GLOBAL__N_124unique_dim_cuda_templateIlEESt5tupleIJNSA_6TensorESF_SF_EERKSF_lbbbEUlllE_EE10hipError_tT0_T1_T2_T3_mRjT4_P12ihipStream_tbNS1_7vsmem_tEEUlT_E_NS1_11comp_targetILNS1_3genE10ELNS1_11target_archE1200ELNS1_3gpuE4ELNS1_3repE0EEENS1_30default_config_static_selectorELNS0_4arch9wavefront6targetE1EEEvSM_.num_agpr, 0
	.set _ZN7rocprim17ROCPRIM_400000_NS6detail17trampoline_kernelINS0_14default_configENS1_37merge_sort_block_sort_config_selectorIlNS0_10empty_typeEEEZNS1_21merge_sort_block_sortIS3_PlS8_PS5_S9_ZN2at6native12_GLOBAL__N_124unique_dim_cuda_templateIlEESt5tupleIJNSA_6TensorESF_SF_EERKSF_lbbbEUlllE_EE10hipError_tT0_T1_T2_T3_mRjT4_P12ihipStream_tbNS1_7vsmem_tEEUlT_E_NS1_11comp_targetILNS1_3genE10ELNS1_11target_archE1200ELNS1_3gpuE4ELNS1_3repE0EEENS1_30default_config_static_selectorELNS0_4arch9wavefront6targetE1EEEvSM_.numbered_sgpr, 0
	.set _ZN7rocprim17ROCPRIM_400000_NS6detail17trampoline_kernelINS0_14default_configENS1_37merge_sort_block_sort_config_selectorIlNS0_10empty_typeEEEZNS1_21merge_sort_block_sortIS3_PlS8_PS5_S9_ZN2at6native12_GLOBAL__N_124unique_dim_cuda_templateIlEESt5tupleIJNSA_6TensorESF_SF_EERKSF_lbbbEUlllE_EE10hipError_tT0_T1_T2_T3_mRjT4_P12ihipStream_tbNS1_7vsmem_tEEUlT_E_NS1_11comp_targetILNS1_3genE10ELNS1_11target_archE1200ELNS1_3gpuE4ELNS1_3repE0EEENS1_30default_config_static_selectorELNS0_4arch9wavefront6targetE1EEEvSM_.num_named_barrier, 0
	.set _ZN7rocprim17ROCPRIM_400000_NS6detail17trampoline_kernelINS0_14default_configENS1_37merge_sort_block_sort_config_selectorIlNS0_10empty_typeEEEZNS1_21merge_sort_block_sortIS3_PlS8_PS5_S9_ZN2at6native12_GLOBAL__N_124unique_dim_cuda_templateIlEESt5tupleIJNSA_6TensorESF_SF_EERKSF_lbbbEUlllE_EE10hipError_tT0_T1_T2_T3_mRjT4_P12ihipStream_tbNS1_7vsmem_tEEUlT_E_NS1_11comp_targetILNS1_3genE10ELNS1_11target_archE1200ELNS1_3gpuE4ELNS1_3repE0EEENS1_30default_config_static_selectorELNS0_4arch9wavefront6targetE1EEEvSM_.private_seg_size, 0
	.set _ZN7rocprim17ROCPRIM_400000_NS6detail17trampoline_kernelINS0_14default_configENS1_37merge_sort_block_sort_config_selectorIlNS0_10empty_typeEEEZNS1_21merge_sort_block_sortIS3_PlS8_PS5_S9_ZN2at6native12_GLOBAL__N_124unique_dim_cuda_templateIlEESt5tupleIJNSA_6TensorESF_SF_EERKSF_lbbbEUlllE_EE10hipError_tT0_T1_T2_T3_mRjT4_P12ihipStream_tbNS1_7vsmem_tEEUlT_E_NS1_11comp_targetILNS1_3genE10ELNS1_11target_archE1200ELNS1_3gpuE4ELNS1_3repE0EEENS1_30default_config_static_selectorELNS0_4arch9wavefront6targetE1EEEvSM_.uses_vcc, 0
	.set _ZN7rocprim17ROCPRIM_400000_NS6detail17trampoline_kernelINS0_14default_configENS1_37merge_sort_block_sort_config_selectorIlNS0_10empty_typeEEEZNS1_21merge_sort_block_sortIS3_PlS8_PS5_S9_ZN2at6native12_GLOBAL__N_124unique_dim_cuda_templateIlEESt5tupleIJNSA_6TensorESF_SF_EERKSF_lbbbEUlllE_EE10hipError_tT0_T1_T2_T3_mRjT4_P12ihipStream_tbNS1_7vsmem_tEEUlT_E_NS1_11comp_targetILNS1_3genE10ELNS1_11target_archE1200ELNS1_3gpuE4ELNS1_3repE0EEENS1_30default_config_static_selectorELNS0_4arch9wavefront6targetE1EEEvSM_.uses_flat_scratch, 0
	.set _ZN7rocprim17ROCPRIM_400000_NS6detail17trampoline_kernelINS0_14default_configENS1_37merge_sort_block_sort_config_selectorIlNS0_10empty_typeEEEZNS1_21merge_sort_block_sortIS3_PlS8_PS5_S9_ZN2at6native12_GLOBAL__N_124unique_dim_cuda_templateIlEESt5tupleIJNSA_6TensorESF_SF_EERKSF_lbbbEUlllE_EE10hipError_tT0_T1_T2_T3_mRjT4_P12ihipStream_tbNS1_7vsmem_tEEUlT_E_NS1_11comp_targetILNS1_3genE10ELNS1_11target_archE1200ELNS1_3gpuE4ELNS1_3repE0EEENS1_30default_config_static_selectorELNS0_4arch9wavefront6targetE1EEEvSM_.has_dyn_sized_stack, 0
	.set _ZN7rocprim17ROCPRIM_400000_NS6detail17trampoline_kernelINS0_14default_configENS1_37merge_sort_block_sort_config_selectorIlNS0_10empty_typeEEEZNS1_21merge_sort_block_sortIS3_PlS8_PS5_S9_ZN2at6native12_GLOBAL__N_124unique_dim_cuda_templateIlEESt5tupleIJNSA_6TensorESF_SF_EERKSF_lbbbEUlllE_EE10hipError_tT0_T1_T2_T3_mRjT4_P12ihipStream_tbNS1_7vsmem_tEEUlT_E_NS1_11comp_targetILNS1_3genE10ELNS1_11target_archE1200ELNS1_3gpuE4ELNS1_3repE0EEENS1_30default_config_static_selectorELNS0_4arch9wavefront6targetE1EEEvSM_.has_recursion, 0
	.set _ZN7rocprim17ROCPRIM_400000_NS6detail17trampoline_kernelINS0_14default_configENS1_37merge_sort_block_sort_config_selectorIlNS0_10empty_typeEEEZNS1_21merge_sort_block_sortIS3_PlS8_PS5_S9_ZN2at6native12_GLOBAL__N_124unique_dim_cuda_templateIlEESt5tupleIJNSA_6TensorESF_SF_EERKSF_lbbbEUlllE_EE10hipError_tT0_T1_T2_T3_mRjT4_P12ihipStream_tbNS1_7vsmem_tEEUlT_E_NS1_11comp_targetILNS1_3genE10ELNS1_11target_archE1200ELNS1_3gpuE4ELNS1_3repE0EEENS1_30default_config_static_selectorELNS0_4arch9wavefront6targetE1EEEvSM_.has_indirect_call, 0
	.section	.AMDGPU.csdata,"",@progbits
; Kernel info:
; codeLenInByte = 0
; TotalNumSgprs: 6
; NumVgprs: 0
; NumAgprs: 0
; TotalNumVgprs: 0
; ScratchSize: 0
; MemoryBound: 0
; FloatMode: 240
; IeeeMode: 1
; LDSByteSize: 0 bytes/workgroup (compile time only)
; SGPRBlocks: 0
; VGPRBlocks: 0
; NumSGPRsForWavesPerEU: 6
; NumVGPRsForWavesPerEU: 1
; AccumOffset: 4
; Occupancy: 8
; WaveLimiterHint : 0
; COMPUTE_PGM_RSRC2:SCRATCH_EN: 0
; COMPUTE_PGM_RSRC2:USER_SGPR: 2
; COMPUTE_PGM_RSRC2:TRAP_HANDLER: 0
; COMPUTE_PGM_RSRC2:TGID_X_EN: 1
; COMPUTE_PGM_RSRC2:TGID_Y_EN: 0
; COMPUTE_PGM_RSRC2:TGID_Z_EN: 0
; COMPUTE_PGM_RSRC2:TIDIG_COMP_CNT: 0
; COMPUTE_PGM_RSRC3_GFX90A:ACCUM_OFFSET: 0
; COMPUTE_PGM_RSRC3_GFX90A:TG_SPLIT: 0
	.section	.text._ZN7rocprim17ROCPRIM_400000_NS6detail17trampoline_kernelINS0_14default_configENS1_37merge_sort_block_sort_config_selectorIlNS0_10empty_typeEEEZNS1_21merge_sort_block_sortIS3_PlS8_PS5_S9_ZN2at6native12_GLOBAL__N_124unique_dim_cuda_templateIlEESt5tupleIJNSA_6TensorESF_SF_EERKSF_lbbbEUlllE_EE10hipError_tT0_T1_T2_T3_mRjT4_P12ihipStream_tbNS1_7vsmem_tEEUlT_E_NS1_11comp_targetILNS1_3genE9ELNS1_11target_archE1100ELNS1_3gpuE3ELNS1_3repE0EEENS1_30default_config_static_selectorELNS0_4arch9wavefront6targetE1EEEvSM_,"axG",@progbits,_ZN7rocprim17ROCPRIM_400000_NS6detail17trampoline_kernelINS0_14default_configENS1_37merge_sort_block_sort_config_selectorIlNS0_10empty_typeEEEZNS1_21merge_sort_block_sortIS3_PlS8_PS5_S9_ZN2at6native12_GLOBAL__N_124unique_dim_cuda_templateIlEESt5tupleIJNSA_6TensorESF_SF_EERKSF_lbbbEUlllE_EE10hipError_tT0_T1_T2_T3_mRjT4_P12ihipStream_tbNS1_7vsmem_tEEUlT_E_NS1_11comp_targetILNS1_3genE9ELNS1_11target_archE1100ELNS1_3gpuE3ELNS1_3repE0EEENS1_30default_config_static_selectorELNS0_4arch9wavefront6targetE1EEEvSM_,comdat
	.globl	_ZN7rocprim17ROCPRIM_400000_NS6detail17trampoline_kernelINS0_14default_configENS1_37merge_sort_block_sort_config_selectorIlNS0_10empty_typeEEEZNS1_21merge_sort_block_sortIS3_PlS8_PS5_S9_ZN2at6native12_GLOBAL__N_124unique_dim_cuda_templateIlEESt5tupleIJNSA_6TensorESF_SF_EERKSF_lbbbEUlllE_EE10hipError_tT0_T1_T2_T3_mRjT4_P12ihipStream_tbNS1_7vsmem_tEEUlT_E_NS1_11comp_targetILNS1_3genE9ELNS1_11target_archE1100ELNS1_3gpuE3ELNS1_3repE0EEENS1_30default_config_static_selectorELNS0_4arch9wavefront6targetE1EEEvSM_ ; -- Begin function _ZN7rocprim17ROCPRIM_400000_NS6detail17trampoline_kernelINS0_14default_configENS1_37merge_sort_block_sort_config_selectorIlNS0_10empty_typeEEEZNS1_21merge_sort_block_sortIS3_PlS8_PS5_S9_ZN2at6native12_GLOBAL__N_124unique_dim_cuda_templateIlEESt5tupleIJNSA_6TensorESF_SF_EERKSF_lbbbEUlllE_EE10hipError_tT0_T1_T2_T3_mRjT4_P12ihipStream_tbNS1_7vsmem_tEEUlT_E_NS1_11comp_targetILNS1_3genE9ELNS1_11target_archE1100ELNS1_3gpuE3ELNS1_3repE0EEENS1_30default_config_static_selectorELNS0_4arch9wavefront6targetE1EEEvSM_
	.p2align	8
	.type	_ZN7rocprim17ROCPRIM_400000_NS6detail17trampoline_kernelINS0_14default_configENS1_37merge_sort_block_sort_config_selectorIlNS0_10empty_typeEEEZNS1_21merge_sort_block_sortIS3_PlS8_PS5_S9_ZN2at6native12_GLOBAL__N_124unique_dim_cuda_templateIlEESt5tupleIJNSA_6TensorESF_SF_EERKSF_lbbbEUlllE_EE10hipError_tT0_T1_T2_T3_mRjT4_P12ihipStream_tbNS1_7vsmem_tEEUlT_E_NS1_11comp_targetILNS1_3genE9ELNS1_11target_archE1100ELNS1_3gpuE3ELNS1_3repE0EEENS1_30default_config_static_selectorELNS0_4arch9wavefront6targetE1EEEvSM_,@function
_ZN7rocprim17ROCPRIM_400000_NS6detail17trampoline_kernelINS0_14default_configENS1_37merge_sort_block_sort_config_selectorIlNS0_10empty_typeEEEZNS1_21merge_sort_block_sortIS3_PlS8_PS5_S9_ZN2at6native12_GLOBAL__N_124unique_dim_cuda_templateIlEESt5tupleIJNSA_6TensorESF_SF_EERKSF_lbbbEUlllE_EE10hipError_tT0_T1_T2_T3_mRjT4_P12ihipStream_tbNS1_7vsmem_tEEUlT_E_NS1_11comp_targetILNS1_3genE9ELNS1_11target_archE1100ELNS1_3gpuE3ELNS1_3repE0EEENS1_30default_config_static_selectorELNS0_4arch9wavefront6targetE1EEEvSM_: ; @_ZN7rocprim17ROCPRIM_400000_NS6detail17trampoline_kernelINS0_14default_configENS1_37merge_sort_block_sort_config_selectorIlNS0_10empty_typeEEEZNS1_21merge_sort_block_sortIS3_PlS8_PS5_S9_ZN2at6native12_GLOBAL__N_124unique_dim_cuda_templateIlEESt5tupleIJNSA_6TensorESF_SF_EERKSF_lbbbEUlllE_EE10hipError_tT0_T1_T2_T3_mRjT4_P12ihipStream_tbNS1_7vsmem_tEEUlT_E_NS1_11comp_targetILNS1_3genE9ELNS1_11target_archE1100ELNS1_3gpuE3ELNS1_3repE0EEENS1_30default_config_static_selectorELNS0_4arch9wavefront6targetE1EEEvSM_
; %bb.0:
	.section	.rodata,"a",@progbits
	.p2align	6, 0x0
	.amdhsa_kernel _ZN7rocprim17ROCPRIM_400000_NS6detail17trampoline_kernelINS0_14default_configENS1_37merge_sort_block_sort_config_selectorIlNS0_10empty_typeEEEZNS1_21merge_sort_block_sortIS3_PlS8_PS5_S9_ZN2at6native12_GLOBAL__N_124unique_dim_cuda_templateIlEESt5tupleIJNSA_6TensorESF_SF_EERKSF_lbbbEUlllE_EE10hipError_tT0_T1_T2_T3_mRjT4_P12ihipStream_tbNS1_7vsmem_tEEUlT_E_NS1_11comp_targetILNS1_3genE9ELNS1_11target_archE1100ELNS1_3gpuE3ELNS1_3repE0EEENS1_30default_config_static_selectorELNS0_4arch9wavefront6targetE1EEEvSM_
		.amdhsa_group_segment_fixed_size 0
		.amdhsa_private_segment_fixed_size 0
		.amdhsa_kernarg_size 72
		.amdhsa_user_sgpr_count 2
		.amdhsa_user_sgpr_dispatch_ptr 0
		.amdhsa_user_sgpr_queue_ptr 0
		.amdhsa_user_sgpr_kernarg_segment_ptr 1
		.amdhsa_user_sgpr_dispatch_id 0
		.amdhsa_user_sgpr_kernarg_preload_length 0
		.amdhsa_user_sgpr_kernarg_preload_offset 0
		.amdhsa_user_sgpr_private_segment_size 0
		.amdhsa_uses_dynamic_stack 0
		.amdhsa_enable_private_segment 0
		.amdhsa_system_sgpr_workgroup_id_x 1
		.amdhsa_system_sgpr_workgroup_id_y 0
		.amdhsa_system_sgpr_workgroup_id_z 0
		.amdhsa_system_sgpr_workgroup_info 0
		.amdhsa_system_vgpr_workitem_id 0
		.amdhsa_next_free_vgpr 1
		.amdhsa_next_free_sgpr 0
		.amdhsa_accum_offset 4
		.amdhsa_reserve_vcc 0
		.amdhsa_float_round_mode_32 0
		.amdhsa_float_round_mode_16_64 0
		.amdhsa_float_denorm_mode_32 3
		.amdhsa_float_denorm_mode_16_64 3
		.amdhsa_dx10_clamp 1
		.amdhsa_ieee_mode 1
		.amdhsa_fp16_overflow 0
		.amdhsa_tg_split 0
		.amdhsa_exception_fp_ieee_invalid_op 0
		.amdhsa_exception_fp_denorm_src 0
		.amdhsa_exception_fp_ieee_div_zero 0
		.amdhsa_exception_fp_ieee_overflow 0
		.amdhsa_exception_fp_ieee_underflow 0
		.amdhsa_exception_fp_ieee_inexact 0
		.amdhsa_exception_int_div_zero 0
	.end_amdhsa_kernel
	.section	.text._ZN7rocprim17ROCPRIM_400000_NS6detail17trampoline_kernelINS0_14default_configENS1_37merge_sort_block_sort_config_selectorIlNS0_10empty_typeEEEZNS1_21merge_sort_block_sortIS3_PlS8_PS5_S9_ZN2at6native12_GLOBAL__N_124unique_dim_cuda_templateIlEESt5tupleIJNSA_6TensorESF_SF_EERKSF_lbbbEUlllE_EE10hipError_tT0_T1_T2_T3_mRjT4_P12ihipStream_tbNS1_7vsmem_tEEUlT_E_NS1_11comp_targetILNS1_3genE9ELNS1_11target_archE1100ELNS1_3gpuE3ELNS1_3repE0EEENS1_30default_config_static_selectorELNS0_4arch9wavefront6targetE1EEEvSM_,"axG",@progbits,_ZN7rocprim17ROCPRIM_400000_NS6detail17trampoline_kernelINS0_14default_configENS1_37merge_sort_block_sort_config_selectorIlNS0_10empty_typeEEEZNS1_21merge_sort_block_sortIS3_PlS8_PS5_S9_ZN2at6native12_GLOBAL__N_124unique_dim_cuda_templateIlEESt5tupleIJNSA_6TensorESF_SF_EERKSF_lbbbEUlllE_EE10hipError_tT0_T1_T2_T3_mRjT4_P12ihipStream_tbNS1_7vsmem_tEEUlT_E_NS1_11comp_targetILNS1_3genE9ELNS1_11target_archE1100ELNS1_3gpuE3ELNS1_3repE0EEENS1_30default_config_static_selectorELNS0_4arch9wavefront6targetE1EEEvSM_,comdat
.Lfunc_end512:
	.size	_ZN7rocprim17ROCPRIM_400000_NS6detail17trampoline_kernelINS0_14default_configENS1_37merge_sort_block_sort_config_selectorIlNS0_10empty_typeEEEZNS1_21merge_sort_block_sortIS3_PlS8_PS5_S9_ZN2at6native12_GLOBAL__N_124unique_dim_cuda_templateIlEESt5tupleIJNSA_6TensorESF_SF_EERKSF_lbbbEUlllE_EE10hipError_tT0_T1_T2_T3_mRjT4_P12ihipStream_tbNS1_7vsmem_tEEUlT_E_NS1_11comp_targetILNS1_3genE9ELNS1_11target_archE1100ELNS1_3gpuE3ELNS1_3repE0EEENS1_30default_config_static_selectorELNS0_4arch9wavefront6targetE1EEEvSM_, .Lfunc_end512-_ZN7rocprim17ROCPRIM_400000_NS6detail17trampoline_kernelINS0_14default_configENS1_37merge_sort_block_sort_config_selectorIlNS0_10empty_typeEEEZNS1_21merge_sort_block_sortIS3_PlS8_PS5_S9_ZN2at6native12_GLOBAL__N_124unique_dim_cuda_templateIlEESt5tupleIJNSA_6TensorESF_SF_EERKSF_lbbbEUlllE_EE10hipError_tT0_T1_T2_T3_mRjT4_P12ihipStream_tbNS1_7vsmem_tEEUlT_E_NS1_11comp_targetILNS1_3genE9ELNS1_11target_archE1100ELNS1_3gpuE3ELNS1_3repE0EEENS1_30default_config_static_selectorELNS0_4arch9wavefront6targetE1EEEvSM_
                                        ; -- End function
	.set _ZN7rocprim17ROCPRIM_400000_NS6detail17trampoline_kernelINS0_14default_configENS1_37merge_sort_block_sort_config_selectorIlNS0_10empty_typeEEEZNS1_21merge_sort_block_sortIS3_PlS8_PS5_S9_ZN2at6native12_GLOBAL__N_124unique_dim_cuda_templateIlEESt5tupleIJNSA_6TensorESF_SF_EERKSF_lbbbEUlllE_EE10hipError_tT0_T1_T2_T3_mRjT4_P12ihipStream_tbNS1_7vsmem_tEEUlT_E_NS1_11comp_targetILNS1_3genE9ELNS1_11target_archE1100ELNS1_3gpuE3ELNS1_3repE0EEENS1_30default_config_static_selectorELNS0_4arch9wavefront6targetE1EEEvSM_.num_vgpr, 0
	.set _ZN7rocprim17ROCPRIM_400000_NS6detail17trampoline_kernelINS0_14default_configENS1_37merge_sort_block_sort_config_selectorIlNS0_10empty_typeEEEZNS1_21merge_sort_block_sortIS3_PlS8_PS5_S9_ZN2at6native12_GLOBAL__N_124unique_dim_cuda_templateIlEESt5tupleIJNSA_6TensorESF_SF_EERKSF_lbbbEUlllE_EE10hipError_tT0_T1_T2_T3_mRjT4_P12ihipStream_tbNS1_7vsmem_tEEUlT_E_NS1_11comp_targetILNS1_3genE9ELNS1_11target_archE1100ELNS1_3gpuE3ELNS1_3repE0EEENS1_30default_config_static_selectorELNS0_4arch9wavefront6targetE1EEEvSM_.num_agpr, 0
	.set _ZN7rocprim17ROCPRIM_400000_NS6detail17trampoline_kernelINS0_14default_configENS1_37merge_sort_block_sort_config_selectorIlNS0_10empty_typeEEEZNS1_21merge_sort_block_sortIS3_PlS8_PS5_S9_ZN2at6native12_GLOBAL__N_124unique_dim_cuda_templateIlEESt5tupleIJNSA_6TensorESF_SF_EERKSF_lbbbEUlllE_EE10hipError_tT0_T1_T2_T3_mRjT4_P12ihipStream_tbNS1_7vsmem_tEEUlT_E_NS1_11comp_targetILNS1_3genE9ELNS1_11target_archE1100ELNS1_3gpuE3ELNS1_3repE0EEENS1_30default_config_static_selectorELNS0_4arch9wavefront6targetE1EEEvSM_.numbered_sgpr, 0
	.set _ZN7rocprim17ROCPRIM_400000_NS6detail17trampoline_kernelINS0_14default_configENS1_37merge_sort_block_sort_config_selectorIlNS0_10empty_typeEEEZNS1_21merge_sort_block_sortIS3_PlS8_PS5_S9_ZN2at6native12_GLOBAL__N_124unique_dim_cuda_templateIlEESt5tupleIJNSA_6TensorESF_SF_EERKSF_lbbbEUlllE_EE10hipError_tT0_T1_T2_T3_mRjT4_P12ihipStream_tbNS1_7vsmem_tEEUlT_E_NS1_11comp_targetILNS1_3genE9ELNS1_11target_archE1100ELNS1_3gpuE3ELNS1_3repE0EEENS1_30default_config_static_selectorELNS0_4arch9wavefront6targetE1EEEvSM_.num_named_barrier, 0
	.set _ZN7rocprim17ROCPRIM_400000_NS6detail17trampoline_kernelINS0_14default_configENS1_37merge_sort_block_sort_config_selectorIlNS0_10empty_typeEEEZNS1_21merge_sort_block_sortIS3_PlS8_PS5_S9_ZN2at6native12_GLOBAL__N_124unique_dim_cuda_templateIlEESt5tupleIJNSA_6TensorESF_SF_EERKSF_lbbbEUlllE_EE10hipError_tT0_T1_T2_T3_mRjT4_P12ihipStream_tbNS1_7vsmem_tEEUlT_E_NS1_11comp_targetILNS1_3genE9ELNS1_11target_archE1100ELNS1_3gpuE3ELNS1_3repE0EEENS1_30default_config_static_selectorELNS0_4arch9wavefront6targetE1EEEvSM_.private_seg_size, 0
	.set _ZN7rocprim17ROCPRIM_400000_NS6detail17trampoline_kernelINS0_14default_configENS1_37merge_sort_block_sort_config_selectorIlNS0_10empty_typeEEEZNS1_21merge_sort_block_sortIS3_PlS8_PS5_S9_ZN2at6native12_GLOBAL__N_124unique_dim_cuda_templateIlEESt5tupleIJNSA_6TensorESF_SF_EERKSF_lbbbEUlllE_EE10hipError_tT0_T1_T2_T3_mRjT4_P12ihipStream_tbNS1_7vsmem_tEEUlT_E_NS1_11comp_targetILNS1_3genE9ELNS1_11target_archE1100ELNS1_3gpuE3ELNS1_3repE0EEENS1_30default_config_static_selectorELNS0_4arch9wavefront6targetE1EEEvSM_.uses_vcc, 0
	.set _ZN7rocprim17ROCPRIM_400000_NS6detail17trampoline_kernelINS0_14default_configENS1_37merge_sort_block_sort_config_selectorIlNS0_10empty_typeEEEZNS1_21merge_sort_block_sortIS3_PlS8_PS5_S9_ZN2at6native12_GLOBAL__N_124unique_dim_cuda_templateIlEESt5tupleIJNSA_6TensorESF_SF_EERKSF_lbbbEUlllE_EE10hipError_tT0_T1_T2_T3_mRjT4_P12ihipStream_tbNS1_7vsmem_tEEUlT_E_NS1_11comp_targetILNS1_3genE9ELNS1_11target_archE1100ELNS1_3gpuE3ELNS1_3repE0EEENS1_30default_config_static_selectorELNS0_4arch9wavefront6targetE1EEEvSM_.uses_flat_scratch, 0
	.set _ZN7rocprim17ROCPRIM_400000_NS6detail17trampoline_kernelINS0_14default_configENS1_37merge_sort_block_sort_config_selectorIlNS0_10empty_typeEEEZNS1_21merge_sort_block_sortIS3_PlS8_PS5_S9_ZN2at6native12_GLOBAL__N_124unique_dim_cuda_templateIlEESt5tupleIJNSA_6TensorESF_SF_EERKSF_lbbbEUlllE_EE10hipError_tT0_T1_T2_T3_mRjT4_P12ihipStream_tbNS1_7vsmem_tEEUlT_E_NS1_11comp_targetILNS1_3genE9ELNS1_11target_archE1100ELNS1_3gpuE3ELNS1_3repE0EEENS1_30default_config_static_selectorELNS0_4arch9wavefront6targetE1EEEvSM_.has_dyn_sized_stack, 0
	.set _ZN7rocprim17ROCPRIM_400000_NS6detail17trampoline_kernelINS0_14default_configENS1_37merge_sort_block_sort_config_selectorIlNS0_10empty_typeEEEZNS1_21merge_sort_block_sortIS3_PlS8_PS5_S9_ZN2at6native12_GLOBAL__N_124unique_dim_cuda_templateIlEESt5tupleIJNSA_6TensorESF_SF_EERKSF_lbbbEUlllE_EE10hipError_tT0_T1_T2_T3_mRjT4_P12ihipStream_tbNS1_7vsmem_tEEUlT_E_NS1_11comp_targetILNS1_3genE9ELNS1_11target_archE1100ELNS1_3gpuE3ELNS1_3repE0EEENS1_30default_config_static_selectorELNS0_4arch9wavefront6targetE1EEEvSM_.has_recursion, 0
	.set _ZN7rocprim17ROCPRIM_400000_NS6detail17trampoline_kernelINS0_14default_configENS1_37merge_sort_block_sort_config_selectorIlNS0_10empty_typeEEEZNS1_21merge_sort_block_sortIS3_PlS8_PS5_S9_ZN2at6native12_GLOBAL__N_124unique_dim_cuda_templateIlEESt5tupleIJNSA_6TensorESF_SF_EERKSF_lbbbEUlllE_EE10hipError_tT0_T1_T2_T3_mRjT4_P12ihipStream_tbNS1_7vsmem_tEEUlT_E_NS1_11comp_targetILNS1_3genE9ELNS1_11target_archE1100ELNS1_3gpuE3ELNS1_3repE0EEENS1_30default_config_static_selectorELNS0_4arch9wavefront6targetE1EEEvSM_.has_indirect_call, 0
	.section	.AMDGPU.csdata,"",@progbits
; Kernel info:
; codeLenInByte = 0
; TotalNumSgprs: 6
; NumVgprs: 0
; NumAgprs: 0
; TotalNumVgprs: 0
; ScratchSize: 0
; MemoryBound: 0
; FloatMode: 240
; IeeeMode: 1
; LDSByteSize: 0 bytes/workgroup (compile time only)
; SGPRBlocks: 0
; VGPRBlocks: 0
; NumSGPRsForWavesPerEU: 6
; NumVGPRsForWavesPerEU: 1
; AccumOffset: 4
; Occupancy: 8
; WaveLimiterHint : 0
; COMPUTE_PGM_RSRC2:SCRATCH_EN: 0
; COMPUTE_PGM_RSRC2:USER_SGPR: 2
; COMPUTE_PGM_RSRC2:TRAP_HANDLER: 0
; COMPUTE_PGM_RSRC2:TGID_X_EN: 1
; COMPUTE_PGM_RSRC2:TGID_Y_EN: 0
; COMPUTE_PGM_RSRC2:TGID_Z_EN: 0
; COMPUTE_PGM_RSRC2:TIDIG_COMP_CNT: 0
; COMPUTE_PGM_RSRC3_GFX90A:ACCUM_OFFSET: 0
; COMPUTE_PGM_RSRC3_GFX90A:TG_SPLIT: 0
	.section	.text._ZN7rocprim17ROCPRIM_400000_NS6detail17trampoline_kernelINS0_14default_configENS1_37merge_sort_block_sort_config_selectorIlNS0_10empty_typeEEEZNS1_21merge_sort_block_sortIS3_PlS8_PS5_S9_ZN2at6native12_GLOBAL__N_124unique_dim_cuda_templateIlEESt5tupleIJNSA_6TensorESF_SF_EERKSF_lbbbEUlllE_EE10hipError_tT0_T1_T2_T3_mRjT4_P12ihipStream_tbNS1_7vsmem_tEEUlT_E_NS1_11comp_targetILNS1_3genE8ELNS1_11target_archE1030ELNS1_3gpuE2ELNS1_3repE0EEENS1_30default_config_static_selectorELNS0_4arch9wavefront6targetE1EEEvSM_,"axG",@progbits,_ZN7rocprim17ROCPRIM_400000_NS6detail17trampoline_kernelINS0_14default_configENS1_37merge_sort_block_sort_config_selectorIlNS0_10empty_typeEEEZNS1_21merge_sort_block_sortIS3_PlS8_PS5_S9_ZN2at6native12_GLOBAL__N_124unique_dim_cuda_templateIlEESt5tupleIJNSA_6TensorESF_SF_EERKSF_lbbbEUlllE_EE10hipError_tT0_T1_T2_T3_mRjT4_P12ihipStream_tbNS1_7vsmem_tEEUlT_E_NS1_11comp_targetILNS1_3genE8ELNS1_11target_archE1030ELNS1_3gpuE2ELNS1_3repE0EEENS1_30default_config_static_selectorELNS0_4arch9wavefront6targetE1EEEvSM_,comdat
	.globl	_ZN7rocprim17ROCPRIM_400000_NS6detail17trampoline_kernelINS0_14default_configENS1_37merge_sort_block_sort_config_selectorIlNS0_10empty_typeEEEZNS1_21merge_sort_block_sortIS3_PlS8_PS5_S9_ZN2at6native12_GLOBAL__N_124unique_dim_cuda_templateIlEESt5tupleIJNSA_6TensorESF_SF_EERKSF_lbbbEUlllE_EE10hipError_tT0_T1_T2_T3_mRjT4_P12ihipStream_tbNS1_7vsmem_tEEUlT_E_NS1_11comp_targetILNS1_3genE8ELNS1_11target_archE1030ELNS1_3gpuE2ELNS1_3repE0EEENS1_30default_config_static_selectorELNS0_4arch9wavefront6targetE1EEEvSM_ ; -- Begin function _ZN7rocprim17ROCPRIM_400000_NS6detail17trampoline_kernelINS0_14default_configENS1_37merge_sort_block_sort_config_selectorIlNS0_10empty_typeEEEZNS1_21merge_sort_block_sortIS3_PlS8_PS5_S9_ZN2at6native12_GLOBAL__N_124unique_dim_cuda_templateIlEESt5tupleIJNSA_6TensorESF_SF_EERKSF_lbbbEUlllE_EE10hipError_tT0_T1_T2_T3_mRjT4_P12ihipStream_tbNS1_7vsmem_tEEUlT_E_NS1_11comp_targetILNS1_3genE8ELNS1_11target_archE1030ELNS1_3gpuE2ELNS1_3repE0EEENS1_30default_config_static_selectorELNS0_4arch9wavefront6targetE1EEEvSM_
	.p2align	8
	.type	_ZN7rocprim17ROCPRIM_400000_NS6detail17trampoline_kernelINS0_14default_configENS1_37merge_sort_block_sort_config_selectorIlNS0_10empty_typeEEEZNS1_21merge_sort_block_sortIS3_PlS8_PS5_S9_ZN2at6native12_GLOBAL__N_124unique_dim_cuda_templateIlEESt5tupleIJNSA_6TensorESF_SF_EERKSF_lbbbEUlllE_EE10hipError_tT0_T1_T2_T3_mRjT4_P12ihipStream_tbNS1_7vsmem_tEEUlT_E_NS1_11comp_targetILNS1_3genE8ELNS1_11target_archE1030ELNS1_3gpuE2ELNS1_3repE0EEENS1_30default_config_static_selectorELNS0_4arch9wavefront6targetE1EEEvSM_,@function
_ZN7rocprim17ROCPRIM_400000_NS6detail17trampoline_kernelINS0_14default_configENS1_37merge_sort_block_sort_config_selectorIlNS0_10empty_typeEEEZNS1_21merge_sort_block_sortIS3_PlS8_PS5_S9_ZN2at6native12_GLOBAL__N_124unique_dim_cuda_templateIlEESt5tupleIJNSA_6TensorESF_SF_EERKSF_lbbbEUlllE_EE10hipError_tT0_T1_T2_T3_mRjT4_P12ihipStream_tbNS1_7vsmem_tEEUlT_E_NS1_11comp_targetILNS1_3genE8ELNS1_11target_archE1030ELNS1_3gpuE2ELNS1_3repE0EEENS1_30default_config_static_selectorELNS0_4arch9wavefront6targetE1EEEvSM_: ; @_ZN7rocprim17ROCPRIM_400000_NS6detail17trampoline_kernelINS0_14default_configENS1_37merge_sort_block_sort_config_selectorIlNS0_10empty_typeEEEZNS1_21merge_sort_block_sortIS3_PlS8_PS5_S9_ZN2at6native12_GLOBAL__N_124unique_dim_cuda_templateIlEESt5tupleIJNSA_6TensorESF_SF_EERKSF_lbbbEUlllE_EE10hipError_tT0_T1_T2_T3_mRjT4_P12ihipStream_tbNS1_7vsmem_tEEUlT_E_NS1_11comp_targetILNS1_3genE8ELNS1_11target_archE1030ELNS1_3gpuE2ELNS1_3repE0EEENS1_30default_config_static_selectorELNS0_4arch9wavefront6targetE1EEEvSM_
; %bb.0:
	.section	.rodata,"a",@progbits
	.p2align	6, 0x0
	.amdhsa_kernel _ZN7rocprim17ROCPRIM_400000_NS6detail17trampoline_kernelINS0_14default_configENS1_37merge_sort_block_sort_config_selectorIlNS0_10empty_typeEEEZNS1_21merge_sort_block_sortIS3_PlS8_PS5_S9_ZN2at6native12_GLOBAL__N_124unique_dim_cuda_templateIlEESt5tupleIJNSA_6TensorESF_SF_EERKSF_lbbbEUlllE_EE10hipError_tT0_T1_T2_T3_mRjT4_P12ihipStream_tbNS1_7vsmem_tEEUlT_E_NS1_11comp_targetILNS1_3genE8ELNS1_11target_archE1030ELNS1_3gpuE2ELNS1_3repE0EEENS1_30default_config_static_selectorELNS0_4arch9wavefront6targetE1EEEvSM_
		.amdhsa_group_segment_fixed_size 0
		.amdhsa_private_segment_fixed_size 0
		.amdhsa_kernarg_size 72
		.amdhsa_user_sgpr_count 2
		.amdhsa_user_sgpr_dispatch_ptr 0
		.amdhsa_user_sgpr_queue_ptr 0
		.amdhsa_user_sgpr_kernarg_segment_ptr 1
		.amdhsa_user_sgpr_dispatch_id 0
		.amdhsa_user_sgpr_kernarg_preload_length 0
		.amdhsa_user_sgpr_kernarg_preload_offset 0
		.amdhsa_user_sgpr_private_segment_size 0
		.amdhsa_uses_dynamic_stack 0
		.amdhsa_enable_private_segment 0
		.amdhsa_system_sgpr_workgroup_id_x 1
		.amdhsa_system_sgpr_workgroup_id_y 0
		.amdhsa_system_sgpr_workgroup_id_z 0
		.amdhsa_system_sgpr_workgroup_info 0
		.amdhsa_system_vgpr_workitem_id 0
		.amdhsa_next_free_vgpr 1
		.amdhsa_next_free_sgpr 0
		.amdhsa_accum_offset 4
		.amdhsa_reserve_vcc 0
		.amdhsa_float_round_mode_32 0
		.amdhsa_float_round_mode_16_64 0
		.amdhsa_float_denorm_mode_32 3
		.amdhsa_float_denorm_mode_16_64 3
		.amdhsa_dx10_clamp 1
		.amdhsa_ieee_mode 1
		.amdhsa_fp16_overflow 0
		.amdhsa_tg_split 0
		.amdhsa_exception_fp_ieee_invalid_op 0
		.amdhsa_exception_fp_denorm_src 0
		.amdhsa_exception_fp_ieee_div_zero 0
		.amdhsa_exception_fp_ieee_overflow 0
		.amdhsa_exception_fp_ieee_underflow 0
		.amdhsa_exception_fp_ieee_inexact 0
		.amdhsa_exception_int_div_zero 0
	.end_amdhsa_kernel
	.section	.text._ZN7rocprim17ROCPRIM_400000_NS6detail17trampoline_kernelINS0_14default_configENS1_37merge_sort_block_sort_config_selectorIlNS0_10empty_typeEEEZNS1_21merge_sort_block_sortIS3_PlS8_PS5_S9_ZN2at6native12_GLOBAL__N_124unique_dim_cuda_templateIlEESt5tupleIJNSA_6TensorESF_SF_EERKSF_lbbbEUlllE_EE10hipError_tT0_T1_T2_T3_mRjT4_P12ihipStream_tbNS1_7vsmem_tEEUlT_E_NS1_11comp_targetILNS1_3genE8ELNS1_11target_archE1030ELNS1_3gpuE2ELNS1_3repE0EEENS1_30default_config_static_selectorELNS0_4arch9wavefront6targetE1EEEvSM_,"axG",@progbits,_ZN7rocprim17ROCPRIM_400000_NS6detail17trampoline_kernelINS0_14default_configENS1_37merge_sort_block_sort_config_selectorIlNS0_10empty_typeEEEZNS1_21merge_sort_block_sortIS3_PlS8_PS5_S9_ZN2at6native12_GLOBAL__N_124unique_dim_cuda_templateIlEESt5tupleIJNSA_6TensorESF_SF_EERKSF_lbbbEUlllE_EE10hipError_tT0_T1_T2_T3_mRjT4_P12ihipStream_tbNS1_7vsmem_tEEUlT_E_NS1_11comp_targetILNS1_3genE8ELNS1_11target_archE1030ELNS1_3gpuE2ELNS1_3repE0EEENS1_30default_config_static_selectorELNS0_4arch9wavefront6targetE1EEEvSM_,comdat
.Lfunc_end513:
	.size	_ZN7rocprim17ROCPRIM_400000_NS6detail17trampoline_kernelINS0_14default_configENS1_37merge_sort_block_sort_config_selectorIlNS0_10empty_typeEEEZNS1_21merge_sort_block_sortIS3_PlS8_PS5_S9_ZN2at6native12_GLOBAL__N_124unique_dim_cuda_templateIlEESt5tupleIJNSA_6TensorESF_SF_EERKSF_lbbbEUlllE_EE10hipError_tT0_T1_T2_T3_mRjT4_P12ihipStream_tbNS1_7vsmem_tEEUlT_E_NS1_11comp_targetILNS1_3genE8ELNS1_11target_archE1030ELNS1_3gpuE2ELNS1_3repE0EEENS1_30default_config_static_selectorELNS0_4arch9wavefront6targetE1EEEvSM_, .Lfunc_end513-_ZN7rocprim17ROCPRIM_400000_NS6detail17trampoline_kernelINS0_14default_configENS1_37merge_sort_block_sort_config_selectorIlNS0_10empty_typeEEEZNS1_21merge_sort_block_sortIS3_PlS8_PS5_S9_ZN2at6native12_GLOBAL__N_124unique_dim_cuda_templateIlEESt5tupleIJNSA_6TensorESF_SF_EERKSF_lbbbEUlllE_EE10hipError_tT0_T1_T2_T3_mRjT4_P12ihipStream_tbNS1_7vsmem_tEEUlT_E_NS1_11comp_targetILNS1_3genE8ELNS1_11target_archE1030ELNS1_3gpuE2ELNS1_3repE0EEENS1_30default_config_static_selectorELNS0_4arch9wavefront6targetE1EEEvSM_
                                        ; -- End function
	.set _ZN7rocprim17ROCPRIM_400000_NS6detail17trampoline_kernelINS0_14default_configENS1_37merge_sort_block_sort_config_selectorIlNS0_10empty_typeEEEZNS1_21merge_sort_block_sortIS3_PlS8_PS5_S9_ZN2at6native12_GLOBAL__N_124unique_dim_cuda_templateIlEESt5tupleIJNSA_6TensorESF_SF_EERKSF_lbbbEUlllE_EE10hipError_tT0_T1_T2_T3_mRjT4_P12ihipStream_tbNS1_7vsmem_tEEUlT_E_NS1_11comp_targetILNS1_3genE8ELNS1_11target_archE1030ELNS1_3gpuE2ELNS1_3repE0EEENS1_30default_config_static_selectorELNS0_4arch9wavefront6targetE1EEEvSM_.num_vgpr, 0
	.set _ZN7rocprim17ROCPRIM_400000_NS6detail17trampoline_kernelINS0_14default_configENS1_37merge_sort_block_sort_config_selectorIlNS0_10empty_typeEEEZNS1_21merge_sort_block_sortIS3_PlS8_PS5_S9_ZN2at6native12_GLOBAL__N_124unique_dim_cuda_templateIlEESt5tupleIJNSA_6TensorESF_SF_EERKSF_lbbbEUlllE_EE10hipError_tT0_T1_T2_T3_mRjT4_P12ihipStream_tbNS1_7vsmem_tEEUlT_E_NS1_11comp_targetILNS1_3genE8ELNS1_11target_archE1030ELNS1_3gpuE2ELNS1_3repE0EEENS1_30default_config_static_selectorELNS0_4arch9wavefront6targetE1EEEvSM_.num_agpr, 0
	.set _ZN7rocprim17ROCPRIM_400000_NS6detail17trampoline_kernelINS0_14default_configENS1_37merge_sort_block_sort_config_selectorIlNS0_10empty_typeEEEZNS1_21merge_sort_block_sortIS3_PlS8_PS5_S9_ZN2at6native12_GLOBAL__N_124unique_dim_cuda_templateIlEESt5tupleIJNSA_6TensorESF_SF_EERKSF_lbbbEUlllE_EE10hipError_tT0_T1_T2_T3_mRjT4_P12ihipStream_tbNS1_7vsmem_tEEUlT_E_NS1_11comp_targetILNS1_3genE8ELNS1_11target_archE1030ELNS1_3gpuE2ELNS1_3repE0EEENS1_30default_config_static_selectorELNS0_4arch9wavefront6targetE1EEEvSM_.numbered_sgpr, 0
	.set _ZN7rocprim17ROCPRIM_400000_NS6detail17trampoline_kernelINS0_14default_configENS1_37merge_sort_block_sort_config_selectorIlNS0_10empty_typeEEEZNS1_21merge_sort_block_sortIS3_PlS8_PS5_S9_ZN2at6native12_GLOBAL__N_124unique_dim_cuda_templateIlEESt5tupleIJNSA_6TensorESF_SF_EERKSF_lbbbEUlllE_EE10hipError_tT0_T1_T2_T3_mRjT4_P12ihipStream_tbNS1_7vsmem_tEEUlT_E_NS1_11comp_targetILNS1_3genE8ELNS1_11target_archE1030ELNS1_3gpuE2ELNS1_3repE0EEENS1_30default_config_static_selectorELNS0_4arch9wavefront6targetE1EEEvSM_.num_named_barrier, 0
	.set _ZN7rocprim17ROCPRIM_400000_NS6detail17trampoline_kernelINS0_14default_configENS1_37merge_sort_block_sort_config_selectorIlNS0_10empty_typeEEEZNS1_21merge_sort_block_sortIS3_PlS8_PS5_S9_ZN2at6native12_GLOBAL__N_124unique_dim_cuda_templateIlEESt5tupleIJNSA_6TensorESF_SF_EERKSF_lbbbEUlllE_EE10hipError_tT0_T1_T2_T3_mRjT4_P12ihipStream_tbNS1_7vsmem_tEEUlT_E_NS1_11comp_targetILNS1_3genE8ELNS1_11target_archE1030ELNS1_3gpuE2ELNS1_3repE0EEENS1_30default_config_static_selectorELNS0_4arch9wavefront6targetE1EEEvSM_.private_seg_size, 0
	.set _ZN7rocprim17ROCPRIM_400000_NS6detail17trampoline_kernelINS0_14default_configENS1_37merge_sort_block_sort_config_selectorIlNS0_10empty_typeEEEZNS1_21merge_sort_block_sortIS3_PlS8_PS5_S9_ZN2at6native12_GLOBAL__N_124unique_dim_cuda_templateIlEESt5tupleIJNSA_6TensorESF_SF_EERKSF_lbbbEUlllE_EE10hipError_tT0_T1_T2_T3_mRjT4_P12ihipStream_tbNS1_7vsmem_tEEUlT_E_NS1_11comp_targetILNS1_3genE8ELNS1_11target_archE1030ELNS1_3gpuE2ELNS1_3repE0EEENS1_30default_config_static_selectorELNS0_4arch9wavefront6targetE1EEEvSM_.uses_vcc, 0
	.set _ZN7rocprim17ROCPRIM_400000_NS6detail17trampoline_kernelINS0_14default_configENS1_37merge_sort_block_sort_config_selectorIlNS0_10empty_typeEEEZNS1_21merge_sort_block_sortIS3_PlS8_PS5_S9_ZN2at6native12_GLOBAL__N_124unique_dim_cuda_templateIlEESt5tupleIJNSA_6TensorESF_SF_EERKSF_lbbbEUlllE_EE10hipError_tT0_T1_T2_T3_mRjT4_P12ihipStream_tbNS1_7vsmem_tEEUlT_E_NS1_11comp_targetILNS1_3genE8ELNS1_11target_archE1030ELNS1_3gpuE2ELNS1_3repE0EEENS1_30default_config_static_selectorELNS0_4arch9wavefront6targetE1EEEvSM_.uses_flat_scratch, 0
	.set _ZN7rocprim17ROCPRIM_400000_NS6detail17trampoline_kernelINS0_14default_configENS1_37merge_sort_block_sort_config_selectorIlNS0_10empty_typeEEEZNS1_21merge_sort_block_sortIS3_PlS8_PS5_S9_ZN2at6native12_GLOBAL__N_124unique_dim_cuda_templateIlEESt5tupleIJNSA_6TensorESF_SF_EERKSF_lbbbEUlllE_EE10hipError_tT0_T1_T2_T3_mRjT4_P12ihipStream_tbNS1_7vsmem_tEEUlT_E_NS1_11comp_targetILNS1_3genE8ELNS1_11target_archE1030ELNS1_3gpuE2ELNS1_3repE0EEENS1_30default_config_static_selectorELNS0_4arch9wavefront6targetE1EEEvSM_.has_dyn_sized_stack, 0
	.set _ZN7rocprim17ROCPRIM_400000_NS6detail17trampoline_kernelINS0_14default_configENS1_37merge_sort_block_sort_config_selectorIlNS0_10empty_typeEEEZNS1_21merge_sort_block_sortIS3_PlS8_PS5_S9_ZN2at6native12_GLOBAL__N_124unique_dim_cuda_templateIlEESt5tupleIJNSA_6TensorESF_SF_EERKSF_lbbbEUlllE_EE10hipError_tT0_T1_T2_T3_mRjT4_P12ihipStream_tbNS1_7vsmem_tEEUlT_E_NS1_11comp_targetILNS1_3genE8ELNS1_11target_archE1030ELNS1_3gpuE2ELNS1_3repE0EEENS1_30default_config_static_selectorELNS0_4arch9wavefront6targetE1EEEvSM_.has_recursion, 0
	.set _ZN7rocprim17ROCPRIM_400000_NS6detail17trampoline_kernelINS0_14default_configENS1_37merge_sort_block_sort_config_selectorIlNS0_10empty_typeEEEZNS1_21merge_sort_block_sortIS3_PlS8_PS5_S9_ZN2at6native12_GLOBAL__N_124unique_dim_cuda_templateIlEESt5tupleIJNSA_6TensorESF_SF_EERKSF_lbbbEUlllE_EE10hipError_tT0_T1_T2_T3_mRjT4_P12ihipStream_tbNS1_7vsmem_tEEUlT_E_NS1_11comp_targetILNS1_3genE8ELNS1_11target_archE1030ELNS1_3gpuE2ELNS1_3repE0EEENS1_30default_config_static_selectorELNS0_4arch9wavefront6targetE1EEEvSM_.has_indirect_call, 0
	.section	.AMDGPU.csdata,"",@progbits
; Kernel info:
; codeLenInByte = 0
; TotalNumSgprs: 6
; NumVgprs: 0
; NumAgprs: 0
; TotalNumVgprs: 0
; ScratchSize: 0
; MemoryBound: 0
; FloatMode: 240
; IeeeMode: 1
; LDSByteSize: 0 bytes/workgroup (compile time only)
; SGPRBlocks: 0
; VGPRBlocks: 0
; NumSGPRsForWavesPerEU: 6
; NumVGPRsForWavesPerEU: 1
; AccumOffset: 4
; Occupancy: 8
; WaveLimiterHint : 0
; COMPUTE_PGM_RSRC2:SCRATCH_EN: 0
; COMPUTE_PGM_RSRC2:USER_SGPR: 2
; COMPUTE_PGM_RSRC2:TRAP_HANDLER: 0
; COMPUTE_PGM_RSRC2:TGID_X_EN: 1
; COMPUTE_PGM_RSRC2:TGID_Y_EN: 0
; COMPUTE_PGM_RSRC2:TGID_Z_EN: 0
; COMPUTE_PGM_RSRC2:TIDIG_COMP_CNT: 0
; COMPUTE_PGM_RSRC3_GFX90A:ACCUM_OFFSET: 0
; COMPUTE_PGM_RSRC3_GFX90A:TG_SPLIT: 0
	.section	.text._ZN7rocprim17ROCPRIM_400000_NS6detail17trampoline_kernelINS0_14default_configENS1_38merge_sort_block_merge_config_selectorIlNS0_10empty_typeEEEZZNS1_27merge_sort_block_merge_implIS3_PlPS5_mZN2at6native12_GLOBAL__N_124unique_dim_cuda_templateIlEESt5tupleIJNSA_6TensorESF_SF_EERKSF_lbbbEUlllE_EE10hipError_tT0_T1_T2_jT3_P12ihipStream_tbPNSt15iterator_traitsISL_E10value_typeEPNSR_ISM_E10value_typeEPSN_NS1_7vsmem_tEENKUlT_SL_SM_SN_E_clIS8_S8_S9_S9_EESK_S10_SL_SM_SN_EUlS10_E_NS1_11comp_targetILNS1_3genE0ELNS1_11target_archE4294967295ELNS1_3gpuE0ELNS1_3repE0EEENS1_48merge_mergepath_partition_config_static_selectorELNS0_4arch9wavefront6targetE1EEEvSM_,"axG",@progbits,_ZN7rocprim17ROCPRIM_400000_NS6detail17trampoline_kernelINS0_14default_configENS1_38merge_sort_block_merge_config_selectorIlNS0_10empty_typeEEEZZNS1_27merge_sort_block_merge_implIS3_PlPS5_mZN2at6native12_GLOBAL__N_124unique_dim_cuda_templateIlEESt5tupleIJNSA_6TensorESF_SF_EERKSF_lbbbEUlllE_EE10hipError_tT0_T1_T2_jT3_P12ihipStream_tbPNSt15iterator_traitsISL_E10value_typeEPNSR_ISM_E10value_typeEPSN_NS1_7vsmem_tEENKUlT_SL_SM_SN_E_clIS8_S8_S9_S9_EESK_S10_SL_SM_SN_EUlS10_E_NS1_11comp_targetILNS1_3genE0ELNS1_11target_archE4294967295ELNS1_3gpuE0ELNS1_3repE0EEENS1_48merge_mergepath_partition_config_static_selectorELNS0_4arch9wavefront6targetE1EEEvSM_,comdat
	.globl	_ZN7rocprim17ROCPRIM_400000_NS6detail17trampoline_kernelINS0_14default_configENS1_38merge_sort_block_merge_config_selectorIlNS0_10empty_typeEEEZZNS1_27merge_sort_block_merge_implIS3_PlPS5_mZN2at6native12_GLOBAL__N_124unique_dim_cuda_templateIlEESt5tupleIJNSA_6TensorESF_SF_EERKSF_lbbbEUlllE_EE10hipError_tT0_T1_T2_jT3_P12ihipStream_tbPNSt15iterator_traitsISL_E10value_typeEPNSR_ISM_E10value_typeEPSN_NS1_7vsmem_tEENKUlT_SL_SM_SN_E_clIS8_S8_S9_S9_EESK_S10_SL_SM_SN_EUlS10_E_NS1_11comp_targetILNS1_3genE0ELNS1_11target_archE4294967295ELNS1_3gpuE0ELNS1_3repE0EEENS1_48merge_mergepath_partition_config_static_selectorELNS0_4arch9wavefront6targetE1EEEvSM_ ; -- Begin function _ZN7rocprim17ROCPRIM_400000_NS6detail17trampoline_kernelINS0_14default_configENS1_38merge_sort_block_merge_config_selectorIlNS0_10empty_typeEEEZZNS1_27merge_sort_block_merge_implIS3_PlPS5_mZN2at6native12_GLOBAL__N_124unique_dim_cuda_templateIlEESt5tupleIJNSA_6TensorESF_SF_EERKSF_lbbbEUlllE_EE10hipError_tT0_T1_T2_jT3_P12ihipStream_tbPNSt15iterator_traitsISL_E10value_typeEPNSR_ISM_E10value_typeEPSN_NS1_7vsmem_tEENKUlT_SL_SM_SN_E_clIS8_S8_S9_S9_EESK_S10_SL_SM_SN_EUlS10_E_NS1_11comp_targetILNS1_3genE0ELNS1_11target_archE4294967295ELNS1_3gpuE0ELNS1_3repE0EEENS1_48merge_mergepath_partition_config_static_selectorELNS0_4arch9wavefront6targetE1EEEvSM_
	.p2align	8
	.type	_ZN7rocprim17ROCPRIM_400000_NS6detail17trampoline_kernelINS0_14default_configENS1_38merge_sort_block_merge_config_selectorIlNS0_10empty_typeEEEZZNS1_27merge_sort_block_merge_implIS3_PlPS5_mZN2at6native12_GLOBAL__N_124unique_dim_cuda_templateIlEESt5tupleIJNSA_6TensorESF_SF_EERKSF_lbbbEUlllE_EE10hipError_tT0_T1_T2_jT3_P12ihipStream_tbPNSt15iterator_traitsISL_E10value_typeEPNSR_ISM_E10value_typeEPSN_NS1_7vsmem_tEENKUlT_SL_SM_SN_E_clIS8_S8_S9_S9_EESK_S10_SL_SM_SN_EUlS10_E_NS1_11comp_targetILNS1_3genE0ELNS1_11target_archE4294967295ELNS1_3gpuE0ELNS1_3repE0EEENS1_48merge_mergepath_partition_config_static_selectorELNS0_4arch9wavefront6targetE1EEEvSM_,@function
_ZN7rocprim17ROCPRIM_400000_NS6detail17trampoline_kernelINS0_14default_configENS1_38merge_sort_block_merge_config_selectorIlNS0_10empty_typeEEEZZNS1_27merge_sort_block_merge_implIS3_PlPS5_mZN2at6native12_GLOBAL__N_124unique_dim_cuda_templateIlEESt5tupleIJNSA_6TensorESF_SF_EERKSF_lbbbEUlllE_EE10hipError_tT0_T1_T2_jT3_P12ihipStream_tbPNSt15iterator_traitsISL_E10value_typeEPNSR_ISM_E10value_typeEPSN_NS1_7vsmem_tEENKUlT_SL_SM_SN_E_clIS8_S8_S9_S9_EESK_S10_SL_SM_SN_EUlS10_E_NS1_11comp_targetILNS1_3genE0ELNS1_11target_archE4294967295ELNS1_3gpuE0ELNS1_3repE0EEENS1_48merge_mergepath_partition_config_static_selectorELNS0_4arch9wavefront6targetE1EEEvSM_: ; @_ZN7rocprim17ROCPRIM_400000_NS6detail17trampoline_kernelINS0_14default_configENS1_38merge_sort_block_merge_config_selectorIlNS0_10empty_typeEEEZZNS1_27merge_sort_block_merge_implIS3_PlPS5_mZN2at6native12_GLOBAL__N_124unique_dim_cuda_templateIlEESt5tupleIJNSA_6TensorESF_SF_EERKSF_lbbbEUlllE_EE10hipError_tT0_T1_T2_jT3_P12ihipStream_tbPNSt15iterator_traitsISL_E10value_typeEPNSR_ISM_E10value_typeEPSN_NS1_7vsmem_tEENKUlT_SL_SM_SN_E_clIS8_S8_S9_S9_EESK_S10_SL_SM_SN_EUlS10_E_NS1_11comp_targetILNS1_3genE0ELNS1_11target_archE4294967295ELNS1_3gpuE0ELNS1_3repE0EEENS1_48merge_mergepath_partition_config_static_selectorELNS0_4arch9wavefront6targetE1EEEvSM_
; %bb.0:
	s_load_dword s3, s[0:1], 0x0
	v_lshl_or_b32 v0, s2, 7, v0
	s_waitcnt lgkmcnt(0)
	v_cmp_gt_u32_e32 vcc, s3, v0
	s_and_saveexec_b64 s[2:3], vcc
	s_cbranch_execz .LBB514_12
; %bb.1:
	s_load_dwordx4 s[12:15], s[0:1], 0x8
	s_load_dwordx8 s[4:11], s[0:1], 0x18
	v_mov_b32_e32 v5, 0
	v_mov_b32_e32 v7, v5
	s_waitcnt lgkmcnt(0)
	s_lshr_b64 s[0:1], s[12:13], 9
	s_and_b32 s0, s0, -2
	s_add_i32 s1, s0, -1
	s_sub_i32 s0, 0, s0
	v_and_b32_e32 v4, s0, v0
	v_lshlrev_b64 v[8:9], 10, v[4:5]
	v_mov_b32_e32 v1, s15
	v_cmp_lt_u64_e32 vcc, s[14:15], v[8:9]
	v_mov_b32_e32 v4, s14
	v_and_b32_e32 v6, s1, v0
	v_cndmask_b32_e32 v3, v9, v1, vcc
	v_cndmask_b32_e32 v2, v8, v4, vcc
	v_lshl_add_u64 v[8:9], v[8:9], 0, s[12:13]
	v_cmp_lt_u64_e32 vcc, s[14:15], v[8:9]
	s_nop 1
	v_cndmask_b32_e32 v11, v9, v1, vcc
	v_cndmask_b32_e32 v10, v8, v4, vcc
	v_lshl_add_u64 v[8:9], v[10:11], 0, s[12:13]
	v_cmp_lt_u64_e32 vcc, s[14:15], v[8:9]
	s_nop 1
	v_cndmask_b32_e32 v14, v8, v4, vcc
	v_cndmask_b32_e32 v1, v9, v1, vcc
	v_sub_co_u32_e32 v8, vcc, v14, v2
	v_lshlrev_b64 v[4:5], 10, v[6:7]
	s_nop 0
	v_subb_co_u32_e32 v9, vcc, v1, v3, vcc
	v_cmp_lt_u64_e32 vcc, v[8:9], v[4:5]
	s_nop 1
	v_cndmask_b32_e32 v13, v5, v9, vcc
	v_cndmask_b32_e32 v12, v4, v8, vcc
	v_sub_co_u32_e32 v6, vcc, v10, v2
	s_nop 1
	v_subb_co_u32_e32 v7, vcc, v11, v3, vcc
	v_sub_co_u32_e32 v4, vcc, v10, v14
	s_nop 1
	v_subb_co_u32_e32 v5, vcc, v11, v1, vcc
	v_lshl_add_u64 v[4:5], v[12:13], 0, v[4:5]
	v_cmp_gt_u64_e32 vcc, v[4:5], v[12:13]
	s_nop 1
	v_cndmask_b32_e64 v5, v5, 0, vcc
	v_cndmask_b32_e64 v4, v4, 0, vcc
	v_cmp_lt_u64_e32 vcc, v[12:13], v[6:7]
	s_nop 1
	v_cndmask_b32_e32 v7, v7, v13, vcc
	v_cndmask_b32_e32 v6, v6, v12, vcc
	v_cmp_lt_u64_e32 vcc, v[4:5], v[6:7]
	s_and_saveexec_b64 s[12:13], vcc
	s_cbranch_execz .LBB514_11
; %bb.2:
	v_cmp_gt_i64_e64 s[0:1], s[6:7], 0
	v_lshl_add_u64 v[10:11], v[10:11], 3, s[4:5]
	v_lshl_add_u64 v[8:9], v[2:3], 3, s[4:5]
	v_cndmask_b32_e64 v1, 0, 1, s[0:1]
	v_lshl_add_u64 v[10:11], v[12:13], 3, v[10:11]
	s_mov_b64 s[14:15], 0
	s_lshl_b64 s[16:17], s[6:7], 3
	v_cmp_ne_u32_e64 s[0:1], 1, v1
	s_branch .LBB514_5
.LBB514_3:                              ;   in Loop: Header=BB514_5 Depth=1
	s_or_b64 exec, exec, s[20:21]
.LBB514_4:                              ;   in Loop: Header=BB514_5 Depth=1
	v_lshl_add_u64 v[14:15], v[12:13], 0, 1
	v_cndmask_b32_e64 v7, v7, v13, s[18:19]
	v_cndmask_b32_e64 v6, v6, v12, s[18:19]
	;; [unrolled: 1-line block ×4, first 2 shown]
	v_cmp_ge_u64_e32 vcc, v[4:5], v[6:7]
	s_or_b64 s[14:15], vcc, s[14:15]
	s_andn2_b64 exec, exec, s[14:15]
	s_cbranch_execz .LBB514_10
.LBB514_5:                              ; =>This Loop Header: Depth=1
                                        ;     Child Loop BB514_8 Depth 2
	v_lshl_add_u64 v[12:13], v[6:7], 0, v[4:5]
	v_lshrrev_b64 v[12:13], 1, v[12:13]
	s_and_b64 vcc, exec, s[0:1]
	s_mov_b64 s[18:19], 0
	s_cbranch_vccnz .LBB514_4
; %bb.6:                                ;   in Loop: Header=BB514_5 Depth=1
	v_not_b32_e32 v15, v13
	v_not_b32_e32 v14, v12
	v_lshl_add_u64 v[14:15], v[14:15], 3, v[10:11]
	v_lshl_add_u64 v[16:17], v[12:13], 3, v[8:9]
	global_load_dwordx2 v[14:15], v[14:15], off
	v_mov_b64_e32 v[18:19], s[8:9]
	global_load_dwordx2 v[16:17], v[16:17], off
	s_mov_b64 s[20:21], 0
	s_mov_b64 s[24:25], s[6:7]
                                        ; implicit-def: $sgpr18_sgpr19
                                        ; implicit-def: $sgpr22_sgpr23
                                        ; implicit-def: $sgpr2_sgpr3
                                        ; implicit-def: $sgpr26_sgpr27
	s_waitcnt vmcnt(1)
	v_mul_lo_u32 v1, s16, v15
	v_mul_lo_u32 v20, s17, v14
	v_mad_u64_u32 v[14:15], s[4:5], s16, v14, v[18:19]
	s_waitcnt vmcnt(0)
	v_mul_lo_u32 v21, s16, v17
	v_mul_lo_u32 v22, s17, v16
	v_mad_u64_u32 v[16:17], s[4:5], s16, v16, v[18:19]
	v_add3_u32 v15, v20, v15, v1
	v_add3_u32 v17, v22, v17, v21
	s_branch .LBB514_8
.LBB514_7:                              ;   in Loop: Header=BB514_8 Depth=2
	s_or_b64 exec, exec, s[30:31]
	s_and_b64 s[4:5], exec, s[22:23]
	s_or_b64 s[20:21], s[4:5], s[20:21]
	s_andn2_b64 s[4:5], s[26:27], exec
	s_and_b64 s[26:27], s[28:29], exec
	s_or_b64 s[26:27], s[4:5], s[26:27]
	s_andn2_b64 s[4:5], s[18:19], exec
	s_and_b64 s[18:19], s[2:3], exec
	s_or_b64 s[18:19], s[4:5], s[18:19]
	s_andn2_b64 exec, exec, s[20:21]
	s_cbranch_execz .LBB514_3
.LBB514_8:                              ;   Parent Loop BB514_5 Depth=1
                                        ; =>  This Inner Loop Header: Depth=2
	global_load_dwordx2 v[18:19], v[14:15], off
	global_load_dwordx2 v[20:21], v[16:17], off
	s_andn2_b64 s[30:31], s[2:3], exec
	s_or_b64 s[22:23], s[22:23], exec
	s_waitcnt vmcnt(0)
	v_cmp_le_i64_e64 s[2:3], v[18:19], v[20:21]
	v_cmp_lt_i64_e32 vcc, v[18:19], v[20:21]
	s_and_b64 s[2:3], s[2:3], s[26:27]
	s_or_b64 s[28:29], vcc, s[2:3]
	s_and_b64 s[2:3], s[28:29], exec
	v_cmp_eq_u64_e64 s[4:5], v[18:19], v[20:21]
	s_or_b64 s[2:3], s[30:31], s[2:3]
	s_and_saveexec_b64 s[30:31], s[4:5]
	s_cbranch_execz .LBB514_7
; %bb.9:                                ;   in Loop: Header=BB514_8 Depth=2
	s_add_u32 s24, s24, -1
	s_addc_u32 s25, s25, -1
	s_cmp_eq_u64 s[24:25], 0
	s_cselect_b64 s[4:5], -1, 0
	s_andn2_b64 s[22:23], s[22:23], exec
	s_and_b64 s[4:5], s[4:5], exec
	v_lshl_add_u64 v[14:15], v[14:15], 0, 8
	v_lshl_add_u64 v[16:17], v[16:17], 0, 8
	s_andn2_b64 s[2:3], s[2:3], exec
	s_or_b64 s[22:23], s[22:23], s[4:5]
                                        ; implicit-def: $sgpr26_sgpr27
	s_branch .LBB514_7
.LBB514_10:
	s_or_b64 exec, exec, s[14:15]
.LBB514_11:
	s_or_b64 exec, exec, s[12:13]
	v_mov_b32_e32 v6, s10
	v_mov_b32_e32 v7, s11
	;; [unrolled: 1-line block ×3, first 2 shown]
	v_lshl_add_u64 v[2:3], v[4:5], 0, v[2:3]
	v_lshl_add_u64 v[0:1], v[0:1], 3, v[6:7]
	global_store_dwordx2 v[0:1], v[2:3], off
.LBB514_12:
	s_endpgm
	.section	.rodata,"a",@progbits
	.p2align	6, 0x0
	.amdhsa_kernel _ZN7rocprim17ROCPRIM_400000_NS6detail17trampoline_kernelINS0_14default_configENS1_38merge_sort_block_merge_config_selectorIlNS0_10empty_typeEEEZZNS1_27merge_sort_block_merge_implIS3_PlPS5_mZN2at6native12_GLOBAL__N_124unique_dim_cuda_templateIlEESt5tupleIJNSA_6TensorESF_SF_EERKSF_lbbbEUlllE_EE10hipError_tT0_T1_T2_jT3_P12ihipStream_tbPNSt15iterator_traitsISL_E10value_typeEPNSR_ISM_E10value_typeEPSN_NS1_7vsmem_tEENKUlT_SL_SM_SN_E_clIS8_S8_S9_S9_EESK_S10_SL_SM_SN_EUlS10_E_NS1_11comp_targetILNS1_3genE0ELNS1_11target_archE4294967295ELNS1_3gpuE0ELNS1_3repE0EEENS1_48merge_mergepath_partition_config_static_selectorELNS0_4arch9wavefront6targetE1EEEvSM_
		.amdhsa_group_segment_fixed_size 0
		.amdhsa_private_segment_fixed_size 0
		.amdhsa_kernarg_size 56
		.amdhsa_user_sgpr_count 2
		.amdhsa_user_sgpr_dispatch_ptr 0
		.amdhsa_user_sgpr_queue_ptr 0
		.amdhsa_user_sgpr_kernarg_segment_ptr 1
		.amdhsa_user_sgpr_dispatch_id 0
		.amdhsa_user_sgpr_kernarg_preload_length 0
		.amdhsa_user_sgpr_kernarg_preload_offset 0
		.amdhsa_user_sgpr_private_segment_size 0
		.amdhsa_uses_dynamic_stack 0
		.amdhsa_enable_private_segment 0
		.amdhsa_system_sgpr_workgroup_id_x 1
		.amdhsa_system_sgpr_workgroup_id_y 0
		.amdhsa_system_sgpr_workgroup_id_z 0
		.amdhsa_system_sgpr_workgroup_info 0
		.amdhsa_system_vgpr_workitem_id 0
		.amdhsa_next_free_vgpr 23
		.amdhsa_next_free_sgpr 32
		.amdhsa_accum_offset 24
		.amdhsa_reserve_vcc 1
		.amdhsa_float_round_mode_32 0
		.amdhsa_float_round_mode_16_64 0
		.amdhsa_float_denorm_mode_32 3
		.amdhsa_float_denorm_mode_16_64 3
		.amdhsa_dx10_clamp 1
		.amdhsa_ieee_mode 1
		.amdhsa_fp16_overflow 0
		.amdhsa_tg_split 0
		.amdhsa_exception_fp_ieee_invalid_op 0
		.amdhsa_exception_fp_denorm_src 0
		.amdhsa_exception_fp_ieee_div_zero 0
		.amdhsa_exception_fp_ieee_overflow 0
		.amdhsa_exception_fp_ieee_underflow 0
		.amdhsa_exception_fp_ieee_inexact 0
		.amdhsa_exception_int_div_zero 0
	.end_amdhsa_kernel
	.section	.text._ZN7rocprim17ROCPRIM_400000_NS6detail17trampoline_kernelINS0_14default_configENS1_38merge_sort_block_merge_config_selectorIlNS0_10empty_typeEEEZZNS1_27merge_sort_block_merge_implIS3_PlPS5_mZN2at6native12_GLOBAL__N_124unique_dim_cuda_templateIlEESt5tupleIJNSA_6TensorESF_SF_EERKSF_lbbbEUlllE_EE10hipError_tT0_T1_T2_jT3_P12ihipStream_tbPNSt15iterator_traitsISL_E10value_typeEPNSR_ISM_E10value_typeEPSN_NS1_7vsmem_tEENKUlT_SL_SM_SN_E_clIS8_S8_S9_S9_EESK_S10_SL_SM_SN_EUlS10_E_NS1_11comp_targetILNS1_3genE0ELNS1_11target_archE4294967295ELNS1_3gpuE0ELNS1_3repE0EEENS1_48merge_mergepath_partition_config_static_selectorELNS0_4arch9wavefront6targetE1EEEvSM_,"axG",@progbits,_ZN7rocprim17ROCPRIM_400000_NS6detail17trampoline_kernelINS0_14default_configENS1_38merge_sort_block_merge_config_selectorIlNS0_10empty_typeEEEZZNS1_27merge_sort_block_merge_implIS3_PlPS5_mZN2at6native12_GLOBAL__N_124unique_dim_cuda_templateIlEESt5tupleIJNSA_6TensorESF_SF_EERKSF_lbbbEUlllE_EE10hipError_tT0_T1_T2_jT3_P12ihipStream_tbPNSt15iterator_traitsISL_E10value_typeEPNSR_ISM_E10value_typeEPSN_NS1_7vsmem_tEENKUlT_SL_SM_SN_E_clIS8_S8_S9_S9_EESK_S10_SL_SM_SN_EUlS10_E_NS1_11comp_targetILNS1_3genE0ELNS1_11target_archE4294967295ELNS1_3gpuE0ELNS1_3repE0EEENS1_48merge_mergepath_partition_config_static_selectorELNS0_4arch9wavefront6targetE1EEEvSM_,comdat
.Lfunc_end514:
	.size	_ZN7rocprim17ROCPRIM_400000_NS6detail17trampoline_kernelINS0_14default_configENS1_38merge_sort_block_merge_config_selectorIlNS0_10empty_typeEEEZZNS1_27merge_sort_block_merge_implIS3_PlPS5_mZN2at6native12_GLOBAL__N_124unique_dim_cuda_templateIlEESt5tupleIJNSA_6TensorESF_SF_EERKSF_lbbbEUlllE_EE10hipError_tT0_T1_T2_jT3_P12ihipStream_tbPNSt15iterator_traitsISL_E10value_typeEPNSR_ISM_E10value_typeEPSN_NS1_7vsmem_tEENKUlT_SL_SM_SN_E_clIS8_S8_S9_S9_EESK_S10_SL_SM_SN_EUlS10_E_NS1_11comp_targetILNS1_3genE0ELNS1_11target_archE4294967295ELNS1_3gpuE0ELNS1_3repE0EEENS1_48merge_mergepath_partition_config_static_selectorELNS0_4arch9wavefront6targetE1EEEvSM_, .Lfunc_end514-_ZN7rocprim17ROCPRIM_400000_NS6detail17trampoline_kernelINS0_14default_configENS1_38merge_sort_block_merge_config_selectorIlNS0_10empty_typeEEEZZNS1_27merge_sort_block_merge_implIS3_PlPS5_mZN2at6native12_GLOBAL__N_124unique_dim_cuda_templateIlEESt5tupleIJNSA_6TensorESF_SF_EERKSF_lbbbEUlllE_EE10hipError_tT0_T1_T2_jT3_P12ihipStream_tbPNSt15iterator_traitsISL_E10value_typeEPNSR_ISM_E10value_typeEPSN_NS1_7vsmem_tEENKUlT_SL_SM_SN_E_clIS8_S8_S9_S9_EESK_S10_SL_SM_SN_EUlS10_E_NS1_11comp_targetILNS1_3genE0ELNS1_11target_archE4294967295ELNS1_3gpuE0ELNS1_3repE0EEENS1_48merge_mergepath_partition_config_static_selectorELNS0_4arch9wavefront6targetE1EEEvSM_
                                        ; -- End function
	.set _ZN7rocprim17ROCPRIM_400000_NS6detail17trampoline_kernelINS0_14default_configENS1_38merge_sort_block_merge_config_selectorIlNS0_10empty_typeEEEZZNS1_27merge_sort_block_merge_implIS3_PlPS5_mZN2at6native12_GLOBAL__N_124unique_dim_cuda_templateIlEESt5tupleIJNSA_6TensorESF_SF_EERKSF_lbbbEUlllE_EE10hipError_tT0_T1_T2_jT3_P12ihipStream_tbPNSt15iterator_traitsISL_E10value_typeEPNSR_ISM_E10value_typeEPSN_NS1_7vsmem_tEENKUlT_SL_SM_SN_E_clIS8_S8_S9_S9_EESK_S10_SL_SM_SN_EUlS10_E_NS1_11comp_targetILNS1_3genE0ELNS1_11target_archE4294967295ELNS1_3gpuE0ELNS1_3repE0EEENS1_48merge_mergepath_partition_config_static_selectorELNS0_4arch9wavefront6targetE1EEEvSM_.num_vgpr, 23
	.set _ZN7rocprim17ROCPRIM_400000_NS6detail17trampoline_kernelINS0_14default_configENS1_38merge_sort_block_merge_config_selectorIlNS0_10empty_typeEEEZZNS1_27merge_sort_block_merge_implIS3_PlPS5_mZN2at6native12_GLOBAL__N_124unique_dim_cuda_templateIlEESt5tupleIJNSA_6TensorESF_SF_EERKSF_lbbbEUlllE_EE10hipError_tT0_T1_T2_jT3_P12ihipStream_tbPNSt15iterator_traitsISL_E10value_typeEPNSR_ISM_E10value_typeEPSN_NS1_7vsmem_tEENKUlT_SL_SM_SN_E_clIS8_S8_S9_S9_EESK_S10_SL_SM_SN_EUlS10_E_NS1_11comp_targetILNS1_3genE0ELNS1_11target_archE4294967295ELNS1_3gpuE0ELNS1_3repE0EEENS1_48merge_mergepath_partition_config_static_selectorELNS0_4arch9wavefront6targetE1EEEvSM_.num_agpr, 0
	.set _ZN7rocprim17ROCPRIM_400000_NS6detail17trampoline_kernelINS0_14default_configENS1_38merge_sort_block_merge_config_selectorIlNS0_10empty_typeEEEZZNS1_27merge_sort_block_merge_implIS3_PlPS5_mZN2at6native12_GLOBAL__N_124unique_dim_cuda_templateIlEESt5tupleIJNSA_6TensorESF_SF_EERKSF_lbbbEUlllE_EE10hipError_tT0_T1_T2_jT3_P12ihipStream_tbPNSt15iterator_traitsISL_E10value_typeEPNSR_ISM_E10value_typeEPSN_NS1_7vsmem_tEENKUlT_SL_SM_SN_E_clIS8_S8_S9_S9_EESK_S10_SL_SM_SN_EUlS10_E_NS1_11comp_targetILNS1_3genE0ELNS1_11target_archE4294967295ELNS1_3gpuE0ELNS1_3repE0EEENS1_48merge_mergepath_partition_config_static_selectorELNS0_4arch9wavefront6targetE1EEEvSM_.numbered_sgpr, 32
	.set _ZN7rocprim17ROCPRIM_400000_NS6detail17trampoline_kernelINS0_14default_configENS1_38merge_sort_block_merge_config_selectorIlNS0_10empty_typeEEEZZNS1_27merge_sort_block_merge_implIS3_PlPS5_mZN2at6native12_GLOBAL__N_124unique_dim_cuda_templateIlEESt5tupleIJNSA_6TensorESF_SF_EERKSF_lbbbEUlllE_EE10hipError_tT0_T1_T2_jT3_P12ihipStream_tbPNSt15iterator_traitsISL_E10value_typeEPNSR_ISM_E10value_typeEPSN_NS1_7vsmem_tEENKUlT_SL_SM_SN_E_clIS8_S8_S9_S9_EESK_S10_SL_SM_SN_EUlS10_E_NS1_11comp_targetILNS1_3genE0ELNS1_11target_archE4294967295ELNS1_3gpuE0ELNS1_3repE0EEENS1_48merge_mergepath_partition_config_static_selectorELNS0_4arch9wavefront6targetE1EEEvSM_.num_named_barrier, 0
	.set _ZN7rocprim17ROCPRIM_400000_NS6detail17trampoline_kernelINS0_14default_configENS1_38merge_sort_block_merge_config_selectorIlNS0_10empty_typeEEEZZNS1_27merge_sort_block_merge_implIS3_PlPS5_mZN2at6native12_GLOBAL__N_124unique_dim_cuda_templateIlEESt5tupleIJNSA_6TensorESF_SF_EERKSF_lbbbEUlllE_EE10hipError_tT0_T1_T2_jT3_P12ihipStream_tbPNSt15iterator_traitsISL_E10value_typeEPNSR_ISM_E10value_typeEPSN_NS1_7vsmem_tEENKUlT_SL_SM_SN_E_clIS8_S8_S9_S9_EESK_S10_SL_SM_SN_EUlS10_E_NS1_11comp_targetILNS1_3genE0ELNS1_11target_archE4294967295ELNS1_3gpuE0ELNS1_3repE0EEENS1_48merge_mergepath_partition_config_static_selectorELNS0_4arch9wavefront6targetE1EEEvSM_.private_seg_size, 0
	.set _ZN7rocprim17ROCPRIM_400000_NS6detail17trampoline_kernelINS0_14default_configENS1_38merge_sort_block_merge_config_selectorIlNS0_10empty_typeEEEZZNS1_27merge_sort_block_merge_implIS3_PlPS5_mZN2at6native12_GLOBAL__N_124unique_dim_cuda_templateIlEESt5tupleIJNSA_6TensorESF_SF_EERKSF_lbbbEUlllE_EE10hipError_tT0_T1_T2_jT3_P12ihipStream_tbPNSt15iterator_traitsISL_E10value_typeEPNSR_ISM_E10value_typeEPSN_NS1_7vsmem_tEENKUlT_SL_SM_SN_E_clIS8_S8_S9_S9_EESK_S10_SL_SM_SN_EUlS10_E_NS1_11comp_targetILNS1_3genE0ELNS1_11target_archE4294967295ELNS1_3gpuE0ELNS1_3repE0EEENS1_48merge_mergepath_partition_config_static_selectorELNS0_4arch9wavefront6targetE1EEEvSM_.uses_vcc, 1
	.set _ZN7rocprim17ROCPRIM_400000_NS6detail17trampoline_kernelINS0_14default_configENS1_38merge_sort_block_merge_config_selectorIlNS0_10empty_typeEEEZZNS1_27merge_sort_block_merge_implIS3_PlPS5_mZN2at6native12_GLOBAL__N_124unique_dim_cuda_templateIlEESt5tupleIJNSA_6TensorESF_SF_EERKSF_lbbbEUlllE_EE10hipError_tT0_T1_T2_jT3_P12ihipStream_tbPNSt15iterator_traitsISL_E10value_typeEPNSR_ISM_E10value_typeEPSN_NS1_7vsmem_tEENKUlT_SL_SM_SN_E_clIS8_S8_S9_S9_EESK_S10_SL_SM_SN_EUlS10_E_NS1_11comp_targetILNS1_3genE0ELNS1_11target_archE4294967295ELNS1_3gpuE0ELNS1_3repE0EEENS1_48merge_mergepath_partition_config_static_selectorELNS0_4arch9wavefront6targetE1EEEvSM_.uses_flat_scratch, 0
	.set _ZN7rocprim17ROCPRIM_400000_NS6detail17trampoline_kernelINS0_14default_configENS1_38merge_sort_block_merge_config_selectorIlNS0_10empty_typeEEEZZNS1_27merge_sort_block_merge_implIS3_PlPS5_mZN2at6native12_GLOBAL__N_124unique_dim_cuda_templateIlEESt5tupleIJNSA_6TensorESF_SF_EERKSF_lbbbEUlllE_EE10hipError_tT0_T1_T2_jT3_P12ihipStream_tbPNSt15iterator_traitsISL_E10value_typeEPNSR_ISM_E10value_typeEPSN_NS1_7vsmem_tEENKUlT_SL_SM_SN_E_clIS8_S8_S9_S9_EESK_S10_SL_SM_SN_EUlS10_E_NS1_11comp_targetILNS1_3genE0ELNS1_11target_archE4294967295ELNS1_3gpuE0ELNS1_3repE0EEENS1_48merge_mergepath_partition_config_static_selectorELNS0_4arch9wavefront6targetE1EEEvSM_.has_dyn_sized_stack, 0
	.set _ZN7rocprim17ROCPRIM_400000_NS6detail17trampoline_kernelINS0_14default_configENS1_38merge_sort_block_merge_config_selectorIlNS0_10empty_typeEEEZZNS1_27merge_sort_block_merge_implIS3_PlPS5_mZN2at6native12_GLOBAL__N_124unique_dim_cuda_templateIlEESt5tupleIJNSA_6TensorESF_SF_EERKSF_lbbbEUlllE_EE10hipError_tT0_T1_T2_jT3_P12ihipStream_tbPNSt15iterator_traitsISL_E10value_typeEPNSR_ISM_E10value_typeEPSN_NS1_7vsmem_tEENKUlT_SL_SM_SN_E_clIS8_S8_S9_S9_EESK_S10_SL_SM_SN_EUlS10_E_NS1_11comp_targetILNS1_3genE0ELNS1_11target_archE4294967295ELNS1_3gpuE0ELNS1_3repE0EEENS1_48merge_mergepath_partition_config_static_selectorELNS0_4arch9wavefront6targetE1EEEvSM_.has_recursion, 0
	.set _ZN7rocprim17ROCPRIM_400000_NS6detail17trampoline_kernelINS0_14default_configENS1_38merge_sort_block_merge_config_selectorIlNS0_10empty_typeEEEZZNS1_27merge_sort_block_merge_implIS3_PlPS5_mZN2at6native12_GLOBAL__N_124unique_dim_cuda_templateIlEESt5tupleIJNSA_6TensorESF_SF_EERKSF_lbbbEUlllE_EE10hipError_tT0_T1_T2_jT3_P12ihipStream_tbPNSt15iterator_traitsISL_E10value_typeEPNSR_ISM_E10value_typeEPSN_NS1_7vsmem_tEENKUlT_SL_SM_SN_E_clIS8_S8_S9_S9_EESK_S10_SL_SM_SN_EUlS10_E_NS1_11comp_targetILNS1_3genE0ELNS1_11target_archE4294967295ELNS1_3gpuE0ELNS1_3repE0EEENS1_48merge_mergepath_partition_config_static_selectorELNS0_4arch9wavefront6targetE1EEEvSM_.has_indirect_call, 0
	.section	.AMDGPU.csdata,"",@progbits
; Kernel info:
; codeLenInByte = 772
; TotalNumSgprs: 38
; NumVgprs: 23
; NumAgprs: 0
; TotalNumVgprs: 23
; ScratchSize: 0
; MemoryBound: 0
; FloatMode: 240
; IeeeMode: 1
; LDSByteSize: 0 bytes/workgroup (compile time only)
; SGPRBlocks: 4
; VGPRBlocks: 2
; NumSGPRsForWavesPerEU: 38
; NumVGPRsForWavesPerEU: 23
; AccumOffset: 24
; Occupancy: 8
; WaveLimiterHint : 0
; COMPUTE_PGM_RSRC2:SCRATCH_EN: 0
; COMPUTE_PGM_RSRC2:USER_SGPR: 2
; COMPUTE_PGM_RSRC2:TRAP_HANDLER: 0
; COMPUTE_PGM_RSRC2:TGID_X_EN: 1
; COMPUTE_PGM_RSRC2:TGID_Y_EN: 0
; COMPUTE_PGM_RSRC2:TGID_Z_EN: 0
; COMPUTE_PGM_RSRC2:TIDIG_COMP_CNT: 0
; COMPUTE_PGM_RSRC3_GFX90A:ACCUM_OFFSET: 5
; COMPUTE_PGM_RSRC3_GFX90A:TG_SPLIT: 0
	.section	.text._ZN7rocprim17ROCPRIM_400000_NS6detail17trampoline_kernelINS0_14default_configENS1_38merge_sort_block_merge_config_selectorIlNS0_10empty_typeEEEZZNS1_27merge_sort_block_merge_implIS3_PlPS5_mZN2at6native12_GLOBAL__N_124unique_dim_cuda_templateIlEESt5tupleIJNSA_6TensorESF_SF_EERKSF_lbbbEUlllE_EE10hipError_tT0_T1_T2_jT3_P12ihipStream_tbPNSt15iterator_traitsISL_E10value_typeEPNSR_ISM_E10value_typeEPSN_NS1_7vsmem_tEENKUlT_SL_SM_SN_E_clIS8_S8_S9_S9_EESK_S10_SL_SM_SN_EUlS10_E_NS1_11comp_targetILNS1_3genE10ELNS1_11target_archE1201ELNS1_3gpuE5ELNS1_3repE0EEENS1_48merge_mergepath_partition_config_static_selectorELNS0_4arch9wavefront6targetE1EEEvSM_,"axG",@progbits,_ZN7rocprim17ROCPRIM_400000_NS6detail17trampoline_kernelINS0_14default_configENS1_38merge_sort_block_merge_config_selectorIlNS0_10empty_typeEEEZZNS1_27merge_sort_block_merge_implIS3_PlPS5_mZN2at6native12_GLOBAL__N_124unique_dim_cuda_templateIlEESt5tupleIJNSA_6TensorESF_SF_EERKSF_lbbbEUlllE_EE10hipError_tT0_T1_T2_jT3_P12ihipStream_tbPNSt15iterator_traitsISL_E10value_typeEPNSR_ISM_E10value_typeEPSN_NS1_7vsmem_tEENKUlT_SL_SM_SN_E_clIS8_S8_S9_S9_EESK_S10_SL_SM_SN_EUlS10_E_NS1_11comp_targetILNS1_3genE10ELNS1_11target_archE1201ELNS1_3gpuE5ELNS1_3repE0EEENS1_48merge_mergepath_partition_config_static_selectorELNS0_4arch9wavefront6targetE1EEEvSM_,comdat
	.globl	_ZN7rocprim17ROCPRIM_400000_NS6detail17trampoline_kernelINS0_14default_configENS1_38merge_sort_block_merge_config_selectorIlNS0_10empty_typeEEEZZNS1_27merge_sort_block_merge_implIS3_PlPS5_mZN2at6native12_GLOBAL__N_124unique_dim_cuda_templateIlEESt5tupleIJNSA_6TensorESF_SF_EERKSF_lbbbEUlllE_EE10hipError_tT0_T1_T2_jT3_P12ihipStream_tbPNSt15iterator_traitsISL_E10value_typeEPNSR_ISM_E10value_typeEPSN_NS1_7vsmem_tEENKUlT_SL_SM_SN_E_clIS8_S8_S9_S9_EESK_S10_SL_SM_SN_EUlS10_E_NS1_11comp_targetILNS1_3genE10ELNS1_11target_archE1201ELNS1_3gpuE5ELNS1_3repE0EEENS1_48merge_mergepath_partition_config_static_selectorELNS0_4arch9wavefront6targetE1EEEvSM_ ; -- Begin function _ZN7rocprim17ROCPRIM_400000_NS6detail17trampoline_kernelINS0_14default_configENS1_38merge_sort_block_merge_config_selectorIlNS0_10empty_typeEEEZZNS1_27merge_sort_block_merge_implIS3_PlPS5_mZN2at6native12_GLOBAL__N_124unique_dim_cuda_templateIlEESt5tupleIJNSA_6TensorESF_SF_EERKSF_lbbbEUlllE_EE10hipError_tT0_T1_T2_jT3_P12ihipStream_tbPNSt15iterator_traitsISL_E10value_typeEPNSR_ISM_E10value_typeEPSN_NS1_7vsmem_tEENKUlT_SL_SM_SN_E_clIS8_S8_S9_S9_EESK_S10_SL_SM_SN_EUlS10_E_NS1_11comp_targetILNS1_3genE10ELNS1_11target_archE1201ELNS1_3gpuE5ELNS1_3repE0EEENS1_48merge_mergepath_partition_config_static_selectorELNS0_4arch9wavefront6targetE1EEEvSM_
	.p2align	8
	.type	_ZN7rocprim17ROCPRIM_400000_NS6detail17trampoline_kernelINS0_14default_configENS1_38merge_sort_block_merge_config_selectorIlNS0_10empty_typeEEEZZNS1_27merge_sort_block_merge_implIS3_PlPS5_mZN2at6native12_GLOBAL__N_124unique_dim_cuda_templateIlEESt5tupleIJNSA_6TensorESF_SF_EERKSF_lbbbEUlllE_EE10hipError_tT0_T1_T2_jT3_P12ihipStream_tbPNSt15iterator_traitsISL_E10value_typeEPNSR_ISM_E10value_typeEPSN_NS1_7vsmem_tEENKUlT_SL_SM_SN_E_clIS8_S8_S9_S9_EESK_S10_SL_SM_SN_EUlS10_E_NS1_11comp_targetILNS1_3genE10ELNS1_11target_archE1201ELNS1_3gpuE5ELNS1_3repE0EEENS1_48merge_mergepath_partition_config_static_selectorELNS0_4arch9wavefront6targetE1EEEvSM_,@function
_ZN7rocprim17ROCPRIM_400000_NS6detail17trampoline_kernelINS0_14default_configENS1_38merge_sort_block_merge_config_selectorIlNS0_10empty_typeEEEZZNS1_27merge_sort_block_merge_implIS3_PlPS5_mZN2at6native12_GLOBAL__N_124unique_dim_cuda_templateIlEESt5tupleIJNSA_6TensorESF_SF_EERKSF_lbbbEUlllE_EE10hipError_tT0_T1_T2_jT3_P12ihipStream_tbPNSt15iterator_traitsISL_E10value_typeEPNSR_ISM_E10value_typeEPSN_NS1_7vsmem_tEENKUlT_SL_SM_SN_E_clIS8_S8_S9_S9_EESK_S10_SL_SM_SN_EUlS10_E_NS1_11comp_targetILNS1_3genE10ELNS1_11target_archE1201ELNS1_3gpuE5ELNS1_3repE0EEENS1_48merge_mergepath_partition_config_static_selectorELNS0_4arch9wavefront6targetE1EEEvSM_: ; @_ZN7rocprim17ROCPRIM_400000_NS6detail17trampoline_kernelINS0_14default_configENS1_38merge_sort_block_merge_config_selectorIlNS0_10empty_typeEEEZZNS1_27merge_sort_block_merge_implIS3_PlPS5_mZN2at6native12_GLOBAL__N_124unique_dim_cuda_templateIlEESt5tupleIJNSA_6TensorESF_SF_EERKSF_lbbbEUlllE_EE10hipError_tT0_T1_T2_jT3_P12ihipStream_tbPNSt15iterator_traitsISL_E10value_typeEPNSR_ISM_E10value_typeEPSN_NS1_7vsmem_tEENKUlT_SL_SM_SN_E_clIS8_S8_S9_S9_EESK_S10_SL_SM_SN_EUlS10_E_NS1_11comp_targetILNS1_3genE10ELNS1_11target_archE1201ELNS1_3gpuE5ELNS1_3repE0EEENS1_48merge_mergepath_partition_config_static_selectorELNS0_4arch9wavefront6targetE1EEEvSM_
; %bb.0:
	.section	.rodata,"a",@progbits
	.p2align	6, 0x0
	.amdhsa_kernel _ZN7rocprim17ROCPRIM_400000_NS6detail17trampoline_kernelINS0_14default_configENS1_38merge_sort_block_merge_config_selectorIlNS0_10empty_typeEEEZZNS1_27merge_sort_block_merge_implIS3_PlPS5_mZN2at6native12_GLOBAL__N_124unique_dim_cuda_templateIlEESt5tupleIJNSA_6TensorESF_SF_EERKSF_lbbbEUlllE_EE10hipError_tT0_T1_T2_jT3_P12ihipStream_tbPNSt15iterator_traitsISL_E10value_typeEPNSR_ISM_E10value_typeEPSN_NS1_7vsmem_tEENKUlT_SL_SM_SN_E_clIS8_S8_S9_S9_EESK_S10_SL_SM_SN_EUlS10_E_NS1_11comp_targetILNS1_3genE10ELNS1_11target_archE1201ELNS1_3gpuE5ELNS1_3repE0EEENS1_48merge_mergepath_partition_config_static_selectorELNS0_4arch9wavefront6targetE1EEEvSM_
		.amdhsa_group_segment_fixed_size 0
		.amdhsa_private_segment_fixed_size 0
		.amdhsa_kernarg_size 56
		.amdhsa_user_sgpr_count 2
		.amdhsa_user_sgpr_dispatch_ptr 0
		.amdhsa_user_sgpr_queue_ptr 0
		.amdhsa_user_sgpr_kernarg_segment_ptr 1
		.amdhsa_user_sgpr_dispatch_id 0
		.amdhsa_user_sgpr_kernarg_preload_length 0
		.amdhsa_user_sgpr_kernarg_preload_offset 0
		.amdhsa_user_sgpr_private_segment_size 0
		.amdhsa_uses_dynamic_stack 0
		.amdhsa_enable_private_segment 0
		.amdhsa_system_sgpr_workgroup_id_x 1
		.amdhsa_system_sgpr_workgroup_id_y 0
		.amdhsa_system_sgpr_workgroup_id_z 0
		.amdhsa_system_sgpr_workgroup_info 0
		.amdhsa_system_vgpr_workitem_id 0
		.amdhsa_next_free_vgpr 1
		.amdhsa_next_free_sgpr 0
		.amdhsa_accum_offset 4
		.amdhsa_reserve_vcc 0
		.amdhsa_float_round_mode_32 0
		.amdhsa_float_round_mode_16_64 0
		.amdhsa_float_denorm_mode_32 3
		.amdhsa_float_denorm_mode_16_64 3
		.amdhsa_dx10_clamp 1
		.amdhsa_ieee_mode 1
		.amdhsa_fp16_overflow 0
		.amdhsa_tg_split 0
		.amdhsa_exception_fp_ieee_invalid_op 0
		.amdhsa_exception_fp_denorm_src 0
		.amdhsa_exception_fp_ieee_div_zero 0
		.amdhsa_exception_fp_ieee_overflow 0
		.amdhsa_exception_fp_ieee_underflow 0
		.amdhsa_exception_fp_ieee_inexact 0
		.amdhsa_exception_int_div_zero 0
	.end_amdhsa_kernel
	.section	.text._ZN7rocprim17ROCPRIM_400000_NS6detail17trampoline_kernelINS0_14default_configENS1_38merge_sort_block_merge_config_selectorIlNS0_10empty_typeEEEZZNS1_27merge_sort_block_merge_implIS3_PlPS5_mZN2at6native12_GLOBAL__N_124unique_dim_cuda_templateIlEESt5tupleIJNSA_6TensorESF_SF_EERKSF_lbbbEUlllE_EE10hipError_tT0_T1_T2_jT3_P12ihipStream_tbPNSt15iterator_traitsISL_E10value_typeEPNSR_ISM_E10value_typeEPSN_NS1_7vsmem_tEENKUlT_SL_SM_SN_E_clIS8_S8_S9_S9_EESK_S10_SL_SM_SN_EUlS10_E_NS1_11comp_targetILNS1_3genE10ELNS1_11target_archE1201ELNS1_3gpuE5ELNS1_3repE0EEENS1_48merge_mergepath_partition_config_static_selectorELNS0_4arch9wavefront6targetE1EEEvSM_,"axG",@progbits,_ZN7rocprim17ROCPRIM_400000_NS6detail17trampoline_kernelINS0_14default_configENS1_38merge_sort_block_merge_config_selectorIlNS0_10empty_typeEEEZZNS1_27merge_sort_block_merge_implIS3_PlPS5_mZN2at6native12_GLOBAL__N_124unique_dim_cuda_templateIlEESt5tupleIJNSA_6TensorESF_SF_EERKSF_lbbbEUlllE_EE10hipError_tT0_T1_T2_jT3_P12ihipStream_tbPNSt15iterator_traitsISL_E10value_typeEPNSR_ISM_E10value_typeEPSN_NS1_7vsmem_tEENKUlT_SL_SM_SN_E_clIS8_S8_S9_S9_EESK_S10_SL_SM_SN_EUlS10_E_NS1_11comp_targetILNS1_3genE10ELNS1_11target_archE1201ELNS1_3gpuE5ELNS1_3repE0EEENS1_48merge_mergepath_partition_config_static_selectorELNS0_4arch9wavefront6targetE1EEEvSM_,comdat
.Lfunc_end515:
	.size	_ZN7rocprim17ROCPRIM_400000_NS6detail17trampoline_kernelINS0_14default_configENS1_38merge_sort_block_merge_config_selectorIlNS0_10empty_typeEEEZZNS1_27merge_sort_block_merge_implIS3_PlPS5_mZN2at6native12_GLOBAL__N_124unique_dim_cuda_templateIlEESt5tupleIJNSA_6TensorESF_SF_EERKSF_lbbbEUlllE_EE10hipError_tT0_T1_T2_jT3_P12ihipStream_tbPNSt15iterator_traitsISL_E10value_typeEPNSR_ISM_E10value_typeEPSN_NS1_7vsmem_tEENKUlT_SL_SM_SN_E_clIS8_S8_S9_S9_EESK_S10_SL_SM_SN_EUlS10_E_NS1_11comp_targetILNS1_3genE10ELNS1_11target_archE1201ELNS1_3gpuE5ELNS1_3repE0EEENS1_48merge_mergepath_partition_config_static_selectorELNS0_4arch9wavefront6targetE1EEEvSM_, .Lfunc_end515-_ZN7rocprim17ROCPRIM_400000_NS6detail17trampoline_kernelINS0_14default_configENS1_38merge_sort_block_merge_config_selectorIlNS0_10empty_typeEEEZZNS1_27merge_sort_block_merge_implIS3_PlPS5_mZN2at6native12_GLOBAL__N_124unique_dim_cuda_templateIlEESt5tupleIJNSA_6TensorESF_SF_EERKSF_lbbbEUlllE_EE10hipError_tT0_T1_T2_jT3_P12ihipStream_tbPNSt15iterator_traitsISL_E10value_typeEPNSR_ISM_E10value_typeEPSN_NS1_7vsmem_tEENKUlT_SL_SM_SN_E_clIS8_S8_S9_S9_EESK_S10_SL_SM_SN_EUlS10_E_NS1_11comp_targetILNS1_3genE10ELNS1_11target_archE1201ELNS1_3gpuE5ELNS1_3repE0EEENS1_48merge_mergepath_partition_config_static_selectorELNS0_4arch9wavefront6targetE1EEEvSM_
                                        ; -- End function
	.set _ZN7rocprim17ROCPRIM_400000_NS6detail17trampoline_kernelINS0_14default_configENS1_38merge_sort_block_merge_config_selectorIlNS0_10empty_typeEEEZZNS1_27merge_sort_block_merge_implIS3_PlPS5_mZN2at6native12_GLOBAL__N_124unique_dim_cuda_templateIlEESt5tupleIJNSA_6TensorESF_SF_EERKSF_lbbbEUlllE_EE10hipError_tT0_T1_T2_jT3_P12ihipStream_tbPNSt15iterator_traitsISL_E10value_typeEPNSR_ISM_E10value_typeEPSN_NS1_7vsmem_tEENKUlT_SL_SM_SN_E_clIS8_S8_S9_S9_EESK_S10_SL_SM_SN_EUlS10_E_NS1_11comp_targetILNS1_3genE10ELNS1_11target_archE1201ELNS1_3gpuE5ELNS1_3repE0EEENS1_48merge_mergepath_partition_config_static_selectorELNS0_4arch9wavefront6targetE1EEEvSM_.num_vgpr, 0
	.set _ZN7rocprim17ROCPRIM_400000_NS6detail17trampoline_kernelINS0_14default_configENS1_38merge_sort_block_merge_config_selectorIlNS0_10empty_typeEEEZZNS1_27merge_sort_block_merge_implIS3_PlPS5_mZN2at6native12_GLOBAL__N_124unique_dim_cuda_templateIlEESt5tupleIJNSA_6TensorESF_SF_EERKSF_lbbbEUlllE_EE10hipError_tT0_T1_T2_jT3_P12ihipStream_tbPNSt15iterator_traitsISL_E10value_typeEPNSR_ISM_E10value_typeEPSN_NS1_7vsmem_tEENKUlT_SL_SM_SN_E_clIS8_S8_S9_S9_EESK_S10_SL_SM_SN_EUlS10_E_NS1_11comp_targetILNS1_3genE10ELNS1_11target_archE1201ELNS1_3gpuE5ELNS1_3repE0EEENS1_48merge_mergepath_partition_config_static_selectorELNS0_4arch9wavefront6targetE1EEEvSM_.num_agpr, 0
	.set _ZN7rocprim17ROCPRIM_400000_NS6detail17trampoline_kernelINS0_14default_configENS1_38merge_sort_block_merge_config_selectorIlNS0_10empty_typeEEEZZNS1_27merge_sort_block_merge_implIS3_PlPS5_mZN2at6native12_GLOBAL__N_124unique_dim_cuda_templateIlEESt5tupleIJNSA_6TensorESF_SF_EERKSF_lbbbEUlllE_EE10hipError_tT0_T1_T2_jT3_P12ihipStream_tbPNSt15iterator_traitsISL_E10value_typeEPNSR_ISM_E10value_typeEPSN_NS1_7vsmem_tEENKUlT_SL_SM_SN_E_clIS8_S8_S9_S9_EESK_S10_SL_SM_SN_EUlS10_E_NS1_11comp_targetILNS1_3genE10ELNS1_11target_archE1201ELNS1_3gpuE5ELNS1_3repE0EEENS1_48merge_mergepath_partition_config_static_selectorELNS0_4arch9wavefront6targetE1EEEvSM_.numbered_sgpr, 0
	.set _ZN7rocprim17ROCPRIM_400000_NS6detail17trampoline_kernelINS0_14default_configENS1_38merge_sort_block_merge_config_selectorIlNS0_10empty_typeEEEZZNS1_27merge_sort_block_merge_implIS3_PlPS5_mZN2at6native12_GLOBAL__N_124unique_dim_cuda_templateIlEESt5tupleIJNSA_6TensorESF_SF_EERKSF_lbbbEUlllE_EE10hipError_tT0_T1_T2_jT3_P12ihipStream_tbPNSt15iterator_traitsISL_E10value_typeEPNSR_ISM_E10value_typeEPSN_NS1_7vsmem_tEENKUlT_SL_SM_SN_E_clIS8_S8_S9_S9_EESK_S10_SL_SM_SN_EUlS10_E_NS1_11comp_targetILNS1_3genE10ELNS1_11target_archE1201ELNS1_3gpuE5ELNS1_3repE0EEENS1_48merge_mergepath_partition_config_static_selectorELNS0_4arch9wavefront6targetE1EEEvSM_.num_named_barrier, 0
	.set _ZN7rocprim17ROCPRIM_400000_NS6detail17trampoline_kernelINS0_14default_configENS1_38merge_sort_block_merge_config_selectorIlNS0_10empty_typeEEEZZNS1_27merge_sort_block_merge_implIS3_PlPS5_mZN2at6native12_GLOBAL__N_124unique_dim_cuda_templateIlEESt5tupleIJNSA_6TensorESF_SF_EERKSF_lbbbEUlllE_EE10hipError_tT0_T1_T2_jT3_P12ihipStream_tbPNSt15iterator_traitsISL_E10value_typeEPNSR_ISM_E10value_typeEPSN_NS1_7vsmem_tEENKUlT_SL_SM_SN_E_clIS8_S8_S9_S9_EESK_S10_SL_SM_SN_EUlS10_E_NS1_11comp_targetILNS1_3genE10ELNS1_11target_archE1201ELNS1_3gpuE5ELNS1_3repE0EEENS1_48merge_mergepath_partition_config_static_selectorELNS0_4arch9wavefront6targetE1EEEvSM_.private_seg_size, 0
	.set _ZN7rocprim17ROCPRIM_400000_NS6detail17trampoline_kernelINS0_14default_configENS1_38merge_sort_block_merge_config_selectorIlNS0_10empty_typeEEEZZNS1_27merge_sort_block_merge_implIS3_PlPS5_mZN2at6native12_GLOBAL__N_124unique_dim_cuda_templateIlEESt5tupleIJNSA_6TensorESF_SF_EERKSF_lbbbEUlllE_EE10hipError_tT0_T1_T2_jT3_P12ihipStream_tbPNSt15iterator_traitsISL_E10value_typeEPNSR_ISM_E10value_typeEPSN_NS1_7vsmem_tEENKUlT_SL_SM_SN_E_clIS8_S8_S9_S9_EESK_S10_SL_SM_SN_EUlS10_E_NS1_11comp_targetILNS1_3genE10ELNS1_11target_archE1201ELNS1_3gpuE5ELNS1_3repE0EEENS1_48merge_mergepath_partition_config_static_selectorELNS0_4arch9wavefront6targetE1EEEvSM_.uses_vcc, 0
	.set _ZN7rocprim17ROCPRIM_400000_NS6detail17trampoline_kernelINS0_14default_configENS1_38merge_sort_block_merge_config_selectorIlNS0_10empty_typeEEEZZNS1_27merge_sort_block_merge_implIS3_PlPS5_mZN2at6native12_GLOBAL__N_124unique_dim_cuda_templateIlEESt5tupleIJNSA_6TensorESF_SF_EERKSF_lbbbEUlllE_EE10hipError_tT0_T1_T2_jT3_P12ihipStream_tbPNSt15iterator_traitsISL_E10value_typeEPNSR_ISM_E10value_typeEPSN_NS1_7vsmem_tEENKUlT_SL_SM_SN_E_clIS8_S8_S9_S9_EESK_S10_SL_SM_SN_EUlS10_E_NS1_11comp_targetILNS1_3genE10ELNS1_11target_archE1201ELNS1_3gpuE5ELNS1_3repE0EEENS1_48merge_mergepath_partition_config_static_selectorELNS0_4arch9wavefront6targetE1EEEvSM_.uses_flat_scratch, 0
	.set _ZN7rocprim17ROCPRIM_400000_NS6detail17trampoline_kernelINS0_14default_configENS1_38merge_sort_block_merge_config_selectorIlNS0_10empty_typeEEEZZNS1_27merge_sort_block_merge_implIS3_PlPS5_mZN2at6native12_GLOBAL__N_124unique_dim_cuda_templateIlEESt5tupleIJNSA_6TensorESF_SF_EERKSF_lbbbEUlllE_EE10hipError_tT0_T1_T2_jT3_P12ihipStream_tbPNSt15iterator_traitsISL_E10value_typeEPNSR_ISM_E10value_typeEPSN_NS1_7vsmem_tEENKUlT_SL_SM_SN_E_clIS8_S8_S9_S9_EESK_S10_SL_SM_SN_EUlS10_E_NS1_11comp_targetILNS1_3genE10ELNS1_11target_archE1201ELNS1_3gpuE5ELNS1_3repE0EEENS1_48merge_mergepath_partition_config_static_selectorELNS0_4arch9wavefront6targetE1EEEvSM_.has_dyn_sized_stack, 0
	.set _ZN7rocprim17ROCPRIM_400000_NS6detail17trampoline_kernelINS0_14default_configENS1_38merge_sort_block_merge_config_selectorIlNS0_10empty_typeEEEZZNS1_27merge_sort_block_merge_implIS3_PlPS5_mZN2at6native12_GLOBAL__N_124unique_dim_cuda_templateIlEESt5tupleIJNSA_6TensorESF_SF_EERKSF_lbbbEUlllE_EE10hipError_tT0_T1_T2_jT3_P12ihipStream_tbPNSt15iterator_traitsISL_E10value_typeEPNSR_ISM_E10value_typeEPSN_NS1_7vsmem_tEENKUlT_SL_SM_SN_E_clIS8_S8_S9_S9_EESK_S10_SL_SM_SN_EUlS10_E_NS1_11comp_targetILNS1_3genE10ELNS1_11target_archE1201ELNS1_3gpuE5ELNS1_3repE0EEENS1_48merge_mergepath_partition_config_static_selectorELNS0_4arch9wavefront6targetE1EEEvSM_.has_recursion, 0
	.set _ZN7rocprim17ROCPRIM_400000_NS6detail17trampoline_kernelINS0_14default_configENS1_38merge_sort_block_merge_config_selectorIlNS0_10empty_typeEEEZZNS1_27merge_sort_block_merge_implIS3_PlPS5_mZN2at6native12_GLOBAL__N_124unique_dim_cuda_templateIlEESt5tupleIJNSA_6TensorESF_SF_EERKSF_lbbbEUlllE_EE10hipError_tT0_T1_T2_jT3_P12ihipStream_tbPNSt15iterator_traitsISL_E10value_typeEPNSR_ISM_E10value_typeEPSN_NS1_7vsmem_tEENKUlT_SL_SM_SN_E_clIS8_S8_S9_S9_EESK_S10_SL_SM_SN_EUlS10_E_NS1_11comp_targetILNS1_3genE10ELNS1_11target_archE1201ELNS1_3gpuE5ELNS1_3repE0EEENS1_48merge_mergepath_partition_config_static_selectorELNS0_4arch9wavefront6targetE1EEEvSM_.has_indirect_call, 0
	.section	.AMDGPU.csdata,"",@progbits
; Kernel info:
; codeLenInByte = 0
; TotalNumSgprs: 6
; NumVgprs: 0
; NumAgprs: 0
; TotalNumVgprs: 0
; ScratchSize: 0
; MemoryBound: 0
; FloatMode: 240
; IeeeMode: 1
; LDSByteSize: 0 bytes/workgroup (compile time only)
; SGPRBlocks: 0
; VGPRBlocks: 0
; NumSGPRsForWavesPerEU: 6
; NumVGPRsForWavesPerEU: 1
; AccumOffset: 4
; Occupancy: 8
; WaveLimiterHint : 0
; COMPUTE_PGM_RSRC2:SCRATCH_EN: 0
; COMPUTE_PGM_RSRC2:USER_SGPR: 2
; COMPUTE_PGM_RSRC2:TRAP_HANDLER: 0
; COMPUTE_PGM_RSRC2:TGID_X_EN: 1
; COMPUTE_PGM_RSRC2:TGID_Y_EN: 0
; COMPUTE_PGM_RSRC2:TGID_Z_EN: 0
; COMPUTE_PGM_RSRC2:TIDIG_COMP_CNT: 0
; COMPUTE_PGM_RSRC3_GFX90A:ACCUM_OFFSET: 0
; COMPUTE_PGM_RSRC3_GFX90A:TG_SPLIT: 0
	.section	.text._ZN7rocprim17ROCPRIM_400000_NS6detail17trampoline_kernelINS0_14default_configENS1_38merge_sort_block_merge_config_selectorIlNS0_10empty_typeEEEZZNS1_27merge_sort_block_merge_implIS3_PlPS5_mZN2at6native12_GLOBAL__N_124unique_dim_cuda_templateIlEESt5tupleIJNSA_6TensorESF_SF_EERKSF_lbbbEUlllE_EE10hipError_tT0_T1_T2_jT3_P12ihipStream_tbPNSt15iterator_traitsISL_E10value_typeEPNSR_ISM_E10value_typeEPSN_NS1_7vsmem_tEENKUlT_SL_SM_SN_E_clIS8_S8_S9_S9_EESK_S10_SL_SM_SN_EUlS10_E_NS1_11comp_targetILNS1_3genE5ELNS1_11target_archE942ELNS1_3gpuE9ELNS1_3repE0EEENS1_48merge_mergepath_partition_config_static_selectorELNS0_4arch9wavefront6targetE1EEEvSM_,"axG",@progbits,_ZN7rocprim17ROCPRIM_400000_NS6detail17trampoline_kernelINS0_14default_configENS1_38merge_sort_block_merge_config_selectorIlNS0_10empty_typeEEEZZNS1_27merge_sort_block_merge_implIS3_PlPS5_mZN2at6native12_GLOBAL__N_124unique_dim_cuda_templateIlEESt5tupleIJNSA_6TensorESF_SF_EERKSF_lbbbEUlllE_EE10hipError_tT0_T1_T2_jT3_P12ihipStream_tbPNSt15iterator_traitsISL_E10value_typeEPNSR_ISM_E10value_typeEPSN_NS1_7vsmem_tEENKUlT_SL_SM_SN_E_clIS8_S8_S9_S9_EESK_S10_SL_SM_SN_EUlS10_E_NS1_11comp_targetILNS1_3genE5ELNS1_11target_archE942ELNS1_3gpuE9ELNS1_3repE0EEENS1_48merge_mergepath_partition_config_static_selectorELNS0_4arch9wavefront6targetE1EEEvSM_,comdat
	.globl	_ZN7rocprim17ROCPRIM_400000_NS6detail17trampoline_kernelINS0_14default_configENS1_38merge_sort_block_merge_config_selectorIlNS0_10empty_typeEEEZZNS1_27merge_sort_block_merge_implIS3_PlPS5_mZN2at6native12_GLOBAL__N_124unique_dim_cuda_templateIlEESt5tupleIJNSA_6TensorESF_SF_EERKSF_lbbbEUlllE_EE10hipError_tT0_T1_T2_jT3_P12ihipStream_tbPNSt15iterator_traitsISL_E10value_typeEPNSR_ISM_E10value_typeEPSN_NS1_7vsmem_tEENKUlT_SL_SM_SN_E_clIS8_S8_S9_S9_EESK_S10_SL_SM_SN_EUlS10_E_NS1_11comp_targetILNS1_3genE5ELNS1_11target_archE942ELNS1_3gpuE9ELNS1_3repE0EEENS1_48merge_mergepath_partition_config_static_selectorELNS0_4arch9wavefront6targetE1EEEvSM_ ; -- Begin function _ZN7rocprim17ROCPRIM_400000_NS6detail17trampoline_kernelINS0_14default_configENS1_38merge_sort_block_merge_config_selectorIlNS0_10empty_typeEEEZZNS1_27merge_sort_block_merge_implIS3_PlPS5_mZN2at6native12_GLOBAL__N_124unique_dim_cuda_templateIlEESt5tupleIJNSA_6TensorESF_SF_EERKSF_lbbbEUlllE_EE10hipError_tT0_T1_T2_jT3_P12ihipStream_tbPNSt15iterator_traitsISL_E10value_typeEPNSR_ISM_E10value_typeEPSN_NS1_7vsmem_tEENKUlT_SL_SM_SN_E_clIS8_S8_S9_S9_EESK_S10_SL_SM_SN_EUlS10_E_NS1_11comp_targetILNS1_3genE5ELNS1_11target_archE942ELNS1_3gpuE9ELNS1_3repE0EEENS1_48merge_mergepath_partition_config_static_selectorELNS0_4arch9wavefront6targetE1EEEvSM_
	.p2align	8
	.type	_ZN7rocprim17ROCPRIM_400000_NS6detail17trampoline_kernelINS0_14default_configENS1_38merge_sort_block_merge_config_selectorIlNS0_10empty_typeEEEZZNS1_27merge_sort_block_merge_implIS3_PlPS5_mZN2at6native12_GLOBAL__N_124unique_dim_cuda_templateIlEESt5tupleIJNSA_6TensorESF_SF_EERKSF_lbbbEUlllE_EE10hipError_tT0_T1_T2_jT3_P12ihipStream_tbPNSt15iterator_traitsISL_E10value_typeEPNSR_ISM_E10value_typeEPSN_NS1_7vsmem_tEENKUlT_SL_SM_SN_E_clIS8_S8_S9_S9_EESK_S10_SL_SM_SN_EUlS10_E_NS1_11comp_targetILNS1_3genE5ELNS1_11target_archE942ELNS1_3gpuE9ELNS1_3repE0EEENS1_48merge_mergepath_partition_config_static_selectorELNS0_4arch9wavefront6targetE1EEEvSM_,@function
_ZN7rocprim17ROCPRIM_400000_NS6detail17trampoline_kernelINS0_14default_configENS1_38merge_sort_block_merge_config_selectorIlNS0_10empty_typeEEEZZNS1_27merge_sort_block_merge_implIS3_PlPS5_mZN2at6native12_GLOBAL__N_124unique_dim_cuda_templateIlEESt5tupleIJNSA_6TensorESF_SF_EERKSF_lbbbEUlllE_EE10hipError_tT0_T1_T2_jT3_P12ihipStream_tbPNSt15iterator_traitsISL_E10value_typeEPNSR_ISM_E10value_typeEPSN_NS1_7vsmem_tEENKUlT_SL_SM_SN_E_clIS8_S8_S9_S9_EESK_S10_SL_SM_SN_EUlS10_E_NS1_11comp_targetILNS1_3genE5ELNS1_11target_archE942ELNS1_3gpuE9ELNS1_3repE0EEENS1_48merge_mergepath_partition_config_static_selectorELNS0_4arch9wavefront6targetE1EEEvSM_: ; @_ZN7rocprim17ROCPRIM_400000_NS6detail17trampoline_kernelINS0_14default_configENS1_38merge_sort_block_merge_config_selectorIlNS0_10empty_typeEEEZZNS1_27merge_sort_block_merge_implIS3_PlPS5_mZN2at6native12_GLOBAL__N_124unique_dim_cuda_templateIlEESt5tupleIJNSA_6TensorESF_SF_EERKSF_lbbbEUlllE_EE10hipError_tT0_T1_T2_jT3_P12ihipStream_tbPNSt15iterator_traitsISL_E10value_typeEPNSR_ISM_E10value_typeEPSN_NS1_7vsmem_tEENKUlT_SL_SM_SN_E_clIS8_S8_S9_S9_EESK_S10_SL_SM_SN_EUlS10_E_NS1_11comp_targetILNS1_3genE5ELNS1_11target_archE942ELNS1_3gpuE9ELNS1_3repE0EEENS1_48merge_mergepath_partition_config_static_selectorELNS0_4arch9wavefront6targetE1EEEvSM_
; %bb.0:
	.section	.rodata,"a",@progbits
	.p2align	6, 0x0
	.amdhsa_kernel _ZN7rocprim17ROCPRIM_400000_NS6detail17trampoline_kernelINS0_14default_configENS1_38merge_sort_block_merge_config_selectorIlNS0_10empty_typeEEEZZNS1_27merge_sort_block_merge_implIS3_PlPS5_mZN2at6native12_GLOBAL__N_124unique_dim_cuda_templateIlEESt5tupleIJNSA_6TensorESF_SF_EERKSF_lbbbEUlllE_EE10hipError_tT0_T1_T2_jT3_P12ihipStream_tbPNSt15iterator_traitsISL_E10value_typeEPNSR_ISM_E10value_typeEPSN_NS1_7vsmem_tEENKUlT_SL_SM_SN_E_clIS8_S8_S9_S9_EESK_S10_SL_SM_SN_EUlS10_E_NS1_11comp_targetILNS1_3genE5ELNS1_11target_archE942ELNS1_3gpuE9ELNS1_3repE0EEENS1_48merge_mergepath_partition_config_static_selectorELNS0_4arch9wavefront6targetE1EEEvSM_
		.amdhsa_group_segment_fixed_size 0
		.amdhsa_private_segment_fixed_size 0
		.amdhsa_kernarg_size 56
		.amdhsa_user_sgpr_count 2
		.amdhsa_user_sgpr_dispatch_ptr 0
		.amdhsa_user_sgpr_queue_ptr 0
		.amdhsa_user_sgpr_kernarg_segment_ptr 1
		.amdhsa_user_sgpr_dispatch_id 0
		.amdhsa_user_sgpr_kernarg_preload_length 0
		.amdhsa_user_sgpr_kernarg_preload_offset 0
		.amdhsa_user_sgpr_private_segment_size 0
		.amdhsa_uses_dynamic_stack 0
		.amdhsa_enable_private_segment 0
		.amdhsa_system_sgpr_workgroup_id_x 1
		.amdhsa_system_sgpr_workgroup_id_y 0
		.amdhsa_system_sgpr_workgroup_id_z 0
		.amdhsa_system_sgpr_workgroup_info 0
		.amdhsa_system_vgpr_workitem_id 0
		.amdhsa_next_free_vgpr 1
		.amdhsa_next_free_sgpr 0
		.amdhsa_accum_offset 4
		.amdhsa_reserve_vcc 0
		.amdhsa_float_round_mode_32 0
		.amdhsa_float_round_mode_16_64 0
		.amdhsa_float_denorm_mode_32 3
		.amdhsa_float_denorm_mode_16_64 3
		.amdhsa_dx10_clamp 1
		.amdhsa_ieee_mode 1
		.amdhsa_fp16_overflow 0
		.amdhsa_tg_split 0
		.amdhsa_exception_fp_ieee_invalid_op 0
		.amdhsa_exception_fp_denorm_src 0
		.amdhsa_exception_fp_ieee_div_zero 0
		.amdhsa_exception_fp_ieee_overflow 0
		.amdhsa_exception_fp_ieee_underflow 0
		.amdhsa_exception_fp_ieee_inexact 0
		.amdhsa_exception_int_div_zero 0
	.end_amdhsa_kernel
	.section	.text._ZN7rocprim17ROCPRIM_400000_NS6detail17trampoline_kernelINS0_14default_configENS1_38merge_sort_block_merge_config_selectorIlNS0_10empty_typeEEEZZNS1_27merge_sort_block_merge_implIS3_PlPS5_mZN2at6native12_GLOBAL__N_124unique_dim_cuda_templateIlEESt5tupleIJNSA_6TensorESF_SF_EERKSF_lbbbEUlllE_EE10hipError_tT0_T1_T2_jT3_P12ihipStream_tbPNSt15iterator_traitsISL_E10value_typeEPNSR_ISM_E10value_typeEPSN_NS1_7vsmem_tEENKUlT_SL_SM_SN_E_clIS8_S8_S9_S9_EESK_S10_SL_SM_SN_EUlS10_E_NS1_11comp_targetILNS1_3genE5ELNS1_11target_archE942ELNS1_3gpuE9ELNS1_3repE0EEENS1_48merge_mergepath_partition_config_static_selectorELNS0_4arch9wavefront6targetE1EEEvSM_,"axG",@progbits,_ZN7rocprim17ROCPRIM_400000_NS6detail17trampoline_kernelINS0_14default_configENS1_38merge_sort_block_merge_config_selectorIlNS0_10empty_typeEEEZZNS1_27merge_sort_block_merge_implIS3_PlPS5_mZN2at6native12_GLOBAL__N_124unique_dim_cuda_templateIlEESt5tupleIJNSA_6TensorESF_SF_EERKSF_lbbbEUlllE_EE10hipError_tT0_T1_T2_jT3_P12ihipStream_tbPNSt15iterator_traitsISL_E10value_typeEPNSR_ISM_E10value_typeEPSN_NS1_7vsmem_tEENKUlT_SL_SM_SN_E_clIS8_S8_S9_S9_EESK_S10_SL_SM_SN_EUlS10_E_NS1_11comp_targetILNS1_3genE5ELNS1_11target_archE942ELNS1_3gpuE9ELNS1_3repE0EEENS1_48merge_mergepath_partition_config_static_selectorELNS0_4arch9wavefront6targetE1EEEvSM_,comdat
.Lfunc_end516:
	.size	_ZN7rocprim17ROCPRIM_400000_NS6detail17trampoline_kernelINS0_14default_configENS1_38merge_sort_block_merge_config_selectorIlNS0_10empty_typeEEEZZNS1_27merge_sort_block_merge_implIS3_PlPS5_mZN2at6native12_GLOBAL__N_124unique_dim_cuda_templateIlEESt5tupleIJNSA_6TensorESF_SF_EERKSF_lbbbEUlllE_EE10hipError_tT0_T1_T2_jT3_P12ihipStream_tbPNSt15iterator_traitsISL_E10value_typeEPNSR_ISM_E10value_typeEPSN_NS1_7vsmem_tEENKUlT_SL_SM_SN_E_clIS8_S8_S9_S9_EESK_S10_SL_SM_SN_EUlS10_E_NS1_11comp_targetILNS1_3genE5ELNS1_11target_archE942ELNS1_3gpuE9ELNS1_3repE0EEENS1_48merge_mergepath_partition_config_static_selectorELNS0_4arch9wavefront6targetE1EEEvSM_, .Lfunc_end516-_ZN7rocprim17ROCPRIM_400000_NS6detail17trampoline_kernelINS0_14default_configENS1_38merge_sort_block_merge_config_selectorIlNS0_10empty_typeEEEZZNS1_27merge_sort_block_merge_implIS3_PlPS5_mZN2at6native12_GLOBAL__N_124unique_dim_cuda_templateIlEESt5tupleIJNSA_6TensorESF_SF_EERKSF_lbbbEUlllE_EE10hipError_tT0_T1_T2_jT3_P12ihipStream_tbPNSt15iterator_traitsISL_E10value_typeEPNSR_ISM_E10value_typeEPSN_NS1_7vsmem_tEENKUlT_SL_SM_SN_E_clIS8_S8_S9_S9_EESK_S10_SL_SM_SN_EUlS10_E_NS1_11comp_targetILNS1_3genE5ELNS1_11target_archE942ELNS1_3gpuE9ELNS1_3repE0EEENS1_48merge_mergepath_partition_config_static_selectorELNS0_4arch9wavefront6targetE1EEEvSM_
                                        ; -- End function
	.set _ZN7rocprim17ROCPRIM_400000_NS6detail17trampoline_kernelINS0_14default_configENS1_38merge_sort_block_merge_config_selectorIlNS0_10empty_typeEEEZZNS1_27merge_sort_block_merge_implIS3_PlPS5_mZN2at6native12_GLOBAL__N_124unique_dim_cuda_templateIlEESt5tupleIJNSA_6TensorESF_SF_EERKSF_lbbbEUlllE_EE10hipError_tT0_T1_T2_jT3_P12ihipStream_tbPNSt15iterator_traitsISL_E10value_typeEPNSR_ISM_E10value_typeEPSN_NS1_7vsmem_tEENKUlT_SL_SM_SN_E_clIS8_S8_S9_S9_EESK_S10_SL_SM_SN_EUlS10_E_NS1_11comp_targetILNS1_3genE5ELNS1_11target_archE942ELNS1_3gpuE9ELNS1_3repE0EEENS1_48merge_mergepath_partition_config_static_selectorELNS0_4arch9wavefront6targetE1EEEvSM_.num_vgpr, 0
	.set _ZN7rocprim17ROCPRIM_400000_NS6detail17trampoline_kernelINS0_14default_configENS1_38merge_sort_block_merge_config_selectorIlNS0_10empty_typeEEEZZNS1_27merge_sort_block_merge_implIS3_PlPS5_mZN2at6native12_GLOBAL__N_124unique_dim_cuda_templateIlEESt5tupleIJNSA_6TensorESF_SF_EERKSF_lbbbEUlllE_EE10hipError_tT0_T1_T2_jT3_P12ihipStream_tbPNSt15iterator_traitsISL_E10value_typeEPNSR_ISM_E10value_typeEPSN_NS1_7vsmem_tEENKUlT_SL_SM_SN_E_clIS8_S8_S9_S9_EESK_S10_SL_SM_SN_EUlS10_E_NS1_11comp_targetILNS1_3genE5ELNS1_11target_archE942ELNS1_3gpuE9ELNS1_3repE0EEENS1_48merge_mergepath_partition_config_static_selectorELNS0_4arch9wavefront6targetE1EEEvSM_.num_agpr, 0
	.set _ZN7rocprim17ROCPRIM_400000_NS6detail17trampoline_kernelINS0_14default_configENS1_38merge_sort_block_merge_config_selectorIlNS0_10empty_typeEEEZZNS1_27merge_sort_block_merge_implIS3_PlPS5_mZN2at6native12_GLOBAL__N_124unique_dim_cuda_templateIlEESt5tupleIJNSA_6TensorESF_SF_EERKSF_lbbbEUlllE_EE10hipError_tT0_T1_T2_jT3_P12ihipStream_tbPNSt15iterator_traitsISL_E10value_typeEPNSR_ISM_E10value_typeEPSN_NS1_7vsmem_tEENKUlT_SL_SM_SN_E_clIS8_S8_S9_S9_EESK_S10_SL_SM_SN_EUlS10_E_NS1_11comp_targetILNS1_3genE5ELNS1_11target_archE942ELNS1_3gpuE9ELNS1_3repE0EEENS1_48merge_mergepath_partition_config_static_selectorELNS0_4arch9wavefront6targetE1EEEvSM_.numbered_sgpr, 0
	.set _ZN7rocprim17ROCPRIM_400000_NS6detail17trampoline_kernelINS0_14default_configENS1_38merge_sort_block_merge_config_selectorIlNS0_10empty_typeEEEZZNS1_27merge_sort_block_merge_implIS3_PlPS5_mZN2at6native12_GLOBAL__N_124unique_dim_cuda_templateIlEESt5tupleIJNSA_6TensorESF_SF_EERKSF_lbbbEUlllE_EE10hipError_tT0_T1_T2_jT3_P12ihipStream_tbPNSt15iterator_traitsISL_E10value_typeEPNSR_ISM_E10value_typeEPSN_NS1_7vsmem_tEENKUlT_SL_SM_SN_E_clIS8_S8_S9_S9_EESK_S10_SL_SM_SN_EUlS10_E_NS1_11comp_targetILNS1_3genE5ELNS1_11target_archE942ELNS1_3gpuE9ELNS1_3repE0EEENS1_48merge_mergepath_partition_config_static_selectorELNS0_4arch9wavefront6targetE1EEEvSM_.num_named_barrier, 0
	.set _ZN7rocprim17ROCPRIM_400000_NS6detail17trampoline_kernelINS0_14default_configENS1_38merge_sort_block_merge_config_selectorIlNS0_10empty_typeEEEZZNS1_27merge_sort_block_merge_implIS3_PlPS5_mZN2at6native12_GLOBAL__N_124unique_dim_cuda_templateIlEESt5tupleIJNSA_6TensorESF_SF_EERKSF_lbbbEUlllE_EE10hipError_tT0_T1_T2_jT3_P12ihipStream_tbPNSt15iterator_traitsISL_E10value_typeEPNSR_ISM_E10value_typeEPSN_NS1_7vsmem_tEENKUlT_SL_SM_SN_E_clIS8_S8_S9_S9_EESK_S10_SL_SM_SN_EUlS10_E_NS1_11comp_targetILNS1_3genE5ELNS1_11target_archE942ELNS1_3gpuE9ELNS1_3repE0EEENS1_48merge_mergepath_partition_config_static_selectorELNS0_4arch9wavefront6targetE1EEEvSM_.private_seg_size, 0
	.set _ZN7rocprim17ROCPRIM_400000_NS6detail17trampoline_kernelINS0_14default_configENS1_38merge_sort_block_merge_config_selectorIlNS0_10empty_typeEEEZZNS1_27merge_sort_block_merge_implIS3_PlPS5_mZN2at6native12_GLOBAL__N_124unique_dim_cuda_templateIlEESt5tupleIJNSA_6TensorESF_SF_EERKSF_lbbbEUlllE_EE10hipError_tT0_T1_T2_jT3_P12ihipStream_tbPNSt15iterator_traitsISL_E10value_typeEPNSR_ISM_E10value_typeEPSN_NS1_7vsmem_tEENKUlT_SL_SM_SN_E_clIS8_S8_S9_S9_EESK_S10_SL_SM_SN_EUlS10_E_NS1_11comp_targetILNS1_3genE5ELNS1_11target_archE942ELNS1_3gpuE9ELNS1_3repE0EEENS1_48merge_mergepath_partition_config_static_selectorELNS0_4arch9wavefront6targetE1EEEvSM_.uses_vcc, 0
	.set _ZN7rocprim17ROCPRIM_400000_NS6detail17trampoline_kernelINS0_14default_configENS1_38merge_sort_block_merge_config_selectorIlNS0_10empty_typeEEEZZNS1_27merge_sort_block_merge_implIS3_PlPS5_mZN2at6native12_GLOBAL__N_124unique_dim_cuda_templateIlEESt5tupleIJNSA_6TensorESF_SF_EERKSF_lbbbEUlllE_EE10hipError_tT0_T1_T2_jT3_P12ihipStream_tbPNSt15iterator_traitsISL_E10value_typeEPNSR_ISM_E10value_typeEPSN_NS1_7vsmem_tEENKUlT_SL_SM_SN_E_clIS8_S8_S9_S9_EESK_S10_SL_SM_SN_EUlS10_E_NS1_11comp_targetILNS1_3genE5ELNS1_11target_archE942ELNS1_3gpuE9ELNS1_3repE0EEENS1_48merge_mergepath_partition_config_static_selectorELNS0_4arch9wavefront6targetE1EEEvSM_.uses_flat_scratch, 0
	.set _ZN7rocprim17ROCPRIM_400000_NS6detail17trampoline_kernelINS0_14default_configENS1_38merge_sort_block_merge_config_selectorIlNS0_10empty_typeEEEZZNS1_27merge_sort_block_merge_implIS3_PlPS5_mZN2at6native12_GLOBAL__N_124unique_dim_cuda_templateIlEESt5tupleIJNSA_6TensorESF_SF_EERKSF_lbbbEUlllE_EE10hipError_tT0_T1_T2_jT3_P12ihipStream_tbPNSt15iterator_traitsISL_E10value_typeEPNSR_ISM_E10value_typeEPSN_NS1_7vsmem_tEENKUlT_SL_SM_SN_E_clIS8_S8_S9_S9_EESK_S10_SL_SM_SN_EUlS10_E_NS1_11comp_targetILNS1_3genE5ELNS1_11target_archE942ELNS1_3gpuE9ELNS1_3repE0EEENS1_48merge_mergepath_partition_config_static_selectorELNS0_4arch9wavefront6targetE1EEEvSM_.has_dyn_sized_stack, 0
	.set _ZN7rocprim17ROCPRIM_400000_NS6detail17trampoline_kernelINS0_14default_configENS1_38merge_sort_block_merge_config_selectorIlNS0_10empty_typeEEEZZNS1_27merge_sort_block_merge_implIS3_PlPS5_mZN2at6native12_GLOBAL__N_124unique_dim_cuda_templateIlEESt5tupleIJNSA_6TensorESF_SF_EERKSF_lbbbEUlllE_EE10hipError_tT0_T1_T2_jT3_P12ihipStream_tbPNSt15iterator_traitsISL_E10value_typeEPNSR_ISM_E10value_typeEPSN_NS1_7vsmem_tEENKUlT_SL_SM_SN_E_clIS8_S8_S9_S9_EESK_S10_SL_SM_SN_EUlS10_E_NS1_11comp_targetILNS1_3genE5ELNS1_11target_archE942ELNS1_3gpuE9ELNS1_3repE0EEENS1_48merge_mergepath_partition_config_static_selectorELNS0_4arch9wavefront6targetE1EEEvSM_.has_recursion, 0
	.set _ZN7rocprim17ROCPRIM_400000_NS6detail17trampoline_kernelINS0_14default_configENS1_38merge_sort_block_merge_config_selectorIlNS0_10empty_typeEEEZZNS1_27merge_sort_block_merge_implIS3_PlPS5_mZN2at6native12_GLOBAL__N_124unique_dim_cuda_templateIlEESt5tupleIJNSA_6TensorESF_SF_EERKSF_lbbbEUlllE_EE10hipError_tT0_T1_T2_jT3_P12ihipStream_tbPNSt15iterator_traitsISL_E10value_typeEPNSR_ISM_E10value_typeEPSN_NS1_7vsmem_tEENKUlT_SL_SM_SN_E_clIS8_S8_S9_S9_EESK_S10_SL_SM_SN_EUlS10_E_NS1_11comp_targetILNS1_3genE5ELNS1_11target_archE942ELNS1_3gpuE9ELNS1_3repE0EEENS1_48merge_mergepath_partition_config_static_selectorELNS0_4arch9wavefront6targetE1EEEvSM_.has_indirect_call, 0
	.section	.AMDGPU.csdata,"",@progbits
; Kernel info:
; codeLenInByte = 0
; TotalNumSgprs: 6
; NumVgprs: 0
; NumAgprs: 0
; TotalNumVgprs: 0
; ScratchSize: 0
; MemoryBound: 0
; FloatMode: 240
; IeeeMode: 1
; LDSByteSize: 0 bytes/workgroup (compile time only)
; SGPRBlocks: 0
; VGPRBlocks: 0
; NumSGPRsForWavesPerEU: 6
; NumVGPRsForWavesPerEU: 1
; AccumOffset: 4
; Occupancy: 8
; WaveLimiterHint : 0
; COMPUTE_PGM_RSRC2:SCRATCH_EN: 0
; COMPUTE_PGM_RSRC2:USER_SGPR: 2
; COMPUTE_PGM_RSRC2:TRAP_HANDLER: 0
; COMPUTE_PGM_RSRC2:TGID_X_EN: 1
; COMPUTE_PGM_RSRC2:TGID_Y_EN: 0
; COMPUTE_PGM_RSRC2:TGID_Z_EN: 0
; COMPUTE_PGM_RSRC2:TIDIG_COMP_CNT: 0
; COMPUTE_PGM_RSRC3_GFX90A:ACCUM_OFFSET: 0
; COMPUTE_PGM_RSRC3_GFX90A:TG_SPLIT: 0
	.section	.text._ZN7rocprim17ROCPRIM_400000_NS6detail17trampoline_kernelINS0_14default_configENS1_38merge_sort_block_merge_config_selectorIlNS0_10empty_typeEEEZZNS1_27merge_sort_block_merge_implIS3_PlPS5_mZN2at6native12_GLOBAL__N_124unique_dim_cuda_templateIlEESt5tupleIJNSA_6TensorESF_SF_EERKSF_lbbbEUlllE_EE10hipError_tT0_T1_T2_jT3_P12ihipStream_tbPNSt15iterator_traitsISL_E10value_typeEPNSR_ISM_E10value_typeEPSN_NS1_7vsmem_tEENKUlT_SL_SM_SN_E_clIS8_S8_S9_S9_EESK_S10_SL_SM_SN_EUlS10_E_NS1_11comp_targetILNS1_3genE4ELNS1_11target_archE910ELNS1_3gpuE8ELNS1_3repE0EEENS1_48merge_mergepath_partition_config_static_selectorELNS0_4arch9wavefront6targetE1EEEvSM_,"axG",@progbits,_ZN7rocprim17ROCPRIM_400000_NS6detail17trampoline_kernelINS0_14default_configENS1_38merge_sort_block_merge_config_selectorIlNS0_10empty_typeEEEZZNS1_27merge_sort_block_merge_implIS3_PlPS5_mZN2at6native12_GLOBAL__N_124unique_dim_cuda_templateIlEESt5tupleIJNSA_6TensorESF_SF_EERKSF_lbbbEUlllE_EE10hipError_tT0_T1_T2_jT3_P12ihipStream_tbPNSt15iterator_traitsISL_E10value_typeEPNSR_ISM_E10value_typeEPSN_NS1_7vsmem_tEENKUlT_SL_SM_SN_E_clIS8_S8_S9_S9_EESK_S10_SL_SM_SN_EUlS10_E_NS1_11comp_targetILNS1_3genE4ELNS1_11target_archE910ELNS1_3gpuE8ELNS1_3repE0EEENS1_48merge_mergepath_partition_config_static_selectorELNS0_4arch9wavefront6targetE1EEEvSM_,comdat
	.globl	_ZN7rocprim17ROCPRIM_400000_NS6detail17trampoline_kernelINS0_14default_configENS1_38merge_sort_block_merge_config_selectorIlNS0_10empty_typeEEEZZNS1_27merge_sort_block_merge_implIS3_PlPS5_mZN2at6native12_GLOBAL__N_124unique_dim_cuda_templateIlEESt5tupleIJNSA_6TensorESF_SF_EERKSF_lbbbEUlllE_EE10hipError_tT0_T1_T2_jT3_P12ihipStream_tbPNSt15iterator_traitsISL_E10value_typeEPNSR_ISM_E10value_typeEPSN_NS1_7vsmem_tEENKUlT_SL_SM_SN_E_clIS8_S8_S9_S9_EESK_S10_SL_SM_SN_EUlS10_E_NS1_11comp_targetILNS1_3genE4ELNS1_11target_archE910ELNS1_3gpuE8ELNS1_3repE0EEENS1_48merge_mergepath_partition_config_static_selectorELNS0_4arch9wavefront6targetE1EEEvSM_ ; -- Begin function _ZN7rocprim17ROCPRIM_400000_NS6detail17trampoline_kernelINS0_14default_configENS1_38merge_sort_block_merge_config_selectorIlNS0_10empty_typeEEEZZNS1_27merge_sort_block_merge_implIS3_PlPS5_mZN2at6native12_GLOBAL__N_124unique_dim_cuda_templateIlEESt5tupleIJNSA_6TensorESF_SF_EERKSF_lbbbEUlllE_EE10hipError_tT0_T1_T2_jT3_P12ihipStream_tbPNSt15iterator_traitsISL_E10value_typeEPNSR_ISM_E10value_typeEPSN_NS1_7vsmem_tEENKUlT_SL_SM_SN_E_clIS8_S8_S9_S9_EESK_S10_SL_SM_SN_EUlS10_E_NS1_11comp_targetILNS1_3genE4ELNS1_11target_archE910ELNS1_3gpuE8ELNS1_3repE0EEENS1_48merge_mergepath_partition_config_static_selectorELNS0_4arch9wavefront6targetE1EEEvSM_
	.p2align	8
	.type	_ZN7rocprim17ROCPRIM_400000_NS6detail17trampoline_kernelINS0_14default_configENS1_38merge_sort_block_merge_config_selectorIlNS0_10empty_typeEEEZZNS1_27merge_sort_block_merge_implIS3_PlPS5_mZN2at6native12_GLOBAL__N_124unique_dim_cuda_templateIlEESt5tupleIJNSA_6TensorESF_SF_EERKSF_lbbbEUlllE_EE10hipError_tT0_T1_T2_jT3_P12ihipStream_tbPNSt15iterator_traitsISL_E10value_typeEPNSR_ISM_E10value_typeEPSN_NS1_7vsmem_tEENKUlT_SL_SM_SN_E_clIS8_S8_S9_S9_EESK_S10_SL_SM_SN_EUlS10_E_NS1_11comp_targetILNS1_3genE4ELNS1_11target_archE910ELNS1_3gpuE8ELNS1_3repE0EEENS1_48merge_mergepath_partition_config_static_selectorELNS0_4arch9wavefront6targetE1EEEvSM_,@function
_ZN7rocprim17ROCPRIM_400000_NS6detail17trampoline_kernelINS0_14default_configENS1_38merge_sort_block_merge_config_selectorIlNS0_10empty_typeEEEZZNS1_27merge_sort_block_merge_implIS3_PlPS5_mZN2at6native12_GLOBAL__N_124unique_dim_cuda_templateIlEESt5tupleIJNSA_6TensorESF_SF_EERKSF_lbbbEUlllE_EE10hipError_tT0_T1_T2_jT3_P12ihipStream_tbPNSt15iterator_traitsISL_E10value_typeEPNSR_ISM_E10value_typeEPSN_NS1_7vsmem_tEENKUlT_SL_SM_SN_E_clIS8_S8_S9_S9_EESK_S10_SL_SM_SN_EUlS10_E_NS1_11comp_targetILNS1_3genE4ELNS1_11target_archE910ELNS1_3gpuE8ELNS1_3repE0EEENS1_48merge_mergepath_partition_config_static_selectorELNS0_4arch9wavefront6targetE1EEEvSM_: ; @_ZN7rocprim17ROCPRIM_400000_NS6detail17trampoline_kernelINS0_14default_configENS1_38merge_sort_block_merge_config_selectorIlNS0_10empty_typeEEEZZNS1_27merge_sort_block_merge_implIS3_PlPS5_mZN2at6native12_GLOBAL__N_124unique_dim_cuda_templateIlEESt5tupleIJNSA_6TensorESF_SF_EERKSF_lbbbEUlllE_EE10hipError_tT0_T1_T2_jT3_P12ihipStream_tbPNSt15iterator_traitsISL_E10value_typeEPNSR_ISM_E10value_typeEPSN_NS1_7vsmem_tEENKUlT_SL_SM_SN_E_clIS8_S8_S9_S9_EESK_S10_SL_SM_SN_EUlS10_E_NS1_11comp_targetILNS1_3genE4ELNS1_11target_archE910ELNS1_3gpuE8ELNS1_3repE0EEENS1_48merge_mergepath_partition_config_static_selectorELNS0_4arch9wavefront6targetE1EEEvSM_
; %bb.0:
	.section	.rodata,"a",@progbits
	.p2align	6, 0x0
	.amdhsa_kernel _ZN7rocprim17ROCPRIM_400000_NS6detail17trampoline_kernelINS0_14default_configENS1_38merge_sort_block_merge_config_selectorIlNS0_10empty_typeEEEZZNS1_27merge_sort_block_merge_implIS3_PlPS5_mZN2at6native12_GLOBAL__N_124unique_dim_cuda_templateIlEESt5tupleIJNSA_6TensorESF_SF_EERKSF_lbbbEUlllE_EE10hipError_tT0_T1_T2_jT3_P12ihipStream_tbPNSt15iterator_traitsISL_E10value_typeEPNSR_ISM_E10value_typeEPSN_NS1_7vsmem_tEENKUlT_SL_SM_SN_E_clIS8_S8_S9_S9_EESK_S10_SL_SM_SN_EUlS10_E_NS1_11comp_targetILNS1_3genE4ELNS1_11target_archE910ELNS1_3gpuE8ELNS1_3repE0EEENS1_48merge_mergepath_partition_config_static_selectorELNS0_4arch9wavefront6targetE1EEEvSM_
		.amdhsa_group_segment_fixed_size 0
		.amdhsa_private_segment_fixed_size 0
		.amdhsa_kernarg_size 56
		.amdhsa_user_sgpr_count 2
		.amdhsa_user_sgpr_dispatch_ptr 0
		.amdhsa_user_sgpr_queue_ptr 0
		.amdhsa_user_sgpr_kernarg_segment_ptr 1
		.amdhsa_user_sgpr_dispatch_id 0
		.amdhsa_user_sgpr_kernarg_preload_length 0
		.amdhsa_user_sgpr_kernarg_preload_offset 0
		.amdhsa_user_sgpr_private_segment_size 0
		.amdhsa_uses_dynamic_stack 0
		.amdhsa_enable_private_segment 0
		.amdhsa_system_sgpr_workgroup_id_x 1
		.amdhsa_system_sgpr_workgroup_id_y 0
		.amdhsa_system_sgpr_workgroup_id_z 0
		.amdhsa_system_sgpr_workgroup_info 0
		.amdhsa_system_vgpr_workitem_id 0
		.amdhsa_next_free_vgpr 1
		.amdhsa_next_free_sgpr 0
		.amdhsa_accum_offset 4
		.amdhsa_reserve_vcc 0
		.amdhsa_float_round_mode_32 0
		.amdhsa_float_round_mode_16_64 0
		.amdhsa_float_denorm_mode_32 3
		.amdhsa_float_denorm_mode_16_64 3
		.amdhsa_dx10_clamp 1
		.amdhsa_ieee_mode 1
		.amdhsa_fp16_overflow 0
		.amdhsa_tg_split 0
		.amdhsa_exception_fp_ieee_invalid_op 0
		.amdhsa_exception_fp_denorm_src 0
		.amdhsa_exception_fp_ieee_div_zero 0
		.amdhsa_exception_fp_ieee_overflow 0
		.amdhsa_exception_fp_ieee_underflow 0
		.amdhsa_exception_fp_ieee_inexact 0
		.amdhsa_exception_int_div_zero 0
	.end_amdhsa_kernel
	.section	.text._ZN7rocprim17ROCPRIM_400000_NS6detail17trampoline_kernelINS0_14default_configENS1_38merge_sort_block_merge_config_selectorIlNS0_10empty_typeEEEZZNS1_27merge_sort_block_merge_implIS3_PlPS5_mZN2at6native12_GLOBAL__N_124unique_dim_cuda_templateIlEESt5tupleIJNSA_6TensorESF_SF_EERKSF_lbbbEUlllE_EE10hipError_tT0_T1_T2_jT3_P12ihipStream_tbPNSt15iterator_traitsISL_E10value_typeEPNSR_ISM_E10value_typeEPSN_NS1_7vsmem_tEENKUlT_SL_SM_SN_E_clIS8_S8_S9_S9_EESK_S10_SL_SM_SN_EUlS10_E_NS1_11comp_targetILNS1_3genE4ELNS1_11target_archE910ELNS1_3gpuE8ELNS1_3repE0EEENS1_48merge_mergepath_partition_config_static_selectorELNS0_4arch9wavefront6targetE1EEEvSM_,"axG",@progbits,_ZN7rocprim17ROCPRIM_400000_NS6detail17trampoline_kernelINS0_14default_configENS1_38merge_sort_block_merge_config_selectorIlNS0_10empty_typeEEEZZNS1_27merge_sort_block_merge_implIS3_PlPS5_mZN2at6native12_GLOBAL__N_124unique_dim_cuda_templateIlEESt5tupleIJNSA_6TensorESF_SF_EERKSF_lbbbEUlllE_EE10hipError_tT0_T1_T2_jT3_P12ihipStream_tbPNSt15iterator_traitsISL_E10value_typeEPNSR_ISM_E10value_typeEPSN_NS1_7vsmem_tEENKUlT_SL_SM_SN_E_clIS8_S8_S9_S9_EESK_S10_SL_SM_SN_EUlS10_E_NS1_11comp_targetILNS1_3genE4ELNS1_11target_archE910ELNS1_3gpuE8ELNS1_3repE0EEENS1_48merge_mergepath_partition_config_static_selectorELNS0_4arch9wavefront6targetE1EEEvSM_,comdat
.Lfunc_end517:
	.size	_ZN7rocprim17ROCPRIM_400000_NS6detail17trampoline_kernelINS0_14default_configENS1_38merge_sort_block_merge_config_selectorIlNS0_10empty_typeEEEZZNS1_27merge_sort_block_merge_implIS3_PlPS5_mZN2at6native12_GLOBAL__N_124unique_dim_cuda_templateIlEESt5tupleIJNSA_6TensorESF_SF_EERKSF_lbbbEUlllE_EE10hipError_tT0_T1_T2_jT3_P12ihipStream_tbPNSt15iterator_traitsISL_E10value_typeEPNSR_ISM_E10value_typeEPSN_NS1_7vsmem_tEENKUlT_SL_SM_SN_E_clIS8_S8_S9_S9_EESK_S10_SL_SM_SN_EUlS10_E_NS1_11comp_targetILNS1_3genE4ELNS1_11target_archE910ELNS1_3gpuE8ELNS1_3repE0EEENS1_48merge_mergepath_partition_config_static_selectorELNS0_4arch9wavefront6targetE1EEEvSM_, .Lfunc_end517-_ZN7rocprim17ROCPRIM_400000_NS6detail17trampoline_kernelINS0_14default_configENS1_38merge_sort_block_merge_config_selectorIlNS0_10empty_typeEEEZZNS1_27merge_sort_block_merge_implIS3_PlPS5_mZN2at6native12_GLOBAL__N_124unique_dim_cuda_templateIlEESt5tupleIJNSA_6TensorESF_SF_EERKSF_lbbbEUlllE_EE10hipError_tT0_T1_T2_jT3_P12ihipStream_tbPNSt15iterator_traitsISL_E10value_typeEPNSR_ISM_E10value_typeEPSN_NS1_7vsmem_tEENKUlT_SL_SM_SN_E_clIS8_S8_S9_S9_EESK_S10_SL_SM_SN_EUlS10_E_NS1_11comp_targetILNS1_3genE4ELNS1_11target_archE910ELNS1_3gpuE8ELNS1_3repE0EEENS1_48merge_mergepath_partition_config_static_selectorELNS0_4arch9wavefront6targetE1EEEvSM_
                                        ; -- End function
	.set _ZN7rocprim17ROCPRIM_400000_NS6detail17trampoline_kernelINS0_14default_configENS1_38merge_sort_block_merge_config_selectorIlNS0_10empty_typeEEEZZNS1_27merge_sort_block_merge_implIS3_PlPS5_mZN2at6native12_GLOBAL__N_124unique_dim_cuda_templateIlEESt5tupleIJNSA_6TensorESF_SF_EERKSF_lbbbEUlllE_EE10hipError_tT0_T1_T2_jT3_P12ihipStream_tbPNSt15iterator_traitsISL_E10value_typeEPNSR_ISM_E10value_typeEPSN_NS1_7vsmem_tEENKUlT_SL_SM_SN_E_clIS8_S8_S9_S9_EESK_S10_SL_SM_SN_EUlS10_E_NS1_11comp_targetILNS1_3genE4ELNS1_11target_archE910ELNS1_3gpuE8ELNS1_3repE0EEENS1_48merge_mergepath_partition_config_static_selectorELNS0_4arch9wavefront6targetE1EEEvSM_.num_vgpr, 0
	.set _ZN7rocprim17ROCPRIM_400000_NS6detail17trampoline_kernelINS0_14default_configENS1_38merge_sort_block_merge_config_selectorIlNS0_10empty_typeEEEZZNS1_27merge_sort_block_merge_implIS3_PlPS5_mZN2at6native12_GLOBAL__N_124unique_dim_cuda_templateIlEESt5tupleIJNSA_6TensorESF_SF_EERKSF_lbbbEUlllE_EE10hipError_tT0_T1_T2_jT3_P12ihipStream_tbPNSt15iterator_traitsISL_E10value_typeEPNSR_ISM_E10value_typeEPSN_NS1_7vsmem_tEENKUlT_SL_SM_SN_E_clIS8_S8_S9_S9_EESK_S10_SL_SM_SN_EUlS10_E_NS1_11comp_targetILNS1_3genE4ELNS1_11target_archE910ELNS1_3gpuE8ELNS1_3repE0EEENS1_48merge_mergepath_partition_config_static_selectorELNS0_4arch9wavefront6targetE1EEEvSM_.num_agpr, 0
	.set _ZN7rocprim17ROCPRIM_400000_NS6detail17trampoline_kernelINS0_14default_configENS1_38merge_sort_block_merge_config_selectorIlNS0_10empty_typeEEEZZNS1_27merge_sort_block_merge_implIS3_PlPS5_mZN2at6native12_GLOBAL__N_124unique_dim_cuda_templateIlEESt5tupleIJNSA_6TensorESF_SF_EERKSF_lbbbEUlllE_EE10hipError_tT0_T1_T2_jT3_P12ihipStream_tbPNSt15iterator_traitsISL_E10value_typeEPNSR_ISM_E10value_typeEPSN_NS1_7vsmem_tEENKUlT_SL_SM_SN_E_clIS8_S8_S9_S9_EESK_S10_SL_SM_SN_EUlS10_E_NS1_11comp_targetILNS1_3genE4ELNS1_11target_archE910ELNS1_3gpuE8ELNS1_3repE0EEENS1_48merge_mergepath_partition_config_static_selectorELNS0_4arch9wavefront6targetE1EEEvSM_.numbered_sgpr, 0
	.set _ZN7rocprim17ROCPRIM_400000_NS6detail17trampoline_kernelINS0_14default_configENS1_38merge_sort_block_merge_config_selectorIlNS0_10empty_typeEEEZZNS1_27merge_sort_block_merge_implIS3_PlPS5_mZN2at6native12_GLOBAL__N_124unique_dim_cuda_templateIlEESt5tupleIJNSA_6TensorESF_SF_EERKSF_lbbbEUlllE_EE10hipError_tT0_T1_T2_jT3_P12ihipStream_tbPNSt15iterator_traitsISL_E10value_typeEPNSR_ISM_E10value_typeEPSN_NS1_7vsmem_tEENKUlT_SL_SM_SN_E_clIS8_S8_S9_S9_EESK_S10_SL_SM_SN_EUlS10_E_NS1_11comp_targetILNS1_3genE4ELNS1_11target_archE910ELNS1_3gpuE8ELNS1_3repE0EEENS1_48merge_mergepath_partition_config_static_selectorELNS0_4arch9wavefront6targetE1EEEvSM_.num_named_barrier, 0
	.set _ZN7rocprim17ROCPRIM_400000_NS6detail17trampoline_kernelINS0_14default_configENS1_38merge_sort_block_merge_config_selectorIlNS0_10empty_typeEEEZZNS1_27merge_sort_block_merge_implIS3_PlPS5_mZN2at6native12_GLOBAL__N_124unique_dim_cuda_templateIlEESt5tupleIJNSA_6TensorESF_SF_EERKSF_lbbbEUlllE_EE10hipError_tT0_T1_T2_jT3_P12ihipStream_tbPNSt15iterator_traitsISL_E10value_typeEPNSR_ISM_E10value_typeEPSN_NS1_7vsmem_tEENKUlT_SL_SM_SN_E_clIS8_S8_S9_S9_EESK_S10_SL_SM_SN_EUlS10_E_NS1_11comp_targetILNS1_3genE4ELNS1_11target_archE910ELNS1_3gpuE8ELNS1_3repE0EEENS1_48merge_mergepath_partition_config_static_selectorELNS0_4arch9wavefront6targetE1EEEvSM_.private_seg_size, 0
	.set _ZN7rocprim17ROCPRIM_400000_NS6detail17trampoline_kernelINS0_14default_configENS1_38merge_sort_block_merge_config_selectorIlNS0_10empty_typeEEEZZNS1_27merge_sort_block_merge_implIS3_PlPS5_mZN2at6native12_GLOBAL__N_124unique_dim_cuda_templateIlEESt5tupleIJNSA_6TensorESF_SF_EERKSF_lbbbEUlllE_EE10hipError_tT0_T1_T2_jT3_P12ihipStream_tbPNSt15iterator_traitsISL_E10value_typeEPNSR_ISM_E10value_typeEPSN_NS1_7vsmem_tEENKUlT_SL_SM_SN_E_clIS8_S8_S9_S9_EESK_S10_SL_SM_SN_EUlS10_E_NS1_11comp_targetILNS1_3genE4ELNS1_11target_archE910ELNS1_3gpuE8ELNS1_3repE0EEENS1_48merge_mergepath_partition_config_static_selectorELNS0_4arch9wavefront6targetE1EEEvSM_.uses_vcc, 0
	.set _ZN7rocprim17ROCPRIM_400000_NS6detail17trampoline_kernelINS0_14default_configENS1_38merge_sort_block_merge_config_selectorIlNS0_10empty_typeEEEZZNS1_27merge_sort_block_merge_implIS3_PlPS5_mZN2at6native12_GLOBAL__N_124unique_dim_cuda_templateIlEESt5tupleIJNSA_6TensorESF_SF_EERKSF_lbbbEUlllE_EE10hipError_tT0_T1_T2_jT3_P12ihipStream_tbPNSt15iterator_traitsISL_E10value_typeEPNSR_ISM_E10value_typeEPSN_NS1_7vsmem_tEENKUlT_SL_SM_SN_E_clIS8_S8_S9_S9_EESK_S10_SL_SM_SN_EUlS10_E_NS1_11comp_targetILNS1_3genE4ELNS1_11target_archE910ELNS1_3gpuE8ELNS1_3repE0EEENS1_48merge_mergepath_partition_config_static_selectorELNS0_4arch9wavefront6targetE1EEEvSM_.uses_flat_scratch, 0
	.set _ZN7rocprim17ROCPRIM_400000_NS6detail17trampoline_kernelINS0_14default_configENS1_38merge_sort_block_merge_config_selectorIlNS0_10empty_typeEEEZZNS1_27merge_sort_block_merge_implIS3_PlPS5_mZN2at6native12_GLOBAL__N_124unique_dim_cuda_templateIlEESt5tupleIJNSA_6TensorESF_SF_EERKSF_lbbbEUlllE_EE10hipError_tT0_T1_T2_jT3_P12ihipStream_tbPNSt15iterator_traitsISL_E10value_typeEPNSR_ISM_E10value_typeEPSN_NS1_7vsmem_tEENKUlT_SL_SM_SN_E_clIS8_S8_S9_S9_EESK_S10_SL_SM_SN_EUlS10_E_NS1_11comp_targetILNS1_3genE4ELNS1_11target_archE910ELNS1_3gpuE8ELNS1_3repE0EEENS1_48merge_mergepath_partition_config_static_selectorELNS0_4arch9wavefront6targetE1EEEvSM_.has_dyn_sized_stack, 0
	.set _ZN7rocprim17ROCPRIM_400000_NS6detail17trampoline_kernelINS0_14default_configENS1_38merge_sort_block_merge_config_selectorIlNS0_10empty_typeEEEZZNS1_27merge_sort_block_merge_implIS3_PlPS5_mZN2at6native12_GLOBAL__N_124unique_dim_cuda_templateIlEESt5tupleIJNSA_6TensorESF_SF_EERKSF_lbbbEUlllE_EE10hipError_tT0_T1_T2_jT3_P12ihipStream_tbPNSt15iterator_traitsISL_E10value_typeEPNSR_ISM_E10value_typeEPSN_NS1_7vsmem_tEENKUlT_SL_SM_SN_E_clIS8_S8_S9_S9_EESK_S10_SL_SM_SN_EUlS10_E_NS1_11comp_targetILNS1_3genE4ELNS1_11target_archE910ELNS1_3gpuE8ELNS1_3repE0EEENS1_48merge_mergepath_partition_config_static_selectorELNS0_4arch9wavefront6targetE1EEEvSM_.has_recursion, 0
	.set _ZN7rocprim17ROCPRIM_400000_NS6detail17trampoline_kernelINS0_14default_configENS1_38merge_sort_block_merge_config_selectorIlNS0_10empty_typeEEEZZNS1_27merge_sort_block_merge_implIS3_PlPS5_mZN2at6native12_GLOBAL__N_124unique_dim_cuda_templateIlEESt5tupleIJNSA_6TensorESF_SF_EERKSF_lbbbEUlllE_EE10hipError_tT0_T1_T2_jT3_P12ihipStream_tbPNSt15iterator_traitsISL_E10value_typeEPNSR_ISM_E10value_typeEPSN_NS1_7vsmem_tEENKUlT_SL_SM_SN_E_clIS8_S8_S9_S9_EESK_S10_SL_SM_SN_EUlS10_E_NS1_11comp_targetILNS1_3genE4ELNS1_11target_archE910ELNS1_3gpuE8ELNS1_3repE0EEENS1_48merge_mergepath_partition_config_static_selectorELNS0_4arch9wavefront6targetE1EEEvSM_.has_indirect_call, 0
	.section	.AMDGPU.csdata,"",@progbits
; Kernel info:
; codeLenInByte = 0
; TotalNumSgprs: 6
; NumVgprs: 0
; NumAgprs: 0
; TotalNumVgprs: 0
; ScratchSize: 0
; MemoryBound: 0
; FloatMode: 240
; IeeeMode: 1
; LDSByteSize: 0 bytes/workgroup (compile time only)
; SGPRBlocks: 0
; VGPRBlocks: 0
; NumSGPRsForWavesPerEU: 6
; NumVGPRsForWavesPerEU: 1
; AccumOffset: 4
; Occupancy: 8
; WaveLimiterHint : 0
; COMPUTE_PGM_RSRC2:SCRATCH_EN: 0
; COMPUTE_PGM_RSRC2:USER_SGPR: 2
; COMPUTE_PGM_RSRC2:TRAP_HANDLER: 0
; COMPUTE_PGM_RSRC2:TGID_X_EN: 1
; COMPUTE_PGM_RSRC2:TGID_Y_EN: 0
; COMPUTE_PGM_RSRC2:TGID_Z_EN: 0
; COMPUTE_PGM_RSRC2:TIDIG_COMP_CNT: 0
; COMPUTE_PGM_RSRC3_GFX90A:ACCUM_OFFSET: 0
; COMPUTE_PGM_RSRC3_GFX90A:TG_SPLIT: 0
	.section	.text._ZN7rocprim17ROCPRIM_400000_NS6detail17trampoline_kernelINS0_14default_configENS1_38merge_sort_block_merge_config_selectorIlNS0_10empty_typeEEEZZNS1_27merge_sort_block_merge_implIS3_PlPS5_mZN2at6native12_GLOBAL__N_124unique_dim_cuda_templateIlEESt5tupleIJNSA_6TensorESF_SF_EERKSF_lbbbEUlllE_EE10hipError_tT0_T1_T2_jT3_P12ihipStream_tbPNSt15iterator_traitsISL_E10value_typeEPNSR_ISM_E10value_typeEPSN_NS1_7vsmem_tEENKUlT_SL_SM_SN_E_clIS8_S8_S9_S9_EESK_S10_SL_SM_SN_EUlS10_E_NS1_11comp_targetILNS1_3genE3ELNS1_11target_archE908ELNS1_3gpuE7ELNS1_3repE0EEENS1_48merge_mergepath_partition_config_static_selectorELNS0_4arch9wavefront6targetE1EEEvSM_,"axG",@progbits,_ZN7rocprim17ROCPRIM_400000_NS6detail17trampoline_kernelINS0_14default_configENS1_38merge_sort_block_merge_config_selectorIlNS0_10empty_typeEEEZZNS1_27merge_sort_block_merge_implIS3_PlPS5_mZN2at6native12_GLOBAL__N_124unique_dim_cuda_templateIlEESt5tupleIJNSA_6TensorESF_SF_EERKSF_lbbbEUlllE_EE10hipError_tT0_T1_T2_jT3_P12ihipStream_tbPNSt15iterator_traitsISL_E10value_typeEPNSR_ISM_E10value_typeEPSN_NS1_7vsmem_tEENKUlT_SL_SM_SN_E_clIS8_S8_S9_S9_EESK_S10_SL_SM_SN_EUlS10_E_NS1_11comp_targetILNS1_3genE3ELNS1_11target_archE908ELNS1_3gpuE7ELNS1_3repE0EEENS1_48merge_mergepath_partition_config_static_selectorELNS0_4arch9wavefront6targetE1EEEvSM_,comdat
	.globl	_ZN7rocprim17ROCPRIM_400000_NS6detail17trampoline_kernelINS0_14default_configENS1_38merge_sort_block_merge_config_selectorIlNS0_10empty_typeEEEZZNS1_27merge_sort_block_merge_implIS3_PlPS5_mZN2at6native12_GLOBAL__N_124unique_dim_cuda_templateIlEESt5tupleIJNSA_6TensorESF_SF_EERKSF_lbbbEUlllE_EE10hipError_tT0_T1_T2_jT3_P12ihipStream_tbPNSt15iterator_traitsISL_E10value_typeEPNSR_ISM_E10value_typeEPSN_NS1_7vsmem_tEENKUlT_SL_SM_SN_E_clIS8_S8_S9_S9_EESK_S10_SL_SM_SN_EUlS10_E_NS1_11comp_targetILNS1_3genE3ELNS1_11target_archE908ELNS1_3gpuE7ELNS1_3repE0EEENS1_48merge_mergepath_partition_config_static_selectorELNS0_4arch9wavefront6targetE1EEEvSM_ ; -- Begin function _ZN7rocprim17ROCPRIM_400000_NS6detail17trampoline_kernelINS0_14default_configENS1_38merge_sort_block_merge_config_selectorIlNS0_10empty_typeEEEZZNS1_27merge_sort_block_merge_implIS3_PlPS5_mZN2at6native12_GLOBAL__N_124unique_dim_cuda_templateIlEESt5tupleIJNSA_6TensorESF_SF_EERKSF_lbbbEUlllE_EE10hipError_tT0_T1_T2_jT3_P12ihipStream_tbPNSt15iterator_traitsISL_E10value_typeEPNSR_ISM_E10value_typeEPSN_NS1_7vsmem_tEENKUlT_SL_SM_SN_E_clIS8_S8_S9_S9_EESK_S10_SL_SM_SN_EUlS10_E_NS1_11comp_targetILNS1_3genE3ELNS1_11target_archE908ELNS1_3gpuE7ELNS1_3repE0EEENS1_48merge_mergepath_partition_config_static_selectorELNS0_4arch9wavefront6targetE1EEEvSM_
	.p2align	8
	.type	_ZN7rocprim17ROCPRIM_400000_NS6detail17trampoline_kernelINS0_14default_configENS1_38merge_sort_block_merge_config_selectorIlNS0_10empty_typeEEEZZNS1_27merge_sort_block_merge_implIS3_PlPS5_mZN2at6native12_GLOBAL__N_124unique_dim_cuda_templateIlEESt5tupleIJNSA_6TensorESF_SF_EERKSF_lbbbEUlllE_EE10hipError_tT0_T1_T2_jT3_P12ihipStream_tbPNSt15iterator_traitsISL_E10value_typeEPNSR_ISM_E10value_typeEPSN_NS1_7vsmem_tEENKUlT_SL_SM_SN_E_clIS8_S8_S9_S9_EESK_S10_SL_SM_SN_EUlS10_E_NS1_11comp_targetILNS1_3genE3ELNS1_11target_archE908ELNS1_3gpuE7ELNS1_3repE0EEENS1_48merge_mergepath_partition_config_static_selectorELNS0_4arch9wavefront6targetE1EEEvSM_,@function
_ZN7rocprim17ROCPRIM_400000_NS6detail17trampoline_kernelINS0_14default_configENS1_38merge_sort_block_merge_config_selectorIlNS0_10empty_typeEEEZZNS1_27merge_sort_block_merge_implIS3_PlPS5_mZN2at6native12_GLOBAL__N_124unique_dim_cuda_templateIlEESt5tupleIJNSA_6TensorESF_SF_EERKSF_lbbbEUlllE_EE10hipError_tT0_T1_T2_jT3_P12ihipStream_tbPNSt15iterator_traitsISL_E10value_typeEPNSR_ISM_E10value_typeEPSN_NS1_7vsmem_tEENKUlT_SL_SM_SN_E_clIS8_S8_S9_S9_EESK_S10_SL_SM_SN_EUlS10_E_NS1_11comp_targetILNS1_3genE3ELNS1_11target_archE908ELNS1_3gpuE7ELNS1_3repE0EEENS1_48merge_mergepath_partition_config_static_selectorELNS0_4arch9wavefront6targetE1EEEvSM_: ; @_ZN7rocprim17ROCPRIM_400000_NS6detail17trampoline_kernelINS0_14default_configENS1_38merge_sort_block_merge_config_selectorIlNS0_10empty_typeEEEZZNS1_27merge_sort_block_merge_implIS3_PlPS5_mZN2at6native12_GLOBAL__N_124unique_dim_cuda_templateIlEESt5tupleIJNSA_6TensorESF_SF_EERKSF_lbbbEUlllE_EE10hipError_tT0_T1_T2_jT3_P12ihipStream_tbPNSt15iterator_traitsISL_E10value_typeEPNSR_ISM_E10value_typeEPSN_NS1_7vsmem_tEENKUlT_SL_SM_SN_E_clIS8_S8_S9_S9_EESK_S10_SL_SM_SN_EUlS10_E_NS1_11comp_targetILNS1_3genE3ELNS1_11target_archE908ELNS1_3gpuE7ELNS1_3repE0EEENS1_48merge_mergepath_partition_config_static_selectorELNS0_4arch9wavefront6targetE1EEEvSM_
; %bb.0:
	.section	.rodata,"a",@progbits
	.p2align	6, 0x0
	.amdhsa_kernel _ZN7rocprim17ROCPRIM_400000_NS6detail17trampoline_kernelINS0_14default_configENS1_38merge_sort_block_merge_config_selectorIlNS0_10empty_typeEEEZZNS1_27merge_sort_block_merge_implIS3_PlPS5_mZN2at6native12_GLOBAL__N_124unique_dim_cuda_templateIlEESt5tupleIJNSA_6TensorESF_SF_EERKSF_lbbbEUlllE_EE10hipError_tT0_T1_T2_jT3_P12ihipStream_tbPNSt15iterator_traitsISL_E10value_typeEPNSR_ISM_E10value_typeEPSN_NS1_7vsmem_tEENKUlT_SL_SM_SN_E_clIS8_S8_S9_S9_EESK_S10_SL_SM_SN_EUlS10_E_NS1_11comp_targetILNS1_3genE3ELNS1_11target_archE908ELNS1_3gpuE7ELNS1_3repE0EEENS1_48merge_mergepath_partition_config_static_selectorELNS0_4arch9wavefront6targetE1EEEvSM_
		.amdhsa_group_segment_fixed_size 0
		.amdhsa_private_segment_fixed_size 0
		.amdhsa_kernarg_size 56
		.amdhsa_user_sgpr_count 2
		.amdhsa_user_sgpr_dispatch_ptr 0
		.amdhsa_user_sgpr_queue_ptr 0
		.amdhsa_user_sgpr_kernarg_segment_ptr 1
		.amdhsa_user_sgpr_dispatch_id 0
		.amdhsa_user_sgpr_kernarg_preload_length 0
		.amdhsa_user_sgpr_kernarg_preload_offset 0
		.amdhsa_user_sgpr_private_segment_size 0
		.amdhsa_uses_dynamic_stack 0
		.amdhsa_enable_private_segment 0
		.amdhsa_system_sgpr_workgroup_id_x 1
		.amdhsa_system_sgpr_workgroup_id_y 0
		.amdhsa_system_sgpr_workgroup_id_z 0
		.amdhsa_system_sgpr_workgroup_info 0
		.amdhsa_system_vgpr_workitem_id 0
		.amdhsa_next_free_vgpr 1
		.amdhsa_next_free_sgpr 0
		.amdhsa_accum_offset 4
		.amdhsa_reserve_vcc 0
		.amdhsa_float_round_mode_32 0
		.amdhsa_float_round_mode_16_64 0
		.amdhsa_float_denorm_mode_32 3
		.amdhsa_float_denorm_mode_16_64 3
		.amdhsa_dx10_clamp 1
		.amdhsa_ieee_mode 1
		.amdhsa_fp16_overflow 0
		.amdhsa_tg_split 0
		.amdhsa_exception_fp_ieee_invalid_op 0
		.amdhsa_exception_fp_denorm_src 0
		.amdhsa_exception_fp_ieee_div_zero 0
		.amdhsa_exception_fp_ieee_overflow 0
		.amdhsa_exception_fp_ieee_underflow 0
		.amdhsa_exception_fp_ieee_inexact 0
		.amdhsa_exception_int_div_zero 0
	.end_amdhsa_kernel
	.section	.text._ZN7rocprim17ROCPRIM_400000_NS6detail17trampoline_kernelINS0_14default_configENS1_38merge_sort_block_merge_config_selectorIlNS0_10empty_typeEEEZZNS1_27merge_sort_block_merge_implIS3_PlPS5_mZN2at6native12_GLOBAL__N_124unique_dim_cuda_templateIlEESt5tupleIJNSA_6TensorESF_SF_EERKSF_lbbbEUlllE_EE10hipError_tT0_T1_T2_jT3_P12ihipStream_tbPNSt15iterator_traitsISL_E10value_typeEPNSR_ISM_E10value_typeEPSN_NS1_7vsmem_tEENKUlT_SL_SM_SN_E_clIS8_S8_S9_S9_EESK_S10_SL_SM_SN_EUlS10_E_NS1_11comp_targetILNS1_3genE3ELNS1_11target_archE908ELNS1_3gpuE7ELNS1_3repE0EEENS1_48merge_mergepath_partition_config_static_selectorELNS0_4arch9wavefront6targetE1EEEvSM_,"axG",@progbits,_ZN7rocprim17ROCPRIM_400000_NS6detail17trampoline_kernelINS0_14default_configENS1_38merge_sort_block_merge_config_selectorIlNS0_10empty_typeEEEZZNS1_27merge_sort_block_merge_implIS3_PlPS5_mZN2at6native12_GLOBAL__N_124unique_dim_cuda_templateIlEESt5tupleIJNSA_6TensorESF_SF_EERKSF_lbbbEUlllE_EE10hipError_tT0_T1_T2_jT3_P12ihipStream_tbPNSt15iterator_traitsISL_E10value_typeEPNSR_ISM_E10value_typeEPSN_NS1_7vsmem_tEENKUlT_SL_SM_SN_E_clIS8_S8_S9_S9_EESK_S10_SL_SM_SN_EUlS10_E_NS1_11comp_targetILNS1_3genE3ELNS1_11target_archE908ELNS1_3gpuE7ELNS1_3repE0EEENS1_48merge_mergepath_partition_config_static_selectorELNS0_4arch9wavefront6targetE1EEEvSM_,comdat
.Lfunc_end518:
	.size	_ZN7rocprim17ROCPRIM_400000_NS6detail17trampoline_kernelINS0_14default_configENS1_38merge_sort_block_merge_config_selectorIlNS0_10empty_typeEEEZZNS1_27merge_sort_block_merge_implIS3_PlPS5_mZN2at6native12_GLOBAL__N_124unique_dim_cuda_templateIlEESt5tupleIJNSA_6TensorESF_SF_EERKSF_lbbbEUlllE_EE10hipError_tT0_T1_T2_jT3_P12ihipStream_tbPNSt15iterator_traitsISL_E10value_typeEPNSR_ISM_E10value_typeEPSN_NS1_7vsmem_tEENKUlT_SL_SM_SN_E_clIS8_S8_S9_S9_EESK_S10_SL_SM_SN_EUlS10_E_NS1_11comp_targetILNS1_3genE3ELNS1_11target_archE908ELNS1_3gpuE7ELNS1_3repE0EEENS1_48merge_mergepath_partition_config_static_selectorELNS0_4arch9wavefront6targetE1EEEvSM_, .Lfunc_end518-_ZN7rocprim17ROCPRIM_400000_NS6detail17trampoline_kernelINS0_14default_configENS1_38merge_sort_block_merge_config_selectorIlNS0_10empty_typeEEEZZNS1_27merge_sort_block_merge_implIS3_PlPS5_mZN2at6native12_GLOBAL__N_124unique_dim_cuda_templateIlEESt5tupleIJNSA_6TensorESF_SF_EERKSF_lbbbEUlllE_EE10hipError_tT0_T1_T2_jT3_P12ihipStream_tbPNSt15iterator_traitsISL_E10value_typeEPNSR_ISM_E10value_typeEPSN_NS1_7vsmem_tEENKUlT_SL_SM_SN_E_clIS8_S8_S9_S9_EESK_S10_SL_SM_SN_EUlS10_E_NS1_11comp_targetILNS1_3genE3ELNS1_11target_archE908ELNS1_3gpuE7ELNS1_3repE0EEENS1_48merge_mergepath_partition_config_static_selectorELNS0_4arch9wavefront6targetE1EEEvSM_
                                        ; -- End function
	.set _ZN7rocprim17ROCPRIM_400000_NS6detail17trampoline_kernelINS0_14default_configENS1_38merge_sort_block_merge_config_selectorIlNS0_10empty_typeEEEZZNS1_27merge_sort_block_merge_implIS3_PlPS5_mZN2at6native12_GLOBAL__N_124unique_dim_cuda_templateIlEESt5tupleIJNSA_6TensorESF_SF_EERKSF_lbbbEUlllE_EE10hipError_tT0_T1_T2_jT3_P12ihipStream_tbPNSt15iterator_traitsISL_E10value_typeEPNSR_ISM_E10value_typeEPSN_NS1_7vsmem_tEENKUlT_SL_SM_SN_E_clIS8_S8_S9_S9_EESK_S10_SL_SM_SN_EUlS10_E_NS1_11comp_targetILNS1_3genE3ELNS1_11target_archE908ELNS1_3gpuE7ELNS1_3repE0EEENS1_48merge_mergepath_partition_config_static_selectorELNS0_4arch9wavefront6targetE1EEEvSM_.num_vgpr, 0
	.set _ZN7rocprim17ROCPRIM_400000_NS6detail17trampoline_kernelINS0_14default_configENS1_38merge_sort_block_merge_config_selectorIlNS0_10empty_typeEEEZZNS1_27merge_sort_block_merge_implIS3_PlPS5_mZN2at6native12_GLOBAL__N_124unique_dim_cuda_templateIlEESt5tupleIJNSA_6TensorESF_SF_EERKSF_lbbbEUlllE_EE10hipError_tT0_T1_T2_jT3_P12ihipStream_tbPNSt15iterator_traitsISL_E10value_typeEPNSR_ISM_E10value_typeEPSN_NS1_7vsmem_tEENKUlT_SL_SM_SN_E_clIS8_S8_S9_S9_EESK_S10_SL_SM_SN_EUlS10_E_NS1_11comp_targetILNS1_3genE3ELNS1_11target_archE908ELNS1_3gpuE7ELNS1_3repE0EEENS1_48merge_mergepath_partition_config_static_selectorELNS0_4arch9wavefront6targetE1EEEvSM_.num_agpr, 0
	.set _ZN7rocprim17ROCPRIM_400000_NS6detail17trampoline_kernelINS0_14default_configENS1_38merge_sort_block_merge_config_selectorIlNS0_10empty_typeEEEZZNS1_27merge_sort_block_merge_implIS3_PlPS5_mZN2at6native12_GLOBAL__N_124unique_dim_cuda_templateIlEESt5tupleIJNSA_6TensorESF_SF_EERKSF_lbbbEUlllE_EE10hipError_tT0_T1_T2_jT3_P12ihipStream_tbPNSt15iterator_traitsISL_E10value_typeEPNSR_ISM_E10value_typeEPSN_NS1_7vsmem_tEENKUlT_SL_SM_SN_E_clIS8_S8_S9_S9_EESK_S10_SL_SM_SN_EUlS10_E_NS1_11comp_targetILNS1_3genE3ELNS1_11target_archE908ELNS1_3gpuE7ELNS1_3repE0EEENS1_48merge_mergepath_partition_config_static_selectorELNS0_4arch9wavefront6targetE1EEEvSM_.numbered_sgpr, 0
	.set _ZN7rocprim17ROCPRIM_400000_NS6detail17trampoline_kernelINS0_14default_configENS1_38merge_sort_block_merge_config_selectorIlNS0_10empty_typeEEEZZNS1_27merge_sort_block_merge_implIS3_PlPS5_mZN2at6native12_GLOBAL__N_124unique_dim_cuda_templateIlEESt5tupleIJNSA_6TensorESF_SF_EERKSF_lbbbEUlllE_EE10hipError_tT0_T1_T2_jT3_P12ihipStream_tbPNSt15iterator_traitsISL_E10value_typeEPNSR_ISM_E10value_typeEPSN_NS1_7vsmem_tEENKUlT_SL_SM_SN_E_clIS8_S8_S9_S9_EESK_S10_SL_SM_SN_EUlS10_E_NS1_11comp_targetILNS1_3genE3ELNS1_11target_archE908ELNS1_3gpuE7ELNS1_3repE0EEENS1_48merge_mergepath_partition_config_static_selectorELNS0_4arch9wavefront6targetE1EEEvSM_.num_named_barrier, 0
	.set _ZN7rocprim17ROCPRIM_400000_NS6detail17trampoline_kernelINS0_14default_configENS1_38merge_sort_block_merge_config_selectorIlNS0_10empty_typeEEEZZNS1_27merge_sort_block_merge_implIS3_PlPS5_mZN2at6native12_GLOBAL__N_124unique_dim_cuda_templateIlEESt5tupleIJNSA_6TensorESF_SF_EERKSF_lbbbEUlllE_EE10hipError_tT0_T1_T2_jT3_P12ihipStream_tbPNSt15iterator_traitsISL_E10value_typeEPNSR_ISM_E10value_typeEPSN_NS1_7vsmem_tEENKUlT_SL_SM_SN_E_clIS8_S8_S9_S9_EESK_S10_SL_SM_SN_EUlS10_E_NS1_11comp_targetILNS1_3genE3ELNS1_11target_archE908ELNS1_3gpuE7ELNS1_3repE0EEENS1_48merge_mergepath_partition_config_static_selectorELNS0_4arch9wavefront6targetE1EEEvSM_.private_seg_size, 0
	.set _ZN7rocprim17ROCPRIM_400000_NS6detail17trampoline_kernelINS0_14default_configENS1_38merge_sort_block_merge_config_selectorIlNS0_10empty_typeEEEZZNS1_27merge_sort_block_merge_implIS3_PlPS5_mZN2at6native12_GLOBAL__N_124unique_dim_cuda_templateIlEESt5tupleIJNSA_6TensorESF_SF_EERKSF_lbbbEUlllE_EE10hipError_tT0_T1_T2_jT3_P12ihipStream_tbPNSt15iterator_traitsISL_E10value_typeEPNSR_ISM_E10value_typeEPSN_NS1_7vsmem_tEENKUlT_SL_SM_SN_E_clIS8_S8_S9_S9_EESK_S10_SL_SM_SN_EUlS10_E_NS1_11comp_targetILNS1_3genE3ELNS1_11target_archE908ELNS1_3gpuE7ELNS1_3repE0EEENS1_48merge_mergepath_partition_config_static_selectorELNS0_4arch9wavefront6targetE1EEEvSM_.uses_vcc, 0
	.set _ZN7rocprim17ROCPRIM_400000_NS6detail17trampoline_kernelINS0_14default_configENS1_38merge_sort_block_merge_config_selectorIlNS0_10empty_typeEEEZZNS1_27merge_sort_block_merge_implIS3_PlPS5_mZN2at6native12_GLOBAL__N_124unique_dim_cuda_templateIlEESt5tupleIJNSA_6TensorESF_SF_EERKSF_lbbbEUlllE_EE10hipError_tT0_T1_T2_jT3_P12ihipStream_tbPNSt15iterator_traitsISL_E10value_typeEPNSR_ISM_E10value_typeEPSN_NS1_7vsmem_tEENKUlT_SL_SM_SN_E_clIS8_S8_S9_S9_EESK_S10_SL_SM_SN_EUlS10_E_NS1_11comp_targetILNS1_3genE3ELNS1_11target_archE908ELNS1_3gpuE7ELNS1_3repE0EEENS1_48merge_mergepath_partition_config_static_selectorELNS0_4arch9wavefront6targetE1EEEvSM_.uses_flat_scratch, 0
	.set _ZN7rocprim17ROCPRIM_400000_NS6detail17trampoline_kernelINS0_14default_configENS1_38merge_sort_block_merge_config_selectorIlNS0_10empty_typeEEEZZNS1_27merge_sort_block_merge_implIS3_PlPS5_mZN2at6native12_GLOBAL__N_124unique_dim_cuda_templateIlEESt5tupleIJNSA_6TensorESF_SF_EERKSF_lbbbEUlllE_EE10hipError_tT0_T1_T2_jT3_P12ihipStream_tbPNSt15iterator_traitsISL_E10value_typeEPNSR_ISM_E10value_typeEPSN_NS1_7vsmem_tEENKUlT_SL_SM_SN_E_clIS8_S8_S9_S9_EESK_S10_SL_SM_SN_EUlS10_E_NS1_11comp_targetILNS1_3genE3ELNS1_11target_archE908ELNS1_3gpuE7ELNS1_3repE0EEENS1_48merge_mergepath_partition_config_static_selectorELNS0_4arch9wavefront6targetE1EEEvSM_.has_dyn_sized_stack, 0
	.set _ZN7rocprim17ROCPRIM_400000_NS6detail17trampoline_kernelINS0_14default_configENS1_38merge_sort_block_merge_config_selectorIlNS0_10empty_typeEEEZZNS1_27merge_sort_block_merge_implIS3_PlPS5_mZN2at6native12_GLOBAL__N_124unique_dim_cuda_templateIlEESt5tupleIJNSA_6TensorESF_SF_EERKSF_lbbbEUlllE_EE10hipError_tT0_T1_T2_jT3_P12ihipStream_tbPNSt15iterator_traitsISL_E10value_typeEPNSR_ISM_E10value_typeEPSN_NS1_7vsmem_tEENKUlT_SL_SM_SN_E_clIS8_S8_S9_S9_EESK_S10_SL_SM_SN_EUlS10_E_NS1_11comp_targetILNS1_3genE3ELNS1_11target_archE908ELNS1_3gpuE7ELNS1_3repE0EEENS1_48merge_mergepath_partition_config_static_selectorELNS0_4arch9wavefront6targetE1EEEvSM_.has_recursion, 0
	.set _ZN7rocprim17ROCPRIM_400000_NS6detail17trampoline_kernelINS0_14default_configENS1_38merge_sort_block_merge_config_selectorIlNS0_10empty_typeEEEZZNS1_27merge_sort_block_merge_implIS3_PlPS5_mZN2at6native12_GLOBAL__N_124unique_dim_cuda_templateIlEESt5tupleIJNSA_6TensorESF_SF_EERKSF_lbbbEUlllE_EE10hipError_tT0_T1_T2_jT3_P12ihipStream_tbPNSt15iterator_traitsISL_E10value_typeEPNSR_ISM_E10value_typeEPSN_NS1_7vsmem_tEENKUlT_SL_SM_SN_E_clIS8_S8_S9_S9_EESK_S10_SL_SM_SN_EUlS10_E_NS1_11comp_targetILNS1_3genE3ELNS1_11target_archE908ELNS1_3gpuE7ELNS1_3repE0EEENS1_48merge_mergepath_partition_config_static_selectorELNS0_4arch9wavefront6targetE1EEEvSM_.has_indirect_call, 0
	.section	.AMDGPU.csdata,"",@progbits
; Kernel info:
; codeLenInByte = 0
; TotalNumSgprs: 6
; NumVgprs: 0
; NumAgprs: 0
; TotalNumVgprs: 0
; ScratchSize: 0
; MemoryBound: 0
; FloatMode: 240
; IeeeMode: 1
; LDSByteSize: 0 bytes/workgroup (compile time only)
; SGPRBlocks: 0
; VGPRBlocks: 0
; NumSGPRsForWavesPerEU: 6
; NumVGPRsForWavesPerEU: 1
; AccumOffset: 4
; Occupancy: 8
; WaveLimiterHint : 0
; COMPUTE_PGM_RSRC2:SCRATCH_EN: 0
; COMPUTE_PGM_RSRC2:USER_SGPR: 2
; COMPUTE_PGM_RSRC2:TRAP_HANDLER: 0
; COMPUTE_PGM_RSRC2:TGID_X_EN: 1
; COMPUTE_PGM_RSRC2:TGID_Y_EN: 0
; COMPUTE_PGM_RSRC2:TGID_Z_EN: 0
; COMPUTE_PGM_RSRC2:TIDIG_COMP_CNT: 0
; COMPUTE_PGM_RSRC3_GFX90A:ACCUM_OFFSET: 0
; COMPUTE_PGM_RSRC3_GFX90A:TG_SPLIT: 0
	.section	.text._ZN7rocprim17ROCPRIM_400000_NS6detail17trampoline_kernelINS0_14default_configENS1_38merge_sort_block_merge_config_selectorIlNS0_10empty_typeEEEZZNS1_27merge_sort_block_merge_implIS3_PlPS5_mZN2at6native12_GLOBAL__N_124unique_dim_cuda_templateIlEESt5tupleIJNSA_6TensorESF_SF_EERKSF_lbbbEUlllE_EE10hipError_tT0_T1_T2_jT3_P12ihipStream_tbPNSt15iterator_traitsISL_E10value_typeEPNSR_ISM_E10value_typeEPSN_NS1_7vsmem_tEENKUlT_SL_SM_SN_E_clIS8_S8_S9_S9_EESK_S10_SL_SM_SN_EUlS10_E_NS1_11comp_targetILNS1_3genE2ELNS1_11target_archE906ELNS1_3gpuE6ELNS1_3repE0EEENS1_48merge_mergepath_partition_config_static_selectorELNS0_4arch9wavefront6targetE1EEEvSM_,"axG",@progbits,_ZN7rocprim17ROCPRIM_400000_NS6detail17trampoline_kernelINS0_14default_configENS1_38merge_sort_block_merge_config_selectorIlNS0_10empty_typeEEEZZNS1_27merge_sort_block_merge_implIS3_PlPS5_mZN2at6native12_GLOBAL__N_124unique_dim_cuda_templateIlEESt5tupleIJNSA_6TensorESF_SF_EERKSF_lbbbEUlllE_EE10hipError_tT0_T1_T2_jT3_P12ihipStream_tbPNSt15iterator_traitsISL_E10value_typeEPNSR_ISM_E10value_typeEPSN_NS1_7vsmem_tEENKUlT_SL_SM_SN_E_clIS8_S8_S9_S9_EESK_S10_SL_SM_SN_EUlS10_E_NS1_11comp_targetILNS1_3genE2ELNS1_11target_archE906ELNS1_3gpuE6ELNS1_3repE0EEENS1_48merge_mergepath_partition_config_static_selectorELNS0_4arch9wavefront6targetE1EEEvSM_,comdat
	.globl	_ZN7rocprim17ROCPRIM_400000_NS6detail17trampoline_kernelINS0_14default_configENS1_38merge_sort_block_merge_config_selectorIlNS0_10empty_typeEEEZZNS1_27merge_sort_block_merge_implIS3_PlPS5_mZN2at6native12_GLOBAL__N_124unique_dim_cuda_templateIlEESt5tupleIJNSA_6TensorESF_SF_EERKSF_lbbbEUlllE_EE10hipError_tT0_T1_T2_jT3_P12ihipStream_tbPNSt15iterator_traitsISL_E10value_typeEPNSR_ISM_E10value_typeEPSN_NS1_7vsmem_tEENKUlT_SL_SM_SN_E_clIS8_S8_S9_S9_EESK_S10_SL_SM_SN_EUlS10_E_NS1_11comp_targetILNS1_3genE2ELNS1_11target_archE906ELNS1_3gpuE6ELNS1_3repE0EEENS1_48merge_mergepath_partition_config_static_selectorELNS0_4arch9wavefront6targetE1EEEvSM_ ; -- Begin function _ZN7rocprim17ROCPRIM_400000_NS6detail17trampoline_kernelINS0_14default_configENS1_38merge_sort_block_merge_config_selectorIlNS0_10empty_typeEEEZZNS1_27merge_sort_block_merge_implIS3_PlPS5_mZN2at6native12_GLOBAL__N_124unique_dim_cuda_templateIlEESt5tupleIJNSA_6TensorESF_SF_EERKSF_lbbbEUlllE_EE10hipError_tT0_T1_T2_jT3_P12ihipStream_tbPNSt15iterator_traitsISL_E10value_typeEPNSR_ISM_E10value_typeEPSN_NS1_7vsmem_tEENKUlT_SL_SM_SN_E_clIS8_S8_S9_S9_EESK_S10_SL_SM_SN_EUlS10_E_NS1_11comp_targetILNS1_3genE2ELNS1_11target_archE906ELNS1_3gpuE6ELNS1_3repE0EEENS1_48merge_mergepath_partition_config_static_selectorELNS0_4arch9wavefront6targetE1EEEvSM_
	.p2align	8
	.type	_ZN7rocprim17ROCPRIM_400000_NS6detail17trampoline_kernelINS0_14default_configENS1_38merge_sort_block_merge_config_selectorIlNS0_10empty_typeEEEZZNS1_27merge_sort_block_merge_implIS3_PlPS5_mZN2at6native12_GLOBAL__N_124unique_dim_cuda_templateIlEESt5tupleIJNSA_6TensorESF_SF_EERKSF_lbbbEUlllE_EE10hipError_tT0_T1_T2_jT3_P12ihipStream_tbPNSt15iterator_traitsISL_E10value_typeEPNSR_ISM_E10value_typeEPSN_NS1_7vsmem_tEENKUlT_SL_SM_SN_E_clIS8_S8_S9_S9_EESK_S10_SL_SM_SN_EUlS10_E_NS1_11comp_targetILNS1_3genE2ELNS1_11target_archE906ELNS1_3gpuE6ELNS1_3repE0EEENS1_48merge_mergepath_partition_config_static_selectorELNS0_4arch9wavefront6targetE1EEEvSM_,@function
_ZN7rocprim17ROCPRIM_400000_NS6detail17trampoline_kernelINS0_14default_configENS1_38merge_sort_block_merge_config_selectorIlNS0_10empty_typeEEEZZNS1_27merge_sort_block_merge_implIS3_PlPS5_mZN2at6native12_GLOBAL__N_124unique_dim_cuda_templateIlEESt5tupleIJNSA_6TensorESF_SF_EERKSF_lbbbEUlllE_EE10hipError_tT0_T1_T2_jT3_P12ihipStream_tbPNSt15iterator_traitsISL_E10value_typeEPNSR_ISM_E10value_typeEPSN_NS1_7vsmem_tEENKUlT_SL_SM_SN_E_clIS8_S8_S9_S9_EESK_S10_SL_SM_SN_EUlS10_E_NS1_11comp_targetILNS1_3genE2ELNS1_11target_archE906ELNS1_3gpuE6ELNS1_3repE0EEENS1_48merge_mergepath_partition_config_static_selectorELNS0_4arch9wavefront6targetE1EEEvSM_: ; @_ZN7rocprim17ROCPRIM_400000_NS6detail17trampoline_kernelINS0_14default_configENS1_38merge_sort_block_merge_config_selectorIlNS0_10empty_typeEEEZZNS1_27merge_sort_block_merge_implIS3_PlPS5_mZN2at6native12_GLOBAL__N_124unique_dim_cuda_templateIlEESt5tupleIJNSA_6TensorESF_SF_EERKSF_lbbbEUlllE_EE10hipError_tT0_T1_T2_jT3_P12ihipStream_tbPNSt15iterator_traitsISL_E10value_typeEPNSR_ISM_E10value_typeEPSN_NS1_7vsmem_tEENKUlT_SL_SM_SN_E_clIS8_S8_S9_S9_EESK_S10_SL_SM_SN_EUlS10_E_NS1_11comp_targetILNS1_3genE2ELNS1_11target_archE906ELNS1_3gpuE6ELNS1_3repE0EEENS1_48merge_mergepath_partition_config_static_selectorELNS0_4arch9wavefront6targetE1EEEvSM_
; %bb.0:
	.section	.rodata,"a",@progbits
	.p2align	6, 0x0
	.amdhsa_kernel _ZN7rocprim17ROCPRIM_400000_NS6detail17trampoline_kernelINS0_14default_configENS1_38merge_sort_block_merge_config_selectorIlNS0_10empty_typeEEEZZNS1_27merge_sort_block_merge_implIS3_PlPS5_mZN2at6native12_GLOBAL__N_124unique_dim_cuda_templateIlEESt5tupleIJNSA_6TensorESF_SF_EERKSF_lbbbEUlllE_EE10hipError_tT0_T1_T2_jT3_P12ihipStream_tbPNSt15iterator_traitsISL_E10value_typeEPNSR_ISM_E10value_typeEPSN_NS1_7vsmem_tEENKUlT_SL_SM_SN_E_clIS8_S8_S9_S9_EESK_S10_SL_SM_SN_EUlS10_E_NS1_11comp_targetILNS1_3genE2ELNS1_11target_archE906ELNS1_3gpuE6ELNS1_3repE0EEENS1_48merge_mergepath_partition_config_static_selectorELNS0_4arch9wavefront6targetE1EEEvSM_
		.amdhsa_group_segment_fixed_size 0
		.amdhsa_private_segment_fixed_size 0
		.amdhsa_kernarg_size 56
		.amdhsa_user_sgpr_count 2
		.amdhsa_user_sgpr_dispatch_ptr 0
		.amdhsa_user_sgpr_queue_ptr 0
		.amdhsa_user_sgpr_kernarg_segment_ptr 1
		.amdhsa_user_sgpr_dispatch_id 0
		.amdhsa_user_sgpr_kernarg_preload_length 0
		.amdhsa_user_sgpr_kernarg_preload_offset 0
		.amdhsa_user_sgpr_private_segment_size 0
		.amdhsa_uses_dynamic_stack 0
		.amdhsa_enable_private_segment 0
		.amdhsa_system_sgpr_workgroup_id_x 1
		.amdhsa_system_sgpr_workgroup_id_y 0
		.amdhsa_system_sgpr_workgroup_id_z 0
		.amdhsa_system_sgpr_workgroup_info 0
		.amdhsa_system_vgpr_workitem_id 0
		.amdhsa_next_free_vgpr 1
		.amdhsa_next_free_sgpr 0
		.amdhsa_accum_offset 4
		.amdhsa_reserve_vcc 0
		.amdhsa_float_round_mode_32 0
		.amdhsa_float_round_mode_16_64 0
		.amdhsa_float_denorm_mode_32 3
		.amdhsa_float_denorm_mode_16_64 3
		.amdhsa_dx10_clamp 1
		.amdhsa_ieee_mode 1
		.amdhsa_fp16_overflow 0
		.amdhsa_tg_split 0
		.amdhsa_exception_fp_ieee_invalid_op 0
		.amdhsa_exception_fp_denorm_src 0
		.amdhsa_exception_fp_ieee_div_zero 0
		.amdhsa_exception_fp_ieee_overflow 0
		.amdhsa_exception_fp_ieee_underflow 0
		.amdhsa_exception_fp_ieee_inexact 0
		.amdhsa_exception_int_div_zero 0
	.end_amdhsa_kernel
	.section	.text._ZN7rocprim17ROCPRIM_400000_NS6detail17trampoline_kernelINS0_14default_configENS1_38merge_sort_block_merge_config_selectorIlNS0_10empty_typeEEEZZNS1_27merge_sort_block_merge_implIS3_PlPS5_mZN2at6native12_GLOBAL__N_124unique_dim_cuda_templateIlEESt5tupleIJNSA_6TensorESF_SF_EERKSF_lbbbEUlllE_EE10hipError_tT0_T1_T2_jT3_P12ihipStream_tbPNSt15iterator_traitsISL_E10value_typeEPNSR_ISM_E10value_typeEPSN_NS1_7vsmem_tEENKUlT_SL_SM_SN_E_clIS8_S8_S9_S9_EESK_S10_SL_SM_SN_EUlS10_E_NS1_11comp_targetILNS1_3genE2ELNS1_11target_archE906ELNS1_3gpuE6ELNS1_3repE0EEENS1_48merge_mergepath_partition_config_static_selectorELNS0_4arch9wavefront6targetE1EEEvSM_,"axG",@progbits,_ZN7rocprim17ROCPRIM_400000_NS6detail17trampoline_kernelINS0_14default_configENS1_38merge_sort_block_merge_config_selectorIlNS0_10empty_typeEEEZZNS1_27merge_sort_block_merge_implIS3_PlPS5_mZN2at6native12_GLOBAL__N_124unique_dim_cuda_templateIlEESt5tupleIJNSA_6TensorESF_SF_EERKSF_lbbbEUlllE_EE10hipError_tT0_T1_T2_jT3_P12ihipStream_tbPNSt15iterator_traitsISL_E10value_typeEPNSR_ISM_E10value_typeEPSN_NS1_7vsmem_tEENKUlT_SL_SM_SN_E_clIS8_S8_S9_S9_EESK_S10_SL_SM_SN_EUlS10_E_NS1_11comp_targetILNS1_3genE2ELNS1_11target_archE906ELNS1_3gpuE6ELNS1_3repE0EEENS1_48merge_mergepath_partition_config_static_selectorELNS0_4arch9wavefront6targetE1EEEvSM_,comdat
.Lfunc_end519:
	.size	_ZN7rocprim17ROCPRIM_400000_NS6detail17trampoline_kernelINS0_14default_configENS1_38merge_sort_block_merge_config_selectorIlNS0_10empty_typeEEEZZNS1_27merge_sort_block_merge_implIS3_PlPS5_mZN2at6native12_GLOBAL__N_124unique_dim_cuda_templateIlEESt5tupleIJNSA_6TensorESF_SF_EERKSF_lbbbEUlllE_EE10hipError_tT0_T1_T2_jT3_P12ihipStream_tbPNSt15iterator_traitsISL_E10value_typeEPNSR_ISM_E10value_typeEPSN_NS1_7vsmem_tEENKUlT_SL_SM_SN_E_clIS8_S8_S9_S9_EESK_S10_SL_SM_SN_EUlS10_E_NS1_11comp_targetILNS1_3genE2ELNS1_11target_archE906ELNS1_3gpuE6ELNS1_3repE0EEENS1_48merge_mergepath_partition_config_static_selectorELNS0_4arch9wavefront6targetE1EEEvSM_, .Lfunc_end519-_ZN7rocprim17ROCPRIM_400000_NS6detail17trampoline_kernelINS0_14default_configENS1_38merge_sort_block_merge_config_selectorIlNS0_10empty_typeEEEZZNS1_27merge_sort_block_merge_implIS3_PlPS5_mZN2at6native12_GLOBAL__N_124unique_dim_cuda_templateIlEESt5tupleIJNSA_6TensorESF_SF_EERKSF_lbbbEUlllE_EE10hipError_tT0_T1_T2_jT3_P12ihipStream_tbPNSt15iterator_traitsISL_E10value_typeEPNSR_ISM_E10value_typeEPSN_NS1_7vsmem_tEENKUlT_SL_SM_SN_E_clIS8_S8_S9_S9_EESK_S10_SL_SM_SN_EUlS10_E_NS1_11comp_targetILNS1_3genE2ELNS1_11target_archE906ELNS1_3gpuE6ELNS1_3repE0EEENS1_48merge_mergepath_partition_config_static_selectorELNS0_4arch9wavefront6targetE1EEEvSM_
                                        ; -- End function
	.set _ZN7rocprim17ROCPRIM_400000_NS6detail17trampoline_kernelINS0_14default_configENS1_38merge_sort_block_merge_config_selectorIlNS0_10empty_typeEEEZZNS1_27merge_sort_block_merge_implIS3_PlPS5_mZN2at6native12_GLOBAL__N_124unique_dim_cuda_templateIlEESt5tupleIJNSA_6TensorESF_SF_EERKSF_lbbbEUlllE_EE10hipError_tT0_T1_T2_jT3_P12ihipStream_tbPNSt15iterator_traitsISL_E10value_typeEPNSR_ISM_E10value_typeEPSN_NS1_7vsmem_tEENKUlT_SL_SM_SN_E_clIS8_S8_S9_S9_EESK_S10_SL_SM_SN_EUlS10_E_NS1_11comp_targetILNS1_3genE2ELNS1_11target_archE906ELNS1_3gpuE6ELNS1_3repE0EEENS1_48merge_mergepath_partition_config_static_selectorELNS0_4arch9wavefront6targetE1EEEvSM_.num_vgpr, 0
	.set _ZN7rocprim17ROCPRIM_400000_NS6detail17trampoline_kernelINS0_14default_configENS1_38merge_sort_block_merge_config_selectorIlNS0_10empty_typeEEEZZNS1_27merge_sort_block_merge_implIS3_PlPS5_mZN2at6native12_GLOBAL__N_124unique_dim_cuda_templateIlEESt5tupleIJNSA_6TensorESF_SF_EERKSF_lbbbEUlllE_EE10hipError_tT0_T1_T2_jT3_P12ihipStream_tbPNSt15iterator_traitsISL_E10value_typeEPNSR_ISM_E10value_typeEPSN_NS1_7vsmem_tEENKUlT_SL_SM_SN_E_clIS8_S8_S9_S9_EESK_S10_SL_SM_SN_EUlS10_E_NS1_11comp_targetILNS1_3genE2ELNS1_11target_archE906ELNS1_3gpuE6ELNS1_3repE0EEENS1_48merge_mergepath_partition_config_static_selectorELNS0_4arch9wavefront6targetE1EEEvSM_.num_agpr, 0
	.set _ZN7rocprim17ROCPRIM_400000_NS6detail17trampoline_kernelINS0_14default_configENS1_38merge_sort_block_merge_config_selectorIlNS0_10empty_typeEEEZZNS1_27merge_sort_block_merge_implIS3_PlPS5_mZN2at6native12_GLOBAL__N_124unique_dim_cuda_templateIlEESt5tupleIJNSA_6TensorESF_SF_EERKSF_lbbbEUlllE_EE10hipError_tT0_T1_T2_jT3_P12ihipStream_tbPNSt15iterator_traitsISL_E10value_typeEPNSR_ISM_E10value_typeEPSN_NS1_7vsmem_tEENKUlT_SL_SM_SN_E_clIS8_S8_S9_S9_EESK_S10_SL_SM_SN_EUlS10_E_NS1_11comp_targetILNS1_3genE2ELNS1_11target_archE906ELNS1_3gpuE6ELNS1_3repE0EEENS1_48merge_mergepath_partition_config_static_selectorELNS0_4arch9wavefront6targetE1EEEvSM_.numbered_sgpr, 0
	.set _ZN7rocprim17ROCPRIM_400000_NS6detail17trampoline_kernelINS0_14default_configENS1_38merge_sort_block_merge_config_selectorIlNS0_10empty_typeEEEZZNS1_27merge_sort_block_merge_implIS3_PlPS5_mZN2at6native12_GLOBAL__N_124unique_dim_cuda_templateIlEESt5tupleIJNSA_6TensorESF_SF_EERKSF_lbbbEUlllE_EE10hipError_tT0_T1_T2_jT3_P12ihipStream_tbPNSt15iterator_traitsISL_E10value_typeEPNSR_ISM_E10value_typeEPSN_NS1_7vsmem_tEENKUlT_SL_SM_SN_E_clIS8_S8_S9_S9_EESK_S10_SL_SM_SN_EUlS10_E_NS1_11comp_targetILNS1_3genE2ELNS1_11target_archE906ELNS1_3gpuE6ELNS1_3repE0EEENS1_48merge_mergepath_partition_config_static_selectorELNS0_4arch9wavefront6targetE1EEEvSM_.num_named_barrier, 0
	.set _ZN7rocprim17ROCPRIM_400000_NS6detail17trampoline_kernelINS0_14default_configENS1_38merge_sort_block_merge_config_selectorIlNS0_10empty_typeEEEZZNS1_27merge_sort_block_merge_implIS3_PlPS5_mZN2at6native12_GLOBAL__N_124unique_dim_cuda_templateIlEESt5tupleIJNSA_6TensorESF_SF_EERKSF_lbbbEUlllE_EE10hipError_tT0_T1_T2_jT3_P12ihipStream_tbPNSt15iterator_traitsISL_E10value_typeEPNSR_ISM_E10value_typeEPSN_NS1_7vsmem_tEENKUlT_SL_SM_SN_E_clIS8_S8_S9_S9_EESK_S10_SL_SM_SN_EUlS10_E_NS1_11comp_targetILNS1_3genE2ELNS1_11target_archE906ELNS1_3gpuE6ELNS1_3repE0EEENS1_48merge_mergepath_partition_config_static_selectorELNS0_4arch9wavefront6targetE1EEEvSM_.private_seg_size, 0
	.set _ZN7rocprim17ROCPRIM_400000_NS6detail17trampoline_kernelINS0_14default_configENS1_38merge_sort_block_merge_config_selectorIlNS0_10empty_typeEEEZZNS1_27merge_sort_block_merge_implIS3_PlPS5_mZN2at6native12_GLOBAL__N_124unique_dim_cuda_templateIlEESt5tupleIJNSA_6TensorESF_SF_EERKSF_lbbbEUlllE_EE10hipError_tT0_T1_T2_jT3_P12ihipStream_tbPNSt15iterator_traitsISL_E10value_typeEPNSR_ISM_E10value_typeEPSN_NS1_7vsmem_tEENKUlT_SL_SM_SN_E_clIS8_S8_S9_S9_EESK_S10_SL_SM_SN_EUlS10_E_NS1_11comp_targetILNS1_3genE2ELNS1_11target_archE906ELNS1_3gpuE6ELNS1_3repE0EEENS1_48merge_mergepath_partition_config_static_selectorELNS0_4arch9wavefront6targetE1EEEvSM_.uses_vcc, 0
	.set _ZN7rocprim17ROCPRIM_400000_NS6detail17trampoline_kernelINS0_14default_configENS1_38merge_sort_block_merge_config_selectorIlNS0_10empty_typeEEEZZNS1_27merge_sort_block_merge_implIS3_PlPS5_mZN2at6native12_GLOBAL__N_124unique_dim_cuda_templateIlEESt5tupleIJNSA_6TensorESF_SF_EERKSF_lbbbEUlllE_EE10hipError_tT0_T1_T2_jT3_P12ihipStream_tbPNSt15iterator_traitsISL_E10value_typeEPNSR_ISM_E10value_typeEPSN_NS1_7vsmem_tEENKUlT_SL_SM_SN_E_clIS8_S8_S9_S9_EESK_S10_SL_SM_SN_EUlS10_E_NS1_11comp_targetILNS1_3genE2ELNS1_11target_archE906ELNS1_3gpuE6ELNS1_3repE0EEENS1_48merge_mergepath_partition_config_static_selectorELNS0_4arch9wavefront6targetE1EEEvSM_.uses_flat_scratch, 0
	.set _ZN7rocprim17ROCPRIM_400000_NS6detail17trampoline_kernelINS0_14default_configENS1_38merge_sort_block_merge_config_selectorIlNS0_10empty_typeEEEZZNS1_27merge_sort_block_merge_implIS3_PlPS5_mZN2at6native12_GLOBAL__N_124unique_dim_cuda_templateIlEESt5tupleIJNSA_6TensorESF_SF_EERKSF_lbbbEUlllE_EE10hipError_tT0_T1_T2_jT3_P12ihipStream_tbPNSt15iterator_traitsISL_E10value_typeEPNSR_ISM_E10value_typeEPSN_NS1_7vsmem_tEENKUlT_SL_SM_SN_E_clIS8_S8_S9_S9_EESK_S10_SL_SM_SN_EUlS10_E_NS1_11comp_targetILNS1_3genE2ELNS1_11target_archE906ELNS1_3gpuE6ELNS1_3repE0EEENS1_48merge_mergepath_partition_config_static_selectorELNS0_4arch9wavefront6targetE1EEEvSM_.has_dyn_sized_stack, 0
	.set _ZN7rocprim17ROCPRIM_400000_NS6detail17trampoline_kernelINS0_14default_configENS1_38merge_sort_block_merge_config_selectorIlNS0_10empty_typeEEEZZNS1_27merge_sort_block_merge_implIS3_PlPS5_mZN2at6native12_GLOBAL__N_124unique_dim_cuda_templateIlEESt5tupleIJNSA_6TensorESF_SF_EERKSF_lbbbEUlllE_EE10hipError_tT0_T1_T2_jT3_P12ihipStream_tbPNSt15iterator_traitsISL_E10value_typeEPNSR_ISM_E10value_typeEPSN_NS1_7vsmem_tEENKUlT_SL_SM_SN_E_clIS8_S8_S9_S9_EESK_S10_SL_SM_SN_EUlS10_E_NS1_11comp_targetILNS1_3genE2ELNS1_11target_archE906ELNS1_3gpuE6ELNS1_3repE0EEENS1_48merge_mergepath_partition_config_static_selectorELNS0_4arch9wavefront6targetE1EEEvSM_.has_recursion, 0
	.set _ZN7rocprim17ROCPRIM_400000_NS6detail17trampoline_kernelINS0_14default_configENS1_38merge_sort_block_merge_config_selectorIlNS0_10empty_typeEEEZZNS1_27merge_sort_block_merge_implIS3_PlPS5_mZN2at6native12_GLOBAL__N_124unique_dim_cuda_templateIlEESt5tupleIJNSA_6TensorESF_SF_EERKSF_lbbbEUlllE_EE10hipError_tT0_T1_T2_jT3_P12ihipStream_tbPNSt15iterator_traitsISL_E10value_typeEPNSR_ISM_E10value_typeEPSN_NS1_7vsmem_tEENKUlT_SL_SM_SN_E_clIS8_S8_S9_S9_EESK_S10_SL_SM_SN_EUlS10_E_NS1_11comp_targetILNS1_3genE2ELNS1_11target_archE906ELNS1_3gpuE6ELNS1_3repE0EEENS1_48merge_mergepath_partition_config_static_selectorELNS0_4arch9wavefront6targetE1EEEvSM_.has_indirect_call, 0
	.section	.AMDGPU.csdata,"",@progbits
; Kernel info:
; codeLenInByte = 0
; TotalNumSgprs: 6
; NumVgprs: 0
; NumAgprs: 0
; TotalNumVgprs: 0
; ScratchSize: 0
; MemoryBound: 0
; FloatMode: 240
; IeeeMode: 1
; LDSByteSize: 0 bytes/workgroup (compile time only)
; SGPRBlocks: 0
; VGPRBlocks: 0
; NumSGPRsForWavesPerEU: 6
; NumVGPRsForWavesPerEU: 1
; AccumOffset: 4
; Occupancy: 8
; WaveLimiterHint : 0
; COMPUTE_PGM_RSRC2:SCRATCH_EN: 0
; COMPUTE_PGM_RSRC2:USER_SGPR: 2
; COMPUTE_PGM_RSRC2:TRAP_HANDLER: 0
; COMPUTE_PGM_RSRC2:TGID_X_EN: 1
; COMPUTE_PGM_RSRC2:TGID_Y_EN: 0
; COMPUTE_PGM_RSRC2:TGID_Z_EN: 0
; COMPUTE_PGM_RSRC2:TIDIG_COMP_CNT: 0
; COMPUTE_PGM_RSRC3_GFX90A:ACCUM_OFFSET: 0
; COMPUTE_PGM_RSRC3_GFX90A:TG_SPLIT: 0
	.section	.text._ZN7rocprim17ROCPRIM_400000_NS6detail17trampoline_kernelINS0_14default_configENS1_38merge_sort_block_merge_config_selectorIlNS0_10empty_typeEEEZZNS1_27merge_sort_block_merge_implIS3_PlPS5_mZN2at6native12_GLOBAL__N_124unique_dim_cuda_templateIlEESt5tupleIJNSA_6TensorESF_SF_EERKSF_lbbbEUlllE_EE10hipError_tT0_T1_T2_jT3_P12ihipStream_tbPNSt15iterator_traitsISL_E10value_typeEPNSR_ISM_E10value_typeEPSN_NS1_7vsmem_tEENKUlT_SL_SM_SN_E_clIS8_S8_S9_S9_EESK_S10_SL_SM_SN_EUlS10_E_NS1_11comp_targetILNS1_3genE9ELNS1_11target_archE1100ELNS1_3gpuE3ELNS1_3repE0EEENS1_48merge_mergepath_partition_config_static_selectorELNS0_4arch9wavefront6targetE1EEEvSM_,"axG",@progbits,_ZN7rocprim17ROCPRIM_400000_NS6detail17trampoline_kernelINS0_14default_configENS1_38merge_sort_block_merge_config_selectorIlNS0_10empty_typeEEEZZNS1_27merge_sort_block_merge_implIS3_PlPS5_mZN2at6native12_GLOBAL__N_124unique_dim_cuda_templateIlEESt5tupleIJNSA_6TensorESF_SF_EERKSF_lbbbEUlllE_EE10hipError_tT0_T1_T2_jT3_P12ihipStream_tbPNSt15iterator_traitsISL_E10value_typeEPNSR_ISM_E10value_typeEPSN_NS1_7vsmem_tEENKUlT_SL_SM_SN_E_clIS8_S8_S9_S9_EESK_S10_SL_SM_SN_EUlS10_E_NS1_11comp_targetILNS1_3genE9ELNS1_11target_archE1100ELNS1_3gpuE3ELNS1_3repE0EEENS1_48merge_mergepath_partition_config_static_selectorELNS0_4arch9wavefront6targetE1EEEvSM_,comdat
	.globl	_ZN7rocprim17ROCPRIM_400000_NS6detail17trampoline_kernelINS0_14default_configENS1_38merge_sort_block_merge_config_selectorIlNS0_10empty_typeEEEZZNS1_27merge_sort_block_merge_implIS3_PlPS5_mZN2at6native12_GLOBAL__N_124unique_dim_cuda_templateIlEESt5tupleIJNSA_6TensorESF_SF_EERKSF_lbbbEUlllE_EE10hipError_tT0_T1_T2_jT3_P12ihipStream_tbPNSt15iterator_traitsISL_E10value_typeEPNSR_ISM_E10value_typeEPSN_NS1_7vsmem_tEENKUlT_SL_SM_SN_E_clIS8_S8_S9_S9_EESK_S10_SL_SM_SN_EUlS10_E_NS1_11comp_targetILNS1_3genE9ELNS1_11target_archE1100ELNS1_3gpuE3ELNS1_3repE0EEENS1_48merge_mergepath_partition_config_static_selectorELNS0_4arch9wavefront6targetE1EEEvSM_ ; -- Begin function _ZN7rocprim17ROCPRIM_400000_NS6detail17trampoline_kernelINS0_14default_configENS1_38merge_sort_block_merge_config_selectorIlNS0_10empty_typeEEEZZNS1_27merge_sort_block_merge_implIS3_PlPS5_mZN2at6native12_GLOBAL__N_124unique_dim_cuda_templateIlEESt5tupleIJNSA_6TensorESF_SF_EERKSF_lbbbEUlllE_EE10hipError_tT0_T1_T2_jT3_P12ihipStream_tbPNSt15iterator_traitsISL_E10value_typeEPNSR_ISM_E10value_typeEPSN_NS1_7vsmem_tEENKUlT_SL_SM_SN_E_clIS8_S8_S9_S9_EESK_S10_SL_SM_SN_EUlS10_E_NS1_11comp_targetILNS1_3genE9ELNS1_11target_archE1100ELNS1_3gpuE3ELNS1_3repE0EEENS1_48merge_mergepath_partition_config_static_selectorELNS0_4arch9wavefront6targetE1EEEvSM_
	.p2align	8
	.type	_ZN7rocprim17ROCPRIM_400000_NS6detail17trampoline_kernelINS0_14default_configENS1_38merge_sort_block_merge_config_selectorIlNS0_10empty_typeEEEZZNS1_27merge_sort_block_merge_implIS3_PlPS5_mZN2at6native12_GLOBAL__N_124unique_dim_cuda_templateIlEESt5tupleIJNSA_6TensorESF_SF_EERKSF_lbbbEUlllE_EE10hipError_tT0_T1_T2_jT3_P12ihipStream_tbPNSt15iterator_traitsISL_E10value_typeEPNSR_ISM_E10value_typeEPSN_NS1_7vsmem_tEENKUlT_SL_SM_SN_E_clIS8_S8_S9_S9_EESK_S10_SL_SM_SN_EUlS10_E_NS1_11comp_targetILNS1_3genE9ELNS1_11target_archE1100ELNS1_3gpuE3ELNS1_3repE0EEENS1_48merge_mergepath_partition_config_static_selectorELNS0_4arch9wavefront6targetE1EEEvSM_,@function
_ZN7rocprim17ROCPRIM_400000_NS6detail17trampoline_kernelINS0_14default_configENS1_38merge_sort_block_merge_config_selectorIlNS0_10empty_typeEEEZZNS1_27merge_sort_block_merge_implIS3_PlPS5_mZN2at6native12_GLOBAL__N_124unique_dim_cuda_templateIlEESt5tupleIJNSA_6TensorESF_SF_EERKSF_lbbbEUlllE_EE10hipError_tT0_T1_T2_jT3_P12ihipStream_tbPNSt15iterator_traitsISL_E10value_typeEPNSR_ISM_E10value_typeEPSN_NS1_7vsmem_tEENKUlT_SL_SM_SN_E_clIS8_S8_S9_S9_EESK_S10_SL_SM_SN_EUlS10_E_NS1_11comp_targetILNS1_3genE9ELNS1_11target_archE1100ELNS1_3gpuE3ELNS1_3repE0EEENS1_48merge_mergepath_partition_config_static_selectorELNS0_4arch9wavefront6targetE1EEEvSM_: ; @_ZN7rocprim17ROCPRIM_400000_NS6detail17trampoline_kernelINS0_14default_configENS1_38merge_sort_block_merge_config_selectorIlNS0_10empty_typeEEEZZNS1_27merge_sort_block_merge_implIS3_PlPS5_mZN2at6native12_GLOBAL__N_124unique_dim_cuda_templateIlEESt5tupleIJNSA_6TensorESF_SF_EERKSF_lbbbEUlllE_EE10hipError_tT0_T1_T2_jT3_P12ihipStream_tbPNSt15iterator_traitsISL_E10value_typeEPNSR_ISM_E10value_typeEPSN_NS1_7vsmem_tEENKUlT_SL_SM_SN_E_clIS8_S8_S9_S9_EESK_S10_SL_SM_SN_EUlS10_E_NS1_11comp_targetILNS1_3genE9ELNS1_11target_archE1100ELNS1_3gpuE3ELNS1_3repE0EEENS1_48merge_mergepath_partition_config_static_selectorELNS0_4arch9wavefront6targetE1EEEvSM_
; %bb.0:
	.section	.rodata,"a",@progbits
	.p2align	6, 0x0
	.amdhsa_kernel _ZN7rocprim17ROCPRIM_400000_NS6detail17trampoline_kernelINS0_14default_configENS1_38merge_sort_block_merge_config_selectorIlNS0_10empty_typeEEEZZNS1_27merge_sort_block_merge_implIS3_PlPS5_mZN2at6native12_GLOBAL__N_124unique_dim_cuda_templateIlEESt5tupleIJNSA_6TensorESF_SF_EERKSF_lbbbEUlllE_EE10hipError_tT0_T1_T2_jT3_P12ihipStream_tbPNSt15iterator_traitsISL_E10value_typeEPNSR_ISM_E10value_typeEPSN_NS1_7vsmem_tEENKUlT_SL_SM_SN_E_clIS8_S8_S9_S9_EESK_S10_SL_SM_SN_EUlS10_E_NS1_11comp_targetILNS1_3genE9ELNS1_11target_archE1100ELNS1_3gpuE3ELNS1_3repE0EEENS1_48merge_mergepath_partition_config_static_selectorELNS0_4arch9wavefront6targetE1EEEvSM_
		.amdhsa_group_segment_fixed_size 0
		.amdhsa_private_segment_fixed_size 0
		.amdhsa_kernarg_size 56
		.amdhsa_user_sgpr_count 2
		.amdhsa_user_sgpr_dispatch_ptr 0
		.amdhsa_user_sgpr_queue_ptr 0
		.amdhsa_user_sgpr_kernarg_segment_ptr 1
		.amdhsa_user_sgpr_dispatch_id 0
		.amdhsa_user_sgpr_kernarg_preload_length 0
		.amdhsa_user_sgpr_kernarg_preload_offset 0
		.amdhsa_user_sgpr_private_segment_size 0
		.amdhsa_uses_dynamic_stack 0
		.amdhsa_enable_private_segment 0
		.amdhsa_system_sgpr_workgroup_id_x 1
		.amdhsa_system_sgpr_workgroup_id_y 0
		.amdhsa_system_sgpr_workgroup_id_z 0
		.amdhsa_system_sgpr_workgroup_info 0
		.amdhsa_system_vgpr_workitem_id 0
		.amdhsa_next_free_vgpr 1
		.amdhsa_next_free_sgpr 0
		.amdhsa_accum_offset 4
		.amdhsa_reserve_vcc 0
		.amdhsa_float_round_mode_32 0
		.amdhsa_float_round_mode_16_64 0
		.amdhsa_float_denorm_mode_32 3
		.amdhsa_float_denorm_mode_16_64 3
		.amdhsa_dx10_clamp 1
		.amdhsa_ieee_mode 1
		.amdhsa_fp16_overflow 0
		.amdhsa_tg_split 0
		.amdhsa_exception_fp_ieee_invalid_op 0
		.amdhsa_exception_fp_denorm_src 0
		.amdhsa_exception_fp_ieee_div_zero 0
		.amdhsa_exception_fp_ieee_overflow 0
		.amdhsa_exception_fp_ieee_underflow 0
		.amdhsa_exception_fp_ieee_inexact 0
		.amdhsa_exception_int_div_zero 0
	.end_amdhsa_kernel
	.section	.text._ZN7rocprim17ROCPRIM_400000_NS6detail17trampoline_kernelINS0_14default_configENS1_38merge_sort_block_merge_config_selectorIlNS0_10empty_typeEEEZZNS1_27merge_sort_block_merge_implIS3_PlPS5_mZN2at6native12_GLOBAL__N_124unique_dim_cuda_templateIlEESt5tupleIJNSA_6TensorESF_SF_EERKSF_lbbbEUlllE_EE10hipError_tT0_T1_T2_jT3_P12ihipStream_tbPNSt15iterator_traitsISL_E10value_typeEPNSR_ISM_E10value_typeEPSN_NS1_7vsmem_tEENKUlT_SL_SM_SN_E_clIS8_S8_S9_S9_EESK_S10_SL_SM_SN_EUlS10_E_NS1_11comp_targetILNS1_3genE9ELNS1_11target_archE1100ELNS1_3gpuE3ELNS1_3repE0EEENS1_48merge_mergepath_partition_config_static_selectorELNS0_4arch9wavefront6targetE1EEEvSM_,"axG",@progbits,_ZN7rocprim17ROCPRIM_400000_NS6detail17trampoline_kernelINS0_14default_configENS1_38merge_sort_block_merge_config_selectorIlNS0_10empty_typeEEEZZNS1_27merge_sort_block_merge_implIS3_PlPS5_mZN2at6native12_GLOBAL__N_124unique_dim_cuda_templateIlEESt5tupleIJNSA_6TensorESF_SF_EERKSF_lbbbEUlllE_EE10hipError_tT0_T1_T2_jT3_P12ihipStream_tbPNSt15iterator_traitsISL_E10value_typeEPNSR_ISM_E10value_typeEPSN_NS1_7vsmem_tEENKUlT_SL_SM_SN_E_clIS8_S8_S9_S9_EESK_S10_SL_SM_SN_EUlS10_E_NS1_11comp_targetILNS1_3genE9ELNS1_11target_archE1100ELNS1_3gpuE3ELNS1_3repE0EEENS1_48merge_mergepath_partition_config_static_selectorELNS0_4arch9wavefront6targetE1EEEvSM_,comdat
.Lfunc_end520:
	.size	_ZN7rocprim17ROCPRIM_400000_NS6detail17trampoline_kernelINS0_14default_configENS1_38merge_sort_block_merge_config_selectorIlNS0_10empty_typeEEEZZNS1_27merge_sort_block_merge_implIS3_PlPS5_mZN2at6native12_GLOBAL__N_124unique_dim_cuda_templateIlEESt5tupleIJNSA_6TensorESF_SF_EERKSF_lbbbEUlllE_EE10hipError_tT0_T1_T2_jT3_P12ihipStream_tbPNSt15iterator_traitsISL_E10value_typeEPNSR_ISM_E10value_typeEPSN_NS1_7vsmem_tEENKUlT_SL_SM_SN_E_clIS8_S8_S9_S9_EESK_S10_SL_SM_SN_EUlS10_E_NS1_11comp_targetILNS1_3genE9ELNS1_11target_archE1100ELNS1_3gpuE3ELNS1_3repE0EEENS1_48merge_mergepath_partition_config_static_selectorELNS0_4arch9wavefront6targetE1EEEvSM_, .Lfunc_end520-_ZN7rocprim17ROCPRIM_400000_NS6detail17trampoline_kernelINS0_14default_configENS1_38merge_sort_block_merge_config_selectorIlNS0_10empty_typeEEEZZNS1_27merge_sort_block_merge_implIS3_PlPS5_mZN2at6native12_GLOBAL__N_124unique_dim_cuda_templateIlEESt5tupleIJNSA_6TensorESF_SF_EERKSF_lbbbEUlllE_EE10hipError_tT0_T1_T2_jT3_P12ihipStream_tbPNSt15iterator_traitsISL_E10value_typeEPNSR_ISM_E10value_typeEPSN_NS1_7vsmem_tEENKUlT_SL_SM_SN_E_clIS8_S8_S9_S9_EESK_S10_SL_SM_SN_EUlS10_E_NS1_11comp_targetILNS1_3genE9ELNS1_11target_archE1100ELNS1_3gpuE3ELNS1_3repE0EEENS1_48merge_mergepath_partition_config_static_selectorELNS0_4arch9wavefront6targetE1EEEvSM_
                                        ; -- End function
	.set _ZN7rocprim17ROCPRIM_400000_NS6detail17trampoline_kernelINS0_14default_configENS1_38merge_sort_block_merge_config_selectorIlNS0_10empty_typeEEEZZNS1_27merge_sort_block_merge_implIS3_PlPS5_mZN2at6native12_GLOBAL__N_124unique_dim_cuda_templateIlEESt5tupleIJNSA_6TensorESF_SF_EERKSF_lbbbEUlllE_EE10hipError_tT0_T1_T2_jT3_P12ihipStream_tbPNSt15iterator_traitsISL_E10value_typeEPNSR_ISM_E10value_typeEPSN_NS1_7vsmem_tEENKUlT_SL_SM_SN_E_clIS8_S8_S9_S9_EESK_S10_SL_SM_SN_EUlS10_E_NS1_11comp_targetILNS1_3genE9ELNS1_11target_archE1100ELNS1_3gpuE3ELNS1_3repE0EEENS1_48merge_mergepath_partition_config_static_selectorELNS0_4arch9wavefront6targetE1EEEvSM_.num_vgpr, 0
	.set _ZN7rocprim17ROCPRIM_400000_NS6detail17trampoline_kernelINS0_14default_configENS1_38merge_sort_block_merge_config_selectorIlNS0_10empty_typeEEEZZNS1_27merge_sort_block_merge_implIS3_PlPS5_mZN2at6native12_GLOBAL__N_124unique_dim_cuda_templateIlEESt5tupleIJNSA_6TensorESF_SF_EERKSF_lbbbEUlllE_EE10hipError_tT0_T1_T2_jT3_P12ihipStream_tbPNSt15iterator_traitsISL_E10value_typeEPNSR_ISM_E10value_typeEPSN_NS1_7vsmem_tEENKUlT_SL_SM_SN_E_clIS8_S8_S9_S9_EESK_S10_SL_SM_SN_EUlS10_E_NS1_11comp_targetILNS1_3genE9ELNS1_11target_archE1100ELNS1_3gpuE3ELNS1_3repE0EEENS1_48merge_mergepath_partition_config_static_selectorELNS0_4arch9wavefront6targetE1EEEvSM_.num_agpr, 0
	.set _ZN7rocprim17ROCPRIM_400000_NS6detail17trampoline_kernelINS0_14default_configENS1_38merge_sort_block_merge_config_selectorIlNS0_10empty_typeEEEZZNS1_27merge_sort_block_merge_implIS3_PlPS5_mZN2at6native12_GLOBAL__N_124unique_dim_cuda_templateIlEESt5tupleIJNSA_6TensorESF_SF_EERKSF_lbbbEUlllE_EE10hipError_tT0_T1_T2_jT3_P12ihipStream_tbPNSt15iterator_traitsISL_E10value_typeEPNSR_ISM_E10value_typeEPSN_NS1_7vsmem_tEENKUlT_SL_SM_SN_E_clIS8_S8_S9_S9_EESK_S10_SL_SM_SN_EUlS10_E_NS1_11comp_targetILNS1_3genE9ELNS1_11target_archE1100ELNS1_3gpuE3ELNS1_3repE0EEENS1_48merge_mergepath_partition_config_static_selectorELNS0_4arch9wavefront6targetE1EEEvSM_.numbered_sgpr, 0
	.set _ZN7rocprim17ROCPRIM_400000_NS6detail17trampoline_kernelINS0_14default_configENS1_38merge_sort_block_merge_config_selectorIlNS0_10empty_typeEEEZZNS1_27merge_sort_block_merge_implIS3_PlPS5_mZN2at6native12_GLOBAL__N_124unique_dim_cuda_templateIlEESt5tupleIJNSA_6TensorESF_SF_EERKSF_lbbbEUlllE_EE10hipError_tT0_T1_T2_jT3_P12ihipStream_tbPNSt15iterator_traitsISL_E10value_typeEPNSR_ISM_E10value_typeEPSN_NS1_7vsmem_tEENKUlT_SL_SM_SN_E_clIS8_S8_S9_S9_EESK_S10_SL_SM_SN_EUlS10_E_NS1_11comp_targetILNS1_3genE9ELNS1_11target_archE1100ELNS1_3gpuE3ELNS1_3repE0EEENS1_48merge_mergepath_partition_config_static_selectorELNS0_4arch9wavefront6targetE1EEEvSM_.num_named_barrier, 0
	.set _ZN7rocprim17ROCPRIM_400000_NS6detail17trampoline_kernelINS0_14default_configENS1_38merge_sort_block_merge_config_selectorIlNS0_10empty_typeEEEZZNS1_27merge_sort_block_merge_implIS3_PlPS5_mZN2at6native12_GLOBAL__N_124unique_dim_cuda_templateIlEESt5tupleIJNSA_6TensorESF_SF_EERKSF_lbbbEUlllE_EE10hipError_tT0_T1_T2_jT3_P12ihipStream_tbPNSt15iterator_traitsISL_E10value_typeEPNSR_ISM_E10value_typeEPSN_NS1_7vsmem_tEENKUlT_SL_SM_SN_E_clIS8_S8_S9_S9_EESK_S10_SL_SM_SN_EUlS10_E_NS1_11comp_targetILNS1_3genE9ELNS1_11target_archE1100ELNS1_3gpuE3ELNS1_3repE0EEENS1_48merge_mergepath_partition_config_static_selectorELNS0_4arch9wavefront6targetE1EEEvSM_.private_seg_size, 0
	.set _ZN7rocprim17ROCPRIM_400000_NS6detail17trampoline_kernelINS0_14default_configENS1_38merge_sort_block_merge_config_selectorIlNS0_10empty_typeEEEZZNS1_27merge_sort_block_merge_implIS3_PlPS5_mZN2at6native12_GLOBAL__N_124unique_dim_cuda_templateIlEESt5tupleIJNSA_6TensorESF_SF_EERKSF_lbbbEUlllE_EE10hipError_tT0_T1_T2_jT3_P12ihipStream_tbPNSt15iterator_traitsISL_E10value_typeEPNSR_ISM_E10value_typeEPSN_NS1_7vsmem_tEENKUlT_SL_SM_SN_E_clIS8_S8_S9_S9_EESK_S10_SL_SM_SN_EUlS10_E_NS1_11comp_targetILNS1_3genE9ELNS1_11target_archE1100ELNS1_3gpuE3ELNS1_3repE0EEENS1_48merge_mergepath_partition_config_static_selectorELNS0_4arch9wavefront6targetE1EEEvSM_.uses_vcc, 0
	.set _ZN7rocprim17ROCPRIM_400000_NS6detail17trampoline_kernelINS0_14default_configENS1_38merge_sort_block_merge_config_selectorIlNS0_10empty_typeEEEZZNS1_27merge_sort_block_merge_implIS3_PlPS5_mZN2at6native12_GLOBAL__N_124unique_dim_cuda_templateIlEESt5tupleIJNSA_6TensorESF_SF_EERKSF_lbbbEUlllE_EE10hipError_tT0_T1_T2_jT3_P12ihipStream_tbPNSt15iterator_traitsISL_E10value_typeEPNSR_ISM_E10value_typeEPSN_NS1_7vsmem_tEENKUlT_SL_SM_SN_E_clIS8_S8_S9_S9_EESK_S10_SL_SM_SN_EUlS10_E_NS1_11comp_targetILNS1_3genE9ELNS1_11target_archE1100ELNS1_3gpuE3ELNS1_3repE0EEENS1_48merge_mergepath_partition_config_static_selectorELNS0_4arch9wavefront6targetE1EEEvSM_.uses_flat_scratch, 0
	.set _ZN7rocprim17ROCPRIM_400000_NS6detail17trampoline_kernelINS0_14default_configENS1_38merge_sort_block_merge_config_selectorIlNS0_10empty_typeEEEZZNS1_27merge_sort_block_merge_implIS3_PlPS5_mZN2at6native12_GLOBAL__N_124unique_dim_cuda_templateIlEESt5tupleIJNSA_6TensorESF_SF_EERKSF_lbbbEUlllE_EE10hipError_tT0_T1_T2_jT3_P12ihipStream_tbPNSt15iterator_traitsISL_E10value_typeEPNSR_ISM_E10value_typeEPSN_NS1_7vsmem_tEENKUlT_SL_SM_SN_E_clIS8_S8_S9_S9_EESK_S10_SL_SM_SN_EUlS10_E_NS1_11comp_targetILNS1_3genE9ELNS1_11target_archE1100ELNS1_3gpuE3ELNS1_3repE0EEENS1_48merge_mergepath_partition_config_static_selectorELNS0_4arch9wavefront6targetE1EEEvSM_.has_dyn_sized_stack, 0
	.set _ZN7rocprim17ROCPRIM_400000_NS6detail17trampoline_kernelINS0_14default_configENS1_38merge_sort_block_merge_config_selectorIlNS0_10empty_typeEEEZZNS1_27merge_sort_block_merge_implIS3_PlPS5_mZN2at6native12_GLOBAL__N_124unique_dim_cuda_templateIlEESt5tupleIJNSA_6TensorESF_SF_EERKSF_lbbbEUlllE_EE10hipError_tT0_T1_T2_jT3_P12ihipStream_tbPNSt15iterator_traitsISL_E10value_typeEPNSR_ISM_E10value_typeEPSN_NS1_7vsmem_tEENKUlT_SL_SM_SN_E_clIS8_S8_S9_S9_EESK_S10_SL_SM_SN_EUlS10_E_NS1_11comp_targetILNS1_3genE9ELNS1_11target_archE1100ELNS1_3gpuE3ELNS1_3repE0EEENS1_48merge_mergepath_partition_config_static_selectorELNS0_4arch9wavefront6targetE1EEEvSM_.has_recursion, 0
	.set _ZN7rocprim17ROCPRIM_400000_NS6detail17trampoline_kernelINS0_14default_configENS1_38merge_sort_block_merge_config_selectorIlNS0_10empty_typeEEEZZNS1_27merge_sort_block_merge_implIS3_PlPS5_mZN2at6native12_GLOBAL__N_124unique_dim_cuda_templateIlEESt5tupleIJNSA_6TensorESF_SF_EERKSF_lbbbEUlllE_EE10hipError_tT0_T1_T2_jT3_P12ihipStream_tbPNSt15iterator_traitsISL_E10value_typeEPNSR_ISM_E10value_typeEPSN_NS1_7vsmem_tEENKUlT_SL_SM_SN_E_clIS8_S8_S9_S9_EESK_S10_SL_SM_SN_EUlS10_E_NS1_11comp_targetILNS1_3genE9ELNS1_11target_archE1100ELNS1_3gpuE3ELNS1_3repE0EEENS1_48merge_mergepath_partition_config_static_selectorELNS0_4arch9wavefront6targetE1EEEvSM_.has_indirect_call, 0
	.section	.AMDGPU.csdata,"",@progbits
; Kernel info:
; codeLenInByte = 0
; TotalNumSgprs: 6
; NumVgprs: 0
; NumAgprs: 0
; TotalNumVgprs: 0
; ScratchSize: 0
; MemoryBound: 0
; FloatMode: 240
; IeeeMode: 1
; LDSByteSize: 0 bytes/workgroup (compile time only)
; SGPRBlocks: 0
; VGPRBlocks: 0
; NumSGPRsForWavesPerEU: 6
; NumVGPRsForWavesPerEU: 1
; AccumOffset: 4
; Occupancy: 8
; WaveLimiterHint : 0
; COMPUTE_PGM_RSRC2:SCRATCH_EN: 0
; COMPUTE_PGM_RSRC2:USER_SGPR: 2
; COMPUTE_PGM_RSRC2:TRAP_HANDLER: 0
; COMPUTE_PGM_RSRC2:TGID_X_EN: 1
; COMPUTE_PGM_RSRC2:TGID_Y_EN: 0
; COMPUTE_PGM_RSRC2:TGID_Z_EN: 0
; COMPUTE_PGM_RSRC2:TIDIG_COMP_CNT: 0
; COMPUTE_PGM_RSRC3_GFX90A:ACCUM_OFFSET: 0
; COMPUTE_PGM_RSRC3_GFX90A:TG_SPLIT: 0
	.section	.text._ZN7rocprim17ROCPRIM_400000_NS6detail17trampoline_kernelINS0_14default_configENS1_38merge_sort_block_merge_config_selectorIlNS0_10empty_typeEEEZZNS1_27merge_sort_block_merge_implIS3_PlPS5_mZN2at6native12_GLOBAL__N_124unique_dim_cuda_templateIlEESt5tupleIJNSA_6TensorESF_SF_EERKSF_lbbbEUlllE_EE10hipError_tT0_T1_T2_jT3_P12ihipStream_tbPNSt15iterator_traitsISL_E10value_typeEPNSR_ISM_E10value_typeEPSN_NS1_7vsmem_tEENKUlT_SL_SM_SN_E_clIS8_S8_S9_S9_EESK_S10_SL_SM_SN_EUlS10_E_NS1_11comp_targetILNS1_3genE8ELNS1_11target_archE1030ELNS1_3gpuE2ELNS1_3repE0EEENS1_48merge_mergepath_partition_config_static_selectorELNS0_4arch9wavefront6targetE1EEEvSM_,"axG",@progbits,_ZN7rocprim17ROCPRIM_400000_NS6detail17trampoline_kernelINS0_14default_configENS1_38merge_sort_block_merge_config_selectorIlNS0_10empty_typeEEEZZNS1_27merge_sort_block_merge_implIS3_PlPS5_mZN2at6native12_GLOBAL__N_124unique_dim_cuda_templateIlEESt5tupleIJNSA_6TensorESF_SF_EERKSF_lbbbEUlllE_EE10hipError_tT0_T1_T2_jT3_P12ihipStream_tbPNSt15iterator_traitsISL_E10value_typeEPNSR_ISM_E10value_typeEPSN_NS1_7vsmem_tEENKUlT_SL_SM_SN_E_clIS8_S8_S9_S9_EESK_S10_SL_SM_SN_EUlS10_E_NS1_11comp_targetILNS1_3genE8ELNS1_11target_archE1030ELNS1_3gpuE2ELNS1_3repE0EEENS1_48merge_mergepath_partition_config_static_selectorELNS0_4arch9wavefront6targetE1EEEvSM_,comdat
	.globl	_ZN7rocprim17ROCPRIM_400000_NS6detail17trampoline_kernelINS0_14default_configENS1_38merge_sort_block_merge_config_selectorIlNS0_10empty_typeEEEZZNS1_27merge_sort_block_merge_implIS3_PlPS5_mZN2at6native12_GLOBAL__N_124unique_dim_cuda_templateIlEESt5tupleIJNSA_6TensorESF_SF_EERKSF_lbbbEUlllE_EE10hipError_tT0_T1_T2_jT3_P12ihipStream_tbPNSt15iterator_traitsISL_E10value_typeEPNSR_ISM_E10value_typeEPSN_NS1_7vsmem_tEENKUlT_SL_SM_SN_E_clIS8_S8_S9_S9_EESK_S10_SL_SM_SN_EUlS10_E_NS1_11comp_targetILNS1_3genE8ELNS1_11target_archE1030ELNS1_3gpuE2ELNS1_3repE0EEENS1_48merge_mergepath_partition_config_static_selectorELNS0_4arch9wavefront6targetE1EEEvSM_ ; -- Begin function _ZN7rocprim17ROCPRIM_400000_NS6detail17trampoline_kernelINS0_14default_configENS1_38merge_sort_block_merge_config_selectorIlNS0_10empty_typeEEEZZNS1_27merge_sort_block_merge_implIS3_PlPS5_mZN2at6native12_GLOBAL__N_124unique_dim_cuda_templateIlEESt5tupleIJNSA_6TensorESF_SF_EERKSF_lbbbEUlllE_EE10hipError_tT0_T1_T2_jT3_P12ihipStream_tbPNSt15iterator_traitsISL_E10value_typeEPNSR_ISM_E10value_typeEPSN_NS1_7vsmem_tEENKUlT_SL_SM_SN_E_clIS8_S8_S9_S9_EESK_S10_SL_SM_SN_EUlS10_E_NS1_11comp_targetILNS1_3genE8ELNS1_11target_archE1030ELNS1_3gpuE2ELNS1_3repE0EEENS1_48merge_mergepath_partition_config_static_selectorELNS0_4arch9wavefront6targetE1EEEvSM_
	.p2align	8
	.type	_ZN7rocprim17ROCPRIM_400000_NS6detail17trampoline_kernelINS0_14default_configENS1_38merge_sort_block_merge_config_selectorIlNS0_10empty_typeEEEZZNS1_27merge_sort_block_merge_implIS3_PlPS5_mZN2at6native12_GLOBAL__N_124unique_dim_cuda_templateIlEESt5tupleIJNSA_6TensorESF_SF_EERKSF_lbbbEUlllE_EE10hipError_tT0_T1_T2_jT3_P12ihipStream_tbPNSt15iterator_traitsISL_E10value_typeEPNSR_ISM_E10value_typeEPSN_NS1_7vsmem_tEENKUlT_SL_SM_SN_E_clIS8_S8_S9_S9_EESK_S10_SL_SM_SN_EUlS10_E_NS1_11comp_targetILNS1_3genE8ELNS1_11target_archE1030ELNS1_3gpuE2ELNS1_3repE0EEENS1_48merge_mergepath_partition_config_static_selectorELNS0_4arch9wavefront6targetE1EEEvSM_,@function
_ZN7rocprim17ROCPRIM_400000_NS6detail17trampoline_kernelINS0_14default_configENS1_38merge_sort_block_merge_config_selectorIlNS0_10empty_typeEEEZZNS1_27merge_sort_block_merge_implIS3_PlPS5_mZN2at6native12_GLOBAL__N_124unique_dim_cuda_templateIlEESt5tupleIJNSA_6TensorESF_SF_EERKSF_lbbbEUlllE_EE10hipError_tT0_T1_T2_jT3_P12ihipStream_tbPNSt15iterator_traitsISL_E10value_typeEPNSR_ISM_E10value_typeEPSN_NS1_7vsmem_tEENKUlT_SL_SM_SN_E_clIS8_S8_S9_S9_EESK_S10_SL_SM_SN_EUlS10_E_NS1_11comp_targetILNS1_3genE8ELNS1_11target_archE1030ELNS1_3gpuE2ELNS1_3repE0EEENS1_48merge_mergepath_partition_config_static_selectorELNS0_4arch9wavefront6targetE1EEEvSM_: ; @_ZN7rocprim17ROCPRIM_400000_NS6detail17trampoline_kernelINS0_14default_configENS1_38merge_sort_block_merge_config_selectorIlNS0_10empty_typeEEEZZNS1_27merge_sort_block_merge_implIS3_PlPS5_mZN2at6native12_GLOBAL__N_124unique_dim_cuda_templateIlEESt5tupleIJNSA_6TensorESF_SF_EERKSF_lbbbEUlllE_EE10hipError_tT0_T1_T2_jT3_P12ihipStream_tbPNSt15iterator_traitsISL_E10value_typeEPNSR_ISM_E10value_typeEPSN_NS1_7vsmem_tEENKUlT_SL_SM_SN_E_clIS8_S8_S9_S9_EESK_S10_SL_SM_SN_EUlS10_E_NS1_11comp_targetILNS1_3genE8ELNS1_11target_archE1030ELNS1_3gpuE2ELNS1_3repE0EEENS1_48merge_mergepath_partition_config_static_selectorELNS0_4arch9wavefront6targetE1EEEvSM_
; %bb.0:
	.section	.rodata,"a",@progbits
	.p2align	6, 0x0
	.amdhsa_kernel _ZN7rocprim17ROCPRIM_400000_NS6detail17trampoline_kernelINS0_14default_configENS1_38merge_sort_block_merge_config_selectorIlNS0_10empty_typeEEEZZNS1_27merge_sort_block_merge_implIS3_PlPS5_mZN2at6native12_GLOBAL__N_124unique_dim_cuda_templateIlEESt5tupleIJNSA_6TensorESF_SF_EERKSF_lbbbEUlllE_EE10hipError_tT0_T1_T2_jT3_P12ihipStream_tbPNSt15iterator_traitsISL_E10value_typeEPNSR_ISM_E10value_typeEPSN_NS1_7vsmem_tEENKUlT_SL_SM_SN_E_clIS8_S8_S9_S9_EESK_S10_SL_SM_SN_EUlS10_E_NS1_11comp_targetILNS1_3genE8ELNS1_11target_archE1030ELNS1_3gpuE2ELNS1_3repE0EEENS1_48merge_mergepath_partition_config_static_selectorELNS0_4arch9wavefront6targetE1EEEvSM_
		.amdhsa_group_segment_fixed_size 0
		.amdhsa_private_segment_fixed_size 0
		.amdhsa_kernarg_size 56
		.amdhsa_user_sgpr_count 2
		.amdhsa_user_sgpr_dispatch_ptr 0
		.amdhsa_user_sgpr_queue_ptr 0
		.amdhsa_user_sgpr_kernarg_segment_ptr 1
		.amdhsa_user_sgpr_dispatch_id 0
		.amdhsa_user_sgpr_kernarg_preload_length 0
		.amdhsa_user_sgpr_kernarg_preload_offset 0
		.amdhsa_user_sgpr_private_segment_size 0
		.amdhsa_uses_dynamic_stack 0
		.amdhsa_enable_private_segment 0
		.amdhsa_system_sgpr_workgroup_id_x 1
		.amdhsa_system_sgpr_workgroup_id_y 0
		.amdhsa_system_sgpr_workgroup_id_z 0
		.amdhsa_system_sgpr_workgroup_info 0
		.amdhsa_system_vgpr_workitem_id 0
		.amdhsa_next_free_vgpr 1
		.amdhsa_next_free_sgpr 0
		.amdhsa_accum_offset 4
		.amdhsa_reserve_vcc 0
		.amdhsa_float_round_mode_32 0
		.amdhsa_float_round_mode_16_64 0
		.amdhsa_float_denorm_mode_32 3
		.amdhsa_float_denorm_mode_16_64 3
		.amdhsa_dx10_clamp 1
		.amdhsa_ieee_mode 1
		.amdhsa_fp16_overflow 0
		.amdhsa_tg_split 0
		.amdhsa_exception_fp_ieee_invalid_op 0
		.amdhsa_exception_fp_denorm_src 0
		.amdhsa_exception_fp_ieee_div_zero 0
		.amdhsa_exception_fp_ieee_overflow 0
		.amdhsa_exception_fp_ieee_underflow 0
		.amdhsa_exception_fp_ieee_inexact 0
		.amdhsa_exception_int_div_zero 0
	.end_amdhsa_kernel
	.section	.text._ZN7rocprim17ROCPRIM_400000_NS6detail17trampoline_kernelINS0_14default_configENS1_38merge_sort_block_merge_config_selectorIlNS0_10empty_typeEEEZZNS1_27merge_sort_block_merge_implIS3_PlPS5_mZN2at6native12_GLOBAL__N_124unique_dim_cuda_templateIlEESt5tupleIJNSA_6TensorESF_SF_EERKSF_lbbbEUlllE_EE10hipError_tT0_T1_T2_jT3_P12ihipStream_tbPNSt15iterator_traitsISL_E10value_typeEPNSR_ISM_E10value_typeEPSN_NS1_7vsmem_tEENKUlT_SL_SM_SN_E_clIS8_S8_S9_S9_EESK_S10_SL_SM_SN_EUlS10_E_NS1_11comp_targetILNS1_3genE8ELNS1_11target_archE1030ELNS1_3gpuE2ELNS1_3repE0EEENS1_48merge_mergepath_partition_config_static_selectorELNS0_4arch9wavefront6targetE1EEEvSM_,"axG",@progbits,_ZN7rocprim17ROCPRIM_400000_NS6detail17trampoline_kernelINS0_14default_configENS1_38merge_sort_block_merge_config_selectorIlNS0_10empty_typeEEEZZNS1_27merge_sort_block_merge_implIS3_PlPS5_mZN2at6native12_GLOBAL__N_124unique_dim_cuda_templateIlEESt5tupleIJNSA_6TensorESF_SF_EERKSF_lbbbEUlllE_EE10hipError_tT0_T1_T2_jT3_P12ihipStream_tbPNSt15iterator_traitsISL_E10value_typeEPNSR_ISM_E10value_typeEPSN_NS1_7vsmem_tEENKUlT_SL_SM_SN_E_clIS8_S8_S9_S9_EESK_S10_SL_SM_SN_EUlS10_E_NS1_11comp_targetILNS1_3genE8ELNS1_11target_archE1030ELNS1_3gpuE2ELNS1_3repE0EEENS1_48merge_mergepath_partition_config_static_selectorELNS0_4arch9wavefront6targetE1EEEvSM_,comdat
.Lfunc_end521:
	.size	_ZN7rocprim17ROCPRIM_400000_NS6detail17trampoline_kernelINS0_14default_configENS1_38merge_sort_block_merge_config_selectorIlNS0_10empty_typeEEEZZNS1_27merge_sort_block_merge_implIS3_PlPS5_mZN2at6native12_GLOBAL__N_124unique_dim_cuda_templateIlEESt5tupleIJNSA_6TensorESF_SF_EERKSF_lbbbEUlllE_EE10hipError_tT0_T1_T2_jT3_P12ihipStream_tbPNSt15iterator_traitsISL_E10value_typeEPNSR_ISM_E10value_typeEPSN_NS1_7vsmem_tEENKUlT_SL_SM_SN_E_clIS8_S8_S9_S9_EESK_S10_SL_SM_SN_EUlS10_E_NS1_11comp_targetILNS1_3genE8ELNS1_11target_archE1030ELNS1_3gpuE2ELNS1_3repE0EEENS1_48merge_mergepath_partition_config_static_selectorELNS0_4arch9wavefront6targetE1EEEvSM_, .Lfunc_end521-_ZN7rocprim17ROCPRIM_400000_NS6detail17trampoline_kernelINS0_14default_configENS1_38merge_sort_block_merge_config_selectorIlNS0_10empty_typeEEEZZNS1_27merge_sort_block_merge_implIS3_PlPS5_mZN2at6native12_GLOBAL__N_124unique_dim_cuda_templateIlEESt5tupleIJNSA_6TensorESF_SF_EERKSF_lbbbEUlllE_EE10hipError_tT0_T1_T2_jT3_P12ihipStream_tbPNSt15iterator_traitsISL_E10value_typeEPNSR_ISM_E10value_typeEPSN_NS1_7vsmem_tEENKUlT_SL_SM_SN_E_clIS8_S8_S9_S9_EESK_S10_SL_SM_SN_EUlS10_E_NS1_11comp_targetILNS1_3genE8ELNS1_11target_archE1030ELNS1_3gpuE2ELNS1_3repE0EEENS1_48merge_mergepath_partition_config_static_selectorELNS0_4arch9wavefront6targetE1EEEvSM_
                                        ; -- End function
	.set _ZN7rocprim17ROCPRIM_400000_NS6detail17trampoline_kernelINS0_14default_configENS1_38merge_sort_block_merge_config_selectorIlNS0_10empty_typeEEEZZNS1_27merge_sort_block_merge_implIS3_PlPS5_mZN2at6native12_GLOBAL__N_124unique_dim_cuda_templateIlEESt5tupleIJNSA_6TensorESF_SF_EERKSF_lbbbEUlllE_EE10hipError_tT0_T1_T2_jT3_P12ihipStream_tbPNSt15iterator_traitsISL_E10value_typeEPNSR_ISM_E10value_typeEPSN_NS1_7vsmem_tEENKUlT_SL_SM_SN_E_clIS8_S8_S9_S9_EESK_S10_SL_SM_SN_EUlS10_E_NS1_11comp_targetILNS1_3genE8ELNS1_11target_archE1030ELNS1_3gpuE2ELNS1_3repE0EEENS1_48merge_mergepath_partition_config_static_selectorELNS0_4arch9wavefront6targetE1EEEvSM_.num_vgpr, 0
	.set _ZN7rocprim17ROCPRIM_400000_NS6detail17trampoline_kernelINS0_14default_configENS1_38merge_sort_block_merge_config_selectorIlNS0_10empty_typeEEEZZNS1_27merge_sort_block_merge_implIS3_PlPS5_mZN2at6native12_GLOBAL__N_124unique_dim_cuda_templateIlEESt5tupleIJNSA_6TensorESF_SF_EERKSF_lbbbEUlllE_EE10hipError_tT0_T1_T2_jT3_P12ihipStream_tbPNSt15iterator_traitsISL_E10value_typeEPNSR_ISM_E10value_typeEPSN_NS1_7vsmem_tEENKUlT_SL_SM_SN_E_clIS8_S8_S9_S9_EESK_S10_SL_SM_SN_EUlS10_E_NS1_11comp_targetILNS1_3genE8ELNS1_11target_archE1030ELNS1_3gpuE2ELNS1_3repE0EEENS1_48merge_mergepath_partition_config_static_selectorELNS0_4arch9wavefront6targetE1EEEvSM_.num_agpr, 0
	.set _ZN7rocprim17ROCPRIM_400000_NS6detail17trampoline_kernelINS0_14default_configENS1_38merge_sort_block_merge_config_selectorIlNS0_10empty_typeEEEZZNS1_27merge_sort_block_merge_implIS3_PlPS5_mZN2at6native12_GLOBAL__N_124unique_dim_cuda_templateIlEESt5tupleIJNSA_6TensorESF_SF_EERKSF_lbbbEUlllE_EE10hipError_tT0_T1_T2_jT3_P12ihipStream_tbPNSt15iterator_traitsISL_E10value_typeEPNSR_ISM_E10value_typeEPSN_NS1_7vsmem_tEENKUlT_SL_SM_SN_E_clIS8_S8_S9_S9_EESK_S10_SL_SM_SN_EUlS10_E_NS1_11comp_targetILNS1_3genE8ELNS1_11target_archE1030ELNS1_3gpuE2ELNS1_3repE0EEENS1_48merge_mergepath_partition_config_static_selectorELNS0_4arch9wavefront6targetE1EEEvSM_.numbered_sgpr, 0
	.set _ZN7rocprim17ROCPRIM_400000_NS6detail17trampoline_kernelINS0_14default_configENS1_38merge_sort_block_merge_config_selectorIlNS0_10empty_typeEEEZZNS1_27merge_sort_block_merge_implIS3_PlPS5_mZN2at6native12_GLOBAL__N_124unique_dim_cuda_templateIlEESt5tupleIJNSA_6TensorESF_SF_EERKSF_lbbbEUlllE_EE10hipError_tT0_T1_T2_jT3_P12ihipStream_tbPNSt15iterator_traitsISL_E10value_typeEPNSR_ISM_E10value_typeEPSN_NS1_7vsmem_tEENKUlT_SL_SM_SN_E_clIS8_S8_S9_S9_EESK_S10_SL_SM_SN_EUlS10_E_NS1_11comp_targetILNS1_3genE8ELNS1_11target_archE1030ELNS1_3gpuE2ELNS1_3repE0EEENS1_48merge_mergepath_partition_config_static_selectorELNS0_4arch9wavefront6targetE1EEEvSM_.num_named_barrier, 0
	.set _ZN7rocprim17ROCPRIM_400000_NS6detail17trampoline_kernelINS0_14default_configENS1_38merge_sort_block_merge_config_selectorIlNS0_10empty_typeEEEZZNS1_27merge_sort_block_merge_implIS3_PlPS5_mZN2at6native12_GLOBAL__N_124unique_dim_cuda_templateIlEESt5tupleIJNSA_6TensorESF_SF_EERKSF_lbbbEUlllE_EE10hipError_tT0_T1_T2_jT3_P12ihipStream_tbPNSt15iterator_traitsISL_E10value_typeEPNSR_ISM_E10value_typeEPSN_NS1_7vsmem_tEENKUlT_SL_SM_SN_E_clIS8_S8_S9_S9_EESK_S10_SL_SM_SN_EUlS10_E_NS1_11comp_targetILNS1_3genE8ELNS1_11target_archE1030ELNS1_3gpuE2ELNS1_3repE0EEENS1_48merge_mergepath_partition_config_static_selectorELNS0_4arch9wavefront6targetE1EEEvSM_.private_seg_size, 0
	.set _ZN7rocprim17ROCPRIM_400000_NS6detail17trampoline_kernelINS0_14default_configENS1_38merge_sort_block_merge_config_selectorIlNS0_10empty_typeEEEZZNS1_27merge_sort_block_merge_implIS3_PlPS5_mZN2at6native12_GLOBAL__N_124unique_dim_cuda_templateIlEESt5tupleIJNSA_6TensorESF_SF_EERKSF_lbbbEUlllE_EE10hipError_tT0_T1_T2_jT3_P12ihipStream_tbPNSt15iterator_traitsISL_E10value_typeEPNSR_ISM_E10value_typeEPSN_NS1_7vsmem_tEENKUlT_SL_SM_SN_E_clIS8_S8_S9_S9_EESK_S10_SL_SM_SN_EUlS10_E_NS1_11comp_targetILNS1_3genE8ELNS1_11target_archE1030ELNS1_3gpuE2ELNS1_3repE0EEENS1_48merge_mergepath_partition_config_static_selectorELNS0_4arch9wavefront6targetE1EEEvSM_.uses_vcc, 0
	.set _ZN7rocprim17ROCPRIM_400000_NS6detail17trampoline_kernelINS0_14default_configENS1_38merge_sort_block_merge_config_selectorIlNS0_10empty_typeEEEZZNS1_27merge_sort_block_merge_implIS3_PlPS5_mZN2at6native12_GLOBAL__N_124unique_dim_cuda_templateIlEESt5tupleIJNSA_6TensorESF_SF_EERKSF_lbbbEUlllE_EE10hipError_tT0_T1_T2_jT3_P12ihipStream_tbPNSt15iterator_traitsISL_E10value_typeEPNSR_ISM_E10value_typeEPSN_NS1_7vsmem_tEENKUlT_SL_SM_SN_E_clIS8_S8_S9_S9_EESK_S10_SL_SM_SN_EUlS10_E_NS1_11comp_targetILNS1_3genE8ELNS1_11target_archE1030ELNS1_3gpuE2ELNS1_3repE0EEENS1_48merge_mergepath_partition_config_static_selectorELNS0_4arch9wavefront6targetE1EEEvSM_.uses_flat_scratch, 0
	.set _ZN7rocprim17ROCPRIM_400000_NS6detail17trampoline_kernelINS0_14default_configENS1_38merge_sort_block_merge_config_selectorIlNS0_10empty_typeEEEZZNS1_27merge_sort_block_merge_implIS3_PlPS5_mZN2at6native12_GLOBAL__N_124unique_dim_cuda_templateIlEESt5tupleIJNSA_6TensorESF_SF_EERKSF_lbbbEUlllE_EE10hipError_tT0_T1_T2_jT3_P12ihipStream_tbPNSt15iterator_traitsISL_E10value_typeEPNSR_ISM_E10value_typeEPSN_NS1_7vsmem_tEENKUlT_SL_SM_SN_E_clIS8_S8_S9_S9_EESK_S10_SL_SM_SN_EUlS10_E_NS1_11comp_targetILNS1_3genE8ELNS1_11target_archE1030ELNS1_3gpuE2ELNS1_3repE0EEENS1_48merge_mergepath_partition_config_static_selectorELNS0_4arch9wavefront6targetE1EEEvSM_.has_dyn_sized_stack, 0
	.set _ZN7rocprim17ROCPRIM_400000_NS6detail17trampoline_kernelINS0_14default_configENS1_38merge_sort_block_merge_config_selectorIlNS0_10empty_typeEEEZZNS1_27merge_sort_block_merge_implIS3_PlPS5_mZN2at6native12_GLOBAL__N_124unique_dim_cuda_templateIlEESt5tupleIJNSA_6TensorESF_SF_EERKSF_lbbbEUlllE_EE10hipError_tT0_T1_T2_jT3_P12ihipStream_tbPNSt15iterator_traitsISL_E10value_typeEPNSR_ISM_E10value_typeEPSN_NS1_7vsmem_tEENKUlT_SL_SM_SN_E_clIS8_S8_S9_S9_EESK_S10_SL_SM_SN_EUlS10_E_NS1_11comp_targetILNS1_3genE8ELNS1_11target_archE1030ELNS1_3gpuE2ELNS1_3repE0EEENS1_48merge_mergepath_partition_config_static_selectorELNS0_4arch9wavefront6targetE1EEEvSM_.has_recursion, 0
	.set _ZN7rocprim17ROCPRIM_400000_NS6detail17trampoline_kernelINS0_14default_configENS1_38merge_sort_block_merge_config_selectorIlNS0_10empty_typeEEEZZNS1_27merge_sort_block_merge_implIS3_PlPS5_mZN2at6native12_GLOBAL__N_124unique_dim_cuda_templateIlEESt5tupleIJNSA_6TensorESF_SF_EERKSF_lbbbEUlllE_EE10hipError_tT0_T1_T2_jT3_P12ihipStream_tbPNSt15iterator_traitsISL_E10value_typeEPNSR_ISM_E10value_typeEPSN_NS1_7vsmem_tEENKUlT_SL_SM_SN_E_clIS8_S8_S9_S9_EESK_S10_SL_SM_SN_EUlS10_E_NS1_11comp_targetILNS1_3genE8ELNS1_11target_archE1030ELNS1_3gpuE2ELNS1_3repE0EEENS1_48merge_mergepath_partition_config_static_selectorELNS0_4arch9wavefront6targetE1EEEvSM_.has_indirect_call, 0
	.section	.AMDGPU.csdata,"",@progbits
; Kernel info:
; codeLenInByte = 0
; TotalNumSgprs: 6
; NumVgprs: 0
; NumAgprs: 0
; TotalNumVgprs: 0
; ScratchSize: 0
; MemoryBound: 0
; FloatMode: 240
; IeeeMode: 1
; LDSByteSize: 0 bytes/workgroup (compile time only)
; SGPRBlocks: 0
; VGPRBlocks: 0
; NumSGPRsForWavesPerEU: 6
; NumVGPRsForWavesPerEU: 1
; AccumOffset: 4
; Occupancy: 8
; WaveLimiterHint : 0
; COMPUTE_PGM_RSRC2:SCRATCH_EN: 0
; COMPUTE_PGM_RSRC2:USER_SGPR: 2
; COMPUTE_PGM_RSRC2:TRAP_HANDLER: 0
; COMPUTE_PGM_RSRC2:TGID_X_EN: 1
; COMPUTE_PGM_RSRC2:TGID_Y_EN: 0
; COMPUTE_PGM_RSRC2:TGID_Z_EN: 0
; COMPUTE_PGM_RSRC2:TIDIG_COMP_CNT: 0
; COMPUTE_PGM_RSRC3_GFX90A:ACCUM_OFFSET: 0
; COMPUTE_PGM_RSRC3_GFX90A:TG_SPLIT: 0
	.section	.text._ZN7rocprim17ROCPRIM_400000_NS6detail17trampoline_kernelINS0_14default_configENS1_38merge_sort_block_merge_config_selectorIlNS0_10empty_typeEEEZZNS1_27merge_sort_block_merge_implIS3_PlPS5_mZN2at6native12_GLOBAL__N_124unique_dim_cuda_templateIlEESt5tupleIJNSA_6TensorESF_SF_EERKSF_lbbbEUlllE_EE10hipError_tT0_T1_T2_jT3_P12ihipStream_tbPNSt15iterator_traitsISL_E10value_typeEPNSR_ISM_E10value_typeEPSN_NS1_7vsmem_tEENKUlT_SL_SM_SN_E_clIS8_S8_S9_S9_EESK_S10_SL_SM_SN_EUlS10_E0_NS1_11comp_targetILNS1_3genE0ELNS1_11target_archE4294967295ELNS1_3gpuE0ELNS1_3repE0EEENS1_38merge_mergepath_config_static_selectorELNS0_4arch9wavefront6targetE1EEEvSM_,"axG",@progbits,_ZN7rocprim17ROCPRIM_400000_NS6detail17trampoline_kernelINS0_14default_configENS1_38merge_sort_block_merge_config_selectorIlNS0_10empty_typeEEEZZNS1_27merge_sort_block_merge_implIS3_PlPS5_mZN2at6native12_GLOBAL__N_124unique_dim_cuda_templateIlEESt5tupleIJNSA_6TensorESF_SF_EERKSF_lbbbEUlllE_EE10hipError_tT0_T1_T2_jT3_P12ihipStream_tbPNSt15iterator_traitsISL_E10value_typeEPNSR_ISM_E10value_typeEPSN_NS1_7vsmem_tEENKUlT_SL_SM_SN_E_clIS8_S8_S9_S9_EESK_S10_SL_SM_SN_EUlS10_E0_NS1_11comp_targetILNS1_3genE0ELNS1_11target_archE4294967295ELNS1_3gpuE0ELNS1_3repE0EEENS1_38merge_mergepath_config_static_selectorELNS0_4arch9wavefront6targetE1EEEvSM_,comdat
	.globl	_ZN7rocprim17ROCPRIM_400000_NS6detail17trampoline_kernelINS0_14default_configENS1_38merge_sort_block_merge_config_selectorIlNS0_10empty_typeEEEZZNS1_27merge_sort_block_merge_implIS3_PlPS5_mZN2at6native12_GLOBAL__N_124unique_dim_cuda_templateIlEESt5tupleIJNSA_6TensorESF_SF_EERKSF_lbbbEUlllE_EE10hipError_tT0_T1_T2_jT3_P12ihipStream_tbPNSt15iterator_traitsISL_E10value_typeEPNSR_ISM_E10value_typeEPSN_NS1_7vsmem_tEENKUlT_SL_SM_SN_E_clIS8_S8_S9_S9_EESK_S10_SL_SM_SN_EUlS10_E0_NS1_11comp_targetILNS1_3genE0ELNS1_11target_archE4294967295ELNS1_3gpuE0ELNS1_3repE0EEENS1_38merge_mergepath_config_static_selectorELNS0_4arch9wavefront6targetE1EEEvSM_ ; -- Begin function _ZN7rocprim17ROCPRIM_400000_NS6detail17trampoline_kernelINS0_14default_configENS1_38merge_sort_block_merge_config_selectorIlNS0_10empty_typeEEEZZNS1_27merge_sort_block_merge_implIS3_PlPS5_mZN2at6native12_GLOBAL__N_124unique_dim_cuda_templateIlEESt5tupleIJNSA_6TensorESF_SF_EERKSF_lbbbEUlllE_EE10hipError_tT0_T1_T2_jT3_P12ihipStream_tbPNSt15iterator_traitsISL_E10value_typeEPNSR_ISM_E10value_typeEPSN_NS1_7vsmem_tEENKUlT_SL_SM_SN_E_clIS8_S8_S9_S9_EESK_S10_SL_SM_SN_EUlS10_E0_NS1_11comp_targetILNS1_3genE0ELNS1_11target_archE4294967295ELNS1_3gpuE0ELNS1_3repE0EEENS1_38merge_mergepath_config_static_selectorELNS0_4arch9wavefront6targetE1EEEvSM_
	.p2align	8
	.type	_ZN7rocprim17ROCPRIM_400000_NS6detail17trampoline_kernelINS0_14default_configENS1_38merge_sort_block_merge_config_selectorIlNS0_10empty_typeEEEZZNS1_27merge_sort_block_merge_implIS3_PlPS5_mZN2at6native12_GLOBAL__N_124unique_dim_cuda_templateIlEESt5tupleIJNSA_6TensorESF_SF_EERKSF_lbbbEUlllE_EE10hipError_tT0_T1_T2_jT3_P12ihipStream_tbPNSt15iterator_traitsISL_E10value_typeEPNSR_ISM_E10value_typeEPSN_NS1_7vsmem_tEENKUlT_SL_SM_SN_E_clIS8_S8_S9_S9_EESK_S10_SL_SM_SN_EUlS10_E0_NS1_11comp_targetILNS1_3genE0ELNS1_11target_archE4294967295ELNS1_3gpuE0ELNS1_3repE0EEENS1_38merge_mergepath_config_static_selectorELNS0_4arch9wavefront6targetE1EEEvSM_,@function
_ZN7rocprim17ROCPRIM_400000_NS6detail17trampoline_kernelINS0_14default_configENS1_38merge_sort_block_merge_config_selectorIlNS0_10empty_typeEEEZZNS1_27merge_sort_block_merge_implIS3_PlPS5_mZN2at6native12_GLOBAL__N_124unique_dim_cuda_templateIlEESt5tupleIJNSA_6TensorESF_SF_EERKSF_lbbbEUlllE_EE10hipError_tT0_T1_T2_jT3_P12ihipStream_tbPNSt15iterator_traitsISL_E10value_typeEPNSR_ISM_E10value_typeEPSN_NS1_7vsmem_tEENKUlT_SL_SM_SN_E_clIS8_S8_S9_S9_EESK_S10_SL_SM_SN_EUlS10_E0_NS1_11comp_targetILNS1_3genE0ELNS1_11target_archE4294967295ELNS1_3gpuE0ELNS1_3repE0EEENS1_38merge_mergepath_config_static_selectorELNS0_4arch9wavefront6targetE1EEEvSM_: ; @_ZN7rocprim17ROCPRIM_400000_NS6detail17trampoline_kernelINS0_14default_configENS1_38merge_sort_block_merge_config_selectorIlNS0_10empty_typeEEEZZNS1_27merge_sort_block_merge_implIS3_PlPS5_mZN2at6native12_GLOBAL__N_124unique_dim_cuda_templateIlEESt5tupleIJNSA_6TensorESF_SF_EERKSF_lbbbEUlllE_EE10hipError_tT0_T1_T2_jT3_P12ihipStream_tbPNSt15iterator_traitsISL_E10value_typeEPNSR_ISM_E10value_typeEPSN_NS1_7vsmem_tEENKUlT_SL_SM_SN_E_clIS8_S8_S9_S9_EESK_S10_SL_SM_SN_EUlS10_E0_NS1_11comp_targetILNS1_3genE0ELNS1_11target_archE4294967295ELNS1_3gpuE0ELNS1_3repE0EEENS1_38merge_mergepath_config_static_selectorELNS0_4arch9wavefront6targetE1EEEvSM_
; %bb.0:
	s_load_dwordx2 s[22:23], s[0:1], 0x58
	s_load_dword s5, s[0:1], 0x38
	s_add_u32 s18, s0, 0x58
	s_addc_u32 s19, s1, 0
	s_waitcnt lgkmcnt(0)
	s_mul_i32 s4, s23, s4
	s_add_i32 s3, s4, s3
	s_mul_i32 s3, s3, s22
	s_add_i32 s20, s3, s2
	s_cmp_ge_u32 s20, s5
	s_cbranch_scc1 .LBB522_138
; %bb.1:
	s_load_dwordx2 s[12:13], s[0:1], 0x50
	s_load_dwordx4 s[4:7], s[0:1], 0x8
	s_load_dwordx4 s[8:11], s[0:1], 0x28
	s_mov_b32 s21, 0
	s_lshl_b64 s[14:15], s[20:21], 3
	s_waitcnt lgkmcnt(0)
	s_add_u32 s16, s12, s14
	s_addc_u32 s17, s13, s15
	s_load_dwordx4 s[12:15], s[16:17], 0x0
	s_lshr_b64 s[16:17], s[10:11], 9
	s_and_b32 s3, s16, -2
	s_sub_i32 s33, 0, s3
	s_and_b32 s26, s20, s33
	s_mov_b32 s27, s21
	s_lshl_b64 s[24:25], s[26:27], 10
	s_lshl_b64 s[16:17], s[20:21], 10
	s_sub_u32 s3, s16, s24
	s_subb_u32 s23, s17, s25
	s_lshl_b64 s[26:27], s[26:27], 11
	s_add_u32 s26, s26, s10
	s_addc_u32 s27, s27, s11
	s_add_u32 s3, s26, s3
	s_addc_u32 s23, s27, s23
	s_waitcnt lgkmcnt(0)
	s_sub_u32 s28, s3, s14
	s_subb_u32 s15, s23, s15
	s_add_u32 s28, s28, 0x400
	s_addc_u32 s29, s15, 0
	v_mov_b64_e32 v[2:3], s[28:29]
	v_cmp_lt_u64_e32 vcc, s[8:9], v[2:3]
	s_and_b64 s[30:31], vcc, exec
	s_cselect_b32 s15, s8, s28
	s_or_b32 s28, s20, s33
	s_cmp_lg_u32 s28, -1
	s_cbranch_scc1 .LBB522_3
; %bb.2:
	s_sub_u32 s24, s26, s24
	s_subb_u32 s25, s27, s25
	v_mov_b64_e32 v[2:3], s[24:25]
	v_cmp_lt_u64_e32 vcc, s[8:9], v[2:3]
	s_and_b64 s[14:15], vcc, exec
	s_cselect_b32 s14, s8, s24
	s_add_u32 s10, s24, s10
	s_addc_u32 s11, s25, s11
	v_mov_b64_e32 v[2:3], s[10:11]
	v_cmp_lt_u64_e32 vcc, s[8:9], v[2:3]
	s_and_b64 s[24:25], vcc, exec
	s_cselect_b32 s15, s8, s10
.LBB522_3:
	s_lshr_b64 s[24:25], s[8:9], 10
	s_cmp_lg_u64 s[24:25], s[20:21]
	s_cselect_b64 s[10:11], -1, 0
	s_sub_u32 s26, s3, s12
	s_subb_u32 s27, s23, s13
	v_mov_b64_e32 v[2:3], s[26:27]
	v_cmp_lt_u64_e32 vcc, s[8:9], v[2:3]
	s_and_b64 s[28:29], vcc, exec
	s_cselect_b32 s26, s8, s26
	s_cselect_b32 s27, s9, s27
	s_sub_i32 s9, s14, s12
	s_sub_i32 s23, s15, s26
	s_lshl_b64 s[12:13], s[12:13], 3
	s_add_u32 s12, s4, s12
	s_addc_u32 s13, s5, s13
	s_lshl_b64 s[14:15], s[26:27], 3
	s_add_u32 s4, s4, s14
	s_addc_u32 s5, s5, s15
	s_cmp_lt_u32 s2, s22
	v_mov_b32_e32 v19, 0
	s_cselect_b32 s2, 12, 18
	global_load_dword v1, v19, s[18:19] offset:14
	s_add_u32 s2, s18, s2
	s_addc_u32 s3, s19, 0
	global_load_ushort v2, v19, s[2:3]
	s_cmp_eq_u64 s[24:25], s[20:21]
	v_lshlrev_b32_e32 v18, 3, v0
	s_waitcnt vmcnt(1)
	v_lshrrev_b32_e32 v3, 16, v1
	v_and_b32_e32 v1, 0xffff, v1
	v_mul_lo_u32 v1, v1, v3
	s_waitcnt vmcnt(0)
	v_mul_lo_u32 v1, v1, v2
	s_cbranch_scc1 .LBB522_5
; %bb.4:
	v_subrev_co_u32_e32 v4, vcc, s9, v0
	v_mov_b32_e32 v5, v19
	v_lshl_add_u64 v[2:3], s[12:13], 0, v[18:19]
	v_lshl_add_u64 v[4:5], v[4:5], 3, s[4:5]
	v_add_u32_e32 v6, v1, v0
	v_cndmask_b32_e32 v3, v5, v3, vcc
	v_cndmask_b32_e32 v2, v4, v2, vcc
	v_mov_b32_e32 v7, v19
	v_subrev_co_u32_e32 v8, vcc, s9, v6
	v_mov_b32_e32 v9, v19
	v_lshl_add_u64 v[4:5], v[6:7], 3, s[12:13]
	v_lshl_add_u64 v[8:9], v[8:9], 3, s[4:5]
	v_cndmask_b32_e32 v4, v8, v4, vcc
	v_add_u32_e32 v8, v6, v1
	v_cndmask_b32_e32 v5, v9, v5, vcc
	v_mov_b32_e32 v9, v19
	v_subrev_co_u32_e32 v10, vcc, s9, v8
	v_mov_b32_e32 v11, v19
	v_lshl_add_u64 v[6:7], v[8:9], 3, s[12:13]
	v_lshl_add_u64 v[10:11], v[10:11], 3, s[4:5]
	v_cndmask_b32_e32 v6, v10, v6, vcc
	v_add_u32_e32 v10, v8, v1
	;; [unrolled: 8-line block ×5, first 2 shown]
	v_cndmask_b32_e32 v13, v17, v13, vcc
	v_mov_b32_e32 v17, v19
	v_subrev_co_u32_e32 v20, vcc, s9, v16
	v_mov_b32_e32 v21, v19
	v_lshl_add_u64 v[14:15], v[16:17], 3, s[12:13]
	v_lshl_add_u64 v[20:21], v[20:21], 3, s[4:5]
	v_add_u32_e32 v16, v16, v1
	v_cndmask_b32_e32 v15, v21, v15, vcc
	v_cndmask_b32_e32 v14, v20, v14, vcc
	v_lshl_add_u64 v[20:21], v[16:17], 3, s[12:13]
	v_subrev_co_u32_e32 v16, vcc, s9, v16
	v_lshl_add_u64 v[16:17], v[16:17], 3, s[4:5]
	s_nop 0
	v_cndmask_b32_e32 v17, v17, v21, vcc
	v_cndmask_b32_e32 v16, v16, v20, vcc
	global_load_dwordx2 v[2:3], v[2:3], off
	s_add_i32 s33, s9, s23
	global_load_dwordx2 v[4:5], v[4:5], off
	s_nop 0
	global_load_dwordx2 v[6:7], v[6:7], off
	s_nop 0
	global_load_dwordx2 v[8:9], v[8:9], off
	s_nop 0
	global_load_dwordx2 v[10:11], v[10:11], off
	s_nop 0
	global_load_dwordx2 v[12:13], v[12:13], off
	s_nop 0
	global_load_dwordx2 v[14:15], v[14:15], off
	s_nop 0
	global_load_dwordx2 v[16:17], v[16:17], off
	s_cbranch_execz .LBB522_6
	s_branch .LBB522_23
.LBB522_5:
                                        ; implicit-def: $vgpr2_vgpr3_vgpr4_vgpr5_vgpr6_vgpr7_vgpr8_vgpr9_vgpr10_vgpr11_vgpr12_vgpr13_vgpr14_vgpr15_vgpr16_vgpr17
                                        ; implicit-def: $sgpr33
.LBB522_6:
	s_add_i32 s33, s9, s23
	s_waitcnt vmcnt(7)
	v_mov_b32_e32 v2, 0
	v_cmp_gt_u32_e32 vcc, s33, v0
	v_mov_b32_e32 v3, v2
	s_waitcnt vmcnt(6)
	v_mov_b32_e32 v4, v2
	v_mov_b32_e32 v5, v2
	s_waitcnt vmcnt(5)
	v_mov_b32_e32 v6, v2
	;; [unrolled: 3-line block ×7, first 2 shown]
	v_mov_b32_e32 v17, v2
	s_and_saveexec_b64 s[2:3], vcc
	s_cbranch_execz .LBB522_8
; %bb.7:
	v_mov_b32_e32 v19, v2
	v_subrev_co_u32_e32 v6, vcc, s9, v0
	v_mov_b32_e32 v7, v2
	v_lshl_add_u64 v[4:5], s[12:13], 0, v[18:19]
	v_lshl_add_u64 v[6:7], v[6:7], 3, s[4:5]
	v_cndmask_b32_e32 v5, v7, v5, vcc
	v_cndmask_b32_e32 v4, v6, v4, vcc
	global_load_dwordx2 v[20:21], v[4:5], off
	v_mov_b32_e32 v22, v2
	v_mov_b32_e32 v23, v2
	;; [unrolled: 1-line block ×14, first 2 shown]
	s_waitcnt vmcnt(0)
	v_mov_b64_e32 v[2:3], v[20:21]
	v_mov_b64_e32 v[4:5], v[22:23]
	;; [unrolled: 1-line block ×8, first 2 shown]
.LBB522_8:
	s_or_b64 exec, exec, s[2:3]
	v_add_u32_e32 v20, v1, v0
	v_cmp_gt_u32_e32 vcc, s33, v20
	s_and_saveexec_b64 s[2:3], vcc
	s_cbranch_execz .LBB522_10
; %bb.9:
	v_mov_b32_e32 v21, 0
	v_subrev_co_u32_e32 v22, vcc, s9, v20
	v_mov_b32_e32 v23, v21
	v_lshl_add_u64 v[4:5], v[20:21], 3, s[12:13]
	v_lshl_add_u64 v[22:23], v[22:23], 3, s[4:5]
	v_cndmask_b32_e32 v5, v23, v5, vcc
	v_cndmask_b32_e32 v4, v22, v4, vcc
	global_load_dwordx2 v[4:5], v[4:5], off
.LBB522_10:
	s_or_b64 exec, exec, s[2:3]
	v_add_u32_e32 v20, v20, v1
	v_cmp_gt_u32_e32 vcc, s33, v20
	s_and_saveexec_b64 s[2:3], vcc
	s_cbranch_execz .LBB522_12
; %bb.11:
	v_mov_b32_e32 v21, 0
	v_subrev_co_u32_e32 v22, vcc, s9, v20
	v_mov_b32_e32 v23, v21
	v_lshl_add_u64 v[6:7], v[20:21], 3, s[12:13]
	v_lshl_add_u64 v[22:23], v[22:23], 3, s[4:5]
	v_cndmask_b32_e32 v7, v23, v7, vcc
	v_cndmask_b32_e32 v6, v22, v6, vcc
	global_load_dwordx2 v[6:7], v[6:7], off
.LBB522_12:
	;; [unrolled: 15-line block ×6, first 2 shown]
	s_or_b64 exec, exec, s[2:3]
	v_add_u32_e32 v20, v20, v1
	v_cmp_gt_u32_e32 vcc, s33, v20
	s_and_saveexec_b64 s[2:3], vcc
	s_cbranch_execz .LBB522_22
; %bb.21:
	v_mov_b32_e32 v21, 0
	v_lshl_add_u64 v[16:17], v[20:21], 3, s[12:13]
	v_subrev_co_u32_e32 v20, vcc, s9, v20
	v_lshl_add_u64 v[20:21], v[20:21], 3, s[4:5]
	s_nop 0
	v_cndmask_b32_e32 v17, v21, v17, vcc
	v_cndmask_b32_e32 v16, v20, v16, vcc
	global_load_dwordx2 v[16:17], v[16:17], off
.LBB522_22:
	s_or_b64 exec, exec, s[2:3]
.LBB522_23:
	s_load_dwordx4 s[12:15], s[0:1], 0x40
	v_min_u32_e32 v1, s33, v18
	v_sub_u32_e64 v24, v1, s23 clamp
	v_min_u32_e32 v19, s9, v1
	v_cmp_lt_u32_e32 vcc, v24, v19
	s_waitcnt vmcnt(0)
	ds_write2st64_b64 v18, v[2:3], v[4:5] offset1:2
	ds_write2st64_b64 v18, v[6:7], v[8:9] offset0:4 offset1:6
	ds_write2st64_b64 v18, v[10:11], v[12:13] offset0:8 offset1:10
	;; [unrolled: 1-line block ×3, first 2 shown]
	s_waitcnt lgkmcnt(0)
	s_barrier
	s_and_saveexec_b64 s[18:19], vcc
	s_cbranch_execz .LBB522_33
; %bb.24:
	v_lshlrev_b32_e32 v20, 3, v1
	v_cmp_gt_i64_e64 s[0:1], s[12:13], 0
	v_lshl_add_u32 v25, s9, 3, v20
	s_mov_b64 s[20:21], 0
	v_cndmask_b32_e64 v20, 0, 1, s[0:1]
	s_lshl_b64 s[22:23], s[12:13], 3
	v_cmp_ne_u32_e64 s[0:1], 1, v20
	s_branch .LBB522_27
.LBB522_25:                             ;   in Loop: Header=BB522_27 Depth=1
	s_or_b64 exec, exec, s[26:27]
.LBB522_26:                             ;   in Loop: Header=BB522_27 Depth=1
	v_add_u32_e32 v20, 1, v26
	v_cndmask_b32_e64 v19, v19, v26, s[24:25]
	v_cndmask_b32_e64 v24, v20, v24, s[24:25]
	v_cmp_ge_u32_e32 vcc, v24, v19
	s_or_b64 s[20:21], vcc, s[20:21]
	s_andn2_b64 exec, exec, s[20:21]
	s_cbranch_execz .LBB522_32
.LBB522_27:                             ; =>This Loop Header: Depth=1
                                        ;     Child Loop BB522_30 Depth 2
	v_add_u32_e32 v20, v19, v24
	v_lshrrev_b32_e32 v26, 1, v20
	s_and_b64 vcc, exec, s[0:1]
	s_mov_b64 s[24:25], 0
	s_cbranch_vccnz .LBB522_26
; %bb.28:                               ;   in Loop: Header=BB522_27 Depth=1
	v_not_b32_e32 v20, v26
	v_lshl_add_u32 v20, v20, 3, v25
	ds_read_b64 v[20:21], v20
	v_lshlrev_b32_e32 v27, 3, v26
	ds_read_b64 v[28:29], v27
	v_mov_b64_e32 v[22:23], s[14:15]
	s_mov_b64 s[26:27], 0
	s_waitcnt lgkmcnt(1)
	v_mul_lo_u32 v27, s22, v21
	v_mul_lo_u32 v30, s23, v20
	v_mad_u64_u32 v[20:21], s[2:3], s22, v20, v[22:23]
	v_add3_u32 v21, v30, v21, v27
	s_waitcnt lgkmcnt(0)
	v_mul_lo_u32 v27, s22, v29
	v_mul_lo_u32 v29, s23, v28
	v_mad_u64_u32 v[22:23], s[2:3], s22, v28, v[22:23]
	v_add3_u32 v23, v29, v23, v27
	s_mov_b64 s[30:31], s[12:13]
                                        ; implicit-def: $sgpr24_sgpr25
                                        ; implicit-def: $sgpr28_sgpr29
                                        ; implicit-def: $sgpr2_sgpr3
                                        ; implicit-def: $sgpr34_sgpr35
	s_branch .LBB522_30
.LBB522_29:                             ;   in Loop: Header=BB522_30 Depth=2
	s_or_b64 exec, exec, s[38:39]
	s_and_b64 s[4:5], exec, s[28:29]
	s_or_b64 s[26:27], s[4:5], s[26:27]
	s_andn2_b64 s[4:5], s[34:35], exec
	s_and_b64 s[34:35], s[36:37], exec
	s_or_b64 s[34:35], s[4:5], s[34:35]
	s_andn2_b64 s[4:5], s[24:25], exec
	s_and_b64 s[24:25], s[2:3], exec
	s_or_b64 s[24:25], s[4:5], s[24:25]
	s_andn2_b64 exec, exec, s[26:27]
	s_cbranch_execz .LBB522_25
.LBB522_30:                             ;   Parent Loop BB522_27 Depth=1
                                        ; =>  This Inner Loop Header: Depth=2
	global_load_dwordx2 v[28:29], v[20:21], off
	global_load_dwordx2 v[30:31], v[22:23], off
	s_andn2_b64 s[38:39], s[2:3], exec
	s_or_b64 s[28:29], s[28:29], exec
	s_waitcnt vmcnt(0)
	v_cmp_le_i64_e64 s[2:3], v[28:29], v[30:31]
	v_cmp_lt_i64_e32 vcc, v[28:29], v[30:31]
	s_and_b64 s[2:3], s[2:3], s[34:35]
	s_or_b64 s[36:37], vcc, s[2:3]
	s_and_b64 s[2:3], s[36:37], exec
	v_cmp_eq_u64_e64 s[4:5], v[28:29], v[30:31]
	s_or_b64 s[2:3], s[38:39], s[2:3]
	s_and_saveexec_b64 s[38:39], s[4:5]
	s_cbranch_execz .LBB522_29
; %bb.31:                               ;   in Loop: Header=BB522_30 Depth=2
	s_add_u32 s30, s30, -1
	s_addc_u32 s31, s31, -1
	s_cmp_eq_u64 s[30:31], 0
	s_cselect_b64 s[4:5], -1, 0
	s_andn2_b64 s[28:29], s[28:29], exec
	s_and_b64 s[4:5], s[4:5], exec
	v_lshl_add_u64 v[20:21], v[20:21], 0, 8
	v_lshl_add_u64 v[22:23], v[22:23], 0, 8
	s_andn2_b64 s[2:3], s[2:3], exec
	s_or_b64 s[28:29], s[28:29], s[4:5]
                                        ; implicit-def: $sgpr34_sgpr35
	s_branch .LBB522_29
.LBB522_32:
	s_or_b64 exec, exec, s[20:21]
.LBB522_33:
	s_or_b64 exec, exec, s[18:19]
	v_sub_u32_e32 v1, v1, v24
	v_add_u32_e32 v20, s9, v1
	v_cmp_ge_u32_e32 vcc, s9, v24
	v_cmp_ge_u32_e64 s[0:1], s33, v20
	s_or_b64 s[0:1], vcc, s[0:1]
	s_and_saveexec_b64 s[4:5], s[0:1]
	s_cbranch_execz .LBB522_124
; %bb.34:
	v_cmp_le_u32_e32 vcc, s9, v24
	v_cmp_gt_u32_e64 s[0:1], s9, v24
                                        ; implicit-def: $vgpr2_vgpr3
	s_and_saveexec_b64 s[2:3], s[0:1]
; %bb.35:
	v_lshlrev_b32_e32 v1, 3, v24
	ds_read_b64 v[2:3], v1
; %bb.36:
	s_or_b64 exec, exec, s[2:3]
	v_cmp_le_u32_e64 s[20:21], s33, v20
	v_cmp_gt_u32_e64 s[0:1], s33, v20
                                        ; implicit-def: $vgpr14_vgpr15
	s_and_saveexec_b64 s[2:3], s[0:1]
; %bb.37:
	v_lshlrev_b32_e32 v1, 3, v20
	ds_read_b64 v[14:15], v1
; %bb.38:
	s_or_b64 exec, exec, s[2:3]
	v_cmp_gt_i64_e64 s[18:19], s[12:13], 0
	s_nor_b64 s[0:1], vcc, s[20:21]
	s_and_saveexec_b64 s[22:23], s[0:1]
	s_cbranch_execz .LBB522_47
; %bb.39:
	s_andn2_b64 vcc, exec, s[18:19]
	s_cbranch_vccnz .LBB522_45
; %bb.40:
	s_waitcnt lgkmcnt(0)
	v_mul_lo_u32 v1, v15, s12
	v_mul_lo_u32 v6, v14, s13
	v_mad_u64_u32 v[4:5], s[0:1], v14, s12, 0
	v_add3_u32 v5, v5, v6, v1
	v_mul_lo_u32 v1, v3, s12
	v_mul_lo_u32 v8, v2, s13
	v_mad_u64_u32 v[6:7], s[0:1], v2, s12, 0
	v_add3_u32 v7, v7, v8, v1
	v_lshl_add_u64 v[4:5], v[4:5], 3, s[14:15]
	v_lshl_add_u64 v[6:7], v[6:7], 3, s[14:15]
	s_mov_b64 s[24:25], 0
	s_mov_b64 s[30:31], s[12:13]
                                        ; implicit-def: $sgpr26_sgpr27
                                        ; implicit-def: $sgpr28_sgpr29
                                        ; implicit-def: $sgpr0_sgpr1
                                        ; implicit-def: $sgpr34_sgpr35
	s_branch .LBB522_42
.LBB522_41:                             ;   in Loop: Header=BB522_42 Depth=1
	s_or_b64 exec, exec, s[38:39]
	s_and_b64 s[2:3], exec, s[28:29]
	s_or_b64 s[24:25], s[2:3], s[24:25]
	s_andn2_b64 s[2:3], s[34:35], exec
	s_and_b64 s[34:35], s[36:37], exec
	s_or_b64 s[34:35], s[2:3], s[34:35]
	s_andn2_b64 s[2:3], s[26:27], exec
	s_and_b64 s[26:27], s[0:1], exec
	s_or_b64 s[26:27], s[2:3], s[26:27]
	s_andn2_b64 exec, exec, s[24:25]
	s_cbranch_execz .LBB522_44
.LBB522_42:                             ; =>This Inner Loop Header: Depth=1
	global_load_dwordx2 v[8:9], v[4:5], off
	global_load_dwordx2 v[10:11], v[6:7], off
	s_andn2_b64 s[38:39], s[0:1], exec
	s_or_b64 s[28:29], s[28:29], exec
	s_waitcnt vmcnt(0)
	v_cmp_le_i64_e64 s[0:1], v[8:9], v[10:11]
	v_cmp_lt_i64_e32 vcc, v[8:9], v[10:11]
	s_and_b64 s[0:1], s[0:1], s[34:35]
	s_or_b64 s[36:37], vcc, s[0:1]
	s_and_b64 s[0:1], s[36:37], exec
	v_cmp_eq_u64_e64 s[2:3], v[8:9], v[10:11]
	s_or_b64 s[0:1], s[38:39], s[0:1]
	s_and_saveexec_b64 s[38:39], s[2:3]
	s_cbranch_execz .LBB522_41
; %bb.43:                               ;   in Loop: Header=BB522_42 Depth=1
	s_add_u32 s30, s30, -1
	s_addc_u32 s31, s31, -1
	s_cmp_eq_u64 s[30:31], 0
	s_cselect_b64 s[2:3], -1, 0
	s_andn2_b64 s[28:29], s[28:29], exec
	s_and_b64 s[2:3], s[2:3], exec
	v_lshl_add_u64 v[4:5], v[4:5], 0, 8
	v_lshl_add_u64 v[6:7], v[6:7], 0, 8
	s_andn2_b64 s[0:1], s[0:1], exec
	s_or_b64 s[28:29], s[28:29], s[2:3]
                                        ; implicit-def: $sgpr34_sgpr35
	s_branch .LBB522_41
.LBB522_44:
	s_or_b64 exec, exec, s[24:25]
	s_xor_b64 s[0:1], s[26:27], -1
	s_branch .LBB522_46
.LBB522_45:
	s_mov_b64 s[0:1], -1
.LBB522_46:
	s_andn2_b64 s[2:3], s[20:21], exec
	s_and_b64 s[0:1], s[0:1], exec
	s_or_b64 s[20:21], s[2:3], s[0:1]
.LBB522_47:
	s_or_b64 exec, exec, s[22:23]
	v_mov_b32_e32 v4, s33
	v_mov_b32_e32 v5, s9
	v_cndmask_b32_e64 v1, v20, v24, s[20:21]
	v_cndmask_b32_e64 v4, v4, v5, s[20:21]
	v_add_u32_e32 v6, 1, v1
	v_add_u32_e32 v1, -1, v4
	v_min_u32_e32 v1, v6, v1
	v_lshlrev_b32_e32 v1, 3, v1
	ds_read_b64 v[4:5], v1
	v_cndmask_b32_e64 v8, v6, v20, s[20:21]
	v_cndmask_b32_e64 v9, v24, v6, s[20:21]
	v_cmp_gt_u32_e32 vcc, s33, v8
	s_mov_b64 s[24:25], -1
	s_waitcnt lgkmcnt(0)
	v_cndmask_b32_e64 v1, v5, v15, s[20:21]
	v_cndmask_b32_e64 v16, v4, v14, s[20:21]
	;; [unrolled: 1-line block ×4, first 2 shown]
	s_mov_b64 s[22:23], -1
	s_and_saveexec_b64 s[26:27], vcc
	s_cbranch_execz .LBB522_58
; %bb.48:
	v_cmp_gt_u32_e32 vcc, s9, v9
	s_mov_b64 s[0:1], 0
	s_and_saveexec_b64 s[22:23], vcc
	s_cbranch_execz .LBB522_57
; %bb.49:
	s_andn2_b64 vcc, exec, s[18:19]
	s_cbranch_vccnz .LBB522_55
; %bb.50:
	v_mul_lo_u32 v6, v1, s12
	v_mul_lo_u32 v7, v16, s13
	v_mad_u64_u32 v[4:5], s[0:1], v16, s12, 0
	v_add3_u32 v5, v5, v7, v6
	v_mul_lo_u32 v10, v17, s12
	v_mul_lo_u32 v11, v19, s13
	v_mad_u64_u32 v[6:7], s[0:1], v19, s12, 0
	v_add3_u32 v7, v7, v11, v10
	v_lshl_add_u64 v[4:5], v[4:5], 3, s[14:15]
	v_lshl_add_u64 v[6:7], v[6:7], 3, s[14:15]
	s_mov_b64 s[28:29], 0
	s_mov_b64 s[36:37], s[12:13]
                                        ; implicit-def: $sgpr30_sgpr31
                                        ; implicit-def: $sgpr34_sgpr35
                                        ; implicit-def: $sgpr0_sgpr1
                                        ; implicit-def: $sgpr38_sgpr39
	s_branch .LBB522_52
.LBB522_51:                             ;   in Loop: Header=BB522_52 Depth=1
	s_or_b64 exec, exec, s[42:43]
	s_and_b64 s[2:3], exec, s[34:35]
	s_or_b64 s[28:29], s[2:3], s[28:29]
	s_andn2_b64 s[2:3], s[38:39], exec
	s_and_b64 s[38:39], s[40:41], exec
	s_or_b64 s[38:39], s[2:3], s[38:39]
	s_andn2_b64 s[2:3], s[30:31], exec
	s_and_b64 s[30:31], s[0:1], exec
	s_or_b64 s[30:31], s[2:3], s[30:31]
	s_andn2_b64 exec, exec, s[28:29]
	s_cbranch_execz .LBB522_54
.LBB522_52:                             ; =>This Inner Loop Header: Depth=1
	global_load_dwordx2 v[10:11], v[4:5], off
	global_load_dwordx2 v[12:13], v[6:7], off
	s_andn2_b64 s[42:43], s[0:1], exec
	s_or_b64 s[34:35], s[34:35], exec
	s_waitcnt vmcnt(0)
	v_cmp_le_i64_e64 s[0:1], v[10:11], v[12:13]
	v_cmp_lt_i64_e32 vcc, v[10:11], v[12:13]
	s_and_b64 s[0:1], s[0:1], s[38:39]
	s_or_b64 s[40:41], vcc, s[0:1]
	s_and_b64 s[0:1], s[40:41], exec
	v_cmp_eq_u64_e64 s[2:3], v[10:11], v[12:13]
	s_or_b64 s[0:1], s[42:43], s[0:1]
	s_and_saveexec_b64 s[42:43], s[2:3]
	s_cbranch_execz .LBB522_51
; %bb.53:                               ;   in Loop: Header=BB522_52 Depth=1
	s_add_u32 s36, s36, -1
	s_addc_u32 s37, s37, -1
	s_cmp_eq_u64 s[36:37], 0
	s_cselect_b64 s[2:3], -1, 0
	s_andn2_b64 s[34:35], s[34:35], exec
	s_and_b64 s[2:3], s[2:3], exec
	v_lshl_add_u64 v[4:5], v[4:5], 0, 8
	v_lshl_add_u64 v[6:7], v[6:7], 0, 8
	s_andn2_b64 s[0:1], s[0:1], exec
	s_or_b64 s[34:35], s[34:35], s[2:3]
                                        ; implicit-def: $sgpr38_sgpr39
	s_branch .LBB522_51
.LBB522_54:
	s_or_b64 exec, exec, s[28:29]
	s_xor_b64 s[0:1], s[30:31], -1
	s_branch .LBB522_56
.LBB522_55:
	s_mov_b64 s[0:1], -1
.LBB522_56:
	s_and_b64 s[0:1], s[0:1], exec
.LBB522_57:
	s_or_b64 exec, exec, s[22:23]
	s_orn2_b64 s[22:23], s[0:1], exec
.LBB522_58:
	s_or_b64 exec, exec, s[26:27]
	v_mov_b32_e32 v5, s33
	v_mov_b32_e32 v6, s9
	v_cndmask_b32_e64 v4, v8, v9, s[22:23]
	v_cndmask_b32_e64 v5, v5, v6, s[22:23]
	v_add_u32_e32 v6, 1, v4
	v_add_u32_e32 v4, -1, v5
	v_min_u32_e32 v4, v6, v4
	v_lshlrev_b32_e32 v4, 3, v4
	ds_read_b64 v[4:5], v4
	v_cndmask_b32_e64 v10, v6, v8, s[22:23]
	v_cndmask_b32_e64 v11, v9, v6, s[22:23]
	v_cmp_gt_u32_e32 vcc, s33, v10
	s_waitcnt lgkmcnt(0)
	v_cndmask_b32_e64 v20, v5, v1, s[22:23]
	v_cndmask_b32_e64 v21, v4, v16, s[22:23]
	;; [unrolled: 1-line block ×4, first 2 shown]
	s_and_saveexec_b64 s[26:27], vcc
	s_cbranch_execz .LBB522_69
; %bb.59:
	v_cmp_gt_u32_e32 vcc, s9, v11
	s_mov_b64 s[0:1], 0
	s_and_saveexec_b64 s[24:25], vcc
	s_cbranch_execz .LBB522_68
; %bb.60:
	s_andn2_b64 vcc, exec, s[18:19]
	s_cbranch_vccnz .LBB522_66
; %bb.61:
	v_mul_lo_u32 v6, v20, s12
	v_mul_lo_u32 v7, v21, s13
	v_mad_u64_u32 v[4:5], s[0:1], v21, s12, 0
	v_add3_u32 v5, v5, v7, v6
	v_mul_lo_u32 v8, v22, s12
	v_mul_lo_u32 v9, v23, s13
	v_mad_u64_u32 v[6:7], s[0:1], v23, s12, 0
	v_add3_u32 v7, v7, v9, v8
	v_lshl_add_u64 v[4:5], v[4:5], 3, s[14:15]
	v_lshl_add_u64 v[6:7], v[6:7], 3, s[14:15]
	s_mov_b64 s[28:29], 0
	s_mov_b64 s[36:37], s[12:13]
                                        ; implicit-def: $sgpr30_sgpr31
                                        ; implicit-def: $sgpr34_sgpr35
                                        ; implicit-def: $sgpr0_sgpr1
                                        ; implicit-def: $sgpr38_sgpr39
	s_branch .LBB522_63
.LBB522_62:                             ;   in Loop: Header=BB522_63 Depth=1
	s_or_b64 exec, exec, s[42:43]
	s_and_b64 s[2:3], exec, s[34:35]
	s_or_b64 s[28:29], s[2:3], s[28:29]
	s_andn2_b64 s[2:3], s[38:39], exec
	s_and_b64 s[38:39], s[40:41], exec
	s_or_b64 s[38:39], s[2:3], s[38:39]
	s_andn2_b64 s[2:3], s[30:31], exec
	s_and_b64 s[30:31], s[0:1], exec
	s_or_b64 s[30:31], s[2:3], s[30:31]
	s_andn2_b64 exec, exec, s[28:29]
	s_cbranch_execz .LBB522_65
.LBB522_63:                             ; =>This Inner Loop Header: Depth=1
	global_load_dwordx2 v[8:9], v[4:5], off
	global_load_dwordx2 v[12:13], v[6:7], off
	s_andn2_b64 s[42:43], s[0:1], exec
	s_or_b64 s[34:35], s[34:35], exec
	s_waitcnt vmcnt(0)
	v_cmp_le_i64_e64 s[0:1], v[8:9], v[12:13]
	v_cmp_lt_i64_e32 vcc, v[8:9], v[12:13]
	s_and_b64 s[0:1], s[0:1], s[38:39]
	s_or_b64 s[40:41], vcc, s[0:1]
	s_and_b64 s[0:1], s[40:41], exec
	v_cmp_eq_u64_e64 s[2:3], v[8:9], v[12:13]
	s_or_b64 s[0:1], s[42:43], s[0:1]
	s_and_saveexec_b64 s[42:43], s[2:3]
	s_cbranch_execz .LBB522_62
; %bb.64:                               ;   in Loop: Header=BB522_63 Depth=1
	s_add_u32 s36, s36, -1
	s_addc_u32 s37, s37, -1
	s_cmp_eq_u64 s[36:37], 0
	s_cselect_b64 s[2:3], -1, 0
	s_andn2_b64 s[34:35], s[34:35], exec
	s_and_b64 s[2:3], s[2:3], exec
	v_lshl_add_u64 v[4:5], v[4:5], 0, 8
	v_lshl_add_u64 v[6:7], v[6:7], 0, 8
	s_andn2_b64 s[0:1], s[0:1], exec
	s_or_b64 s[34:35], s[34:35], s[2:3]
                                        ; implicit-def: $sgpr38_sgpr39
	s_branch .LBB522_62
.LBB522_65:
	s_or_b64 exec, exec, s[28:29]
	s_xor_b64 s[0:1], s[30:31], -1
	s_branch .LBB522_67
.LBB522_66:
	s_mov_b64 s[0:1], -1
.LBB522_67:
	s_and_b64 s[0:1], s[0:1], exec
.LBB522_68:
	s_or_b64 exec, exec, s[24:25]
	s_orn2_b64 s[24:25], s[0:1], exec
.LBB522_69:
	s_or_b64 exec, exec, s[26:27]
	v_mov_b32_e32 v5, s33
	v_mov_b32_e32 v6, s9
	v_cndmask_b32_e64 v4, v10, v11, s[24:25]
	v_cndmask_b32_e64 v5, v5, v6, s[24:25]
	v_add_u32_e32 v6, 1, v4
	v_add_u32_e32 v4, -1, v5
	v_min_u32_e32 v4, v6, v4
	v_lshlrev_b32_e32 v4, 3, v4
	ds_read_b64 v[4:5], v4
	v_cndmask_b32_e64 v12, v6, v10, s[24:25]
	v_cndmask_b32_e64 v13, v11, v6, s[24:25]
	v_cmp_gt_u32_e32 vcc, s33, v12
	s_mov_b64 s[28:29], -1
	s_waitcnt lgkmcnt(0)
	v_cndmask_b32_e64 v8, v5, v20, s[24:25]
	v_cndmask_b32_e64 v24, v4, v21, s[24:25]
	;; [unrolled: 1-line block ×4, first 2 shown]
	s_mov_b64 s[26:27], -1
	s_and_saveexec_b64 s[30:31], vcc
	s_cbranch_execz .LBB522_80
; %bb.70:
	v_cmp_gt_u32_e32 vcc, s9, v13
	s_mov_b64 s[0:1], 0
	s_and_saveexec_b64 s[26:27], vcc
	s_cbranch_execz .LBB522_79
; %bb.71:
	s_andn2_b64 vcc, exec, s[18:19]
	s_cbranch_vccnz .LBB522_77
; %bb.72:
	v_mul_lo_u32 v6, v8, s12
	v_mul_lo_u32 v7, v24, s13
	v_mad_u64_u32 v[4:5], s[0:1], v24, s12, 0
	v_add3_u32 v5, v5, v7, v6
	v_mul_lo_u32 v10, v9, s12
	v_mul_lo_u32 v11, v25, s13
	v_mad_u64_u32 v[6:7], s[0:1], v25, s12, 0
	v_add3_u32 v7, v7, v11, v10
	v_lshl_add_u64 v[4:5], v[4:5], 3, s[14:15]
	v_lshl_add_u64 v[6:7], v[6:7], 3, s[14:15]
	s_mov_b64 s[34:35], 0
	s_mov_b64 s[40:41], s[12:13]
                                        ; implicit-def: $sgpr36_sgpr37
                                        ; implicit-def: $sgpr38_sgpr39
                                        ; implicit-def: $sgpr0_sgpr1
                                        ; implicit-def: $sgpr42_sgpr43
	s_branch .LBB522_74
.LBB522_73:                             ;   in Loop: Header=BB522_74 Depth=1
	s_or_b64 exec, exec, s[46:47]
	s_and_b64 s[2:3], exec, s[38:39]
	s_or_b64 s[34:35], s[2:3], s[34:35]
	s_andn2_b64 s[2:3], s[42:43], exec
	s_and_b64 s[42:43], s[44:45], exec
	s_or_b64 s[42:43], s[2:3], s[42:43]
	s_andn2_b64 s[2:3], s[36:37], exec
	s_and_b64 s[36:37], s[0:1], exec
	s_or_b64 s[36:37], s[2:3], s[36:37]
	s_andn2_b64 exec, exec, s[34:35]
	s_cbranch_execz .LBB522_76
.LBB522_74:                             ; =>This Inner Loop Header: Depth=1
	global_load_dwordx2 v[10:11], v[4:5], off
	global_load_dwordx2 v[26:27], v[6:7], off
	s_andn2_b64 s[46:47], s[0:1], exec
	s_or_b64 s[38:39], s[38:39], exec
	s_waitcnt vmcnt(0)
	v_cmp_le_i64_e64 s[0:1], v[10:11], v[26:27]
	v_cmp_lt_i64_e32 vcc, v[10:11], v[26:27]
	s_and_b64 s[0:1], s[0:1], s[42:43]
	s_or_b64 s[44:45], vcc, s[0:1]
	s_and_b64 s[0:1], s[44:45], exec
	v_cmp_eq_u64_e64 s[2:3], v[10:11], v[26:27]
	s_or_b64 s[0:1], s[46:47], s[0:1]
	s_and_saveexec_b64 s[46:47], s[2:3]
	s_cbranch_execz .LBB522_73
; %bb.75:                               ;   in Loop: Header=BB522_74 Depth=1
	s_add_u32 s40, s40, -1
	s_addc_u32 s41, s41, -1
	s_cmp_eq_u64 s[40:41], 0
	s_cselect_b64 s[2:3], -1, 0
	s_andn2_b64 s[38:39], s[38:39], exec
	s_and_b64 s[2:3], s[2:3], exec
	v_lshl_add_u64 v[4:5], v[4:5], 0, 8
	v_lshl_add_u64 v[6:7], v[6:7], 0, 8
	s_andn2_b64 s[0:1], s[0:1], exec
	s_or_b64 s[38:39], s[38:39], s[2:3]
                                        ; implicit-def: $sgpr42_sgpr43
	s_branch .LBB522_73
.LBB522_76:
	s_or_b64 exec, exec, s[34:35]
	s_xor_b64 s[0:1], s[36:37], -1
	s_branch .LBB522_78
.LBB522_77:
	s_mov_b64 s[0:1], -1
.LBB522_78:
	s_and_b64 s[0:1], s[0:1], exec
.LBB522_79:
	s_or_b64 exec, exec, s[26:27]
	s_orn2_b64 s[26:27], s[0:1], exec
.LBB522_80:
	s_or_b64 exec, exec, s[30:31]
	v_mov_b32_e32 v5, s33
	v_mov_b32_e32 v6, s9
	v_cndmask_b32_e64 v4, v12, v13, s[26:27]
	v_cndmask_b32_e64 v5, v5, v6, s[26:27]
	v_add_u32_e32 v6, 1, v4
	v_add_u32_e32 v4, -1, v5
	v_min_u32_e32 v4, v6, v4
	v_lshlrev_b32_e32 v4, 3, v4
	ds_read_b64 v[4:5], v4
	v_cndmask_b32_e64 v30, v6, v12, s[26:27]
	v_cndmask_b32_e64 v31, v13, v6, s[26:27]
	v_cmp_gt_u32_e32 vcc, s33, v30
	s_waitcnt lgkmcnt(0)
	v_cndmask_b32_e64 v10, v5, v8, s[26:27]
	v_cndmask_b32_e64 v26, v4, v24, s[26:27]
	;; [unrolled: 1-line block ×4, first 2 shown]
	s_and_saveexec_b64 s[30:31], vcc
	s_cbranch_execz .LBB522_91
; %bb.81:
	v_cmp_gt_u32_e32 vcc, s9, v31
	s_mov_b64 s[0:1], 0
	s_and_saveexec_b64 s[28:29], vcc
	s_cbranch_execz .LBB522_90
; %bb.82:
	s_andn2_b64 vcc, exec, s[18:19]
	s_cbranch_vccnz .LBB522_88
; %bb.83:
	v_mul_lo_u32 v6, v10, s12
	v_mul_lo_u32 v7, v26, s13
	v_mad_u64_u32 v[4:5], s[0:1], v26, s12, 0
	v_add3_u32 v5, v5, v7, v6
	v_mul_lo_u32 v12, v11, s12
	v_mul_lo_u32 v13, v27, s13
	v_mad_u64_u32 v[6:7], s[0:1], v27, s12, 0
	v_add3_u32 v7, v7, v13, v12
	v_lshl_add_u64 v[4:5], v[4:5], 3, s[14:15]
	v_lshl_add_u64 v[6:7], v[6:7], 3, s[14:15]
	s_mov_b64 s[34:35], 0
	s_mov_b64 s[40:41], s[12:13]
                                        ; implicit-def: $sgpr36_sgpr37
                                        ; implicit-def: $sgpr38_sgpr39
                                        ; implicit-def: $sgpr0_sgpr1
                                        ; implicit-def: $sgpr42_sgpr43
	s_branch .LBB522_85
.LBB522_84:                             ;   in Loop: Header=BB522_85 Depth=1
	s_or_b64 exec, exec, s[46:47]
	s_and_b64 s[2:3], exec, s[38:39]
	s_or_b64 s[34:35], s[2:3], s[34:35]
	s_andn2_b64 s[2:3], s[42:43], exec
	s_and_b64 s[42:43], s[44:45], exec
	s_or_b64 s[42:43], s[2:3], s[42:43]
	s_andn2_b64 s[2:3], s[36:37], exec
	s_and_b64 s[36:37], s[0:1], exec
	s_or_b64 s[36:37], s[2:3], s[36:37]
	s_andn2_b64 exec, exec, s[34:35]
	s_cbranch_execz .LBB522_87
.LBB522_85:                             ; =>This Inner Loop Header: Depth=1
	global_load_dwordx2 v[12:13], v[4:5], off
	global_load_dwordx2 v[28:29], v[6:7], off
	s_andn2_b64 s[46:47], s[0:1], exec
	s_or_b64 s[38:39], s[38:39], exec
	s_waitcnt vmcnt(0)
	v_cmp_le_i64_e64 s[0:1], v[12:13], v[28:29]
	v_cmp_lt_i64_e32 vcc, v[12:13], v[28:29]
	s_and_b64 s[0:1], s[0:1], s[42:43]
	s_or_b64 s[44:45], vcc, s[0:1]
	s_and_b64 s[0:1], s[44:45], exec
	v_cmp_eq_u64_e64 s[2:3], v[12:13], v[28:29]
	s_or_b64 s[0:1], s[46:47], s[0:1]
	s_and_saveexec_b64 s[46:47], s[2:3]
	s_cbranch_execz .LBB522_84
; %bb.86:                               ;   in Loop: Header=BB522_85 Depth=1
	s_add_u32 s40, s40, -1
	s_addc_u32 s41, s41, -1
	s_cmp_eq_u64 s[40:41], 0
	s_cselect_b64 s[2:3], -1, 0
	s_andn2_b64 s[38:39], s[38:39], exec
	s_and_b64 s[2:3], s[2:3], exec
	v_lshl_add_u64 v[4:5], v[4:5], 0, 8
	v_lshl_add_u64 v[6:7], v[6:7], 0, 8
	s_andn2_b64 s[0:1], s[0:1], exec
	s_or_b64 s[38:39], s[38:39], s[2:3]
                                        ; implicit-def: $sgpr42_sgpr43
	s_branch .LBB522_84
.LBB522_87:
	s_or_b64 exec, exec, s[34:35]
	s_xor_b64 s[0:1], s[36:37], -1
	s_branch .LBB522_89
.LBB522_88:
	s_mov_b64 s[0:1], -1
.LBB522_89:
	s_and_b64 s[0:1], s[0:1], exec
.LBB522_90:
	s_or_b64 exec, exec, s[28:29]
	s_orn2_b64 s[28:29], s[0:1], exec
.LBB522_91:
	s_or_b64 exec, exec, s[30:31]
	v_mov_b32_e32 v5, s33
	v_mov_b32_e32 v6, s9
	v_cndmask_b32_e64 v4, v30, v31, s[28:29]
	v_cndmask_b32_e64 v5, v5, v6, s[28:29]
	v_add_u32_e32 v6, 1, v4
	v_add_u32_e32 v4, -1, v5
	v_min_u32_e32 v4, v6, v4
	v_lshlrev_b32_e32 v4, 3, v4
	ds_read_b64 v[4:5], v4
	v_cndmask_b32_e64 v32, v6, v30, s[28:29]
	v_cndmask_b32_e64 v36, v31, v6, s[28:29]
	v_cmp_gt_u32_e32 vcc, s33, v32
	s_mov_b64 s[30:31], -1
	s_waitcnt lgkmcnt(0)
	v_cndmask_b32_e64 v12, v5, v10, s[28:29]
	v_cndmask_b32_e64 v28, v4, v26, s[28:29]
	;; [unrolled: 1-line block ×4, first 2 shown]
	s_mov_b64 s[34:35], -1
	s_and_saveexec_b64 s[36:37], vcc
	s_cbranch_execz .LBB522_102
; %bb.92:
	v_cmp_gt_u32_e32 vcc, s9, v36
	s_mov_b64 s[0:1], 0
	s_and_saveexec_b64 s[34:35], vcc
	s_cbranch_execz .LBB522_101
; %bb.93:
	s_andn2_b64 vcc, exec, s[18:19]
	s_cbranch_vccnz .LBB522_99
; %bb.94:
	v_mul_lo_u32 v6, v12, s12
	v_mul_lo_u32 v7, v28, s13
	v_mad_u64_u32 v[4:5], s[0:1], v28, s12, 0
	v_add3_u32 v5, v5, v7, v6
	v_mul_lo_u32 v30, v13, s12
	v_mul_lo_u32 v31, v29, s13
	v_mad_u64_u32 v[6:7], s[0:1], v29, s12, 0
	v_add3_u32 v7, v7, v31, v30
	v_lshl_add_u64 v[4:5], v[4:5], 3, s[14:15]
	v_lshl_add_u64 v[6:7], v[6:7], 3, s[14:15]
	s_mov_b64 s[38:39], 0
	s_mov_b64 s[44:45], s[12:13]
                                        ; implicit-def: $sgpr40_sgpr41
                                        ; implicit-def: $sgpr42_sgpr43
                                        ; implicit-def: $sgpr0_sgpr1
                                        ; implicit-def: $sgpr46_sgpr47
	s_branch .LBB522_96
.LBB522_95:                             ;   in Loop: Header=BB522_96 Depth=1
	s_or_b64 exec, exec, s[50:51]
	s_and_b64 s[2:3], exec, s[42:43]
	s_or_b64 s[38:39], s[2:3], s[38:39]
	s_andn2_b64 s[2:3], s[46:47], exec
	s_and_b64 s[46:47], s[48:49], exec
	s_or_b64 s[46:47], s[2:3], s[46:47]
	s_andn2_b64 s[2:3], s[40:41], exec
	s_and_b64 s[40:41], s[0:1], exec
	s_or_b64 s[40:41], s[2:3], s[40:41]
	s_andn2_b64 exec, exec, s[38:39]
	s_cbranch_execz .LBB522_98
.LBB522_96:                             ; =>This Inner Loop Header: Depth=1
	global_load_dwordx2 v[30:31], v[4:5], off
	global_load_dwordx2 v[34:35], v[6:7], off
	s_andn2_b64 s[50:51], s[0:1], exec
	s_or_b64 s[42:43], s[42:43], exec
	s_waitcnt vmcnt(0)
	v_cmp_le_i64_e64 s[0:1], v[30:31], v[34:35]
	v_cmp_lt_i64_e32 vcc, v[30:31], v[34:35]
	s_and_b64 s[0:1], s[0:1], s[46:47]
	s_or_b64 s[48:49], vcc, s[0:1]
	s_and_b64 s[0:1], s[48:49], exec
	v_cmp_eq_u64_e64 s[2:3], v[30:31], v[34:35]
	s_or_b64 s[0:1], s[50:51], s[0:1]
	s_and_saveexec_b64 s[50:51], s[2:3]
	s_cbranch_execz .LBB522_95
; %bb.97:                               ;   in Loop: Header=BB522_96 Depth=1
	s_add_u32 s44, s44, -1
	s_addc_u32 s45, s45, -1
	s_cmp_eq_u64 s[44:45], 0
	s_cselect_b64 s[2:3], -1, 0
	s_andn2_b64 s[42:43], s[42:43], exec
	s_and_b64 s[2:3], s[2:3], exec
	v_lshl_add_u64 v[4:5], v[4:5], 0, 8
	v_lshl_add_u64 v[6:7], v[6:7], 0, 8
	s_andn2_b64 s[0:1], s[0:1], exec
	s_or_b64 s[42:43], s[42:43], s[2:3]
                                        ; implicit-def: $sgpr46_sgpr47
	s_branch .LBB522_95
.LBB522_98:
	s_or_b64 exec, exec, s[38:39]
	s_xor_b64 s[0:1], s[40:41], -1
	s_branch .LBB522_100
.LBB522_99:
	s_mov_b64 s[0:1], -1
.LBB522_100:
	s_and_b64 s[0:1], s[0:1], exec
.LBB522_101:
	s_or_b64 exec, exec, s[34:35]
	s_orn2_b64 s[34:35], s[0:1], exec
.LBB522_102:
	s_or_b64 exec, exec, s[36:37]
	v_mov_b32_e32 v5, s33
	v_mov_b32_e32 v6, s9
	v_cndmask_b32_e64 v4, v32, v36, s[34:35]
	v_cndmask_b32_e64 v5, v5, v6, s[34:35]
	v_add_u32_e32 v6, 1, v4
	v_add_u32_e32 v4, -1, v5
	v_min_u32_e32 v4, v6, v4
	v_lshlrev_b32_e32 v4, 3, v4
	ds_read_b64 v[4:5], v4
	v_cndmask_b32_e64 v33, v6, v32, s[34:35]
	v_cndmask_b32_e64 v32, v36, v6, s[34:35]
	v_cmp_gt_u32_e32 vcc, s33, v33
	s_waitcnt lgkmcnt(0)
	v_cndmask_b32_e64 v30, v5, v12, s[34:35]
	v_cndmask_b32_e64 v31, v4, v28, s[34:35]
	;; [unrolled: 1-line block ×4, first 2 shown]
	s_and_saveexec_b64 s[36:37], vcc
	s_cbranch_execz .LBB522_113
; %bb.103:
	v_cmp_gt_u32_e32 vcc, s9, v32
	s_mov_b64 s[0:1], 0
	s_and_saveexec_b64 s[30:31], vcc
	s_cbranch_execz .LBB522_112
; %bb.104:
	s_andn2_b64 vcc, exec, s[18:19]
	s_cbranch_vccnz .LBB522_110
; %bb.105:
	v_mul_lo_u32 v6, v30, s12
	v_mul_lo_u32 v7, v31, s13
	v_mad_u64_u32 v[4:5], s[0:1], v31, s12, 0
	v_add3_u32 v5, v5, v7, v6
	v_mul_lo_u32 v36, v34, s12
	v_mul_lo_u32 v37, v35, s13
	v_mad_u64_u32 v[6:7], s[0:1], v35, s12, 0
	v_add3_u32 v7, v7, v37, v36
	v_lshl_add_u64 v[4:5], v[4:5], 3, s[14:15]
	v_lshl_add_u64 v[6:7], v[6:7], 3, s[14:15]
	s_mov_b64 s[38:39], 0
	s_mov_b64 s[44:45], s[12:13]
                                        ; implicit-def: $sgpr40_sgpr41
                                        ; implicit-def: $sgpr42_sgpr43
                                        ; implicit-def: $sgpr0_sgpr1
                                        ; implicit-def: $sgpr46_sgpr47
	s_branch .LBB522_107
.LBB522_106:                            ;   in Loop: Header=BB522_107 Depth=1
	s_or_b64 exec, exec, s[50:51]
	s_and_b64 s[2:3], exec, s[42:43]
	s_or_b64 s[38:39], s[2:3], s[38:39]
	s_andn2_b64 s[2:3], s[46:47], exec
	s_and_b64 s[46:47], s[48:49], exec
	s_or_b64 s[46:47], s[2:3], s[46:47]
	s_andn2_b64 s[2:3], s[40:41], exec
	s_and_b64 s[40:41], s[0:1], exec
	s_or_b64 s[40:41], s[2:3], s[40:41]
	s_andn2_b64 exec, exec, s[38:39]
	s_cbranch_execz .LBB522_109
.LBB522_107:                            ; =>This Inner Loop Header: Depth=1
	global_load_dwordx2 v[36:37], v[4:5], off
	global_load_dwordx2 v[38:39], v[6:7], off
	s_andn2_b64 s[50:51], s[0:1], exec
	s_or_b64 s[42:43], s[42:43], exec
	s_waitcnt vmcnt(0)
	v_cmp_le_i64_e64 s[0:1], v[36:37], v[38:39]
	v_cmp_lt_i64_e32 vcc, v[36:37], v[38:39]
	s_and_b64 s[0:1], s[0:1], s[46:47]
	s_or_b64 s[48:49], vcc, s[0:1]
	s_and_b64 s[0:1], s[48:49], exec
	v_cmp_eq_u64_e64 s[2:3], v[36:37], v[38:39]
	s_or_b64 s[0:1], s[50:51], s[0:1]
	s_and_saveexec_b64 s[50:51], s[2:3]
	s_cbranch_execz .LBB522_106
; %bb.108:                              ;   in Loop: Header=BB522_107 Depth=1
	s_add_u32 s44, s44, -1
	s_addc_u32 s45, s45, -1
	s_cmp_eq_u64 s[44:45], 0
	s_cselect_b64 s[2:3], -1, 0
	s_andn2_b64 s[42:43], s[42:43], exec
	s_and_b64 s[2:3], s[2:3], exec
	v_lshl_add_u64 v[4:5], v[4:5], 0, 8
	v_lshl_add_u64 v[6:7], v[6:7], 0, 8
	s_andn2_b64 s[0:1], s[0:1], exec
	s_or_b64 s[42:43], s[42:43], s[2:3]
                                        ; implicit-def: $sgpr46_sgpr47
	s_branch .LBB522_106
.LBB522_109:
	s_or_b64 exec, exec, s[38:39]
	s_xor_b64 s[0:1], s[40:41], -1
	s_branch .LBB522_111
.LBB522_110:
	s_mov_b64 s[0:1], -1
.LBB522_111:
	s_and_b64 s[0:1], s[0:1], exec
.LBB522_112:
	s_or_b64 exec, exec, s[30:31]
	s_orn2_b64 s[30:31], s[0:1], exec
.LBB522_113:
	s_or_b64 exec, exec, s[36:37]
	v_cndmask_b32_e64 v5, v1, v17, s[22:23]
	v_cndmask_b32_e64 v4, v16, v19, s[22:23]
	v_mov_b32_e32 v16, s33
	v_mov_b32_e32 v17, s9
	v_cndmask_b32_e64 v1, v33, v32, s[30:31]
	v_cndmask_b32_e64 v16, v16, v17, s[30:31]
	v_add_u32_e32 v1, 1, v1
	v_add_u32_e32 v16, -1, v16
	v_min_u32_e32 v16, v1, v16
	v_lshlrev_b32_e32 v16, 3, v16
	v_cndmask_b32_e64 v7, v20, v22, s[24:25]
	v_cndmask_b32_e64 v6, v21, v23, s[24:25]
	ds_read_b64 v[20:21], v16
	v_cndmask_b32_e64 v19, v1, v33, s[30:31]
	v_cndmask_b32_e64 v13, v12, v13, s[34:35]
	;; [unrolled: 1-line block ×11, first 2 shown]
	s_waitcnt lgkmcnt(0)
	v_cndmask_b32_e64 v17, v34, v21, s[30:31]
	v_cndmask_b32_e64 v16, v35, v20, s[30:31]
	v_cmp_gt_u32_e32 vcc, s33, v19
	s_and_saveexec_b64 s[20:21], vcc
	s_cbranch_execz .LBB522_123
; %bb.114:
	v_cndmask_b32_e64 v1, v32, v1, s[30:31]
	v_cndmask_b32_e64 v21, v21, v30, s[30:31]
	;; [unrolled: 1-line block ×3, first 2 shown]
	v_cmp_gt_u32_e32 vcc, s9, v1
	s_and_saveexec_b64 s[22:23], vcc
	s_cbranch_execz .LBB522_122
; %bb.115:
	s_andn2_b64 vcc, exec, s[18:19]
	s_cbranch_vccnz .LBB522_121
; %bb.116:
	v_mul_lo_u32 v1, v21, s12
	v_mul_lo_u32 v19, v20, s13
	v_mad_u64_u32 v[22:23], s[0:1], v20, s12, 0
	v_add3_u32 v23, v23, v19, v1
	v_mul_lo_u32 v1, v17, s12
	v_mul_lo_u32 v19, v16, s13
	v_mad_u64_u32 v[24:25], s[0:1], v16, s12, 0
	v_add3_u32 v25, v25, v19, v1
	v_lshl_add_u64 v[22:23], v[22:23], 3, s[14:15]
	v_lshl_add_u64 v[24:25], v[24:25], 3, s[14:15]
	s_mov_b64 s[14:15], 0
                                        ; implicit-def: $sgpr18_sgpr19
                                        ; implicit-def: $sgpr24_sgpr25
                                        ; implicit-def: $sgpr0_sgpr1
                                        ; implicit-def: $sgpr26_sgpr27
	s_branch .LBB522_118
.LBB522_117:                            ;   in Loop: Header=BB522_118 Depth=1
	s_or_b64 exec, exec, s[30:31]
	s_and_b64 s[2:3], exec, s[24:25]
	s_or_b64 s[14:15], s[2:3], s[14:15]
	s_andn2_b64 s[2:3], s[26:27], exec
	s_and_b64 s[26:27], s[28:29], exec
	s_or_b64 s[26:27], s[2:3], s[26:27]
	s_andn2_b64 s[2:3], s[18:19], exec
	s_and_b64 s[18:19], s[0:1], exec
	s_or_b64 s[18:19], s[2:3], s[18:19]
	s_andn2_b64 exec, exec, s[14:15]
	s_cbranch_execz .LBB522_120
.LBB522_118:                            ; =>This Inner Loop Header: Depth=1
	global_load_dwordx2 v[26:27], v[22:23], off
	global_load_dwordx2 v[28:29], v[24:25], off
	s_andn2_b64 s[30:31], s[0:1], exec
	s_or_b64 s[24:25], s[24:25], exec
	s_waitcnt vmcnt(0)
	v_cmp_le_i64_e64 s[0:1], v[26:27], v[28:29]
	v_cmp_lt_i64_e32 vcc, v[26:27], v[28:29]
	s_and_b64 s[0:1], s[0:1], s[26:27]
	s_or_b64 s[28:29], vcc, s[0:1]
	s_and_b64 s[0:1], s[28:29], exec
	v_cmp_eq_u64_e64 s[2:3], v[26:27], v[28:29]
	s_or_b64 s[0:1], s[30:31], s[0:1]
	s_and_saveexec_b64 s[30:31], s[2:3]
	s_cbranch_execz .LBB522_117
; %bb.119:                              ;   in Loop: Header=BB522_118 Depth=1
	s_add_u32 s12, s12, -1
	s_addc_u32 s13, s13, -1
	s_cmp_eq_u64 s[12:13], 0
	s_cselect_b64 s[2:3], -1, 0
	s_andn2_b64 s[24:25], s[24:25], exec
	s_and_b64 s[2:3], s[2:3], exec
	v_lshl_add_u64 v[22:23], v[22:23], 0, 8
	v_lshl_add_u64 v[24:25], v[24:25], 0, 8
	s_andn2_b64 s[0:1], s[0:1], exec
	s_or_b64 s[24:25], s[24:25], s[2:3]
                                        ; implicit-def: $sgpr26_sgpr27
	s_branch .LBB522_117
.LBB522_120:
	s_or_b64 exec, exec, s[14:15]
	v_cndmask_b32_e64 v17, v17, v21, s[18:19]
	v_cndmask_b32_e64 v16, v16, v20, s[18:19]
.LBB522_121:
	v_mov_b64_e32 v[20:21], v[16:17]
.LBB522_122:
	s_or_b64 exec, exec, s[22:23]
	v_mov_b64_e32 v[16:17], v[20:21]
.LBB522_123:
	s_or_b64 exec, exec, s[20:21]
.LBB522_124:
	s_or_b64 exec, exec, s[4:5]
	v_lshrrev_b32_e32 v1, 2, v0
	v_lshlrev_b32_e32 v19, 3, v18
	v_lshl_add_u32 v19, v1, 3, v19
	v_and_b32_e32 v1, 24, v1
	v_or_b32_e32 v23, 0x80, v0
	v_add_u32_e32 v24, v1, v18
	v_lshrrev_b32_e32 v1, 2, v23
	v_and_b32_e32 v1, 56, v1
	v_or_b32_e32 v22, 0x100, v0
	s_barrier
	s_barrier
	ds_write2_b64 v19, v[2:3], v[4:5] offset1:1
	ds_write2_b64 v19, v[6:7], v[8:9] offset0:2 offset1:3
	ds_write2_b64 v19, v[10:11], v[12:13] offset0:4 offset1:5
	ds_write2_b64 v19, v[14:15], v[16:17] offset0:6 offset1:7
	v_add_u32_e32 v4, v1, v18
	v_lshrrev_b32_e32 v1, 2, v22
	v_and_b32_e32 v1, 0x58, v1
	v_or_b32_e32 v21, 0x180, v0
	v_add_u32_e32 v5, v1, v18
	v_lshrrev_b32_e32 v1, 2, v21
	v_and_b32_e32 v1, 0x78, v1
	v_or_b32_e32 v20, 0x200, v0
	;; [unrolled: 4-line block ×4, first 2 shown]
	v_add_u32_e32 v25, v1, v18
	v_lshrrev_b32_e32 v1, 2, v16
	v_and_b32_e32 v1, 0xd8, v1
	s_lshl_b64 s[0:1], s[16:17], 3
	v_add_u32_e32 v26, v1, v18
	v_or_b32_e32 v1, 0x380, v0
	s_add_u32 s0, s6, s0
	v_lshrrev_b32_e32 v2, 2, v1
	s_addc_u32 s1, s7, s1
	v_and_b32_e32 v2, 0xf8, v2
	v_mov_b32_e32 v19, 0
	v_add_u32_e32 v27, v2, v18
	v_lshl_add_u64 v[2:3], s[0:1], 0, v[18:19]
	s_and_b64 vcc, exec, s[10:11]
	s_waitcnt lgkmcnt(0)
	s_cbranch_vccz .LBB522_126
; %bb.125:
	s_barrier
	ds_read_b64 v[8:9], v24
	ds_read_b64 v[10:11], v4 offset:1024
	ds_read_b64 v[12:13], v5 offset:2048
	;; [unrolled: 1-line block ×7, first 2 shown]
	s_waitcnt lgkmcnt(7)
	global_store_dwordx2 v[2:3], v[8:9], off
	s_waitcnt lgkmcnt(6)
	global_store_dwordx2 v[2:3], v[10:11], off offset:1024
	s_waitcnt lgkmcnt(5)
	global_store_dwordx2 v[2:3], v[12:13], off offset:2048
	;; [unrolled: 2-line block ×3, first 2 shown]
	v_add_co_u32_e32 v8, vcc, 0x1000, v2
	s_nop 1
	v_addc_co_u32_e32 v9, vcc, 0, v3, vcc
	s_waitcnt lgkmcnt(3)
	global_store_dwordx2 v[8:9], v[28:29], off
	s_waitcnt lgkmcnt(2)
	global_store_dwordx2 v[8:9], v[30:31], off offset:1024
	s_waitcnt lgkmcnt(1)
	global_store_dwordx2 v[8:9], v[32:33], off offset:2048
	s_mov_b64 s[0:1], -1
	s_cbranch_execz .LBB522_127
	s_branch .LBB522_136
.LBB522_126:
	s_mov_b64 s[0:1], 0
                                        ; implicit-def: $vgpr18_vgpr19
.LBB522_127:
	s_barrier
	s_waitcnt lgkmcnt(0)
	ds_read_b64 v[14:15], v4 offset:1024
	ds_read_b64 v[12:13], v5 offset:2048
	;; [unrolled: 1-line block ×7, first 2 shown]
	s_sub_i32 s2, s8, s16
	v_cmp_gt_u32_e32 vcc, s2, v0
	s_and_saveexec_b64 s[0:1], vcc
	s_cbranch_execnz .LBB522_139
; %bb.128:
	s_or_b64 exec, exec, s[0:1]
	v_cmp_gt_u32_e32 vcc, s2, v23
	s_and_saveexec_b64 s[0:1], vcc
	s_cbranch_execnz .LBB522_140
.LBB522_129:
	s_or_b64 exec, exec, s[0:1]
	v_cmp_gt_u32_e32 vcc, s2, v22
	s_and_saveexec_b64 s[0:1], vcc
	s_cbranch_execnz .LBB522_141
.LBB522_130:
	s_or_b64 exec, exec, s[0:1]
	v_cmp_gt_u32_e32 vcc, s2, v21
	s_and_saveexec_b64 s[0:1], vcc
	s_cbranch_execnz .LBB522_142
.LBB522_131:
	s_or_b64 exec, exec, s[0:1]
	v_cmp_gt_u32_e32 vcc, s2, v20
	s_and_saveexec_b64 s[0:1], vcc
	s_cbranch_execnz .LBB522_143
.LBB522_132:
	s_or_b64 exec, exec, s[0:1]
	v_cmp_gt_u32_e32 vcc, s2, v17
	s_and_saveexec_b64 s[0:1], vcc
	s_cbranch_execnz .LBB522_144
.LBB522_133:
	s_or_b64 exec, exec, s[0:1]
	v_cmp_gt_u32_e32 vcc, s2, v16
	s_and_saveexec_b64 s[0:1], vcc
	s_cbranch_execz .LBB522_135
.LBB522_134:
	s_waitcnt lgkmcnt(2)
	v_add_co_u32_e32 v6, vcc, 0x1000, v2
	s_nop 1
	v_addc_co_u32_e32 v7, vcc, 0, v3, vcc
	s_waitcnt lgkmcnt(1)
	global_store_dwordx2 v[6:7], v[4:5], off offset:2048
.LBB522_135:
	s_or_b64 exec, exec, s[0:1]
	v_cmp_gt_u32_e64 s[0:1], s2, v1
.LBB522_136:
	s_and_saveexec_b64 s[2:3], s[0:1]
	s_cbranch_execz .LBB522_138
; %bb.137:
	v_add_co_u32_e32 v0, vcc, 0x1000, v2
	s_nop 1
	v_addc_co_u32_e32 v1, vcc, 0, v3, vcc
	s_waitcnt lgkmcnt(0)
	global_store_dwordx2 v[0:1], v[18:19], off offset:3072
.LBB522_138:
	s_endpgm
.LBB522_139:
	ds_read_b64 v[24:25], v24
	s_waitcnt lgkmcnt(0)
	global_store_dwordx2 v[2:3], v[24:25], off
	s_or_b64 exec, exec, s[0:1]
	v_cmp_gt_u32_e32 vcc, s2, v23
	s_and_saveexec_b64 s[0:1], vcc
	s_cbranch_execz .LBB522_129
.LBB522_140:
	s_waitcnt lgkmcnt(6)
	global_store_dwordx2 v[2:3], v[14:15], off offset:1024
	s_or_b64 exec, exec, s[0:1]
	v_cmp_gt_u32_e32 vcc, s2, v22
	s_and_saveexec_b64 s[0:1], vcc
	s_cbranch_execz .LBB522_130
.LBB522_141:
	s_waitcnt lgkmcnt(5)
	global_store_dwordx2 v[2:3], v[12:13], off offset:2048
	s_or_b64 exec, exec, s[0:1]
	v_cmp_gt_u32_e32 vcc, s2, v21
	s_and_saveexec_b64 s[0:1], vcc
	s_cbranch_execz .LBB522_131
.LBB522_142:
	s_waitcnt lgkmcnt(4)
	global_store_dwordx2 v[2:3], v[10:11], off offset:3072
	s_or_b64 exec, exec, s[0:1]
	v_cmp_gt_u32_e32 vcc, s2, v20
	s_and_saveexec_b64 s[0:1], vcc
	s_cbranch_execz .LBB522_132
.LBB522_143:
	s_waitcnt lgkmcnt(4)
	v_add_co_u32_e32 v10, vcc, 0x1000, v2
	s_nop 1
	v_addc_co_u32_e32 v11, vcc, 0, v3, vcc
	s_waitcnt lgkmcnt(3)
	global_store_dwordx2 v[10:11], v[8:9], off
	s_or_b64 exec, exec, s[0:1]
	v_cmp_gt_u32_e32 vcc, s2, v17
	s_and_saveexec_b64 s[0:1], vcc
	s_cbranch_execz .LBB522_133
.LBB522_144:
	s_waitcnt lgkmcnt(3)
	v_add_co_u32_e32 v8, vcc, 0x1000, v2
	s_nop 1
	v_addc_co_u32_e32 v9, vcc, 0, v3, vcc
	s_waitcnt lgkmcnt(2)
	global_store_dwordx2 v[8:9], v[6:7], off offset:1024
	s_or_b64 exec, exec, s[0:1]
	v_cmp_gt_u32_e32 vcc, s2, v16
	s_and_saveexec_b64 s[0:1], vcc
	s_cbranch_execnz .LBB522_134
	s_branch .LBB522_135
	.section	.rodata,"a",@progbits
	.p2align	6, 0x0
	.amdhsa_kernel _ZN7rocprim17ROCPRIM_400000_NS6detail17trampoline_kernelINS0_14default_configENS1_38merge_sort_block_merge_config_selectorIlNS0_10empty_typeEEEZZNS1_27merge_sort_block_merge_implIS3_PlPS5_mZN2at6native12_GLOBAL__N_124unique_dim_cuda_templateIlEESt5tupleIJNSA_6TensorESF_SF_EERKSF_lbbbEUlllE_EE10hipError_tT0_T1_T2_jT3_P12ihipStream_tbPNSt15iterator_traitsISL_E10value_typeEPNSR_ISM_E10value_typeEPSN_NS1_7vsmem_tEENKUlT_SL_SM_SN_E_clIS8_S8_S9_S9_EESK_S10_SL_SM_SN_EUlS10_E0_NS1_11comp_targetILNS1_3genE0ELNS1_11target_archE4294967295ELNS1_3gpuE0ELNS1_3repE0EEENS1_38merge_mergepath_config_static_selectorELNS0_4arch9wavefront6targetE1EEEvSM_
		.amdhsa_group_segment_fixed_size 8448
		.amdhsa_private_segment_fixed_size 0
		.amdhsa_kernarg_size 344
		.amdhsa_user_sgpr_count 2
		.amdhsa_user_sgpr_dispatch_ptr 0
		.amdhsa_user_sgpr_queue_ptr 0
		.amdhsa_user_sgpr_kernarg_segment_ptr 1
		.amdhsa_user_sgpr_dispatch_id 0
		.amdhsa_user_sgpr_kernarg_preload_length 0
		.amdhsa_user_sgpr_kernarg_preload_offset 0
		.amdhsa_user_sgpr_private_segment_size 0
		.amdhsa_uses_dynamic_stack 0
		.amdhsa_enable_private_segment 0
		.amdhsa_system_sgpr_workgroup_id_x 1
		.amdhsa_system_sgpr_workgroup_id_y 1
		.amdhsa_system_sgpr_workgroup_id_z 1
		.amdhsa_system_sgpr_workgroup_info 0
		.amdhsa_system_vgpr_workitem_id 0
		.amdhsa_next_free_vgpr 40
		.amdhsa_next_free_sgpr 52
		.amdhsa_accum_offset 40
		.amdhsa_reserve_vcc 1
		.amdhsa_float_round_mode_32 0
		.amdhsa_float_round_mode_16_64 0
		.amdhsa_float_denorm_mode_32 3
		.amdhsa_float_denorm_mode_16_64 3
		.amdhsa_dx10_clamp 1
		.amdhsa_ieee_mode 1
		.amdhsa_fp16_overflow 0
		.amdhsa_tg_split 0
		.amdhsa_exception_fp_ieee_invalid_op 0
		.amdhsa_exception_fp_denorm_src 0
		.amdhsa_exception_fp_ieee_div_zero 0
		.amdhsa_exception_fp_ieee_overflow 0
		.amdhsa_exception_fp_ieee_underflow 0
		.amdhsa_exception_fp_ieee_inexact 0
		.amdhsa_exception_int_div_zero 0
	.end_amdhsa_kernel
	.section	.text._ZN7rocprim17ROCPRIM_400000_NS6detail17trampoline_kernelINS0_14default_configENS1_38merge_sort_block_merge_config_selectorIlNS0_10empty_typeEEEZZNS1_27merge_sort_block_merge_implIS3_PlPS5_mZN2at6native12_GLOBAL__N_124unique_dim_cuda_templateIlEESt5tupleIJNSA_6TensorESF_SF_EERKSF_lbbbEUlllE_EE10hipError_tT0_T1_T2_jT3_P12ihipStream_tbPNSt15iterator_traitsISL_E10value_typeEPNSR_ISM_E10value_typeEPSN_NS1_7vsmem_tEENKUlT_SL_SM_SN_E_clIS8_S8_S9_S9_EESK_S10_SL_SM_SN_EUlS10_E0_NS1_11comp_targetILNS1_3genE0ELNS1_11target_archE4294967295ELNS1_3gpuE0ELNS1_3repE0EEENS1_38merge_mergepath_config_static_selectorELNS0_4arch9wavefront6targetE1EEEvSM_,"axG",@progbits,_ZN7rocprim17ROCPRIM_400000_NS6detail17trampoline_kernelINS0_14default_configENS1_38merge_sort_block_merge_config_selectorIlNS0_10empty_typeEEEZZNS1_27merge_sort_block_merge_implIS3_PlPS5_mZN2at6native12_GLOBAL__N_124unique_dim_cuda_templateIlEESt5tupleIJNSA_6TensorESF_SF_EERKSF_lbbbEUlllE_EE10hipError_tT0_T1_T2_jT3_P12ihipStream_tbPNSt15iterator_traitsISL_E10value_typeEPNSR_ISM_E10value_typeEPSN_NS1_7vsmem_tEENKUlT_SL_SM_SN_E_clIS8_S8_S9_S9_EESK_S10_SL_SM_SN_EUlS10_E0_NS1_11comp_targetILNS1_3genE0ELNS1_11target_archE4294967295ELNS1_3gpuE0ELNS1_3repE0EEENS1_38merge_mergepath_config_static_selectorELNS0_4arch9wavefront6targetE1EEEvSM_,comdat
.Lfunc_end522:
	.size	_ZN7rocprim17ROCPRIM_400000_NS6detail17trampoline_kernelINS0_14default_configENS1_38merge_sort_block_merge_config_selectorIlNS0_10empty_typeEEEZZNS1_27merge_sort_block_merge_implIS3_PlPS5_mZN2at6native12_GLOBAL__N_124unique_dim_cuda_templateIlEESt5tupleIJNSA_6TensorESF_SF_EERKSF_lbbbEUlllE_EE10hipError_tT0_T1_T2_jT3_P12ihipStream_tbPNSt15iterator_traitsISL_E10value_typeEPNSR_ISM_E10value_typeEPSN_NS1_7vsmem_tEENKUlT_SL_SM_SN_E_clIS8_S8_S9_S9_EESK_S10_SL_SM_SN_EUlS10_E0_NS1_11comp_targetILNS1_3genE0ELNS1_11target_archE4294967295ELNS1_3gpuE0ELNS1_3repE0EEENS1_38merge_mergepath_config_static_selectorELNS0_4arch9wavefront6targetE1EEEvSM_, .Lfunc_end522-_ZN7rocprim17ROCPRIM_400000_NS6detail17trampoline_kernelINS0_14default_configENS1_38merge_sort_block_merge_config_selectorIlNS0_10empty_typeEEEZZNS1_27merge_sort_block_merge_implIS3_PlPS5_mZN2at6native12_GLOBAL__N_124unique_dim_cuda_templateIlEESt5tupleIJNSA_6TensorESF_SF_EERKSF_lbbbEUlllE_EE10hipError_tT0_T1_T2_jT3_P12ihipStream_tbPNSt15iterator_traitsISL_E10value_typeEPNSR_ISM_E10value_typeEPSN_NS1_7vsmem_tEENKUlT_SL_SM_SN_E_clIS8_S8_S9_S9_EESK_S10_SL_SM_SN_EUlS10_E0_NS1_11comp_targetILNS1_3genE0ELNS1_11target_archE4294967295ELNS1_3gpuE0ELNS1_3repE0EEENS1_38merge_mergepath_config_static_selectorELNS0_4arch9wavefront6targetE1EEEvSM_
                                        ; -- End function
	.set _ZN7rocprim17ROCPRIM_400000_NS6detail17trampoline_kernelINS0_14default_configENS1_38merge_sort_block_merge_config_selectorIlNS0_10empty_typeEEEZZNS1_27merge_sort_block_merge_implIS3_PlPS5_mZN2at6native12_GLOBAL__N_124unique_dim_cuda_templateIlEESt5tupleIJNSA_6TensorESF_SF_EERKSF_lbbbEUlllE_EE10hipError_tT0_T1_T2_jT3_P12ihipStream_tbPNSt15iterator_traitsISL_E10value_typeEPNSR_ISM_E10value_typeEPSN_NS1_7vsmem_tEENKUlT_SL_SM_SN_E_clIS8_S8_S9_S9_EESK_S10_SL_SM_SN_EUlS10_E0_NS1_11comp_targetILNS1_3genE0ELNS1_11target_archE4294967295ELNS1_3gpuE0ELNS1_3repE0EEENS1_38merge_mergepath_config_static_selectorELNS0_4arch9wavefront6targetE1EEEvSM_.num_vgpr, 40
	.set _ZN7rocprim17ROCPRIM_400000_NS6detail17trampoline_kernelINS0_14default_configENS1_38merge_sort_block_merge_config_selectorIlNS0_10empty_typeEEEZZNS1_27merge_sort_block_merge_implIS3_PlPS5_mZN2at6native12_GLOBAL__N_124unique_dim_cuda_templateIlEESt5tupleIJNSA_6TensorESF_SF_EERKSF_lbbbEUlllE_EE10hipError_tT0_T1_T2_jT3_P12ihipStream_tbPNSt15iterator_traitsISL_E10value_typeEPNSR_ISM_E10value_typeEPSN_NS1_7vsmem_tEENKUlT_SL_SM_SN_E_clIS8_S8_S9_S9_EESK_S10_SL_SM_SN_EUlS10_E0_NS1_11comp_targetILNS1_3genE0ELNS1_11target_archE4294967295ELNS1_3gpuE0ELNS1_3repE0EEENS1_38merge_mergepath_config_static_selectorELNS0_4arch9wavefront6targetE1EEEvSM_.num_agpr, 0
	.set _ZN7rocprim17ROCPRIM_400000_NS6detail17trampoline_kernelINS0_14default_configENS1_38merge_sort_block_merge_config_selectorIlNS0_10empty_typeEEEZZNS1_27merge_sort_block_merge_implIS3_PlPS5_mZN2at6native12_GLOBAL__N_124unique_dim_cuda_templateIlEESt5tupleIJNSA_6TensorESF_SF_EERKSF_lbbbEUlllE_EE10hipError_tT0_T1_T2_jT3_P12ihipStream_tbPNSt15iterator_traitsISL_E10value_typeEPNSR_ISM_E10value_typeEPSN_NS1_7vsmem_tEENKUlT_SL_SM_SN_E_clIS8_S8_S9_S9_EESK_S10_SL_SM_SN_EUlS10_E0_NS1_11comp_targetILNS1_3genE0ELNS1_11target_archE4294967295ELNS1_3gpuE0ELNS1_3repE0EEENS1_38merge_mergepath_config_static_selectorELNS0_4arch9wavefront6targetE1EEEvSM_.numbered_sgpr, 52
	.set _ZN7rocprim17ROCPRIM_400000_NS6detail17trampoline_kernelINS0_14default_configENS1_38merge_sort_block_merge_config_selectorIlNS0_10empty_typeEEEZZNS1_27merge_sort_block_merge_implIS3_PlPS5_mZN2at6native12_GLOBAL__N_124unique_dim_cuda_templateIlEESt5tupleIJNSA_6TensorESF_SF_EERKSF_lbbbEUlllE_EE10hipError_tT0_T1_T2_jT3_P12ihipStream_tbPNSt15iterator_traitsISL_E10value_typeEPNSR_ISM_E10value_typeEPSN_NS1_7vsmem_tEENKUlT_SL_SM_SN_E_clIS8_S8_S9_S9_EESK_S10_SL_SM_SN_EUlS10_E0_NS1_11comp_targetILNS1_3genE0ELNS1_11target_archE4294967295ELNS1_3gpuE0ELNS1_3repE0EEENS1_38merge_mergepath_config_static_selectorELNS0_4arch9wavefront6targetE1EEEvSM_.num_named_barrier, 0
	.set _ZN7rocprim17ROCPRIM_400000_NS6detail17trampoline_kernelINS0_14default_configENS1_38merge_sort_block_merge_config_selectorIlNS0_10empty_typeEEEZZNS1_27merge_sort_block_merge_implIS3_PlPS5_mZN2at6native12_GLOBAL__N_124unique_dim_cuda_templateIlEESt5tupleIJNSA_6TensorESF_SF_EERKSF_lbbbEUlllE_EE10hipError_tT0_T1_T2_jT3_P12ihipStream_tbPNSt15iterator_traitsISL_E10value_typeEPNSR_ISM_E10value_typeEPSN_NS1_7vsmem_tEENKUlT_SL_SM_SN_E_clIS8_S8_S9_S9_EESK_S10_SL_SM_SN_EUlS10_E0_NS1_11comp_targetILNS1_3genE0ELNS1_11target_archE4294967295ELNS1_3gpuE0ELNS1_3repE0EEENS1_38merge_mergepath_config_static_selectorELNS0_4arch9wavefront6targetE1EEEvSM_.private_seg_size, 0
	.set _ZN7rocprim17ROCPRIM_400000_NS6detail17trampoline_kernelINS0_14default_configENS1_38merge_sort_block_merge_config_selectorIlNS0_10empty_typeEEEZZNS1_27merge_sort_block_merge_implIS3_PlPS5_mZN2at6native12_GLOBAL__N_124unique_dim_cuda_templateIlEESt5tupleIJNSA_6TensorESF_SF_EERKSF_lbbbEUlllE_EE10hipError_tT0_T1_T2_jT3_P12ihipStream_tbPNSt15iterator_traitsISL_E10value_typeEPNSR_ISM_E10value_typeEPSN_NS1_7vsmem_tEENKUlT_SL_SM_SN_E_clIS8_S8_S9_S9_EESK_S10_SL_SM_SN_EUlS10_E0_NS1_11comp_targetILNS1_3genE0ELNS1_11target_archE4294967295ELNS1_3gpuE0ELNS1_3repE0EEENS1_38merge_mergepath_config_static_selectorELNS0_4arch9wavefront6targetE1EEEvSM_.uses_vcc, 1
	.set _ZN7rocprim17ROCPRIM_400000_NS6detail17trampoline_kernelINS0_14default_configENS1_38merge_sort_block_merge_config_selectorIlNS0_10empty_typeEEEZZNS1_27merge_sort_block_merge_implIS3_PlPS5_mZN2at6native12_GLOBAL__N_124unique_dim_cuda_templateIlEESt5tupleIJNSA_6TensorESF_SF_EERKSF_lbbbEUlllE_EE10hipError_tT0_T1_T2_jT3_P12ihipStream_tbPNSt15iterator_traitsISL_E10value_typeEPNSR_ISM_E10value_typeEPSN_NS1_7vsmem_tEENKUlT_SL_SM_SN_E_clIS8_S8_S9_S9_EESK_S10_SL_SM_SN_EUlS10_E0_NS1_11comp_targetILNS1_3genE0ELNS1_11target_archE4294967295ELNS1_3gpuE0ELNS1_3repE0EEENS1_38merge_mergepath_config_static_selectorELNS0_4arch9wavefront6targetE1EEEvSM_.uses_flat_scratch, 0
	.set _ZN7rocprim17ROCPRIM_400000_NS6detail17trampoline_kernelINS0_14default_configENS1_38merge_sort_block_merge_config_selectorIlNS0_10empty_typeEEEZZNS1_27merge_sort_block_merge_implIS3_PlPS5_mZN2at6native12_GLOBAL__N_124unique_dim_cuda_templateIlEESt5tupleIJNSA_6TensorESF_SF_EERKSF_lbbbEUlllE_EE10hipError_tT0_T1_T2_jT3_P12ihipStream_tbPNSt15iterator_traitsISL_E10value_typeEPNSR_ISM_E10value_typeEPSN_NS1_7vsmem_tEENKUlT_SL_SM_SN_E_clIS8_S8_S9_S9_EESK_S10_SL_SM_SN_EUlS10_E0_NS1_11comp_targetILNS1_3genE0ELNS1_11target_archE4294967295ELNS1_3gpuE0ELNS1_3repE0EEENS1_38merge_mergepath_config_static_selectorELNS0_4arch9wavefront6targetE1EEEvSM_.has_dyn_sized_stack, 0
	.set _ZN7rocprim17ROCPRIM_400000_NS6detail17trampoline_kernelINS0_14default_configENS1_38merge_sort_block_merge_config_selectorIlNS0_10empty_typeEEEZZNS1_27merge_sort_block_merge_implIS3_PlPS5_mZN2at6native12_GLOBAL__N_124unique_dim_cuda_templateIlEESt5tupleIJNSA_6TensorESF_SF_EERKSF_lbbbEUlllE_EE10hipError_tT0_T1_T2_jT3_P12ihipStream_tbPNSt15iterator_traitsISL_E10value_typeEPNSR_ISM_E10value_typeEPSN_NS1_7vsmem_tEENKUlT_SL_SM_SN_E_clIS8_S8_S9_S9_EESK_S10_SL_SM_SN_EUlS10_E0_NS1_11comp_targetILNS1_3genE0ELNS1_11target_archE4294967295ELNS1_3gpuE0ELNS1_3repE0EEENS1_38merge_mergepath_config_static_selectorELNS0_4arch9wavefront6targetE1EEEvSM_.has_recursion, 0
	.set _ZN7rocprim17ROCPRIM_400000_NS6detail17trampoline_kernelINS0_14default_configENS1_38merge_sort_block_merge_config_selectorIlNS0_10empty_typeEEEZZNS1_27merge_sort_block_merge_implIS3_PlPS5_mZN2at6native12_GLOBAL__N_124unique_dim_cuda_templateIlEESt5tupleIJNSA_6TensorESF_SF_EERKSF_lbbbEUlllE_EE10hipError_tT0_T1_T2_jT3_P12ihipStream_tbPNSt15iterator_traitsISL_E10value_typeEPNSR_ISM_E10value_typeEPSN_NS1_7vsmem_tEENKUlT_SL_SM_SN_E_clIS8_S8_S9_S9_EESK_S10_SL_SM_SN_EUlS10_E0_NS1_11comp_targetILNS1_3genE0ELNS1_11target_archE4294967295ELNS1_3gpuE0ELNS1_3repE0EEENS1_38merge_mergepath_config_static_selectorELNS0_4arch9wavefront6targetE1EEEvSM_.has_indirect_call, 0
	.section	.AMDGPU.csdata,"",@progbits
; Kernel info:
; codeLenInByte = 6496
; TotalNumSgprs: 58
; NumVgprs: 40
; NumAgprs: 0
; TotalNumVgprs: 40
; ScratchSize: 0
; MemoryBound: 0
; FloatMode: 240
; IeeeMode: 1
; LDSByteSize: 8448 bytes/workgroup (compile time only)
; SGPRBlocks: 7
; VGPRBlocks: 4
; NumSGPRsForWavesPerEU: 58
; NumVGPRsForWavesPerEU: 40
; AccumOffset: 40
; Occupancy: 8
; WaveLimiterHint : 1
; COMPUTE_PGM_RSRC2:SCRATCH_EN: 0
; COMPUTE_PGM_RSRC2:USER_SGPR: 2
; COMPUTE_PGM_RSRC2:TRAP_HANDLER: 0
; COMPUTE_PGM_RSRC2:TGID_X_EN: 1
; COMPUTE_PGM_RSRC2:TGID_Y_EN: 1
; COMPUTE_PGM_RSRC2:TGID_Z_EN: 1
; COMPUTE_PGM_RSRC2:TIDIG_COMP_CNT: 0
; COMPUTE_PGM_RSRC3_GFX90A:ACCUM_OFFSET: 9
; COMPUTE_PGM_RSRC3_GFX90A:TG_SPLIT: 0
	.section	.text._ZN7rocprim17ROCPRIM_400000_NS6detail17trampoline_kernelINS0_14default_configENS1_38merge_sort_block_merge_config_selectorIlNS0_10empty_typeEEEZZNS1_27merge_sort_block_merge_implIS3_PlPS5_mZN2at6native12_GLOBAL__N_124unique_dim_cuda_templateIlEESt5tupleIJNSA_6TensorESF_SF_EERKSF_lbbbEUlllE_EE10hipError_tT0_T1_T2_jT3_P12ihipStream_tbPNSt15iterator_traitsISL_E10value_typeEPNSR_ISM_E10value_typeEPSN_NS1_7vsmem_tEENKUlT_SL_SM_SN_E_clIS8_S8_S9_S9_EESK_S10_SL_SM_SN_EUlS10_E0_NS1_11comp_targetILNS1_3genE10ELNS1_11target_archE1201ELNS1_3gpuE5ELNS1_3repE0EEENS1_38merge_mergepath_config_static_selectorELNS0_4arch9wavefront6targetE1EEEvSM_,"axG",@progbits,_ZN7rocprim17ROCPRIM_400000_NS6detail17trampoline_kernelINS0_14default_configENS1_38merge_sort_block_merge_config_selectorIlNS0_10empty_typeEEEZZNS1_27merge_sort_block_merge_implIS3_PlPS5_mZN2at6native12_GLOBAL__N_124unique_dim_cuda_templateIlEESt5tupleIJNSA_6TensorESF_SF_EERKSF_lbbbEUlllE_EE10hipError_tT0_T1_T2_jT3_P12ihipStream_tbPNSt15iterator_traitsISL_E10value_typeEPNSR_ISM_E10value_typeEPSN_NS1_7vsmem_tEENKUlT_SL_SM_SN_E_clIS8_S8_S9_S9_EESK_S10_SL_SM_SN_EUlS10_E0_NS1_11comp_targetILNS1_3genE10ELNS1_11target_archE1201ELNS1_3gpuE5ELNS1_3repE0EEENS1_38merge_mergepath_config_static_selectorELNS0_4arch9wavefront6targetE1EEEvSM_,comdat
	.globl	_ZN7rocprim17ROCPRIM_400000_NS6detail17trampoline_kernelINS0_14default_configENS1_38merge_sort_block_merge_config_selectorIlNS0_10empty_typeEEEZZNS1_27merge_sort_block_merge_implIS3_PlPS5_mZN2at6native12_GLOBAL__N_124unique_dim_cuda_templateIlEESt5tupleIJNSA_6TensorESF_SF_EERKSF_lbbbEUlllE_EE10hipError_tT0_T1_T2_jT3_P12ihipStream_tbPNSt15iterator_traitsISL_E10value_typeEPNSR_ISM_E10value_typeEPSN_NS1_7vsmem_tEENKUlT_SL_SM_SN_E_clIS8_S8_S9_S9_EESK_S10_SL_SM_SN_EUlS10_E0_NS1_11comp_targetILNS1_3genE10ELNS1_11target_archE1201ELNS1_3gpuE5ELNS1_3repE0EEENS1_38merge_mergepath_config_static_selectorELNS0_4arch9wavefront6targetE1EEEvSM_ ; -- Begin function _ZN7rocprim17ROCPRIM_400000_NS6detail17trampoline_kernelINS0_14default_configENS1_38merge_sort_block_merge_config_selectorIlNS0_10empty_typeEEEZZNS1_27merge_sort_block_merge_implIS3_PlPS5_mZN2at6native12_GLOBAL__N_124unique_dim_cuda_templateIlEESt5tupleIJNSA_6TensorESF_SF_EERKSF_lbbbEUlllE_EE10hipError_tT0_T1_T2_jT3_P12ihipStream_tbPNSt15iterator_traitsISL_E10value_typeEPNSR_ISM_E10value_typeEPSN_NS1_7vsmem_tEENKUlT_SL_SM_SN_E_clIS8_S8_S9_S9_EESK_S10_SL_SM_SN_EUlS10_E0_NS1_11comp_targetILNS1_3genE10ELNS1_11target_archE1201ELNS1_3gpuE5ELNS1_3repE0EEENS1_38merge_mergepath_config_static_selectorELNS0_4arch9wavefront6targetE1EEEvSM_
	.p2align	8
	.type	_ZN7rocprim17ROCPRIM_400000_NS6detail17trampoline_kernelINS0_14default_configENS1_38merge_sort_block_merge_config_selectorIlNS0_10empty_typeEEEZZNS1_27merge_sort_block_merge_implIS3_PlPS5_mZN2at6native12_GLOBAL__N_124unique_dim_cuda_templateIlEESt5tupleIJNSA_6TensorESF_SF_EERKSF_lbbbEUlllE_EE10hipError_tT0_T1_T2_jT3_P12ihipStream_tbPNSt15iterator_traitsISL_E10value_typeEPNSR_ISM_E10value_typeEPSN_NS1_7vsmem_tEENKUlT_SL_SM_SN_E_clIS8_S8_S9_S9_EESK_S10_SL_SM_SN_EUlS10_E0_NS1_11comp_targetILNS1_3genE10ELNS1_11target_archE1201ELNS1_3gpuE5ELNS1_3repE0EEENS1_38merge_mergepath_config_static_selectorELNS0_4arch9wavefront6targetE1EEEvSM_,@function
_ZN7rocprim17ROCPRIM_400000_NS6detail17trampoline_kernelINS0_14default_configENS1_38merge_sort_block_merge_config_selectorIlNS0_10empty_typeEEEZZNS1_27merge_sort_block_merge_implIS3_PlPS5_mZN2at6native12_GLOBAL__N_124unique_dim_cuda_templateIlEESt5tupleIJNSA_6TensorESF_SF_EERKSF_lbbbEUlllE_EE10hipError_tT0_T1_T2_jT3_P12ihipStream_tbPNSt15iterator_traitsISL_E10value_typeEPNSR_ISM_E10value_typeEPSN_NS1_7vsmem_tEENKUlT_SL_SM_SN_E_clIS8_S8_S9_S9_EESK_S10_SL_SM_SN_EUlS10_E0_NS1_11comp_targetILNS1_3genE10ELNS1_11target_archE1201ELNS1_3gpuE5ELNS1_3repE0EEENS1_38merge_mergepath_config_static_selectorELNS0_4arch9wavefront6targetE1EEEvSM_: ; @_ZN7rocprim17ROCPRIM_400000_NS6detail17trampoline_kernelINS0_14default_configENS1_38merge_sort_block_merge_config_selectorIlNS0_10empty_typeEEEZZNS1_27merge_sort_block_merge_implIS3_PlPS5_mZN2at6native12_GLOBAL__N_124unique_dim_cuda_templateIlEESt5tupleIJNSA_6TensorESF_SF_EERKSF_lbbbEUlllE_EE10hipError_tT0_T1_T2_jT3_P12ihipStream_tbPNSt15iterator_traitsISL_E10value_typeEPNSR_ISM_E10value_typeEPSN_NS1_7vsmem_tEENKUlT_SL_SM_SN_E_clIS8_S8_S9_S9_EESK_S10_SL_SM_SN_EUlS10_E0_NS1_11comp_targetILNS1_3genE10ELNS1_11target_archE1201ELNS1_3gpuE5ELNS1_3repE0EEENS1_38merge_mergepath_config_static_selectorELNS0_4arch9wavefront6targetE1EEEvSM_
; %bb.0:
	.section	.rodata,"a",@progbits
	.p2align	6, 0x0
	.amdhsa_kernel _ZN7rocprim17ROCPRIM_400000_NS6detail17trampoline_kernelINS0_14default_configENS1_38merge_sort_block_merge_config_selectorIlNS0_10empty_typeEEEZZNS1_27merge_sort_block_merge_implIS3_PlPS5_mZN2at6native12_GLOBAL__N_124unique_dim_cuda_templateIlEESt5tupleIJNSA_6TensorESF_SF_EERKSF_lbbbEUlllE_EE10hipError_tT0_T1_T2_jT3_P12ihipStream_tbPNSt15iterator_traitsISL_E10value_typeEPNSR_ISM_E10value_typeEPSN_NS1_7vsmem_tEENKUlT_SL_SM_SN_E_clIS8_S8_S9_S9_EESK_S10_SL_SM_SN_EUlS10_E0_NS1_11comp_targetILNS1_3genE10ELNS1_11target_archE1201ELNS1_3gpuE5ELNS1_3repE0EEENS1_38merge_mergepath_config_static_selectorELNS0_4arch9wavefront6targetE1EEEvSM_
		.amdhsa_group_segment_fixed_size 0
		.amdhsa_private_segment_fixed_size 0
		.amdhsa_kernarg_size 88
		.amdhsa_user_sgpr_count 2
		.amdhsa_user_sgpr_dispatch_ptr 0
		.amdhsa_user_sgpr_queue_ptr 0
		.amdhsa_user_sgpr_kernarg_segment_ptr 1
		.amdhsa_user_sgpr_dispatch_id 0
		.amdhsa_user_sgpr_kernarg_preload_length 0
		.amdhsa_user_sgpr_kernarg_preload_offset 0
		.amdhsa_user_sgpr_private_segment_size 0
		.amdhsa_uses_dynamic_stack 0
		.amdhsa_enable_private_segment 0
		.amdhsa_system_sgpr_workgroup_id_x 1
		.amdhsa_system_sgpr_workgroup_id_y 0
		.amdhsa_system_sgpr_workgroup_id_z 0
		.amdhsa_system_sgpr_workgroup_info 0
		.amdhsa_system_vgpr_workitem_id 0
		.amdhsa_next_free_vgpr 1
		.amdhsa_next_free_sgpr 0
		.amdhsa_accum_offset 4
		.amdhsa_reserve_vcc 0
		.amdhsa_float_round_mode_32 0
		.amdhsa_float_round_mode_16_64 0
		.amdhsa_float_denorm_mode_32 3
		.amdhsa_float_denorm_mode_16_64 3
		.amdhsa_dx10_clamp 1
		.amdhsa_ieee_mode 1
		.amdhsa_fp16_overflow 0
		.amdhsa_tg_split 0
		.amdhsa_exception_fp_ieee_invalid_op 0
		.amdhsa_exception_fp_denorm_src 0
		.amdhsa_exception_fp_ieee_div_zero 0
		.amdhsa_exception_fp_ieee_overflow 0
		.amdhsa_exception_fp_ieee_underflow 0
		.amdhsa_exception_fp_ieee_inexact 0
		.amdhsa_exception_int_div_zero 0
	.end_amdhsa_kernel
	.section	.text._ZN7rocprim17ROCPRIM_400000_NS6detail17trampoline_kernelINS0_14default_configENS1_38merge_sort_block_merge_config_selectorIlNS0_10empty_typeEEEZZNS1_27merge_sort_block_merge_implIS3_PlPS5_mZN2at6native12_GLOBAL__N_124unique_dim_cuda_templateIlEESt5tupleIJNSA_6TensorESF_SF_EERKSF_lbbbEUlllE_EE10hipError_tT0_T1_T2_jT3_P12ihipStream_tbPNSt15iterator_traitsISL_E10value_typeEPNSR_ISM_E10value_typeEPSN_NS1_7vsmem_tEENKUlT_SL_SM_SN_E_clIS8_S8_S9_S9_EESK_S10_SL_SM_SN_EUlS10_E0_NS1_11comp_targetILNS1_3genE10ELNS1_11target_archE1201ELNS1_3gpuE5ELNS1_3repE0EEENS1_38merge_mergepath_config_static_selectorELNS0_4arch9wavefront6targetE1EEEvSM_,"axG",@progbits,_ZN7rocprim17ROCPRIM_400000_NS6detail17trampoline_kernelINS0_14default_configENS1_38merge_sort_block_merge_config_selectorIlNS0_10empty_typeEEEZZNS1_27merge_sort_block_merge_implIS3_PlPS5_mZN2at6native12_GLOBAL__N_124unique_dim_cuda_templateIlEESt5tupleIJNSA_6TensorESF_SF_EERKSF_lbbbEUlllE_EE10hipError_tT0_T1_T2_jT3_P12ihipStream_tbPNSt15iterator_traitsISL_E10value_typeEPNSR_ISM_E10value_typeEPSN_NS1_7vsmem_tEENKUlT_SL_SM_SN_E_clIS8_S8_S9_S9_EESK_S10_SL_SM_SN_EUlS10_E0_NS1_11comp_targetILNS1_3genE10ELNS1_11target_archE1201ELNS1_3gpuE5ELNS1_3repE0EEENS1_38merge_mergepath_config_static_selectorELNS0_4arch9wavefront6targetE1EEEvSM_,comdat
.Lfunc_end523:
	.size	_ZN7rocprim17ROCPRIM_400000_NS6detail17trampoline_kernelINS0_14default_configENS1_38merge_sort_block_merge_config_selectorIlNS0_10empty_typeEEEZZNS1_27merge_sort_block_merge_implIS3_PlPS5_mZN2at6native12_GLOBAL__N_124unique_dim_cuda_templateIlEESt5tupleIJNSA_6TensorESF_SF_EERKSF_lbbbEUlllE_EE10hipError_tT0_T1_T2_jT3_P12ihipStream_tbPNSt15iterator_traitsISL_E10value_typeEPNSR_ISM_E10value_typeEPSN_NS1_7vsmem_tEENKUlT_SL_SM_SN_E_clIS8_S8_S9_S9_EESK_S10_SL_SM_SN_EUlS10_E0_NS1_11comp_targetILNS1_3genE10ELNS1_11target_archE1201ELNS1_3gpuE5ELNS1_3repE0EEENS1_38merge_mergepath_config_static_selectorELNS0_4arch9wavefront6targetE1EEEvSM_, .Lfunc_end523-_ZN7rocprim17ROCPRIM_400000_NS6detail17trampoline_kernelINS0_14default_configENS1_38merge_sort_block_merge_config_selectorIlNS0_10empty_typeEEEZZNS1_27merge_sort_block_merge_implIS3_PlPS5_mZN2at6native12_GLOBAL__N_124unique_dim_cuda_templateIlEESt5tupleIJNSA_6TensorESF_SF_EERKSF_lbbbEUlllE_EE10hipError_tT0_T1_T2_jT3_P12ihipStream_tbPNSt15iterator_traitsISL_E10value_typeEPNSR_ISM_E10value_typeEPSN_NS1_7vsmem_tEENKUlT_SL_SM_SN_E_clIS8_S8_S9_S9_EESK_S10_SL_SM_SN_EUlS10_E0_NS1_11comp_targetILNS1_3genE10ELNS1_11target_archE1201ELNS1_3gpuE5ELNS1_3repE0EEENS1_38merge_mergepath_config_static_selectorELNS0_4arch9wavefront6targetE1EEEvSM_
                                        ; -- End function
	.set _ZN7rocprim17ROCPRIM_400000_NS6detail17trampoline_kernelINS0_14default_configENS1_38merge_sort_block_merge_config_selectorIlNS0_10empty_typeEEEZZNS1_27merge_sort_block_merge_implIS3_PlPS5_mZN2at6native12_GLOBAL__N_124unique_dim_cuda_templateIlEESt5tupleIJNSA_6TensorESF_SF_EERKSF_lbbbEUlllE_EE10hipError_tT0_T1_T2_jT3_P12ihipStream_tbPNSt15iterator_traitsISL_E10value_typeEPNSR_ISM_E10value_typeEPSN_NS1_7vsmem_tEENKUlT_SL_SM_SN_E_clIS8_S8_S9_S9_EESK_S10_SL_SM_SN_EUlS10_E0_NS1_11comp_targetILNS1_3genE10ELNS1_11target_archE1201ELNS1_3gpuE5ELNS1_3repE0EEENS1_38merge_mergepath_config_static_selectorELNS0_4arch9wavefront6targetE1EEEvSM_.num_vgpr, 0
	.set _ZN7rocprim17ROCPRIM_400000_NS6detail17trampoline_kernelINS0_14default_configENS1_38merge_sort_block_merge_config_selectorIlNS0_10empty_typeEEEZZNS1_27merge_sort_block_merge_implIS3_PlPS5_mZN2at6native12_GLOBAL__N_124unique_dim_cuda_templateIlEESt5tupleIJNSA_6TensorESF_SF_EERKSF_lbbbEUlllE_EE10hipError_tT0_T1_T2_jT3_P12ihipStream_tbPNSt15iterator_traitsISL_E10value_typeEPNSR_ISM_E10value_typeEPSN_NS1_7vsmem_tEENKUlT_SL_SM_SN_E_clIS8_S8_S9_S9_EESK_S10_SL_SM_SN_EUlS10_E0_NS1_11comp_targetILNS1_3genE10ELNS1_11target_archE1201ELNS1_3gpuE5ELNS1_3repE0EEENS1_38merge_mergepath_config_static_selectorELNS0_4arch9wavefront6targetE1EEEvSM_.num_agpr, 0
	.set _ZN7rocprim17ROCPRIM_400000_NS6detail17trampoline_kernelINS0_14default_configENS1_38merge_sort_block_merge_config_selectorIlNS0_10empty_typeEEEZZNS1_27merge_sort_block_merge_implIS3_PlPS5_mZN2at6native12_GLOBAL__N_124unique_dim_cuda_templateIlEESt5tupleIJNSA_6TensorESF_SF_EERKSF_lbbbEUlllE_EE10hipError_tT0_T1_T2_jT3_P12ihipStream_tbPNSt15iterator_traitsISL_E10value_typeEPNSR_ISM_E10value_typeEPSN_NS1_7vsmem_tEENKUlT_SL_SM_SN_E_clIS8_S8_S9_S9_EESK_S10_SL_SM_SN_EUlS10_E0_NS1_11comp_targetILNS1_3genE10ELNS1_11target_archE1201ELNS1_3gpuE5ELNS1_3repE0EEENS1_38merge_mergepath_config_static_selectorELNS0_4arch9wavefront6targetE1EEEvSM_.numbered_sgpr, 0
	.set _ZN7rocprim17ROCPRIM_400000_NS6detail17trampoline_kernelINS0_14default_configENS1_38merge_sort_block_merge_config_selectorIlNS0_10empty_typeEEEZZNS1_27merge_sort_block_merge_implIS3_PlPS5_mZN2at6native12_GLOBAL__N_124unique_dim_cuda_templateIlEESt5tupleIJNSA_6TensorESF_SF_EERKSF_lbbbEUlllE_EE10hipError_tT0_T1_T2_jT3_P12ihipStream_tbPNSt15iterator_traitsISL_E10value_typeEPNSR_ISM_E10value_typeEPSN_NS1_7vsmem_tEENKUlT_SL_SM_SN_E_clIS8_S8_S9_S9_EESK_S10_SL_SM_SN_EUlS10_E0_NS1_11comp_targetILNS1_3genE10ELNS1_11target_archE1201ELNS1_3gpuE5ELNS1_3repE0EEENS1_38merge_mergepath_config_static_selectorELNS0_4arch9wavefront6targetE1EEEvSM_.num_named_barrier, 0
	.set _ZN7rocprim17ROCPRIM_400000_NS6detail17trampoline_kernelINS0_14default_configENS1_38merge_sort_block_merge_config_selectorIlNS0_10empty_typeEEEZZNS1_27merge_sort_block_merge_implIS3_PlPS5_mZN2at6native12_GLOBAL__N_124unique_dim_cuda_templateIlEESt5tupleIJNSA_6TensorESF_SF_EERKSF_lbbbEUlllE_EE10hipError_tT0_T1_T2_jT3_P12ihipStream_tbPNSt15iterator_traitsISL_E10value_typeEPNSR_ISM_E10value_typeEPSN_NS1_7vsmem_tEENKUlT_SL_SM_SN_E_clIS8_S8_S9_S9_EESK_S10_SL_SM_SN_EUlS10_E0_NS1_11comp_targetILNS1_3genE10ELNS1_11target_archE1201ELNS1_3gpuE5ELNS1_3repE0EEENS1_38merge_mergepath_config_static_selectorELNS0_4arch9wavefront6targetE1EEEvSM_.private_seg_size, 0
	.set _ZN7rocprim17ROCPRIM_400000_NS6detail17trampoline_kernelINS0_14default_configENS1_38merge_sort_block_merge_config_selectorIlNS0_10empty_typeEEEZZNS1_27merge_sort_block_merge_implIS3_PlPS5_mZN2at6native12_GLOBAL__N_124unique_dim_cuda_templateIlEESt5tupleIJNSA_6TensorESF_SF_EERKSF_lbbbEUlllE_EE10hipError_tT0_T1_T2_jT3_P12ihipStream_tbPNSt15iterator_traitsISL_E10value_typeEPNSR_ISM_E10value_typeEPSN_NS1_7vsmem_tEENKUlT_SL_SM_SN_E_clIS8_S8_S9_S9_EESK_S10_SL_SM_SN_EUlS10_E0_NS1_11comp_targetILNS1_3genE10ELNS1_11target_archE1201ELNS1_3gpuE5ELNS1_3repE0EEENS1_38merge_mergepath_config_static_selectorELNS0_4arch9wavefront6targetE1EEEvSM_.uses_vcc, 0
	.set _ZN7rocprim17ROCPRIM_400000_NS6detail17trampoline_kernelINS0_14default_configENS1_38merge_sort_block_merge_config_selectorIlNS0_10empty_typeEEEZZNS1_27merge_sort_block_merge_implIS3_PlPS5_mZN2at6native12_GLOBAL__N_124unique_dim_cuda_templateIlEESt5tupleIJNSA_6TensorESF_SF_EERKSF_lbbbEUlllE_EE10hipError_tT0_T1_T2_jT3_P12ihipStream_tbPNSt15iterator_traitsISL_E10value_typeEPNSR_ISM_E10value_typeEPSN_NS1_7vsmem_tEENKUlT_SL_SM_SN_E_clIS8_S8_S9_S9_EESK_S10_SL_SM_SN_EUlS10_E0_NS1_11comp_targetILNS1_3genE10ELNS1_11target_archE1201ELNS1_3gpuE5ELNS1_3repE0EEENS1_38merge_mergepath_config_static_selectorELNS0_4arch9wavefront6targetE1EEEvSM_.uses_flat_scratch, 0
	.set _ZN7rocprim17ROCPRIM_400000_NS6detail17trampoline_kernelINS0_14default_configENS1_38merge_sort_block_merge_config_selectorIlNS0_10empty_typeEEEZZNS1_27merge_sort_block_merge_implIS3_PlPS5_mZN2at6native12_GLOBAL__N_124unique_dim_cuda_templateIlEESt5tupleIJNSA_6TensorESF_SF_EERKSF_lbbbEUlllE_EE10hipError_tT0_T1_T2_jT3_P12ihipStream_tbPNSt15iterator_traitsISL_E10value_typeEPNSR_ISM_E10value_typeEPSN_NS1_7vsmem_tEENKUlT_SL_SM_SN_E_clIS8_S8_S9_S9_EESK_S10_SL_SM_SN_EUlS10_E0_NS1_11comp_targetILNS1_3genE10ELNS1_11target_archE1201ELNS1_3gpuE5ELNS1_3repE0EEENS1_38merge_mergepath_config_static_selectorELNS0_4arch9wavefront6targetE1EEEvSM_.has_dyn_sized_stack, 0
	.set _ZN7rocprim17ROCPRIM_400000_NS6detail17trampoline_kernelINS0_14default_configENS1_38merge_sort_block_merge_config_selectorIlNS0_10empty_typeEEEZZNS1_27merge_sort_block_merge_implIS3_PlPS5_mZN2at6native12_GLOBAL__N_124unique_dim_cuda_templateIlEESt5tupleIJNSA_6TensorESF_SF_EERKSF_lbbbEUlllE_EE10hipError_tT0_T1_T2_jT3_P12ihipStream_tbPNSt15iterator_traitsISL_E10value_typeEPNSR_ISM_E10value_typeEPSN_NS1_7vsmem_tEENKUlT_SL_SM_SN_E_clIS8_S8_S9_S9_EESK_S10_SL_SM_SN_EUlS10_E0_NS1_11comp_targetILNS1_3genE10ELNS1_11target_archE1201ELNS1_3gpuE5ELNS1_3repE0EEENS1_38merge_mergepath_config_static_selectorELNS0_4arch9wavefront6targetE1EEEvSM_.has_recursion, 0
	.set _ZN7rocprim17ROCPRIM_400000_NS6detail17trampoline_kernelINS0_14default_configENS1_38merge_sort_block_merge_config_selectorIlNS0_10empty_typeEEEZZNS1_27merge_sort_block_merge_implIS3_PlPS5_mZN2at6native12_GLOBAL__N_124unique_dim_cuda_templateIlEESt5tupleIJNSA_6TensorESF_SF_EERKSF_lbbbEUlllE_EE10hipError_tT0_T1_T2_jT3_P12ihipStream_tbPNSt15iterator_traitsISL_E10value_typeEPNSR_ISM_E10value_typeEPSN_NS1_7vsmem_tEENKUlT_SL_SM_SN_E_clIS8_S8_S9_S9_EESK_S10_SL_SM_SN_EUlS10_E0_NS1_11comp_targetILNS1_3genE10ELNS1_11target_archE1201ELNS1_3gpuE5ELNS1_3repE0EEENS1_38merge_mergepath_config_static_selectorELNS0_4arch9wavefront6targetE1EEEvSM_.has_indirect_call, 0
	.section	.AMDGPU.csdata,"",@progbits
; Kernel info:
; codeLenInByte = 0
; TotalNumSgprs: 6
; NumVgprs: 0
; NumAgprs: 0
; TotalNumVgprs: 0
; ScratchSize: 0
; MemoryBound: 0
; FloatMode: 240
; IeeeMode: 1
; LDSByteSize: 0 bytes/workgroup (compile time only)
; SGPRBlocks: 0
; VGPRBlocks: 0
; NumSGPRsForWavesPerEU: 6
; NumVGPRsForWavesPerEU: 1
; AccumOffset: 4
; Occupancy: 8
; WaveLimiterHint : 0
; COMPUTE_PGM_RSRC2:SCRATCH_EN: 0
; COMPUTE_PGM_RSRC2:USER_SGPR: 2
; COMPUTE_PGM_RSRC2:TRAP_HANDLER: 0
; COMPUTE_PGM_RSRC2:TGID_X_EN: 1
; COMPUTE_PGM_RSRC2:TGID_Y_EN: 0
; COMPUTE_PGM_RSRC2:TGID_Z_EN: 0
; COMPUTE_PGM_RSRC2:TIDIG_COMP_CNT: 0
; COMPUTE_PGM_RSRC3_GFX90A:ACCUM_OFFSET: 0
; COMPUTE_PGM_RSRC3_GFX90A:TG_SPLIT: 0
	.section	.text._ZN7rocprim17ROCPRIM_400000_NS6detail17trampoline_kernelINS0_14default_configENS1_38merge_sort_block_merge_config_selectorIlNS0_10empty_typeEEEZZNS1_27merge_sort_block_merge_implIS3_PlPS5_mZN2at6native12_GLOBAL__N_124unique_dim_cuda_templateIlEESt5tupleIJNSA_6TensorESF_SF_EERKSF_lbbbEUlllE_EE10hipError_tT0_T1_T2_jT3_P12ihipStream_tbPNSt15iterator_traitsISL_E10value_typeEPNSR_ISM_E10value_typeEPSN_NS1_7vsmem_tEENKUlT_SL_SM_SN_E_clIS8_S8_S9_S9_EESK_S10_SL_SM_SN_EUlS10_E0_NS1_11comp_targetILNS1_3genE5ELNS1_11target_archE942ELNS1_3gpuE9ELNS1_3repE0EEENS1_38merge_mergepath_config_static_selectorELNS0_4arch9wavefront6targetE1EEEvSM_,"axG",@progbits,_ZN7rocprim17ROCPRIM_400000_NS6detail17trampoline_kernelINS0_14default_configENS1_38merge_sort_block_merge_config_selectorIlNS0_10empty_typeEEEZZNS1_27merge_sort_block_merge_implIS3_PlPS5_mZN2at6native12_GLOBAL__N_124unique_dim_cuda_templateIlEESt5tupleIJNSA_6TensorESF_SF_EERKSF_lbbbEUlllE_EE10hipError_tT0_T1_T2_jT3_P12ihipStream_tbPNSt15iterator_traitsISL_E10value_typeEPNSR_ISM_E10value_typeEPSN_NS1_7vsmem_tEENKUlT_SL_SM_SN_E_clIS8_S8_S9_S9_EESK_S10_SL_SM_SN_EUlS10_E0_NS1_11comp_targetILNS1_3genE5ELNS1_11target_archE942ELNS1_3gpuE9ELNS1_3repE0EEENS1_38merge_mergepath_config_static_selectorELNS0_4arch9wavefront6targetE1EEEvSM_,comdat
	.globl	_ZN7rocprim17ROCPRIM_400000_NS6detail17trampoline_kernelINS0_14default_configENS1_38merge_sort_block_merge_config_selectorIlNS0_10empty_typeEEEZZNS1_27merge_sort_block_merge_implIS3_PlPS5_mZN2at6native12_GLOBAL__N_124unique_dim_cuda_templateIlEESt5tupleIJNSA_6TensorESF_SF_EERKSF_lbbbEUlllE_EE10hipError_tT0_T1_T2_jT3_P12ihipStream_tbPNSt15iterator_traitsISL_E10value_typeEPNSR_ISM_E10value_typeEPSN_NS1_7vsmem_tEENKUlT_SL_SM_SN_E_clIS8_S8_S9_S9_EESK_S10_SL_SM_SN_EUlS10_E0_NS1_11comp_targetILNS1_3genE5ELNS1_11target_archE942ELNS1_3gpuE9ELNS1_3repE0EEENS1_38merge_mergepath_config_static_selectorELNS0_4arch9wavefront6targetE1EEEvSM_ ; -- Begin function _ZN7rocprim17ROCPRIM_400000_NS6detail17trampoline_kernelINS0_14default_configENS1_38merge_sort_block_merge_config_selectorIlNS0_10empty_typeEEEZZNS1_27merge_sort_block_merge_implIS3_PlPS5_mZN2at6native12_GLOBAL__N_124unique_dim_cuda_templateIlEESt5tupleIJNSA_6TensorESF_SF_EERKSF_lbbbEUlllE_EE10hipError_tT0_T1_T2_jT3_P12ihipStream_tbPNSt15iterator_traitsISL_E10value_typeEPNSR_ISM_E10value_typeEPSN_NS1_7vsmem_tEENKUlT_SL_SM_SN_E_clIS8_S8_S9_S9_EESK_S10_SL_SM_SN_EUlS10_E0_NS1_11comp_targetILNS1_3genE5ELNS1_11target_archE942ELNS1_3gpuE9ELNS1_3repE0EEENS1_38merge_mergepath_config_static_selectorELNS0_4arch9wavefront6targetE1EEEvSM_
	.p2align	8
	.type	_ZN7rocprim17ROCPRIM_400000_NS6detail17trampoline_kernelINS0_14default_configENS1_38merge_sort_block_merge_config_selectorIlNS0_10empty_typeEEEZZNS1_27merge_sort_block_merge_implIS3_PlPS5_mZN2at6native12_GLOBAL__N_124unique_dim_cuda_templateIlEESt5tupleIJNSA_6TensorESF_SF_EERKSF_lbbbEUlllE_EE10hipError_tT0_T1_T2_jT3_P12ihipStream_tbPNSt15iterator_traitsISL_E10value_typeEPNSR_ISM_E10value_typeEPSN_NS1_7vsmem_tEENKUlT_SL_SM_SN_E_clIS8_S8_S9_S9_EESK_S10_SL_SM_SN_EUlS10_E0_NS1_11comp_targetILNS1_3genE5ELNS1_11target_archE942ELNS1_3gpuE9ELNS1_3repE0EEENS1_38merge_mergepath_config_static_selectorELNS0_4arch9wavefront6targetE1EEEvSM_,@function
_ZN7rocprim17ROCPRIM_400000_NS6detail17trampoline_kernelINS0_14default_configENS1_38merge_sort_block_merge_config_selectorIlNS0_10empty_typeEEEZZNS1_27merge_sort_block_merge_implIS3_PlPS5_mZN2at6native12_GLOBAL__N_124unique_dim_cuda_templateIlEESt5tupleIJNSA_6TensorESF_SF_EERKSF_lbbbEUlllE_EE10hipError_tT0_T1_T2_jT3_P12ihipStream_tbPNSt15iterator_traitsISL_E10value_typeEPNSR_ISM_E10value_typeEPSN_NS1_7vsmem_tEENKUlT_SL_SM_SN_E_clIS8_S8_S9_S9_EESK_S10_SL_SM_SN_EUlS10_E0_NS1_11comp_targetILNS1_3genE5ELNS1_11target_archE942ELNS1_3gpuE9ELNS1_3repE0EEENS1_38merge_mergepath_config_static_selectorELNS0_4arch9wavefront6targetE1EEEvSM_: ; @_ZN7rocprim17ROCPRIM_400000_NS6detail17trampoline_kernelINS0_14default_configENS1_38merge_sort_block_merge_config_selectorIlNS0_10empty_typeEEEZZNS1_27merge_sort_block_merge_implIS3_PlPS5_mZN2at6native12_GLOBAL__N_124unique_dim_cuda_templateIlEESt5tupleIJNSA_6TensorESF_SF_EERKSF_lbbbEUlllE_EE10hipError_tT0_T1_T2_jT3_P12ihipStream_tbPNSt15iterator_traitsISL_E10value_typeEPNSR_ISM_E10value_typeEPSN_NS1_7vsmem_tEENKUlT_SL_SM_SN_E_clIS8_S8_S9_S9_EESK_S10_SL_SM_SN_EUlS10_E0_NS1_11comp_targetILNS1_3genE5ELNS1_11target_archE942ELNS1_3gpuE9ELNS1_3repE0EEENS1_38merge_mergepath_config_static_selectorELNS0_4arch9wavefront6targetE1EEEvSM_
; %bb.0:
	.section	.rodata,"a",@progbits
	.p2align	6, 0x0
	.amdhsa_kernel _ZN7rocprim17ROCPRIM_400000_NS6detail17trampoline_kernelINS0_14default_configENS1_38merge_sort_block_merge_config_selectorIlNS0_10empty_typeEEEZZNS1_27merge_sort_block_merge_implIS3_PlPS5_mZN2at6native12_GLOBAL__N_124unique_dim_cuda_templateIlEESt5tupleIJNSA_6TensorESF_SF_EERKSF_lbbbEUlllE_EE10hipError_tT0_T1_T2_jT3_P12ihipStream_tbPNSt15iterator_traitsISL_E10value_typeEPNSR_ISM_E10value_typeEPSN_NS1_7vsmem_tEENKUlT_SL_SM_SN_E_clIS8_S8_S9_S9_EESK_S10_SL_SM_SN_EUlS10_E0_NS1_11comp_targetILNS1_3genE5ELNS1_11target_archE942ELNS1_3gpuE9ELNS1_3repE0EEENS1_38merge_mergepath_config_static_selectorELNS0_4arch9wavefront6targetE1EEEvSM_
		.amdhsa_group_segment_fixed_size 0
		.amdhsa_private_segment_fixed_size 0
		.amdhsa_kernarg_size 88
		.amdhsa_user_sgpr_count 2
		.amdhsa_user_sgpr_dispatch_ptr 0
		.amdhsa_user_sgpr_queue_ptr 0
		.amdhsa_user_sgpr_kernarg_segment_ptr 1
		.amdhsa_user_sgpr_dispatch_id 0
		.amdhsa_user_sgpr_kernarg_preload_length 0
		.amdhsa_user_sgpr_kernarg_preload_offset 0
		.amdhsa_user_sgpr_private_segment_size 0
		.amdhsa_uses_dynamic_stack 0
		.amdhsa_enable_private_segment 0
		.amdhsa_system_sgpr_workgroup_id_x 1
		.amdhsa_system_sgpr_workgroup_id_y 0
		.amdhsa_system_sgpr_workgroup_id_z 0
		.amdhsa_system_sgpr_workgroup_info 0
		.amdhsa_system_vgpr_workitem_id 0
		.amdhsa_next_free_vgpr 1
		.amdhsa_next_free_sgpr 0
		.amdhsa_accum_offset 4
		.amdhsa_reserve_vcc 0
		.amdhsa_float_round_mode_32 0
		.amdhsa_float_round_mode_16_64 0
		.amdhsa_float_denorm_mode_32 3
		.amdhsa_float_denorm_mode_16_64 3
		.amdhsa_dx10_clamp 1
		.amdhsa_ieee_mode 1
		.amdhsa_fp16_overflow 0
		.amdhsa_tg_split 0
		.amdhsa_exception_fp_ieee_invalid_op 0
		.amdhsa_exception_fp_denorm_src 0
		.amdhsa_exception_fp_ieee_div_zero 0
		.amdhsa_exception_fp_ieee_overflow 0
		.amdhsa_exception_fp_ieee_underflow 0
		.amdhsa_exception_fp_ieee_inexact 0
		.amdhsa_exception_int_div_zero 0
	.end_amdhsa_kernel
	.section	.text._ZN7rocprim17ROCPRIM_400000_NS6detail17trampoline_kernelINS0_14default_configENS1_38merge_sort_block_merge_config_selectorIlNS0_10empty_typeEEEZZNS1_27merge_sort_block_merge_implIS3_PlPS5_mZN2at6native12_GLOBAL__N_124unique_dim_cuda_templateIlEESt5tupleIJNSA_6TensorESF_SF_EERKSF_lbbbEUlllE_EE10hipError_tT0_T1_T2_jT3_P12ihipStream_tbPNSt15iterator_traitsISL_E10value_typeEPNSR_ISM_E10value_typeEPSN_NS1_7vsmem_tEENKUlT_SL_SM_SN_E_clIS8_S8_S9_S9_EESK_S10_SL_SM_SN_EUlS10_E0_NS1_11comp_targetILNS1_3genE5ELNS1_11target_archE942ELNS1_3gpuE9ELNS1_3repE0EEENS1_38merge_mergepath_config_static_selectorELNS0_4arch9wavefront6targetE1EEEvSM_,"axG",@progbits,_ZN7rocprim17ROCPRIM_400000_NS6detail17trampoline_kernelINS0_14default_configENS1_38merge_sort_block_merge_config_selectorIlNS0_10empty_typeEEEZZNS1_27merge_sort_block_merge_implIS3_PlPS5_mZN2at6native12_GLOBAL__N_124unique_dim_cuda_templateIlEESt5tupleIJNSA_6TensorESF_SF_EERKSF_lbbbEUlllE_EE10hipError_tT0_T1_T2_jT3_P12ihipStream_tbPNSt15iterator_traitsISL_E10value_typeEPNSR_ISM_E10value_typeEPSN_NS1_7vsmem_tEENKUlT_SL_SM_SN_E_clIS8_S8_S9_S9_EESK_S10_SL_SM_SN_EUlS10_E0_NS1_11comp_targetILNS1_3genE5ELNS1_11target_archE942ELNS1_3gpuE9ELNS1_3repE0EEENS1_38merge_mergepath_config_static_selectorELNS0_4arch9wavefront6targetE1EEEvSM_,comdat
.Lfunc_end524:
	.size	_ZN7rocprim17ROCPRIM_400000_NS6detail17trampoline_kernelINS0_14default_configENS1_38merge_sort_block_merge_config_selectorIlNS0_10empty_typeEEEZZNS1_27merge_sort_block_merge_implIS3_PlPS5_mZN2at6native12_GLOBAL__N_124unique_dim_cuda_templateIlEESt5tupleIJNSA_6TensorESF_SF_EERKSF_lbbbEUlllE_EE10hipError_tT0_T1_T2_jT3_P12ihipStream_tbPNSt15iterator_traitsISL_E10value_typeEPNSR_ISM_E10value_typeEPSN_NS1_7vsmem_tEENKUlT_SL_SM_SN_E_clIS8_S8_S9_S9_EESK_S10_SL_SM_SN_EUlS10_E0_NS1_11comp_targetILNS1_3genE5ELNS1_11target_archE942ELNS1_3gpuE9ELNS1_3repE0EEENS1_38merge_mergepath_config_static_selectorELNS0_4arch9wavefront6targetE1EEEvSM_, .Lfunc_end524-_ZN7rocprim17ROCPRIM_400000_NS6detail17trampoline_kernelINS0_14default_configENS1_38merge_sort_block_merge_config_selectorIlNS0_10empty_typeEEEZZNS1_27merge_sort_block_merge_implIS3_PlPS5_mZN2at6native12_GLOBAL__N_124unique_dim_cuda_templateIlEESt5tupleIJNSA_6TensorESF_SF_EERKSF_lbbbEUlllE_EE10hipError_tT0_T1_T2_jT3_P12ihipStream_tbPNSt15iterator_traitsISL_E10value_typeEPNSR_ISM_E10value_typeEPSN_NS1_7vsmem_tEENKUlT_SL_SM_SN_E_clIS8_S8_S9_S9_EESK_S10_SL_SM_SN_EUlS10_E0_NS1_11comp_targetILNS1_3genE5ELNS1_11target_archE942ELNS1_3gpuE9ELNS1_3repE0EEENS1_38merge_mergepath_config_static_selectorELNS0_4arch9wavefront6targetE1EEEvSM_
                                        ; -- End function
	.set _ZN7rocprim17ROCPRIM_400000_NS6detail17trampoline_kernelINS0_14default_configENS1_38merge_sort_block_merge_config_selectorIlNS0_10empty_typeEEEZZNS1_27merge_sort_block_merge_implIS3_PlPS5_mZN2at6native12_GLOBAL__N_124unique_dim_cuda_templateIlEESt5tupleIJNSA_6TensorESF_SF_EERKSF_lbbbEUlllE_EE10hipError_tT0_T1_T2_jT3_P12ihipStream_tbPNSt15iterator_traitsISL_E10value_typeEPNSR_ISM_E10value_typeEPSN_NS1_7vsmem_tEENKUlT_SL_SM_SN_E_clIS8_S8_S9_S9_EESK_S10_SL_SM_SN_EUlS10_E0_NS1_11comp_targetILNS1_3genE5ELNS1_11target_archE942ELNS1_3gpuE9ELNS1_3repE0EEENS1_38merge_mergepath_config_static_selectorELNS0_4arch9wavefront6targetE1EEEvSM_.num_vgpr, 0
	.set _ZN7rocprim17ROCPRIM_400000_NS6detail17trampoline_kernelINS0_14default_configENS1_38merge_sort_block_merge_config_selectorIlNS0_10empty_typeEEEZZNS1_27merge_sort_block_merge_implIS3_PlPS5_mZN2at6native12_GLOBAL__N_124unique_dim_cuda_templateIlEESt5tupleIJNSA_6TensorESF_SF_EERKSF_lbbbEUlllE_EE10hipError_tT0_T1_T2_jT3_P12ihipStream_tbPNSt15iterator_traitsISL_E10value_typeEPNSR_ISM_E10value_typeEPSN_NS1_7vsmem_tEENKUlT_SL_SM_SN_E_clIS8_S8_S9_S9_EESK_S10_SL_SM_SN_EUlS10_E0_NS1_11comp_targetILNS1_3genE5ELNS1_11target_archE942ELNS1_3gpuE9ELNS1_3repE0EEENS1_38merge_mergepath_config_static_selectorELNS0_4arch9wavefront6targetE1EEEvSM_.num_agpr, 0
	.set _ZN7rocprim17ROCPRIM_400000_NS6detail17trampoline_kernelINS0_14default_configENS1_38merge_sort_block_merge_config_selectorIlNS0_10empty_typeEEEZZNS1_27merge_sort_block_merge_implIS3_PlPS5_mZN2at6native12_GLOBAL__N_124unique_dim_cuda_templateIlEESt5tupleIJNSA_6TensorESF_SF_EERKSF_lbbbEUlllE_EE10hipError_tT0_T1_T2_jT3_P12ihipStream_tbPNSt15iterator_traitsISL_E10value_typeEPNSR_ISM_E10value_typeEPSN_NS1_7vsmem_tEENKUlT_SL_SM_SN_E_clIS8_S8_S9_S9_EESK_S10_SL_SM_SN_EUlS10_E0_NS1_11comp_targetILNS1_3genE5ELNS1_11target_archE942ELNS1_3gpuE9ELNS1_3repE0EEENS1_38merge_mergepath_config_static_selectorELNS0_4arch9wavefront6targetE1EEEvSM_.numbered_sgpr, 0
	.set _ZN7rocprim17ROCPRIM_400000_NS6detail17trampoline_kernelINS0_14default_configENS1_38merge_sort_block_merge_config_selectorIlNS0_10empty_typeEEEZZNS1_27merge_sort_block_merge_implIS3_PlPS5_mZN2at6native12_GLOBAL__N_124unique_dim_cuda_templateIlEESt5tupleIJNSA_6TensorESF_SF_EERKSF_lbbbEUlllE_EE10hipError_tT0_T1_T2_jT3_P12ihipStream_tbPNSt15iterator_traitsISL_E10value_typeEPNSR_ISM_E10value_typeEPSN_NS1_7vsmem_tEENKUlT_SL_SM_SN_E_clIS8_S8_S9_S9_EESK_S10_SL_SM_SN_EUlS10_E0_NS1_11comp_targetILNS1_3genE5ELNS1_11target_archE942ELNS1_3gpuE9ELNS1_3repE0EEENS1_38merge_mergepath_config_static_selectorELNS0_4arch9wavefront6targetE1EEEvSM_.num_named_barrier, 0
	.set _ZN7rocprim17ROCPRIM_400000_NS6detail17trampoline_kernelINS0_14default_configENS1_38merge_sort_block_merge_config_selectorIlNS0_10empty_typeEEEZZNS1_27merge_sort_block_merge_implIS3_PlPS5_mZN2at6native12_GLOBAL__N_124unique_dim_cuda_templateIlEESt5tupleIJNSA_6TensorESF_SF_EERKSF_lbbbEUlllE_EE10hipError_tT0_T1_T2_jT3_P12ihipStream_tbPNSt15iterator_traitsISL_E10value_typeEPNSR_ISM_E10value_typeEPSN_NS1_7vsmem_tEENKUlT_SL_SM_SN_E_clIS8_S8_S9_S9_EESK_S10_SL_SM_SN_EUlS10_E0_NS1_11comp_targetILNS1_3genE5ELNS1_11target_archE942ELNS1_3gpuE9ELNS1_3repE0EEENS1_38merge_mergepath_config_static_selectorELNS0_4arch9wavefront6targetE1EEEvSM_.private_seg_size, 0
	.set _ZN7rocprim17ROCPRIM_400000_NS6detail17trampoline_kernelINS0_14default_configENS1_38merge_sort_block_merge_config_selectorIlNS0_10empty_typeEEEZZNS1_27merge_sort_block_merge_implIS3_PlPS5_mZN2at6native12_GLOBAL__N_124unique_dim_cuda_templateIlEESt5tupleIJNSA_6TensorESF_SF_EERKSF_lbbbEUlllE_EE10hipError_tT0_T1_T2_jT3_P12ihipStream_tbPNSt15iterator_traitsISL_E10value_typeEPNSR_ISM_E10value_typeEPSN_NS1_7vsmem_tEENKUlT_SL_SM_SN_E_clIS8_S8_S9_S9_EESK_S10_SL_SM_SN_EUlS10_E0_NS1_11comp_targetILNS1_3genE5ELNS1_11target_archE942ELNS1_3gpuE9ELNS1_3repE0EEENS1_38merge_mergepath_config_static_selectorELNS0_4arch9wavefront6targetE1EEEvSM_.uses_vcc, 0
	.set _ZN7rocprim17ROCPRIM_400000_NS6detail17trampoline_kernelINS0_14default_configENS1_38merge_sort_block_merge_config_selectorIlNS0_10empty_typeEEEZZNS1_27merge_sort_block_merge_implIS3_PlPS5_mZN2at6native12_GLOBAL__N_124unique_dim_cuda_templateIlEESt5tupleIJNSA_6TensorESF_SF_EERKSF_lbbbEUlllE_EE10hipError_tT0_T1_T2_jT3_P12ihipStream_tbPNSt15iterator_traitsISL_E10value_typeEPNSR_ISM_E10value_typeEPSN_NS1_7vsmem_tEENKUlT_SL_SM_SN_E_clIS8_S8_S9_S9_EESK_S10_SL_SM_SN_EUlS10_E0_NS1_11comp_targetILNS1_3genE5ELNS1_11target_archE942ELNS1_3gpuE9ELNS1_3repE0EEENS1_38merge_mergepath_config_static_selectorELNS0_4arch9wavefront6targetE1EEEvSM_.uses_flat_scratch, 0
	.set _ZN7rocprim17ROCPRIM_400000_NS6detail17trampoline_kernelINS0_14default_configENS1_38merge_sort_block_merge_config_selectorIlNS0_10empty_typeEEEZZNS1_27merge_sort_block_merge_implIS3_PlPS5_mZN2at6native12_GLOBAL__N_124unique_dim_cuda_templateIlEESt5tupleIJNSA_6TensorESF_SF_EERKSF_lbbbEUlllE_EE10hipError_tT0_T1_T2_jT3_P12ihipStream_tbPNSt15iterator_traitsISL_E10value_typeEPNSR_ISM_E10value_typeEPSN_NS1_7vsmem_tEENKUlT_SL_SM_SN_E_clIS8_S8_S9_S9_EESK_S10_SL_SM_SN_EUlS10_E0_NS1_11comp_targetILNS1_3genE5ELNS1_11target_archE942ELNS1_3gpuE9ELNS1_3repE0EEENS1_38merge_mergepath_config_static_selectorELNS0_4arch9wavefront6targetE1EEEvSM_.has_dyn_sized_stack, 0
	.set _ZN7rocprim17ROCPRIM_400000_NS6detail17trampoline_kernelINS0_14default_configENS1_38merge_sort_block_merge_config_selectorIlNS0_10empty_typeEEEZZNS1_27merge_sort_block_merge_implIS3_PlPS5_mZN2at6native12_GLOBAL__N_124unique_dim_cuda_templateIlEESt5tupleIJNSA_6TensorESF_SF_EERKSF_lbbbEUlllE_EE10hipError_tT0_T1_T2_jT3_P12ihipStream_tbPNSt15iterator_traitsISL_E10value_typeEPNSR_ISM_E10value_typeEPSN_NS1_7vsmem_tEENKUlT_SL_SM_SN_E_clIS8_S8_S9_S9_EESK_S10_SL_SM_SN_EUlS10_E0_NS1_11comp_targetILNS1_3genE5ELNS1_11target_archE942ELNS1_3gpuE9ELNS1_3repE0EEENS1_38merge_mergepath_config_static_selectorELNS0_4arch9wavefront6targetE1EEEvSM_.has_recursion, 0
	.set _ZN7rocprim17ROCPRIM_400000_NS6detail17trampoline_kernelINS0_14default_configENS1_38merge_sort_block_merge_config_selectorIlNS0_10empty_typeEEEZZNS1_27merge_sort_block_merge_implIS3_PlPS5_mZN2at6native12_GLOBAL__N_124unique_dim_cuda_templateIlEESt5tupleIJNSA_6TensorESF_SF_EERKSF_lbbbEUlllE_EE10hipError_tT0_T1_T2_jT3_P12ihipStream_tbPNSt15iterator_traitsISL_E10value_typeEPNSR_ISM_E10value_typeEPSN_NS1_7vsmem_tEENKUlT_SL_SM_SN_E_clIS8_S8_S9_S9_EESK_S10_SL_SM_SN_EUlS10_E0_NS1_11comp_targetILNS1_3genE5ELNS1_11target_archE942ELNS1_3gpuE9ELNS1_3repE0EEENS1_38merge_mergepath_config_static_selectorELNS0_4arch9wavefront6targetE1EEEvSM_.has_indirect_call, 0
	.section	.AMDGPU.csdata,"",@progbits
; Kernel info:
; codeLenInByte = 0
; TotalNumSgprs: 6
; NumVgprs: 0
; NumAgprs: 0
; TotalNumVgprs: 0
; ScratchSize: 0
; MemoryBound: 0
; FloatMode: 240
; IeeeMode: 1
; LDSByteSize: 0 bytes/workgroup (compile time only)
; SGPRBlocks: 0
; VGPRBlocks: 0
; NumSGPRsForWavesPerEU: 6
; NumVGPRsForWavesPerEU: 1
; AccumOffset: 4
; Occupancy: 8
; WaveLimiterHint : 0
; COMPUTE_PGM_RSRC2:SCRATCH_EN: 0
; COMPUTE_PGM_RSRC2:USER_SGPR: 2
; COMPUTE_PGM_RSRC2:TRAP_HANDLER: 0
; COMPUTE_PGM_RSRC2:TGID_X_EN: 1
; COMPUTE_PGM_RSRC2:TGID_Y_EN: 0
; COMPUTE_PGM_RSRC2:TGID_Z_EN: 0
; COMPUTE_PGM_RSRC2:TIDIG_COMP_CNT: 0
; COMPUTE_PGM_RSRC3_GFX90A:ACCUM_OFFSET: 0
; COMPUTE_PGM_RSRC3_GFX90A:TG_SPLIT: 0
	.section	.text._ZN7rocprim17ROCPRIM_400000_NS6detail17trampoline_kernelINS0_14default_configENS1_38merge_sort_block_merge_config_selectorIlNS0_10empty_typeEEEZZNS1_27merge_sort_block_merge_implIS3_PlPS5_mZN2at6native12_GLOBAL__N_124unique_dim_cuda_templateIlEESt5tupleIJNSA_6TensorESF_SF_EERKSF_lbbbEUlllE_EE10hipError_tT0_T1_T2_jT3_P12ihipStream_tbPNSt15iterator_traitsISL_E10value_typeEPNSR_ISM_E10value_typeEPSN_NS1_7vsmem_tEENKUlT_SL_SM_SN_E_clIS8_S8_S9_S9_EESK_S10_SL_SM_SN_EUlS10_E0_NS1_11comp_targetILNS1_3genE4ELNS1_11target_archE910ELNS1_3gpuE8ELNS1_3repE0EEENS1_38merge_mergepath_config_static_selectorELNS0_4arch9wavefront6targetE1EEEvSM_,"axG",@progbits,_ZN7rocprim17ROCPRIM_400000_NS6detail17trampoline_kernelINS0_14default_configENS1_38merge_sort_block_merge_config_selectorIlNS0_10empty_typeEEEZZNS1_27merge_sort_block_merge_implIS3_PlPS5_mZN2at6native12_GLOBAL__N_124unique_dim_cuda_templateIlEESt5tupleIJNSA_6TensorESF_SF_EERKSF_lbbbEUlllE_EE10hipError_tT0_T1_T2_jT3_P12ihipStream_tbPNSt15iterator_traitsISL_E10value_typeEPNSR_ISM_E10value_typeEPSN_NS1_7vsmem_tEENKUlT_SL_SM_SN_E_clIS8_S8_S9_S9_EESK_S10_SL_SM_SN_EUlS10_E0_NS1_11comp_targetILNS1_3genE4ELNS1_11target_archE910ELNS1_3gpuE8ELNS1_3repE0EEENS1_38merge_mergepath_config_static_selectorELNS0_4arch9wavefront6targetE1EEEvSM_,comdat
	.globl	_ZN7rocprim17ROCPRIM_400000_NS6detail17trampoline_kernelINS0_14default_configENS1_38merge_sort_block_merge_config_selectorIlNS0_10empty_typeEEEZZNS1_27merge_sort_block_merge_implIS3_PlPS5_mZN2at6native12_GLOBAL__N_124unique_dim_cuda_templateIlEESt5tupleIJNSA_6TensorESF_SF_EERKSF_lbbbEUlllE_EE10hipError_tT0_T1_T2_jT3_P12ihipStream_tbPNSt15iterator_traitsISL_E10value_typeEPNSR_ISM_E10value_typeEPSN_NS1_7vsmem_tEENKUlT_SL_SM_SN_E_clIS8_S8_S9_S9_EESK_S10_SL_SM_SN_EUlS10_E0_NS1_11comp_targetILNS1_3genE4ELNS1_11target_archE910ELNS1_3gpuE8ELNS1_3repE0EEENS1_38merge_mergepath_config_static_selectorELNS0_4arch9wavefront6targetE1EEEvSM_ ; -- Begin function _ZN7rocprim17ROCPRIM_400000_NS6detail17trampoline_kernelINS0_14default_configENS1_38merge_sort_block_merge_config_selectorIlNS0_10empty_typeEEEZZNS1_27merge_sort_block_merge_implIS3_PlPS5_mZN2at6native12_GLOBAL__N_124unique_dim_cuda_templateIlEESt5tupleIJNSA_6TensorESF_SF_EERKSF_lbbbEUlllE_EE10hipError_tT0_T1_T2_jT3_P12ihipStream_tbPNSt15iterator_traitsISL_E10value_typeEPNSR_ISM_E10value_typeEPSN_NS1_7vsmem_tEENKUlT_SL_SM_SN_E_clIS8_S8_S9_S9_EESK_S10_SL_SM_SN_EUlS10_E0_NS1_11comp_targetILNS1_3genE4ELNS1_11target_archE910ELNS1_3gpuE8ELNS1_3repE0EEENS1_38merge_mergepath_config_static_selectorELNS0_4arch9wavefront6targetE1EEEvSM_
	.p2align	8
	.type	_ZN7rocprim17ROCPRIM_400000_NS6detail17trampoline_kernelINS0_14default_configENS1_38merge_sort_block_merge_config_selectorIlNS0_10empty_typeEEEZZNS1_27merge_sort_block_merge_implIS3_PlPS5_mZN2at6native12_GLOBAL__N_124unique_dim_cuda_templateIlEESt5tupleIJNSA_6TensorESF_SF_EERKSF_lbbbEUlllE_EE10hipError_tT0_T1_T2_jT3_P12ihipStream_tbPNSt15iterator_traitsISL_E10value_typeEPNSR_ISM_E10value_typeEPSN_NS1_7vsmem_tEENKUlT_SL_SM_SN_E_clIS8_S8_S9_S9_EESK_S10_SL_SM_SN_EUlS10_E0_NS1_11comp_targetILNS1_3genE4ELNS1_11target_archE910ELNS1_3gpuE8ELNS1_3repE0EEENS1_38merge_mergepath_config_static_selectorELNS0_4arch9wavefront6targetE1EEEvSM_,@function
_ZN7rocprim17ROCPRIM_400000_NS6detail17trampoline_kernelINS0_14default_configENS1_38merge_sort_block_merge_config_selectorIlNS0_10empty_typeEEEZZNS1_27merge_sort_block_merge_implIS3_PlPS5_mZN2at6native12_GLOBAL__N_124unique_dim_cuda_templateIlEESt5tupleIJNSA_6TensorESF_SF_EERKSF_lbbbEUlllE_EE10hipError_tT0_T1_T2_jT3_P12ihipStream_tbPNSt15iterator_traitsISL_E10value_typeEPNSR_ISM_E10value_typeEPSN_NS1_7vsmem_tEENKUlT_SL_SM_SN_E_clIS8_S8_S9_S9_EESK_S10_SL_SM_SN_EUlS10_E0_NS1_11comp_targetILNS1_3genE4ELNS1_11target_archE910ELNS1_3gpuE8ELNS1_3repE0EEENS1_38merge_mergepath_config_static_selectorELNS0_4arch9wavefront6targetE1EEEvSM_: ; @_ZN7rocprim17ROCPRIM_400000_NS6detail17trampoline_kernelINS0_14default_configENS1_38merge_sort_block_merge_config_selectorIlNS0_10empty_typeEEEZZNS1_27merge_sort_block_merge_implIS3_PlPS5_mZN2at6native12_GLOBAL__N_124unique_dim_cuda_templateIlEESt5tupleIJNSA_6TensorESF_SF_EERKSF_lbbbEUlllE_EE10hipError_tT0_T1_T2_jT3_P12ihipStream_tbPNSt15iterator_traitsISL_E10value_typeEPNSR_ISM_E10value_typeEPSN_NS1_7vsmem_tEENKUlT_SL_SM_SN_E_clIS8_S8_S9_S9_EESK_S10_SL_SM_SN_EUlS10_E0_NS1_11comp_targetILNS1_3genE4ELNS1_11target_archE910ELNS1_3gpuE8ELNS1_3repE0EEENS1_38merge_mergepath_config_static_selectorELNS0_4arch9wavefront6targetE1EEEvSM_
; %bb.0:
	.section	.rodata,"a",@progbits
	.p2align	6, 0x0
	.amdhsa_kernel _ZN7rocprim17ROCPRIM_400000_NS6detail17trampoline_kernelINS0_14default_configENS1_38merge_sort_block_merge_config_selectorIlNS0_10empty_typeEEEZZNS1_27merge_sort_block_merge_implIS3_PlPS5_mZN2at6native12_GLOBAL__N_124unique_dim_cuda_templateIlEESt5tupleIJNSA_6TensorESF_SF_EERKSF_lbbbEUlllE_EE10hipError_tT0_T1_T2_jT3_P12ihipStream_tbPNSt15iterator_traitsISL_E10value_typeEPNSR_ISM_E10value_typeEPSN_NS1_7vsmem_tEENKUlT_SL_SM_SN_E_clIS8_S8_S9_S9_EESK_S10_SL_SM_SN_EUlS10_E0_NS1_11comp_targetILNS1_3genE4ELNS1_11target_archE910ELNS1_3gpuE8ELNS1_3repE0EEENS1_38merge_mergepath_config_static_selectorELNS0_4arch9wavefront6targetE1EEEvSM_
		.amdhsa_group_segment_fixed_size 0
		.amdhsa_private_segment_fixed_size 0
		.amdhsa_kernarg_size 88
		.amdhsa_user_sgpr_count 2
		.amdhsa_user_sgpr_dispatch_ptr 0
		.amdhsa_user_sgpr_queue_ptr 0
		.amdhsa_user_sgpr_kernarg_segment_ptr 1
		.amdhsa_user_sgpr_dispatch_id 0
		.amdhsa_user_sgpr_kernarg_preload_length 0
		.amdhsa_user_sgpr_kernarg_preload_offset 0
		.amdhsa_user_sgpr_private_segment_size 0
		.amdhsa_uses_dynamic_stack 0
		.amdhsa_enable_private_segment 0
		.amdhsa_system_sgpr_workgroup_id_x 1
		.amdhsa_system_sgpr_workgroup_id_y 0
		.amdhsa_system_sgpr_workgroup_id_z 0
		.amdhsa_system_sgpr_workgroup_info 0
		.amdhsa_system_vgpr_workitem_id 0
		.amdhsa_next_free_vgpr 1
		.amdhsa_next_free_sgpr 0
		.amdhsa_accum_offset 4
		.amdhsa_reserve_vcc 0
		.amdhsa_float_round_mode_32 0
		.amdhsa_float_round_mode_16_64 0
		.amdhsa_float_denorm_mode_32 3
		.amdhsa_float_denorm_mode_16_64 3
		.amdhsa_dx10_clamp 1
		.amdhsa_ieee_mode 1
		.amdhsa_fp16_overflow 0
		.amdhsa_tg_split 0
		.amdhsa_exception_fp_ieee_invalid_op 0
		.amdhsa_exception_fp_denorm_src 0
		.amdhsa_exception_fp_ieee_div_zero 0
		.amdhsa_exception_fp_ieee_overflow 0
		.amdhsa_exception_fp_ieee_underflow 0
		.amdhsa_exception_fp_ieee_inexact 0
		.amdhsa_exception_int_div_zero 0
	.end_amdhsa_kernel
	.section	.text._ZN7rocprim17ROCPRIM_400000_NS6detail17trampoline_kernelINS0_14default_configENS1_38merge_sort_block_merge_config_selectorIlNS0_10empty_typeEEEZZNS1_27merge_sort_block_merge_implIS3_PlPS5_mZN2at6native12_GLOBAL__N_124unique_dim_cuda_templateIlEESt5tupleIJNSA_6TensorESF_SF_EERKSF_lbbbEUlllE_EE10hipError_tT0_T1_T2_jT3_P12ihipStream_tbPNSt15iterator_traitsISL_E10value_typeEPNSR_ISM_E10value_typeEPSN_NS1_7vsmem_tEENKUlT_SL_SM_SN_E_clIS8_S8_S9_S9_EESK_S10_SL_SM_SN_EUlS10_E0_NS1_11comp_targetILNS1_3genE4ELNS1_11target_archE910ELNS1_3gpuE8ELNS1_3repE0EEENS1_38merge_mergepath_config_static_selectorELNS0_4arch9wavefront6targetE1EEEvSM_,"axG",@progbits,_ZN7rocprim17ROCPRIM_400000_NS6detail17trampoline_kernelINS0_14default_configENS1_38merge_sort_block_merge_config_selectorIlNS0_10empty_typeEEEZZNS1_27merge_sort_block_merge_implIS3_PlPS5_mZN2at6native12_GLOBAL__N_124unique_dim_cuda_templateIlEESt5tupleIJNSA_6TensorESF_SF_EERKSF_lbbbEUlllE_EE10hipError_tT0_T1_T2_jT3_P12ihipStream_tbPNSt15iterator_traitsISL_E10value_typeEPNSR_ISM_E10value_typeEPSN_NS1_7vsmem_tEENKUlT_SL_SM_SN_E_clIS8_S8_S9_S9_EESK_S10_SL_SM_SN_EUlS10_E0_NS1_11comp_targetILNS1_3genE4ELNS1_11target_archE910ELNS1_3gpuE8ELNS1_3repE0EEENS1_38merge_mergepath_config_static_selectorELNS0_4arch9wavefront6targetE1EEEvSM_,comdat
.Lfunc_end525:
	.size	_ZN7rocprim17ROCPRIM_400000_NS6detail17trampoline_kernelINS0_14default_configENS1_38merge_sort_block_merge_config_selectorIlNS0_10empty_typeEEEZZNS1_27merge_sort_block_merge_implIS3_PlPS5_mZN2at6native12_GLOBAL__N_124unique_dim_cuda_templateIlEESt5tupleIJNSA_6TensorESF_SF_EERKSF_lbbbEUlllE_EE10hipError_tT0_T1_T2_jT3_P12ihipStream_tbPNSt15iterator_traitsISL_E10value_typeEPNSR_ISM_E10value_typeEPSN_NS1_7vsmem_tEENKUlT_SL_SM_SN_E_clIS8_S8_S9_S9_EESK_S10_SL_SM_SN_EUlS10_E0_NS1_11comp_targetILNS1_3genE4ELNS1_11target_archE910ELNS1_3gpuE8ELNS1_3repE0EEENS1_38merge_mergepath_config_static_selectorELNS0_4arch9wavefront6targetE1EEEvSM_, .Lfunc_end525-_ZN7rocprim17ROCPRIM_400000_NS6detail17trampoline_kernelINS0_14default_configENS1_38merge_sort_block_merge_config_selectorIlNS0_10empty_typeEEEZZNS1_27merge_sort_block_merge_implIS3_PlPS5_mZN2at6native12_GLOBAL__N_124unique_dim_cuda_templateIlEESt5tupleIJNSA_6TensorESF_SF_EERKSF_lbbbEUlllE_EE10hipError_tT0_T1_T2_jT3_P12ihipStream_tbPNSt15iterator_traitsISL_E10value_typeEPNSR_ISM_E10value_typeEPSN_NS1_7vsmem_tEENKUlT_SL_SM_SN_E_clIS8_S8_S9_S9_EESK_S10_SL_SM_SN_EUlS10_E0_NS1_11comp_targetILNS1_3genE4ELNS1_11target_archE910ELNS1_3gpuE8ELNS1_3repE0EEENS1_38merge_mergepath_config_static_selectorELNS0_4arch9wavefront6targetE1EEEvSM_
                                        ; -- End function
	.set _ZN7rocprim17ROCPRIM_400000_NS6detail17trampoline_kernelINS0_14default_configENS1_38merge_sort_block_merge_config_selectorIlNS0_10empty_typeEEEZZNS1_27merge_sort_block_merge_implIS3_PlPS5_mZN2at6native12_GLOBAL__N_124unique_dim_cuda_templateIlEESt5tupleIJNSA_6TensorESF_SF_EERKSF_lbbbEUlllE_EE10hipError_tT0_T1_T2_jT3_P12ihipStream_tbPNSt15iterator_traitsISL_E10value_typeEPNSR_ISM_E10value_typeEPSN_NS1_7vsmem_tEENKUlT_SL_SM_SN_E_clIS8_S8_S9_S9_EESK_S10_SL_SM_SN_EUlS10_E0_NS1_11comp_targetILNS1_3genE4ELNS1_11target_archE910ELNS1_3gpuE8ELNS1_3repE0EEENS1_38merge_mergepath_config_static_selectorELNS0_4arch9wavefront6targetE1EEEvSM_.num_vgpr, 0
	.set _ZN7rocprim17ROCPRIM_400000_NS6detail17trampoline_kernelINS0_14default_configENS1_38merge_sort_block_merge_config_selectorIlNS0_10empty_typeEEEZZNS1_27merge_sort_block_merge_implIS3_PlPS5_mZN2at6native12_GLOBAL__N_124unique_dim_cuda_templateIlEESt5tupleIJNSA_6TensorESF_SF_EERKSF_lbbbEUlllE_EE10hipError_tT0_T1_T2_jT3_P12ihipStream_tbPNSt15iterator_traitsISL_E10value_typeEPNSR_ISM_E10value_typeEPSN_NS1_7vsmem_tEENKUlT_SL_SM_SN_E_clIS8_S8_S9_S9_EESK_S10_SL_SM_SN_EUlS10_E0_NS1_11comp_targetILNS1_3genE4ELNS1_11target_archE910ELNS1_3gpuE8ELNS1_3repE0EEENS1_38merge_mergepath_config_static_selectorELNS0_4arch9wavefront6targetE1EEEvSM_.num_agpr, 0
	.set _ZN7rocprim17ROCPRIM_400000_NS6detail17trampoline_kernelINS0_14default_configENS1_38merge_sort_block_merge_config_selectorIlNS0_10empty_typeEEEZZNS1_27merge_sort_block_merge_implIS3_PlPS5_mZN2at6native12_GLOBAL__N_124unique_dim_cuda_templateIlEESt5tupleIJNSA_6TensorESF_SF_EERKSF_lbbbEUlllE_EE10hipError_tT0_T1_T2_jT3_P12ihipStream_tbPNSt15iterator_traitsISL_E10value_typeEPNSR_ISM_E10value_typeEPSN_NS1_7vsmem_tEENKUlT_SL_SM_SN_E_clIS8_S8_S9_S9_EESK_S10_SL_SM_SN_EUlS10_E0_NS1_11comp_targetILNS1_3genE4ELNS1_11target_archE910ELNS1_3gpuE8ELNS1_3repE0EEENS1_38merge_mergepath_config_static_selectorELNS0_4arch9wavefront6targetE1EEEvSM_.numbered_sgpr, 0
	.set _ZN7rocprim17ROCPRIM_400000_NS6detail17trampoline_kernelINS0_14default_configENS1_38merge_sort_block_merge_config_selectorIlNS0_10empty_typeEEEZZNS1_27merge_sort_block_merge_implIS3_PlPS5_mZN2at6native12_GLOBAL__N_124unique_dim_cuda_templateIlEESt5tupleIJNSA_6TensorESF_SF_EERKSF_lbbbEUlllE_EE10hipError_tT0_T1_T2_jT3_P12ihipStream_tbPNSt15iterator_traitsISL_E10value_typeEPNSR_ISM_E10value_typeEPSN_NS1_7vsmem_tEENKUlT_SL_SM_SN_E_clIS8_S8_S9_S9_EESK_S10_SL_SM_SN_EUlS10_E0_NS1_11comp_targetILNS1_3genE4ELNS1_11target_archE910ELNS1_3gpuE8ELNS1_3repE0EEENS1_38merge_mergepath_config_static_selectorELNS0_4arch9wavefront6targetE1EEEvSM_.num_named_barrier, 0
	.set _ZN7rocprim17ROCPRIM_400000_NS6detail17trampoline_kernelINS0_14default_configENS1_38merge_sort_block_merge_config_selectorIlNS0_10empty_typeEEEZZNS1_27merge_sort_block_merge_implIS3_PlPS5_mZN2at6native12_GLOBAL__N_124unique_dim_cuda_templateIlEESt5tupleIJNSA_6TensorESF_SF_EERKSF_lbbbEUlllE_EE10hipError_tT0_T1_T2_jT3_P12ihipStream_tbPNSt15iterator_traitsISL_E10value_typeEPNSR_ISM_E10value_typeEPSN_NS1_7vsmem_tEENKUlT_SL_SM_SN_E_clIS8_S8_S9_S9_EESK_S10_SL_SM_SN_EUlS10_E0_NS1_11comp_targetILNS1_3genE4ELNS1_11target_archE910ELNS1_3gpuE8ELNS1_3repE0EEENS1_38merge_mergepath_config_static_selectorELNS0_4arch9wavefront6targetE1EEEvSM_.private_seg_size, 0
	.set _ZN7rocprim17ROCPRIM_400000_NS6detail17trampoline_kernelINS0_14default_configENS1_38merge_sort_block_merge_config_selectorIlNS0_10empty_typeEEEZZNS1_27merge_sort_block_merge_implIS3_PlPS5_mZN2at6native12_GLOBAL__N_124unique_dim_cuda_templateIlEESt5tupleIJNSA_6TensorESF_SF_EERKSF_lbbbEUlllE_EE10hipError_tT0_T1_T2_jT3_P12ihipStream_tbPNSt15iterator_traitsISL_E10value_typeEPNSR_ISM_E10value_typeEPSN_NS1_7vsmem_tEENKUlT_SL_SM_SN_E_clIS8_S8_S9_S9_EESK_S10_SL_SM_SN_EUlS10_E0_NS1_11comp_targetILNS1_3genE4ELNS1_11target_archE910ELNS1_3gpuE8ELNS1_3repE0EEENS1_38merge_mergepath_config_static_selectorELNS0_4arch9wavefront6targetE1EEEvSM_.uses_vcc, 0
	.set _ZN7rocprim17ROCPRIM_400000_NS6detail17trampoline_kernelINS0_14default_configENS1_38merge_sort_block_merge_config_selectorIlNS0_10empty_typeEEEZZNS1_27merge_sort_block_merge_implIS3_PlPS5_mZN2at6native12_GLOBAL__N_124unique_dim_cuda_templateIlEESt5tupleIJNSA_6TensorESF_SF_EERKSF_lbbbEUlllE_EE10hipError_tT0_T1_T2_jT3_P12ihipStream_tbPNSt15iterator_traitsISL_E10value_typeEPNSR_ISM_E10value_typeEPSN_NS1_7vsmem_tEENKUlT_SL_SM_SN_E_clIS8_S8_S9_S9_EESK_S10_SL_SM_SN_EUlS10_E0_NS1_11comp_targetILNS1_3genE4ELNS1_11target_archE910ELNS1_3gpuE8ELNS1_3repE0EEENS1_38merge_mergepath_config_static_selectorELNS0_4arch9wavefront6targetE1EEEvSM_.uses_flat_scratch, 0
	.set _ZN7rocprim17ROCPRIM_400000_NS6detail17trampoline_kernelINS0_14default_configENS1_38merge_sort_block_merge_config_selectorIlNS0_10empty_typeEEEZZNS1_27merge_sort_block_merge_implIS3_PlPS5_mZN2at6native12_GLOBAL__N_124unique_dim_cuda_templateIlEESt5tupleIJNSA_6TensorESF_SF_EERKSF_lbbbEUlllE_EE10hipError_tT0_T1_T2_jT3_P12ihipStream_tbPNSt15iterator_traitsISL_E10value_typeEPNSR_ISM_E10value_typeEPSN_NS1_7vsmem_tEENKUlT_SL_SM_SN_E_clIS8_S8_S9_S9_EESK_S10_SL_SM_SN_EUlS10_E0_NS1_11comp_targetILNS1_3genE4ELNS1_11target_archE910ELNS1_3gpuE8ELNS1_3repE0EEENS1_38merge_mergepath_config_static_selectorELNS0_4arch9wavefront6targetE1EEEvSM_.has_dyn_sized_stack, 0
	.set _ZN7rocprim17ROCPRIM_400000_NS6detail17trampoline_kernelINS0_14default_configENS1_38merge_sort_block_merge_config_selectorIlNS0_10empty_typeEEEZZNS1_27merge_sort_block_merge_implIS3_PlPS5_mZN2at6native12_GLOBAL__N_124unique_dim_cuda_templateIlEESt5tupleIJNSA_6TensorESF_SF_EERKSF_lbbbEUlllE_EE10hipError_tT0_T1_T2_jT3_P12ihipStream_tbPNSt15iterator_traitsISL_E10value_typeEPNSR_ISM_E10value_typeEPSN_NS1_7vsmem_tEENKUlT_SL_SM_SN_E_clIS8_S8_S9_S9_EESK_S10_SL_SM_SN_EUlS10_E0_NS1_11comp_targetILNS1_3genE4ELNS1_11target_archE910ELNS1_3gpuE8ELNS1_3repE0EEENS1_38merge_mergepath_config_static_selectorELNS0_4arch9wavefront6targetE1EEEvSM_.has_recursion, 0
	.set _ZN7rocprim17ROCPRIM_400000_NS6detail17trampoline_kernelINS0_14default_configENS1_38merge_sort_block_merge_config_selectorIlNS0_10empty_typeEEEZZNS1_27merge_sort_block_merge_implIS3_PlPS5_mZN2at6native12_GLOBAL__N_124unique_dim_cuda_templateIlEESt5tupleIJNSA_6TensorESF_SF_EERKSF_lbbbEUlllE_EE10hipError_tT0_T1_T2_jT3_P12ihipStream_tbPNSt15iterator_traitsISL_E10value_typeEPNSR_ISM_E10value_typeEPSN_NS1_7vsmem_tEENKUlT_SL_SM_SN_E_clIS8_S8_S9_S9_EESK_S10_SL_SM_SN_EUlS10_E0_NS1_11comp_targetILNS1_3genE4ELNS1_11target_archE910ELNS1_3gpuE8ELNS1_3repE0EEENS1_38merge_mergepath_config_static_selectorELNS0_4arch9wavefront6targetE1EEEvSM_.has_indirect_call, 0
	.section	.AMDGPU.csdata,"",@progbits
; Kernel info:
; codeLenInByte = 0
; TotalNumSgprs: 6
; NumVgprs: 0
; NumAgprs: 0
; TotalNumVgprs: 0
; ScratchSize: 0
; MemoryBound: 0
; FloatMode: 240
; IeeeMode: 1
; LDSByteSize: 0 bytes/workgroup (compile time only)
; SGPRBlocks: 0
; VGPRBlocks: 0
; NumSGPRsForWavesPerEU: 6
; NumVGPRsForWavesPerEU: 1
; AccumOffset: 4
; Occupancy: 8
; WaveLimiterHint : 0
; COMPUTE_PGM_RSRC2:SCRATCH_EN: 0
; COMPUTE_PGM_RSRC2:USER_SGPR: 2
; COMPUTE_PGM_RSRC2:TRAP_HANDLER: 0
; COMPUTE_PGM_RSRC2:TGID_X_EN: 1
; COMPUTE_PGM_RSRC2:TGID_Y_EN: 0
; COMPUTE_PGM_RSRC2:TGID_Z_EN: 0
; COMPUTE_PGM_RSRC2:TIDIG_COMP_CNT: 0
; COMPUTE_PGM_RSRC3_GFX90A:ACCUM_OFFSET: 0
; COMPUTE_PGM_RSRC3_GFX90A:TG_SPLIT: 0
	.section	.text._ZN7rocprim17ROCPRIM_400000_NS6detail17trampoline_kernelINS0_14default_configENS1_38merge_sort_block_merge_config_selectorIlNS0_10empty_typeEEEZZNS1_27merge_sort_block_merge_implIS3_PlPS5_mZN2at6native12_GLOBAL__N_124unique_dim_cuda_templateIlEESt5tupleIJNSA_6TensorESF_SF_EERKSF_lbbbEUlllE_EE10hipError_tT0_T1_T2_jT3_P12ihipStream_tbPNSt15iterator_traitsISL_E10value_typeEPNSR_ISM_E10value_typeEPSN_NS1_7vsmem_tEENKUlT_SL_SM_SN_E_clIS8_S8_S9_S9_EESK_S10_SL_SM_SN_EUlS10_E0_NS1_11comp_targetILNS1_3genE3ELNS1_11target_archE908ELNS1_3gpuE7ELNS1_3repE0EEENS1_38merge_mergepath_config_static_selectorELNS0_4arch9wavefront6targetE1EEEvSM_,"axG",@progbits,_ZN7rocprim17ROCPRIM_400000_NS6detail17trampoline_kernelINS0_14default_configENS1_38merge_sort_block_merge_config_selectorIlNS0_10empty_typeEEEZZNS1_27merge_sort_block_merge_implIS3_PlPS5_mZN2at6native12_GLOBAL__N_124unique_dim_cuda_templateIlEESt5tupleIJNSA_6TensorESF_SF_EERKSF_lbbbEUlllE_EE10hipError_tT0_T1_T2_jT3_P12ihipStream_tbPNSt15iterator_traitsISL_E10value_typeEPNSR_ISM_E10value_typeEPSN_NS1_7vsmem_tEENKUlT_SL_SM_SN_E_clIS8_S8_S9_S9_EESK_S10_SL_SM_SN_EUlS10_E0_NS1_11comp_targetILNS1_3genE3ELNS1_11target_archE908ELNS1_3gpuE7ELNS1_3repE0EEENS1_38merge_mergepath_config_static_selectorELNS0_4arch9wavefront6targetE1EEEvSM_,comdat
	.globl	_ZN7rocprim17ROCPRIM_400000_NS6detail17trampoline_kernelINS0_14default_configENS1_38merge_sort_block_merge_config_selectorIlNS0_10empty_typeEEEZZNS1_27merge_sort_block_merge_implIS3_PlPS5_mZN2at6native12_GLOBAL__N_124unique_dim_cuda_templateIlEESt5tupleIJNSA_6TensorESF_SF_EERKSF_lbbbEUlllE_EE10hipError_tT0_T1_T2_jT3_P12ihipStream_tbPNSt15iterator_traitsISL_E10value_typeEPNSR_ISM_E10value_typeEPSN_NS1_7vsmem_tEENKUlT_SL_SM_SN_E_clIS8_S8_S9_S9_EESK_S10_SL_SM_SN_EUlS10_E0_NS1_11comp_targetILNS1_3genE3ELNS1_11target_archE908ELNS1_3gpuE7ELNS1_3repE0EEENS1_38merge_mergepath_config_static_selectorELNS0_4arch9wavefront6targetE1EEEvSM_ ; -- Begin function _ZN7rocprim17ROCPRIM_400000_NS6detail17trampoline_kernelINS0_14default_configENS1_38merge_sort_block_merge_config_selectorIlNS0_10empty_typeEEEZZNS1_27merge_sort_block_merge_implIS3_PlPS5_mZN2at6native12_GLOBAL__N_124unique_dim_cuda_templateIlEESt5tupleIJNSA_6TensorESF_SF_EERKSF_lbbbEUlllE_EE10hipError_tT0_T1_T2_jT3_P12ihipStream_tbPNSt15iterator_traitsISL_E10value_typeEPNSR_ISM_E10value_typeEPSN_NS1_7vsmem_tEENKUlT_SL_SM_SN_E_clIS8_S8_S9_S9_EESK_S10_SL_SM_SN_EUlS10_E0_NS1_11comp_targetILNS1_3genE3ELNS1_11target_archE908ELNS1_3gpuE7ELNS1_3repE0EEENS1_38merge_mergepath_config_static_selectorELNS0_4arch9wavefront6targetE1EEEvSM_
	.p2align	8
	.type	_ZN7rocprim17ROCPRIM_400000_NS6detail17trampoline_kernelINS0_14default_configENS1_38merge_sort_block_merge_config_selectorIlNS0_10empty_typeEEEZZNS1_27merge_sort_block_merge_implIS3_PlPS5_mZN2at6native12_GLOBAL__N_124unique_dim_cuda_templateIlEESt5tupleIJNSA_6TensorESF_SF_EERKSF_lbbbEUlllE_EE10hipError_tT0_T1_T2_jT3_P12ihipStream_tbPNSt15iterator_traitsISL_E10value_typeEPNSR_ISM_E10value_typeEPSN_NS1_7vsmem_tEENKUlT_SL_SM_SN_E_clIS8_S8_S9_S9_EESK_S10_SL_SM_SN_EUlS10_E0_NS1_11comp_targetILNS1_3genE3ELNS1_11target_archE908ELNS1_3gpuE7ELNS1_3repE0EEENS1_38merge_mergepath_config_static_selectorELNS0_4arch9wavefront6targetE1EEEvSM_,@function
_ZN7rocprim17ROCPRIM_400000_NS6detail17trampoline_kernelINS0_14default_configENS1_38merge_sort_block_merge_config_selectorIlNS0_10empty_typeEEEZZNS1_27merge_sort_block_merge_implIS3_PlPS5_mZN2at6native12_GLOBAL__N_124unique_dim_cuda_templateIlEESt5tupleIJNSA_6TensorESF_SF_EERKSF_lbbbEUlllE_EE10hipError_tT0_T1_T2_jT3_P12ihipStream_tbPNSt15iterator_traitsISL_E10value_typeEPNSR_ISM_E10value_typeEPSN_NS1_7vsmem_tEENKUlT_SL_SM_SN_E_clIS8_S8_S9_S9_EESK_S10_SL_SM_SN_EUlS10_E0_NS1_11comp_targetILNS1_3genE3ELNS1_11target_archE908ELNS1_3gpuE7ELNS1_3repE0EEENS1_38merge_mergepath_config_static_selectorELNS0_4arch9wavefront6targetE1EEEvSM_: ; @_ZN7rocprim17ROCPRIM_400000_NS6detail17trampoline_kernelINS0_14default_configENS1_38merge_sort_block_merge_config_selectorIlNS0_10empty_typeEEEZZNS1_27merge_sort_block_merge_implIS3_PlPS5_mZN2at6native12_GLOBAL__N_124unique_dim_cuda_templateIlEESt5tupleIJNSA_6TensorESF_SF_EERKSF_lbbbEUlllE_EE10hipError_tT0_T1_T2_jT3_P12ihipStream_tbPNSt15iterator_traitsISL_E10value_typeEPNSR_ISM_E10value_typeEPSN_NS1_7vsmem_tEENKUlT_SL_SM_SN_E_clIS8_S8_S9_S9_EESK_S10_SL_SM_SN_EUlS10_E0_NS1_11comp_targetILNS1_3genE3ELNS1_11target_archE908ELNS1_3gpuE7ELNS1_3repE0EEENS1_38merge_mergepath_config_static_selectorELNS0_4arch9wavefront6targetE1EEEvSM_
; %bb.0:
	.section	.rodata,"a",@progbits
	.p2align	6, 0x0
	.amdhsa_kernel _ZN7rocprim17ROCPRIM_400000_NS6detail17trampoline_kernelINS0_14default_configENS1_38merge_sort_block_merge_config_selectorIlNS0_10empty_typeEEEZZNS1_27merge_sort_block_merge_implIS3_PlPS5_mZN2at6native12_GLOBAL__N_124unique_dim_cuda_templateIlEESt5tupleIJNSA_6TensorESF_SF_EERKSF_lbbbEUlllE_EE10hipError_tT0_T1_T2_jT3_P12ihipStream_tbPNSt15iterator_traitsISL_E10value_typeEPNSR_ISM_E10value_typeEPSN_NS1_7vsmem_tEENKUlT_SL_SM_SN_E_clIS8_S8_S9_S9_EESK_S10_SL_SM_SN_EUlS10_E0_NS1_11comp_targetILNS1_3genE3ELNS1_11target_archE908ELNS1_3gpuE7ELNS1_3repE0EEENS1_38merge_mergepath_config_static_selectorELNS0_4arch9wavefront6targetE1EEEvSM_
		.amdhsa_group_segment_fixed_size 0
		.amdhsa_private_segment_fixed_size 0
		.amdhsa_kernarg_size 88
		.amdhsa_user_sgpr_count 2
		.amdhsa_user_sgpr_dispatch_ptr 0
		.amdhsa_user_sgpr_queue_ptr 0
		.amdhsa_user_sgpr_kernarg_segment_ptr 1
		.amdhsa_user_sgpr_dispatch_id 0
		.amdhsa_user_sgpr_kernarg_preload_length 0
		.amdhsa_user_sgpr_kernarg_preload_offset 0
		.amdhsa_user_sgpr_private_segment_size 0
		.amdhsa_uses_dynamic_stack 0
		.amdhsa_enable_private_segment 0
		.amdhsa_system_sgpr_workgroup_id_x 1
		.amdhsa_system_sgpr_workgroup_id_y 0
		.amdhsa_system_sgpr_workgroup_id_z 0
		.amdhsa_system_sgpr_workgroup_info 0
		.amdhsa_system_vgpr_workitem_id 0
		.amdhsa_next_free_vgpr 1
		.amdhsa_next_free_sgpr 0
		.amdhsa_accum_offset 4
		.amdhsa_reserve_vcc 0
		.amdhsa_float_round_mode_32 0
		.amdhsa_float_round_mode_16_64 0
		.amdhsa_float_denorm_mode_32 3
		.amdhsa_float_denorm_mode_16_64 3
		.amdhsa_dx10_clamp 1
		.amdhsa_ieee_mode 1
		.amdhsa_fp16_overflow 0
		.amdhsa_tg_split 0
		.amdhsa_exception_fp_ieee_invalid_op 0
		.amdhsa_exception_fp_denorm_src 0
		.amdhsa_exception_fp_ieee_div_zero 0
		.amdhsa_exception_fp_ieee_overflow 0
		.amdhsa_exception_fp_ieee_underflow 0
		.amdhsa_exception_fp_ieee_inexact 0
		.amdhsa_exception_int_div_zero 0
	.end_amdhsa_kernel
	.section	.text._ZN7rocprim17ROCPRIM_400000_NS6detail17trampoline_kernelINS0_14default_configENS1_38merge_sort_block_merge_config_selectorIlNS0_10empty_typeEEEZZNS1_27merge_sort_block_merge_implIS3_PlPS5_mZN2at6native12_GLOBAL__N_124unique_dim_cuda_templateIlEESt5tupleIJNSA_6TensorESF_SF_EERKSF_lbbbEUlllE_EE10hipError_tT0_T1_T2_jT3_P12ihipStream_tbPNSt15iterator_traitsISL_E10value_typeEPNSR_ISM_E10value_typeEPSN_NS1_7vsmem_tEENKUlT_SL_SM_SN_E_clIS8_S8_S9_S9_EESK_S10_SL_SM_SN_EUlS10_E0_NS1_11comp_targetILNS1_3genE3ELNS1_11target_archE908ELNS1_3gpuE7ELNS1_3repE0EEENS1_38merge_mergepath_config_static_selectorELNS0_4arch9wavefront6targetE1EEEvSM_,"axG",@progbits,_ZN7rocprim17ROCPRIM_400000_NS6detail17trampoline_kernelINS0_14default_configENS1_38merge_sort_block_merge_config_selectorIlNS0_10empty_typeEEEZZNS1_27merge_sort_block_merge_implIS3_PlPS5_mZN2at6native12_GLOBAL__N_124unique_dim_cuda_templateIlEESt5tupleIJNSA_6TensorESF_SF_EERKSF_lbbbEUlllE_EE10hipError_tT0_T1_T2_jT3_P12ihipStream_tbPNSt15iterator_traitsISL_E10value_typeEPNSR_ISM_E10value_typeEPSN_NS1_7vsmem_tEENKUlT_SL_SM_SN_E_clIS8_S8_S9_S9_EESK_S10_SL_SM_SN_EUlS10_E0_NS1_11comp_targetILNS1_3genE3ELNS1_11target_archE908ELNS1_3gpuE7ELNS1_3repE0EEENS1_38merge_mergepath_config_static_selectorELNS0_4arch9wavefront6targetE1EEEvSM_,comdat
.Lfunc_end526:
	.size	_ZN7rocprim17ROCPRIM_400000_NS6detail17trampoline_kernelINS0_14default_configENS1_38merge_sort_block_merge_config_selectorIlNS0_10empty_typeEEEZZNS1_27merge_sort_block_merge_implIS3_PlPS5_mZN2at6native12_GLOBAL__N_124unique_dim_cuda_templateIlEESt5tupleIJNSA_6TensorESF_SF_EERKSF_lbbbEUlllE_EE10hipError_tT0_T1_T2_jT3_P12ihipStream_tbPNSt15iterator_traitsISL_E10value_typeEPNSR_ISM_E10value_typeEPSN_NS1_7vsmem_tEENKUlT_SL_SM_SN_E_clIS8_S8_S9_S9_EESK_S10_SL_SM_SN_EUlS10_E0_NS1_11comp_targetILNS1_3genE3ELNS1_11target_archE908ELNS1_3gpuE7ELNS1_3repE0EEENS1_38merge_mergepath_config_static_selectorELNS0_4arch9wavefront6targetE1EEEvSM_, .Lfunc_end526-_ZN7rocprim17ROCPRIM_400000_NS6detail17trampoline_kernelINS0_14default_configENS1_38merge_sort_block_merge_config_selectorIlNS0_10empty_typeEEEZZNS1_27merge_sort_block_merge_implIS3_PlPS5_mZN2at6native12_GLOBAL__N_124unique_dim_cuda_templateIlEESt5tupleIJNSA_6TensorESF_SF_EERKSF_lbbbEUlllE_EE10hipError_tT0_T1_T2_jT3_P12ihipStream_tbPNSt15iterator_traitsISL_E10value_typeEPNSR_ISM_E10value_typeEPSN_NS1_7vsmem_tEENKUlT_SL_SM_SN_E_clIS8_S8_S9_S9_EESK_S10_SL_SM_SN_EUlS10_E0_NS1_11comp_targetILNS1_3genE3ELNS1_11target_archE908ELNS1_3gpuE7ELNS1_3repE0EEENS1_38merge_mergepath_config_static_selectorELNS0_4arch9wavefront6targetE1EEEvSM_
                                        ; -- End function
	.set _ZN7rocprim17ROCPRIM_400000_NS6detail17trampoline_kernelINS0_14default_configENS1_38merge_sort_block_merge_config_selectorIlNS0_10empty_typeEEEZZNS1_27merge_sort_block_merge_implIS3_PlPS5_mZN2at6native12_GLOBAL__N_124unique_dim_cuda_templateIlEESt5tupleIJNSA_6TensorESF_SF_EERKSF_lbbbEUlllE_EE10hipError_tT0_T1_T2_jT3_P12ihipStream_tbPNSt15iterator_traitsISL_E10value_typeEPNSR_ISM_E10value_typeEPSN_NS1_7vsmem_tEENKUlT_SL_SM_SN_E_clIS8_S8_S9_S9_EESK_S10_SL_SM_SN_EUlS10_E0_NS1_11comp_targetILNS1_3genE3ELNS1_11target_archE908ELNS1_3gpuE7ELNS1_3repE0EEENS1_38merge_mergepath_config_static_selectorELNS0_4arch9wavefront6targetE1EEEvSM_.num_vgpr, 0
	.set _ZN7rocprim17ROCPRIM_400000_NS6detail17trampoline_kernelINS0_14default_configENS1_38merge_sort_block_merge_config_selectorIlNS0_10empty_typeEEEZZNS1_27merge_sort_block_merge_implIS3_PlPS5_mZN2at6native12_GLOBAL__N_124unique_dim_cuda_templateIlEESt5tupleIJNSA_6TensorESF_SF_EERKSF_lbbbEUlllE_EE10hipError_tT0_T1_T2_jT3_P12ihipStream_tbPNSt15iterator_traitsISL_E10value_typeEPNSR_ISM_E10value_typeEPSN_NS1_7vsmem_tEENKUlT_SL_SM_SN_E_clIS8_S8_S9_S9_EESK_S10_SL_SM_SN_EUlS10_E0_NS1_11comp_targetILNS1_3genE3ELNS1_11target_archE908ELNS1_3gpuE7ELNS1_3repE0EEENS1_38merge_mergepath_config_static_selectorELNS0_4arch9wavefront6targetE1EEEvSM_.num_agpr, 0
	.set _ZN7rocprim17ROCPRIM_400000_NS6detail17trampoline_kernelINS0_14default_configENS1_38merge_sort_block_merge_config_selectorIlNS0_10empty_typeEEEZZNS1_27merge_sort_block_merge_implIS3_PlPS5_mZN2at6native12_GLOBAL__N_124unique_dim_cuda_templateIlEESt5tupleIJNSA_6TensorESF_SF_EERKSF_lbbbEUlllE_EE10hipError_tT0_T1_T2_jT3_P12ihipStream_tbPNSt15iterator_traitsISL_E10value_typeEPNSR_ISM_E10value_typeEPSN_NS1_7vsmem_tEENKUlT_SL_SM_SN_E_clIS8_S8_S9_S9_EESK_S10_SL_SM_SN_EUlS10_E0_NS1_11comp_targetILNS1_3genE3ELNS1_11target_archE908ELNS1_3gpuE7ELNS1_3repE0EEENS1_38merge_mergepath_config_static_selectorELNS0_4arch9wavefront6targetE1EEEvSM_.numbered_sgpr, 0
	.set _ZN7rocprim17ROCPRIM_400000_NS6detail17trampoline_kernelINS0_14default_configENS1_38merge_sort_block_merge_config_selectorIlNS0_10empty_typeEEEZZNS1_27merge_sort_block_merge_implIS3_PlPS5_mZN2at6native12_GLOBAL__N_124unique_dim_cuda_templateIlEESt5tupleIJNSA_6TensorESF_SF_EERKSF_lbbbEUlllE_EE10hipError_tT0_T1_T2_jT3_P12ihipStream_tbPNSt15iterator_traitsISL_E10value_typeEPNSR_ISM_E10value_typeEPSN_NS1_7vsmem_tEENKUlT_SL_SM_SN_E_clIS8_S8_S9_S9_EESK_S10_SL_SM_SN_EUlS10_E0_NS1_11comp_targetILNS1_3genE3ELNS1_11target_archE908ELNS1_3gpuE7ELNS1_3repE0EEENS1_38merge_mergepath_config_static_selectorELNS0_4arch9wavefront6targetE1EEEvSM_.num_named_barrier, 0
	.set _ZN7rocprim17ROCPRIM_400000_NS6detail17trampoline_kernelINS0_14default_configENS1_38merge_sort_block_merge_config_selectorIlNS0_10empty_typeEEEZZNS1_27merge_sort_block_merge_implIS3_PlPS5_mZN2at6native12_GLOBAL__N_124unique_dim_cuda_templateIlEESt5tupleIJNSA_6TensorESF_SF_EERKSF_lbbbEUlllE_EE10hipError_tT0_T1_T2_jT3_P12ihipStream_tbPNSt15iterator_traitsISL_E10value_typeEPNSR_ISM_E10value_typeEPSN_NS1_7vsmem_tEENKUlT_SL_SM_SN_E_clIS8_S8_S9_S9_EESK_S10_SL_SM_SN_EUlS10_E0_NS1_11comp_targetILNS1_3genE3ELNS1_11target_archE908ELNS1_3gpuE7ELNS1_3repE0EEENS1_38merge_mergepath_config_static_selectorELNS0_4arch9wavefront6targetE1EEEvSM_.private_seg_size, 0
	.set _ZN7rocprim17ROCPRIM_400000_NS6detail17trampoline_kernelINS0_14default_configENS1_38merge_sort_block_merge_config_selectorIlNS0_10empty_typeEEEZZNS1_27merge_sort_block_merge_implIS3_PlPS5_mZN2at6native12_GLOBAL__N_124unique_dim_cuda_templateIlEESt5tupleIJNSA_6TensorESF_SF_EERKSF_lbbbEUlllE_EE10hipError_tT0_T1_T2_jT3_P12ihipStream_tbPNSt15iterator_traitsISL_E10value_typeEPNSR_ISM_E10value_typeEPSN_NS1_7vsmem_tEENKUlT_SL_SM_SN_E_clIS8_S8_S9_S9_EESK_S10_SL_SM_SN_EUlS10_E0_NS1_11comp_targetILNS1_3genE3ELNS1_11target_archE908ELNS1_3gpuE7ELNS1_3repE0EEENS1_38merge_mergepath_config_static_selectorELNS0_4arch9wavefront6targetE1EEEvSM_.uses_vcc, 0
	.set _ZN7rocprim17ROCPRIM_400000_NS6detail17trampoline_kernelINS0_14default_configENS1_38merge_sort_block_merge_config_selectorIlNS0_10empty_typeEEEZZNS1_27merge_sort_block_merge_implIS3_PlPS5_mZN2at6native12_GLOBAL__N_124unique_dim_cuda_templateIlEESt5tupleIJNSA_6TensorESF_SF_EERKSF_lbbbEUlllE_EE10hipError_tT0_T1_T2_jT3_P12ihipStream_tbPNSt15iterator_traitsISL_E10value_typeEPNSR_ISM_E10value_typeEPSN_NS1_7vsmem_tEENKUlT_SL_SM_SN_E_clIS8_S8_S9_S9_EESK_S10_SL_SM_SN_EUlS10_E0_NS1_11comp_targetILNS1_3genE3ELNS1_11target_archE908ELNS1_3gpuE7ELNS1_3repE0EEENS1_38merge_mergepath_config_static_selectorELNS0_4arch9wavefront6targetE1EEEvSM_.uses_flat_scratch, 0
	.set _ZN7rocprim17ROCPRIM_400000_NS6detail17trampoline_kernelINS0_14default_configENS1_38merge_sort_block_merge_config_selectorIlNS0_10empty_typeEEEZZNS1_27merge_sort_block_merge_implIS3_PlPS5_mZN2at6native12_GLOBAL__N_124unique_dim_cuda_templateIlEESt5tupleIJNSA_6TensorESF_SF_EERKSF_lbbbEUlllE_EE10hipError_tT0_T1_T2_jT3_P12ihipStream_tbPNSt15iterator_traitsISL_E10value_typeEPNSR_ISM_E10value_typeEPSN_NS1_7vsmem_tEENKUlT_SL_SM_SN_E_clIS8_S8_S9_S9_EESK_S10_SL_SM_SN_EUlS10_E0_NS1_11comp_targetILNS1_3genE3ELNS1_11target_archE908ELNS1_3gpuE7ELNS1_3repE0EEENS1_38merge_mergepath_config_static_selectorELNS0_4arch9wavefront6targetE1EEEvSM_.has_dyn_sized_stack, 0
	.set _ZN7rocprim17ROCPRIM_400000_NS6detail17trampoline_kernelINS0_14default_configENS1_38merge_sort_block_merge_config_selectorIlNS0_10empty_typeEEEZZNS1_27merge_sort_block_merge_implIS3_PlPS5_mZN2at6native12_GLOBAL__N_124unique_dim_cuda_templateIlEESt5tupleIJNSA_6TensorESF_SF_EERKSF_lbbbEUlllE_EE10hipError_tT0_T1_T2_jT3_P12ihipStream_tbPNSt15iterator_traitsISL_E10value_typeEPNSR_ISM_E10value_typeEPSN_NS1_7vsmem_tEENKUlT_SL_SM_SN_E_clIS8_S8_S9_S9_EESK_S10_SL_SM_SN_EUlS10_E0_NS1_11comp_targetILNS1_3genE3ELNS1_11target_archE908ELNS1_3gpuE7ELNS1_3repE0EEENS1_38merge_mergepath_config_static_selectorELNS0_4arch9wavefront6targetE1EEEvSM_.has_recursion, 0
	.set _ZN7rocprim17ROCPRIM_400000_NS6detail17trampoline_kernelINS0_14default_configENS1_38merge_sort_block_merge_config_selectorIlNS0_10empty_typeEEEZZNS1_27merge_sort_block_merge_implIS3_PlPS5_mZN2at6native12_GLOBAL__N_124unique_dim_cuda_templateIlEESt5tupleIJNSA_6TensorESF_SF_EERKSF_lbbbEUlllE_EE10hipError_tT0_T1_T2_jT3_P12ihipStream_tbPNSt15iterator_traitsISL_E10value_typeEPNSR_ISM_E10value_typeEPSN_NS1_7vsmem_tEENKUlT_SL_SM_SN_E_clIS8_S8_S9_S9_EESK_S10_SL_SM_SN_EUlS10_E0_NS1_11comp_targetILNS1_3genE3ELNS1_11target_archE908ELNS1_3gpuE7ELNS1_3repE0EEENS1_38merge_mergepath_config_static_selectorELNS0_4arch9wavefront6targetE1EEEvSM_.has_indirect_call, 0
	.section	.AMDGPU.csdata,"",@progbits
; Kernel info:
; codeLenInByte = 0
; TotalNumSgprs: 6
; NumVgprs: 0
; NumAgprs: 0
; TotalNumVgprs: 0
; ScratchSize: 0
; MemoryBound: 0
; FloatMode: 240
; IeeeMode: 1
; LDSByteSize: 0 bytes/workgroup (compile time only)
; SGPRBlocks: 0
; VGPRBlocks: 0
; NumSGPRsForWavesPerEU: 6
; NumVGPRsForWavesPerEU: 1
; AccumOffset: 4
; Occupancy: 8
; WaveLimiterHint : 0
; COMPUTE_PGM_RSRC2:SCRATCH_EN: 0
; COMPUTE_PGM_RSRC2:USER_SGPR: 2
; COMPUTE_PGM_RSRC2:TRAP_HANDLER: 0
; COMPUTE_PGM_RSRC2:TGID_X_EN: 1
; COMPUTE_PGM_RSRC2:TGID_Y_EN: 0
; COMPUTE_PGM_RSRC2:TGID_Z_EN: 0
; COMPUTE_PGM_RSRC2:TIDIG_COMP_CNT: 0
; COMPUTE_PGM_RSRC3_GFX90A:ACCUM_OFFSET: 0
; COMPUTE_PGM_RSRC3_GFX90A:TG_SPLIT: 0
	.section	.text._ZN7rocprim17ROCPRIM_400000_NS6detail17trampoline_kernelINS0_14default_configENS1_38merge_sort_block_merge_config_selectorIlNS0_10empty_typeEEEZZNS1_27merge_sort_block_merge_implIS3_PlPS5_mZN2at6native12_GLOBAL__N_124unique_dim_cuda_templateIlEESt5tupleIJNSA_6TensorESF_SF_EERKSF_lbbbEUlllE_EE10hipError_tT0_T1_T2_jT3_P12ihipStream_tbPNSt15iterator_traitsISL_E10value_typeEPNSR_ISM_E10value_typeEPSN_NS1_7vsmem_tEENKUlT_SL_SM_SN_E_clIS8_S8_S9_S9_EESK_S10_SL_SM_SN_EUlS10_E0_NS1_11comp_targetILNS1_3genE2ELNS1_11target_archE906ELNS1_3gpuE6ELNS1_3repE0EEENS1_38merge_mergepath_config_static_selectorELNS0_4arch9wavefront6targetE1EEEvSM_,"axG",@progbits,_ZN7rocprim17ROCPRIM_400000_NS6detail17trampoline_kernelINS0_14default_configENS1_38merge_sort_block_merge_config_selectorIlNS0_10empty_typeEEEZZNS1_27merge_sort_block_merge_implIS3_PlPS5_mZN2at6native12_GLOBAL__N_124unique_dim_cuda_templateIlEESt5tupleIJNSA_6TensorESF_SF_EERKSF_lbbbEUlllE_EE10hipError_tT0_T1_T2_jT3_P12ihipStream_tbPNSt15iterator_traitsISL_E10value_typeEPNSR_ISM_E10value_typeEPSN_NS1_7vsmem_tEENKUlT_SL_SM_SN_E_clIS8_S8_S9_S9_EESK_S10_SL_SM_SN_EUlS10_E0_NS1_11comp_targetILNS1_3genE2ELNS1_11target_archE906ELNS1_3gpuE6ELNS1_3repE0EEENS1_38merge_mergepath_config_static_selectorELNS0_4arch9wavefront6targetE1EEEvSM_,comdat
	.globl	_ZN7rocprim17ROCPRIM_400000_NS6detail17trampoline_kernelINS0_14default_configENS1_38merge_sort_block_merge_config_selectorIlNS0_10empty_typeEEEZZNS1_27merge_sort_block_merge_implIS3_PlPS5_mZN2at6native12_GLOBAL__N_124unique_dim_cuda_templateIlEESt5tupleIJNSA_6TensorESF_SF_EERKSF_lbbbEUlllE_EE10hipError_tT0_T1_T2_jT3_P12ihipStream_tbPNSt15iterator_traitsISL_E10value_typeEPNSR_ISM_E10value_typeEPSN_NS1_7vsmem_tEENKUlT_SL_SM_SN_E_clIS8_S8_S9_S9_EESK_S10_SL_SM_SN_EUlS10_E0_NS1_11comp_targetILNS1_3genE2ELNS1_11target_archE906ELNS1_3gpuE6ELNS1_3repE0EEENS1_38merge_mergepath_config_static_selectorELNS0_4arch9wavefront6targetE1EEEvSM_ ; -- Begin function _ZN7rocprim17ROCPRIM_400000_NS6detail17trampoline_kernelINS0_14default_configENS1_38merge_sort_block_merge_config_selectorIlNS0_10empty_typeEEEZZNS1_27merge_sort_block_merge_implIS3_PlPS5_mZN2at6native12_GLOBAL__N_124unique_dim_cuda_templateIlEESt5tupleIJNSA_6TensorESF_SF_EERKSF_lbbbEUlllE_EE10hipError_tT0_T1_T2_jT3_P12ihipStream_tbPNSt15iterator_traitsISL_E10value_typeEPNSR_ISM_E10value_typeEPSN_NS1_7vsmem_tEENKUlT_SL_SM_SN_E_clIS8_S8_S9_S9_EESK_S10_SL_SM_SN_EUlS10_E0_NS1_11comp_targetILNS1_3genE2ELNS1_11target_archE906ELNS1_3gpuE6ELNS1_3repE0EEENS1_38merge_mergepath_config_static_selectorELNS0_4arch9wavefront6targetE1EEEvSM_
	.p2align	8
	.type	_ZN7rocprim17ROCPRIM_400000_NS6detail17trampoline_kernelINS0_14default_configENS1_38merge_sort_block_merge_config_selectorIlNS0_10empty_typeEEEZZNS1_27merge_sort_block_merge_implIS3_PlPS5_mZN2at6native12_GLOBAL__N_124unique_dim_cuda_templateIlEESt5tupleIJNSA_6TensorESF_SF_EERKSF_lbbbEUlllE_EE10hipError_tT0_T1_T2_jT3_P12ihipStream_tbPNSt15iterator_traitsISL_E10value_typeEPNSR_ISM_E10value_typeEPSN_NS1_7vsmem_tEENKUlT_SL_SM_SN_E_clIS8_S8_S9_S9_EESK_S10_SL_SM_SN_EUlS10_E0_NS1_11comp_targetILNS1_3genE2ELNS1_11target_archE906ELNS1_3gpuE6ELNS1_3repE0EEENS1_38merge_mergepath_config_static_selectorELNS0_4arch9wavefront6targetE1EEEvSM_,@function
_ZN7rocprim17ROCPRIM_400000_NS6detail17trampoline_kernelINS0_14default_configENS1_38merge_sort_block_merge_config_selectorIlNS0_10empty_typeEEEZZNS1_27merge_sort_block_merge_implIS3_PlPS5_mZN2at6native12_GLOBAL__N_124unique_dim_cuda_templateIlEESt5tupleIJNSA_6TensorESF_SF_EERKSF_lbbbEUlllE_EE10hipError_tT0_T1_T2_jT3_P12ihipStream_tbPNSt15iterator_traitsISL_E10value_typeEPNSR_ISM_E10value_typeEPSN_NS1_7vsmem_tEENKUlT_SL_SM_SN_E_clIS8_S8_S9_S9_EESK_S10_SL_SM_SN_EUlS10_E0_NS1_11comp_targetILNS1_3genE2ELNS1_11target_archE906ELNS1_3gpuE6ELNS1_3repE0EEENS1_38merge_mergepath_config_static_selectorELNS0_4arch9wavefront6targetE1EEEvSM_: ; @_ZN7rocprim17ROCPRIM_400000_NS6detail17trampoline_kernelINS0_14default_configENS1_38merge_sort_block_merge_config_selectorIlNS0_10empty_typeEEEZZNS1_27merge_sort_block_merge_implIS3_PlPS5_mZN2at6native12_GLOBAL__N_124unique_dim_cuda_templateIlEESt5tupleIJNSA_6TensorESF_SF_EERKSF_lbbbEUlllE_EE10hipError_tT0_T1_T2_jT3_P12ihipStream_tbPNSt15iterator_traitsISL_E10value_typeEPNSR_ISM_E10value_typeEPSN_NS1_7vsmem_tEENKUlT_SL_SM_SN_E_clIS8_S8_S9_S9_EESK_S10_SL_SM_SN_EUlS10_E0_NS1_11comp_targetILNS1_3genE2ELNS1_11target_archE906ELNS1_3gpuE6ELNS1_3repE0EEENS1_38merge_mergepath_config_static_selectorELNS0_4arch9wavefront6targetE1EEEvSM_
; %bb.0:
	.section	.rodata,"a",@progbits
	.p2align	6, 0x0
	.amdhsa_kernel _ZN7rocprim17ROCPRIM_400000_NS6detail17trampoline_kernelINS0_14default_configENS1_38merge_sort_block_merge_config_selectorIlNS0_10empty_typeEEEZZNS1_27merge_sort_block_merge_implIS3_PlPS5_mZN2at6native12_GLOBAL__N_124unique_dim_cuda_templateIlEESt5tupleIJNSA_6TensorESF_SF_EERKSF_lbbbEUlllE_EE10hipError_tT0_T1_T2_jT3_P12ihipStream_tbPNSt15iterator_traitsISL_E10value_typeEPNSR_ISM_E10value_typeEPSN_NS1_7vsmem_tEENKUlT_SL_SM_SN_E_clIS8_S8_S9_S9_EESK_S10_SL_SM_SN_EUlS10_E0_NS1_11comp_targetILNS1_3genE2ELNS1_11target_archE906ELNS1_3gpuE6ELNS1_3repE0EEENS1_38merge_mergepath_config_static_selectorELNS0_4arch9wavefront6targetE1EEEvSM_
		.amdhsa_group_segment_fixed_size 0
		.amdhsa_private_segment_fixed_size 0
		.amdhsa_kernarg_size 88
		.amdhsa_user_sgpr_count 2
		.amdhsa_user_sgpr_dispatch_ptr 0
		.amdhsa_user_sgpr_queue_ptr 0
		.amdhsa_user_sgpr_kernarg_segment_ptr 1
		.amdhsa_user_sgpr_dispatch_id 0
		.amdhsa_user_sgpr_kernarg_preload_length 0
		.amdhsa_user_sgpr_kernarg_preload_offset 0
		.amdhsa_user_sgpr_private_segment_size 0
		.amdhsa_uses_dynamic_stack 0
		.amdhsa_enable_private_segment 0
		.amdhsa_system_sgpr_workgroup_id_x 1
		.amdhsa_system_sgpr_workgroup_id_y 0
		.amdhsa_system_sgpr_workgroup_id_z 0
		.amdhsa_system_sgpr_workgroup_info 0
		.amdhsa_system_vgpr_workitem_id 0
		.amdhsa_next_free_vgpr 1
		.amdhsa_next_free_sgpr 0
		.amdhsa_accum_offset 4
		.amdhsa_reserve_vcc 0
		.amdhsa_float_round_mode_32 0
		.amdhsa_float_round_mode_16_64 0
		.amdhsa_float_denorm_mode_32 3
		.amdhsa_float_denorm_mode_16_64 3
		.amdhsa_dx10_clamp 1
		.amdhsa_ieee_mode 1
		.amdhsa_fp16_overflow 0
		.amdhsa_tg_split 0
		.amdhsa_exception_fp_ieee_invalid_op 0
		.amdhsa_exception_fp_denorm_src 0
		.amdhsa_exception_fp_ieee_div_zero 0
		.amdhsa_exception_fp_ieee_overflow 0
		.amdhsa_exception_fp_ieee_underflow 0
		.amdhsa_exception_fp_ieee_inexact 0
		.amdhsa_exception_int_div_zero 0
	.end_amdhsa_kernel
	.section	.text._ZN7rocprim17ROCPRIM_400000_NS6detail17trampoline_kernelINS0_14default_configENS1_38merge_sort_block_merge_config_selectorIlNS0_10empty_typeEEEZZNS1_27merge_sort_block_merge_implIS3_PlPS5_mZN2at6native12_GLOBAL__N_124unique_dim_cuda_templateIlEESt5tupleIJNSA_6TensorESF_SF_EERKSF_lbbbEUlllE_EE10hipError_tT0_T1_T2_jT3_P12ihipStream_tbPNSt15iterator_traitsISL_E10value_typeEPNSR_ISM_E10value_typeEPSN_NS1_7vsmem_tEENKUlT_SL_SM_SN_E_clIS8_S8_S9_S9_EESK_S10_SL_SM_SN_EUlS10_E0_NS1_11comp_targetILNS1_3genE2ELNS1_11target_archE906ELNS1_3gpuE6ELNS1_3repE0EEENS1_38merge_mergepath_config_static_selectorELNS0_4arch9wavefront6targetE1EEEvSM_,"axG",@progbits,_ZN7rocprim17ROCPRIM_400000_NS6detail17trampoline_kernelINS0_14default_configENS1_38merge_sort_block_merge_config_selectorIlNS0_10empty_typeEEEZZNS1_27merge_sort_block_merge_implIS3_PlPS5_mZN2at6native12_GLOBAL__N_124unique_dim_cuda_templateIlEESt5tupleIJNSA_6TensorESF_SF_EERKSF_lbbbEUlllE_EE10hipError_tT0_T1_T2_jT3_P12ihipStream_tbPNSt15iterator_traitsISL_E10value_typeEPNSR_ISM_E10value_typeEPSN_NS1_7vsmem_tEENKUlT_SL_SM_SN_E_clIS8_S8_S9_S9_EESK_S10_SL_SM_SN_EUlS10_E0_NS1_11comp_targetILNS1_3genE2ELNS1_11target_archE906ELNS1_3gpuE6ELNS1_3repE0EEENS1_38merge_mergepath_config_static_selectorELNS0_4arch9wavefront6targetE1EEEvSM_,comdat
.Lfunc_end527:
	.size	_ZN7rocprim17ROCPRIM_400000_NS6detail17trampoline_kernelINS0_14default_configENS1_38merge_sort_block_merge_config_selectorIlNS0_10empty_typeEEEZZNS1_27merge_sort_block_merge_implIS3_PlPS5_mZN2at6native12_GLOBAL__N_124unique_dim_cuda_templateIlEESt5tupleIJNSA_6TensorESF_SF_EERKSF_lbbbEUlllE_EE10hipError_tT0_T1_T2_jT3_P12ihipStream_tbPNSt15iterator_traitsISL_E10value_typeEPNSR_ISM_E10value_typeEPSN_NS1_7vsmem_tEENKUlT_SL_SM_SN_E_clIS8_S8_S9_S9_EESK_S10_SL_SM_SN_EUlS10_E0_NS1_11comp_targetILNS1_3genE2ELNS1_11target_archE906ELNS1_3gpuE6ELNS1_3repE0EEENS1_38merge_mergepath_config_static_selectorELNS0_4arch9wavefront6targetE1EEEvSM_, .Lfunc_end527-_ZN7rocprim17ROCPRIM_400000_NS6detail17trampoline_kernelINS0_14default_configENS1_38merge_sort_block_merge_config_selectorIlNS0_10empty_typeEEEZZNS1_27merge_sort_block_merge_implIS3_PlPS5_mZN2at6native12_GLOBAL__N_124unique_dim_cuda_templateIlEESt5tupleIJNSA_6TensorESF_SF_EERKSF_lbbbEUlllE_EE10hipError_tT0_T1_T2_jT3_P12ihipStream_tbPNSt15iterator_traitsISL_E10value_typeEPNSR_ISM_E10value_typeEPSN_NS1_7vsmem_tEENKUlT_SL_SM_SN_E_clIS8_S8_S9_S9_EESK_S10_SL_SM_SN_EUlS10_E0_NS1_11comp_targetILNS1_3genE2ELNS1_11target_archE906ELNS1_3gpuE6ELNS1_3repE0EEENS1_38merge_mergepath_config_static_selectorELNS0_4arch9wavefront6targetE1EEEvSM_
                                        ; -- End function
	.set _ZN7rocprim17ROCPRIM_400000_NS6detail17trampoline_kernelINS0_14default_configENS1_38merge_sort_block_merge_config_selectorIlNS0_10empty_typeEEEZZNS1_27merge_sort_block_merge_implIS3_PlPS5_mZN2at6native12_GLOBAL__N_124unique_dim_cuda_templateIlEESt5tupleIJNSA_6TensorESF_SF_EERKSF_lbbbEUlllE_EE10hipError_tT0_T1_T2_jT3_P12ihipStream_tbPNSt15iterator_traitsISL_E10value_typeEPNSR_ISM_E10value_typeEPSN_NS1_7vsmem_tEENKUlT_SL_SM_SN_E_clIS8_S8_S9_S9_EESK_S10_SL_SM_SN_EUlS10_E0_NS1_11comp_targetILNS1_3genE2ELNS1_11target_archE906ELNS1_3gpuE6ELNS1_3repE0EEENS1_38merge_mergepath_config_static_selectorELNS0_4arch9wavefront6targetE1EEEvSM_.num_vgpr, 0
	.set _ZN7rocprim17ROCPRIM_400000_NS6detail17trampoline_kernelINS0_14default_configENS1_38merge_sort_block_merge_config_selectorIlNS0_10empty_typeEEEZZNS1_27merge_sort_block_merge_implIS3_PlPS5_mZN2at6native12_GLOBAL__N_124unique_dim_cuda_templateIlEESt5tupleIJNSA_6TensorESF_SF_EERKSF_lbbbEUlllE_EE10hipError_tT0_T1_T2_jT3_P12ihipStream_tbPNSt15iterator_traitsISL_E10value_typeEPNSR_ISM_E10value_typeEPSN_NS1_7vsmem_tEENKUlT_SL_SM_SN_E_clIS8_S8_S9_S9_EESK_S10_SL_SM_SN_EUlS10_E0_NS1_11comp_targetILNS1_3genE2ELNS1_11target_archE906ELNS1_3gpuE6ELNS1_3repE0EEENS1_38merge_mergepath_config_static_selectorELNS0_4arch9wavefront6targetE1EEEvSM_.num_agpr, 0
	.set _ZN7rocprim17ROCPRIM_400000_NS6detail17trampoline_kernelINS0_14default_configENS1_38merge_sort_block_merge_config_selectorIlNS0_10empty_typeEEEZZNS1_27merge_sort_block_merge_implIS3_PlPS5_mZN2at6native12_GLOBAL__N_124unique_dim_cuda_templateIlEESt5tupleIJNSA_6TensorESF_SF_EERKSF_lbbbEUlllE_EE10hipError_tT0_T1_T2_jT3_P12ihipStream_tbPNSt15iterator_traitsISL_E10value_typeEPNSR_ISM_E10value_typeEPSN_NS1_7vsmem_tEENKUlT_SL_SM_SN_E_clIS8_S8_S9_S9_EESK_S10_SL_SM_SN_EUlS10_E0_NS1_11comp_targetILNS1_3genE2ELNS1_11target_archE906ELNS1_3gpuE6ELNS1_3repE0EEENS1_38merge_mergepath_config_static_selectorELNS0_4arch9wavefront6targetE1EEEvSM_.numbered_sgpr, 0
	.set _ZN7rocprim17ROCPRIM_400000_NS6detail17trampoline_kernelINS0_14default_configENS1_38merge_sort_block_merge_config_selectorIlNS0_10empty_typeEEEZZNS1_27merge_sort_block_merge_implIS3_PlPS5_mZN2at6native12_GLOBAL__N_124unique_dim_cuda_templateIlEESt5tupleIJNSA_6TensorESF_SF_EERKSF_lbbbEUlllE_EE10hipError_tT0_T1_T2_jT3_P12ihipStream_tbPNSt15iterator_traitsISL_E10value_typeEPNSR_ISM_E10value_typeEPSN_NS1_7vsmem_tEENKUlT_SL_SM_SN_E_clIS8_S8_S9_S9_EESK_S10_SL_SM_SN_EUlS10_E0_NS1_11comp_targetILNS1_3genE2ELNS1_11target_archE906ELNS1_3gpuE6ELNS1_3repE0EEENS1_38merge_mergepath_config_static_selectorELNS0_4arch9wavefront6targetE1EEEvSM_.num_named_barrier, 0
	.set _ZN7rocprim17ROCPRIM_400000_NS6detail17trampoline_kernelINS0_14default_configENS1_38merge_sort_block_merge_config_selectorIlNS0_10empty_typeEEEZZNS1_27merge_sort_block_merge_implIS3_PlPS5_mZN2at6native12_GLOBAL__N_124unique_dim_cuda_templateIlEESt5tupleIJNSA_6TensorESF_SF_EERKSF_lbbbEUlllE_EE10hipError_tT0_T1_T2_jT3_P12ihipStream_tbPNSt15iterator_traitsISL_E10value_typeEPNSR_ISM_E10value_typeEPSN_NS1_7vsmem_tEENKUlT_SL_SM_SN_E_clIS8_S8_S9_S9_EESK_S10_SL_SM_SN_EUlS10_E0_NS1_11comp_targetILNS1_3genE2ELNS1_11target_archE906ELNS1_3gpuE6ELNS1_3repE0EEENS1_38merge_mergepath_config_static_selectorELNS0_4arch9wavefront6targetE1EEEvSM_.private_seg_size, 0
	.set _ZN7rocprim17ROCPRIM_400000_NS6detail17trampoline_kernelINS0_14default_configENS1_38merge_sort_block_merge_config_selectorIlNS0_10empty_typeEEEZZNS1_27merge_sort_block_merge_implIS3_PlPS5_mZN2at6native12_GLOBAL__N_124unique_dim_cuda_templateIlEESt5tupleIJNSA_6TensorESF_SF_EERKSF_lbbbEUlllE_EE10hipError_tT0_T1_T2_jT3_P12ihipStream_tbPNSt15iterator_traitsISL_E10value_typeEPNSR_ISM_E10value_typeEPSN_NS1_7vsmem_tEENKUlT_SL_SM_SN_E_clIS8_S8_S9_S9_EESK_S10_SL_SM_SN_EUlS10_E0_NS1_11comp_targetILNS1_3genE2ELNS1_11target_archE906ELNS1_3gpuE6ELNS1_3repE0EEENS1_38merge_mergepath_config_static_selectorELNS0_4arch9wavefront6targetE1EEEvSM_.uses_vcc, 0
	.set _ZN7rocprim17ROCPRIM_400000_NS6detail17trampoline_kernelINS0_14default_configENS1_38merge_sort_block_merge_config_selectorIlNS0_10empty_typeEEEZZNS1_27merge_sort_block_merge_implIS3_PlPS5_mZN2at6native12_GLOBAL__N_124unique_dim_cuda_templateIlEESt5tupleIJNSA_6TensorESF_SF_EERKSF_lbbbEUlllE_EE10hipError_tT0_T1_T2_jT3_P12ihipStream_tbPNSt15iterator_traitsISL_E10value_typeEPNSR_ISM_E10value_typeEPSN_NS1_7vsmem_tEENKUlT_SL_SM_SN_E_clIS8_S8_S9_S9_EESK_S10_SL_SM_SN_EUlS10_E0_NS1_11comp_targetILNS1_3genE2ELNS1_11target_archE906ELNS1_3gpuE6ELNS1_3repE0EEENS1_38merge_mergepath_config_static_selectorELNS0_4arch9wavefront6targetE1EEEvSM_.uses_flat_scratch, 0
	.set _ZN7rocprim17ROCPRIM_400000_NS6detail17trampoline_kernelINS0_14default_configENS1_38merge_sort_block_merge_config_selectorIlNS0_10empty_typeEEEZZNS1_27merge_sort_block_merge_implIS3_PlPS5_mZN2at6native12_GLOBAL__N_124unique_dim_cuda_templateIlEESt5tupleIJNSA_6TensorESF_SF_EERKSF_lbbbEUlllE_EE10hipError_tT0_T1_T2_jT3_P12ihipStream_tbPNSt15iterator_traitsISL_E10value_typeEPNSR_ISM_E10value_typeEPSN_NS1_7vsmem_tEENKUlT_SL_SM_SN_E_clIS8_S8_S9_S9_EESK_S10_SL_SM_SN_EUlS10_E0_NS1_11comp_targetILNS1_3genE2ELNS1_11target_archE906ELNS1_3gpuE6ELNS1_3repE0EEENS1_38merge_mergepath_config_static_selectorELNS0_4arch9wavefront6targetE1EEEvSM_.has_dyn_sized_stack, 0
	.set _ZN7rocprim17ROCPRIM_400000_NS6detail17trampoline_kernelINS0_14default_configENS1_38merge_sort_block_merge_config_selectorIlNS0_10empty_typeEEEZZNS1_27merge_sort_block_merge_implIS3_PlPS5_mZN2at6native12_GLOBAL__N_124unique_dim_cuda_templateIlEESt5tupleIJNSA_6TensorESF_SF_EERKSF_lbbbEUlllE_EE10hipError_tT0_T1_T2_jT3_P12ihipStream_tbPNSt15iterator_traitsISL_E10value_typeEPNSR_ISM_E10value_typeEPSN_NS1_7vsmem_tEENKUlT_SL_SM_SN_E_clIS8_S8_S9_S9_EESK_S10_SL_SM_SN_EUlS10_E0_NS1_11comp_targetILNS1_3genE2ELNS1_11target_archE906ELNS1_3gpuE6ELNS1_3repE0EEENS1_38merge_mergepath_config_static_selectorELNS0_4arch9wavefront6targetE1EEEvSM_.has_recursion, 0
	.set _ZN7rocprim17ROCPRIM_400000_NS6detail17trampoline_kernelINS0_14default_configENS1_38merge_sort_block_merge_config_selectorIlNS0_10empty_typeEEEZZNS1_27merge_sort_block_merge_implIS3_PlPS5_mZN2at6native12_GLOBAL__N_124unique_dim_cuda_templateIlEESt5tupleIJNSA_6TensorESF_SF_EERKSF_lbbbEUlllE_EE10hipError_tT0_T1_T2_jT3_P12ihipStream_tbPNSt15iterator_traitsISL_E10value_typeEPNSR_ISM_E10value_typeEPSN_NS1_7vsmem_tEENKUlT_SL_SM_SN_E_clIS8_S8_S9_S9_EESK_S10_SL_SM_SN_EUlS10_E0_NS1_11comp_targetILNS1_3genE2ELNS1_11target_archE906ELNS1_3gpuE6ELNS1_3repE0EEENS1_38merge_mergepath_config_static_selectorELNS0_4arch9wavefront6targetE1EEEvSM_.has_indirect_call, 0
	.section	.AMDGPU.csdata,"",@progbits
; Kernel info:
; codeLenInByte = 0
; TotalNumSgprs: 6
; NumVgprs: 0
; NumAgprs: 0
; TotalNumVgprs: 0
; ScratchSize: 0
; MemoryBound: 0
; FloatMode: 240
; IeeeMode: 1
; LDSByteSize: 0 bytes/workgroup (compile time only)
; SGPRBlocks: 0
; VGPRBlocks: 0
; NumSGPRsForWavesPerEU: 6
; NumVGPRsForWavesPerEU: 1
; AccumOffset: 4
; Occupancy: 8
; WaveLimiterHint : 0
; COMPUTE_PGM_RSRC2:SCRATCH_EN: 0
; COMPUTE_PGM_RSRC2:USER_SGPR: 2
; COMPUTE_PGM_RSRC2:TRAP_HANDLER: 0
; COMPUTE_PGM_RSRC2:TGID_X_EN: 1
; COMPUTE_PGM_RSRC2:TGID_Y_EN: 0
; COMPUTE_PGM_RSRC2:TGID_Z_EN: 0
; COMPUTE_PGM_RSRC2:TIDIG_COMP_CNT: 0
; COMPUTE_PGM_RSRC3_GFX90A:ACCUM_OFFSET: 0
; COMPUTE_PGM_RSRC3_GFX90A:TG_SPLIT: 0
	.section	.text._ZN7rocprim17ROCPRIM_400000_NS6detail17trampoline_kernelINS0_14default_configENS1_38merge_sort_block_merge_config_selectorIlNS0_10empty_typeEEEZZNS1_27merge_sort_block_merge_implIS3_PlPS5_mZN2at6native12_GLOBAL__N_124unique_dim_cuda_templateIlEESt5tupleIJNSA_6TensorESF_SF_EERKSF_lbbbEUlllE_EE10hipError_tT0_T1_T2_jT3_P12ihipStream_tbPNSt15iterator_traitsISL_E10value_typeEPNSR_ISM_E10value_typeEPSN_NS1_7vsmem_tEENKUlT_SL_SM_SN_E_clIS8_S8_S9_S9_EESK_S10_SL_SM_SN_EUlS10_E0_NS1_11comp_targetILNS1_3genE9ELNS1_11target_archE1100ELNS1_3gpuE3ELNS1_3repE0EEENS1_38merge_mergepath_config_static_selectorELNS0_4arch9wavefront6targetE1EEEvSM_,"axG",@progbits,_ZN7rocprim17ROCPRIM_400000_NS6detail17trampoline_kernelINS0_14default_configENS1_38merge_sort_block_merge_config_selectorIlNS0_10empty_typeEEEZZNS1_27merge_sort_block_merge_implIS3_PlPS5_mZN2at6native12_GLOBAL__N_124unique_dim_cuda_templateIlEESt5tupleIJNSA_6TensorESF_SF_EERKSF_lbbbEUlllE_EE10hipError_tT0_T1_T2_jT3_P12ihipStream_tbPNSt15iterator_traitsISL_E10value_typeEPNSR_ISM_E10value_typeEPSN_NS1_7vsmem_tEENKUlT_SL_SM_SN_E_clIS8_S8_S9_S9_EESK_S10_SL_SM_SN_EUlS10_E0_NS1_11comp_targetILNS1_3genE9ELNS1_11target_archE1100ELNS1_3gpuE3ELNS1_3repE0EEENS1_38merge_mergepath_config_static_selectorELNS0_4arch9wavefront6targetE1EEEvSM_,comdat
	.globl	_ZN7rocprim17ROCPRIM_400000_NS6detail17trampoline_kernelINS0_14default_configENS1_38merge_sort_block_merge_config_selectorIlNS0_10empty_typeEEEZZNS1_27merge_sort_block_merge_implIS3_PlPS5_mZN2at6native12_GLOBAL__N_124unique_dim_cuda_templateIlEESt5tupleIJNSA_6TensorESF_SF_EERKSF_lbbbEUlllE_EE10hipError_tT0_T1_T2_jT3_P12ihipStream_tbPNSt15iterator_traitsISL_E10value_typeEPNSR_ISM_E10value_typeEPSN_NS1_7vsmem_tEENKUlT_SL_SM_SN_E_clIS8_S8_S9_S9_EESK_S10_SL_SM_SN_EUlS10_E0_NS1_11comp_targetILNS1_3genE9ELNS1_11target_archE1100ELNS1_3gpuE3ELNS1_3repE0EEENS1_38merge_mergepath_config_static_selectorELNS0_4arch9wavefront6targetE1EEEvSM_ ; -- Begin function _ZN7rocprim17ROCPRIM_400000_NS6detail17trampoline_kernelINS0_14default_configENS1_38merge_sort_block_merge_config_selectorIlNS0_10empty_typeEEEZZNS1_27merge_sort_block_merge_implIS3_PlPS5_mZN2at6native12_GLOBAL__N_124unique_dim_cuda_templateIlEESt5tupleIJNSA_6TensorESF_SF_EERKSF_lbbbEUlllE_EE10hipError_tT0_T1_T2_jT3_P12ihipStream_tbPNSt15iterator_traitsISL_E10value_typeEPNSR_ISM_E10value_typeEPSN_NS1_7vsmem_tEENKUlT_SL_SM_SN_E_clIS8_S8_S9_S9_EESK_S10_SL_SM_SN_EUlS10_E0_NS1_11comp_targetILNS1_3genE9ELNS1_11target_archE1100ELNS1_3gpuE3ELNS1_3repE0EEENS1_38merge_mergepath_config_static_selectorELNS0_4arch9wavefront6targetE1EEEvSM_
	.p2align	8
	.type	_ZN7rocprim17ROCPRIM_400000_NS6detail17trampoline_kernelINS0_14default_configENS1_38merge_sort_block_merge_config_selectorIlNS0_10empty_typeEEEZZNS1_27merge_sort_block_merge_implIS3_PlPS5_mZN2at6native12_GLOBAL__N_124unique_dim_cuda_templateIlEESt5tupleIJNSA_6TensorESF_SF_EERKSF_lbbbEUlllE_EE10hipError_tT0_T1_T2_jT3_P12ihipStream_tbPNSt15iterator_traitsISL_E10value_typeEPNSR_ISM_E10value_typeEPSN_NS1_7vsmem_tEENKUlT_SL_SM_SN_E_clIS8_S8_S9_S9_EESK_S10_SL_SM_SN_EUlS10_E0_NS1_11comp_targetILNS1_3genE9ELNS1_11target_archE1100ELNS1_3gpuE3ELNS1_3repE0EEENS1_38merge_mergepath_config_static_selectorELNS0_4arch9wavefront6targetE1EEEvSM_,@function
_ZN7rocprim17ROCPRIM_400000_NS6detail17trampoline_kernelINS0_14default_configENS1_38merge_sort_block_merge_config_selectorIlNS0_10empty_typeEEEZZNS1_27merge_sort_block_merge_implIS3_PlPS5_mZN2at6native12_GLOBAL__N_124unique_dim_cuda_templateIlEESt5tupleIJNSA_6TensorESF_SF_EERKSF_lbbbEUlllE_EE10hipError_tT0_T1_T2_jT3_P12ihipStream_tbPNSt15iterator_traitsISL_E10value_typeEPNSR_ISM_E10value_typeEPSN_NS1_7vsmem_tEENKUlT_SL_SM_SN_E_clIS8_S8_S9_S9_EESK_S10_SL_SM_SN_EUlS10_E0_NS1_11comp_targetILNS1_3genE9ELNS1_11target_archE1100ELNS1_3gpuE3ELNS1_3repE0EEENS1_38merge_mergepath_config_static_selectorELNS0_4arch9wavefront6targetE1EEEvSM_: ; @_ZN7rocprim17ROCPRIM_400000_NS6detail17trampoline_kernelINS0_14default_configENS1_38merge_sort_block_merge_config_selectorIlNS0_10empty_typeEEEZZNS1_27merge_sort_block_merge_implIS3_PlPS5_mZN2at6native12_GLOBAL__N_124unique_dim_cuda_templateIlEESt5tupleIJNSA_6TensorESF_SF_EERKSF_lbbbEUlllE_EE10hipError_tT0_T1_T2_jT3_P12ihipStream_tbPNSt15iterator_traitsISL_E10value_typeEPNSR_ISM_E10value_typeEPSN_NS1_7vsmem_tEENKUlT_SL_SM_SN_E_clIS8_S8_S9_S9_EESK_S10_SL_SM_SN_EUlS10_E0_NS1_11comp_targetILNS1_3genE9ELNS1_11target_archE1100ELNS1_3gpuE3ELNS1_3repE0EEENS1_38merge_mergepath_config_static_selectorELNS0_4arch9wavefront6targetE1EEEvSM_
; %bb.0:
	.section	.rodata,"a",@progbits
	.p2align	6, 0x0
	.amdhsa_kernel _ZN7rocprim17ROCPRIM_400000_NS6detail17trampoline_kernelINS0_14default_configENS1_38merge_sort_block_merge_config_selectorIlNS0_10empty_typeEEEZZNS1_27merge_sort_block_merge_implIS3_PlPS5_mZN2at6native12_GLOBAL__N_124unique_dim_cuda_templateIlEESt5tupleIJNSA_6TensorESF_SF_EERKSF_lbbbEUlllE_EE10hipError_tT0_T1_T2_jT3_P12ihipStream_tbPNSt15iterator_traitsISL_E10value_typeEPNSR_ISM_E10value_typeEPSN_NS1_7vsmem_tEENKUlT_SL_SM_SN_E_clIS8_S8_S9_S9_EESK_S10_SL_SM_SN_EUlS10_E0_NS1_11comp_targetILNS1_3genE9ELNS1_11target_archE1100ELNS1_3gpuE3ELNS1_3repE0EEENS1_38merge_mergepath_config_static_selectorELNS0_4arch9wavefront6targetE1EEEvSM_
		.amdhsa_group_segment_fixed_size 0
		.amdhsa_private_segment_fixed_size 0
		.amdhsa_kernarg_size 88
		.amdhsa_user_sgpr_count 2
		.amdhsa_user_sgpr_dispatch_ptr 0
		.amdhsa_user_sgpr_queue_ptr 0
		.amdhsa_user_sgpr_kernarg_segment_ptr 1
		.amdhsa_user_sgpr_dispatch_id 0
		.amdhsa_user_sgpr_kernarg_preload_length 0
		.amdhsa_user_sgpr_kernarg_preload_offset 0
		.amdhsa_user_sgpr_private_segment_size 0
		.amdhsa_uses_dynamic_stack 0
		.amdhsa_enable_private_segment 0
		.amdhsa_system_sgpr_workgroup_id_x 1
		.amdhsa_system_sgpr_workgroup_id_y 0
		.amdhsa_system_sgpr_workgroup_id_z 0
		.amdhsa_system_sgpr_workgroup_info 0
		.amdhsa_system_vgpr_workitem_id 0
		.amdhsa_next_free_vgpr 1
		.amdhsa_next_free_sgpr 0
		.amdhsa_accum_offset 4
		.amdhsa_reserve_vcc 0
		.amdhsa_float_round_mode_32 0
		.amdhsa_float_round_mode_16_64 0
		.amdhsa_float_denorm_mode_32 3
		.amdhsa_float_denorm_mode_16_64 3
		.amdhsa_dx10_clamp 1
		.amdhsa_ieee_mode 1
		.amdhsa_fp16_overflow 0
		.amdhsa_tg_split 0
		.amdhsa_exception_fp_ieee_invalid_op 0
		.amdhsa_exception_fp_denorm_src 0
		.amdhsa_exception_fp_ieee_div_zero 0
		.amdhsa_exception_fp_ieee_overflow 0
		.amdhsa_exception_fp_ieee_underflow 0
		.amdhsa_exception_fp_ieee_inexact 0
		.amdhsa_exception_int_div_zero 0
	.end_amdhsa_kernel
	.section	.text._ZN7rocprim17ROCPRIM_400000_NS6detail17trampoline_kernelINS0_14default_configENS1_38merge_sort_block_merge_config_selectorIlNS0_10empty_typeEEEZZNS1_27merge_sort_block_merge_implIS3_PlPS5_mZN2at6native12_GLOBAL__N_124unique_dim_cuda_templateIlEESt5tupleIJNSA_6TensorESF_SF_EERKSF_lbbbEUlllE_EE10hipError_tT0_T1_T2_jT3_P12ihipStream_tbPNSt15iterator_traitsISL_E10value_typeEPNSR_ISM_E10value_typeEPSN_NS1_7vsmem_tEENKUlT_SL_SM_SN_E_clIS8_S8_S9_S9_EESK_S10_SL_SM_SN_EUlS10_E0_NS1_11comp_targetILNS1_3genE9ELNS1_11target_archE1100ELNS1_3gpuE3ELNS1_3repE0EEENS1_38merge_mergepath_config_static_selectorELNS0_4arch9wavefront6targetE1EEEvSM_,"axG",@progbits,_ZN7rocprim17ROCPRIM_400000_NS6detail17trampoline_kernelINS0_14default_configENS1_38merge_sort_block_merge_config_selectorIlNS0_10empty_typeEEEZZNS1_27merge_sort_block_merge_implIS3_PlPS5_mZN2at6native12_GLOBAL__N_124unique_dim_cuda_templateIlEESt5tupleIJNSA_6TensorESF_SF_EERKSF_lbbbEUlllE_EE10hipError_tT0_T1_T2_jT3_P12ihipStream_tbPNSt15iterator_traitsISL_E10value_typeEPNSR_ISM_E10value_typeEPSN_NS1_7vsmem_tEENKUlT_SL_SM_SN_E_clIS8_S8_S9_S9_EESK_S10_SL_SM_SN_EUlS10_E0_NS1_11comp_targetILNS1_3genE9ELNS1_11target_archE1100ELNS1_3gpuE3ELNS1_3repE0EEENS1_38merge_mergepath_config_static_selectorELNS0_4arch9wavefront6targetE1EEEvSM_,comdat
.Lfunc_end528:
	.size	_ZN7rocprim17ROCPRIM_400000_NS6detail17trampoline_kernelINS0_14default_configENS1_38merge_sort_block_merge_config_selectorIlNS0_10empty_typeEEEZZNS1_27merge_sort_block_merge_implIS3_PlPS5_mZN2at6native12_GLOBAL__N_124unique_dim_cuda_templateIlEESt5tupleIJNSA_6TensorESF_SF_EERKSF_lbbbEUlllE_EE10hipError_tT0_T1_T2_jT3_P12ihipStream_tbPNSt15iterator_traitsISL_E10value_typeEPNSR_ISM_E10value_typeEPSN_NS1_7vsmem_tEENKUlT_SL_SM_SN_E_clIS8_S8_S9_S9_EESK_S10_SL_SM_SN_EUlS10_E0_NS1_11comp_targetILNS1_3genE9ELNS1_11target_archE1100ELNS1_3gpuE3ELNS1_3repE0EEENS1_38merge_mergepath_config_static_selectorELNS0_4arch9wavefront6targetE1EEEvSM_, .Lfunc_end528-_ZN7rocprim17ROCPRIM_400000_NS6detail17trampoline_kernelINS0_14default_configENS1_38merge_sort_block_merge_config_selectorIlNS0_10empty_typeEEEZZNS1_27merge_sort_block_merge_implIS3_PlPS5_mZN2at6native12_GLOBAL__N_124unique_dim_cuda_templateIlEESt5tupleIJNSA_6TensorESF_SF_EERKSF_lbbbEUlllE_EE10hipError_tT0_T1_T2_jT3_P12ihipStream_tbPNSt15iterator_traitsISL_E10value_typeEPNSR_ISM_E10value_typeEPSN_NS1_7vsmem_tEENKUlT_SL_SM_SN_E_clIS8_S8_S9_S9_EESK_S10_SL_SM_SN_EUlS10_E0_NS1_11comp_targetILNS1_3genE9ELNS1_11target_archE1100ELNS1_3gpuE3ELNS1_3repE0EEENS1_38merge_mergepath_config_static_selectorELNS0_4arch9wavefront6targetE1EEEvSM_
                                        ; -- End function
	.set _ZN7rocprim17ROCPRIM_400000_NS6detail17trampoline_kernelINS0_14default_configENS1_38merge_sort_block_merge_config_selectorIlNS0_10empty_typeEEEZZNS1_27merge_sort_block_merge_implIS3_PlPS5_mZN2at6native12_GLOBAL__N_124unique_dim_cuda_templateIlEESt5tupleIJNSA_6TensorESF_SF_EERKSF_lbbbEUlllE_EE10hipError_tT0_T1_T2_jT3_P12ihipStream_tbPNSt15iterator_traitsISL_E10value_typeEPNSR_ISM_E10value_typeEPSN_NS1_7vsmem_tEENKUlT_SL_SM_SN_E_clIS8_S8_S9_S9_EESK_S10_SL_SM_SN_EUlS10_E0_NS1_11comp_targetILNS1_3genE9ELNS1_11target_archE1100ELNS1_3gpuE3ELNS1_3repE0EEENS1_38merge_mergepath_config_static_selectorELNS0_4arch9wavefront6targetE1EEEvSM_.num_vgpr, 0
	.set _ZN7rocprim17ROCPRIM_400000_NS6detail17trampoline_kernelINS0_14default_configENS1_38merge_sort_block_merge_config_selectorIlNS0_10empty_typeEEEZZNS1_27merge_sort_block_merge_implIS3_PlPS5_mZN2at6native12_GLOBAL__N_124unique_dim_cuda_templateIlEESt5tupleIJNSA_6TensorESF_SF_EERKSF_lbbbEUlllE_EE10hipError_tT0_T1_T2_jT3_P12ihipStream_tbPNSt15iterator_traitsISL_E10value_typeEPNSR_ISM_E10value_typeEPSN_NS1_7vsmem_tEENKUlT_SL_SM_SN_E_clIS8_S8_S9_S9_EESK_S10_SL_SM_SN_EUlS10_E0_NS1_11comp_targetILNS1_3genE9ELNS1_11target_archE1100ELNS1_3gpuE3ELNS1_3repE0EEENS1_38merge_mergepath_config_static_selectorELNS0_4arch9wavefront6targetE1EEEvSM_.num_agpr, 0
	.set _ZN7rocprim17ROCPRIM_400000_NS6detail17trampoline_kernelINS0_14default_configENS1_38merge_sort_block_merge_config_selectorIlNS0_10empty_typeEEEZZNS1_27merge_sort_block_merge_implIS3_PlPS5_mZN2at6native12_GLOBAL__N_124unique_dim_cuda_templateIlEESt5tupleIJNSA_6TensorESF_SF_EERKSF_lbbbEUlllE_EE10hipError_tT0_T1_T2_jT3_P12ihipStream_tbPNSt15iterator_traitsISL_E10value_typeEPNSR_ISM_E10value_typeEPSN_NS1_7vsmem_tEENKUlT_SL_SM_SN_E_clIS8_S8_S9_S9_EESK_S10_SL_SM_SN_EUlS10_E0_NS1_11comp_targetILNS1_3genE9ELNS1_11target_archE1100ELNS1_3gpuE3ELNS1_3repE0EEENS1_38merge_mergepath_config_static_selectorELNS0_4arch9wavefront6targetE1EEEvSM_.numbered_sgpr, 0
	.set _ZN7rocprim17ROCPRIM_400000_NS6detail17trampoline_kernelINS0_14default_configENS1_38merge_sort_block_merge_config_selectorIlNS0_10empty_typeEEEZZNS1_27merge_sort_block_merge_implIS3_PlPS5_mZN2at6native12_GLOBAL__N_124unique_dim_cuda_templateIlEESt5tupleIJNSA_6TensorESF_SF_EERKSF_lbbbEUlllE_EE10hipError_tT0_T1_T2_jT3_P12ihipStream_tbPNSt15iterator_traitsISL_E10value_typeEPNSR_ISM_E10value_typeEPSN_NS1_7vsmem_tEENKUlT_SL_SM_SN_E_clIS8_S8_S9_S9_EESK_S10_SL_SM_SN_EUlS10_E0_NS1_11comp_targetILNS1_3genE9ELNS1_11target_archE1100ELNS1_3gpuE3ELNS1_3repE0EEENS1_38merge_mergepath_config_static_selectorELNS0_4arch9wavefront6targetE1EEEvSM_.num_named_barrier, 0
	.set _ZN7rocprim17ROCPRIM_400000_NS6detail17trampoline_kernelINS0_14default_configENS1_38merge_sort_block_merge_config_selectorIlNS0_10empty_typeEEEZZNS1_27merge_sort_block_merge_implIS3_PlPS5_mZN2at6native12_GLOBAL__N_124unique_dim_cuda_templateIlEESt5tupleIJNSA_6TensorESF_SF_EERKSF_lbbbEUlllE_EE10hipError_tT0_T1_T2_jT3_P12ihipStream_tbPNSt15iterator_traitsISL_E10value_typeEPNSR_ISM_E10value_typeEPSN_NS1_7vsmem_tEENKUlT_SL_SM_SN_E_clIS8_S8_S9_S9_EESK_S10_SL_SM_SN_EUlS10_E0_NS1_11comp_targetILNS1_3genE9ELNS1_11target_archE1100ELNS1_3gpuE3ELNS1_3repE0EEENS1_38merge_mergepath_config_static_selectorELNS0_4arch9wavefront6targetE1EEEvSM_.private_seg_size, 0
	.set _ZN7rocprim17ROCPRIM_400000_NS6detail17trampoline_kernelINS0_14default_configENS1_38merge_sort_block_merge_config_selectorIlNS0_10empty_typeEEEZZNS1_27merge_sort_block_merge_implIS3_PlPS5_mZN2at6native12_GLOBAL__N_124unique_dim_cuda_templateIlEESt5tupleIJNSA_6TensorESF_SF_EERKSF_lbbbEUlllE_EE10hipError_tT0_T1_T2_jT3_P12ihipStream_tbPNSt15iterator_traitsISL_E10value_typeEPNSR_ISM_E10value_typeEPSN_NS1_7vsmem_tEENKUlT_SL_SM_SN_E_clIS8_S8_S9_S9_EESK_S10_SL_SM_SN_EUlS10_E0_NS1_11comp_targetILNS1_3genE9ELNS1_11target_archE1100ELNS1_3gpuE3ELNS1_3repE0EEENS1_38merge_mergepath_config_static_selectorELNS0_4arch9wavefront6targetE1EEEvSM_.uses_vcc, 0
	.set _ZN7rocprim17ROCPRIM_400000_NS6detail17trampoline_kernelINS0_14default_configENS1_38merge_sort_block_merge_config_selectorIlNS0_10empty_typeEEEZZNS1_27merge_sort_block_merge_implIS3_PlPS5_mZN2at6native12_GLOBAL__N_124unique_dim_cuda_templateIlEESt5tupleIJNSA_6TensorESF_SF_EERKSF_lbbbEUlllE_EE10hipError_tT0_T1_T2_jT3_P12ihipStream_tbPNSt15iterator_traitsISL_E10value_typeEPNSR_ISM_E10value_typeEPSN_NS1_7vsmem_tEENKUlT_SL_SM_SN_E_clIS8_S8_S9_S9_EESK_S10_SL_SM_SN_EUlS10_E0_NS1_11comp_targetILNS1_3genE9ELNS1_11target_archE1100ELNS1_3gpuE3ELNS1_3repE0EEENS1_38merge_mergepath_config_static_selectorELNS0_4arch9wavefront6targetE1EEEvSM_.uses_flat_scratch, 0
	.set _ZN7rocprim17ROCPRIM_400000_NS6detail17trampoline_kernelINS0_14default_configENS1_38merge_sort_block_merge_config_selectorIlNS0_10empty_typeEEEZZNS1_27merge_sort_block_merge_implIS3_PlPS5_mZN2at6native12_GLOBAL__N_124unique_dim_cuda_templateIlEESt5tupleIJNSA_6TensorESF_SF_EERKSF_lbbbEUlllE_EE10hipError_tT0_T1_T2_jT3_P12ihipStream_tbPNSt15iterator_traitsISL_E10value_typeEPNSR_ISM_E10value_typeEPSN_NS1_7vsmem_tEENKUlT_SL_SM_SN_E_clIS8_S8_S9_S9_EESK_S10_SL_SM_SN_EUlS10_E0_NS1_11comp_targetILNS1_3genE9ELNS1_11target_archE1100ELNS1_3gpuE3ELNS1_3repE0EEENS1_38merge_mergepath_config_static_selectorELNS0_4arch9wavefront6targetE1EEEvSM_.has_dyn_sized_stack, 0
	.set _ZN7rocprim17ROCPRIM_400000_NS6detail17trampoline_kernelINS0_14default_configENS1_38merge_sort_block_merge_config_selectorIlNS0_10empty_typeEEEZZNS1_27merge_sort_block_merge_implIS3_PlPS5_mZN2at6native12_GLOBAL__N_124unique_dim_cuda_templateIlEESt5tupleIJNSA_6TensorESF_SF_EERKSF_lbbbEUlllE_EE10hipError_tT0_T1_T2_jT3_P12ihipStream_tbPNSt15iterator_traitsISL_E10value_typeEPNSR_ISM_E10value_typeEPSN_NS1_7vsmem_tEENKUlT_SL_SM_SN_E_clIS8_S8_S9_S9_EESK_S10_SL_SM_SN_EUlS10_E0_NS1_11comp_targetILNS1_3genE9ELNS1_11target_archE1100ELNS1_3gpuE3ELNS1_3repE0EEENS1_38merge_mergepath_config_static_selectorELNS0_4arch9wavefront6targetE1EEEvSM_.has_recursion, 0
	.set _ZN7rocprim17ROCPRIM_400000_NS6detail17trampoline_kernelINS0_14default_configENS1_38merge_sort_block_merge_config_selectorIlNS0_10empty_typeEEEZZNS1_27merge_sort_block_merge_implIS3_PlPS5_mZN2at6native12_GLOBAL__N_124unique_dim_cuda_templateIlEESt5tupleIJNSA_6TensorESF_SF_EERKSF_lbbbEUlllE_EE10hipError_tT0_T1_T2_jT3_P12ihipStream_tbPNSt15iterator_traitsISL_E10value_typeEPNSR_ISM_E10value_typeEPSN_NS1_7vsmem_tEENKUlT_SL_SM_SN_E_clIS8_S8_S9_S9_EESK_S10_SL_SM_SN_EUlS10_E0_NS1_11comp_targetILNS1_3genE9ELNS1_11target_archE1100ELNS1_3gpuE3ELNS1_3repE0EEENS1_38merge_mergepath_config_static_selectorELNS0_4arch9wavefront6targetE1EEEvSM_.has_indirect_call, 0
	.section	.AMDGPU.csdata,"",@progbits
; Kernel info:
; codeLenInByte = 0
; TotalNumSgprs: 6
; NumVgprs: 0
; NumAgprs: 0
; TotalNumVgprs: 0
; ScratchSize: 0
; MemoryBound: 0
; FloatMode: 240
; IeeeMode: 1
; LDSByteSize: 0 bytes/workgroup (compile time only)
; SGPRBlocks: 0
; VGPRBlocks: 0
; NumSGPRsForWavesPerEU: 6
; NumVGPRsForWavesPerEU: 1
; AccumOffset: 4
; Occupancy: 8
; WaveLimiterHint : 0
; COMPUTE_PGM_RSRC2:SCRATCH_EN: 0
; COMPUTE_PGM_RSRC2:USER_SGPR: 2
; COMPUTE_PGM_RSRC2:TRAP_HANDLER: 0
; COMPUTE_PGM_RSRC2:TGID_X_EN: 1
; COMPUTE_PGM_RSRC2:TGID_Y_EN: 0
; COMPUTE_PGM_RSRC2:TGID_Z_EN: 0
; COMPUTE_PGM_RSRC2:TIDIG_COMP_CNT: 0
; COMPUTE_PGM_RSRC3_GFX90A:ACCUM_OFFSET: 0
; COMPUTE_PGM_RSRC3_GFX90A:TG_SPLIT: 0
	.section	.text._ZN7rocprim17ROCPRIM_400000_NS6detail17trampoline_kernelINS0_14default_configENS1_38merge_sort_block_merge_config_selectorIlNS0_10empty_typeEEEZZNS1_27merge_sort_block_merge_implIS3_PlPS5_mZN2at6native12_GLOBAL__N_124unique_dim_cuda_templateIlEESt5tupleIJNSA_6TensorESF_SF_EERKSF_lbbbEUlllE_EE10hipError_tT0_T1_T2_jT3_P12ihipStream_tbPNSt15iterator_traitsISL_E10value_typeEPNSR_ISM_E10value_typeEPSN_NS1_7vsmem_tEENKUlT_SL_SM_SN_E_clIS8_S8_S9_S9_EESK_S10_SL_SM_SN_EUlS10_E0_NS1_11comp_targetILNS1_3genE8ELNS1_11target_archE1030ELNS1_3gpuE2ELNS1_3repE0EEENS1_38merge_mergepath_config_static_selectorELNS0_4arch9wavefront6targetE1EEEvSM_,"axG",@progbits,_ZN7rocprim17ROCPRIM_400000_NS6detail17trampoline_kernelINS0_14default_configENS1_38merge_sort_block_merge_config_selectorIlNS0_10empty_typeEEEZZNS1_27merge_sort_block_merge_implIS3_PlPS5_mZN2at6native12_GLOBAL__N_124unique_dim_cuda_templateIlEESt5tupleIJNSA_6TensorESF_SF_EERKSF_lbbbEUlllE_EE10hipError_tT0_T1_T2_jT3_P12ihipStream_tbPNSt15iterator_traitsISL_E10value_typeEPNSR_ISM_E10value_typeEPSN_NS1_7vsmem_tEENKUlT_SL_SM_SN_E_clIS8_S8_S9_S9_EESK_S10_SL_SM_SN_EUlS10_E0_NS1_11comp_targetILNS1_3genE8ELNS1_11target_archE1030ELNS1_3gpuE2ELNS1_3repE0EEENS1_38merge_mergepath_config_static_selectorELNS0_4arch9wavefront6targetE1EEEvSM_,comdat
	.globl	_ZN7rocprim17ROCPRIM_400000_NS6detail17trampoline_kernelINS0_14default_configENS1_38merge_sort_block_merge_config_selectorIlNS0_10empty_typeEEEZZNS1_27merge_sort_block_merge_implIS3_PlPS5_mZN2at6native12_GLOBAL__N_124unique_dim_cuda_templateIlEESt5tupleIJNSA_6TensorESF_SF_EERKSF_lbbbEUlllE_EE10hipError_tT0_T1_T2_jT3_P12ihipStream_tbPNSt15iterator_traitsISL_E10value_typeEPNSR_ISM_E10value_typeEPSN_NS1_7vsmem_tEENKUlT_SL_SM_SN_E_clIS8_S8_S9_S9_EESK_S10_SL_SM_SN_EUlS10_E0_NS1_11comp_targetILNS1_3genE8ELNS1_11target_archE1030ELNS1_3gpuE2ELNS1_3repE0EEENS1_38merge_mergepath_config_static_selectorELNS0_4arch9wavefront6targetE1EEEvSM_ ; -- Begin function _ZN7rocprim17ROCPRIM_400000_NS6detail17trampoline_kernelINS0_14default_configENS1_38merge_sort_block_merge_config_selectorIlNS0_10empty_typeEEEZZNS1_27merge_sort_block_merge_implIS3_PlPS5_mZN2at6native12_GLOBAL__N_124unique_dim_cuda_templateIlEESt5tupleIJNSA_6TensorESF_SF_EERKSF_lbbbEUlllE_EE10hipError_tT0_T1_T2_jT3_P12ihipStream_tbPNSt15iterator_traitsISL_E10value_typeEPNSR_ISM_E10value_typeEPSN_NS1_7vsmem_tEENKUlT_SL_SM_SN_E_clIS8_S8_S9_S9_EESK_S10_SL_SM_SN_EUlS10_E0_NS1_11comp_targetILNS1_3genE8ELNS1_11target_archE1030ELNS1_3gpuE2ELNS1_3repE0EEENS1_38merge_mergepath_config_static_selectorELNS0_4arch9wavefront6targetE1EEEvSM_
	.p2align	8
	.type	_ZN7rocprim17ROCPRIM_400000_NS6detail17trampoline_kernelINS0_14default_configENS1_38merge_sort_block_merge_config_selectorIlNS0_10empty_typeEEEZZNS1_27merge_sort_block_merge_implIS3_PlPS5_mZN2at6native12_GLOBAL__N_124unique_dim_cuda_templateIlEESt5tupleIJNSA_6TensorESF_SF_EERKSF_lbbbEUlllE_EE10hipError_tT0_T1_T2_jT3_P12ihipStream_tbPNSt15iterator_traitsISL_E10value_typeEPNSR_ISM_E10value_typeEPSN_NS1_7vsmem_tEENKUlT_SL_SM_SN_E_clIS8_S8_S9_S9_EESK_S10_SL_SM_SN_EUlS10_E0_NS1_11comp_targetILNS1_3genE8ELNS1_11target_archE1030ELNS1_3gpuE2ELNS1_3repE0EEENS1_38merge_mergepath_config_static_selectorELNS0_4arch9wavefront6targetE1EEEvSM_,@function
_ZN7rocprim17ROCPRIM_400000_NS6detail17trampoline_kernelINS0_14default_configENS1_38merge_sort_block_merge_config_selectorIlNS0_10empty_typeEEEZZNS1_27merge_sort_block_merge_implIS3_PlPS5_mZN2at6native12_GLOBAL__N_124unique_dim_cuda_templateIlEESt5tupleIJNSA_6TensorESF_SF_EERKSF_lbbbEUlllE_EE10hipError_tT0_T1_T2_jT3_P12ihipStream_tbPNSt15iterator_traitsISL_E10value_typeEPNSR_ISM_E10value_typeEPSN_NS1_7vsmem_tEENKUlT_SL_SM_SN_E_clIS8_S8_S9_S9_EESK_S10_SL_SM_SN_EUlS10_E0_NS1_11comp_targetILNS1_3genE8ELNS1_11target_archE1030ELNS1_3gpuE2ELNS1_3repE0EEENS1_38merge_mergepath_config_static_selectorELNS0_4arch9wavefront6targetE1EEEvSM_: ; @_ZN7rocprim17ROCPRIM_400000_NS6detail17trampoline_kernelINS0_14default_configENS1_38merge_sort_block_merge_config_selectorIlNS0_10empty_typeEEEZZNS1_27merge_sort_block_merge_implIS3_PlPS5_mZN2at6native12_GLOBAL__N_124unique_dim_cuda_templateIlEESt5tupleIJNSA_6TensorESF_SF_EERKSF_lbbbEUlllE_EE10hipError_tT0_T1_T2_jT3_P12ihipStream_tbPNSt15iterator_traitsISL_E10value_typeEPNSR_ISM_E10value_typeEPSN_NS1_7vsmem_tEENKUlT_SL_SM_SN_E_clIS8_S8_S9_S9_EESK_S10_SL_SM_SN_EUlS10_E0_NS1_11comp_targetILNS1_3genE8ELNS1_11target_archE1030ELNS1_3gpuE2ELNS1_3repE0EEENS1_38merge_mergepath_config_static_selectorELNS0_4arch9wavefront6targetE1EEEvSM_
; %bb.0:
	.section	.rodata,"a",@progbits
	.p2align	6, 0x0
	.amdhsa_kernel _ZN7rocprim17ROCPRIM_400000_NS6detail17trampoline_kernelINS0_14default_configENS1_38merge_sort_block_merge_config_selectorIlNS0_10empty_typeEEEZZNS1_27merge_sort_block_merge_implIS3_PlPS5_mZN2at6native12_GLOBAL__N_124unique_dim_cuda_templateIlEESt5tupleIJNSA_6TensorESF_SF_EERKSF_lbbbEUlllE_EE10hipError_tT0_T1_T2_jT3_P12ihipStream_tbPNSt15iterator_traitsISL_E10value_typeEPNSR_ISM_E10value_typeEPSN_NS1_7vsmem_tEENKUlT_SL_SM_SN_E_clIS8_S8_S9_S9_EESK_S10_SL_SM_SN_EUlS10_E0_NS1_11comp_targetILNS1_3genE8ELNS1_11target_archE1030ELNS1_3gpuE2ELNS1_3repE0EEENS1_38merge_mergepath_config_static_selectorELNS0_4arch9wavefront6targetE1EEEvSM_
		.amdhsa_group_segment_fixed_size 0
		.amdhsa_private_segment_fixed_size 0
		.amdhsa_kernarg_size 88
		.amdhsa_user_sgpr_count 2
		.amdhsa_user_sgpr_dispatch_ptr 0
		.amdhsa_user_sgpr_queue_ptr 0
		.amdhsa_user_sgpr_kernarg_segment_ptr 1
		.amdhsa_user_sgpr_dispatch_id 0
		.amdhsa_user_sgpr_kernarg_preload_length 0
		.amdhsa_user_sgpr_kernarg_preload_offset 0
		.amdhsa_user_sgpr_private_segment_size 0
		.amdhsa_uses_dynamic_stack 0
		.amdhsa_enable_private_segment 0
		.amdhsa_system_sgpr_workgroup_id_x 1
		.amdhsa_system_sgpr_workgroup_id_y 0
		.amdhsa_system_sgpr_workgroup_id_z 0
		.amdhsa_system_sgpr_workgroup_info 0
		.amdhsa_system_vgpr_workitem_id 0
		.amdhsa_next_free_vgpr 1
		.amdhsa_next_free_sgpr 0
		.amdhsa_accum_offset 4
		.amdhsa_reserve_vcc 0
		.amdhsa_float_round_mode_32 0
		.amdhsa_float_round_mode_16_64 0
		.amdhsa_float_denorm_mode_32 3
		.amdhsa_float_denorm_mode_16_64 3
		.amdhsa_dx10_clamp 1
		.amdhsa_ieee_mode 1
		.amdhsa_fp16_overflow 0
		.amdhsa_tg_split 0
		.amdhsa_exception_fp_ieee_invalid_op 0
		.amdhsa_exception_fp_denorm_src 0
		.amdhsa_exception_fp_ieee_div_zero 0
		.amdhsa_exception_fp_ieee_overflow 0
		.amdhsa_exception_fp_ieee_underflow 0
		.amdhsa_exception_fp_ieee_inexact 0
		.amdhsa_exception_int_div_zero 0
	.end_amdhsa_kernel
	.section	.text._ZN7rocprim17ROCPRIM_400000_NS6detail17trampoline_kernelINS0_14default_configENS1_38merge_sort_block_merge_config_selectorIlNS0_10empty_typeEEEZZNS1_27merge_sort_block_merge_implIS3_PlPS5_mZN2at6native12_GLOBAL__N_124unique_dim_cuda_templateIlEESt5tupleIJNSA_6TensorESF_SF_EERKSF_lbbbEUlllE_EE10hipError_tT0_T1_T2_jT3_P12ihipStream_tbPNSt15iterator_traitsISL_E10value_typeEPNSR_ISM_E10value_typeEPSN_NS1_7vsmem_tEENKUlT_SL_SM_SN_E_clIS8_S8_S9_S9_EESK_S10_SL_SM_SN_EUlS10_E0_NS1_11comp_targetILNS1_3genE8ELNS1_11target_archE1030ELNS1_3gpuE2ELNS1_3repE0EEENS1_38merge_mergepath_config_static_selectorELNS0_4arch9wavefront6targetE1EEEvSM_,"axG",@progbits,_ZN7rocprim17ROCPRIM_400000_NS6detail17trampoline_kernelINS0_14default_configENS1_38merge_sort_block_merge_config_selectorIlNS0_10empty_typeEEEZZNS1_27merge_sort_block_merge_implIS3_PlPS5_mZN2at6native12_GLOBAL__N_124unique_dim_cuda_templateIlEESt5tupleIJNSA_6TensorESF_SF_EERKSF_lbbbEUlllE_EE10hipError_tT0_T1_T2_jT3_P12ihipStream_tbPNSt15iterator_traitsISL_E10value_typeEPNSR_ISM_E10value_typeEPSN_NS1_7vsmem_tEENKUlT_SL_SM_SN_E_clIS8_S8_S9_S9_EESK_S10_SL_SM_SN_EUlS10_E0_NS1_11comp_targetILNS1_3genE8ELNS1_11target_archE1030ELNS1_3gpuE2ELNS1_3repE0EEENS1_38merge_mergepath_config_static_selectorELNS0_4arch9wavefront6targetE1EEEvSM_,comdat
.Lfunc_end529:
	.size	_ZN7rocprim17ROCPRIM_400000_NS6detail17trampoline_kernelINS0_14default_configENS1_38merge_sort_block_merge_config_selectorIlNS0_10empty_typeEEEZZNS1_27merge_sort_block_merge_implIS3_PlPS5_mZN2at6native12_GLOBAL__N_124unique_dim_cuda_templateIlEESt5tupleIJNSA_6TensorESF_SF_EERKSF_lbbbEUlllE_EE10hipError_tT0_T1_T2_jT3_P12ihipStream_tbPNSt15iterator_traitsISL_E10value_typeEPNSR_ISM_E10value_typeEPSN_NS1_7vsmem_tEENKUlT_SL_SM_SN_E_clIS8_S8_S9_S9_EESK_S10_SL_SM_SN_EUlS10_E0_NS1_11comp_targetILNS1_3genE8ELNS1_11target_archE1030ELNS1_3gpuE2ELNS1_3repE0EEENS1_38merge_mergepath_config_static_selectorELNS0_4arch9wavefront6targetE1EEEvSM_, .Lfunc_end529-_ZN7rocprim17ROCPRIM_400000_NS6detail17trampoline_kernelINS0_14default_configENS1_38merge_sort_block_merge_config_selectorIlNS0_10empty_typeEEEZZNS1_27merge_sort_block_merge_implIS3_PlPS5_mZN2at6native12_GLOBAL__N_124unique_dim_cuda_templateIlEESt5tupleIJNSA_6TensorESF_SF_EERKSF_lbbbEUlllE_EE10hipError_tT0_T1_T2_jT3_P12ihipStream_tbPNSt15iterator_traitsISL_E10value_typeEPNSR_ISM_E10value_typeEPSN_NS1_7vsmem_tEENKUlT_SL_SM_SN_E_clIS8_S8_S9_S9_EESK_S10_SL_SM_SN_EUlS10_E0_NS1_11comp_targetILNS1_3genE8ELNS1_11target_archE1030ELNS1_3gpuE2ELNS1_3repE0EEENS1_38merge_mergepath_config_static_selectorELNS0_4arch9wavefront6targetE1EEEvSM_
                                        ; -- End function
	.set _ZN7rocprim17ROCPRIM_400000_NS6detail17trampoline_kernelINS0_14default_configENS1_38merge_sort_block_merge_config_selectorIlNS0_10empty_typeEEEZZNS1_27merge_sort_block_merge_implIS3_PlPS5_mZN2at6native12_GLOBAL__N_124unique_dim_cuda_templateIlEESt5tupleIJNSA_6TensorESF_SF_EERKSF_lbbbEUlllE_EE10hipError_tT0_T1_T2_jT3_P12ihipStream_tbPNSt15iterator_traitsISL_E10value_typeEPNSR_ISM_E10value_typeEPSN_NS1_7vsmem_tEENKUlT_SL_SM_SN_E_clIS8_S8_S9_S9_EESK_S10_SL_SM_SN_EUlS10_E0_NS1_11comp_targetILNS1_3genE8ELNS1_11target_archE1030ELNS1_3gpuE2ELNS1_3repE0EEENS1_38merge_mergepath_config_static_selectorELNS0_4arch9wavefront6targetE1EEEvSM_.num_vgpr, 0
	.set _ZN7rocprim17ROCPRIM_400000_NS6detail17trampoline_kernelINS0_14default_configENS1_38merge_sort_block_merge_config_selectorIlNS0_10empty_typeEEEZZNS1_27merge_sort_block_merge_implIS3_PlPS5_mZN2at6native12_GLOBAL__N_124unique_dim_cuda_templateIlEESt5tupleIJNSA_6TensorESF_SF_EERKSF_lbbbEUlllE_EE10hipError_tT0_T1_T2_jT3_P12ihipStream_tbPNSt15iterator_traitsISL_E10value_typeEPNSR_ISM_E10value_typeEPSN_NS1_7vsmem_tEENKUlT_SL_SM_SN_E_clIS8_S8_S9_S9_EESK_S10_SL_SM_SN_EUlS10_E0_NS1_11comp_targetILNS1_3genE8ELNS1_11target_archE1030ELNS1_3gpuE2ELNS1_3repE0EEENS1_38merge_mergepath_config_static_selectorELNS0_4arch9wavefront6targetE1EEEvSM_.num_agpr, 0
	.set _ZN7rocprim17ROCPRIM_400000_NS6detail17trampoline_kernelINS0_14default_configENS1_38merge_sort_block_merge_config_selectorIlNS0_10empty_typeEEEZZNS1_27merge_sort_block_merge_implIS3_PlPS5_mZN2at6native12_GLOBAL__N_124unique_dim_cuda_templateIlEESt5tupleIJNSA_6TensorESF_SF_EERKSF_lbbbEUlllE_EE10hipError_tT0_T1_T2_jT3_P12ihipStream_tbPNSt15iterator_traitsISL_E10value_typeEPNSR_ISM_E10value_typeEPSN_NS1_7vsmem_tEENKUlT_SL_SM_SN_E_clIS8_S8_S9_S9_EESK_S10_SL_SM_SN_EUlS10_E0_NS1_11comp_targetILNS1_3genE8ELNS1_11target_archE1030ELNS1_3gpuE2ELNS1_3repE0EEENS1_38merge_mergepath_config_static_selectorELNS0_4arch9wavefront6targetE1EEEvSM_.numbered_sgpr, 0
	.set _ZN7rocprim17ROCPRIM_400000_NS6detail17trampoline_kernelINS0_14default_configENS1_38merge_sort_block_merge_config_selectorIlNS0_10empty_typeEEEZZNS1_27merge_sort_block_merge_implIS3_PlPS5_mZN2at6native12_GLOBAL__N_124unique_dim_cuda_templateIlEESt5tupleIJNSA_6TensorESF_SF_EERKSF_lbbbEUlllE_EE10hipError_tT0_T1_T2_jT3_P12ihipStream_tbPNSt15iterator_traitsISL_E10value_typeEPNSR_ISM_E10value_typeEPSN_NS1_7vsmem_tEENKUlT_SL_SM_SN_E_clIS8_S8_S9_S9_EESK_S10_SL_SM_SN_EUlS10_E0_NS1_11comp_targetILNS1_3genE8ELNS1_11target_archE1030ELNS1_3gpuE2ELNS1_3repE0EEENS1_38merge_mergepath_config_static_selectorELNS0_4arch9wavefront6targetE1EEEvSM_.num_named_barrier, 0
	.set _ZN7rocprim17ROCPRIM_400000_NS6detail17trampoline_kernelINS0_14default_configENS1_38merge_sort_block_merge_config_selectorIlNS0_10empty_typeEEEZZNS1_27merge_sort_block_merge_implIS3_PlPS5_mZN2at6native12_GLOBAL__N_124unique_dim_cuda_templateIlEESt5tupleIJNSA_6TensorESF_SF_EERKSF_lbbbEUlllE_EE10hipError_tT0_T1_T2_jT3_P12ihipStream_tbPNSt15iterator_traitsISL_E10value_typeEPNSR_ISM_E10value_typeEPSN_NS1_7vsmem_tEENKUlT_SL_SM_SN_E_clIS8_S8_S9_S9_EESK_S10_SL_SM_SN_EUlS10_E0_NS1_11comp_targetILNS1_3genE8ELNS1_11target_archE1030ELNS1_3gpuE2ELNS1_3repE0EEENS1_38merge_mergepath_config_static_selectorELNS0_4arch9wavefront6targetE1EEEvSM_.private_seg_size, 0
	.set _ZN7rocprim17ROCPRIM_400000_NS6detail17trampoline_kernelINS0_14default_configENS1_38merge_sort_block_merge_config_selectorIlNS0_10empty_typeEEEZZNS1_27merge_sort_block_merge_implIS3_PlPS5_mZN2at6native12_GLOBAL__N_124unique_dim_cuda_templateIlEESt5tupleIJNSA_6TensorESF_SF_EERKSF_lbbbEUlllE_EE10hipError_tT0_T1_T2_jT3_P12ihipStream_tbPNSt15iterator_traitsISL_E10value_typeEPNSR_ISM_E10value_typeEPSN_NS1_7vsmem_tEENKUlT_SL_SM_SN_E_clIS8_S8_S9_S9_EESK_S10_SL_SM_SN_EUlS10_E0_NS1_11comp_targetILNS1_3genE8ELNS1_11target_archE1030ELNS1_3gpuE2ELNS1_3repE0EEENS1_38merge_mergepath_config_static_selectorELNS0_4arch9wavefront6targetE1EEEvSM_.uses_vcc, 0
	.set _ZN7rocprim17ROCPRIM_400000_NS6detail17trampoline_kernelINS0_14default_configENS1_38merge_sort_block_merge_config_selectorIlNS0_10empty_typeEEEZZNS1_27merge_sort_block_merge_implIS3_PlPS5_mZN2at6native12_GLOBAL__N_124unique_dim_cuda_templateIlEESt5tupleIJNSA_6TensorESF_SF_EERKSF_lbbbEUlllE_EE10hipError_tT0_T1_T2_jT3_P12ihipStream_tbPNSt15iterator_traitsISL_E10value_typeEPNSR_ISM_E10value_typeEPSN_NS1_7vsmem_tEENKUlT_SL_SM_SN_E_clIS8_S8_S9_S9_EESK_S10_SL_SM_SN_EUlS10_E0_NS1_11comp_targetILNS1_3genE8ELNS1_11target_archE1030ELNS1_3gpuE2ELNS1_3repE0EEENS1_38merge_mergepath_config_static_selectorELNS0_4arch9wavefront6targetE1EEEvSM_.uses_flat_scratch, 0
	.set _ZN7rocprim17ROCPRIM_400000_NS6detail17trampoline_kernelINS0_14default_configENS1_38merge_sort_block_merge_config_selectorIlNS0_10empty_typeEEEZZNS1_27merge_sort_block_merge_implIS3_PlPS5_mZN2at6native12_GLOBAL__N_124unique_dim_cuda_templateIlEESt5tupleIJNSA_6TensorESF_SF_EERKSF_lbbbEUlllE_EE10hipError_tT0_T1_T2_jT3_P12ihipStream_tbPNSt15iterator_traitsISL_E10value_typeEPNSR_ISM_E10value_typeEPSN_NS1_7vsmem_tEENKUlT_SL_SM_SN_E_clIS8_S8_S9_S9_EESK_S10_SL_SM_SN_EUlS10_E0_NS1_11comp_targetILNS1_3genE8ELNS1_11target_archE1030ELNS1_3gpuE2ELNS1_3repE0EEENS1_38merge_mergepath_config_static_selectorELNS0_4arch9wavefront6targetE1EEEvSM_.has_dyn_sized_stack, 0
	.set _ZN7rocprim17ROCPRIM_400000_NS6detail17trampoline_kernelINS0_14default_configENS1_38merge_sort_block_merge_config_selectorIlNS0_10empty_typeEEEZZNS1_27merge_sort_block_merge_implIS3_PlPS5_mZN2at6native12_GLOBAL__N_124unique_dim_cuda_templateIlEESt5tupleIJNSA_6TensorESF_SF_EERKSF_lbbbEUlllE_EE10hipError_tT0_T1_T2_jT3_P12ihipStream_tbPNSt15iterator_traitsISL_E10value_typeEPNSR_ISM_E10value_typeEPSN_NS1_7vsmem_tEENKUlT_SL_SM_SN_E_clIS8_S8_S9_S9_EESK_S10_SL_SM_SN_EUlS10_E0_NS1_11comp_targetILNS1_3genE8ELNS1_11target_archE1030ELNS1_3gpuE2ELNS1_3repE0EEENS1_38merge_mergepath_config_static_selectorELNS0_4arch9wavefront6targetE1EEEvSM_.has_recursion, 0
	.set _ZN7rocprim17ROCPRIM_400000_NS6detail17trampoline_kernelINS0_14default_configENS1_38merge_sort_block_merge_config_selectorIlNS0_10empty_typeEEEZZNS1_27merge_sort_block_merge_implIS3_PlPS5_mZN2at6native12_GLOBAL__N_124unique_dim_cuda_templateIlEESt5tupleIJNSA_6TensorESF_SF_EERKSF_lbbbEUlllE_EE10hipError_tT0_T1_T2_jT3_P12ihipStream_tbPNSt15iterator_traitsISL_E10value_typeEPNSR_ISM_E10value_typeEPSN_NS1_7vsmem_tEENKUlT_SL_SM_SN_E_clIS8_S8_S9_S9_EESK_S10_SL_SM_SN_EUlS10_E0_NS1_11comp_targetILNS1_3genE8ELNS1_11target_archE1030ELNS1_3gpuE2ELNS1_3repE0EEENS1_38merge_mergepath_config_static_selectorELNS0_4arch9wavefront6targetE1EEEvSM_.has_indirect_call, 0
	.section	.AMDGPU.csdata,"",@progbits
; Kernel info:
; codeLenInByte = 0
; TotalNumSgprs: 6
; NumVgprs: 0
; NumAgprs: 0
; TotalNumVgprs: 0
; ScratchSize: 0
; MemoryBound: 0
; FloatMode: 240
; IeeeMode: 1
; LDSByteSize: 0 bytes/workgroup (compile time only)
; SGPRBlocks: 0
; VGPRBlocks: 0
; NumSGPRsForWavesPerEU: 6
; NumVGPRsForWavesPerEU: 1
; AccumOffset: 4
; Occupancy: 8
; WaveLimiterHint : 0
; COMPUTE_PGM_RSRC2:SCRATCH_EN: 0
; COMPUTE_PGM_RSRC2:USER_SGPR: 2
; COMPUTE_PGM_RSRC2:TRAP_HANDLER: 0
; COMPUTE_PGM_RSRC2:TGID_X_EN: 1
; COMPUTE_PGM_RSRC2:TGID_Y_EN: 0
; COMPUTE_PGM_RSRC2:TGID_Z_EN: 0
; COMPUTE_PGM_RSRC2:TIDIG_COMP_CNT: 0
; COMPUTE_PGM_RSRC3_GFX90A:ACCUM_OFFSET: 0
; COMPUTE_PGM_RSRC3_GFX90A:TG_SPLIT: 0
	.section	.text._ZN7rocprim17ROCPRIM_400000_NS6detail17trampoline_kernelINS0_14default_configENS1_38merge_sort_block_merge_config_selectorIlNS0_10empty_typeEEEZZNS1_27merge_sort_block_merge_implIS3_PlPS5_mZN2at6native12_GLOBAL__N_124unique_dim_cuda_templateIlEESt5tupleIJNSA_6TensorESF_SF_EERKSF_lbbbEUlllE_EE10hipError_tT0_T1_T2_jT3_P12ihipStream_tbPNSt15iterator_traitsISL_E10value_typeEPNSR_ISM_E10value_typeEPSN_NS1_7vsmem_tEENKUlT_SL_SM_SN_E_clIS8_S8_S9_S9_EESK_S10_SL_SM_SN_EUlS10_E1_NS1_11comp_targetILNS1_3genE0ELNS1_11target_archE4294967295ELNS1_3gpuE0ELNS1_3repE0EEENS1_36merge_oddeven_config_static_selectorELNS0_4arch9wavefront6targetE1EEEvSM_,"axG",@progbits,_ZN7rocprim17ROCPRIM_400000_NS6detail17trampoline_kernelINS0_14default_configENS1_38merge_sort_block_merge_config_selectorIlNS0_10empty_typeEEEZZNS1_27merge_sort_block_merge_implIS3_PlPS5_mZN2at6native12_GLOBAL__N_124unique_dim_cuda_templateIlEESt5tupleIJNSA_6TensorESF_SF_EERKSF_lbbbEUlllE_EE10hipError_tT0_T1_T2_jT3_P12ihipStream_tbPNSt15iterator_traitsISL_E10value_typeEPNSR_ISM_E10value_typeEPSN_NS1_7vsmem_tEENKUlT_SL_SM_SN_E_clIS8_S8_S9_S9_EESK_S10_SL_SM_SN_EUlS10_E1_NS1_11comp_targetILNS1_3genE0ELNS1_11target_archE4294967295ELNS1_3gpuE0ELNS1_3repE0EEENS1_36merge_oddeven_config_static_selectorELNS0_4arch9wavefront6targetE1EEEvSM_,comdat
	.globl	_ZN7rocprim17ROCPRIM_400000_NS6detail17trampoline_kernelINS0_14default_configENS1_38merge_sort_block_merge_config_selectorIlNS0_10empty_typeEEEZZNS1_27merge_sort_block_merge_implIS3_PlPS5_mZN2at6native12_GLOBAL__N_124unique_dim_cuda_templateIlEESt5tupleIJNSA_6TensorESF_SF_EERKSF_lbbbEUlllE_EE10hipError_tT0_T1_T2_jT3_P12ihipStream_tbPNSt15iterator_traitsISL_E10value_typeEPNSR_ISM_E10value_typeEPSN_NS1_7vsmem_tEENKUlT_SL_SM_SN_E_clIS8_S8_S9_S9_EESK_S10_SL_SM_SN_EUlS10_E1_NS1_11comp_targetILNS1_3genE0ELNS1_11target_archE4294967295ELNS1_3gpuE0ELNS1_3repE0EEENS1_36merge_oddeven_config_static_selectorELNS0_4arch9wavefront6targetE1EEEvSM_ ; -- Begin function _ZN7rocprim17ROCPRIM_400000_NS6detail17trampoline_kernelINS0_14default_configENS1_38merge_sort_block_merge_config_selectorIlNS0_10empty_typeEEEZZNS1_27merge_sort_block_merge_implIS3_PlPS5_mZN2at6native12_GLOBAL__N_124unique_dim_cuda_templateIlEESt5tupleIJNSA_6TensorESF_SF_EERKSF_lbbbEUlllE_EE10hipError_tT0_T1_T2_jT3_P12ihipStream_tbPNSt15iterator_traitsISL_E10value_typeEPNSR_ISM_E10value_typeEPSN_NS1_7vsmem_tEENKUlT_SL_SM_SN_E_clIS8_S8_S9_S9_EESK_S10_SL_SM_SN_EUlS10_E1_NS1_11comp_targetILNS1_3genE0ELNS1_11target_archE4294967295ELNS1_3gpuE0ELNS1_3repE0EEENS1_36merge_oddeven_config_static_selectorELNS0_4arch9wavefront6targetE1EEEvSM_
	.p2align	8
	.type	_ZN7rocprim17ROCPRIM_400000_NS6detail17trampoline_kernelINS0_14default_configENS1_38merge_sort_block_merge_config_selectorIlNS0_10empty_typeEEEZZNS1_27merge_sort_block_merge_implIS3_PlPS5_mZN2at6native12_GLOBAL__N_124unique_dim_cuda_templateIlEESt5tupleIJNSA_6TensorESF_SF_EERKSF_lbbbEUlllE_EE10hipError_tT0_T1_T2_jT3_P12ihipStream_tbPNSt15iterator_traitsISL_E10value_typeEPNSR_ISM_E10value_typeEPSN_NS1_7vsmem_tEENKUlT_SL_SM_SN_E_clIS8_S8_S9_S9_EESK_S10_SL_SM_SN_EUlS10_E1_NS1_11comp_targetILNS1_3genE0ELNS1_11target_archE4294967295ELNS1_3gpuE0ELNS1_3repE0EEENS1_36merge_oddeven_config_static_selectorELNS0_4arch9wavefront6targetE1EEEvSM_,@function
_ZN7rocprim17ROCPRIM_400000_NS6detail17trampoline_kernelINS0_14default_configENS1_38merge_sort_block_merge_config_selectorIlNS0_10empty_typeEEEZZNS1_27merge_sort_block_merge_implIS3_PlPS5_mZN2at6native12_GLOBAL__N_124unique_dim_cuda_templateIlEESt5tupleIJNSA_6TensorESF_SF_EERKSF_lbbbEUlllE_EE10hipError_tT0_T1_T2_jT3_P12ihipStream_tbPNSt15iterator_traitsISL_E10value_typeEPNSR_ISM_E10value_typeEPSN_NS1_7vsmem_tEENKUlT_SL_SM_SN_E_clIS8_S8_S9_S9_EESK_S10_SL_SM_SN_EUlS10_E1_NS1_11comp_targetILNS1_3genE0ELNS1_11target_archE4294967295ELNS1_3gpuE0ELNS1_3repE0EEENS1_36merge_oddeven_config_static_selectorELNS0_4arch9wavefront6targetE1EEEvSM_: ; @_ZN7rocprim17ROCPRIM_400000_NS6detail17trampoline_kernelINS0_14default_configENS1_38merge_sort_block_merge_config_selectorIlNS0_10empty_typeEEEZZNS1_27merge_sort_block_merge_implIS3_PlPS5_mZN2at6native12_GLOBAL__N_124unique_dim_cuda_templateIlEESt5tupleIJNSA_6TensorESF_SF_EERKSF_lbbbEUlllE_EE10hipError_tT0_T1_T2_jT3_P12ihipStream_tbPNSt15iterator_traitsISL_E10value_typeEPNSR_ISM_E10value_typeEPSN_NS1_7vsmem_tEENKUlT_SL_SM_SN_E_clIS8_S8_S9_S9_EESK_S10_SL_SM_SN_EUlS10_E1_NS1_11comp_targetILNS1_3genE0ELNS1_11target_archE4294967295ELNS1_3gpuE0ELNS1_3repE0EEENS1_36merge_oddeven_config_static_selectorELNS0_4arch9wavefront6targetE1EEEvSM_
; %bb.0:
	s_load_dword s22, s[0:1], 0x20
	s_waitcnt lgkmcnt(0)
	s_lshr_b32 s3, s22, 8
	s_cmp_lg_u32 s2, s3
	s_cselect_b64 s[12:13], -1, 0
	s_cmp_eq_u32 s2, s3
	s_cselect_b64 s[6:7], -1, 0
	s_lshl_b32 s20, s2, 8
	s_sub_i32 s3, s22, s20
	v_cmp_gt_u32_e64 s[4:5], s3, v0
	s_or_b64 s[8:9], s[12:13], s[4:5]
	s_and_saveexec_b64 s[10:11], s[8:9]
	s_cbranch_execz .LBB530_54
; %bb.1:
	s_load_dwordx4 s[8:11], s[0:1], 0x0
	s_load_dword s23, s[0:1], 0x28
	s_mov_b32 s21, 0
	s_lshl_b64 s[14:15], s[20:21], 3
	v_lshlrev_b32_e32 v1, 3, v0
	s_waitcnt lgkmcnt(0)
	s_add_u32 s14, s8, s14
	s_addc_u32 s15, s9, s15
	global_load_dwordx2 v[2:3], v1, s[14:15]
	s_lshr_b32 s3, s23, 8
	s_sub_i32 s14, 0, s3
	s_and_b32 s2, s2, s14
	s_and_b32 s3, s2, s3
	s_cmp_lg_u32 s3, 0
	s_cselect_b64 s[16:17], -1, 0
	s_lshl_b32 s21, s2, 8
	s_sub_i32 s2, 0, s23
	s_cmp_eq_u32 s3, 0
	s_cselect_b32 s33, s23, s2
	s_add_i32 s33, s33, s21
	s_cmp_lt_u32 s33, s22
	s_cbranch_scc1 .LBB530_3
; %bb.2:
	v_add_u32_e32 v4, s20, v0
	v_cmp_gt_u32_e32 vcc, s22, v4
	s_or_b64 s[12:13], vcc, s[12:13]
	s_and_b64 s[18:19], s[12:13], exec
	s_cbranch_execz .LBB530_4
	s_branch .LBB530_52
.LBB530_3:
	s_mov_b64 s[18:19], 0
                                        ; implicit-def: $vgpr4
.LBB530_4:
	s_load_dwordx4 s[12:15], s[0:1], 0x30
	s_min_u32 s44, s33, s22
	s_add_i32 s0, s44, s23
	s_min_u32 s45, s0, s22
	s_min_u32 s0, s21, s44
	v_add_u32_e32 v0, s20, v0
	s_add_i32 s21, s21, s44
	v_subrev_u32_e32 v0, s21, v0
	v_add_u32_e32 v14, s0, v0
	s_waitcnt lgkmcnt(0)
	v_cmp_gt_i64_e64 s[20:21], s[12:13], 0
	s_and_b64 vcc, exec, s[6:7]
	s_cbranch_vccz .LBB530_26
; %bb.5:
                                        ; implicit-def: $vgpr4
	s_and_saveexec_b64 s[22:23], s[4:5]
	s_cbranch_execz .LBB530_29
; %bb.6:
	s_cmp_ge_u32 s33, s45
	v_mov_b32_e32 v15, s44
	s_cbranch_scc1 .LBB530_28
; %bb.7:
	s_waitcnt vmcnt(0)
	v_mul_lo_u32 v0, v3, s12
	v_mul_lo_u32 v1, v2, s13
	v_mad_u64_u32 v[4:5], s[0:1], v2, s12, 0
	v_cndmask_b32_e64 v6, 0, 1, s[16:17]
	v_add3_u32 v5, v5, v1, v0
	v_cmp_ne_u32_e64 s[0:1], 1, v6
	v_cndmask_b32_e64 v6, 0, 1, s[20:21]
	v_mov_b64_e32 v[0:1], s[14:15]
	v_lshl_add_u64 v[4:5], v[4:5], 3, s[14:15]
	s_lshl_b64 s[26:27], s[12:13], 3
	s_mov_b64 s[24:25], 0
	v_mov_b32_e32 v16, s45
	v_mov_b32_e32 v15, s44
	;; [unrolled: 1-line block ×3, first 2 shown]
	v_cmp_ne_u32_e64 s[2:3], 1, v6
	s_branch .LBB530_10
.LBB530_8:                              ;   in Loop: Header=BB530_10 Depth=1
	s_or_b64 exec, exec, s[30:31]
.LBB530_9:                              ;   in Loop: Header=BB530_10 Depth=1
	s_waitcnt vmcnt(0)
	v_add_u32_e32 v8, 1, v6
	v_cndmask_b32_e64 v16, v6, v16, s[28:29]
	v_cndmask_b32_e64 v15, v15, v8, s[28:29]
	v_cmp_ge_u32_e32 vcc, v15, v16
	s_or_b64 s[24:25], vcc, s[24:25]
	s_andn2_b64 exec, exec, s[24:25]
	s_cbranch_execz .LBB530_27
.LBB530_10:                             ; =>This Loop Header: Depth=1
                                        ;     Child Loop BB530_14 Depth 2
                                        ;     Child Loop BB530_23 Depth 2
	v_add_u32_e32 v6, v15, v16
	v_lshrrev_b32_e32 v6, 1, v6
	v_lshl_add_u64 v[8:9], v[6:7], 3, s[8:9]
	global_load_dwordx2 v[8:9], v[8:9], off
	s_and_b64 vcc, exec, s[0:1]
	s_mov_b64 s[4:5], -1
                                        ; implicit-def: $sgpr28_sgpr29
	s_cbranch_vccnz .LBB530_19
; %bb.11:                               ;   in Loop: Header=BB530_10 Depth=1
	s_and_b64 vcc, exec, s[2:3]
	s_cbranch_vccnz .LBB530_17
; %bb.12:                               ;   in Loop: Header=BB530_10 Depth=1
	s_waitcnt vmcnt(0)
	v_mad_u64_u32 v[10:11], s[4:5], s26, v8, v[0:1]
	v_mul_lo_u32 v12, s26, v9
	v_mul_lo_u32 v13, s27, v8
	v_add3_u32 v11, v13, v11, v12
	s_mov_b64 s[28:29], 0
	s_mov_b64 s[36:37], s[12:13]
	v_mov_b64_e32 v[12:13], v[4:5]
                                        ; implicit-def: $sgpr30_sgpr31
                                        ; implicit-def: $sgpr34_sgpr35
                                        ; implicit-def: $sgpr4_sgpr5
                                        ; implicit-def: $sgpr38_sgpr39
	s_branch .LBB530_14
.LBB530_13:                             ;   in Loop: Header=BB530_14 Depth=2
	s_or_b64 exec, exec, s[42:43]
	s_and_b64 s[6:7], exec, s[34:35]
	s_or_b64 s[28:29], s[6:7], s[28:29]
	s_andn2_b64 s[6:7], s[38:39], exec
	s_and_b64 s[38:39], s[40:41], exec
	s_or_b64 s[38:39], s[6:7], s[38:39]
	s_andn2_b64 s[6:7], s[30:31], exec
	s_and_b64 s[30:31], s[4:5], exec
	s_or_b64 s[30:31], s[6:7], s[30:31]
	s_andn2_b64 exec, exec, s[28:29]
	s_cbranch_execz .LBB530_16
.LBB530_14:                             ;   Parent Loop BB530_10 Depth=1
                                        ; =>  This Inner Loop Header: Depth=2
	global_load_dwordx2 v[18:19], v[12:13], off
	global_load_dwordx2 v[20:21], v[10:11], off
	s_andn2_b64 s[42:43], s[4:5], exec
	s_or_b64 s[34:35], s[34:35], exec
	s_waitcnt vmcnt(0)
	v_cmp_le_i64_e64 s[4:5], v[18:19], v[20:21]
	v_cmp_lt_i64_e32 vcc, v[18:19], v[20:21]
	s_and_b64 s[4:5], s[4:5], s[38:39]
	s_or_b64 s[40:41], vcc, s[4:5]
	s_and_b64 s[4:5], s[40:41], exec
	v_cmp_eq_u64_e64 s[6:7], v[18:19], v[20:21]
	s_or_b64 s[4:5], s[42:43], s[4:5]
	s_and_saveexec_b64 s[42:43], s[6:7]
	s_cbranch_execz .LBB530_13
; %bb.15:                               ;   in Loop: Header=BB530_14 Depth=2
	s_add_u32 s36, s36, -1
	s_addc_u32 s37, s37, -1
	s_cmp_eq_u64 s[36:37], 0
	s_cselect_b64 s[6:7], -1, 0
	s_andn2_b64 s[34:35], s[34:35], exec
	s_and_b64 s[6:7], s[6:7], exec
	v_lshl_add_u64 v[12:13], v[12:13], 0, 8
	v_lshl_add_u64 v[10:11], v[10:11], 0, 8
	s_andn2_b64 s[4:5], s[4:5], exec
	s_or_b64 s[34:35], s[34:35], s[6:7]
                                        ; implicit-def: $sgpr38_sgpr39
	s_branch .LBB530_13
.LBB530_16:                             ;   in Loop: Header=BB530_10 Depth=1
	s_or_b64 exec, exec, s[28:29]
	s_xor_b64 s[28:29], s[30:31], -1
	s_branch .LBB530_18
.LBB530_17:                             ;   in Loop: Header=BB530_10 Depth=1
	s_mov_b64 s[28:29], -1
.LBB530_18:                             ;   in Loop: Header=BB530_10 Depth=1
	s_mov_b64 s[4:5], 0
.LBB530_19:                             ;   in Loop: Header=BB530_10 Depth=1
	s_andn2_b64 vcc, exec, s[4:5]
	s_cbranch_vccnz .LBB530_9
; %bb.20:                               ;   in Loop: Header=BB530_10 Depth=1
	s_and_b64 vcc, exec, s[2:3]
	s_cbranch_vccnz .LBB530_25
; %bb.21:                               ;   in Loop: Header=BB530_10 Depth=1
	s_waitcnt vmcnt(0)
	v_mad_u64_u32 v[10:11], s[4:5], s26, v8, v[0:1]
	v_mul_lo_u32 v9, s26, v9
	v_mul_lo_u32 v8, s27, v8
	v_add3_u32 v11, v8, v11, v9
	s_mov_b64 s[30:31], 0
	s_mov_b64 s[36:37], s[12:13]
	v_mov_b64_e32 v[8:9], v[4:5]
                                        ; implicit-def: $sgpr28_sgpr29
                                        ; implicit-def: $sgpr34_sgpr35
                                        ; implicit-def: $sgpr4_sgpr5
                                        ; implicit-def: $sgpr38_sgpr39
	s_branch .LBB530_23
.LBB530_22:                             ;   in Loop: Header=BB530_23 Depth=2
	s_or_b64 exec, exec, s[42:43]
	s_and_b64 s[6:7], exec, s[34:35]
	s_or_b64 s[30:31], s[6:7], s[30:31]
	s_andn2_b64 s[6:7], s[38:39], exec
	s_and_b64 s[38:39], s[40:41], exec
	s_or_b64 s[38:39], s[6:7], s[38:39]
	s_andn2_b64 s[6:7], s[28:29], exec
	s_and_b64 s[28:29], s[4:5], exec
	s_or_b64 s[28:29], s[6:7], s[28:29]
	s_andn2_b64 exec, exec, s[30:31]
	s_cbranch_execz .LBB530_8
.LBB530_23:                             ;   Parent Loop BB530_10 Depth=1
                                        ; =>  This Inner Loop Header: Depth=2
	global_load_dwordx2 v[12:13], v[10:11], off
	global_load_dwordx2 v[18:19], v[8:9], off
	s_andn2_b64 s[42:43], s[4:5], exec
	s_or_b64 s[34:35], s[34:35], exec
	s_waitcnt vmcnt(0)
	v_cmp_le_i64_e64 s[4:5], v[12:13], v[18:19]
	v_cmp_lt_i64_e32 vcc, v[12:13], v[18:19]
	s_and_b64 s[4:5], s[4:5], s[38:39]
	s_or_b64 s[40:41], vcc, s[4:5]
	s_and_b64 s[4:5], s[40:41], exec
	v_cmp_eq_u64_e64 s[6:7], v[12:13], v[18:19]
	s_or_b64 s[4:5], s[42:43], s[4:5]
	s_and_saveexec_b64 s[42:43], s[6:7]
	s_cbranch_execz .LBB530_22
; %bb.24:                               ;   in Loop: Header=BB530_23 Depth=2
	s_add_u32 s36, s36, -1
	s_addc_u32 s37, s37, -1
	s_cmp_eq_u64 s[36:37], 0
	s_cselect_b64 s[6:7], -1, 0
	s_andn2_b64 s[34:35], s[34:35], exec
	s_and_b64 s[6:7], s[6:7], exec
	v_lshl_add_u64 v[10:11], v[10:11], 0, 8
	v_lshl_add_u64 v[8:9], v[8:9], 0, 8
	s_andn2_b64 s[4:5], s[4:5], exec
	s_or_b64 s[34:35], s[34:35], s[6:7]
                                        ; implicit-def: $sgpr38_sgpr39
	s_branch .LBB530_22
.LBB530_25:                             ;   in Loop: Header=BB530_10 Depth=1
	s_mov_b64 s[28:29], 0
	s_branch .LBB530_9
.LBB530_26:
                                        ; implicit-def: $vgpr4
	s_cbranch_execnz .LBB530_30
	s_branch .LBB530_52
.LBB530_27:
	s_or_b64 exec, exec, s[24:25]
.LBB530_28:
	v_add_u32_e32 v4, v15, v14
	s_or_b64 s[18:19], s[18:19], exec
.LBB530_29:
	s_or_b64 exec, exec, s[22:23]
	s_branch .LBB530_52
.LBB530_30:
	s_cmp_ge_u32 s33, s45
	v_mov_b32_e32 v15, s44
	s_cbranch_scc1 .LBB530_51
; %bb.31:
	s_waitcnt vmcnt(0)
	v_mul_lo_u32 v0, v3, s12
	v_mul_lo_u32 v1, v2, s13
	v_mad_u64_u32 v[4:5], s[0:1], v2, s12, 0
	v_cndmask_b32_e64 v6, 0, 1, s[16:17]
	v_add3_u32 v5, v5, v1, v0
	v_cmp_ne_u32_e64 s[0:1], 1, v6
	v_cndmask_b32_e64 v6, 0, 1, s[20:21]
	v_mov_b64_e32 v[0:1], s[14:15]
	v_lshl_add_u64 v[4:5], v[4:5], 3, s[14:15]
	s_lshl_b64 s[18:19], s[12:13], 3
	s_mov_b64 s[14:15], 0
	v_mov_b32_e32 v16, s45
	v_mov_b32_e32 v15, s44
	;; [unrolled: 1-line block ×3, first 2 shown]
	v_cmp_ne_u32_e64 s[2:3], 1, v6
	s_branch .LBB530_34
.LBB530_32:                             ;   in Loop: Header=BB530_34 Depth=1
	s_or_b64 exec, exec, s[20:21]
.LBB530_33:                             ;   in Loop: Header=BB530_34 Depth=1
	s_waitcnt vmcnt(0)
	v_add_u32_e32 v8, 1, v6
	v_cndmask_b32_e64 v16, v6, v16, s[16:17]
	v_cndmask_b32_e64 v15, v15, v8, s[16:17]
	v_cmp_ge_u32_e32 vcc, v15, v16
	s_or_b64 s[14:15], vcc, s[14:15]
	s_andn2_b64 exec, exec, s[14:15]
	s_cbranch_execz .LBB530_50
.LBB530_34:                             ; =>This Loop Header: Depth=1
                                        ;     Child Loop BB530_38 Depth 2
                                        ;     Child Loop BB530_47 Depth 2
	v_add_u32_e32 v6, v15, v16
	v_lshrrev_b32_e32 v6, 1, v6
	v_lshl_add_u64 v[8:9], v[6:7], 3, s[8:9]
	global_load_dwordx2 v[8:9], v[8:9], off
	s_and_b64 vcc, exec, s[0:1]
	s_mov_b64 s[4:5], -1
                                        ; implicit-def: $sgpr16_sgpr17
	s_cbranch_vccnz .LBB530_43
; %bb.35:                               ;   in Loop: Header=BB530_34 Depth=1
	s_and_b64 vcc, exec, s[2:3]
	s_cbranch_vccnz .LBB530_41
; %bb.36:                               ;   in Loop: Header=BB530_34 Depth=1
	s_waitcnt vmcnt(0)
	v_mad_u64_u32 v[10:11], s[4:5], s18, v8, v[0:1]
	v_mul_lo_u32 v12, s18, v9
	v_mul_lo_u32 v13, s19, v8
	v_add3_u32 v11, v13, v11, v12
	s_mov_b64 s[16:17], 0
	s_mov_b64 s[24:25], s[12:13]
	v_mov_b64_e32 v[12:13], v[4:5]
                                        ; implicit-def: $sgpr20_sgpr21
                                        ; implicit-def: $sgpr22_sgpr23
                                        ; implicit-def: $sgpr4_sgpr5
                                        ; implicit-def: $sgpr26_sgpr27
	s_branch .LBB530_38
.LBB530_37:                             ;   in Loop: Header=BB530_38 Depth=2
	s_or_b64 exec, exec, s[30:31]
	s_and_b64 s[6:7], exec, s[22:23]
	s_or_b64 s[16:17], s[6:7], s[16:17]
	s_andn2_b64 s[6:7], s[26:27], exec
	s_and_b64 s[26:27], s[28:29], exec
	s_or_b64 s[26:27], s[6:7], s[26:27]
	s_andn2_b64 s[6:7], s[20:21], exec
	s_and_b64 s[20:21], s[4:5], exec
	s_or_b64 s[20:21], s[6:7], s[20:21]
	s_andn2_b64 exec, exec, s[16:17]
	s_cbranch_execz .LBB530_40
.LBB530_38:                             ;   Parent Loop BB530_34 Depth=1
                                        ; =>  This Inner Loop Header: Depth=2
	global_load_dwordx2 v[18:19], v[12:13], off
	global_load_dwordx2 v[20:21], v[10:11], off
	s_andn2_b64 s[30:31], s[4:5], exec
	s_or_b64 s[22:23], s[22:23], exec
	s_waitcnt vmcnt(0)
	v_cmp_le_i64_e64 s[4:5], v[18:19], v[20:21]
	v_cmp_lt_i64_e32 vcc, v[18:19], v[20:21]
	s_and_b64 s[4:5], s[4:5], s[26:27]
	s_or_b64 s[28:29], vcc, s[4:5]
	s_and_b64 s[4:5], s[28:29], exec
	v_cmp_eq_u64_e64 s[6:7], v[18:19], v[20:21]
	s_or_b64 s[4:5], s[30:31], s[4:5]
	s_and_saveexec_b64 s[30:31], s[6:7]
	s_cbranch_execz .LBB530_37
; %bb.39:                               ;   in Loop: Header=BB530_38 Depth=2
	s_add_u32 s24, s24, -1
	s_addc_u32 s25, s25, -1
	s_cmp_eq_u64 s[24:25], 0
	s_cselect_b64 s[6:7], -1, 0
	s_andn2_b64 s[22:23], s[22:23], exec
	s_and_b64 s[6:7], s[6:7], exec
	v_lshl_add_u64 v[12:13], v[12:13], 0, 8
	v_lshl_add_u64 v[10:11], v[10:11], 0, 8
	s_andn2_b64 s[4:5], s[4:5], exec
	s_or_b64 s[22:23], s[22:23], s[6:7]
                                        ; implicit-def: $sgpr26_sgpr27
	s_branch .LBB530_37
.LBB530_40:                             ;   in Loop: Header=BB530_34 Depth=1
	s_or_b64 exec, exec, s[16:17]
	s_xor_b64 s[16:17], s[20:21], -1
	s_branch .LBB530_42
.LBB530_41:                             ;   in Loop: Header=BB530_34 Depth=1
	s_mov_b64 s[16:17], -1
.LBB530_42:                             ;   in Loop: Header=BB530_34 Depth=1
	s_mov_b64 s[4:5], 0
.LBB530_43:                             ;   in Loop: Header=BB530_34 Depth=1
	s_andn2_b64 vcc, exec, s[4:5]
	s_cbranch_vccnz .LBB530_33
; %bb.44:                               ;   in Loop: Header=BB530_34 Depth=1
	s_and_b64 vcc, exec, s[2:3]
	s_cbranch_vccnz .LBB530_49
; %bb.45:                               ;   in Loop: Header=BB530_34 Depth=1
	s_waitcnt vmcnt(0)
	v_mad_u64_u32 v[10:11], s[4:5], s18, v8, v[0:1]
	v_mul_lo_u32 v9, s18, v9
	v_mul_lo_u32 v8, s19, v8
	v_add3_u32 v11, v8, v11, v9
	s_mov_b64 s[20:21], 0
	s_mov_b64 s[24:25], s[12:13]
	v_mov_b64_e32 v[8:9], v[4:5]
                                        ; implicit-def: $sgpr16_sgpr17
                                        ; implicit-def: $sgpr22_sgpr23
                                        ; implicit-def: $sgpr4_sgpr5
                                        ; implicit-def: $sgpr26_sgpr27
	s_branch .LBB530_47
.LBB530_46:                             ;   in Loop: Header=BB530_47 Depth=2
	s_or_b64 exec, exec, s[30:31]
	s_and_b64 s[6:7], exec, s[22:23]
	s_or_b64 s[20:21], s[6:7], s[20:21]
	s_andn2_b64 s[6:7], s[26:27], exec
	s_and_b64 s[26:27], s[28:29], exec
	s_or_b64 s[26:27], s[6:7], s[26:27]
	s_andn2_b64 s[6:7], s[16:17], exec
	s_and_b64 s[16:17], s[4:5], exec
	s_or_b64 s[16:17], s[6:7], s[16:17]
	s_andn2_b64 exec, exec, s[20:21]
	s_cbranch_execz .LBB530_32
.LBB530_47:                             ;   Parent Loop BB530_34 Depth=1
                                        ; =>  This Inner Loop Header: Depth=2
	global_load_dwordx2 v[12:13], v[10:11], off
	global_load_dwordx2 v[18:19], v[8:9], off
	s_andn2_b64 s[30:31], s[4:5], exec
	s_or_b64 s[22:23], s[22:23], exec
	s_waitcnt vmcnt(0)
	v_cmp_le_i64_e64 s[4:5], v[12:13], v[18:19]
	v_cmp_lt_i64_e32 vcc, v[12:13], v[18:19]
	s_and_b64 s[4:5], s[4:5], s[26:27]
	s_or_b64 s[28:29], vcc, s[4:5]
	s_and_b64 s[4:5], s[28:29], exec
	v_cmp_eq_u64_e64 s[6:7], v[12:13], v[18:19]
	s_or_b64 s[4:5], s[30:31], s[4:5]
	s_and_saveexec_b64 s[30:31], s[6:7]
	s_cbranch_execz .LBB530_46
; %bb.48:                               ;   in Loop: Header=BB530_47 Depth=2
	s_add_u32 s24, s24, -1
	s_addc_u32 s25, s25, -1
	s_cmp_eq_u64 s[24:25], 0
	s_cselect_b64 s[6:7], -1, 0
	s_andn2_b64 s[22:23], s[22:23], exec
	s_and_b64 s[6:7], s[6:7], exec
	v_lshl_add_u64 v[10:11], v[10:11], 0, 8
	v_lshl_add_u64 v[8:9], v[8:9], 0, 8
	s_andn2_b64 s[4:5], s[4:5], exec
	s_or_b64 s[22:23], s[22:23], s[6:7]
                                        ; implicit-def: $sgpr26_sgpr27
	s_branch .LBB530_46
.LBB530_49:                             ;   in Loop: Header=BB530_34 Depth=1
	s_mov_b64 s[16:17], 0
	s_branch .LBB530_33
.LBB530_50:
	s_or_b64 exec, exec, s[14:15]
.LBB530_51:
	v_add_u32_e32 v4, v15, v14
	s_mov_b64 s[18:19], -1
.LBB530_52:
	s_and_b64 exec, exec, s[18:19]
	s_cbranch_execz .LBB530_54
; %bb.53:
	v_mov_b32_e32 v0, s10
	v_mov_b32_e32 v1, s11
	;; [unrolled: 1-line block ×3, first 2 shown]
	v_lshl_add_u64 v[0:1], v[4:5], 3, v[0:1]
	s_waitcnt vmcnt(0)
	global_store_dwordx2 v[0:1], v[2:3], off
.LBB530_54:
	s_endpgm
	.section	.rodata,"a",@progbits
	.p2align	6, 0x0
	.amdhsa_kernel _ZN7rocprim17ROCPRIM_400000_NS6detail17trampoline_kernelINS0_14default_configENS1_38merge_sort_block_merge_config_selectorIlNS0_10empty_typeEEEZZNS1_27merge_sort_block_merge_implIS3_PlPS5_mZN2at6native12_GLOBAL__N_124unique_dim_cuda_templateIlEESt5tupleIJNSA_6TensorESF_SF_EERKSF_lbbbEUlllE_EE10hipError_tT0_T1_T2_jT3_P12ihipStream_tbPNSt15iterator_traitsISL_E10value_typeEPNSR_ISM_E10value_typeEPSN_NS1_7vsmem_tEENKUlT_SL_SM_SN_E_clIS8_S8_S9_S9_EESK_S10_SL_SM_SN_EUlS10_E1_NS1_11comp_targetILNS1_3genE0ELNS1_11target_archE4294967295ELNS1_3gpuE0ELNS1_3repE0EEENS1_36merge_oddeven_config_static_selectorELNS0_4arch9wavefront6targetE1EEEvSM_
		.amdhsa_group_segment_fixed_size 0
		.amdhsa_private_segment_fixed_size 0
		.amdhsa_kernarg_size 64
		.amdhsa_user_sgpr_count 2
		.amdhsa_user_sgpr_dispatch_ptr 0
		.amdhsa_user_sgpr_queue_ptr 0
		.amdhsa_user_sgpr_kernarg_segment_ptr 1
		.amdhsa_user_sgpr_dispatch_id 0
		.amdhsa_user_sgpr_kernarg_preload_length 0
		.amdhsa_user_sgpr_kernarg_preload_offset 0
		.amdhsa_user_sgpr_private_segment_size 0
		.amdhsa_uses_dynamic_stack 0
		.amdhsa_enable_private_segment 0
		.amdhsa_system_sgpr_workgroup_id_x 1
		.amdhsa_system_sgpr_workgroup_id_y 0
		.amdhsa_system_sgpr_workgroup_id_z 0
		.amdhsa_system_sgpr_workgroup_info 0
		.amdhsa_system_vgpr_workitem_id 0
		.amdhsa_next_free_vgpr 22
		.amdhsa_next_free_sgpr 46
		.amdhsa_accum_offset 24
		.amdhsa_reserve_vcc 1
		.amdhsa_float_round_mode_32 0
		.amdhsa_float_round_mode_16_64 0
		.amdhsa_float_denorm_mode_32 3
		.amdhsa_float_denorm_mode_16_64 3
		.amdhsa_dx10_clamp 1
		.amdhsa_ieee_mode 1
		.amdhsa_fp16_overflow 0
		.amdhsa_tg_split 0
		.amdhsa_exception_fp_ieee_invalid_op 0
		.amdhsa_exception_fp_denorm_src 0
		.amdhsa_exception_fp_ieee_div_zero 0
		.amdhsa_exception_fp_ieee_overflow 0
		.amdhsa_exception_fp_ieee_underflow 0
		.amdhsa_exception_fp_ieee_inexact 0
		.amdhsa_exception_int_div_zero 0
	.end_amdhsa_kernel
	.section	.text._ZN7rocprim17ROCPRIM_400000_NS6detail17trampoline_kernelINS0_14default_configENS1_38merge_sort_block_merge_config_selectorIlNS0_10empty_typeEEEZZNS1_27merge_sort_block_merge_implIS3_PlPS5_mZN2at6native12_GLOBAL__N_124unique_dim_cuda_templateIlEESt5tupleIJNSA_6TensorESF_SF_EERKSF_lbbbEUlllE_EE10hipError_tT0_T1_T2_jT3_P12ihipStream_tbPNSt15iterator_traitsISL_E10value_typeEPNSR_ISM_E10value_typeEPSN_NS1_7vsmem_tEENKUlT_SL_SM_SN_E_clIS8_S8_S9_S9_EESK_S10_SL_SM_SN_EUlS10_E1_NS1_11comp_targetILNS1_3genE0ELNS1_11target_archE4294967295ELNS1_3gpuE0ELNS1_3repE0EEENS1_36merge_oddeven_config_static_selectorELNS0_4arch9wavefront6targetE1EEEvSM_,"axG",@progbits,_ZN7rocprim17ROCPRIM_400000_NS6detail17trampoline_kernelINS0_14default_configENS1_38merge_sort_block_merge_config_selectorIlNS0_10empty_typeEEEZZNS1_27merge_sort_block_merge_implIS3_PlPS5_mZN2at6native12_GLOBAL__N_124unique_dim_cuda_templateIlEESt5tupleIJNSA_6TensorESF_SF_EERKSF_lbbbEUlllE_EE10hipError_tT0_T1_T2_jT3_P12ihipStream_tbPNSt15iterator_traitsISL_E10value_typeEPNSR_ISM_E10value_typeEPSN_NS1_7vsmem_tEENKUlT_SL_SM_SN_E_clIS8_S8_S9_S9_EESK_S10_SL_SM_SN_EUlS10_E1_NS1_11comp_targetILNS1_3genE0ELNS1_11target_archE4294967295ELNS1_3gpuE0ELNS1_3repE0EEENS1_36merge_oddeven_config_static_selectorELNS0_4arch9wavefront6targetE1EEEvSM_,comdat
.Lfunc_end530:
	.size	_ZN7rocprim17ROCPRIM_400000_NS6detail17trampoline_kernelINS0_14default_configENS1_38merge_sort_block_merge_config_selectorIlNS0_10empty_typeEEEZZNS1_27merge_sort_block_merge_implIS3_PlPS5_mZN2at6native12_GLOBAL__N_124unique_dim_cuda_templateIlEESt5tupleIJNSA_6TensorESF_SF_EERKSF_lbbbEUlllE_EE10hipError_tT0_T1_T2_jT3_P12ihipStream_tbPNSt15iterator_traitsISL_E10value_typeEPNSR_ISM_E10value_typeEPSN_NS1_7vsmem_tEENKUlT_SL_SM_SN_E_clIS8_S8_S9_S9_EESK_S10_SL_SM_SN_EUlS10_E1_NS1_11comp_targetILNS1_3genE0ELNS1_11target_archE4294967295ELNS1_3gpuE0ELNS1_3repE0EEENS1_36merge_oddeven_config_static_selectorELNS0_4arch9wavefront6targetE1EEEvSM_, .Lfunc_end530-_ZN7rocprim17ROCPRIM_400000_NS6detail17trampoline_kernelINS0_14default_configENS1_38merge_sort_block_merge_config_selectorIlNS0_10empty_typeEEEZZNS1_27merge_sort_block_merge_implIS3_PlPS5_mZN2at6native12_GLOBAL__N_124unique_dim_cuda_templateIlEESt5tupleIJNSA_6TensorESF_SF_EERKSF_lbbbEUlllE_EE10hipError_tT0_T1_T2_jT3_P12ihipStream_tbPNSt15iterator_traitsISL_E10value_typeEPNSR_ISM_E10value_typeEPSN_NS1_7vsmem_tEENKUlT_SL_SM_SN_E_clIS8_S8_S9_S9_EESK_S10_SL_SM_SN_EUlS10_E1_NS1_11comp_targetILNS1_3genE0ELNS1_11target_archE4294967295ELNS1_3gpuE0ELNS1_3repE0EEENS1_36merge_oddeven_config_static_selectorELNS0_4arch9wavefront6targetE1EEEvSM_
                                        ; -- End function
	.set _ZN7rocprim17ROCPRIM_400000_NS6detail17trampoline_kernelINS0_14default_configENS1_38merge_sort_block_merge_config_selectorIlNS0_10empty_typeEEEZZNS1_27merge_sort_block_merge_implIS3_PlPS5_mZN2at6native12_GLOBAL__N_124unique_dim_cuda_templateIlEESt5tupleIJNSA_6TensorESF_SF_EERKSF_lbbbEUlllE_EE10hipError_tT0_T1_T2_jT3_P12ihipStream_tbPNSt15iterator_traitsISL_E10value_typeEPNSR_ISM_E10value_typeEPSN_NS1_7vsmem_tEENKUlT_SL_SM_SN_E_clIS8_S8_S9_S9_EESK_S10_SL_SM_SN_EUlS10_E1_NS1_11comp_targetILNS1_3genE0ELNS1_11target_archE4294967295ELNS1_3gpuE0ELNS1_3repE0EEENS1_36merge_oddeven_config_static_selectorELNS0_4arch9wavefront6targetE1EEEvSM_.num_vgpr, 22
	.set _ZN7rocprim17ROCPRIM_400000_NS6detail17trampoline_kernelINS0_14default_configENS1_38merge_sort_block_merge_config_selectorIlNS0_10empty_typeEEEZZNS1_27merge_sort_block_merge_implIS3_PlPS5_mZN2at6native12_GLOBAL__N_124unique_dim_cuda_templateIlEESt5tupleIJNSA_6TensorESF_SF_EERKSF_lbbbEUlllE_EE10hipError_tT0_T1_T2_jT3_P12ihipStream_tbPNSt15iterator_traitsISL_E10value_typeEPNSR_ISM_E10value_typeEPSN_NS1_7vsmem_tEENKUlT_SL_SM_SN_E_clIS8_S8_S9_S9_EESK_S10_SL_SM_SN_EUlS10_E1_NS1_11comp_targetILNS1_3genE0ELNS1_11target_archE4294967295ELNS1_3gpuE0ELNS1_3repE0EEENS1_36merge_oddeven_config_static_selectorELNS0_4arch9wavefront6targetE1EEEvSM_.num_agpr, 0
	.set _ZN7rocprim17ROCPRIM_400000_NS6detail17trampoline_kernelINS0_14default_configENS1_38merge_sort_block_merge_config_selectorIlNS0_10empty_typeEEEZZNS1_27merge_sort_block_merge_implIS3_PlPS5_mZN2at6native12_GLOBAL__N_124unique_dim_cuda_templateIlEESt5tupleIJNSA_6TensorESF_SF_EERKSF_lbbbEUlllE_EE10hipError_tT0_T1_T2_jT3_P12ihipStream_tbPNSt15iterator_traitsISL_E10value_typeEPNSR_ISM_E10value_typeEPSN_NS1_7vsmem_tEENKUlT_SL_SM_SN_E_clIS8_S8_S9_S9_EESK_S10_SL_SM_SN_EUlS10_E1_NS1_11comp_targetILNS1_3genE0ELNS1_11target_archE4294967295ELNS1_3gpuE0ELNS1_3repE0EEENS1_36merge_oddeven_config_static_selectorELNS0_4arch9wavefront6targetE1EEEvSM_.numbered_sgpr, 46
	.set _ZN7rocprim17ROCPRIM_400000_NS6detail17trampoline_kernelINS0_14default_configENS1_38merge_sort_block_merge_config_selectorIlNS0_10empty_typeEEEZZNS1_27merge_sort_block_merge_implIS3_PlPS5_mZN2at6native12_GLOBAL__N_124unique_dim_cuda_templateIlEESt5tupleIJNSA_6TensorESF_SF_EERKSF_lbbbEUlllE_EE10hipError_tT0_T1_T2_jT3_P12ihipStream_tbPNSt15iterator_traitsISL_E10value_typeEPNSR_ISM_E10value_typeEPSN_NS1_7vsmem_tEENKUlT_SL_SM_SN_E_clIS8_S8_S9_S9_EESK_S10_SL_SM_SN_EUlS10_E1_NS1_11comp_targetILNS1_3genE0ELNS1_11target_archE4294967295ELNS1_3gpuE0ELNS1_3repE0EEENS1_36merge_oddeven_config_static_selectorELNS0_4arch9wavefront6targetE1EEEvSM_.num_named_barrier, 0
	.set _ZN7rocprim17ROCPRIM_400000_NS6detail17trampoline_kernelINS0_14default_configENS1_38merge_sort_block_merge_config_selectorIlNS0_10empty_typeEEEZZNS1_27merge_sort_block_merge_implIS3_PlPS5_mZN2at6native12_GLOBAL__N_124unique_dim_cuda_templateIlEESt5tupleIJNSA_6TensorESF_SF_EERKSF_lbbbEUlllE_EE10hipError_tT0_T1_T2_jT3_P12ihipStream_tbPNSt15iterator_traitsISL_E10value_typeEPNSR_ISM_E10value_typeEPSN_NS1_7vsmem_tEENKUlT_SL_SM_SN_E_clIS8_S8_S9_S9_EESK_S10_SL_SM_SN_EUlS10_E1_NS1_11comp_targetILNS1_3genE0ELNS1_11target_archE4294967295ELNS1_3gpuE0ELNS1_3repE0EEENS1_36merge_oddeven_config_static_selectorELNS0_4arch9wavefront6targetE1EEEvSM_.private_seg_size, 0
	.set _ZN7rocprim17ROCPRIM_400000_NS6detail17trampoline_kernelINS0_14default_configENS1_38merge_sort_block_merge_config_selectorIlNS0_10empty_typeEEEZZNS1_27merge_sort_block_merge_implIS3_PlPS5_mZN2at6native12_GLOBAL__N_124unique_dim_cuda_templateIlEESt5tupleIJNSA_6TensorESF_SF_EERKSF_lbbbEUlllE_EE10hipError_tT0_T1_T2_jT3_P12ihipStream_tbPNSt15iterator_traitsISL_E10value_typeEPNSR_ISM_E10value_typeEPSN_NS1_7vsmem_tEENKUlT_SL_SM_SN_E_clIS8_S8_S9_S9_EESK_S10_SL_SM_SN_EUlS10_E1_NS1_11comp_targetILNS1_3genE0ELNS1_11target_archE4294967295ELNS1_3gpuE0ELNS1_3repE0EEENS1_36merge_oddeven_config_static_selectorELNS0_4arch9wavefront6targetE1EEEvSM_.uses_vcc, 1
	.set _ZN7rocprim17ROCPRIM_400000_NS6detail17trampoline_kernelINS0_14default_configENS1_38merge_sort_block_merge_config_selectorIlNS0_10empty_typeEEEZZNS1_27merge_sort_block_merge_implIS3_PlPS5_mZN2at6native12_GLOBAL__N_124unique_dim_cuda_templateIlEESt5tupleIJNSA_6TensorESF_SF_EERKSF_lbbbEUlllE_EE10hipError_tT0_T1_T2_jT3_P12ihipStream_tbPNSt15iterator_traitsISL_E10value_typeEPNSR_ISM_E10value_typeEPSN_NS1_7vsmem_tEENKUlT_SL_SM_SN_E_clIS8_S8_S9_S9_EESK_S10_SL_SM_SN_EUlS10_E1_NS1_11comp_targetILNS1_3genE0ELNS1_11target_archE4294967295ELNS1_3gpuE0ELNS1_3repE0EEENS1_36merge_oddeven_config_static_selectorELNS0_4arch9wavefront6targetE1EEEvSM_.uses_flat_scratch, 0
	.set _ZN7rocprim17ROCPRIM_400000_NS6detail17trampoline_kernelINS0_14default_configENS1_38merge_sort_block_merge_config_selectorIlNS0_10empty_typeEEEZZNS1_27merge_sort_block_merge_implIS3_PlPS5_mZN2at6native12_GLOBAL__N_124unique_dim_cuda_templateIlEESt5tupleIJNSA_6TensorESF_SF_EERKSF_lbbbEUlllE_EE10hipError_tT0_T1_T2_jT3_P12ihipStream_tbPNSt15iterator_traitsISL_E10value_typeEPNSR_ISM_E10value_typeEPSN_NS1_7vsmem_tEENKUlT_SL_SM_SN_E_clIS8_S8_S9_S9_EESK_S10_SL_SM_SN_EUlS10_E1_NS1_11comp_targetILNS1_3genE0ELNS1_11target_archE4294967295ELNS1_3gpuE0ELNS1_3repE0EEENS1_36merge_oddeven_config_static_selectorELNS0_4arch9wavefront6targetE1EEEvSM_.has_dyn_sized_stack, 0
	.set _ZN7rocprim17ROCPRIM_400000_NS6detail17trampoline_kernelINS0_14default_configENS1_38merge_sort_block_merge_config_selectorIlNS0_10empty_typeEEEZZNS1_27merge_sort_block_merge_implIS3_PlPS5_mZN2at6native12_GLOBAL__N_124unique_dim_cuda_templateIlEESt5tupleIJNSA_6TensorESF_SF_EERKSF_lbbbEUlllE_EE10hipError_tT0_T1_T2_jT3_P12ihipStream_tbPNSt15iterator_traitsISL_E10value_typeEPNSR_ISM_E10value_typeEPSN_NS1_7vsmem_tEENKUlT_SL_SM_SN_E_clIS8_S8_S9_S9_EESK_S10_SL_SM_SN_EUlS10_E1_NS1_11comp_targetILNS1_3genE0ELNS1_11target_archE4294967295ELNS1_3gpuE0ELNS1_3repE0EEENS1_36merge_oddeven_config_static_selectorELNS0_4arch9wavefront6targetE1EEEvSM_.has_recursion, 0
	.set _ZN7rocprim17ROCPRIM_400000_NS6detail17trampoline_kernelINS0_14default_configENS1_38merge_sort_block_merge_config_selectorIlNS0_10empty_typeEEEZZNS1_27merge_sort_block_merge_implIS3_PlPS5_mZN2at6native12_GLOBAL__N_124unique_dim_cuda_templateIlEESt5tupleIJNSA_6TensorESF_SF_EERKSF_lbbbEUlllE_EE10hipError_tT0_T1_T2_jT3_P12ihipStream_tbPNSt15iterator_traitsISL_E10value_typeEPNSR_ISM_E10value_typeEPSN_NS1_7vsmem_tEENKUlT_SL_SM_SN_E_clIS8_S8_S9_S9_EESK_S10_SL_SM_SN_EUlS10_E1_NS1_11comp_targetILNS1_3genE0ELNS1_11target_archE4294967295ELNS1_3gpuE0ELNS1_3repE0EEENS1_36merge_oddeven_config_static_selectorELNS0_4arch9wavefront6targetE1EEEvSM_.has_indirect_call, 0
	.section	.AMDGPU.csdata,"",@progbits
; Kernel info:
; codeLenInByte = 1716
; TotalNumSgprs: 52
; NumVgprs: 22
; NumAgprs: 0
; TotalNumVgprs: 22
; ScratchSize: 0
; MemoryBound: 0
; FloatMode: 240
; IeeeMode: 1
; LDSByteSize: 0 bytes/workgroup (compile time only)
; SGPRBlocks: 6
; VGPRBlocks: 2
; NumSGPRsForWavesPerEU: 52
; NumVGPRsForWavesPerEU: 22
; AccumOffset: 24
; Occupancy: 8
; WaveLimiterHint : 0
; COMPUTE_PGM_RSRC2:SCRATCH_EN: 0
; COMPUTE_PGM_RSRC2:USER_SGPR: 2
; COMPUTE_PGM_RSRC2:TRAP_HANDLER: 0
; COMPUTE_PGM_RSRC2:TGID_X_EN: 1
; COMPUTE_PGM_RSRC2:TGID_Y_EN: 0
; COMPUTE_PGM_RSRC2:TGID_Z_EN: 0
; COMPUTE_PGM_RSRC2:TIDIG_COMP_CNT: 0
; COMPUTE_PGM_RSRC3_GFX90A:ACCUM_OFFSET: 5
; COMPUTE_PGM_RSRC3_GFX90A:TG_SPLIT: 0
	.section	.text._ZN7rocprim17ROCPRIM_400000_NS6detail17trampoline_kernelINS0_14default_configENS1_38merge_sort_block_merge_config_selectorIlNS0_10empty_typeEEEZZNS1_27merge_sort_block_merge_implIS3_PlPS5_mZN2at6native12_GLOBAL__N_124unique_dim_cuda_templateIlEESt5tupleIJNSA_6TensorESF_SF_EERKSF_lbbbEUlllE_EE10hipError_tT0_T1_T2_jT3_P12ihipStream_tbPNSt15iterator_traitsISL_E10value_typeEPNSR_ISM_E10value_typeEPSN_NS1_7vsmem_tEENKUlT_SL_SM_SN_E_clIS8_S8_S9_S9_EESK_S10_SL_SM_SN_EUlS10_E1_NS1_11comp_targetILNS1_3genE10ELNS1_11target_archE1201ELNS1_3gpuE5ELNS1_3repE0EEENS1_36merge_oddeven_config_static_selectorELNS0_4arch9wavefront6targetE1EEEvSM_,"axG",@progbits,_ZN7rocprim17ROCPRIM_400000_NS6detail17trampoline_kernelINS0_14default_configENS1_38merge_sort_block_merge_config_selectorIlNS0_10empty_typeEEEZZNS1_27merge_sort_block_merge_implIS3_PlPS5_mZN2at6native12_GLOBAL__N_124unique_dim_cuda_templateIlEESt5tupleIJNSA_6TensorESF_SF_EERKSF_lbbbEUlllE_EE10hipError_tT0_T1_T2_jT3_P12ihipStream_tbPNSt15iterator_traitsISL_E10value_typeEPNSR_ISM_E10value_typeEPSN_NS1_7vsmem_tEENKUlT_SL_SM_SN_E_clIS8_S8_S9_S9_EESK_S10_SL_SM_SN_EUlS10_E1_NS1_11comp_targetILNS1_3genE10ELNS1_11target_archE1201ELNS1_3gpuE5ELNS1_3repE0EEENS1_36merge_oddeven_config_static_selectorELNS0_4arch9wavefront6targetE1EEEvSM_,comdat
	.globl	_ZN7rocprim17ROCPRIM_400000_NS6detail17trampoline_kernelINS0_14default_configENS1_38merge_sort_block_merge_config_selectorIlNS0_10empty_typeEEEZZNS1_27merge_sort_block_merge_implIS3_PlPS5_mZN2at6native12_GLOBAL__N_124unique_dim_cuda_templateIlEESt5tupleIJNSA_6TensorESF_SF_EERKSF_lbbbEUlllE_EE10hipError_tT0_T1_T2_jT3_P12ihipStream_tbPNSt15iterator_traitsISL_E10value_typeEPNSR_ISM_E10value_typeEPSN_NS1_7vsmem_tEENKUlT_SL_SM_SN_E_clIS8_S8_S9_S9_EESK_S10_SL_SM_SN_EUlS10_E1_NS1_11comp_targetILNS1_3genE10ELNS1_11target_archE1201ELNS1_3gpuE5ELNS1_3repE0EEENS1_36merge_oddeven_config_static_selectorELNS0_4arch9wavefront6targetE1EEEvSM_ ; -- Begin function _ZN7rocprim17ROCPRIM_400000_NS6detail17trampoline_kernelINS0_14default_configENS1_38merge_sort_block_merge_config_selectorIlNS0_10empty_typeEEEZZNS1_27merge_sort_block_merge_implIS3_PlPS5_mZN2at6native12_GLOBAL__N_124unique_dim_cuda_templateIlEESt5tupleIJNSA_6TensorESF_SF_EERKSF_lbbbEUlllE_EE10hipError_tT0_T1_T2_jT3_P12ihipStream_tbPNSt15iterator_traitsISL_E10value_typeEPNSR_ISM_E10value_typeEPSN_NS1_7vsmem_tEENKUlT_SL_SM_SN_E_clIS8_S8_S9_S9_EESK_S10_SL_SM_SN_EUlS10_E1_NS1_11comp_targetILNS1_3genE10ELNS1_11target_archE1201ELNS1_3gpuE5ELNS1_3repE0EEENS1_36merge_oddeven_config_static_selectorELNS0_4arch9wavefront6targetE1EEEvSM_
	.p2align	8
	.type	_ZN7rocprim17ROCPRIM_400000_NS6detail17trampoline_kernelINS0_14default_configENS1_38merge_sort_block_merge_config_selectorIlNS0_10empty_typeEEEZZNS1_27merge_sort_block_merge_implIS3_PlPS5_mZN2at6native12_GLOBAL__N_124unique_dim_cuda_templateIlEESt5tupleIJNSA_6TensorESF_SF_EERKSF_lbbbEUlllE_EE10hipError_tT0_T1_T2_jT3_P12ihipStream_tbPNSt15iterator_traitsISL_E10value_typeEPNSR_ISM_E10value_typeEPSN_NS1_7vsmem_tEENKUlT_SL_SM_SN_E_clIS8_S8_S9_S9_EESK_S10_SL_SM_SN_EUlS10_E1_NS1_11comp_targetILNS1_3genE10ELNS1_11target_archE1201ELNS1_3gpuE5ELNS1_3repE0EEENS1_36merge_oddeven_config_static_selectorELNS0_4arch9wavefront6targetE1EEEvSM_,@function
_ZN7rocprim17ROCPRIM_400000_NS6detail17trampoline_kernelINS0_14default_configENS1_38merge_sort_block_merge_config_selectorIlNS0_10empty_typeEEEZZNS1_27merge_sort_block_merge_implIS3_PlPS5_mZN2at6native12_GLOBAL__N_124unique_dim_cuda_templateIlEESt5tupleIJNSA_6TensorESF_SF_EERKSF_lbbbEUlllE_EE10hipError_tT0_T1_T2_jT3_P12ihipStream_tbPNSt15iterator_traitsISL_E10value_typeEPNSR_ISM_E10value_typeEPSN_NS1_7vsmem_tEENKUlT_SL_SM_SN_E_clIS8_S8_S9_S9_EESK_S10_SL_SM_SN_EUlS10_E1_NS1_11comp_targetILNS1_3genE10ELNS1_11target_archE1201ELNS1_3gpuE5ELNS1_3repE0EEENS1_36merge_oddeven_config_static_selectorELNS0_4arch9wavefront6targetE1EEEvSM_: ; @_ZN7rocprim17ROCPRIM_400000_NS6detail17trampoline_kernelINS0_14default_configENS1_38merge_sort_block_merge_config_selectorIlNS0_10empty_typeEEEZZNS1_27merge_sort_block_merge_implIS3_PlPS5_mZN2at6native12_GLOBAL__N_124unique_dim_cuda_templateIlEESt5tupleIJNSA_6TensorESF_SF_EERKSF_lbbbEUlllE_EE10hipError_tT0_T1_T2_jT3_P12ihipStream_tbPNSt15iterator_traitsISL_E10value_typeEPNSR_ISM_E10value_typeEPSN_NS1_7vsmem_tEENKUlT_SL_SM_SN_E_clIS8_S8_S9_S9_EESK_S10_SL_SM_SN_EUlS10_E1_NS1_11comp_targetILNS1_3genE10ELNS1_11target_archE1201ELNS1_3gpuE5ELNS1_3repE0EEENS1_36merge_oddeven_config_static_selectorELNS0_4arch9wavefront6targetE1EEEvSM_
; %bb.0:
	.section	.rodata,"a",@progbits
	.p2align	6, 0x0
	.amdhsa_kernel _ZN7rocprim17ROCPRIM_400000_NS6detail17trampoline_kernelINS0_14default_configENS1_38merge_sort_block_merge_config_selectorIlNS0_10empty_typeEEEZZNS1_27merge_sort_block_merge_implIS3_PlPS5_mZN2at6native12_GLOBAL__N_124unique_dim_cuda_templateIlEESt5tupleIJNSA_6TensorESF_SF_EERKSF_lbbbEUlllE_EE10hipError_tT0_T1_T2_jT3_P12ihipStream_tbPNSt15iterator_traitsISL_E10value_typeEPNSR_ISM_E10value_typeEPSN_NS1_7vsmem_tEENKUlT_SL_SM_SN_E_clIS8_S8_S9_S9_EESK_S10_SL_SM_SN_EUlS10_E1_NS1_11comp_targetILNS1_3genE10ELNS1_11target_archE1201ELNS1_3gpuE5ELNS1_3repE0EEENS1_36merge_oddeven_config_static_selectorELNS0_4arch9wavefront6targetE1EEEvSM_
		.amdhsa_group_segment_fixed_size 0
		.amdhsa_private_segment_fixed_size 0
		.amdhsa_kernarg_size 64
		.amdhsa_user_sgpr_count 2
		.amdhsa_user_sgpr_dispatch_ptr 0
		.amdhsa_user_sgpr_queue_ptr 0
		.amdhsa_user_sgpr_kernarg_segment_ptr 1
		.amdhsa_user_sgpr_dispatch_id 0
		.amdhsa_user_sgpr_kernarg_preload_length 0
		.amdhsa_user_sgpr_kernarg_preload_offset 0
		.amdhsa_user_sgpr_private_segment_size 0
		.amdhsa_uses_dynamic_stack 0
		.amdhsa_enable_private_segment 0
		.amdhsa_system_sgpr_workgroup_id_x 1
		.amdhsa_system_sgpr_workgroup_id_y 0
		.amdhsa_system_sgpr_workgroup_id_z 0
		.amdhsa_system_sgpr_workgroup_info 0
		.amdhsa_system_vgpr_workitem_id 0
		.amdhsa_next_free_vgpr 1
		.amdhsa_next_free_sgpr 0
		.amdhsa_accum_offset 4
		.amdhsa_reserve_vcc 0
		.amdhsa_float_round_mode_32 0
		.amdhsa_float_round_mode_16_64 0
		.amdhsa_float_denorm_mode_32 3
		.amdhsa_float_denorm_mode_16_64 3
		.amdhsa_dx10_clamp 1
		.amdhsa_ieee_mode 1
		.amdhsa_fp16_overflow 0
		.amdhsa_tg_split 0
		.amdhsa_exception_fp_ieee_invalid_op 0
		.amdhsa_exception_fp_denorm_src 0
		.amdhsa_exception_fp_ieee_div_zero 0
		.amdhsa_exception_fp_ieee_overflow 0
		.amdhsa_exception_fp_ieee_underflow 0
		.amdhsa_exception_fp_ieee_inexact 0
		.amdhsa_exception_int_div_zero 0
	.end_amdhsa_kernel
	.section	.text._ZN7rocprim17ROCPRIM_400000_NS6detail17trampoline_kernelINS0_14default_configENS1_38merge_sort_block_merge_config_selectorIlNS0_10empty_typeEEEZZNS1_27merge_sort_block_merge_implIS3_PlPS5_mZN2at6native12_GLOBAL__N_124unique_dim_cuda_templateIlEESt5tupleIJNSA_6TensorESF_SF_EERKSF_lbbbEUlllE_EE10hipError_tT0_T1_T2_jT3_P12ihipStream_tbPNSt15iterator_traitsISL_E10value_typeEPNSR_ISM_E10value_typeEPSN_NS1_7vsmem_tEENKUlT_SL_SM_SN_E_clIS8_S8_S9_S9_EESK_S10_SL_SM_SN_EUlS10_E1_NS1_11comp_targetILNS1_3genE10ELNS1_11target_archE1201ELNS1_3gpuE5ELNS1_3repE0EEENS1_36merge_oddeven_config_static_selectorELNS0_4arch9wavefront6targetE1EEEvSM_,"axG",@progbits,_ZN7rocprim17ROCPRIM_400000_NS6detail17trampoline_kernelINS0_14default_configENS1_38merge_sort_block_merge_config_selectorIlNS0_10empty_typeEEEZZNS1_27merge_sort_block_merge_implIS3_PlPS5_mZN2at6native12_GLOBAL__N_124unique_dim_cuda_templateIlEESt5tupleIJNSA_6TensorESF_SF_EERKSF_lbbbEUlllE_EE10hipError_tT0_T1_T2_jT3_P12ihipStream_tbPNSt15iterator_traitsISL_E10value_typeEPNSR_ISM_E10value_typeEPSN_NS1_7vsmem_tEENKUlT_SL_SM_SN_E_clIS8_S8_S9_S9_EESK_S10_SL_SM_SN_EUlS10_E1_NS1_11comp_targetILNS1_3genE10ELNS1_11target_archE1201ELNS1_3gpuE5ELNS1_3repE0EEENS1_36merge_oddeven_config_static_selectorELNS0_4arch9wavefront6targetE1EEEvSM_,comdat
.Lfunc_end531:
	.size	_ZN7rocprim17ROCPRIM_400000_NS6detail17trampoline_kernelINS0_14default_configENS1_38merge_sort_block_merge_config_selectorIlNS0_10empty_typeEEEZZNS1_27merge_sort_block_merge_implIS3_PlPS5_mZN2at6native12_GLOBAL__N_124unique_dim_cuda_templateIlEESt5tupleIJNSA_6TensorESF_SF_EERKSF_lbbbEUlllE_EE10hipError_tT0_T1_T2_jT3_P12ihipStream_tbPNSt15iterator_traitsISL_E10value_typeEPNSR_ISM_E10value_typeEPSN_NS1_7vsmem_tEENKUlT_SL_SM_SN_E_clIS8_S8_S9_S9_EESK_S10_SL_SM_SN_EUlS10_E1_NS1_11comp_targetILNS1_3genE10ELNS1_11target_archE1201ELNS1_3gpuE5ELNS1_3repE0EEENS1_36merge_oddeven_config_static_selectorELNS0_4arch9wavefront6targetE1EEEvSM_, .Lfunc_end531-_ZN7rocprim17ROCPRIM_400000_NS6detail17trampoline_kernelINS0_14default_configENS1_38merge_sort_block_merge_config_selectorIlNS0_10empty_typeEEEZZNS1_27merge_sort_block_merge_implIS3_PlPS5_mZN2at6native12_GLOBAL__N_124unique_dim_cuda_templateIlEESt5tupleIJNSA_6TensorESF_SF_EERKSF_lbbbEUlllE_EE10hipError_tT0_T1_T2_jT3_P12ihipStream_tbPNSt15iterator_traitsISL_E10value_typeEPNSR_ISM_E10value_typeEPSN_NS1_7vsmem_tEENKUlT_SL_SM_SN_E_clIS8_S8_S9_S9_EESK_S10_SL_SM_SN_EUlS10_E1_NS1_11comp_targetILNS1_3genE10ELNS1_11target_archE1201ELNS1_3gpuE5ELNS1_3repE0EEENS1_36merge_oddeven_config_static_selectorELNS0_4arch9wavefront6targetE1EEEvSM_
                                        ; -- End function
	.set _ZN7rocprim17ROCPRIM_400000_NS6detail17trampoline_kernelINS0_14default_configENS1_38merge_sort_block_merge_config_selectorIlNS0_10empty_typeEEEZZNS1_27merge_sort_block_merge_implIS3_PlPS5_mZN2at6native12_GLOBAL__N_124unique_dim_cuda_templateIlEESt5tupleIJNSA_6TensorESF_SF_EERKSF_lbbbEUlllE_EE10hipError_tT0_T1_T2_jT3_P12ihipStream_tbPNSt15iterator_traitsISL_E10value_typeEPNSR_ISM_E10value_typeEPSN_NS1_7vsmem_tEENKUlT_SL_SM_SN_E_clIS8_S8_S9_S9_EESK_S10_SL_SM_SN_EUlS10_E1_NS1_11comp_targetILNS1_3genE10ELNS1_11target_archE1201ELNS1_3gpuE5ELNS1_3repE0EEENS1_36merge_oddeven_config_static_selectorELNS0_4arch9wavefront6targetE1EEEvSM_.num_vgpr, 0
	.set _ZN7rocprim17ROCPRIM_400000_NS6detail17trampoline_kernelINS0_14default_configENS1_38merge_sort_block_merge_config_selectorIlNS0_10empty_typeEEEZZNS1_27merge_sort_block_merge_implIS3_PlPS5_mZN2at6native12_GLOBAL__N_124unique_dim_cuda_templateIlEESt5tupleIJNSA_6TensorESF_SF_EERKSF_lbbbEUlllE_EE10hipError_tT0_T1_T2_jT3_P12ihipStream_tbPNSt15iterator_traitsISL_E10value_typeEPNSR_ISM_E10value_typeEPSN_NS1_7vsmem_tEENKUlT_SL_SM_SN_E_clIS8_S8_S9_S9_EESK_S10_SL_SM_SN_EUlS10_E1_NS1_11comp_targetILNS1_3genE10ELNS1_11target_archE1201ELNS1_3gpuE5ELNS1_3repE0EEENS1_36merge_oddeven_config_static_selectorELNS0_4arch9wavefront6targetE1EEEvSM_.num_agpr, 0
	.set _ZN7rocprim17ROCPRIM_400000_NS6detail17trampoline_kernelINS0_14default_configENS1_38merge_sort_block_merge_config_selectorIlNS0_10empty_typeEEEZZNS1_27merge_sort_block_merge_implIS3_PlPS5_mZN2at6native12_GLOBAL__N_124unique_dim_cuda_templateIlEESt5tupleIJNSA_6TensorESF_SF_EERKSF_lbbbEUlllE_EE10hipError_tT0_T1_T2_jT3_P12ihipStream_tbPNSt15iterator_traitsISL_E10value_typeEPNSR_ISM_E10value_typeEPSN_NS1_7vsmem_tEENKUlT_SL_SM_SN_E_clIS8_S8_S9_S9_EESK_S10_SL_SM_SN_EUlS10_E1_NS1_11comp_targetILNS1_3genE10ELNS1_11target_archE1201ELNS1_3gpuE5ELNS1_3repE0EEENS1_36merge_oddeven_config_static_selectorELNS0_4arch9wavefront6targetE1EEEvSM_.numbered_sgpr, 0
	.set _ZN7rocprim17ROCPRIM_400000_NS6detail17trampoline_kernelINS0_14default_configENS1_38merge_sort_block_merge_config_selectorIlNS0_10empty_typeEEEZZNS1_27merge_sort_block_merge_implIS3_PlPS5_mZN2at6native12_GLOBAL__N_124unique_dim_cuda_templateIlEESt5tupleIJNSA_6TensorESF_SF_EERKSF_lbbbEUlllE_EE10hipError_tT0_T1_T2_jT3_P12ihipStream_tbPNSt15iterator_traitsISL_E10value_typeEPNSR_ISM_E10value_typeEPSN_NS1_7vsmem_tEENKUlT_SL_SM_SN_E_clIS8_S8_S9_S9_EESK_S10_SL_SM_SN_EUlS10_E1_NS1_11comp_targetILNS1_3genE10ELNS1_11target_archE1201ELNS1_3gpuE5ELNS1_3repE0EEENS1_36merge_oddeven_config_static_selectorELNS0_4arch9wavefront6targetE1EEEvSM_.num_named_barrier, 0
	.set _ZN7rocprim17ROCPRIM_400000_NS6detail17trampoline_kernelINS0_14default_configENS1_38merge_sort_block_merge_config_selectorIlNS0_10empty_typeEEEZZNS1_27merge_sort_block_merge_implIS3_PlPS5_mZN2at6native12_GLOBAL__N_124unique_dim_cuda_templateIlEESt5tupleIJNSA_6TensorESF_SF_EERKSF_lbbbEUlllE_EE10hipError_tT0_T1_T2_jT3_P12ihipStream_tbPNSt15iterator_traitsISL_E10value_typeEPNSR_ISM_E10value_typeEPSN_NS1_7vsmem_tEENKUlT_SL_SM_SN_E_clIS8_S8_S9_S9_EESK_S10_SL_SM_SN_EUlS10_E1_NS1_11comp_targetILNS1_3genE10ELNS1_11target_archE1201ELNS1_3gpuE5ELNS1_3repE0EEENS1_36merge_oddeven_config_static_selectorELNS0_4arch9wavefront6targetE1EEEvSM_.private_seg_size, 0
	.set _ZN7rocprim17ROCPRIM_400000_NS6detail17trampoline_kernelINS0_14default_configENS1_38merge_sort_block_merge_config_selectorIlNS0_10empty_typeEEEZZNS1_27merge_sort_block_merge_implIS3_PlPS5_mZN2at6native12_GLOBAL__N_124unique_dim_cuda_templateIlEESt5tupleIJNSA_6TensorESF_SF_EERKSF_lbbbEUlllE_EE10hipError_tT0_T1_T2_jT3_P12ihipStream_tbPNSt15iterator_traitsISL_E10value_typeEPNSR_ISM_E10value_typeEPSN_NS1_7vsmem_tEENKUlT_SL_SM_SN_E_clIS8_S8_S9_S9_EESK_S10_SL_SM_SN_EUlS10_E1_NS1_11comp_targetILNS1_3genE10ELNS1_11target_archE1201ELNS1_3gpuE5ELNS1_3repE0EEENS1_36merge_oddeven_config_static_selectorELNS0_4arch9wavefront6targetE1EEEvSM_.uses_vcc, 0
	.set _ZN7rocprim17ROCPRIM_400000_NS6detail17trampoline_kernelINS0_14default_configENS1_38merge_sort_block_merge_config_selectorIlNS0_10empty_typeEEEZZNS1_27merge_sort_block_merge_implIS3_PlPS5_mZN2at6native12_GLOBAL__N_124unique_dim_cuda_templateIlEESt5tupleIJNSA_6TensorESF_SF_EERKSF_lbbbEUlllE_EE10hipError_tT0_T1_T2_jT3_P12ihipStream_tbPNSt15iterator_traitsISL_E10value_typeEPNSR_ISM_E10value_typeEPSN_NS1_7vsmem_tEENKUlT_SL_SM_SN_E_clIS8_S8_S9_S9_EESK_S10_SL_SM_SN_EUlS10_E1_NS1_11comp_targetILNS1_3genE10ELNS1_11target_archE1201ELNS1_3gpuE5ELNS1_3repE0EEENS1_36merge_oddeven_config_static_selectorELNS0_4arch9wavefront6targetE1EEEvSM_.uses_flat_scratch, 0
	.set _ZN7rocprim17ROCPRIM_400000_NS6detail17trampoline_kernelINS0_14default_configENS1_38merge_sort_block_merge_config_selectorIlNS0_10empty_typeEEEZZNS1_27merge_sort_block_merge_implIS3_PlPS5_mZN2at6native12_GLOBAL__N_124unique_dim_cuda_templateIlEESt5tupleIJNSA_6TensorESF_SF_EERKSF_lbbbEUlllE_EE10hipError_tT0_T1_T2_jT3_P12ihipStream_tbPNSt15iterator_traitsISL_E10value_typeEPNSR_ISM_E10value_typeEPSN_NS1_7vsmem_tEENKUlT_SL_SM_SN_E_clIS8_S8_S9_S9_EESK_S10_SL_SM_SN_EUlS10_E1_NS1_11comp_targetILNS1_3genE10ELNS1_11target_archE1201ELNS1_3gpuE5ELNS1_3repE0EEENS1_36merge_oddeven_config_static_selectorELNS0_4arch9wavefront6targetE1EEEvSM_.has_dyn_sized_stack, 0
	.set _ZN7rocprim17ROCPRIM_400000_NS6detail17trampoline_kernelINS0_14default_configENS1_38merge_sort_block_merge_config_selectorIlNS0_10empty_typeEEEZZNS1_27merge_sort_block_merge_implIS3_PlPS5_mZN2at6native12_GLOBAL__N_124unique_dim_cuda_templateIlEESt5tupleIJNSA_6TensorESF_SF_EERKSF_lbbbEUlllE_EE10hipError_tT0_T1_T2_jT3_P12ihipStream_tbPNSt15iterator_traitsISL_E10value_typeEPNSR_ISM_E10value_typeEPSN_NS1_7vsmem_tEENKUlT_SL_SM_SN_E_clIS8_S8_S9_S9_EESK_S10_SL_SM_SN_EUlS10_E1_NS1_11comp_targetILNS1_3genE10ELNS1_11target_archE1201ELNS1_3gpuE5ELNS1_3repE0EEENS1_36merge_oddeven_config_static_selectorELNS0_4arch9wavefront6targetE1EEEvSM_.has_recursion, 0
	.set _ZN7rocprim17ROCPRIM_400000_NS6detail17trampoline_kernelINS0_14default_configENS1_38merge_sort_block_merge_config_selectorIlNS0_10empty_typeEEEZZNS1_27merge_sort_block_merge_implIS3_PlPS5_mZN2at6native12_GLOBAL__N_124unique_dim_cuda_templateIlEESt5tupleIJNSA_6TensorESF_SF_EERKSF_lbbbEUlllE_EE10hipError_tT0_T1_T2_jT3_P12ihipStream_tbPNSt15iterator_traitsISL_E10value_typeEPNSR_ISM_E10value_typeEPSN_NS1_7vsmem_tEENKUlT_SL_SM_SN_E_clIS8_S8_S9_S9_EESK_S10_SL_SM_SN_EUlS10_E1_NS1_11comp_targetILNS1_3genE10ELNS1_11target_archE1201ELNS1_3gpuE5ELNS1_3repE0EEENS1_36merge_oddeven_config_static_selectorELNS0_4arch9wavefront6targetE1EEEvSM_.has_indirect_call, 0
	.section	.AMDGPU.csdata,"",@progbits
; Kernel info:
; codeLenInByte = 0
; TotalNumSgprs: 6
; NumVgprs: 0
; NumAgprs: 0
; TotalNumVgprs: 0
; ScratchSize: 0
; MemoryBound: 0
; FloatMode: 240
; IeeeMode: 1
; LDSByteSize: 0 bytes/workgroup (compile time only)
; SGPRBlocks: 0
; VGPRBlocks: 0
; NumSGPRsForWavesPerEU: 6
; NumVGPRsForWavesPerEU: 1
; AccumOffset: 4
; Occupancy: 8
; WaveLimiterHint : 0
; COMPUTE_PGM_RSRC2:SCRATCH_EN: 0
; COMPUTE_PGM_RSRC2:USER_SGPR: 2
; COMPUTE_PGM_RSRC2:TRAP_HANDLER: 0
; COMPUTE_PGM_RSRC2:TGID_X_EN: 1
; COMPUTE_PGM_RSRC2:TGID_Y_EN: 0
; COMPUTE_PGM_RSRC2:TGID_Z_EN: 0
; COMPUTE_PGM_RSRC2:TIDIG_COMP_CNT: 0
; COMPUTE_PGM_RSRC3_GFX90A:ACCUM_OFFSET: 0
; COMPUTE_PGM_RSRC3_GFX90A:TG_SPLIT: 0
	.section	.text._ZN7rocprim17ROCPRIM_400000_NS6detail17trampoline_kernelINS0_14default_configENS1_38merge_sort_block_merge_config_selectorIlNS0_10empty_typeEEEZZNS1_27merge_sort_block_merge_implIS3_PlPS5_mZN2at6native12_GLOBAL__N_124unique_dim_cuda_templateIlEESt5tupleIJNSA_6TensorESF_SF_EERKSF_lbbbEUlllE_EE10hipError_tT0_T1_T2_jT3_P12ihipStream_tbPNSt15iterator_traitsISL_E10value_typeEPNSR_ISM_E10value_typeEPSN_NS1_7vsmem_tEENKUlT_SL_SM_SN_E_clIS8_S8_S9_S9_EESK_S10_SL_SM_SN_EUlS10_E1_NS1_11comp_targetILNS1_3genE5ELNS1_11target_archE942ELNS1_3gpuE9ELNS1_3repE0EEENS1_36merge_oddeven_config_static_selectorELNS0_4arch9wavefront6targetE1EEEvSM_,"axG",@progbits,_ZN7rocprim17ROCPRIM_400000_NS6detail17trampoline_kernelINS0_14default_configENS1_38merge_sort_block_merge_config_selectorIlNS0_10empty_typeEEEZZNS1_27merge_sort_block_merge_implIS3_PlPS5_mZN2at6native12_GLOBAL__N_124unique_dim_cuda_templateIlEESt5tupleIJNSA_6TensorESF_SF_EERKSF_lbbbEUlllE_EE10hipError_tT0_T1_T2_jT3_P12ihipStream_tbPNSt15iterator_traitsISL_E10value_typeEPNSR_ISM_E10value_typeEPSN_NS1_7vsmem_tEENKUlT_SL_SM_SN_E_clIS8_S8_S9_S9_EESK_S10_SL_SM_SN_EUlS10_E1_NS1_11comp_targetILNS1_3genE5ELNS1_11target_archE942ELNS1_3gpuE9ELNS1_3repE0EEENS1_36merge_oddeven_config_static_selectorELNS0_4arch9wavefront6targetE1EEEvSM_,comdat
	.globl	_ZN7rocprim17ROCPRIM_400000_NS6detail17trampoline_kernelINS0_14default_configENS1_38merge_sort_block_merge_config_selectorIlNS0_10empty_typeEEEZZNS1_27merge_sort_block_merge_implIS3_PlPS5_mZN2at6native12_GLOBAL__N_124unique_dim_cuda_templateIlEESt5tupleIJNSA_6TensorESF_SF_EERKSF_lbbbEUlllE_EE10hipError_tT0_T1_T2_jT3_P12ihipStream_tbPNSt15iterator_traitsISL_E10value_typeEPNSR_ISM_E10value_typeEPSN_NS1_7vsmem_tEENKUlT_SL_SM_SN_E_clIS8_S8_S9_S9_EESK_S10_SL_SM_SN_EUlS10_E1_NS1_11comp_targetILNS1_3genE5ELNS1_11target_archE942ELNS1_3gpuE9ELNS1_3repE0EEENS1_36merge_oddeven_config_static_selectorELNS0_4arch9wavefront6targetE1EEEvSM_ ; -- Begin function _ZN7rocprim17ROCPRIM_400000_NS6detail17trampoline_kernelINS0_14default_configENS1_38merge_sort_block_merge_config_selectorIlNS0_10empty_typeEEEZZNS1_27merge_sort_block_merge_implIS3_PlPS5_mZN2at6native12_GLOBAL__N_124unique_dim_cuda_templateIlEESt5tupleIJNSA_6TensorESF_SF_EERKSF_lbbbEUlllE_EE10hipError_tT0_T1_T2_jT3_P12ihipStream_tbPNSt15iterator_traitsISL_E10value_typeEPNSR_ISM_E10value_typeEPSN_NS1_7vsmem_tEENKUlT_SL_SM_SN_E_clIS8_S8_S9_S9_EESK_S10_SL_SM_SN_EUlS10_E1_NS1_11comp_targetILNS1_3genE5ELNS1_11target_archE942ELNS1_3gpuE9ELNS1_3repE0EEENS1_36merge_oddeven_config_static_selectorELNS0_4arch9wavefront6targetE1EEEvSM_
	.p2align	8
	.type	_ZN7rocprim17ROCPRIM_400000_NS6detail17trampoline_kernelINS0_14default_configENS1_38merge_sort_block_merge_config_selectorIlNS0_10empty_typeEEEZZNS1_27merge_sort_block_merge_implIS3_PlPS5_mZN2at6native12_GLOBAL__N_124unique_dim_cuda_templateIlEESt5tupleIJNSA_6TensorESF_SF_EERKSF_lbbbEUlllE_EE10hipError_tT0_T1_T2_jT3_P12ihipStream_tbPNSt15iterator_traitsISL_E10value_typeEPNSR_ISM_E10value_typeEPSN_NS1_7vsmem_tEENKUlT_SL_SM_SN_E_clIS8_S8_S9_S9_EESK_S10_SL_SM_SN_EUlS10_E1_NS1_11comp_targetILNS1_3genE5ELNS1_11target_archE942ELNS1_3gpuE9ELNS1_3repE0EEENS1_36merge_oddeven_config_static_selectorELNS0_4arch9wavefront6targetE1EEEvSM_,@function
_ZN7rocprim17ROCPRIM_400000_NS6detail17trampoline_kernelINS0_14default_configENS1_38merge_sort_block_merge_config_selectorIlNS0_10empty_typeEEEZZNS1_27merge_sort_block_merge_implIS3_PlPS5_mZN2at6native12_GLOBAL__N_124unique_dim_cuda_templateIlEESt5tupleIJNSA_6TensorESF_SF_EERKSF_lbbbEUlllE_EE10hipError_tT0_T1_T2_jT3_P12ihipStream_tbPNSt15iterator_traitsISL_E10value_typeEPNSR_ISM_E10value_typeEPSN_NS1_7vsmem_tEENKUlT_SL_SM_SN_E_clIS8_S8_S9_S9_EESK_S10_SL_SM_SN_EUlS10_E1_NS1_11comp_targetILNS1_3genE5ELNS1_11target_archE942ELNS1_3gpuE9ELNS1_3repE0EEENS1_36merge_oddeven_config_static_selectorELNS0_4arch9wavefront6targetE1EEEvSM_: ; @_ZN7rocprim17ROCPRIM_400000_NS6detail17trampoline_kernelINS0_14default_configENS1_38merge_sort_block_merge_config_selectorIlNS0_10empty_typeEEEZZNS1_27merge_sort_block_merge_implIS3_PlPS5_mZN2at6native12_GLOBAL__N_124unique_dim_cuda_templateIlEESt5tupleIJNSA_6TensorESF_SF_EERKSF_lbbbEUlllE_EE10hipError_tT0_T1_T2_jT3_P12ihipStream_tbPNSt15iterator_traitsISL_E10value_typeEPNSR_ISM_E10value_typeEPSN_NS1_7vsmem_tEENKUlT_SL_SM_SN_E_clIS8_S8_S9_S9_EESK_S10_SL_SM_SN_EUlS10_E1_NS1_11comp_targetILNS1_3genE5ELNS1_11target_archE942ELNS1_3gpuE9ELNS1_3repE0EEENS1_36merge_oddeven_config_static_selectorELNS0_4arch9wavefront6targetE1EEEvSM_
; %bb.0:
	.section	.rodata,"a",@progbits
	.p2align	6, 0x0
	.amdhsa_kernel _ZN7rocprim17ROCPRIM_400000_NS6detail17trampoline_kernelINS0_14default_configENS1_38merge_sort_block_merge_config_selectorIlNS0_10empty_typeEEEZZNS1_27merge_sort_block_merge_implIS3_PlPS5_mZN2at6native12_GLOBAL__N_124unique_dim_cuda_templateIlEESt5tupleIJNSA_6TensorESF_SF_EERKSF_lbbbEUlllE_EE10hipError_tT0_T1_T2_jT3_P12ihipStream_tbPNSt15iterator_traitsISL_E10value_typeEPNSR_ISM_E10value_typeEPSN_NS1_7vsmem_tEENKUlT_SL_SM_SN_E_clIS8_S8_S9_S9_EESK_S10_SL_SM_SN_EUlS10_E1_NS1_11comp_targetILNS1_3genE5ELNS1_11target_archE942ELNS1_3gpuE9ELNS1_3repE0EEENS1_36merge_oddeven_config_static_selectorELNS0_4arch9wavefront6targetE1EEEvSM_
		.amdhsa_group_segment_fixed_size 0
		.amdhsa_private_segment_fixed_size 0
		.amdhsa_kernarg_size 64
		.amdhsa_user_sgpr_count 2
		.amdhsa_user_sgpr_dispatch_ptr 0
		.amdhsa_user_sgpr_queue_ptr 0
		.amdhsa_user_sgpr_kernarg_segment_ptr 1
		.amdhsa_user_sgpr_dispatch_id 0
		.amdhsa_user_sgpr_kernarg_preload_length 0
		.amdhsa_user_sgpr_kernarg_preload_offset 0
		.amdhsa_user_sgpr_private_segment_size 0
		.amdhsa_uses_dynamic_stack 0
		.amdhsa_enable_private_segment 0
		.amdhsa_system_sgpr_workgroup_id_x 1
		.amdhsa_system_sgpr_workgroup_id_y 0
		.amdhsa_system_sgpr_workgroup_id_z 0
		.amdhsa_system_sgpr_workgroup_info 0
		.amdhsa_system_vgpr_workitem_id 0
		.amdhsa_next_free_vgpr 1
		.amdhsa_next_free_sgpr 0
		.amdhsa_accum_offset 4
		.amdhsa_reserve_vcc 0
		.amdhsa_float_round_mode_32 0
		.amdhsa_float_round_mode_16_64 0
		.amdhsa_float_denorm_mode_32 3
		.amdhsa_float_denorm_mode_16_64 3
		.amdhsa_dx10_clamp 1
		.amdhsa_ieee_mode 1
		.amdhsa_fp16_overflow 0
		.amdhsa_tg_split 0
		.amdhsa_exception_fp_ieee_invalid_op 0
		.amdhsa_exception_fp_denorm_src 0
		.amdhsa_exception_fp_ieee_div_zero 0
		.amdhsa_exception_fp_ieee_overflow 0
		.amdhsa_exception_fp_ieee_underflow 0
		.amdhsa_exception_fp_ieee_inexact 0
		.amdhsa_exception_int_div_zero 0
	.end_amdhsa_kernel
	.section	.text._ZN7rocprim17ROCPRIM_400000_NS6detail17trampoline_kernelINS0_14default_configENS1_38merge_sort_block_merge_config_selectorIlNS0_10empty_typeEEEZZNS1_27merge_sort_block_merge_implIS3_PlPS5_mZN2at6native12_GLOBAL__N_124unique_dim_cuda_templateIlEESt5tupleIJNSA_6TensorESF_SF_EERKSF_lbbbEUlllE_EE10hipError_tT0_T1_T2_jT3_P12ihipStream_tbPNSt15iterator_traitsISL_E10value_typeEPNSR_ISM_E10value_typeEPSN_NS1_7vsmem_tEENKUlT_SL_SM_SN_E_clIS8_S8_S9_S9_EESK_S10_SL_SM_SN_EUlS10_E1_NS1_11comp_targetILNS1_3genE5ELNS1_11target_archE942ELNS1_3gpuE9ELNS1_3repE0EEENS1_36merge_oddeven_config_static_selectorELNS0_4arch9wavefront6targetE1EEEvSM_,"axG",@progbits,_ZN7rocprim17ROCPRIM_400000_NS6detail17trampoline_kernelINS0_14default_configENS1_38merge_sort_block_merge_config_selectorIlNS0_10empty_typeEEEZZNS1_27merge_sort_block_merge_implIS3_PlPS5_mZN2at6native12_GLOBAL__N_124unique_dim_cuda_templateIlEESt5tupleIJNSA_6TensorESF_SF_EERKSF_lbbbEUlllE_EE10hipError_tT0_T1_T2_jT3_P12ihipStream_tbPNSt15iterator_traitsISL_E10value_typeEPNSR_ISM_E10value_typeEPSN_NS1_7vsmem_tEENKUlT_SL_SM_SN_E_clIS8_S8_S9_S9_EESK_S10_SL_SM_SN_EUlS10_E1_NS1_11comp_targetILNS1_3genE5ELNS1_11target_archE942ELNS1_3gpuE9ELNS1_3repE0EEENS1_36merge_oddeven_config_static_selectorELNS0_4arch9wavefront6targetE1EEEvSM_,comdat
.Lfunc_end532:
	.size	_ZN7rocprim17ROCPRIM_400000_NS6detail17trampoline_kernelINS0_14default_configENS1_38merge_sort_block_merge_config_selectorIlNS0_10empty_typeEEEZZNS1_27merge_sort_block_merge_implIS3_PlPS5_mZN2at6native12_GLOBAL__N_124unique_dim_cuda_templateIlEESt5tupleIJNSA_6TensorESF_SF_EERKSF_lbbbEUlllE_EE10hipError_tT0_T1_T2_jT3_P12ihipStream_tbPNSt15iterator_traitsISL_E10value_typeEPNSR_ISM_E10value_typeEPSN_NS1_7vsmem_tEENKUlT_SL_SM_SN_E_clIS8_S8_S9_S9_EESK_S10_SL_SM_SN_EUlS10_E1_NS1_11comp_targetILNS1_3genE5ELNS1_11target_archE942ELNS1_3gpuE9ELNS1_3repE0EEENS1_36merge_oddeven_config_static_selectorELNS0_4arch9wavefront6targetE1EEEvSM_, .Lfunc_end532-_ZN7rocprim17ROCPRIM_400000_NS6detail17trampoline_kernelINS0_14default_configENS1_38merge_sort_block_merge_config_selectorIlNS0_10empty_typeEEEZZNS1_27merge_sort_block_merge_implIS3_PlPS5_mZN2at6native12_GLOBAL__N_124unique_dim_cuda_templateIlEESt5tupleIJNSA_6TensorESF_SF_EERKSF_lbbbEUlllE_EE10hipError_tT0_T1_T2_jT3_P12ihipStream_tbPNSt15iterator_traitsISL_E10value_typeEPNSR_ISM_E10value_typeEPSN_NS1_7vsmem_tEENKUlT_SL_SM_SN_E_clIS8_S8_S9_S9_EESK_S10_SL_SM_SN_EUlS10_E1_NS1_11comp_targetILNS1_3genE5ELNS1_11target_archE942ELNS1_3gpuE9ELNS1_3repE0EEENS1_36merge_oddeven_config_static_selectorELNS0_4arch9wavefront6targetE1EEEvSM_
                                        ; -- End function
	.set _ZN7rocprim17ROCPRIM_400000_NS6detail17trampoline_kernelINS0_14default_configENS1_38merge_sort_block_merge_config_selectorIlNS0_10empty_typeEEEZZNS1_27merge_sort_block_merge_implIS3_PlPS5_mZN2at6native12_GLOBAL__N_124unique_dim_cuda_templateIlEESt5tupleIJNSA_6TensorESF_SF_EERKSF_lbbbEUlllE_EE10hipError_tT0_T1_T2_jT3_P12ihipStream_tbPNSt15iterator_traitsISL_E10value_typeEPNSR_ISM_E10value_typeEPSN_NS1_7vsmem_tEENKUlT_SL_SM_SN_E_clIS8_S8_S9_S9_EESK_S10_SL_SM_SN_EUlS10_E1_NS1_11comp_targetILNS1_3genE5ELNS1_11target_archE942ELNS1_3gpuE9ELNS1_3repE0EEENS1_36merge_oddeven_config_static_selectorELNS0_4arch9wavefront6targetE1EEEvSM_.num_vgpr, 0
	.set _ZN7rocprim17ROCPRIM_400000_NS6detail17trampoline_kernelINS0_14default_configENS1_38merge_sort_block_merge_config_selectorIlNS0_10empty_typeEEEZZNS1_27merge_sort_block_merge_implIS3_PlPS5_mZN2at6native12_GLOBAL__N_124unique_dim_cuda_templateIlEESt5tupleIJNSA_6TensorESF_SF_EERKSF_lbbbEUlllE_EE10hipError_tT0_T1_T2_jT3_P12ihipStream_tbPNSt15iterator_traitsISL_E10value_typeEPNSR_ISM_E10value_typeEPSN_NS1_7vsmem_tEENKUlT_SL_SM_SN_E_clIS8_S8_S9_S9_EESK_S10_SL_SM_SN_EUlS10_E1_NS1_11comp_targetILNS1_3genE5ELNS1_11target_archE942ELNS1_3gpuE9ELNS1_3repE0EEENS1_36merge_oddeven_config_static_selectorELNS0_4arch9wavefront6targetE1EEEvSM_.num_agpr, 0
	.set _ZN7rocprim17ROCPRIM_400000_NS6detail17trampoline_kernelINS0_14default_configENS1_38merge_sort_block_merge_config_selectorIlNS0_10empty_typeEEEZZNS1_27merge_sort_block_merge_implIS3_PlPS5_mZN2at6native12_GLOBAL__N_124unique_dim_cuda_templateIlEESt5tupleIJNSA_6TensorESF_SF_EERKSF_lbbbEUlllE_EE10hipError_tT0_T1_T2_jT3_P12ihipStream_tbPNSt15iterator_traitsISL_E10value_typeEPNSR_ISM_E10value_typeEPSN_NS1_7vsmem_tEENKUlT_SL_SM_SN_E_clIS8_S8_S9_S9_EESK_S10_SL_SM_SN_EUlS10_E1_NS1_11comp_targetILNS1_3genE5ELNS1_11target_archE942ELNS1_3gpuE9ELNS1_3repE0EEENS1_36merge_oddeven_config_static_selectorELNS0_4arch9wavefront6targetE1EEEvSM_.numbered_sgpr, 0
	.set _ZN7rocprim17ROCPRIM_400000_NS6detail17trampoline_kernelINS0_14default_configENS1_38merge_sort_block_merge_config_selectorIlNS0_10empty_typeEEEZZNS1_27merge_sort_block_merge_implIS3_PlPS5_mZN2at6native12_GLOBAL__N_124unique_dim_cuda_templateIlEESt5tupleIJNSA_6TensorESF_SF_EERKSF_lbbbEUlllE_EE10hipError_tT0_T1_T2_jT3_P12ihipStream_tbPNSt15iterator_traitsISL_E10value_typeEPNSR_ISM_E10value_typeEPSN_NS1_7vsmem_tEENKUlT_SL_SM_SN_E_clIS8_S8_S9_S9_EESK_S10_SL_SM_SN_EUlS10_E1_NS1_11comp_targetILNS1_3genE5ELNS1_11target_archE942ELNS1_3gpuE9ELNS1_3repE0EEENS1_36merge_oddeven_config_static_selectorELNS0_4arch9wavefront6targetE1EEEvSM_.num_named_barrier, 0
	.set _ZN7rocprim17ROCPRIM_400000_NS6detail17trampoline_kernelINS0_14default_configENS1_38merge_sort_block_merge_config_selectorIlNS0_10empty_typeEEEZZNS1_27merge_sort_block_merge_implIS3_PlPS5_mZN2at6native12_GLOBAL__N_124unique_dim_cuda_templateIlEESt5tupleIJNSA_6TensorESF_SF_EERKSF_lbbbEUlllE_EE10hipError_tT0_T1_T2_jT3_P12ihipStream_tbPNSt15iterator_traitsISL_E10value_typeEPNSR_ISM_E10value_typeEPSN_NS1_7vsmem_tEENKUlT_SL_SM_SN_E_clIS8_S8_S9_S9_EESK_S10_SL_SM_SN_EUlS10_E1_NS1_11comp_targetILNS1_3genE5ELNS1_11target_archE942ELNS1_3gpuE9ELNS1_3repE0EEENS1_36merge_oddeven_config_static_selectorELNS0_4arch9wavefront6targetE1EEEvSM_.private_seg_size, 0
	.set _ZN7rocprim17ROCPRIM_400000_NS6detail17trampoline_kernelINS0_14default_configENS1_38merge_sort_block_merge_config_selectorIlNS0_10empty_typeEEEZZNS1_27merge_sort_block_merge_implIS3_PlPS5_mZN2at6native12_GLOBAL__N_124unique_dim_cuda_templateIlEESt5tupleIJNSA_6TensorESF_SF_EERKSF_lbbbEUlllE_EE10hipError_tT0_T1_T2_jT3_P12ihipStream_tbPNSt15iterator_traitsISL_E10value_typeEPNSR_ISM_E10value_typeEPSN_NS1_7vsmem_tEENKUlT_SL_SM_SN_E_clIS8_S8_S9_S9_EESK_S10_SL_SM_SN_EUlS10_E1_NS1_11comp_targetILNS1_3genE5ELNS1_11target_archE942ELNS1_3gpuE9ELNS1_3repE0EEENS1_36merge_oddeven_config_static_selectorELNS0_4arch9wavefront6targetE1EEEvSM_.uses_vcc, 0
	.set _ZN7rocprim17ROCPRIM_400000_NS6detail17trampoline_kernelINS0_14default_configENS1_38merge_sort_block_merge_config_selectorIlNS0_10empty_typeEEEZZNS1_27merge_sort_block_merge_implIS3_PlPS5_mZN2at6native12_GLOBAL__N_124unique_dim_cuda_templateIlEESt5tupleIJNSA_6TensorESF_SF_EERKSF_lbbbEUlllE_EE10hipError_tT0_T1_T2_jT3_P12ihipStream_tbPNSt15iterator_traitsISL_E10value_typeEPNSR_ISM_E10value_typeEPSN_NS1_7vsmem_tEENKUlT_SL_SM_SN_E_clIS8_S8_S9_S9_EESK_S10_SL_SM_SN_EUlS10_E1_NS1_11comp_targetILNS1_3genE5ELNS1_11target_archE942ELNS1_3gpuE9ELNS1_3repE0EEENS1_36merge_oddeven_config_static_selectorELNS0_4arch9wavefront6targetE1EEEvSM_.uses_flat_scratch, 0
	.set _ZN7rocprim17ROCPRIM_400000_NS6detail17trampoline_kernelINS0_14default_configENS1_38merge_sort_block_merge_config_selectorIlNS0_10empty_typeEEEZZNS1_27merge_sort_block_merge_implIS3_PlPS5_mZN2at6native12_GLOBAL__N_124unique_dim_cuda_templateIlEESt5tupleIJNSA_6TensorESF_SF_EERKSF_lbbbEUlllE_EE10hipError_tT0_T1_T2_jT3_P12ihipStream_tbPNSt15iterator_traitsISL_E10value_typeEPNSR_ISM_E10value_typeEPSN_NS1_7vsmem_tEENKUlT_SL_SM_SN_E_clIS8_S8_S9_S9_EESK_S10_SL_SM_SN_EUlS10_E1_NS1_11comp_targetILNS1_3genE5ELNS1_11target_archE942ELNS1_3gpuE9ELNS1_3repE0EEENS1_36merge_oddeven_config_static_selectorELNS0_4arch9wavefront6targetE1EEEvSM_.has_dyn_sized_stack, 0
	.set _ZN7rocprim17ROCPRIM_400000_NS6detail17trampoline_kernelINS0_14default_configENS1_38merge_sort_block_merge_config_selectorIlNS0_10empty_typeEEEZZNS1_27merge_sort_block_merge_implIS3_PlPS5_mZN2at6native12_GLOBAL__N_124unique_dim_cuda_templateIlEESt5tupleIJNSA_6TensorESF_SF_EERKSF_lbbbEUlllE_EE10hipError_tT0_T1_T2_jT3_P12ihipStream_tbPNSt15iterator_traitsISL_E10value_typeEPNSR_ISM_E10value_typeEPSN_NS1_7vsmem_tEENKUlT_SL_SM_SN_E_clIS8_S8_S9_S9_EESK_S10_SL_SM_SN_EUlS10_E1_NS1_11comp_targetILNS1_3genE5ELNS1_11target_archE942ELNS1_3gpuE9ELNS1_3repE0EEENS1_36merge_oddeven_config_static_selectorELNS0_4arch9wavefront6targetE1EEEvSM_.has_recursion, 0
	.set _ZN7rocprim17ROCPRIM_400000_NS6detail17trampoline_kernelINS0_14default_configENS1_38merge_sort_block_merge_config_selectorIlNS0_10empty_typeEEEZZNS1_27merge_sort_block_merge_implIS3_PlPS5_mZN2at6native12_GLOBAL__N_124unique_dim_cuda_templateIlEESt5tupleIJNSA_6TensorESF_SF_EERKSF_lbbbEUlllE_EE10hipError_tT0_T1_T2_jT3_P12ihipStream_tbPNSt15iterator_traitsISL_E10value_typeEPNSR_ISM_E10value_typeEPSN_NS1_7vsmem_tEENKUlT_SL_SM_SN_E_clIS8_S8_S9_S9_EESK_S10_SL_SM_SN_EUlS10_E1_NS1_11comp_targetILNS1_3genE5ELNS1_11target_archE942ELNS1_3gpuE9ELNS1_3repE0EEENS1_36merge_oddeven_config_static_selectorELNS0_4arch9wavefront6targetE1EEEvSM_.has_indirect_call, 0
	.section	.AMDGPU.csdata,"",@progbits
; Kernel info:
; codeLenInByte = 0
; TotalNumSgprs: 6
; NumVgprs: 0
; NumAgprs: 0
; TotalNumVgprs: 0
; ScratchSize: 0
; MemoryBound: 0
; FloatMode: 240
; IeeeMode: 1
; LDSByteSize: 0 bytes/workgroup (compile time only)
; SGPRBlocks: 0
; VGPRBlocks: 0
; NumSGPRsForWavesPerEU: 6
; NumVGPRsForWavesPerEU: 1
; AccumOffset: 4
; Occupancy: 8
; WaveLimiterHint : 0
; COMPUTE_PGM_RSRC2:SCRATCH_EN: 0
; COMPUTE_PGM_RSRC2:USER_SGPR: 2
; COMPUTE_PGM_RSRC2:TRAP_HANDLER: 0
; COMPUTE_PGM_RSRC2:TGID_X_EN: 1
; COMPUTE_PGM_RSRC2:TGID_Y_EN: 0
; COMPUTE_PGM_RSRC2:TGID_Z_EN: 0
; COMPUTE_PGM_RSRC2:TIDIG_COMP_CNT: 0
; COMPUTE_PGM_RSRC3_GFX90A:ACCUM_OFFSET: 0
; COMPUTE_PGM_RSRC3_GFX90A:TG_SPLIT: 0
	.section	.text._ZN7rocprim17ROCPRIM_400000_NS6detail17trampoline_kernelINS0_14default_configENS1_38merge_sort_block_merge_config_selectorIlNS0_10empty_typeEEEZZNS1_27merge_sort_block_merge_implIS3_PlPS5_mZN2at6native12_GLOBAL__N_124unique_dim_cuda_templateIlEESt5tupleIJNSA_6TensorESF_SF_EERKSF_lbbbEUlllE_EE10hipError_tT0_T1_T2_jT3_P12ihipStream_tbPNSt15iterator_traitsISL_E10value_typeEPNSR_ISM_E10value_typeEPSN_NS1_7vsmem_tEENKUlT_SL_SM_SN_E_clIS8_S8_S9_S9_EESK_S10_SL_SM_SN_EUlS10_E1_NS1_11comp_targetILNS1_3genE4ELNS1_11target_archE910ELNS1_3gpuE8ELNS1_3repE0EEENS1_36merge_oddeven_config_static_selectorELNS0_4arch9wavefront6targetE1EEEvSM_,"axG",@progbits,_ZN7rocprim17ROCPRIM_400000_NS6detail17trampoline_kernelINS0_14default_configENS1_38merge_sort_block_merge_config_selectorIlNS0_10empty_typeEEEZZNS1_27merge_sort_block_merge_implIS3_PlPS5_mZN2at6native12_GLOBAL__N_124unique_dim_cuda_templateIlEESt5tupleIJNSA_6TensorESF_SF_EERKSF_lbbbEUlllE_EE10hipError_tT0_T1_T2_jT3_P12ihipStream_tbPNSt15iterator_traitsISL_E10value_typeEPNSR_ISM_E10value_typeEPSN_NS1_7vsmem_tEENKUlT_SL_SM_SN_E_clIS8_S8_S9_S9_EESK_S10_SL_SM_SN_EUlS10_E1_NS1_11comp_targetILNS1_3genE4ELNS1_11target_archE910ELNS1_3gpuE8ELNS1_3repE0EEENS1_36merge_oddeven_config_static_selectorELNS0_4arch9wavefront6targetE1EEEvSM_,comdat
	.globl	_ZN7rocprim17ROCPRIM_400000_NS6detail17trampoline_kernelINS0_14default_configENS1_38merge_sort_block_merge_config_selectorIlNS0_10empty_typeEEEZZNS1_27merge_sort_block_merge_implIS3_PlPS5_mZN2at6native12_GLOBAL__N_124unique_dim_cuda_templateIlEESt5tupleIJNSA_6TensorESF_SF_EERKSF_lbbbEUlllE_EE10hipError_tT0_T1_T2_jT3_P12ihipStream_tbPNSt15iterator_traitsISL_E10value_typeEPNSR_ISM_E10value_typeEPSN_NS1_7vsmem_tEENKUlT_SL_SM_SN_E_clIS8_S8_S9_S9_EESK_S10_SL_SM_SN_EUlS10_E1_NS1_11comp_targetILNS1_3genE4ELNS1_11target_archE910ELNS1_3gpuE8ELNS1_3repE0EEENS1_36merge_oddeven_config_static_selectorELNS0_4arch9wavefront6targetE1EEEvSM_ ; -- Begin function _ZN7rocprim17ROCPRIM_400000_NS6detail17trampoline_kernelINS0_14default_configENS1_38merge_sort_block_merge_config_selectorIlNS0_10empty_typeEEEZZNS1_27merge_sort_block_merge_implIS3_PlPS5_mZN2at6native12_GLOBAL__N_124unique_dim_cuda_templateIlEESt5tupleIJNSA_6TensorESF_SF_EERKSF_lbbbEUlllE_EE10hipError_tT0_T1_T2_jT3_P12ihipStream_tbPNSt15iterator_traitsISL_E10value_typeEPNSR_ISM_E10value_typeEPSN_NS1_7vsmem_tEENKUlT_SL_SM_SN_E_clIS8_S8_S9_S9_EESK_S10_SL_SM_SN_EUlS10_E1_NS1_11comp_targetILNS1_3genE4ELNS1_11target_archE910ELNS1_3gpuE8ELNS1_3repE0EEENS1_36merge_oddeven_config_static_selectorELNS0_4arch9wavefront6targetE1EEEvSM_
	.p2align	8
	.type	_ZN7rocprim17ROCPRIM_400000_NS6detail17trampoline_kernelINS0_14default_configENS1_38merge_sort_block_merge_config_selectorIlNS0_10empty_typeEEEZZNS1_27merge_sort_block_merge_implIS3_PlPS5_mZN2at6native12_GLOBAL__N_124unique_dim_cuda_templateIlEESt5tupleIJNSA_6TensorESF_SF_EERKSF_lbbbEUlllE_EE10hipError_tT0_T1_T2_jT3_P12ihipStream_tbPNSt15iterator_traitsISL_E10value_typeEPNSR_ISM_E10value_typeEPSN_NS1_7vsmem_tEENKUlT_SL_SM_SN_E_clIS8_S8_S9_S9_EESK_S10_SL_SM_SN_EUlS10_E1_NS1_11comp_targetILNS1_3genE4ELNS1_11target_archE910ELNS1_3gpuE8ELNS1_3repE0EEENS1_36merge_oddeven_config_static_selectorELNS0_4arch9wavefront6targetE1EEEvSM_,@function
_ZN7rocprim17ROCPRIM_400000_NS6detail17trampoline_kernelINS0_14default_configENS1_38merge_sort_block_merge_config_selectorIlNS0_10empty_typeEEEZZNS1_27merge_sort_block_merge_implIS3_PlPS5_mZN2at6native12_GLOBAL__N_124unique_dim_cuda_templateIlEESt5tupleIJNSA_6TensorESF_SF_EERKSF_lbbbEUlllE_EE10hipError_tT0_T1_T2_jT3_P12ihipStream_tbPNSt15iterator_traitsISL_E10value_typeEPNSR_ISM_E10value_typeEPSN_NS1_7vsmem_tEENKUlT_SL_SM_SN_E_clIS8_S8_S9_S9_EESK_S10_SL_SM_SN_EUlS10_E1_NS1_11comp_targetILNS1_3genE4ELNS1_11target_archE910ELNS1_3gpuE8ELNS1_3repE0EEENS1_36merge_oddeven_config_static_selectorELNS0_4arch9wavefront6targetE1EEEvSM_: ; @_ZN7rocprim17ROCPRIM_400000_NS6detail17trampoline_kernelINS0_14default_configENS1_38merge_sort_block_merge_config_selectorIlNS0_10empty_typeEEEZZNS1_27merge_sort_block_merge_implIS3_PlPS5_mZN2at6native12_GLOBAL__N_124unique_dim_cuda_templateIlEESt5tupleIJNSA_6TensorESF_SF_EERKSF_lbbbEUlllE_EE10hipError_tT0_T1_T2_jT3_P12ihipStream_tbPNSt15iterator_traitsISL_E10value_typeEPNSR_ISM_E10value_typeEPSN_NS1_7vsmem_tEENKUlT_SL_SM_SN_E_clIS8_S8_S9_S9_EESK_S10_SL_SM_SN_EUlS10_E1_NS1_11comp_targetILNS1_3genE4ELNS1_11target_archE910ELNS1_3gpuE8ELNS1_3repE0EEENS1_36merge_oddeven_config_static_selectorELNS0_4arch9wavefront6targetE1EEEvSM_
; %bb.0:
	.section	.rodata,"a",@progbits
	.p2align	6, 0x0
	.amdhsa_kernel _ZN7rocprim17ROCPRIM_400000_NS6detail17trampoline_kernelINS0_14default_configENS1_38merge_sort_block_merge_config_selectorIlNS0_10empty_typeEEEZZNS1_27merge_sort_block_merge_implIS3_PlPS5_mZN2at6native12_GLOBAL__N_124unique_dim_cuda_templateIlEESt5tupleIJNSA_6TensorESF_SF_EERKSF_lbbbEUlllE_EE10hipError_tT0_T1_T2_jT3_P12ihipStream_tbPNSt15iterator_traitsISL_E10value_typeEPNSR_ISM_E10value_typeEPSN_NS1_7vsmem_tEENKUlT_SL_SM_SN_E_clIS8_S8_S9_S9_EESK_S10_SL_SM_SN_EUlS10_E1_NS1_11comp_targetILNS1_3genE4ELNS1_11target_archE910ELNS1_3gpuE8ELNS1_3repE0EEENS1_36merge_oddeven_config_static_selectorELNS0_4arch9wavefront6targetE1EEEvSM_
		.amdhsa_group_segment_fixed_size 0
		.amdhsa_private_segment_fixed_size 0
		.amdhsa_kernarg_size 64
		.amdhsa_user_sgpr_count 2
		.amdhsa_user_sgpr_dispatch_ptr 0
		.amdhsa_user_sgpr_queue_ptr 0
		.amdhsa_user_sgpr_kernarg_segment_ptr 1
		.amdhsa_user_sgpr_dispatch_id 0
		.amdhsa_user_sgpr_kernarg_preload_length 0
		.amdhsa_user_sgpr_kernarg_preload_offset 0
		.amdhsa_user_sgpr_private_segment_size 0
		.amdhsa_uses_dynamic_stack 0
		.amdhsa_enable_private_segment 0
		.amdhsa_system_sgpr_workgroup_id_x 1
		.amdhsa_system_sgpr_workgroup_id_y 0
		.amdhsa_system_sgpr_workgroup_id_z 0
		.amdhsa_system_sgpr_workgroup_info 0
		.amdhsa_system_vgpr_workitem_id 0
		.amdhsa_next_free_vgpr 1
		.amdhsa_next_free_sgpr 0
		.amdhsa_accum_offset 4
		.amdhsa_reserve_vcc 0
		.amdhsa_float_round_mode_32 0
		.amdhsa_float_round_mode_16_64 0
		.amdhsa_float_denorm_mode_32 3
		.amdhsa_float_denorm_mode_16_64 3
		.amdhsa_dx10_clamp 1
		.amdhsa_ieee_mode 1
		.amdhsa_fp16_overflow 0
		.amdhsa_tg_split 0
		.amdhsa_exception_fp_ieee_invalid_op 0
		.amdhsa_exception_fp_denorm_src 0
		.amdhsa_exception_fp_ieee_div_zero 0
		.amdhsa_exception_fp_ieee_overflow 0
		.amdhsa_exception_fp_ieee_underflow 0
		.amdhsa_exception_fp_ieee_inexact 0
		.amdhsa_exception_int_div_zero 0
	.end_amdhsa_kernel
	.section	.text._ZN7rocprim17ROCPRIM_400000_NS6detail17trampoline_kernelINS0_14default_configENS1_38merge_sort_block_merge_config_selectorIlNS0_10empty_typeEEEZZNS1_27merge_sort_block_merge_implIS3_PlPS5_mZN2at6native12_GLOBAL__N_124unique_dim_cuda_templateIlEESt5tupleIJNSA_6TensorESF_SF_EERKSF_lbbbEUlllE_EE10hipError_tT0_T1_T2_jT3_P12ihipStream_tbPNSt15iterator_traitsISL_E10value_typeEPNSR_ISM_E10value_typeEPSN_NS1_7vsmem_tEENKUlT_SL_SM_SN_E_clIS8_S8_S9_S9_EESK_S10_SL_SM_SN_EUlS10_E1_NS1_11comp_targetILNS1_3genE4ELNS1_11target_archE910ELNS1_3gpuE8ELNS1_3repE0EEENS1_36merge_oddeven_config_static_selectorELNS0_4arch9wavefront6targetE1EEEvSM_,"axG",@progbits,_ZN7rocprim17ROCPRIM_400000_NS6detail17trampoline_kernelINS0_14default_configENS1_38merge_sort_block_merge_config_selectorIlNS0_10empty_typeEEEZZNS1_27merge_sort_block_merge_implIS3_PlPS5_mZN2at6native12_GLOBAL__N_124unique_dim_cuda_templateIlEESt5tupleIJNSA_6TensorESF_SF_EERKSF_lbbbEUlllE_EE10hipError_tT0_T1_T2_jT3_P12ihipStream_tbPNSt15iterator_traitsISL_E10value_typeEPNSR_ISM_E10value_typeEPSN_NS1_7vsmem_tEENKUlT_SL_SM_SN_E_clIS8_S8_S9_S9_EESK_S10_SL_SM_SN_EUlS10_E1_NS1_11comp_targetILNS1_3genE4ELNS1_11target_archE910ELNS1_3gpuE8ELNS1_3repE0EEENS1_36merge_oddeven_config_static_selectorELNS0_4arch9wavefront6targetE1EEEvSM_,comdat
.Lfunc_end533:
	.size	_ZN7rocprim17ROCPRIM_400000_NS6detail17trampoline_kernelINS0_14default_configENS1_38merge_sort_block_merge_config_selectorIlNS0_10empty_typeEEEZZNS1_27merge_sort_block_merge_implIS3_PlPS5_mZN2at6native12_GLOBAL__N_124unique_dim_cuda_templateIlEESt5tupleIJNSA_6TensorESF_SF_EERKSF_lbbbEUlllE_EE10hipError_tT0_T1_T2_jT3_P12ihipStream_tbPNSt15iterator_traitsISL_E10value_typeEPNSR_ISM_E10value_typeEPSN_NS1_7vsmem_tEENKUlT_SL_SM_SN_E_clIS8_S8_S9_S9_EESK_S10_SL_SM_SN_EUlS10_E1_NS1_11comp_targetILNS1_3genE4ELNS1_11target_archE910ELNS1_3gpuE8ELNS1_3repE0EEENS1_36merge_oddeven_config_static_selectorELNS0_4arch9wavefront6targetE1EEEvSM_, .Lfunc_end533-_ZN7rocprim17ROCPRIM_400000_NS6detail17trampoline_kernelINS0_14default_configENS1_38merge_sort_block_merge_config_selectorIlNS0_10empty_typeEEEZZNS1_27merge_sort_block_merge_implIS3_PlPS5_mZN2at6native12_GLOBAL__N_124unique_dim_cuda_templateIlEESt5tupleIJNSA_6TensorESF_SF_EERKSF_lbbbEUlllE_EE10hipError_tT0_T1_T2_jT3_P12ihipStream_tbPNSt15iterator_traitsISL_E10value_typeEPNSR_ISM_E10value_typeEPSN_NS1_7vsmem_tEENKUlT_SL_SM_SN_E_clIS8_S8_S9_S9_EESK_S10_SL_SM_SN_EUlS10_E1_NS1_11comp_targetILNS1_3genE4ELNS1_11target_archE910ELNS1_3gpuE8ELNS1_3repE0EEENS1_36merge_oddeven_config_static_selectorELNS0_4arch9wavefront6targetE1EEEvSM_
                                        ; -- End function
	.set _ZN7rocprim17ROCPRIM_400000_NS6detail17trampoline_kernelINS0_14default_configENS1_38merge_sort_block_merge_config_selectorIlNS0_10empty_typeEEEZZNS1_27merge_sort_block_merge_implIS3_PlPS5_mZN2at6native12_GLOBAL__N_124unique_dim_cuda_templateIlEESt5tupleIJNSA_6TensorESF_SF_EERKSF_lbbbEUlllE_EE10hipError_tT0_T1_T2_jT3_P12ihipStream_tbPNSt15iterator_traitsISL_E10value_typeEPNSR_ISM_E10value_typeEPSN_NS1_7vsmem_tEENKUlT_SL_SM_SN_E_clIS8_S8_S9_S9_EESK_S10_SL_SM_SN_EUlS10_E1_NS1_11comp_targetILNS1_3genE4ELNS1_11target_archE910ELNS1_3gpuE8ELNS1_3repE0EEENS1_36merge_oddeven_config_static_selectorELNS0_4arch9wavefront6targetE1EEEvSM_.num_vgpr, 0
	.set _ZN7rocprim17ROCPRIM_400000_NS6detail17trampoline_kernelINS0_14default_configENS1_38merge_sort_block_merge_config_selectorIlNS0_10empty_typeEEEZZNS1_27merge_sort_block_merge_implIS3_PlPS5_mZN2at6native12_GLOBAL__N_124unique_dim_cuda_templateIlEESt5tupleIJNSA_6TensorESF_SF_EERKSF_lbbbEUlllE_EE10hipError_tT0_T1_T2_jT3_P12ihipStream_tbPNSt15iterator_traitsISL_E10value_typeEPNSR_ISM_E10value_typeEPSN_NS1_7vsmem_tEENKUlT_SL_SM_SN_E_clIS8_S8_S9_S9_EESK_S10_SL_SM_SN_EUlS10_E1_NS1_11comp_targetILNS1_3genE4ELNS1_11target_archE910ELNS1_3gpuE8ELNS1_3repE0EEENS1_36merge_oddeven_config_static_selectorELNS0_4arch9wavefront6targetE1EEEvSM_.num_agpr, 0
	.set _ZN7rocprim17ROCPRIM_400000_NS6detail17trampoline_kernelINS0_14default_configENS1_38merge_sort_block_merge_config_selectorIlNS0_10empty_typeEEEZZNS1_27merge_sort_block_merge_implIS3_PlPS5_mZN2at6native12_GLOBAL__N_124unique_dim_cuda_templateIlEESt5tupleIJNSA_6TensorESF_SF_EERKSF_lbbbEUlllE_EE10hipError_tT0_T1_T2_jT3_P12ihipStream_tbPNSt15iterator_traitsISL_E10value_typeEPNSR_ISM_E10value_typeEPSN_NS1_7vsmem_tEENKUlT_SL_SM_SN_E_clIS8_S8_S9_S9_EESK_S10_SL_SM_SN_EUlS10_E1_NS1_11comp_targetILNS1_3genE4ELNS1_11target_archE910ELNS1_3gpuE8ELNS1_3repE0EEENS1_36merge_oddeven_config_static_selectorELNS0_4arch9wavefront6targetE1EEEvSM_.numbered_sgpr, 0
	.set _ZN7rocprim17ROCPRIM_400000_NS6detail17trampoline_kernelINS0_14default_configENS1_38merge_sort_block_merge_config_selectorIlNS0_10empty_typeEEEZZNS1_27merge_sort_block_merge_implIS3_PlPS5_mZN2at6native12_GLOBAL__N_124unique_dim_cuda_templateIlEESt5tupleIJNSA_6TensorESF_SF_EERKSF_lbbbEUlllE_EE10hipError_tT0_T1_T2_jT3_P12ihipStream_tbPNSt15iterator_traitsISL_E10value_typeEPNSR_ISM_E10value_typeEPSN_NS1_7vsmem_tEENKUlT_SL_SM_SN_E_clIS8_S8_S9_S9_EESK_S10_SL_SM_SN_EUlS10_E1_NS1_11comp_targetILNS1_3genE4ELNS1_11target_archE910ELNS1_3gpuE8ELNS1_3repE0EEENS1_36merge_oddeven_config_static_selectorELNS0_4arch9wavefront6targetE1EEEvSM_.num_named_barrier, 0
	.set _ZN7rocprim17ROCPRIM_400000_NS6detail17trampoline_kernelINS0_14default_configENS1_38merge_sort_block_merge_config_selectorIlNS0_10empty_typeEEEZZNS1_27merge_sort_block_merge_implIS3_PlPS5_mZN2at6native12_GLOBAL__N_124unique_dim_cuda_templateIlEESt5tupleIJNSA_6TensorESF_SF_EERKSF_lbbbEUlllE_EE10hipError_tT0_T1_T2_jT3_P12ihipStream_tbPNSt15iterator_traitsISL_E10value_typeEPNSR_ISM_E10value_typeEPSN_NS1_7vsmem_tEENKUlT_SL_SM_SN_E_clIS8_S8_S9_S9_EESK_S10_SL_SM_SN_EUlS10_E1_NS1_11comp_targetILNS1_3genE4ELNS1_11target_archE910ELNS1_3gpuE8ELNS1_3repE0EEENS1_36merge_oddeven_config_static_selectorELNS0_4arch9wavefront6targetE1EEEvSM_.private_seg_size, 0
	.set _ZN7rocprim17ROCPRIM_400000_NS6detail17trampoline_kernelINS0_14default_configENS1_38merge_sort_block_merge_config_selectorIlNS0_10empty_typeEEEZZNS1_27merge_sort_block_merge_implIS3_PlPS5_mZN2at6native12_GLOBAL__N_124unique_dim_cuda_templateIlEESt5tupleIJNSA_6TensorESF_SF_EERKSF_lbbbEUlllE_EE10hipError_tT0_T1_T2_jT3_P12ihipStream_tbPNSt15iterator_traitsISL_E10value_typeEPNSR_ISM_E10value_typeEPSN_NS1_7vsmem_tEENKUlT_SL_SM_SN_E_clIS8_S8_S9_S9_EESK_S10_SL_SM_SN_EUlS10_E1_NS1_11comp_targetILNS1_3genE4ELNS1_11target_archE910ELNS1_3gpuE8ELNS1_3repE0EEENS1_36merge_oddeven_config_static_selectorELNS0_4arch9wavefront6targetE1EEEvSM_.uses_vcc, 0
	.set _ZN7rocprim17ROCPRIM_400000_NS6detail17trampoline_kernelINS0_14default_configENS1_38merge_sort_block_merge_config_selectorIlNS0_10empty_typeEEEZZNS1_27merge_sort_block_merge_implIS3_PlPS5_mZN2at6native12_GLOBAL__N_124unique_dim_cuda_templateIlEESt5tupleIJNSA_6TensorESF_SF_EERKSF_lbbbEUlllE_EE10hipError_tT0_T1_T2_jT3_P12ihipStream_tbPNSt15iterator_traitsISL_E10value_typeEPNSR_ISM_E10value_typeEPSN_NS1_7vsmem_tEENKUlT_SL_SM_SN_E_clIS8_S8_S9_S9_EESK_S10_SL_SM_SN_EUlS10_E1_NS1_11comp_targetILNS1_3genE4ELNS1_11target_archE910ELNS1_3gpuE8ELNS1_3repE0EEENS1_36merge_oddeven_config_static_selectorELNS0_4arch9wavefront6targetE1EEEvSM_.uses_flat_scratch, 0
	.set _ZN7rocprim17ROCPRIM_400000_NS6detail17trampoline_kernelINS0_14default_configENS1_38merge_sort_block_merge_config_selectorIlNS0_10empty_typeEEEZZNS1_27merge_sort_block_merge_implIS3_PlPS5_mZN2at6native12_GLOBAL__N_124unique_dim_cuda_templateIlEESt5tupleIJNSA_6TensorESF_SF_EERKSF_lbbbEUlllE_EE10hipError_tT0_T1_T2_jT3_P12ihipStream_tbPNSt15iterator_traitsISL_E10value_typeEPNSR_ISM_E10value_typeEPSN_NS1_7vsmem_tEENKUlT_SL_SM_SN_E_clIS8_S8_S9_S9_EESK_S10_SL_SM_SN_EUlS10_E1_NS1_11comp_targetILNS1_3genE4ELNS1_11target_archE910ELNS1_3gpuE8ELNS1_3repE0EEENS1_36merge_oddeven_config_static_selectorELNS0_4arch9wavefront6targetE1EEEvSM_.has_dyn_sized_stack, 0
	.set _ZN7rocprim17ROCPRIM_400000_NS6detail17trampoline_kernelINS0_14default_configENS1_38merge_sort_block_merge_config_selectorIlNS0_10empty_typeEEEZZNS1_27merge_sort_block_merge_implIS3_PlPS5_mZN2at6native12_GLOBAL__N_124unique_dim_cuda_templateIlEESt5tupleIJNSA_6TensorESF_SF_EERKSF_lbbbEUlllE_EE10hipError_tT0_T1_T2_jT3_P12ihipStream_tbPNSt15iterator_traitsISL_E10value_typeEPNSR_ISM_E10value_typeEPSN_NS1_7vsmem_tEENKUlT_SL_SM_SN_E_clIS8_S8_S9_S9_EESK_S10_SL_SM_SN_EUlS10_E1_NS1_11comp_targetILNS1_3genE4ELNS1_11target_archE910ELNS1_3gpuE8ELNS1_3repE0EEENS1_36merge_oddeven_config_static_selectorELNS0_4arch9wavefront6targetE1EEEvSM_.has_recursion, 0
	.set _ZN7rocprim17ROCPRIM_400000_NS6detail17trampoline_kernelINS0_14default_configENS1_38merge_sort_block_merge_config_selectorIlNS0_10empty_typeEEEZZNS1_27merge_sort_block_merge_implIS3_PlPS5_mZN2at6native12_GLOBAL__N_124unique_dim_cuda_templateIlEESt5tupleIJNSA_6TensorESF_SF_EERKSF_lbbbEUlllE_EE10hipError_tT0_T1_T2_jT3_P12ihipStream_tbPNSt15iterator_traitsISL_E10value_typeEPNSR_ISM_E10value_typeEPSN_NS1_7vsmem_tEENKUlT_SL_SM_SN_E_clIS8_S8_S9_S9_EESK_S10_SL_SM_SN_EUlS10_E1_NS1_11comp_targetILNS1_3genE4ELNS1_11target_archE910ELNS1_3gpuE8ELNS1_3repE0EEENS1_36merge_oddeven_config_static_selectorELNS0_4arch9wavefront6targetE1EEEvSM_.has_indirect_call, 0
	.section	.AMDGPU.csdata,"",@progbits
; Kernel info:
; codeLenInByte = 0
; TotalNumSgprs: 6
; NumVgprs: 0
; NumAgprs: 0
; TotalNumVgprs: 0
; ScratchSize: 0
; MemoryBound: 0
; FloatMode: 240
; IeeeMode: 1
; LDSByteSize: 0 bytes/workgroup (compile time only)
; SGPRBlocks: 0
; VGPRBlocks: 0
; NumSGPRsForWavesPerEU: 6
; NumVGPRsForWavesPerEU: 1
; AccumOffset: 4
; Occupancy: 8
; WaveLimiterHint : 0
; COMPUTE_PGM_RSRC2:SCRATCH_EN: 0
; COMPUTE_PGM_RSRC2:USER_SGPR: 2
; COMPUTE_PGM_RSRC2:TRAP_HANDLER: 0
; COMPUTE_PGM_RSRC2:TGID_X_EN: 1
; COMPUTE_PGM_RSRC2:TGID_Y_EN: 0
; COMPUTE_PGM_RSRC2:TGID_Z_EN: 0
; COMPUTE_PGM_RSRC2:TIDIG_COMP_CNT: 0
; COMPUTE_PGM_RSRC3_GFX90A:ACCUM_OFFSET: 0
; COMPUTE_PGM_RSRC3_GFX90A:TG_SPLIT: 0
	.section	.text._ZN7rocprim17ROCPRIM_400000_NS6detail17trampoline_kernelINS0_14default_configENS1_38merge_sort_block_merge_config_selectorIlNS0_10empty_typeEEEZZNS1_27merge_sort_block_merge_implIS3_PlPS5_mZN2at6native12_GLOBAL__N_124unique_dim_cuda_templateIlEESt5tupleIJNSA_6TensorESF_SF_EERKSF_lbbbEUlllE_EE10hipError_tT0_T1_T2_jT3_P12ihipStream_tbPNSt15iterator_traitsISL_E10value_typeEPNSR_ISM_E10value_typeEPSN_NS1_7vsmem_tEENKUlT_SL_SM_SN_E_clIS8_S8_S9_S9_EESK_S10_SL_SM_SN_EUlS10_E1_NS1_11comp_targetILNS1_3genE3ELNS1_11target_archE908ELNS1_3gpuE7ELNS1_3repE0EEENS1_36merge_oddeven_config_static_selectorELNS0_4arch9wavefront6targetE1EEEvSM_,"axG",@progbits,_ZN7rocprim17ROCPRIM_400000_NS6detail17trampoline_kernelINS0_14default_configENS1_38merge_sort_block_merge_config_selectorIlNS0_10empty_typeEEEZZNS1_27merge_sort_block_merge_implIS3_PlPS5_mZN2at6native12_GLOBAL__N_124unique_dim_cuda_templateIlEESt5tupleIJNSA_6TensorESF_SF_EERKSF_lbbbEUlllE_EE10hipError_tT0_T1_T2_jT3_P12ihipStream_tbPNSt15iterator_traitsISL_E10value_typeEPNSR_ISM_E10value_typeEPSN_NS1_7vsmem_tEENKUlT_SL_SM_SN_E_clIS8_S8_S9_S9_EESK_S10_SL_SM_SN_EUlS10_E1_NS1_11comp_targetILNS1_3genE3ELNS1_11target_archE908ELNS1_3gpuE7ELNS1_3repE0EEENS1_36merge_oddeven_config_static_selectorELNS0_4arch9wavefront6targetE1EEEvSM_,comdat
	.globl	_ZN7rocprim17ROCPRIM_400000_NS6detail17trampoline_kernelINS0_14default_configENS1_38merge_sort_block_merge_config_selectorIlNS0_10empty_typeEEEZZNS1_27merge_sort_block_merge_implIS3_PlPS5_mZN2at6native12_GLOBAL__N_124unique_dim_cuda_templateIlEESt5tupleIJNSA_6TensorESF_SF_EERKSF_lbbbEUlllE_EE10hipError_tT0_T1_T2_jT3_P12ihipStream_tbPNSt15iterator_traitsISL_E10value_typeEPNSR_ISM_E10value_typeEPSN_NS1_7vsmem_tEENKUlT_SL_SM_SN_E_clIS8_S8_S9_S9_EESK_S10_SL_SM_SN_EUlS10_E1_NS1_11comp_targetILNS1_3genE3ELNS1_11target_archE908ELNS1_3gpuE7ELNS1_3repE0EEENS1_36merge_oddeven_config_static_selectorELNS0_4arch9wavefront6targetE1EEEvSM_ ; -- Begin function _ZN7rocprim17ROCPRIM_400000_NS6detail17trampoline_kernelINS0_14default_configENS1_38merge_sort_block_merge_config_selectorIlNS0_10empty_typeEEEZZNS1_27merge_sort_block_merge_implIS3_PlPS5_mZN2at6native12_GLOBAL__N_124unique_dim_cuda_templateIlEESt5tupleIJNSA_6TensorESF_SF_EERKSF_lbbbEUlllE_EE10hipError_tT0_T1_T2_jT3_P12ihipStream_tbPNSt15iterator_traitsISL_E10value_typeEPNSR_ISM_E10value_typeEPSN_NS1_7vsmem_tEENKUlT_SL_SM_SN_E_clIS8_S8_S9_S9_EESK_S10_SL_SM_SN_EUlS10_E1_NS1_11comp_targetILNS1_3genE3ELNS1_11target_archE908ELNS1_3gpuE7ELNS1_3repE0EEENS1_36merge_oddeven_config_static_selectorELNS0_4arch9wavefront6targetE1EEEvSM_
	.p2align	8
	.type	_ZN7rocprim17ROCPRIM_400000_NS6detail17trampoline_kernelINS0_14default_configENS1_38merge_sort_block_merge_config_selectorIlNS0_10empty_typeEEEZZNS1_27merge_sort_block_merge_implIS3_PlPS5_mZN2at6native12_GLOBAL__N_124unique_dim_cuda_templateIlEESt5tupleIJNSA_6TensorESF_SF_EERKSF_lbbbEUlllE_EE10hipError_tT0_T1_T2_jT3_P12ihipStream_tbPNSt15iterator_traitsISL_E10value_typeEPNSR_ISM_E10value_typeEPSN_NS1_7vsmem_tEENKUlT_SL_SM_SN_E_clIS8_S8_S9_S9_EESK_S10_SL_SM_SN_EUlS10_E1_NS1_11comp_targetILNS1_3genE3ELNS1_11target_archE908ELNS1_3gpuE7ELNS1_3repE0EEENS1_36merge_oddeven_config_static_selectorELNS0_4arch9wavefront6targetE1EEEvSM_,@function
_ZN7rocprim17ROCPRIM_400000_NS6detail17trampoline_kernelINS0_14default_configENS1_38merge_sort_block_merge_config_selectorIlNS0_10empty_typeEEEZZNS1_27merge_sort_block_merge_implIS3_PlPS5_mZN2at6native12_GLOBAL__N_124unique_dim_cuda_templateIlEESt5tupleIJNSA_6TensorESF_SF_EERKSF_lbbbEUlllE_EE10hipError_tT0_T1_T2_jT3_P12ihipStream_tbPNSt15iterator_traitsISL_E10value_typeEPNSR_ISM_E10value_typeEPSN_NS1_7vsmem_tEENKUlT_SL_SM_SN_E_clIS8_S8_S9_S9_EESK_S10_SL_SM_SN_EUlS10_E1_NS1_11comp_targetILNS1_3genE3ELNS1_11target_archE908ELNS1_3gpuE7ELNS1_3repE0EEENS1_36merge_oddeven_config_static_selectorELNS0_4arch9wavefront6targetE1EEEvSM_: ; @_ZN7rocprim17ROCPRIM_400000_NS6detail17trampoline_kernelINS0_14default_configENS1_38merge_sort_block_merge_config_selectorIlNS0_10empty_typeEEEZZNS1_27merge_sort_block_merge_implIS3_PlPS5_mZN2at6native12_GLOBAL__N_124unique_dim_cuda_templateIlEESt5tupleIJNSA_6TensorESF_SF_EERKSF_lbbbEUlllE_EE10hipError_tT0_T1_T2_jT3_P12ihipStream_tbPNSt15iterator_traitsISL_E10value_typeEPNSR_ISM_E10value_typeEPSN_NS1_7vsmem_tEENKUlT_SL_SM_SN_E_clIS8_S8_S9_S9_EESK_S10_SL_SM_SN_EUlS10_E1_NS1_11comp_targetILNS1_3genE3ELNS1_11target_archE908ELNS1_3gpuE7ELNS1_3repE0EEENS1_36merge_oddeven_config_static_selectorELNS0_4arch9wavefront6targetE1EEEvSM_
; %bb.0:
	.section	.rodata,"a",@progbits
	.p2align	6, 0x0
	.amdhsa_kernel _ZN7rocprim17ROCPRIM_400000_NS6detail17trampoline_kernelINS0_14default_configENS1_38merge_sort_block_merge_config_selectorIlNS0_10empty_typeEEEZZNS1_27merge_sort_block_merge_implIS3_PlPS5_mZN2at6native12_GLOBAL__N_124unique_dim_cuda_templateIlEESt5tupleIJNSA_6TensorESF_SF_EERKSF_lbbbEUlllE_EE10hipError_tT0_T1_T2_jT3_P12ihipStream_tbPNSt15iterator_traitsISL_E10value_typeEPNSR_ISM_E10value_typeEPSN_NS1_7vsmem_tEENKUlT_SL_SM_SN_E_clIS8_S8_S9_S9_EESK_S10_SL_SM_SN_EUlS10_E1_NS1_11comp_targetILNS1_3genE3ELNS1_11target_archE908ELNS1_3gpuE7ELNS1_3repE0EEENS1_36merge_oddeven_config_static_selectorELNS0_4arch9wavefront6targetE1EEEvSM_
		.amdhsa_group_segment_fixed_size 0
		.amdhsa_private_segment_fixed_size 0
		.amdhsa_kernarg_size 64
		.amdhsa_user_sgpr_count 2
		.amdhsa_user_sgpr_dispatch_ptr 0
		.amdhsa_user_sgpr_queue_ptr 0
		.amdhsa_user_sgpr_kernarg_segment_ptr 1
		.amdhsa_user_sgpr_dispatch_id 0
		.amdhsa_user_sgpr_kernarg_preload_length 0
		.amdhsa_user_sgpr_kernarg_preload_offset 0
		.amdhsa_user_sgpr_private_segment_size 0
		.amdhsa_uses_dynamic_stack 0
		.amdhsa_enable_private_segment 0
		.amdhsa_system_sgpr_workgroup_id_x 1
		.amdhsa_system_sgpr_workgroup_id_y 0
		.amdhsa_system_sgpr_workgroup_id_z 0
		.amdhsa_system_sgpr_workgroup_info 0
		.amdhsa_system_vgpr_workitem_id 0
		.amdhsa_next_free_vgpr 1
		.amdhsa_next_free_sgpr 0
		.amdhsa_accum_offset 4
		.amdhsa_reserve_vcc 0
		.amdhsa_float_round_mode_32 0
		.amdhsa_float_round_mode_16_64 0
		.amdhsa_float_denorm_mode_32 3
		.amdhsa_float_denorm_mode_16_64 3
		.amdhsa_dx10_clamp 1
		.amdhsa_ieee_mode 1
		.amdhsa_fp16_overflow 0
		.amdhsa_tg_split 0
		.amdhsa_exception_fp_ieee_invalid_op 0
		.amdhsa_exception_fp_denorm_src 0
		.amdhsa_exception_fp_ieee_div_zero 0
		.amdhsa_exception_fp_ieee_overflow 0
		.amdhsa_exception_fp_ieee_underflow 0
		.amdhsa_exception_fp_ieee_inexact 0
		.amdhsa_exception_int_div_zero 0
	.end_amdhsa_kernel
	.section	.text._ZN7rocprim17ROCPRIM_400000_NS6detail17trampoline_kernelINS0_14default_configENS1_38merge_sort_block_merge_config_selectorIlNS0_10empty_typeEEEZZNS1_27merge_sort_block_merge_implIS3_PlPS5_mZN2at6native12_GLOBAL__N_124unique_dim_cuda_templateIlEESt5tupleIJNSA_6TensorESF_SF_EERKSF_lbbbEUlllE_EE10hipError_tT0_T1_T2_jT3_P12ihipStream_tbPNSt15iterator_traitsISL_E10value_typeEPNSR_ISM_E10value_typeEPSN_NS1_7vsmem_tEENKUlT_SL_SM_SN_E_clIS8_S8_S9_S9_EESK_S10_SL_SM_SN_EUlS10_E1_NS1_11comp_targetILNS1_3genE3ELNS1_11target_archE908ELNS1_3gpuE7ELNS1_3repE0EEENS1_36merge_oddeven_config_static_selectorELNS0_4arch9wavefront6targetE1EEEvSM_,"axG",@progbits,_ZN7rocprim17ROCPRIM_400000_NS6detail17trampoline_kernelINS0_14default_configENS1_38merge_sort_block_merge_config_selectorIlNS0_10empty_typeEEEZZNS1_27merge_sort_block_merge_implIS3_PlPS5_mZN2at6native12_GLOBAL__N_124unique_dim_cuda_templateIlEESt5tupleIJNSA_6TensorESF_SF_EERKSF_lbbbEUlllE_EE10hipError_tT0_T1_T2_jT3_P12ihipStream_tbPNSt15iterator_traitsISL_E10value_typeEPNSR_ISM_E10value_typeEPSN_NS1_7vsmem_tEENKUlT_SL_SM_SN_E_clIS8_S8_S9_S9_EESK_S10_SL_SM_SN_EUlS10_E1_NS1_11comp_targetILNS1_3genE3ELNS1_11target_archE908ELNS1_3gpuE7ELNS1_3repE0EEENS1_36merge_oddeven_config_static_selectorELNS0_4arch9wavefront6targetE1EEEvSM_,comdat
.Lfunc_end534:
	.size	_ZN7rocprim17ROCPRIM_400000_NS6detail17trampoline_kernelINS0_14default_configENS1_38merge_sort_block_merge_config_selectorIlNS0_10empty_typeEEEZZNS1_27merge_sort_block_merge_implIS3_PlPS5_mZN2at6native12_GLOBAL__N_124unique_dim_cuda_templateIlEESt5tupleIJNSA_6TensorESF_SF_EERKSF_lbbbEUlllE_EE10hipError_tT0_T1_T2_jT3_P12ihipStream_tbPNSt15iterator_traitsISL_E10value_typeEPNSR_ISM_E10value_typeEPSN_NS1_7vsmem_tEENKUlT_SL_SM_SN_E_clIS8_S8_S9_S9_EESK_S10_SL_SM_SN_EUlS10_E1_NS1_11comp_targetILNS1_3genE3ELNS1_11target_archE908ELNS1_3gpuE7ELNS1_3repE0EEENS1_36merge_oddeven_config_static_selectorELNS0_4arch9wavefront6targetE1EEEvSM_, .Lfunc_end534-_ZN7rocprim17ROCPRIM_400000_NS6detail17trampoline_kernelINS0_14default_configENS1_38merge_sort_block_merge_config_selectorIlNS0_10empty_typeEEEZZNS1_27merge_sort_block_merge_implIS3_PlPS5_mZN2at6native12_GLOBAL__N_124unique_dim_cuda_templateIlEESt5tupleIJNSA_6TensorESF_SF_EERKSF_lbbbEUlllE_EE10hipError_tT0_T1_T2_jT3_P12ihipStream_tbPNSt15iterator_traitsISL_E10value_typeEPNSR_ISM_E10value_typeEPSN_NS1_7vsmem_tEENKUlT_SL_SM_SN_E_clIS8_S8_S9_S9_EESK_S10_SL_SM_SN_EUlS10_E1_NS1_11comp_targetILNS1_3genE3ELNS1_11target_archE908ELNS1_3gpuE7ELNS1_3repE0EEENS1_36merge_oddeven_config_static_selectorELNS0_4arch9wavefront6targetE1EEEvSM_
                                        ; -- End function
	.set _ZN7rocprim17ROCPRIM_400000_NS6detail17trampoline_kernelINS0_14default_configENS1_38merge_sort_block_merge_config_selectorIlNS0_10empty_typeEEEZZNS1_27merge_sort_block_merge_implIS3_PlPS5_mZN2at6native12_GLOBAL__N_124unique_dim_cuda_templateIlEESt5tupleIJNSA_6TensorESF_SF_EERKSF_lbbbEUlllE_EE10hipError_tT0_T1_T2_jT3_P12ihipStream_tbPNSt15iterator_traitsISL_E10value_typeEPNSR_ISM_E10value_typeEPSN_NS1_7vsmem_tEENKUlT_SL_SM_SN_E_clIS8_S8_S9_S9_EESK_S10_SL_SM_SN_EUlS10_E1_NS1_11comp_targetILNS1_3genE3ELNS1_11target_archE908ELNS1_3gpuE7ELNS1_3repE0EEENS1_36merge_oddeven_config_static_selectorELNS0_4arch9wavefront6targetE1EEEvSM_.num_vgpr, 0
	.set _ZN7rocprim17ROCPRIM_400000_NS6detail17trampoline_kernelINS0_14default_configENS1_38merge_sort_block_merge_config_selectorIlNS0_10empty_typeEEEZZNS1_27merge_sort_block_merge_implIS3_PlPS5_mZN2at6native12_GLOBAL__N_124unique_dim_cuda_templateIlEESt5tupleIJNSA_6TensorESF_SF_EERKSF_lbbbEUlllE_EE10hipError_tT0_T1_T2_jT3_P12ihipStream_tbPNSt15iterator_traitsISL_E10value_typeEPNSR_ISM_E10value_typeEPSN_NS1_7vsmem_tEENKUlT_SL_SM_SN_E_clIS8_S8_S9_S9_EESK_S10_SL_SM_SN_EUlS10_E1_NS1_11comp_targetILNS1_3genE3ELNS1_11target_archE908ELNS1_3gpuE7ELNS1_3repE0EEENS1_36merge_oddeven_config_static_selectorELNS0_4arch9wavefront6targetE1EEEvSM_.num_agpr, 0
	.set _ZN7rocprim17ROCPRIM_400000_NS6detail17trampoline_kernelINS0_14default_configENS1_38merge_sort_block_merge_config_selectorIlNS0_10empty_typeEEEZZNS1_27merge_sort_block_merge_implIS3_PlPS5_mZN2at6native12_GLOBAL__N_124unique_dim_cuda_templateIlEESt5tupleIJNSA_6TensorESF_SF_EERKSF_lbbbEUlllE_EE10hipError_tT0_T1_T2_jT3_P12ihipStream_tbPNSt15iterator_traitsISL_E10value_typeEPNSR_ISM_E10value_typeEPSN_NS1_7vsmem_tEENKUlT_SL_SM_SN_E_clIS8_S8_S9_S9_EESK_S10_SL_SM_SN_EUlS10_E1_NS1_11comp_targetILNS1_3genE3ELNS1_11target_archE908ELNS1_3gpuE7ELNS1_3repE0EEENS1_36merge_oddeven_config_static_selectorELNS0_4arch9wavefront6targetE1EEEvSM_.numbered_sgpr, 0
	.set _ZN7rocprim17ROCPRIM_400000_NS6detail17trampoline_kernelINS0_14default_configENS1_38merge_sort_block_merge_config_selectorIlNS0_10empty_typeEEEZZNS1_27merge_sort_block_merge_implIS3_PlPS5_mZN2at6native12_GLOBAL__N_124unique_dim_cuda_templateIlEESt5tupleIJNSA_6TensorESF_SF_EERKSF_lbbbEUlllE_EE10hipError_tT0_T1_T2_jT3_P12ihipStream_tbPNSt15iterator_traitsISL_E10value_typeEPNSR_ISM_E10value_typeEPSN_NS1_7vsmem_tEENKUlT_SL_SM_SN_E_clIS8_S8_S9_S9_EESK_S10_SL_SM_SN_EUlS10_E1_NS1_11comp_targetILNS1_3genE3ELNS1_11target_archE908ELNS1_3gpuE7ELNS1_3repE0EEENS1_36merge_oddeven_config_static_selectorELNS0_4arch9wavefront6targetE1EEEvSM_.num_named_barrier, 0
	.set _ZN7rocprim17ROCPRIM_400000_NS6detail17trampoline_kernelINS0_14default_configENS1_38merge_sort_block_merge_config_selectorIlNS0_10empty_typeEEEZZNS1_27merge_sort_block_merge_implIS3_PlPS5_mZN2at6native12_GLOBAL__N_124unique_dim_cuda_templateIlEESt5tupleIJNSA_6TensorESF_SF_EERKSF_lbbbEUlllE_EE10hipError_tT0_T1_T2_jT3_P12ihipStream_tbPNSt15iterator_traitsISL_E10value_typeEPNSR_ISM_E10value_typeEPSN_NS1_7vsmem_tEENKUlT_SL_SM_SN_E_clIS8_S8_S9_S9_EESK_S10_SL_SM_SN_EUlS10_E1_NS1_11comp_targetILNS1_3genE3ELNS1_11target_archE908ELNS1_3gpuE7ELNS1_3repE0EEENS1_36merge_oddeven_config_static_selectorELNS0_4arch9wavefront6targetE1EEEvSM_.private_seg_size, 0
	.set _ZN7rocprim17ROCPRIM_400000_NS6detail17trampoline_kernelINS0_14default_configENS1_38merge_sort_block_merge_config_selectorIlNS0_10empty_typeEEEZZNS1_27merge_sort_block_merge_implIS3_PlPS5_mZN2at6native12_GLOBAL__N_124unique_dim_cuda_templateIlEESt5tupleIJNSA_6TensorESF_SF_EERKSF_lbbbEUlllE_EE10hipError_tT0_T1_T2_jT3_P12ihipStream_tbPNSt15iterator_traitsISL_E10value_typeEPNSR_ISM_E10value_typeEPSN_NS1_7vsmem_tEENKUlT_SL_SM_SN_E_clIS8_S8_S9_S9_EESK_S10_SL_SM_SN_EUlS10_E1_NS1_11comp_targetILNS1_3genE3ELNS1_11target_archE908ELNS1_3gpuE7ELNS1_3repE0EEENS1_36merge_oddeven_config_static_selectorELNS0_4arch9wavefront6targetE1EEEvSM_.uses_vcc, 0
	.set _ZN7rocprim17ROCPRIM_400000_NS6detail17trampoline_kernelINS0_14default_configENS1_38merge_sort_block_merge_config_selectorIlNS0_10empty_typeEEEZZNS1_27merge_sort_block_merge_implIS3_PlPS5_mZN2at6native12_GLOBAL__N_124unique_dim_cuda_templateIlEESt5tupleIJNSA_6TensorESF_SF_EERKSF_lbbbEUlllE_EE10hipError_tT0_T1_T2_jT3_P12ihipStream_tbPNSt15iterator_traitsISL_E10value_typeEPNSR_ISM_E10value_typeEPSN_NS1_7vsmem_tEENKUlT_SL_SM_SN_E_clIS8_S8_S9_S9_EESK_S10_SL_SM_SN_EUlS10_E1_NS1_11comp_targetILNS1_3genE3ELNS1_11target_archE908ELNS1_3gpuE7ELNS1_3repE0EEENS1_36merge_oddeven_config_static_selectorELNS0_4arch9wavefront6targetE1EEEvSM_.uses_flat_scratch, 0
	.set _ZN7rocprim17ROCPRIM_400000_NS6detail17trampoline_kernelINS0_14default_configENS1_38merge_sort_block_merge_config_selectorIlNS0_10empty_typeEEEZZNS1_27merge_sort_block_merge_implIS3_PlPS5_mZN2at6native12_GLOBAL__N_124unique_dim_cuda_templateIlEESt5tupleIJNSA_6TensorESF_SF_EERKSF_lbbbEUlllE_EE10hipError_tT0_T1_T2_jT3_P12ihipStream_tbPNSt15iterator_traitsISL_E10value_typeEPNSR_ISM_E10value_typeEPSN_NS1_7vsmem_tEENKUlT_SL_SM_SN_E_clIS8_S8_S9_S9_EESK_S10_SL_SM_SN_EUlS10_E1_NS1_11comp_targetILNS1_3genE3ELNS1_11target_archE908ELNS1_3gpuE7ELNS1_3repE0EEENS1_36merge_oddeven_config_static_selectorELNS0_4arch9wavefront6targetE1EEEvSM_.has_dyn_sized_stack, 0
	.set _ZN7rocprim17ROCPRIM_400000_NS6detail17trampoline_kernelINS0_14default_configENS1_38merge_sort_block_merge_config_selectorIlNS0_10empty_typeEEEZZNS1_27merge_sort_block_merge_implIS3_PlPS5_mZN2at6native12_GLOBAL__N_124unique_dim_cuda_templateIlEESt5tupleIJNSA_6TensorESF_SF_EERKSF_lbbbEUlllE_EE10hipError_tT0_T1_T2_jT3_P12ihipStream_tbPNSt15iterator_traitsISL_E10value_typeEPNSR_ISM_E10value_typeEPSN_NS1_7vsmem_tEENKUlT_SL_SM_SN_E_clIS8_S8_S9_S9_EESK_S10_SL_SM_SN_EUlS10_E1_NS1_11comp_targetILNS1_3genE3ELNS1_11target_archE908ELNS1_3gpuE7ELNS1_3repE0EEENS1_36merge_oddeven_config_static_selectorELNS0_4arch9wavefront6targetE1EEEvSM_.has_recursion, 0
	.set _ZN7rocprim17ROCPRIM_400000_NS6detail17trampoline_kernelINS0_14default_configENS1_38merge_sort_block_merge_config_selectorIlNS0_10empty_typeEEEZZNS1_27merge_sort_block_merge_implIS3_PlPS5_mZN2at6native12_GLOBAL__N_124unique_dim_cuda_templateIlEESt5tupleIJNSA_6TensorESF_SF_EERKSF_lbbbEUlllE_EE10hipError_tT0_T1_T2_jT3_P12ihipStream_tbPNSt15iterator_traitsISL_E10value_typeEPNSR_ISM_E10value_typeEPSN_NS1_7vsmem_tEENKUlT_SL_SM_SN_E_clIS8_S8_S9_S9_EESK_S10_SL_SM_SN_EUlS10_E1_NS1_11comp_targetILNS1_3genE3ELNS1_11target_archE908ELNS1_3gpuE7ELNS1_3repE0EEENS1_36merge_oddeven_config_static_selectorELNS0_4arch9wavefront6targetE1EEEvSM_.has_indirect_call, 0
	.section	.AMDGPU.csdata,"",@progbits
; Kernel info:
; codeLenInByte = 0
; TotalNumSgprs: 6
; NumVgprs: 0
; NumAgprs: 0
; TotalNumVgprs: 0
; ScratchSize: 0
; MemoryBound: 0
; FloatMode: 240
; IeeeMode: 1
; LDSByteSize: 0 bytes/workgroup (compile time only)
; SGPRBlocks: 0
; VGPRBlocks: 0
; NumSGPRsForWavesPerEU: 6
; NumVGPRsForWavesPerEU: 1
; AccumOffset: 4
; Occupancy: 8
; WaveLimiterHint : 0
; COMPUTE_PGM_RSRC2:SCRATCH_EN: 0
; COMPUTE_PGM_RSRC2:USER_SGPR: 2
; COMPUTE_PGM_RSRC2:TRAP_HANDLER: 0
; COMPUTE_PGM_RSRC2:TGID_X_EN: 1
; COMPUTE_PGM_RSRC2:TGID_Y_EN: 0
; COMPUTE_PGM_RSRC2:TGID_Z_EN: 0
; COMPUTE_PGM_RSRC2:TIDIG_COMP_CNT: 0
; COMPUTE_PGM_RSRC3_GFX90A:ACCUM_OFFSET: 0
; COMPUTE_PGM_RSRC3_GFX90A:TG_SPLIT: 0
	.section	.text._ZN7rocprim17ROCPRIM_400000_NS6detail17trampoline_kernelINS0_14default_configENS1_38merge_sort_block_merge_config_selectorIlNS0_10empty_typeEEEZZNS1_27merge_sort_block_merge_implIS3_PlPS5_mZN2at6native12_GLOBAL__N_124unique_dim_cuda_templateIlEESt5tupleIJNSA_6TensorESF_SF_EERKSF_lbbbEUlllE_EE10hipError_tT0_T1_T2_jT3_P12ihipStream_tbPNSt15iterator_traitsISL_E10value_typeEPNSR_ISM_E10value_typeEPSN_NS1_7vsmem_tEENKUlT_SL_SM_SN_E_clIS8_S8_S9_S9_EESK_S10_SL_SM_SN_EUlS10_E1_NS1_11comp_targetILNS1_3genE2ELNS1_11target_archE906ELNS1_3gpuE6ELNS1_3repE0EEENS1_36merge_oddeven_config_static_selectorELNS0_4arch9wavefront6targetE1EEEvSM_,"axG",@progbits,_ZN7rocprim17ROCPRIM_400000_NS6detail17trampoline_kernelINS0_14default_configENS1_38merge_sort_block_merge_config_selectorIlNS0_10empty_typeEEEZZNS1_27merge_sort_block_merge_implIS3_PlPS5_mZN2at6native12_GLOBAL__N_124unique_dim_cuda_templateIlEESt5tupleIJNSA_6TensorESF_SF_EERKSF_lbbbEUlllE_EE10hipError_tT0_T1_T2_jT3_P12ihipStream_tbPNSt15iterator_traitsISL_E10value_typeEPNSR_ISM_E10value_typeEPSN_NS1_7vsmem_tEENKUlT_SL_SM_SN_E_clIS8_S8_S9_S9_EESK_S10_SL_SM_SN_EUlS10_E1_NS1_11comp_targetILNS1_3genE2ELNS1_11target_archE906ELNS1_3gpuE6ELNS1_3repE0EEENS1_36merge_oddeven_config_static_selectorELNS0_4arch9wavefront6targetE1EEEvSM_,comdat
	.globl	_ZN7rocprim17ROCPRIM_400000_NS6detail17trampoline_kernelINS0_14default_configENS1_38merge_sort_block_merge_config_selectorIlNS0_10empty_typeEEEZZNS1_27merge_sort_block_merge_implIS3_PlPS5_mZN2at6native12_GLOBAL__N_124unique_dim_cuda_templateIlEESt5tupleIJNSA_6TensorESF_SF_EERKSF_lbbbEUlllE_EE10hipError_tT0_T1_T2_jT3_P12ihipStream_tbPNSt15iterator_traitsISL_E10value_typeEPNSR_ISM_E10value_typeEPSN_NS1_7vsmem_tEENKUlT_SL_SM_SN_E_clIS8_S8_S9_S9_EESK_S10_SL_SM_SN_EUlS10_E1_NS1_11comp_targetILNS1_3genE2ELNS1_11target_archE906ELNS1_3gpuE6ELNS1_3repE0EEENS1_36merge_oddeven_config_static_selectorELNS0_4arch9wavefront6targetE1EEEvSM_ ; -- Begin function _ZN7rocprim17ROCPRIM_400000_NS6detail17trampoline_kernelINS0_14default_configENS1_38merge_sort_block_merge_config_selectorIlNS0_10empty_typeEEEZZNS1_27merge_sort_block_merge_implIS3_PlPS5_mZN2at6native12_GLOBAL__N_124unique_dim_cuda_templateIlEESt5tupleIJNSA_6TensorESF_SF_EERKSF_lbbbEUlllE_EE10hipError_tT0_T1_T2_jT3_P12ihipStream_tbPNSt15iterator_traitsISL_E10value_typeEPNSR_ISM_E10value_typeEPSN_NS1_7vsmem_tEENKUlT_SL_SM_SN_E_clIS8_S8_S9_S9_EESK_S10_SL_SM_SN_EUlS10_E1_NS1_11comp_targetILNS1_3genE2ELNS1_11target_archE906ELNS1_3gpuE6ELNS1_3repE0EEENS1_36merge_oddeven_config_static_selectorELNS0_4arch9wavefront6targetE1EEEvSM_
	.p2align	8
	.type	_ZN7rocprim17ROCPRIM_400000_NS6detail17trampoline_kernelINS0_14default_configENS1_38merge_sort_block_merge_config_selectorIlNS0_10empty_typeEEEZZNS1_27merge_sort_block_merge_implIS3_PlPS5_mZN2at6native12_GLOBAL__N_124unique_dim_cuda_templateIlEESt5tupleIJNSA_6TensorESF_SF_EERKSF_lbbbEUlllE_EE10hipError_tT0_T1_T2_jT3_P12ihipStream_tbPNSt15iterator_traitsISL_E10value_typeEPNSR_ISM_E10value_typeEPSN_NS1_7vsmem_tEENKUlT_SL_SM_SN_E_clIS8_S8_S9_S9_EESK_S10_SL_SM_SN_EUlS10_E1_NS1_11comp_targetILNS1_3genE2ELNS1_11target_archE906ELNS1_3gpuE6ELNS1_3repE0EEENS1_36merge_oddeven_config_static_selectorELNS0_4arch9wavefront6targetE1EEEvSM_,@function
_ZN7rocprim17ROCPRIM_400000_NS6detail17trampoline_kernelINS0_14default_configENS1_38merge_sort_block_merge_config_selectorIlNS0_10empty_typeEEEZZNS1_27merge_sort_block_merge_implIS3_PlPS5_mZN2at6native12_GLOBAL__N_124unique_dim_cuda_templateIlEESt5tupleIJNSA_6TensorESF_SF_EERKSF_lbbbEUlllE_EE10hipError_tT0_T1_T2_jT3_P12ihipStream_tbPNSt15iterator_traitsISL_E10value_typeEPNSR_ISM_E10value_typeEPSN_NS1_7vsmem_tEENKUlT_SL_SM_SN_E_clIS8_S8_S9_S9_EESK_S10_SL_SM_SN_EUlS10_E1_NS1_11comp_targetILNS1_3genE2ELNS1_11target_archE906ELNS1_3gpuE6ELNS1_3repE0EEENS1_36merge_oddeven_config_static_selectorELNS0_4arch9wavefront6targetE1EEEvSM_: ; @_ZN7rocprim17ROCPRIM_400000_NS6detail17trampoline_kernelINS0_14default_configENS1_38merge_sort_block_merge_config_selectorIlNS0_10empty_typeEEEZZNS1_27merge_sort_block_merge_implIS3_PlPS5_mZN2at6native12_GLOBAL__N_124unique_dim_cuda_templateIlEESt5tupleIJNSA_6TensorESF_SF_EERKSF_lbbbEUlllE_EE10hipError_tT0_T1_T2_jT3_P12ihipStream_tbPNSt15iterator_traitsISL_E10value_typeEPNSR_ISM_E10value_typeEPSN_NS1_7vsmem_tEENKUlT_SL_SM_SN_E_clIS8_S8_S9_S9_EESK_S10_SL_SM_SN_EUlS10_E1_NS1_11comp_targetILNS1_3genE2ELNS1_11target_archE906ELNS1_3gpuE6ELNS1_3repE0EEENS1_36merge_oddeven_config_static_selectorELNS0_4arch9wavefront6targetE1EEEvSM_
; %bb.0:
	.section	.rodata,"a",@progbits
	.p2align	6, 0x0
	.amdhsa_kernel _ZN7rocprim17ROCPRIM_400000_NS6detail17trampoline_kernelINS0_14default_configENS1_38merge_sort_block_merge_config_selectorIlNS0_10empty_typeEEEZZNS1_27merge_sort_block_merge_implIS3_PlPS5_mZN2at6native12_GLOBAL__N_124unique_dim_cuda_templateIlEESt5tupleIJNSA_6TensorESF_SF_EERKSF_lbbbEUlllE_EE10hipError_tT0_T1_T2_jT3_P12ihipStream_tbPNSt15iterator_traitsISL_E10value_typeEPNSR_ISM_E10value_typeEPSN_NS1_7vsmem_tEENKUlT_SL_SM_SN_E_clIS8_S8_S9_S9_EESK_S10_SL_SM_SN_EUlS10_E1_NS1_11comp_targetILNS1_3genE2ELNS1_11target_archE906ELNS1_3gpuE6ELNS1_3repE0EEENS1_36merge_oddeven_config_static_selectorELNS0_4arch9wavefront6targetE1EEEvSM_
		.amdhsa_group_segment_fixed_size 0
		.amdhsa_private_segment_fixed_size 0
		.amdhsa_kernarg_size 64
		.amdhsa_user_sgpr_count 2
		.amdhsa_user_sgpr_dispatch_ptr 0
		.amdhsa_user_sgpr_queue_ptr 0
		.amdhsa_user_sgpr_kernarg_segment_ptr 1
		.amdhsa_user_sgpr_dispatch_id 0
		.amdhsa_user_sgpr_kernarg_preload_length 0
		.amdhsa_user_sgpr_kernarg_preload_offset 0
		.amdhsa_user_sgpr_private_segment_size 0
		.amdhsa_uses_dynamic_stack 0
		.amdhsa_enable_private_segment 0
		.amdhsa_system_sgpr_workgroup_id_x 1
		.amdhsa_system_sgpr_workgroup_id_y 0
		.amdhsa_system_sgpr_workgroup_id_z 0
		.amdhsa_system_sgpr_workgroup_info 0
		.amdhsa_system_vgpr_workitem_id 0
		.amdhsa_next_free_vgpr 1
		.amdhsa_next_free_sgpr 0
		.amdhsa_accum_offset 4
		.amdhsa_reserve_vcc 0
		.amdhsa_float_round_mode_32 0
		.amdhsa_float_round_mode_16_64 0
		.amdhsa_float_denorm_mode_32 3
		.amdhsa_float_denorm_mode_16_64 3
		.amdhsa_dx10_clamp 1
		.amdhsa_ieee_mode 1
		.amdhsa_fp16_overflow 0
		.amdhsa_tg_split 0
		.amdhsa_exception_fp_ieee_invalid_op 0
		.amdhsa_exception_fp_denorm_src 0
		.amdhsa_exception_fp_ieee_div_zero 0
		.amdhsa_exception_fp_ieee_overflow 0
		.amdhsa_exception_fp_ieee_underflow 0
		.amdhsa_exception_fp_ieee_inexact 0
		.amdhsa_exception_int_div_zero 0
	.end_amdhsa_kernel
	.section	.text._ZN7rocprim17ROCPRIM_400000_NS6detail17trampoline_kernelINS0_14default_configENS1_38merge_sort_block_merge_config_selectorIlNS0_10empty_typeEEEZZNS1_27merge_sort_block_merge_implIS3_PlPS5_mZN2at6native12_GLOBAL__N_124unique_dim_cuda_templateIlEESt5tupleIJNSA_6TensorESF_SF_EERKSF_lbbbEUlllE_EE10hipError_tT0_T1_T2_jT3_P12ihipStream_tbPNSt15iterator_traitsISL_E10value_typeEPNSR_ISM_E10value_typeEPSN_NS1_7vsmem_tEENKUlT_SL_SM_SN_E_clIS8_S8_S9_S9_EESK_S10_SL_SM_SN_EUlS10_E1_NS1_11comp_targetILNS1_3genE2ELNS1_11target_archE906ELNS1_3gpuE6ELNS1_3repE0EEENS1_36merge_oddeven_config_static_selectorELNS0_4arch9wavefront6targetE1EEEvSM_,"axG",@progbits,_ZN7rocprim17ROCPRIM_400000_NS6detail17trampoline_kernelINS0_14default_configENS1_38merge_sort_block_merge_config_selectorIlNS0_10empty_typeEEEZZNS1_27merge_sort_block_merge_implIS3_PlPS5_mZN2at6native12_GLOBAL__N_124unique_dim_cuda_templateIlEESt5tupleIJNSA_6TensorESF_SF_EERKSF_lbbbEUlllE_EE10hipError_tT0_T1_T2_jT3_P12ihipStream_tbPNSt15iterator_traitsISL_E10value_typeEPNSR_ISM_E10value_typeEPSN_NS1_7vsmem_tEENKUlT_SL_SM_SN_E_clIS8_S8_S9_S9_EESK_S10_SL_SM_SN_EUlS10_E1_NS1_11comp_targetILNS1_3genE2ELNS1_11target_archE906ELNS1_3gpuE6ELNS1_3repE0EEENS1_36merge_oddeven_config_static_selectorELNS0_4arch9wavefront6targetE1EEEvSM_,comdat
.Lfunc_end535:
	.size	_ZN7rocprim17ROCPRIM_400000_NS6detail17trampoline_kernelINS0_14default_configENS1_38merge_sort_block_merge_config_selectorIlNS0_10empty_typeEEEZZNS1_27merge_sort_block_merge_implIS3_PlPS5_mZN2at6native12_GLOBAL__N_124unique_dim_cuda_templateIlEESt5tupleIJNSA_6TensorESF_SF_EERKSF_lbbbEUlllE_EE10hipError_tT0_T1_T2_jT3_P12ihipStream_tbPNSt15iterator_traitsISL_E10value_typeEPNSR_ISM_E10value_typeEPSN_NS1_7vsmem_tEENKUlT_SL_SM_SN_E_clIS8_S8_S9_S9_EESK_S10_SL_SM_SN_EUlS10_E1_NS1_11comp_targetILNS1_3genE2ELNS1_11target_archE906ELNS1_3gpuE6ELNS1_3repE0EEENS1_36merge_oddeven_config_static_selectorELNS0_4arch9wavefront6targetE1EEEvSM_, .Lfunc_end535-_ZN7rocprim17ROCPRIM_400000_NS6detail17trampoline_kernelINS0_14default_configENS1_38merge_sort_block_merge_config_selectorIlNS0_10empty_typeEEEZZNS1_27merge_sort_block_merge_implIS3_PlPS5_mZN2at6native12_GLOBAL__N_124unique_dim_cuda_templateIlEESt5tupleIJNSA_6TensorESF_SF_EERKSF_lbbbEUlllE_EE10hipError_tT0_T1_T2_jT3_P12ihipStream_tbPNSt15iterator_traitsISL_E10value_typeEPNSR_ISM_E10value_typeEPSN_NS1_7vsmem_tEENKUlT_SL_SM_SN_E_clIS8_S8_S9_S9_EESK_S10_SL_SM_SN_EUlS10_E1_NS1_11comp_targetILNS1_3genE2ELNS1_11target_archE906ELNS1_3gpuE6ELNS1_3repE0EEENS1_36merge_oddeven_config_static_selectorELNS0_4arch9wavefront6targetE1EEEvSM_
                                        ; -- End function
	.set _ZN7rocprim17ROCPRIM_400000_NS6detail17trampoline_kernelINS0_14default_configENS1_38merge_sort_block_merge_config_selectorIlNS0_10empty_typeEEEZZNS1_27merge_sort_block_merge_implIS3_PlPS5_mZN2at6native12_GLOBAL__N_124unique_dim_cuda_templateIlEESt5tupleIJNSA_6TensorESF_SF_EERKSF_lbbbEUlllE_EE10hipError_tT0_T1_T2_jT3_P12ihipStream_tbPNSt15iterator_traitsISL_E10value_typeEPNSR_ISM_E10value_typeEPSN_NS1_7vsmem_tEENKUlT_SL_SM_SN_E_clIS8_S8_S9_S9_EESK_S10_SL_SM_SN_EUlS10_E1_NS1_11comp_targetILNS1_3genE2ELNS1_11target_archE906ELNS1_3gpuE6ELNS1_3repE0EEENS1_36merge_oddeven_config_static_selectorELNS0_4arch9wavefront6targetE1EEEvSM_.num_vgpr, 0
	.set _ZN7rocprim17ROCPRIM_400000_NS6detail17trampoline_kernelINS0_14default_configENS1_38merge_sort_block_merge_config_selectorIlNS0_10empty_typeEEEZZNS1_27merge_sort_block_merge_implIS3_PlPS5_mZN2at6native12_GLOBAL__N_124unique_dim_cuda_templateIlEESt5tupleIJNSA_6TensorESF_SF_EERKSF_lbbbEUlllE_EE10hipError_tT0_T1_T2_jT3_P12ihipStream_tbPNSt15iterator_traitsISL_E10value_typeEPNSR_ISM_E10value_typeEPSN_NS1_7vsmem_tEENKUlT_SL_SM_SN_E_clIS8_S8_S9_S9_EESK_S10_SL_SM_SN_EUlS10_E1_NS1_11comp_targetILNS1_3genE2ELNS1_11target_archE906ELNS1_3gpuE6ELNS1_3repE0EEENS1_36merge_oddeven_config_static_selectorELNS0_4arch9wavefront6targetE1EEEvSM_.num_agpr, 0
	.set _ZN7rocprim17ROCPRIM_400000_NS6detail17trampoline_kernelINS0_14default_configENS1_38merge_sort_block_merge_config_selectorIlNS0_10empty_typeEEEZZNS1_27merge_sort_block_merge_implIS3_PlPS5_mZN2at6native12_GLOBAL__N_124unique_dim_cuda_templateIlEESt5tupleIJNSA_6TensorESF_SF_EERKSF_lbbbEUlllE_EE10hipError_tT0_T1_T2_jT3_P12ihipStream_tbPNSt15iterator_traitsISL_E10value_typeEPNSR_ISM_E10value_typeEPSN_NS1_7vsmem_tEENKUlT_SL_SM_SN_E_clIS8_S8_S9_S9_EESK_S10_SL_SM_SN_EUlS10_E1_NS1_11comp_targetILNS1_3genE2ELNS1_11target_archE906ELNS1_3gpuE6ELNS1_3repE0EEENS1_36merge_oddeven_config_static_selectorELNS0_4arch9wavefront6targetE1EEEvSM_.numbered_sgpr, 0
	.set _ZN7rocprim17ROCPRIM_400000_NS6detail17trampoline_kernelINS0_14default_configENS1_38merge_sort_block_merge_config_selectorIlNS0_10empty_typeEEEZZNS1_27merge_sort_block_merge_implIS3_PlPS5_mZN2at6native12_GLOBAL__N_124unique_dim_cuda_templateIlEESt5tupleIJNSA_6TensorESF_SF_EERKSF_lbbbEUlllE_EE10hipError_tT0_T1_T2_jT3_P12ihipStream_tbPNSt15iterator_traitsISL_E10value_typeEPNSR_ISM_E10value_typeEPSN_NS1_7vsmem_tEENKUlT_SL_SM_SN_E_clIS8_S8_S9_S9_EESK_S10_SL_SM_SN_EUlS10_E1_NS1_11comp_targetILNS1_3genE2ELNS1_11target_archE906ELNS1_3gpuE6ELNS1_3repE0EEENS1_36merge_oddeven_config_static_selectorELNS0_4arch9wavefront6targetE1EEEvSM_.num_named_barrier, 0
	.set _ZN7rocprim17ROCPRIM_400000_NS6detail17trampoline_kernelINS0_14default_configENS1_38merge_sort_block_merge_config_selectorIlNS0_10empty_typeEEEZZNS1_27merge_sort_block_merge_implIS3_PlPS5_mZN2at6native12_GLOBAL__N_124unique_dim_cuda_templateIlEESt5tupleIJNSA_6TensorESF_SF_EERKSF_lbbbEUlllE_EE10hipError_tT0_T1_T2_jT3_P12ihipStream_tbPNSt15iterator_traitsISL_E10value_typeEPNSR_ISM_E10value_typeEPSN_NS1_7vsmem_tEENKUlT_SL_SM_SN_E_clIS8_S8_S9_S9_EESK_S10_SL_SM_SN_EUlS10_E1_NS1_11comp_targetILNS1_3genE2ELNS1_11target_archE906ELNS1_3gpuE6ELNS1_3repE0EEENS1_36merge_oddeven_config_static_selectorELNS0_4arch9wavefront6targetE1EEEvSM_.private_seg_size, 0
	.set _ZN7rocprim17ROCPRIM_400000_NS6detail17trampoline_kernelINS0_14default_configENS1_38merge_sort_block_merge_config_selectorIlNS0_10empty_typeEEEZZNS1_27merge_sort_block_merge_implIS3_PlPS5_mZN2at6native12_GLOBAL__N_124unique_dim_cuda_templateIlEESt5tupleIJNSA_6TensorESF_SF_EERKSF_lbbbEUlllE_EE10hipError_tT0_T1_T2_jT3_P12ihipStream_tbPNSt15iterator_traitsISL_E10value_typeEPNSR_ISM_E10value_typeEPSN_NS1_7vsmem_tEENKUlT_SL_SM_SN_E_clIS8_S8_S9_S9_EESK_S10_SL_SM_SN_EUlS10_E1_NS1_11comp_targetILNS1_3genE2ELNS1_11target_archE906ELNS1_3gpuE6ELNS1_3repE0EEENS1_36merge_oddeven_config_static_selectorELNS0_4arch9wavefront6targetE1EEEvSM_.uses_vcc, 0
	.set _ZN7rocprim17ROCPRIM_400000_NS6detail17trampoline_kernelINS0_14default_configENS1_38merge_sort_block_merge_config_selectorIlNS0_10empty_typeEEEZZNS1_27merge_sort_block_merge_implIS3_PlPS5_mZN2at6native12_GLOBAL__N_124unique_dim_cuda_templateIlEESt5tupleIJNSA_6TensorESF_SF_EERKSF_lbbbEUlllE_EE10hipError_tT0_T1_T2_jT3_P12ihipStream_tbPNSt15iterator_traitsISL_E10value_typeEPNSR_ISM_E10value_typeEPSN_NS1_7vsmem_tEENKUlT_SL_SM_SN_E_clIS8_S8_S9_S9_EESK_S10_SL_SM_SN_EUlS10_E1_NS1_11comp_targetILNS1_3genE2ELNS1_11target_archE906ELNS1_3gpuE6ELNS1_3repE0EEENS1_36merge_oddeven_config_static_selectorELNS0_4arch9wavefront6targetE1EEEvSM_.uses_flat_scratch, 0
	.set _ZN7rocprim17ROCPRIM_400000_NS6detail17trampoline_kernelINS0_14default_configENS1_38merge_sort_block_merge_config_selectorIlNS0_10empty_typeEEEZZNS1_27merge_sort_block_merge_implIS3_PlPS5_mZN2at6native12_GLOBAL__N_124unique_dim_cuda_templateIlEESt5tupleIJNSA_6TensorESF_SF_EERKSF_lbbbEUlllE_EE10hipError_tT0_T1_T2_jT3_P12ihipStream_tbPNSt15iterator_traitsISL_E10value_typeEPNSR_ISM_E10value_typeEPSN_NS1_7vsmem_tEENKUlT_SL_SM_SN_E_clIS8_S8_S9_S9_EESK_S10_SL_SM_SN_EUlS10_E1_NS1_11comp_targetILNS1_3genE2ELNS1_11target_archE906ELNS1_3gpuE6ELNS1_3repE0EEENS1_36merge_oddeven_config_static_selectorELNS0_4arch9wavefront6targetE1EEEvSM_.has_dyn_sized_stack, 0
	.set _ZN7rocprim17ROCPRIM_400000_NS6detail17trampoline_kernelINS0_14default_configENS1_38merge_sort_block_merge_config_selectorIlNS0_10empty_typeEEEZZNS1_27merge_sort_block_merge_implIS3_PlPS5_mZN2at6native12_GLOBAL__N_124unique_dim_cuda_templateIlEESt5tupleIJNSA_6TensorESF_SF_EERKSF_lbbbEUlllE_EE10hipError_tT0_T1_T2_jT3_P12ihipStream_tbPNSt15iterator_traitsISL_E10value_typeEPNSR_ISM_E10value_typeEPSN_NS1_7vsmem_tEENKUlT_SL_SM_SN_E_clIS8_S8_S9_S9_EESK_S10_SL_SM_SN_EUlS10_E1_NS1_11comp_targetILNS1_3genE2ELNS1_11target_archE906ELNS1_3gpuE6ELNS1_3repE0EEENS1_36merge_oddeven_config_static_selectorELNS0_4arch9wavefront6targetE1EEEvSM_.has_recursion, 0
	.set _ZN7rocprim17ROCPRIM_400000_NS6detail17trampoline_kernelINS0_14default_configENS1_38merge_sort_block_merge_config_selectorIlNS0_10empty_typeEEEZZNS1_27merge_sort_block_merge_implIS3_PlPS5_mZN2at6native12_GLOBAL__N_124unique_dim_cuda_templateIlEESt5tupleIJNSA_6TensorESF_SF_EERKSF_lbbbEUlllE_EE10hipError_tT0_T1_T2_jT3_P12ihipStream_tbPNSt15iterator_traitsISL_E10value_typeEPNSR_ISM_E10value_typeEPSN_NS1_7vsmem_tEENKUlT_SL_SM_SN_E_clIS8_S8_S9_S9_EESK_S10_SL_SM_SN_EUlS10_E1_NS1_11comp_targetILNS1_3genE2ELNS1_11target_archE906ELNS1_3gpuE6ELNS1_3repE0EEENS1_36merge_oddeven_config_static_selectorELNS0_4arch9wavefront6targetE1EEEvSM_.has_indirect_call, 0
	.section	.AMDGPU.csdata,"",@progbits
; Kernel info:
; codeLenInByte = 0
; TotalNumSgprs: 6
; NumVgprs: 0
; NumAgprs: 0
; TotalNumVgprs: 0
; ScratchSize: 0
; MemoryBound: 0
; FloatMode: 240
; IeeeMode: 1
; LDSByteSize: 0 bytes/workgroup (compile time only)
; SGPRBlocks: 0
; VGPRBlocks: 0
; NumSGPRsForWavesPerEU: 6
; NumVGPRsForWavesPerEU: 1
; AccumOffset: 4
; Occupancy: 8
; WaveLimiterHint : 0
; COMPUTE_PGM_RSRC2:SCRATCH_EN: 0
; COMPUTE_PGM_RSRC2:USER_SGPR: 2
; COMPUTE_PGM_RSRC2:TRAP_HANDLER: 0
; COMPUTE_PGM_RSRC2:TGID_X_EN: 1
; COMPUTE_PGM_RSRC2:TGID_Y_EN: 0
; COMPUTE_PGM_RSRC2:TGID_Z_EN: 0
; COMPUTE_PGM_RSRC2:TIDIG_COMP_CNT: 0
; COMPUTE_PGM_RSRC3_GFX90A:ACCUM_OFFSET: 0
; COMPUTE_PGM_RSRC3_GFX90A:TG_SPLIT: 0
	.section	.text._ZN7rocprim17ROCPRIM_400000_NS6detail17trampoline_kernelINS0_14default_configENS1_38merge_sort_block_merge_config_selectorIlNS0_10empty_typeEEEZZNS1_27merge_sort_block_merge_implIS3_PlPS5_mZN2at6native12_GLOBAL__N_124unique_dim_cuda_templateIlEESt5tupleIJNSA_6TensorESF_SF_EERKSF_lbbbEUlllE_EE10hipError_tT0_T1_T2_jT3_P12ihipStream_tbPNSt15iterator_traitsISL_E10value_typeEPNSR_ISM_E10value_typeEPSN_NS1_7vsmem_tEENKUlT_SL_SM_SN_E_clIS8_S8_S9_S9_EESK_S10_SL_SM_SN_EUlS10_E1_NS1_11comp_targetILNS1_3genE9ELNS1_11target_archE1100ELNS1_3gpuE3ELNS1_3repE0EEENS1_36merge_oddeven_config_static_selectorELNS0_4arch9wavefront6targetE1EEEvSM_,"axG",@progbits,_ZN7rocprim17ROCPRIM_400000_NS6detail17trampoline_kernelINS0_14default_configENS1_38merge_sort_block_merge_config_selectorIlNS0_10empty_typeEEEZZNS1_27merge_sort_block_merge_implIS3_PlPS5_mZN2at6native12_GLOBAL__N_124unique_dim_cuda_templateIlEESt5tupleIJNSA_6TensorESF_SF_EERKSF_lbbbEUlllE_EE10hipError_tT0_T1_T2_jT3_P12ihipStream_tbPNSt15iterator_traitsISL_E10value_typeEPNSR_ISM_E10value_typeEPSN_NS1_7vsmem_tEENKUlT_SL_SM_SN_E_clIS8_S8_S9_S9_EESK_S10_SL_SM_SN_EUlS10_E1_NS1_11comp_targetILNS1_3genE9ELNS1_11target_archE1100ELNS1_3gpuE3ELNS1_3repE0EEENS1_36merge_oddeven_config_static_selectorELNS0_4arch9wavefront6targetE1EEEvSM_,comdat
	.globl	_ZN7rocprim17ROCPRIM_400000_NS6detail17trampoline_kernelINS0_14default_configENS1_38merge_sort_block_merge_config_selectorIlNS0_10empty_typeEEEZZNS1_27merge_sort_block_merge_implIS3_PlPS5_mZN2at6native12_GLOBAL__N_124unique_dim_cuda_templateIlEESt5tupleIJNSA_6TensorESF_SF_EERKSF_lbbbEUlllE_EE10hipError_tT0_T1_T2_jT3_P12ihipStream_tbPNSt15iterator_traitsISL_E10value_typeEPNSR_ISM_E10value_typeEPSN_NS1_7vsmem_tEENKUlT_SL_SM_SN_E_clIS8_S8_S9_S9_EESK_S10_SL_SM_SN_EUlS10_E1_NS1_11comp_targetILNS1_3genE9ELNS1_11target_archE1100ELNS1_3gpuE3ELNS1_3repE0EEENS1_36merge_oddeven_config_static_selectorELNS0_4arch9wavefront6targetE1EEEvSM_ ; -- Begin function _ZN7rocprim17ROCPRIM_400000_NS6detail17trampoline_kernelINS0_14default_configENS1_38merge_sort_block_merge_config_selectorIlNS0_10empty_typeEEEZZNS1_27merge_sort_block_merge_implIS3_PlPS5_mZN2at6native12_GLOBAL__N_124unique_dim_cuda_templateIlEESt5tupleIJNSA_6TensorESF_SF_EERKSF_lbbbEUlllE_EE10hipError_tT0_T1_T2_jT3_P12ihipStream_tbPNSt15iterator_traitsISL_E10value_typeEPNSR_ISM_E10value_typeEPSN_NS1_7vsmem_tEENKUlT_SL_SM_SN_E_clIS8_S8_S9_S9_EESK_S10_SL_SM_SN_EUlS10_E1_NS1_11comp_targetILNS1_3genE9ELNS1_11target_archE1100ELNS1_3gpuE3ELNS1_3repE0EEENS1_36merge_oddeven_config_static_selectorELNS0_4arch9wavefront6targetE1EEEvSM_
	.p2align	8
	.type	_ZN7rocprim17ROCPRIM_400000_NS6detail17trampoline_kernelINS0_14default_configENS1_38merge_sort_block_merge_config_selectorIlNS0_10empty_typeEEEZZNS1_27merge_sort_block_merge_implIS3_PlPS5_mZN2at6native12_GLOBAL__N_124unique_dim_cuda_templateIlEESt5tupleIJNSA_6TensorESF_SF_EERKSF_lbbbEUlllE_EE10hipError_tT0_T1_T2_jT3_P12ihipStream_tbPNSt15iterator_traitsISL_E10value_typeEPNSR_ISM_E10value_typeEPSN_NS1_7vsmem_tEENKUlT_SL_SM_SN_E_clIS8_S8_S9_S9_EESK_S10_SL_SM_SN_EUlS10_E1_NS1_11comp_targetILNS1_3genE9ELNS1_11target_archE1100ELNS1_3gpuE3ELNS1_3repE0EEENS1_36merge_oddeven_config_static_selectorELNS0_4arch9wavefront6targetE1EEEvSM_,@function
_ZN7rocprim17ROCPRIM_400000_NS6detail17trampoline_kernelINS0_14default_configENS1_38merge_sort_block_merge_config_selectorIlNS0_10empty_typeEEEZZNS1_27merge_sort_block_merge_implIS3_PlPS5_mZN2at6native12_GLOBAL__N_124unique_dim_cuda_templateIlEESt5tupleIJNSA_6TensorESF_SF_EERKSF_lbbbEUlllE_EE10hipError_tT0_T1_T2_jT3_P12ihipStream_tbPNSt15iterator_traitsISL_E10value_typeEPNSR_ISM_E10value_typeEPSN_NS1_7vsmem_tEENKUlT_SL_SM_SN_E_clIS8_S8_S9_S9_EESK_S10_SL_SM_SN_EUlS10_E1_NS1_11comp_targetILNS1_3genE9ELNS1_11target_archE1100ELNS1_3gpuE3ELNS1_3repE0EEENS1_36merge_oddeven_config_static_selectorELNS0_4arch9wavefront6targetE1EEEvSM_: ; @_ZN7rocprim17ROCPRIM_400000_NS6detail17trampoline_kernelINS0_14default_configENS1_38merge_sort_block_merge_config_selectorIlNS0_10empty_typeEEEZZNS1_27merge_sort_block_merge_implIS3_PlPS5_mZN2at6native12_GLOBAL__N_124unique_dim_cuda_templateIlEESt5tupleIJNSA_6TensorESF_SF_EERKSF_lbbbEUlllE_EE10hipError_tT0_T1_T2_jT3_P12ihipStream_tbPNSt15iterator_traitsISL_E10value_typeEPNSR_ISM_E10value_typeEPSN_NS1_7vsmem_tEENKUlT_SL_SM_SN_E_clIS8_S8_S9_S9_EESK_S10_SL_SM_SN_EUlS10_E1_NS1_11comp_targetILNS1_3genE9ELNS1_11target_archE1100ELNS1_3gpuE3ELNS1_3repE0EEENS1_36merge_oddeven_config_static_selectorELNS0_4arch9wavefront6targetE1EEEvSM_
; %bb.0:
	.section	.rodata,"a",@progbits
	.p2align	6, 0x0
	.amdhsa_kernel _ZN7rocprim17ROCPRIM_400000_NS6detail17trampoline_kernelINS0_14default_configENS1_38merge_sort_block_merge_config_selectorIlNS0_10empty_typeEEEZZNS1_27merge_sort_block_merge_implIS3_PlPS5_mZN2at6native12_GLOBAL__N_124unique_dim_cuda_templateIlEESt5tupleIJNSA_6TensorESF_SF_EERKSF_lbbbEUlllE_EE10hipError_tT0_T1_T2_jT3_P12ihipStream_tbPNSt15iterator_traitsISL_E10value_typeEPNSR_ISM_E10value_typeEPSN_NS1_7vsmem_tEENKUlT_SL_SM_SN_E_clIS8_S8_S9_S9_EESK_S10_SL_SM_SN_EUlS10_E1_NS1_11comp_targetILNS1_3genE9ELNS1_11target_archE1100ELNS1_3gpuE3ELNS1_3repE0EEENS1_36merge_oddeven_config_static_selectorELNS0_4arch9wavefront6targetE1EEEvSM_
		.amdhsa_group_segment_fixed_size 0
		.amdhsa_private_segment_fixed_size 0
		.amdhsa_kernarg_size 64
		.amdhsa_user_sgpr_count 2
		.amdhsa_user_sgpr_dispatch_ptr 0
		.amdhsa_user_sgpr_queue_ptr 0
		.amdhsa_user_sgpr_kernarg_segment_ptr 1
		.amdhsa_user_sgpr_dispatch_id 0
		.amdhsa_user_sgpr_kernarg_preload_length 0
		.amdhsa_user_sgpr_kernarg_preload_offset 0
		.amdhsa_user_sgpr_private_segment_size 0
		.amdhsa_uses_dynamic_stack 0
		.amdhsa_enable_private_segment 0
		.amdhsa_system_sgpr_workgroup_id_x 1
		.amdhsa_system_sgpr_workgroup_id_y 0
		.amdhsa_system_sgpr_workgroup_id_z 0
		.amdhsa_system_sgpr_workgroup_info 0
		.amdhsa_system_vgpr_workitem_id 0
		.amdhsa_next_free_vgpr 1
		.amdhsa_next_free_sgpr 0
		.amdhsa_accum_offset 4
		.amdhsa_reserve_vcc 0
		.amdhsa_float_round_mode_32 0
		.amdhsa_float_round_mode_16_64 0
		.amdhsa_float_denorm_mode_32 3
		.amdhsa_float_denorm_mode_16_64 3
		.amdhsa_dx10_clamp 1
		.amdhsa_ieee_mode 1
		.amdhsa_fp16_overflow 0
		.amdhsa_tg_split 0
		.amdhsa_exception_fp_ieee_invalid_op 0
		.amdhsa_exception_fp_denorm_src 0
		.amdhsa_exception_fp_ieee_div_zero 0
		.amdhsa_exception_fp_ieee_overflow 0
		.amdhsa_exception_fp_ieee_underflow 0
		.amdhsa_exception_fp_ieee_inexact 0
		.amdhsa_exception_int_div_zero 0
	.end_amdhsa_kernel
	.section	.text._ZN7rocprim17ROCPRIM_400000_NS6detail17trampoline_kernelINS0_14default_configENS1_38merge_sort_block_merge_config_selectorIlNS0_10empty_typeEEEZZNS1_27merge_sort_block_merge_implIS3_PlPS5_mZN2at6native12_GLOBAL__N_124unique_dim_cuda_templateIlEESt5tupleIJNSA_6TensorESF_SF_EERKSF_lbbbEUlllE_EE10hipError_tT0_T1_T2_jT3_P12ihipStream_tbPNSt15iterator_traitsISL_E10value_typeEPNSR_ISM_E10value_typeEPSN_NS1_7vsmem_tEENKUlT_SL_SM_SN_E_clIS8_S8_S9_S9_EESK_S10_SL_SM_SN_EUlS10_E1_NS1_11comp_targetILNS1_3genE9ELNS1_11target_archE1100ELNS1_3gpuE3ELNS1_3repE0EEENS1_36merge_oddeven_config_static_selectorELNS0_4arch9wavefront6targetE1EEEvSM_,"axG",@progbits,_ZN7rocprim17ROCPRIM_400000_NS6detail17trampoline_kernelINS0_14default_configENS1_38merge_sort_block_merge_config_selectorIlNS0_10empty_typeEEEZZNS1_27merge_sort_block_merge_implIS3_PlPS5_mZN2at6native12_GLOBAL__N_124unique_dim_cuda_templateIlEESt5tupleIJNSA_6TensorESF_SF_EERKSF_lbbbEUlllE_EE10hipError_tT0_T1_T2_jT3_P12ihipStream_tbPNSt15iterator_traitsISL_E10value_typeEPNSR_ISM_E10value_typeEPSN_NS1_7vsmem_tEENKUlT_SL_SM_SN_E_clIS8_S8_S9_S9_EESK_S10_SL_SM_SN_EUlS10_E1_NS1_11comp_targetILNS1_3genE9ELNS1_11target_archE1100ELNS1_3gpuE3ELNS1_3repE0EEENS1_36merge_oddeven_config_static_selectorELNS0_4arch9wavefront6targetE1EEEvSM_,comdat
.Lfunc_end536:
	.size	_ZN7rocprim17ROCPRIM_400000_NS6detail17trampoline_kernelINS0_14default_configENS1_38merge_sort_block_merge_config_selectorIlNS0_10empty_typeEEEZZNS1_27merge_sort_block_merge_implIS3_PlPS5_mZN2at6native12_GLOBAL__N_124unique_dim_cuda_templateIlEESt5tupleIJNSA_6TensorESF_SF_EERKSF_lbbbEUlllE_EE10hipError_tT0_T1_T2_jT3_P12ihipStream_tbPNSt15iterator_traitsISL_E10value_typeEPNSR_ISM_E10value_typeEPSN_NS1_7vsmem_tEENKUlT_SL_SM_SN_E_clIS8_S8_S9_S9_EESK_S10_SL_SM_SN_EUlS10_E1_NS1_11comp_targetILNS1_3genE9ELNS1_11target_archE1100ELNS1_3gpuE3ELNS1_3repE0EEENS1_36merge_oddeven_config_static_selectorELNS0_4arch9wavefront6targetE1EEEvSM_, .Lfunc_end536-_ZN7rocprim17ROCPRIM_400000_NS6detail17trampoline_kernelINS0_14default_configENS1_38merge_sort_block_merge_config_selectorIlNS0_10empty_typeEEEZZNS1_27merge_sort_block_merge_implIS3_PlPS5_mZN2at6native12_GLOBAL__N_124unique_dim_cuda_templateIlEESt5tupleIJNSA_6TensorESF_SF_EERKSF_lbbbEUlllE_EE10hipError_tT0_T1_T2_jT3_P12ihipStream_tbPNSt15iterator_traitsISL_E10value_typeEPNSR_ISM_E10value_typeEPSN_NS1_7vsmem_tEENKUlT_SL_SM_SN_E_clIS8_S8_S9_S9_EESK_S10_SL_SM_SN_EUlS10_E1_NS1_11comp_targetILNS1_3genE9ELNS1_11target_archE1100ELNS1_3gpuE3ELNS1_3repE0EEENS1_36merge_oddeven_config_static_selectorELNS0_4arch9wavefront6targetE1EEEvSM_
                                        ; -- End function
	.set _ZN7rocprim17ROCPRIM_400000_NS6detail17trampoline_kernelINS0_14default_configENS1_38merge_sort_block_merge_config_selectorIlNS0_10empty_typeEEEZZNS1_27merge_sort_block_merge_implIS3_PlPS5_mZN2at6native12_GLOBAL__N_124unique_dim_cuda_templateIlEESt5tupleIJNSA_6TensorESF_SF_EERKSF_lbbbEUlllE_EE10hipError_tT0_T1_T2_jT3_P12ihipStream_tbPNSt15iterator_traitsISL_E10value_typeEPNSR_ISM_E10value_typeEPSN_NS1_7vsmem_tEENKUlT_SL_SM_SN_E_clIS8_S8_S9_S9_EESK_S10_SL_SM_SN_EUlS10_E1_NS1_11comp_targetILNS1_3genE9ELNS1_11target_archE1100ELNS1_3gpuE3ELNS1_3repE0EEENS1_36merge_oddeven_config_static_selectorELNS0_4arch9wavefront6targetE1EEEvSM_.num_vgpr, 0
	.set _ZN7rocprim17ROCPRIM_400000_NS6detail17trampoline_kernelINS0_14default_configENS1_38merge_sort_block_merge_config_selectorIlNS0_10empty_typeEEEZZNS1_27merge_sort_block_merge_implIS3_PlPS5_mZN2at6native12_GLOBAL__N_124unique_dim_cuda_templateIlEESt5tupleIJNSA_6TensorESF_SF_EERKSF_lbbbEUlllE_EE10hipError_tT0_T1_T2_jT3_P12ihipStream_tbPNSt15iterator_traitsISL_E10value_typeEPNSR_ISM_E10value_typeEPSN_NS1_7vsmem_tEENKUlT_SL_SM_SN_E_clIS8_S8_S9_S9_EESK_S10_SL_SM_SN_EUlS10_E1_NS1_11comp_targetILNS1_3genE9ELNS1_11target_archE1100ELNS1_3gpuE3ELNS1_3repE0EEENS1_36merge_oddeven_config_static_selectorELNS0_4arch9wavefront6targetE1EEEvSM_.num_agpr, 0
	.set _ZN7rocprim17ROCPRIM_400000_NS6detail17trampoline_kernelINS0_14default_configENS1_38merge_sort_block_merge_config_selectorIlNS0_10empty_typeEEEZZNS1_27merge_sort_block_merge_implIS3_PlPS5_mZN2at6native12_GLOBAL__N_124unique_dim_cuda_templateIlEESt5tupleIJNSA_6TensorESF_SF_EERKSF_lbbbEUlllE_EE10hipError_tT0_T1_T2_jT3_P12ihipStream_tbPNSt15iterator_traitsISL_E10value_typeEPNSR_ISM_E10value_typeEPSN_NS1_7vsmem_tEENKUlT_SL_SM_SN_E_clIS8_S8_S9_S9_EESK_S10_SL_SM_SN_EUlS10_E1_NS1_11comp_targetILNS1_3genE9ELNS1_11target_archE1100ELNS1_3gpuE3ELNS1_3repE0EEENS1_36merge_oddeven_config_static_selectorELNS0_4arch9wavefront6targetE1EEEvSM_.numbered_sgpr, 0
	.set _ZN7rocprim17ROCPRIM_400000_NS6detail17trampoline_kernelINS0_14default_configENS1_38merge_sort_block_merge_config_selectorIlNS0_10empty_typeEEEZZNS1_27merge_sort_block_merge_implIS3_PlPS5_mZN2at6native12_GLOBAL__N_124unique_dim_cuda_templateIlEESt5tupleIJNSA_6TensorESF_SF_EERKSF_lbbbEUlllE_EE10hipError_tT0_T1_T2_jT3_P12ihipStream_tbPNSt15iterator_traitsISL_E10value_typeEPNSR_ISM_E10value_typeEPSN_NS1_7vsmem_tEENKUlT_SL_SM_SN_E_clIS8_S8_S9_S9_EESK_S10_SL_SM_SN_EUlS10_E1_NS1_11comp_targetILNS1_3genE9ELNS1_11target_archE1100ELNS1_3gpuE3ELNS1_3repE0EEENS1_36merge_oddeven_config_static_selectorELNS0_4arch9wavefront6targetE1EEEvSM_.num_named_barrier, 0
	.set _ZN7rocprim17ROCPRIM_400000_NS6detail17trampoline_kernelINS0_14default_configENS1_38merge_sort_block_merge_config_selectorIlNS0_10empty_typeEEEZZNS1_27merge_sort_block_merge_implIS3_PlPS5_mZN2at6native12_GLOBAL__N_124unique_dim_cuda_templateIlEESt5tupleIJNSA_6TensorESF_SF_EERKSF_lbbbEUlllE_EE10hipError_tT0_T1_T2_jT3_P12ihipStream_tbPNSt15iterator_traitsISL_E10value_typeEPNSR_ISM_E10value_typeEPSN_NS1_7vsmem_tEENKUlT_SL_SM_SN_E_clIS8_S8_S9_S9_EESK_S10_SL_SM_SN_EUlS10_E1_NS1_11comp_targetILNS1_3genE9ELNS1_11target_archE1100ELNS1_3gpuE3ELNS1_3repE0EEENS1_36merge_oddeven_config_static_selectorELNS0_4arch9wavefront6targetE1EEEvSM_.private_seg_size, 0
	.set _ZN7rocprim17ROCPRIM_400000_NS6detail17trampoline_kernelINS0_14default_configENS1_38merge_sort_block_merge_config_selectorIlNS0_10empty_typeEEEZZNS1_27merge_sort_block_merge_implIS3_PlPS5_mZN2at6native12_GLOBAL__N_124unique_dim_cuda_templateIlEESt5tupleIJNSA_6TensorESF_SF_EERKSF_lbbbEUlllE_EE10hipError_tT0_T1_T2_jT3_P12ihipStream_tbPNSt15iterator_traitsISL_E10value_typeEPNSR_ISM_E10value_typeEPSN_NS1_7vsmem_tEENKUlT_SL_SM_SN_E_clIS8_S8_S9_S9_EESK_S10_SL_SM_SN_EUlS10_E1_NS1_11comp_targetILNS1_3genE9ELNS1_11target_archE1100ELNS1_3gpuE3ELNS1_3repE0EEENS1_36merge_oddeven_config_static_selectorELNS0_4arch9wavefront6targetE1EEEvSM_.uses_vcc, 0
	.set _ZN7rocprim17ROCPRIM_400000_NS6detail17trampoline_kernelINS0_14default_configENS1_38merge_sort_block_merge_config_selectorIlNS0_10empty_typeEEEZZNS1_27merge_sort_block_merge_implIS3_PlPS5_mZN2at6native12_GLOBAL__N_124unique_dim_cuda_templateIlEESt5tupleIJNSA_6TensorESF_SF_EERKSF_lbbbEUlllE_EE10hipError_tT0_T1_T2_jT3_P12ihipStream_tbPNSt15iterator_traitsISL_E10value_typeEPNSR_ISM_E10value_typeEPSN_NS1_7vsmem_tEENKUlT_SL_SM_SN_E_clIS8_S8_S9_S9_EESK_S10_SL_SM_SN_EUlS10_E1_NS1_11comp_targetILNS1_3genE9ELNS1_11target_archE1100ELNS1_3gpuE3ELNS1_3repE0EEENS1_36merge_oddeven_config_static_selectorELNS0_4arch9wavefront6targetE1EEEvSM_.uses_flat_scratch, 0
	.set _ZN7rocprim17ROCPRIM_400000_NS6detail17trampoline_kernelINS0_14default_configENS1_38merge_sort_block_merge_config_selectorIlNS0_10empty_typeEEEZZNS1_27merge_sort_block_merge_implIS3_PlPS5_mZN2at6native12_GLOBAL__N_124unique_dim_cuda_templateIlEESt5tupleIJNSA_6TensorESF_SF_EERKSF_lbbbEUlllE_EE10hipError_tT0_T1_T2_jT3_P12ihipStream_tbPNSt15iterator_traitsISL_E10value_typeEPNSR_ISM_E10value_typeEPSN_NS1_7vsmem_tEENKUlT_SL_SM_SN_E_clIS8_S8_S9_S9_EESK_S10_SL_SM_SN_EUlS10_E1_NS1_11comp_targetILNS1_3genE9ELNS1_11target_archE1100ELNS1_3gpuE3ELNS1_3repE0EEENS1_36merge_oddeven_config_static_selectorELNS0_4arch9wavefront6targetE1EEEvSM_.has_dyn_sized_stack, 0
	.set _ZN7rocprim17ROCPRIM_400000_NS6detail17trampoline_kernelINS0_14default_configENS1_38merge_sort_block_merge_config_selectorIlNS0_10empty_typeEEEZZNS1_27merge_sort_block_merge_implIS3_PlPS5_mZN2at6native12_GLOBAL__N_124unique_dim_cuda_templateIlEESt5tupleIJNSA_6TensorESF_SF_EERKSF_lbbbEUlllE_EE10hipError_tT0_T1_T2_jT3_P12ihipStream_tbPNSt15iterator_traitsISL_E10value_typeEPNSR_ISM_E10value_typeEPSN_NS1_7vsmem_tEENKUlT_SL_SM_SN_E_clIS8_S8_S9_S9_EESK_S10_SL_SM_SN_EUlS10_E1_NS1_11comp_targetILNS1_3genE9ELNS1_11target_archE1100ELNS1_3gpuE3ELNS1_3repE0EEENS1_36merge_oddeven_config_static_selectorELNS0_4arch9wavefront6targetE1EEEvSM_.has_recursion, 0
	.set _ZN7rocprim17ROCPRIM_400000_NS6detail17trampoline_kernelINS0_14default_configENS1_38merge_sort_block_merge_config_selectorIlNS0_10empty_typeEEEZZNS1_27merge_sort_block_merge_implIS3_PlPS5_mZN2at6native12_GLOBAL__N_124unique_dim_cuda_templateIlEESt5tupleIJNSA_6TensorESF_SF_EERKSF_lbbbEUlllE_EE10hipError_tT0_T1_T2_jT3_P12ihipStream_tbPNSt15iterator_traitsISL_E10value_typeEPNSR_ISM_E10value_typeEPSN_NS1_7vsmem_tEENKUlT_SL_SM_SN_E_clIS8_S8_S9_S9_EESK_S10_SL_SM_SN_EUlS10_E1_NS1_11comp_targetILNS1_3genE9ELNS1_11target_archE1100ELNS1_3gpuE3ELNS1_3repE0EEENS1_36merge_oddeven_config_static_selectorELNS0_4arch9wavefront6targetE1EEEvSM_.has_indirect_call, 0
	.section	.AMDGPU.csdata,"",@progbits
; Kernel info:
; codeLenInByte = 0
; TotalNumSgprs: 6
; NumVgprs: 0
; NumAgprs: 0
; TotalNumVgprs: 0
; ScratchSize: 0
; MemoryBound: 0
; FloatMode: 240
; IeeeMode: 1
; LDSByteSize: 0 bytes/workgroup (compile time only)
; SGPRBlocks: 0
; VGPRBlocks: 0
; NumSGPRsForWavesPerEU: 6
; NumVGPRsForWavesPerEU: 1
; AccumOffset: 4
; Occupancy: 8
; WaveLimiterHint : 0
; COMPUTE_PGM_RSRC2:SCRATCH_EN: 0
; COMPUTE_PGM_RSRC2:USER_SGPR: 2
; COMPUTE_PGM_RSRC2:TRAP_HANDLER: 0
; COMPUTE_PGM_RSRC2:TGID_X_EN: 1
; COMPUTE_PGM_RSRC2:TGID_Y_EN: 0
; COMPUTE_PGM_RSRC2:TGID_Z_EN: 0
; COMPUTE_PGM_RSRC2:TIDIG_COMP_CNT: 0
; COMPUTE_PGM_RSRC3_GFX90A:ACCUM_OFFSET: 0
; COMPUTE_PGM_RSRC3_GFX90A:TG_SPLIT: 0
	.section	.text._ZN7rocprim17ROCPRIM_400000_NS6detail17trampoline_kernelINS0_14default_configENS1_38merge_sort_block_merge_config_selectorIlNS0_10empty_typeEEEZZNS1_27merge_sort_block_merge_implIS3_PlPS5_mZN2at6native12_GLOBAL__N_124unique_dim_cuda_templateIlEESt5tupleIJNSA_6TensorESF_SF_EERKSF_lbbbEUlllE_EE10hipError_tT0_T1_T2_jT3_P12ihipStream_tbPNSt15iterator_traitsISL_E10value_typeEPNSR_ISM_E10value_typeEPSN_NS1_7vsmem_tEENKUlT_SL_SM_SN_E_clIS8_S8_S9_S9_EESK_S10_SL_SM_SN_EUlS10_E1_NS1_11comp_targetILNS1_3genE8ELNS1_11target_archE1030ELNS1_3gpuE2ELNS1_3repE0EEENS1_36merge_oddeven_config_static_selectorELNS0_4arch9wavefront6targetE1EEEvSM_,"axG",@progbits,_ZN7rocprim17ROCPRIM_400000_NS6detail17trampoline_kernelINS0_14default_configENS1_38merge_sort_block_merge_config_selectorIlNS0_10empty_typeEEEZZNS1_27merge_sort_block_merge_implIS3_PlPS5_mZN2at6native12_GLOBAL__N_124unique_dim_cuda_templateIlEESt5tupleIJNSA_6TensorESF_SF_EERKSF_lbbbEUlllE_EE10hipError_tT0_T1_T2_jT3_P12ihipStream_tbPNSt15iterator_traitsISL_E10value_typeEPNSR_ISM_E10value_typeEPSN_NS1_7vsmem_tEENKUlT_SL_SM_SN_E_clIS8_S8_S9_S9_EESK_S10_SL_SM_SN_EUlS10_E1_NS1_11comp_targetILNS1_3genE8ELNS1_11target_archE1030ELNS1_3gpuE2ELNS1_3repE0EEENS1_36merge_oddeven_config_static_selectorELNS0_4arch9wavefront6targetE1EEEvSM_,comdat
	.globl	_ZN7rocprim17ROCPRIM_400000_NS6detail17trampoline_kernelINS0_14default_configENS1_38merge_sort_block_merge_config_selectorIlNS0_10empty_typeEEEZZNS1_27merge_sort_block_merge_implIS3_PlPS5_mZN2at6native12_GLOBAL__N_124unique_dim_cuda_templateIlEESt5tupleIJNSA_6TensorESF_SF_EERKSF_lbbbEUlllE_EE10hipError_tT0_T1_T2_jT3_P12ihipStream_tbPNSt15iterator_traitsISL_E10value_typeEPNSR_ISM_E10value_typeEPSN_NS1_7vsmem_tEENKUlT_SL_SM_SN_E_clIS8_S8_S9_S9_EESK_S10_SL_SM_SN_EUlS10_E1_NS1_11comp_targetILNS1_3genE8ELNS1_11target_archE1030ELNS1_3gpuE2ELNS1_3repE0EEENS1_36merge_oddeven_config_static_selectorELNS0_4arch9wavefront6targetE1EEEvSM_ ; -- Begin function _ZN7rocprim17ROCPRIM_400000_NS6detail17trampoline_kernelINS0_14default_configENS1_38merge_sort_block_merge_config_selectorIlNS0_10empty_typeEEEZZNS1_27merge_sort_block_merge_implIS3_PlPS5_mZN2at6native12_GLOBAL__N_124unique_dim_cuda_templateIlEESt5tupleIJNSA_6TensorESF_SF_EERKSF_lbbbEUlllE_EE10hipError_tT0_T1_T2_jT3_P12ihipStream_tbPNSt15iterator_traitsISL_E10value_typeEPNSR_ISM_E10value_typeEPSN_NS1_7vsmem_tEENKUlT_SL_SM_SN_E_clIS8_S8_S9_S9_EESK_S10_SL_SM_SN_EUlS10_E1_NS1_11comp_targetILNS1_3genE8ELNS1_11target_archE1030ELNS1_3gpuE2ELNS1_3repE0EEENS1_36merge_oddeven_config_static_selectorELNS0_4arch9wavefront6targetE1EEEvSM_
	.p2align	8
	.type	_ZN7rocprim17ROCPRIM_400000_NS6detail17trampoline_kernelINS0_14default_configENS1_38merge_sort_block_merge_config_selectorIlNS0_10empty_typeEEEZZNS1_27merge_sort_block_merge_implIS3_PlPS5_mZN2at6native12_GLOBAL__N_124unique_dim_cuda_templateIlEESt5tupleIJNSA_6TensorESF_SF_EERKSF_lbbbEUlllE_EE10hipError_tT0_T1_T2_jT3_P12ihipStream_tbPNSt15iterator_traitsISL_E10value_typeEPNSR_ISM_E10value_typeEPSN_NS1_7vsmem_tEENKUlT_SL_SM_SN_E_clIS8_S8_S9_S9_EESK_S10_SL_SM_SN_EUlS10_E1_NS1_11comp_targetILNS1_3genE8ELNS1_11target_archE1030ELNS1_3gpuE2ELNS1_3repE0EEENS1_36merge_oddeven_config_static_selectorELNS0_4arch9wavefront6targetE1EEEvSM_,@function
_ZN7rocprim17ROCPRIM_400000_NS6detail17trampoline_kernelINS0_14default_configENS1_38merge_sort_block_merge_config_selectorIlNS0_10empty_typeEEEZZNS1_27merge_sort_block_merge_implIS3_PlPS5_mZN2at6native12_GLOBAL__N_124unique_dim_cuda_templateIlEESt5tupleIJNSA_6TensorESF_SF_EERKSF_lbbbEUlllE_EE10hipError_tT0_T1_T2_jT3_P12ihipStream_tbPNSt15iterator_traitsISL_E10value_typeEPNSR_ISM_E10value_typeEPSN_NS1_7vsmem_tEENKUlT_SL_SM_SN_E_clIS8_S8_S9_S9_EESK_S10_SL_SM_SN_EUlS10_E1_NS1_11comp_targetILNS1_3genE8ELNS1_11target_archE1030ELNS1_3gpuE2ELNS1_3repE0EEENS1_36merge_oddeven_config_static_selectorELNS0_4arch9wavefront6targetE1EEEvSM_: ; @_ZN7rocprim17ROCPRIM_400000_NS6detail17trampoline_kernelINS0_14default_configENS1_38merge_sort_block_merge_config_selectorIlNS0_10empty_typeEEEZZNS1_27merge_sort_block_merge_implIS3_PlPS5_mZN2at6native12_GLOBAL__N_124unique_dim_cuda_templateIlEESt5tupleIJNSA_6TensorESF_SF_EERKSF_lbbbEUlllE_EE10hipError_tT0_T1_T2_jT3_P12ihipStream_tbPNSt15iterator_traitsISL_E10value_typeEPNSR_ISM_E10value_typeEPSN_NS1_7vsmem_tEENKUlT_SL_SM_SN_E_clIS8_S8_S9_S9_EESK_S10_SL_SM_SN_EUlS10_E1_NS1_11comp_targetILNS1_3genE8ELNS1_11target_archE1030ELNS1_3gpuE2ELNS1_3repE0EEENS1_36merge_oddeven_config_static_selectorELNS0_4arch9wavefront6targetE1EEEvSM_
; %bb.0:
	.section	.rodata,"a",@progbits
	.p2align	6, 0x0
	.amdhsa_kernel _ZN7rocprim17ROCPRIM_400000_NS6detail17trampoline_kernelINS0_14default_configENS1_38merge_sort_block_merge_config_selectorIlNS0_10empty_typeEEEZZNS1_27merge_sort_block_merge_implIS3_PlPS5_mZN2at6native12_GLOBAL__N_124unique_dim_cuda_templateIlEESt5tupleIJNSA_6TensorESF_SF_EERKSF_lbbbEUlllE_EE10hipError_tT0_T1_T2_jT3_P12ihipStream_tbPNSt15iterator_traitsISL_E10value_typeEPNSR_ISM_E10value_typeEPSN_NS1_7vsmem_tEENKUlT_SL_SM_SN_E_clIS8_S8_S9_S9_EESK_S10_SL_SM_SN_EUlS10_E1_NS1_11comp_targetILNS1_3genE8ELNS1_11target_archE1030ELNS1_3gpuE2ELNS1_3repE0EEENS1_36merge_oddeven_config_static_selectorELNS0_4arch9wavefront6targetE1EEEvSM_
		.amdhsa_group_segment_fixed_size 0
		.amdhsa_private_segment_fixed_size 0
		.amdhsa_kernarg_size 64
		.amdhsa_user_sgpr_count 2
		.amdhsa_user_sgpr_dispatch_ptr 0
		.amdhsa_user_sgpr_queue_ptr 0
		.amdhsa_user_sgpr_kernarg_segment_ptr 1
		.amdhsa_user_sgpr_dispatch_id 0
		.amdhsa_user_sgpr_kernarg_preload_length 0
		.amdhsa_user_sgpr_kernarg_preload_offset 0
		.amdhsa_user_sgpr_private_segment_size 0
		.amdhsa_uses_dynamic_stack 0
		.amdhsa_enable_private_segment 0
		.amdhsa_system_sgpr_workgroup_id_x 1
		.amdhsa_system_sgpr_workgroup_id_y 0
		.amdhsa_system_sgpr_workgroup_id_z 0
		.amdhsa_system_sgpr_workgroup_info 0
		.amdhsa_system_vgpr_workitem_id 0
		.amdhsa_next_free_vgpr 1
		.amdhsa_next_free_sgpr 0
		.amdhsa_accum_offset 4
		.amdhsa_reserve_vcc 0
		.amdhsa_float_round_mode_32 0
		.amdhsa_float_round_mode_16_64 0
		.amdhsa_float_denorm_mode_32 3
		.amdhsa_float_denorm_mode_16_64 3
		.amdhsa_dx10_clamp 1
		.amdhsa_ieee_mode 1
		.amdhsa_fp16_overflow 0
		.amdhsa_tg_split 0
		.amdhsa_exception_fp_ieee_invalid_op 0
		.amdhsa_exception_fp_denorm_src 0
		.amdhsa_exception_fp_ieee_div_zero 0
		.amdhsa_exception_fp_ieee_overflow 0
		.amdhsa_exception_fp_ieee_underflow 0
		.amdhsa_exception_fp_ieee_inexact 0
		.amdhsa_exception_int_div_zero 0
	.end_amdhsa_kernel
	.section	.text._ZN7rocprim17ROCPRIM_400000_NS6detail17trampoline_kernelINS0_14default_configENS1_38merge_sort_block_merge_config_selectorIlNS0_10empty_typeEEEZZNS1_27merge_sort_block_merge_implIS3_PlPS5_mZN2at6native12_GLOBAL__N_124unique_dim_cuda_templateIlEESt5tupleIJNSA_6TensorESF_SF_EERKSF_lbbbEUlllE_EE10hipError_tT0_T1_T2_jT3_P12ihipStream_tbPNSt15iterator_traitsISL_E10value_typeEPNSR_ISM_E10value_typeEPSN_NS1_7vsmem_tEENKUlT_SL_SM_SN_E_clIS8_S8_S9_S9_EESK_S10_SL_SM_SN_EUlS10_E1_NS1_11comp_targetILNS1_3genE8ELNS1_11target_archE1030ELNS1_3gpuE2ELNS1_3repE0EEENS1_36merge_oddeven_config_static_selectorELNS0_4arch9wavefront6targetE1EEEvSM_,"axG",@progbits,_ZN7rocprim17ROCPRIM_400000_NS6detail17trampoline_kernelINS0_14default_configENS1_38merge_sort_block_merge_config_selectorIlNS0_10empty_typeEEEZZNS1_27merge_sort_block_merge_implIS3_PlPS5_mZN2at6native12_GLOBAL__N_124unique_dim_cuda_templateIlEESt5tupleIJNSA_6TensorESF_SF_EERKSF_lbbbEUlllE_EE10hipError_tT0_T1_T2_jT3_P12ihipStream_tbPNSt15iterator_traitsISL_E10value_typeEPNSR_ISM_E10value_typeEPSN_NS1_7vsmem_tEENKUlT_SL_SM_SN_E_clIS8_S8_S9_S9_EESK_S10_SL_SM_SN_EUlS10_E1_NS1_11comp_targetILNS1_3genE8ELNS1_11target_archE1030ELNS1_3gpuE2ELNS1_3repE0EEENS1_36merge_oddeven_config_static_selectorELNS0_4arch9wavefront6targetE1EEEvSM_,comdat
.Lfunc_end537:
	.size	_ZN7rocprim17ROCPRIM_400000_NS6detail17trampoline_kernelINS0_14default_configENS1_38merge_sort_block_merge_config_selectorIlNS0_10empty_typeEEEZZNS1_27merge_sort_block_merge_implIS3_PlPS5_mZN2at6native12_GLOBAL__N_124unique_dim_cuda_templateIlEESt5tupleIJNSA_6TensorESF_SF_EERKSF_lbbbEUlllE_EE10hipError_tT0_T1_T2_jT3_P12ihipStream_tbPNSt15iterator_traitsISL_E10value_typeEPNSR_ISM_E10value_typeEPSN_NS1_7vsmem_tEENKUlT_SL_SM_SN_E_clIS8_S8_S9_S9_EESK_S10_SL_SM_SN_EUlS10_E1_NS1_11comp_targetILNS1_3genE8ELNS1_11target_archE1030ELNS1_3gpuE2ELNS1_3repE0EEENS1_36merge_oddeven_config_static_selectorELNS0_4arch9wavefront6targetE1EEEvSM_, .Lfunc_end537-_ZN7rocprim17ROCPRIM_400000_NS6detail17trampoline_kernelINS0_14default_configENS1_38merge_sort_block_merge_config_selectorIlNS0_10empty_typeEEEZZNS1_27merge_sort_block_merge_implIS3_PlPS5_mZN2at6native12_GLOBAL__N_124unique_dim_cuda_templateIlEESt5tupleIJNSA_6TensorESF_SF_EERKSF_lbbbEUlllE_EE10hipError_tT0_T1_T2_jT3_P12ihipStream_tbPNSt15iterator_traitsISL_E10value_typeEPNSR_ISM_E10value_typeEPSN_NS1_7vsmem_tEENKUlT_SL_SM_SN_E_clIS8_S8_S9_S9_EESK_S10_SL_SM_SN_EUlS10_E1_NS1_11comp_targetILNS1_3genE8ELNS1_11target_archE1030ELNS1_3gpuE2ELNS1_3repE0EEENS1_36merge_oddeven_config_static_selectorELNS0_4arch9wavefront6targetE1EEEvSM_
                                        ; -- End function
	.set _ZN7rocprim17ROCPRIM_400000_NS6detail17trampoline_kernelINS0_14default_configENS1_38merge_sort_block_merge_config_selectorIlNS0_10empty_typeEEEZZNS1_27merge_sort_block_merge_implIS3_PlPS5_mZN2at6native12_GLOBAL__N_124unique_dim_cuda_templateIlEESt5tupleIJNSA_6TensorESF_SF_EERKSF_lbbbEUlllE_EE10hipError_tT0_T1_T2_jT3_P12ihipStream_tbPNSt15iterator_traitsISL_E10value_typeEPNSR_ISM_E10value_typeEPSN_NS1_7vsmem_tEENKUlT_SL_SM_SN_E_clIS8_S8_S9_S9_EESK_S10_SL_SM_SN_EUlS10_E1_NS1_11comp_targetILNS1_3genE8ELNS1_11target_archE1030ELNS1_3gpuE2ELNS1_3repE0EEENS1_36merge_oddeven_config_static_selectorELNS0_4arch9wavefront6targetE1EEEvSM_.num_vgpr, 0
	.set _ZN7rocprim17ROCPRIM_400000_NS6detail17trampoline_kernelINS0_14default_configENS1_38merge_sort_block_merge_config_selectorIlNS0_10empty_typeEEEZZNS1_27merge_sort_block_merge_implIS3_PlPS5_mZN2at6native12_GLOBAL__N_124unique_dim_cuda_templateIlEESt5tupleIJNSA_6TensorESF_SF_EERKSF_lbbbEUlllE_EE10hipError_tT0_T1_T2_jT3_P12ihipStream_tbPNSt15iterator_traitsISL_E10value_typeEPNSR_ISM_E10value_typeEPSN_NS1_7vsmem_tEENKUlT_SL_SM_SN_E_clIS8_S8_S9_S9_EESK_S10_SL_SM_SN_EUlS10_E1_NS1_11comp_targetILNS1_3genE8ELNS1_11target_archE1030ELNS1_3gpuE2ELNS1_3repE0EEENS1_36merge_oddeven_config_static_selectorELNS0_4arch9wavefront6targetE1EEEvSM_.num_agpr, 0
	.set _ZN7rocprim17ROCPRIM_400000_NS6detail17trampoline_kernelINS0_14default_configENS1_38merge_sort_block_merge_config_selectorIlNS0_10empty_typeEEEZZNS1_27merge_sort_block_merge_implIS3_PlPS5_mZN2at6native12_GLOBAL__N_124unique_dim_cuda_templateIlEESt5tupleIJNSA_6TensorESF_SF_EERKSF_lbbbEUlllE_EE10hipError_tT0_T1_T2_jT3_P12ihipStream_tbPNSt15iterator_traitsISL_E10value_typeEPNSR_ISM_E10value_typeEPSN_NS1_7vsmem_tEENKUlT_SL_SM_SN_E_clIS8_S8_S9_S9_EESK_S10_SL_SM_SN_EUlS10_E1_NS1_11comp_targetILNS1_3genE8ELNS1_11target_archE1030ELNS1_3gpuE2ELNS1_3repE0EEENS1_36merge_oddeven_config_static_selectorELNS0_4arch9wavefront6targetE1EEEvSM_.numbered_sgpr, 0
	.set _ZN7rocprim17ROCPRIM_400000_NS6detail17trampoline_kernelINS0_14default_configENS1_38merge_sort_block_merge_config_selectorIlNS0_10empty_typeEEEZZNS1_27merge_sort_block_merge_implIS3_PlPS5_mZN2at6native12_GLOBAL__N_124unique_dim_cuda_templateIlEESt5tupleIJNSA_6TensorESF_SF_EERKSF_lbbbEUlllE_EE10hipError_tT0_T1_T2_jT3_P12ihipStream_tbPNSt15iterator_traitsISL_E10value_typeEPNSR_ISM_E10value_typeEPSN_NS1_7vsmem_tEENKUlT_SL_SM_SN_E_clIS8_S8_S9_S9_EESK_S10_SL_SM_SN_EUlS10_E1_NS1_11comp_targetILNS1_3genE8ELNS1_11target_archE1030ELNS1_3gpuE2ELNS1_3repE0EEENS1_36merge_oddeven_config_static_selectorELNS0_4arch9wavefront6targetE1EEEvSM_.num_named_barrier, 0
	.set _ZN7rocprim17ROCPRIM_400000_NS6detail17trampoline_kernelINS0_14default_configENS1_38merge_sort_block_merge_config_selectorIlNS0_10empty_typeEEEZZNS1_27merge_sort_block_merge_implIS3_PlPS5_mZN2at6native12_GLOBAL__N_124unique_dim_cuda_templateIlEESt5tupleIJNSA_6TensorESF_SF_EERKSF_lbbbEUlllE_EE10hipError_tT0_T1_T2_jT3_P12ihipStream_tbPNSt15iterator_traitsISL_E10value_typeEPNSR_ISM_E10value_typeEPSN_NS1_7vsmem_tEENKUlT_SL_SM_SN_E_clIS8_S8_S9_S9_EESK_S10_SL_SM_SN_EUlS10_E1_NS1_11comp_targetILNS1_3genE8ELNS1_11target_archE1030ELNS1_3gpuE2ELNS1_3repE0EEENS1_36merge_oddeven_config_static_selectorELNS0_4arch9wavefront6targetE1EEEvSM_.private_seg_size, 0
	.set _ZN7rocprim17ROCPRIM_400000_NS6detail17trampoline_kernelINS0_14default_configENS1_38merge_sort_block_merge_config_selectorIlNS0_10empty_typeEEEZZNS1_27merge_sort_block_merge_implIS3_PlPS5_mZN2at6native12_GLOBAL__N_124unique_dim_cuda_templateIlEESt5tupleIJNSA_6TensorESF_SF_EERKSF_lbbbEUlllE_EE10hipError_tT0_T1_T2_jT3_P12ihipStream_tbPNSt15iterator_traitsISL_E10value_typeEPNSR_ISM_E10value_typeEPSN_NS1_7vsmem_tEENKUlT_SL_SM_SN_E_clIS8_S8_S9_S9_EESK_S10_SL_SM_SN_EUlS10_E1_NS1_11comp_targetILNS1_3genE8ELNS1_11target_archE1030ELNS1_3gpuE2ELNS1_3repE0EEENS1_36merge_oddeven_config_static_selectorELNS0_4arch9wavefront6targetE1EEEvSM_.uses_vcc, 0
	.set _ZN7rocprim17ROCPRIM_400000_NS6detail17trampoline_kernelINS0_14default_configENS1_38merge_sort_block_merge_config_selectorIlNS0_10empty_typeEEEZZNS1_27merge_sort_block_merge_implIS3_PlPS5_mZN2at6native12_GLOBAL__N_124unique_dim_cuda_templateIlEESt5tupleIJNSA_6TensorESF_SF_EERKSF_lbbbEUlllE_EE10hipError_tT0_T1_T2_jT3_P12ihipStream_tbPNSt15iterator_traitsISL_E10value_typeEPNSR_ISM_E10value_typeEPSN_NS1_7vsmem_tEENKUlT_SL_SM_SN_E_clIS8_S8_S9_S9_EESK_S10_SL_SM_SN_EUlS10_E1_NS1_11comp_targetILNS1_3genE8ELNS1_11target_archE1030ELNS1_3gpuE2ELNS1_3repE0EEENS1_36merge_oddeven_config_static_selectorELNS0_4arch9wavefront6targetE1EEEvSM_.uses_flat_scratch, 0
	.set _ZN7rocprim17ROCPRIM_400000_NS6detail17trampoline_kernelINS0_14default_configENS1_38merge_sort_block_merge_config_selectorIlNS0_10empty_typeEEEZZNS1_27merge_sort_block_merge_implIS3_PlPS5_mZN2at6native12_GLOBAL__N_124unique_dim_cuda_templateIlEESt5tupleIJNSA_6TensorESF_SF_EERKSF_lbbbEUlllE_EE10hipError_tT0_T1_T2_jT3_P12ihipStream_tbPNSt15iterator_traitsISL_E10value_typeEPNSR_ISM_E10value_typeEPSN_NS1_7vsmem_tEENKUlT_SL_SM_SN_E_clIS8_S8_S9_S9_EESK_S10_SL_SM_SN_EUlS10_E1_NS1_11comp_targetILNS1_3genE8ELNS1_11target_archE1030ELNS1_3gpuE2ELNS1_3repE0EEENS1_36merge_oddeven_config_static_selectorELNS0_4arch9wavefront6targetE1EEEvSM_.has_dyn_sized_stack, 0
	.set _ZN7rocprim17ROCPRIM_400000_NS6detail17trampoline_kernelINS0_14default_configENS1_38merge_sort_block_merge_config_selectorIlNS0_10empty_typeEEEZZNS1_27merge_sort_block_merge_implIS3_PlPS5_mZN2at6native12_GLOBAL__N_124unique_dim_cuda_templateIlEESt5tupleIJNSA_6TensorESF_SF_EERKSF_lbbbEUlllE_EE10hipError_tT0_T1_T2_jT3_P12ihipStream_tbPNSt15iterator_traitsISL_E10value_typeEPNSR_ISM_E10value_typeEPSN_NS1_7vsmem_tEENKUlT_SL_SM_SN_E_clIS8_S8_S9_S9_EESK_S10_SL_SM_SN_EUlS10_E1_NS1_11comp_targetILNS1_3genE8ELNS1_11target_archE1030ELNS1_3gpuE2ELNS1_3repE0EEENS1_36merge_oddeven_config_static_selectorELNS0_4arch9wavefront6targetE1EEEvSM_.has_recursion, 0
	.set _ZN7rocprim17ROCPRIM_400000_NS6detail17trampoline_kernelINS0_14default_configENS1_38merge_sort_block_merge_config_selectorIlNS0_10empty_typeEEEZZNS1_27merge_sort_block_merge_implIS3_PlPS5_mZN2at6native12_GLOBAL__N_124unique_dim_cuda_templateIlEESt5tupleIJNSA_6TensorESF_SF_EERKSF_lbbbEUlllE_EE10hipError_tT0_T1_T2_jT3_P12ihipStream_tbPNSt15iterator_traitsISL_E10value_typeEPNSR_ISM_E10value_typeEPSN_NS1_7vsmem_tEENKUlT_SL_SM_SN_E_clIS8_S8_S9_S9_EESK_S10_SL_SM_SN_EUlS10_E1_NS1_11comp_targetILNS1_3genE8ELNS1_11target_archE1030ELNS1_3gpuE2ELNS1_3repE0EEENS1_36merge_oddeven_config_static_selectorELNS0_4arch9wavefront6targetE1EEEvSM_.has_indirect_call, 0
	.section	.AMDGPU.csdata,"",@progbits
; Kernel info:
; codeLenInByte = 0
; TotalNumSgprs: 6
; NumVgprs: 0
; NumAgprs: 0
; TotalNumVgprs: 0
; ScratchSize: 0
; MemoryBound: 0
; FloatMode: 240
; IeeeMode: 1
; LDSByteSize: 0 bytes/workgroup (compile time only)
; SGPRBlocks: 0
; VGPRBlocks: 0
; NumSGPRsForWavesPerEU: 6
; NumVGPRsForWavesPerEU: 1
; AccumOffset: 4
; Occupancy: 8
; WaveLimiterHint : 0
; COMPUTE_PGM_RSRC2:SCRATCH_EN: 0
; COMPUTE_PGM_RSRC2:USER_SGPR: 2
; COMPUTE_PGM_RSRC2:TRAP_HANDLER: 0
; COMPUTE_PGM_RSRC2:TGID_X_EN: 1
; COMPUTE_PGM_RSRC2:TGID_Y_EN: 0
; COMPUTE_PGM_RSRC2:TGID_Z_EN: 0
; COMPUTE_PGM_RSRC2:TIDIG_COMP_CNT: 0
; COMPUTE_PGM_RSRC3_GFX90A:ACCUM_OFFSET: 0
; COMPUTE_PGM_RSRC3_GFX90A:TG_SPLIT: 0
	.section	.text._ZN7rocprim17ROCPRIM_400000_NS6detail17trampoline_kernelINS0_14default_configENS1_35adjacent_difference_config_selectorILb0ElEEZNS1_24adjacent_difference_implIS3_Lb0ELb0EPlS7_ZN2at6native12_GLOBAL__N_124unique_dim_cuda_templateIlEESt5tupleIJNS8_6TensorESD_SD_EERKSD_lbbbEUlllE1_EE10hipError_tPvRmT2_T3_mT4_P12ihipStream_tbEUlT_E_NS1_11comp_targetILNS1_3genE0ELNS1_11target_archE4294967295ELNS1_3gpuE0ELNS1_3repE0EEENS1_30default_config_static_selectorELNS0_4arch9wavefront6targetE1EEEvT1_,"axG",@progbits,_ZN7rocprim17ROCPRIM_400000_NS6detail17trampoline_kernelINS0_14default_configENS1_35adjacent_difference_config_selectorILb0ElEEZNS1_24adjacent_difference_implIS3_Lb0ELb0EPlS7_ZN2at6native12_GLOBAL__N_124unique_dim_cuda_templateIlEESt5tupleIJNS8_6TensorESD_SD_EERKSD_lbbbEUlllE1_EE10hipError_tPvRmT2_T3_mT4_P12ihipStream_tbEUlT_E_NS1_11comp_targetILNS1_3genE0ELNS1_11target_archE4294967295ELNS1_3gpuE0ELNS1_3repE0EEENS1_30default_config_static_selectorELNS0_4arch9wavefront6targetE1EEEvT1_,comdat
	.globl	_ZN7rocprim17ROCPRIM_400000_NS6detail17trampoline_kernelINS0_14default_configENS1_35adjacent_difference_config_selectorILb0ElEEZNS1_24adjacent_difference_implIS3_Lb0ELb0EPlS7_ZN2at6native12_GLOBAL__N_124unique_dim_cuda_templateIlEESt5tupleIJNS8_6TensorESD_SD_EERKSD_lbbbEUlllE1_EE10hipError_tPvRmT2_T3_mT4_P12ihipStream_tbEUlT_E_NS1_11comp_targetILNS1_3genE0ELNS1_11target_archE4294967295ELNS1_3gpuE0ELNS1_3repE0EEENS1_30default_config_static_selectorELNS0_4arch9wavefront6targetE1EEEvT1_ ; -- Begin function _ZN7rocprim17ROCPRIM_400000_NS6detail17trampoline_kernelINS0_14default_configENS1_35adjacent_difference_config_selectorILb0ElEEZNS1_24adjacent_difference_implIS3_Lb0ELb0EPlS7_ZN2at6native12_GLOBAL__N_124unique_dim_cuda_templateIlEESt5tupleIJNS8_6TensorESD_SD_EERKSD_lbbbEUlllE1_EE10hipError_tPvRmT2_T3_mT4_P12ihipStream_tbEUlT_E_NS1_11comp_targetILNS1_3genE0ELNS1_11target_archE4294967295ELNS1_3gpuE0ELNS1_3repE0EEENS1_30default_config_static_selectorELNS0_4arch9wavefront6targetE1EEEvT1_
	.p2align	8
	.type	_ZN7rocprim17ROCPRIM_400000_NS6detail17trampoline_kernelINS0_14default_configENS1_35adjacent_difference_config_selectorILb0ElEEZNS1_24adjacent_difference_implIS3_Lb0ELb0EPlS7_ZN2at6native12_GLOBAL__N_124unique_dim_cuda_templateIlEESt5tupleIJNS8_6TensorESD_SD_EERKSD_lbbbEUlllE1_EE10hipError_tPvRmT2_T3_mT4_P12ihipStream_tbEUlT_E_NS1_11comp_targetILNS1_3genE0ELNS1_11target_archE4294967295ELNS1_3gpuE0ELNS1_3repE0EEENS1_30default_config_static_selectorELNS0_4arch9wavefront6targetE1EEEvT1_,@function
_ZN7rocprim17ROCPRIM_400000_NS6detail17trampoline_kernelINS0_14default_configENS1_35adjacent_difference_config_selectorILb0ElEEZNS1_24adjacent_difference_implIS3_Lb0ELb0EPlS7_ZN2at6native12_GLOBAL__N_124unique_dim_cuda_templateIlEESt5tupleIJNS8_6TensorESD_SD_EERKSD_lbbbEUlllE1_EE10hipError_tPvRmT2_T3_mT4_P12ihipStream_tbEUlT_E_NS1_11comp_targetILNS1_3genE0ELNS1_11target_archE4294967295ELNS1_3gpuE0ELNS1_3repE0EEENS1_30default_config_static_selectorELNS0_4arch9wavefront6targetE1EEEvT1_: ; @_ZN7rocprim17ROCPRIM_400000_NS6detail17trampoline_kernelINS0_14default_configENS1_35adjacent_difference_config_selectorILb0ElEEZNS1_24adjacent_difference_implIS3_Lb0ELb0EPlS7_ZN2at6native12_GLOBAL__N_124unique_dim_cuda_templateIlEESt5tupleIJNS8_6TensorESD_SD_EERKSD_lbbbEUlllE1_EE10hipError_tPvRmT2_T3_mT4_P12ihipStream_tbEUlT_E_NS1_11comp_targetILNS1_3genE0ELNS1_11target_archE4294967295ELNS1_3gpuE0ELNS1_3repE0EEENS1_30default_config_static_selectorELNS0_4arch9wavefront6targetE1EEEvT1_
; %bb.0:
	s_load_dwordx8 s[4:11], s[0:1], 0x0
	s_load_dwordx4 s[12:15], s[0:1], 0x20
	s_load_dwordx2 s[16:17], s[0:1], 0x38
	s_mov_b32 s19, 0
	s_mov_b64 s[20:21], -1
	s_waitcnt lgkmcnt(0)
	s_lshl_b64 s[6:7], s[6:7], 3
	s_add_u32 s22, s4, s6
	s_addc_u32 s23, s5, s7
	s_lshl_b32 s4, s2, 7
	s_lshr_b64 s[0:1], s[10:11], 7
	s_and_b32 s18, s10, 0x7f
	s_cmp_lg_u64 s[18:19], 0
	s_cselect_b64 s[18:19], -1, 0
	v_cndmask_b32_e64 v1, 0, 1, s[18:19]
	s_nop 0
	v_readfirstlane_b32 s3, v1
	s_add_u32 s18, s0, s3
	s_addc_u32 s19, s1, 0
	s_add_u32 s2, s16, s2
	s_addc_u32 s3, s17, 0
	s_add_u32 s16, s18, -1
	s_addc_u32 s17, s19, -1
	v_mov_b64_e32 v[2:3], s[16:17]
	v_cmp_ge_u64_e64 s[0:1], s[2:3], v[2:3]
	s_and_b64 vcc, exec, s[0:1]
                                        ; implicit-def: $vgpr1
	s_cbranch_vccz .LBB538_4
; %bb.1:
	s_lshl_b32 s5, s16, 7
	s_sub_i32 s5, s10, s5
	v_cmp_gt_u32_e32 vcc, s5, v0
                                        ; implicit-def: $vgpr2_vgpr3
	s_and_saveexec_b64 s[20:21], vcc
	s_cbranch_execz .LBB538_3
; %bb.2:
	s_mov_b32 s5, 0
	s_lshl_b64 s[24:25], s[4:5], 3
	s_add_u32 s24, s22, s24
	s_addc_u32 s25, s23, s25
	v_lshlrev_b32_e32 v1, 3, v0
	global_load_dwordx2 v[2:3], v1, s[24:25]
.LBB538_3:
	s_or_b64 exec, exec, s[20:21]
	v_lshlrev_b32_e32 v1, 3, v0
	s_mov_b64 s[20:21], 0
	s_waitcnt vmcnt(0)
	ds_write_b64 v1, v[2:3]
	s_waitcnt lgkmcnt(0)
	s_barrier
.LBB538_4:
	s_and_b64 vcc, exec, s[20:21]
	s_cbranch_vccz .LBB538_6
; %bb.5:
	s_mov_b32 s5, 0
	s_lshl_b64 s[20:21], s[4:5], 3
	s_add_u32 s20, s22, s20
	s_addc_u32 s21, s23, s21
	v_lshlrev_b32_e32 v1, 3, v0
	global_load_dwordx2 v[2:3], v1, s[20:21]
	s_waitcnt vmcnt(0)
	ds_write_b64 v1, v[2:3]
	s_waitcnt lgkmcnt(0)
	s_barrier
.LBB538_6:
	ds_read_b64 v[2:3], v1
	s_cmp_eq_u64 s[2:3], 0
	s_waitcnt lgkmcnt(0)
	s_barrier
	s_cbranch_scc1 .LBB538_15
; %bb.7:
	s_mov_b32 s5, 0
	s_lshl_b64 s[20:21], s[4:5], 3
	s_add_u32 s5, s22, s20
	s_addc_u32 s11, s23, s21
	s_add_u32 s20, s5, -8
	s_addc_u32 s21, s11, -1
	s_load_dwordx2 s[20:21], s[20:21], 0x0
	s_cmp_eq_u64 s[2:3], s[16:17]
	s_cbranch_scc1 .LBB538_16
; %bb.8:
	v_lshlrev_b32_e32 v1, 3, v0
	v_cmp_ne_u32_e32 vcc, 0, v0
	s_waitcnt lgkmcnt(0)
	v_mov_b64_e32 v[6:7], s[20:21]
	ds_write_b64 v1, v[2:3]
	s_waitcnt lgkmcnt(0)
	s_barrier
	s_and_saveexec_b64 s[22:23], vcc
; %bb.9:
	v_add_u32_e32 v1, -8, v1
	ds_read_b64 v[6:7], v1
; %bb.10:
	s_or_b64 exec, exec, s[22:23]
	v_cmp_lt_i64_e64 s[22:23], s[12:13], 1
	s_and_b64 vcc, exec, s[22:23]
	s_cbranch_vccnz .LBB538_18
; %bb.11:
	v_mul_lo_u32 v1, v3, s12
	v_mul_lo_u32 v8, v2, s13
	v_mad_u64_u32 v[4:5], s[22:23], v2, s12, 0
	v_add3_u32 v5, v5, v8, v1
	s_waitcnt lgkmcnt(0)
	v_mul_lo_u32 v1, v7, s12
	v_mul_lo_u32 v8, v6, s13
	v_mad_u64_u32 v[6:7], s[22:23], v6, s12, 0
	v_add3_u32 v7, v7, v8, v1
	v_lshl_add_u64 v[4:5], v[4:5], 3, s[14:15]
	v_lshl_add_u64 v[6:7], v[6:7], 3, s[14:15]
	s_mov_b64 s[22:23], 0
	s_mov_b64 s[24:25], s[12:13]
                                        ; implicit-def: $sgpr26_sgpr27
	s_branch .LBB538_13
.LBB538_12:                             ;   in Loop: Header=BB538_13 Depth=1
	s_or_b64 exec, exec, s[28:29]
	s_and_b64 s[28:29], exec, s[26:27]
	s_or_b64 s[22:23], s[28:29], s[22:23]
	s_andn2_b64 exec, exec, s[22:23]
	s_cbranch_execz .LBB538_17
.LBB538_13:                             ; =>This Inner Loop Header: Depth=1
	global_load_dwordx2 v[10:11], v[4:5], off
	global_load_dwordx2 v[12:13], v[6:7], off
	v_mov_b64_e32 v[8:9], 1
	s_or_b64 s[26:27], s[26:27], exec
	s_waitcnt vmcnt(0)
	v_cmp_eq_u64_e32 vcc, v[10:11], v[12:13]
	s_and_saveexec_b64 s[28:29], vcc
	s_cbranch_execz .LBB538_12
; %bb.14:                               ;   in Loop: Header=BB538_13 Depth=1
	s_add_u32 s24, s24, -1
	s_addc_u32 s25, s25, -1
	s_cmp_eq_u64 s[24:25], 0
	s_cselect_b64 s[30:31], -1, 0
	s_andn2_b64 s[26:27], s[26:27], exec
	s_and_b64 s[30:31], s[30:31], exec
	v_lshl_add_u64 v[4:5], v[4:5], 0, 8
	v_lshl_add_u64 v[6:7], v[6:7], 0, 8
	v_mov_b64_e32 v[8:9], 0
	s_or_b64 s[26:27], s[26:27], s[30:31]
	s_branch .LBB538_12
.LBB538_15:
                                        ; implicit-def: $vgpr8_vgpr9
	s_branch .LBB538_31
.LBB538_16:
                                        ; implicit-def: $vgpr8_vgpr9
	s_cbranch_execnz .LBB538_19
	s_branch .LBB538_30
.LBB538_17:
	s_or_b64 exec, exec, s[22:23]
	s_branch .LBB538_30
.LBB538_18:
	v_mov_b64_e32 v[8:9], 0
	s_branch .LBB538_30
.LBB538_19:
	v_lshlrev_b32_e32 v1, 3, v0
	v_cmp_ne_u32_e32 vcc, 0, v0
	s_waitcnt lgkmcnt(0)
	v_mov_b64_e32 v[6:7], s[20:21]
	ds_write_b64 v1, v[2:3]
	s_waitcnt lgkmcnt(0)
	s_barrier
	s_and_saveexec_b64 s[20:21], vcc
; %bb.20:
	v_add_u32_e32 v1, -8, v1
	ds_read_b64 v[6:7], v1
; %bb.21:
	s_or_b64 exec, exec, s[20:21]
	s_lshl_b32 s2, s2, 7
	s_sub_i32 s2, s10, s2
	v_cmp_gt_u32_e32 vcc, s2, v0
	v_mov_b64_e32 v[8:9], v[2:3]
	s_and_saveexec_b64 s[2:3], vcc
	s_cbranch_execz .LBB538_29
; %bb.22:
	v_cmp_lt_i64_e64 s[20:21], s[12:13], 1
	s_and_b64 vcc, exec, s[20:21]
	s_cbranch_vccnz .LBB538_28
; %bb.23:
	v_mul_lo_u32 v1, v3, s12
	v_mul_lo_u32 v8, v2, s13
	v_mad_u64_u32 v[4:5], s[20:21], v2, s12, 0
	v_add3_u32 v5, v5, v8, v1
	s_waitcnt lgkmcnt(0)
	v_mul_lo_u32 v1, v7, s12
	v_mul_lo_u32 v8, v6, s13
	v_mad_u64_u32 v[6:7], s[20:21], v6, s12, 0
	v_add3_u32 v7, v7, v8, v1
	v_lshl_add_u64 v[4:5], v[4:5], 3, s[14:15]
	v_lshl_add_u64 v[6:7], v[6:7], 3, s[14:15]
	s_mov_b64 s[20:21], 0
	s_mov_b64 s[22:23], s[12:13]
                                        ; implicit-def: $sgpr24_sgpr25
	s_branch .LBB538_25
.LBB538_24:                             ;   in Loop: Header=BB538_25 Depth=1
	s_or_b64 exec, exec, s[26:27]
	s_and_b64 s[26:27], exec, s[24:25]
	s_or_b64 s[20:21], s[26:27], s[20:21]
	s_andn2_b64 exec, exec, s[20:21]
	s_cbranch_execz .LBB538_27
.LBB538_25:                             ; =>This Inner Loop Header: Depth=1
	global_load_dwordx2 v[10:11], v[4:5], off
	global_load_dwordx2 v[12:13], v[6:7], off
	v_mov_b64_e32 v[8:9], 1
	s_or_b64 s[24:25], s[24:25], exec
	s_waitcnt vmcnt(0)
	v_cmp_eq_u64_e32 vcc, v[10:11], v[12:13]
	s_and_saveexec_b64 s[26:27], vcc
	s_cbranch_execz .LBB538_24
; %bb.26:                               ;   in Loop: Header=BB538_25 Depth=1
	s_add_u32 s22, s22, -1
	s_addc_u32 s23, s23, -1
	s_cmp_eq_u64 s[22:23], 0
	s_cselect_b64 s[28:29], -1, 0
	s_andn2_b64 s[24:25], s[24:25], exec
	s_and_b64 s[28:29], s[28:29], exec
	v_lshl_add_u64 v[4:5], v[4:5], 0, 8
	v_lshl_add_u64 v[6:7], v[6:7], 0, 8
	v_mov_b64_e32 v[8:9], 0
	s_or_b64 s[24:25], s[24:25], s[28:29]
	s_branch .LBB538_24
.LBB538_27:
	s_or_b64 exec, exec, s[20:21]
	s_branch .LBB538_29
.LBB538_28:
	v_mov_b64_e32 v[8:9], 0
.LBB538_29:
	s_or_b64 exec, exec, s[2:3]
.LBB538_30:
	s_cbranch_execnz .LBB538_51
.LBB538_31:
	s_cmp_eq_u64 s[18:19], 1
	v_cmp_ne_u32_e32 vcc, 0, v0
	s_cbranch_scc1 .LBB538_38
; %bb.32:
	v_lshlrev_b32_e32 v1, 3, v0
	v_mov_b64_e32 v[8:9], v[2:3]
	ds_write_b64 v1, v[2:3]
	s_waitcnt lgkmcnt(0)
	s_barrier
	s_and_saveexec_b64 s[2:3], vcc
	s_cbranch_execz .LBB538_41
; %bb.33:
	v_cmp_lt_i64_e64 s[18:19], s[12:13], 1
	s_and_b64 vcc, exec, s[18:19]
	s_cbranch_vccnz .LBB538_40
; %bb.34:
	v_add_u32_e32 v1, -8, v1
	ds_read_b64 v[6:7], v1
	v_mul_lo_u32 v1, v3, s12
	v_mul_lo_u32 v8, v2, s13
	v_mad_u64_u32 v[4:5], s[18:19], v2, s12, 0
	v_add3_u32 v5, v5, v8, v1
	s_waitcnt lgkmcnt(0)
	v_mul_lo_u32 v1, s13, v6
	v_mul_lo_u32 v8, s12, v7
	v_mad_u64_u32 v[6:7], s[18:19], s12, v6, 0
	v_add3_u32 v7, v7, v8, v1
	v_lshl_add_u64 v[4:5], v[4:5], 3, s[14:15]
	v_lshl_add_u64 v[6:7], v[6:7], 3, s[14:15]
	s_mov_b64 s[18:19], 0
	s_mov_b64 s[20:21], s[12:13]
                                        ; implicit-def: $sgpr22_sgpr23
	s_branch .LBB538_36
.LBB538_35:                             ;   in Loop: Header=BB538_36 Depth=1
	s_or_b64 exec, exec, s[24:25]
	s_and_b64 s[24:25], exec, s[22:23]
	s_or_b64 s[18:19], s[24:25], s[18:19]
	s_andn2_b64 exec, exec, s[18:19]
	s_cbranch_execz .LBB538_39
.LBB538_36:                             ; =>This Inner Loop Header: Depth=1
	global_load_dwordx2 v[10:11], v[4:5], off
	global_load_dwordx2 v[12:13], v[6:7], off
	v_mov_b64_e32 v[8:9], 1
	s_or_b64 s[22:23], s[22:23], exec
	s_waitcnt vmcnt(0)
	v_cmp_eq_u64_e32 vcc, v[10:11], v[12:13]
	s_and_saveexec_b64 s[24:25], vcc
	s_cbranch_execz .LBB538_35
; %bb.37:                               ;   in Loop: Header=BB538_36 Depth=1
	s_add_u32 s20, s20, -1
	s_addc_u32 s21, s21, -1
	s_cmp_eq_u64 s[20:21], 0
	s_cselect_b64 s[26:27], -1, 0
	s_andn2_b64 s[22:23], s[22:23], exec
	s_and_b64 s[26:27], s[26:27], exec
	v_lshl_add_u64 v[4:5], v[4:5], 0, 8
	v_lshl_add_u64 v[6:7], v[6:7], 0, 8
	v_mov_b64_e32 v[8:9], 0
	s_or_b64 s[22:23], s[22:23], s[26:27]
	s_branch .LBB538_35
.LBB538_38:
                                        ; implicit-def: $vgpr8_vgpr9
	s_branch .LBB538_42
.LBB538_39:
	s_or_b64 exec, exec, s[18:19]
	s_branch .LBB538_41
.LBB538_40:
	v_mov_b64_e32 v[8:9], 0
.LBB538_41:
	s_or_b64 exec, exec, s[2:3]
	s_cbranch_execnz .LBB538_51
.LBB538_42:
	v_cmp_ne_u32_e32 vcc, 0, v0
	v_cmp_gt_u32_e64 s[2:3], s10, v0
	v_lshlrev_b32_e32 v1, 3, v0
	s_and_b64 s[18:19], vcc, s[2:3]
	ds_write_b64 v1, v[2:3]
	s_waitcnt lgkmcnt(0)
	s_barrier
	s_and_saveexec_b64 s[2:3], s[18:19]
	s_cbranch_execz .LBB538_50
; %bb.43:
	v_cmp_lt_i64_e64 s[18:19], s[12:13], 1
	s_and_b64 vcc, exec, s[18:19]
	s_cbranch_vccnz .LBB538_49
; %bb.44:
	v_add_u32_e32 v1, -8, v1
	ds_read_b64 v[6:7], v1
	v_mul_lo_u32 v1, v3, s12
	v_mul_lo_u32 v4, v2, s13
	v_mad_u64_u32 v[2:3], s[18:19], v2, s12, 0
	v_add3_u32 v3, v3, v4, v1
	v_lshl_add_u64 v[4:5], v[2:3], 3, s[14:15]
	s_waitcnt lgkmcnt(0)
	v_mul_lo_u32 v1, s13, v6
	v_mul_lo_u32 v7, s12, v7
	v_mad_u64_u32 v[2:3], s[18:19], s12, v6, 0
	v_add3_u32 v3, v3, v7, v1
	v_lshl_add_u64 v[6:7], v[2:3], 3, s[14:15]
	s_mov_b64 s[14:15], 0
                                        ; implicit-def: $sgpr18_sgpr19
	s_branch .LBB538_46
.LBB538_45:                             ;   in Loop: Header=BB538_46 Depth=1
	s_or_b64 exec, exec, s[20:21]
	s_and_b64 s[20:21], exec, s[18:19]
	s_or_b64 s[14:15], s[20:21], s[14:15]
	s_andn2_b64 exec, exec, s[14:15]
	s_cbranch_execz .LBB538_48
.LBB538_46:                             ; =>This Inner Loop Header: Depth=1
	global_load_dwordx2 v[8:9], v[4:5], off
	global_load_dwordx2 v[10:11], v[6:7], off
	v_mov_b64_e32 v[2:3], 1
	s_or_b64 s[18:19], s[18:19], exec
	s_waitcnt vmcnt(0)
	v_cmp_eq_u64_e32 vcc, v[8:9], v[10:11]
	s_and_saveexec_b64 s[20:21], vcc
	s_cbranch_execz .LBB538_45
; %bb.47:                               ;   in Loop: Header=BB538_46 Depth=1
	s_add_u32 s12, s12, -1
	s_addc_u32 s13, s13, -1
	s_cmp_eq_u64 s[12:13], 0
	s_cselect_b64 s[22:23], -1, 0
	s_andn2_b64 s[18:19], s[18:19], exec
	s_and_b64 s[22:23], s[22:23], exec
	v_lshl_add_u64 v[4:5], v[4:5], 0, 8
	v_lshl_add_u64 v[6:7], v[6:7], 0, 8
	v_mov_b64_e32 v[2:3], 0
	s_or_b64 s[18:19], s[18:19], s[22:23]
	s_branch .LBB538_45
.LBB538_48:
	s_or_b64 exec, exec, s[14:15]
	s_branch .LBB538_50
.LBB538_49:
	v_mov_b64_e32 v[2:3], 0
.LBB538_50:
	s_or_b64 exec, exec, s[2:3]
	v_mov_b64_e32 v[8:9], v[2:3]
.LBB538_51:
	s_add_u32 s6, s8, s6
	s_addc_u32 s7, s9, s7
	s_mov_b64 s[2:3], -1
	s_and_b64 vcc, exec, s[0:1]
	s_waitcnt lgkmcnt(0)
	s_barrier
	s_cbranch_vccnz .LBB538_54
; %bb.52:
	s_andn2_b64 vcc, exec, s[2:3]
	s_cbranch_vccz .LBB538_57
.LBB538_53:
	s_endpgm
.LBB538_54:
	s_lshl_b32 s0, s16, 7
	s_sub_i32 s0, s10, s0
	v_lshlrev_b32_e32 v1, 3, v0
	v_cmp_gt_u32_e32 vcc, s0, v0
	ds_write_b64 v1, v[8:9]
	s_waitcnt lgkmcnt(0)
	s_barrier
	s_and_saveexec_b64 s[0:1], vcc
	s_cbranch_execz .LBB538_56
; %bb.55:
	ds_read_b64 v[2:3], v1
	s_mov_b32 s5, 0
	s_lshl_b64 s[2:3], s[4:5], 3
	s_add_u32 s2, s6, s2
	s_addc_u32 s3, s7, s3
	s_waitcnt lgkmcnt(0)
	global_store_dwordx2 v1, v[2:3], s[2:3]
.LBB538_56:
	s_or_b64 exec, exec, s[0:1]
	s_cbranch_execnz .LBB538_53
.LBB538_57:
	v_lshlrev_b32_e32 v2, 3, v0
	ds_write_b64 v2, v[8:9]
	s_waitcnt lgkmcnt(0)
	s_barrier
	ds_read_b64 v[0:1], v2
	s_mov_b32 s5, 0
	s_lshl_b64 s[0:1], s[4:5], 3
	s_add_u32 s0, s6, s0
	s_addc_u32 s1, s7, s1
	s_waitcnt lgkmcnt(0)
	global_store_dwordx2 v2, v[0:1], s[0:1]
	s_endpgm
	.section	.rodata,"a",@progbits
	.p2align	6, 0x0
	.amdhsa_kernel _ZN7rocprim17ROCPRIM_400000_NS6detail17trampoline_kernelINS0_14default_configENS1_35adjacent_difference_config_selectorILb0ElEEZNS1_24adjacent_difference_implIS3_Lb0ELb0EPlS7_ZN2at6native12_GLOBAL__N_124unique_dim_cuda_templateIlEESt5tupleIJNS8_6TensorESD_SD_EERKSD_lbbbEUlllE1_EE10hipError_tPvRmT2_T3_mT4_P12ihipStream_tbEUlT_E_NS1_11comp_targetILNS1_3genE0ELNS1_11target_archE4294967295ELNS1_3gpuE0ELNS1_3repE0EEENS1_30default_config_static_selectorELNS0_4arch9wavefront6targetE1EEEvT1_
		.amdhsa_group_segment_fixed_size 2048
		.amdhsa_private_segment_fixed_size 0
		.amdhsa_kernarg_size 64
		.amdhsa_user_sgpr_count 2
		.amdhsa_user_sgpr_dispatch_ptr 0
		.amdhsa_user_sgpr_queue_ptr 0
		.amdhsa_user_sgpr_kernarg_segment_ptr 1
		.amdhsa_user_sgpr_dispatch_id 0
		.amdhsa_user_sgpr_kernarg_preload_length 0
		.amdhsa_user_sgpr_kernarg_preload_offset 0
		.amdhsa_user_sgpr_private_segment_size 0
		.amdhsa_uses_dynamic_stack 0
		.amdhsa_enable_private_segment 0
		.amdhsa_system_sgpr_workgroup_id_x 1
		.amdhsa_system_sgpr_workgroup_id_y 0
		.amdhsa_system_sgpr_workgroup_id_z 0
		.amdhsa_system_sgpr_workgroup_info 0
		.amdhsa_system_vgpr_workitem_id 0
		.amdhsa_next_free_vgpr 14
		.amdhsa_next_free_sgpr 32
		.amdhsa_accum_offset 16
		.amdhsa_reserve_vcc 1
		.amdhsa_float_round_mode_32 0
		.amdhsa_float_round_mode_16_64 0
		.amdhsa_float_denorm_mode_32 3
		.amdhsa_float_denorm_mode_16_64 3
		.amdhsa_dx10_clamp 1
		.amdhsa_ieee_mode 1
		.amdhsa_fp16_overflow 0
		.amdhsa_tg_split 0
		.amdhsa_exception_fp_ieee_invalid_op 0
		.amdhsa_exception_fp_denorm_src 0
		.amdhsa_exception_fp_ieee_div_zero 0
		.amdhsa_exception_fp_ieee_overflow 0
		.amdhsa_exception_fp_ieee_underflow 0
		.amdhsa_exception_fp_ieee_inexact 0
		.amdhsa_exception_int_div_zero 0
	.end_amdhsa_kernel
	.section	.text._ZN7rocprim17ROCPRIM_400000_NS6detail17trampoline_kernelINS0_14default_configENS1_35adjacent_difference_config_selectorILb0ElEEZNS1_24adjacent_difference_implIS3_Lb0ELb0EPlS7_ZN2at6native12_GLOBAL__N_124unique_dim_cuda_templateIlEESt5tupleIJNS8_6TensorESD_SD_EERKSD_lbbbEUlllE1_EE10hipError_tPvRmT2_T3_mT4_P12ihipStream_tbEUlT_E_NS1_11comp_targetILNS1_3genE0ELNS1_11target_archE4294967295ELNS1_3gpuE0ELNS1_3repE0EEENS1_30default_config_static_selectorELNS0_4arch9wavefront6targetE1EEEvT1_,"axG",@progbits,_ZN7rocprim17ROCPRIM_400000_NS6detail17trampoline_kernelINS0_14default_configENS1_35adjacent_difference_config_selectorILb0ElEEZNS1_24adjacent_difference_implIS3_Lb0ELb0EPlS7_ZN2at6native12_GLOBAL__N_124unique_dim_cuda_templateIlEESt5tupleIJNS8_6TensorESD_SD_EERKSD_lbbbEUlllE1_EE10hipError_tPvRmT2_T3_mT4_P12ihipStream_tbEUlT_E_NS1_11comp_targetILNS1_3genE0ELNS1_11target_archE4294967295ELNS1_3gpuE0ELNS1_3repE0EEENS1_30default_config_static_selectorELNS0_4arch9wavefront6targetE1EEEvT1_,comdat
.Lfunc_end538:
	.size	_ZN7rocprim17ROCPRIM_400000_NS6detail17trampoline_kernelINS0_14default_configENS1_35adjacent_difference_config_selectorILb0ElEEZNS1_24adjacent_difference_implIS3_Lb0ELb0EPlS7_ZN2at6native12_GLOBAL__N_124unique_dim_cuda_templateIlEESt5tupleIJNS8_6TensorESD_SD_EERKSD_lbbbEUlllE1_EE10hipError_tPvRmT2_T3_mT4_P12ihipStream_tbEUlT_E_NS1_11comp_targetILNS1_3genE0ELNS1_11target_archE4294967295ELNS1_3gpuE0ELNS1_3repE0EEENS1_30default_config_static_selectorELNS0_4arch9wavefront6targetE1EEEvT1_, .Lfunc_end538-_ZN7rocprim17ROCPRIM_400000_NS6detail17trampoline_kernelINS0_14default_configENS1_35adjacent_difference_config_selectorILb0ElEEZNS1_24adjacent_difference_implIS3_Lb0ELb0EPlS7_ZN2at6native12_GLOBAL__N_124unique_dim_cuda_templateIlEESt5tupleIJNS8_6TensorESD_SD_EERKSD_lbbbEUlllE1_EE10hipError_tPvRmT2_T3_mT4_P12ihipStream_tbEUlT_E_NS1_11comp_targetILNS1_3genE0ELNS1_11target_archE4294967295ELNS1_3gpuE0ELNS1_3repE0EEENS1_30default_config_static_selectorELNS0_4arch9wavefront6targetE1EEEvT1_
                                        ; -- End function
	.set _ZN7rocprim17ROCPRIM_400000_NS6detail17trampoline_kernelINS0_14default_configENS1_35adjacent_difference_config_selectorILb0ElEEZNS1_24adjacent_difference_implIS3_Lb0ELb0EPlS7_ZN2at6native12_GLOBAL__N_124unique_dim_cuda_templateIlEESt5tupleIJNS8_6TensorESD_SD_EERKSD_lbbbEUlllE1_EE10hipError_tPvRmT2_T3_mT4_P12ihipStream_tbEUlT_E_NS1_11comp_targetILNS1_3genE0ELNS1_11target_archE4294967295ELNS1_3gpuE0ELNS1_3repE0EEENS1_30default_config_static_selectorELNS0_4arch9wavefront6targetE1EEEvT1_.num_vgpr, 14
	.set _ZN7rocprim17ROCPRIM_400000_NS6detail17trampoline_kernelINS0_14default_configENS1_35adjacent_difference_config_selectorILb0ElEEZNS1_24adjacent_difference_implIS3_Lb0ELb0EPlS7_ZN2at6native12_GLOBAL__N_124unique_dim_cuda_templateIlEESt5tupleIJNS8_6TensorESD_SD_EERKSD_lbbbEUlllE1_EE10hipError_tPvRmT2_T3_mT4_P12ihipStream_tbEUlT_E_NS1_11comp_targetILNS1_3genE0ELNS1_11target_archE4294967295ELNS1_3gpuE0ELNS1_3repE0EEENS1_30default_config_static_selectorELNS0_4arch9wavefront6targetE1EEEvT1_.num_agpr, 0
	.set _ZN7rocprim17ROCPRIM_400000_NS6detail17trampoline_kernelINS0_14default_configENS1_35adjacent_difference_config_selectorILb0ElEEZNS1_24adjacent_difference_implIS3_Lb0ELb0EPlS7_ZN2at6native12_GLOBAL__N_124unique_dim_cuda_templateIlEESt5tupleIJNS8_6TensorESD_SD_EERKSD_lbbbEUlllE1_EE10hipError_tPvRmT2_T3_mT4_P12ihipStream_tbEUlT_E_NS1_11comp_targetILNS1_3genE0ELNS1_11target_archE4294967295ELNS1_3gpuE0ELNS1_3repE0EEENS1_30default_config_static_selectorELNS0_4arch9wavefront6targetE1EEEvT1_.numbered_sgpr, 32
	.set _ZN7rocprim17ROCPRIM_400000_NS6detail17trampoline_kernelINS0_14default_configENS1_35adjacent_difference_config_selectorILb0ElEEZNS1_24adjacent_difference_implIS3_Lb0ELb0EPlS7_ZN2at6native12_GLOBAL__N_124unique_dim_cuda_templateIlEESt5tupleIJNS8_6TensorESD_SD_EERKSD_lbbbEUlllE1_EE10hipError_tPvRmT2_T3_mT4_P12ihipStream_tbEUlT_E_NS1_11comp_targetILNS1_3genE0ELNS1_11target_archE4294967295ELNS1_3gpuE0ELNS1_3repE0EEENS1_30default_config_static_selectorELNS0_4arch9wavefront6targetE1EEEvT1_.num_named_barrier, 0
	.set _ZN7rocprim17ROCPRIM_400000_NS6detail17trampoline_kernelINS0_14default_configENS1_35adjacent_difference_config_selectorILb0ElEEZNS1_24adjacent_difference_implIS3_Lb0ELb0EPlS7_ZN2at6native12_GLOBAL__N_124unique_dim_cuda_templateIlEESt5tupleIJNS8_6TensorESD_SD_EERKSD_lbbbEUlllE1_EE10hipError_tPvRmT2_T3_mT4_P12ihipStream_tbEUlT_E_NS1_11comp_targetILNS1_3genE0ELNS1_11target_archE4294967295ELNS1_3gpuE0ELNS1_3repE0EEENS1_30default_config_static_selectorELNS0_4arch9wavefront6targetE1EEEvT1_.private_seg_size, 0
	.set _ZN7rocprim17ROCPRIM_400000_NS6detail17trampoline_kernelINS0_14default_configENS1_35adjacent_difference_config_selectorILb0ElEEZNS1_24adjacent_difference_implIS3_Lb0ELb0EPlS7_ZN2at6native12_GLOBAL__N_124unique_dim_cuda_templateIlEESt5tupleIJNS8_6TensorESD_SD_EERKSD_lbbbEUlllE1_EE10hipError_tPvRmT2_T3_mT4_P12ihipStream_tbEUlT_E_NS1_11comp_targetILNS1_3genE0ELNS1_11target_archE4294967295ELNS1_3gpuE0ELNS1_3repE0EEENS1_30default_config_static_selectorELNS0_4arch9wavefront6targetE1EEEvT1_.uses_vcc, 1
	.set _ZN7rocprim17ROCPRIM_400000_NS6detail17trampoline_kernelINS0_14default_configENS1_35adjacent_difference_config_selectorILb0ElEEZNS1_24adjacent_difference_implIS3_Lb0ELb0EPlS7_ZN2at6native12_GLOBAL__N_124unique_dim_cuda_templateIlEESt5tupleIJNS8_6TensorESD_SD_EERKSD_lbbbEUlllE1_EE10hipError_tPvRmT2_T3_mT4_P12ihipStream_tbEUlT_E_NS1_11comp_targetILNS1_3genE0ELNS1_11target_archE4294967295ELNS1_3gpuE0ELNS1_3repE0EEENS1_30default_config_static_selectorELNS0_4arch9wavefront6targetE1EEEvT1_.uses_flat_scratch, 0
	.set _ZN7rocprim17ROCPRIM_400000_NS6detail17trampoline_kernelINS0_14default_configENS1_35adjacent_difference_config_selectorILb0ElEEZNS1_24adjacent_difference_implIS3_Lb0ELb0EPlS7_ZN2at6native12_GLOBAL__N_124unique_dim_cuda_templateIlEESt5tupleIJNS8_6TensorESD_SD_EERKSD_lbbbEUlllE1_EE10hipError_tPvRmT2_T3_mT4_P12ihipStream_tbEUlT_E_NS1_11comp_targetILNS1_3genE0ELNS1_11target_archE4294967295ELNS1_3gpuE0ELNS1_3repE0EEENS1_30default_config_static_selectorELNS0_4arch9wavefront6targetE1EEEvT1_.has_dyn_sized_stack, 0
	.set _ZN7rocprim17ROCPRIM_400000_NS6detail17trampoline_kernelINS0_14default_configENS1_35adjacent_difference_config_selectorILb0ElEEZNS1_24adjacent_difference_implIS3_Lb0ELb0EPlS7_ZN2at6native12_GLOBAL__N_124unique_dim_cuda_templateIlEESt5tupleIJNS8_6TensorESD_SD_EERKSD_lbbbEUlllE1_EE10hipError_tPvRmT2_T3_mT4_P12ihipStream_tbEUlT_E_NS1_11comp_targetILNS1_3genE0ELNS1_11target_archE4294967295ELNS1_3gpuE0ELNS1_3repE0EEENS1_30default_config_static_selectorELNS0_4arch9wavefront6targetE1EEEvT1_.has_recursion, 0
	.set _ZN7rocprim17ROCPRIM_400000_NS6detail17trampoline_kernelINS0_14default_configENS1_35adjacent_difference_config_selectorILb0ElEEZNS1_24adjacent_difference_implIS3_Lb0ELb0EPlS7_ZN2at6native12_GLOBAL__N_124unique_dim_cuda_templateIlEESt5tupleIJNS8_6TensorESD_SD_EERKSD_lbbbEUlllE1_EE10hipError_tPvRmT2_T3_mT4_P12ihipStream_tbEUlT_E_NS1_11comp_targetILNS1_3genE0ELNS1_11target_archE4294967295ELNS1_3gpuE0ELNS1_3repE0EEENS1_30default_config_static_selectorELNS0_4arch9wavefront6targetE1EEEvT1_.has_indirect_call, 0
	.section	.AMDGPU.csdata,"",@progbits
; Kernel info:
; codeLenInByte = 1740
; TotalNumSgprs: 38
; NumVgprs: 14
; NumAgprs: 0
; TotalNumVgprs: 14
; ScratchSize: 0
; MemoryBound: 0
; FloatMode: 240
; IeeeMode: 1
; LDSByteSize: 2048 bytes/workgroup (compile time only)
; SGPRBlocks: 4
; VGPRBlocks: 1
; NumSGPRsForWavesPerEU: 38
; NumVGPRsForWavesPerEU: 14
; AccumOffset: 16
; Occupancy: 8
; WaveLimiterHint : 0
; COMPUTE_PGM_RSRC2:SCRATCH_EN: 0
; COMPUTE_PGM_RSRC2:USER_SGPR: 2
; COMPUTE_PGM_RSRC2:TRAP_HANDLER: 0
; COMPUTE_PGM_RSRC2:TGID_X_EN: 1
; COMPUTE_PGM_RSRC2:TGID_Y_EN: 0
; COMPUTE_PGM_RSRC2:TGID_Z_EN: 0
; COMPUTE_PGM_RSRC2:TIDIG_COMP_CNT: 0
; COMPUTE_PGM_RSRC3_GFX90A:ACCUM_OFFSET: 3
; COMPUTE_PGM_RSRC3_GFX90A:TG_SPLIT: 0
	.section	.text._ZN7rocprim17ROCPRIM_400000_NS6detail17trampoline_kernelINS0_14default_configENS1_35adjacent_difference_config_selectorILb0ElEEZNS1_24adjacent_difference_implIS3_Lb0ELb0EPlS7_ZN2at6native12_GLOBAL__N_124unique_dim_cuda_templateIlEESt5tupleIJNS8_6TensorESD_SD_EERKSD_lbbbEUlllE1_EE10hipError_tPvRmT2_T3_mT4_P12ihipStream_tbEUlT_E_NS1_11comp_targetILNS1_3genE10ELNS1_11target_archE1201ELNS1_3gpuE5ELNS1_3repE0EEENS1_30default_config_static_selectorELNS0_4arch9wavefront6targetE1EEEvT1_,"axG",@progbits,_ZN7rocprim17ROCPRIM_400000_NS6detail17trampoline_kernelINS0_14default_configENS1_35adjacent_difference_config_selectorILb0ElEEZNS1_24adjacent_difference_implIS3_Lb0ELb0EPlS7_ZN2at6native12_GLOBAL__N_124unique_dim_cuda_templateIlEESt5tupleIJNS8_6TensorESD_SD_EERKSD_lbbbEUlllE1_EE10hipError_tPvRmT2_T3_mT4_P12ihipStream_tbEUlT_E_NS1_11comp_targetILNS1_3genE10ELNS1_11target_archE1201ELNS1_3gpuE5ELNS1_3repE0EEENS1_30default_config_static_selectorELNS0_4arch9wavefront6targetE1EEEvT1_,comdat
	.globl	_ZN7rocprim17ROCPRIM_400000_NS6detail17trampoline_kernelINS0_14default_configENS1_35adjacent_difference_config_selectorILb0ElEEZNS1_24adjacent_difference_implIS3_Lb0ELb0EPlS7_ZN2at6native12_GLOBAL__N_124unique_dim_cuda_templateIlEESt5tupleIJNS8_6TensorESD_SD_EERKSD_lbbbEUlllE1_EE10hipError_tPvRmT2_T3_mT4_P12ihipStream_tbEUlT_E_NS1_11comp_targetILNS1_3genE10ELNS1_11target_archE1201ELNS1_3gpuE5ELNS1_3repE0EEENS1_30default_config_static_selectorELNS0_4arch9wavefront6targetE1EEEvT1_ ; -- Begin function _ZN7rocprim17ROCPRIM_400000_NS6detail17trampoline_kernelINS0_14default_configENS1_35adjacent_difference_config_selectorILb0ElEEZNS1_24adjacent_difference_implIS3_Lb0ELb0EPlS7_ZN2at6native12_GLOBAL__N_124unique_dim_cuda_templateIlEESt5tupleIJNS8_6TensorESD_SD_EERKSD_lbbbEUlllE1_EE10hipError_tPvRmT2_T3_mT4_P12ihipStream_tbEUlT_E_NS1_11comp_targetILNS1_3genE10ELNS1_11target_archE1201ELNS1_3gpuE5ELNS1_3repE0EEENS1_30default_config_static_selectorELNS0_4arch9wavefront6targetE1EEEvT1_
	.p2align	8
	.type	_ZN7rocprim17ROCPRIM_400000_NS6detail17trampoline_kernelINS0_14default_configENS1_35adjacent_difference_config_selectorILb0ElEEZNS1_24adjacent_difference_implIS3_Lb0ELb0EPlS7_ZN2at6native12_GLOBAL__N_124unique_dim_cuda_templateIlEESt5tupleIJNS8_6TensorESD_SD_EERKSD_lbbbEUlllE1_EE10hipError_tPvRmT2_T3_mT4_P12ihipStream_tbEUlT_E_NS1_11comp_targetILNS1_3genE10ELNS1_11target_archE1201ELNS1_3gpuE5ELNS1_3repE0EEENS1_30default_config_static_selectorELNS0_4arch9wavefront6targetE1EEEvT1_,@function
_ZN7rocprim17ROCPRIM_400000_NS6detail17trampoline_kernelINS0_14default_configENS1_35adjacent_difference_config_selectorILb0ElEEZNS1_24adjacent_difference_implIS3_Lb0ELb0EPlS7_ZN2at6native12_GLOBAL__N_124unique_dim_cuda_templateIlEESt5tupleIJNS8_6TensorESD_SD_EERKSD_lbbbEUlllE1_EE10hipError_tPvRmT2_T3_mT4_P12ihipStream_tbEUlT_E_NS1_11comp_targetILNS1_3genE10ELNS1_11target_archE1201ELNS1_3gpuE5ELNS1_3repE0EEENS1_30default_config_static_selectorELNS0_4arch9wavefront6targetE1EEEvT1_: ; @_ZN7rocprim17ROCPRIM_400000_NS6detail17trampoline_kernelINS0_14default_configENS1_35adjacent_difference_config_selectorILb0ElEEZNS1_24adjacent_difference_implIS3_Lb0ELb0EPlS7_ZN2at6native12_GLOBAL__N_124unique_dim_cuda_templateIlEESt5tupleIJNS8_6TensorESD_SD_EERKSD_lbbbEUlllE1_EE10hipError_tPvRmT2_T3_mT4_P12ihipStream_tbEUlT_E_NS1_11comp_targetILNS1_3genE10ELNS1_11target_archE1201ELNS1_3gpuE5ELNS1_3repE0EEENS1_30default_config_static_selectorELNS0_4arch9wavefront6targetE1EEEvT1_
; %bb.0:
	.section	.rodata,"a",@progbits
	.p2align	6, 0x0
	.amdhsa_kernel _ZN7rocprim17ROCPRIM_400000_NS6detail17trampoline_kernelINS0_14default_configENS1_35adjacent_difference_config_selectorILb0ElEEZNS1_24adjacent_difference_implIS3_Lb0ELb0EPlS7_ZN2at6native12_GLOBAL__N_124unique_dim_cuda_templateIlEESt5tupleIJNS8_6TensorESD_SD_EERKSD_lbbbEUlllE1_EE10hipError_tPvRmT2_T3_mT4_P12ihipStream_tbEUlT_E_NS1_11comp_targetILNS1_3genE10ELNS1_11target_archE1201ELNS1_3gpuE5ELNS1_3repE0EEENS1_30default_config_static_selectorELNS0_4arch9wavefront6targetE1EEEvT1_
		.amdhsa_group_segment_fixed_size 0
		.amdhsa_private_segment_fixed_size 0
		.amdhsa_kernarg_size 64
		.amdhsa_user_sgpr_count 2
		.amdhsa_user_sgpr_dispatch_ptr 0
		.amdhsa_user_sgpr_queue_ptr 0
		.amdhsa_user_sgpr_kernarg_segment_ptr 1
		.amdhsa_user_sgpr_dispatch_id 0
		.amdhsa_user_sgpr_kernarg_preload_length 0
		.amdhsa_user_sgpr_kernarg_preload_offset 0
		.amdhsa_user_sgpr_private_segment_size 0
		.amdhsa_uses_dynamic_stack 0
		.amdhsa_enable_private_segment 0
		.amdhsa_system_sgpr_workgroup_id_x 1
		.amdhsa_system_sgpr_workgroup_id_y 0
		.amdhsa_system_sgpr_workgroup_id_z 0
		.amdhsa_system_sgpr_workgroup_info 0
		.amdhsa_system_vgpr_workitem_id 0
		.amdhsa_next_free_vgpr 1
		.amdhsa_next_free_sgpr 0
		.amdhsa_accum_offset 4
		.amdhsa_reserve_vcc 0
		.amdhsa_float_round_mode_32 0
		.amdhsa_float_round_mode_16_64 0
		.amdhsa_float_denorm_mode_32 3
		.amdhsa_float_denorm_mode_16_64 3
		.amdhsa_dx10_clamp 1
		.amdhsa_ieee_mode 1
		.amdhsa_fp16_overflow 0
		.amdhsa_tg_split 0
		.amdhsa_exception_fp_ieee_invalid_op 0
		.amdhsa_exception_fp_denorm_src 0
		.amdhsa_exception_fp_ieee_div_zero 0
		.amdhsa_exception_fp_ieee_overflow 0
		.amdhsa_exception_fp_ieee_underflow 0
		.amdhsa_exception_fp_ieee_inexact 0
		.amdhsa_exception_int_div_zero 0
	.end_amdhsa_kernel
	.section	.text._ZN7rocprim17ROCPRIM_400000_NS6detail17trampoline_kernelINS0_14default_configENS1_35adjacent_difference_config_selectorILb0ElEEZNS1_24adjacent_difference_implIS3_Lb0ELb0EPlS7_ZN2at6native12_GLOBAL__N_124unique_dim_cuda_templateIlEESt5tupleIJNS8_6TensorESD_SD_EERKSD_lbbbEUlllE1_EE10hipError_tPvRmT2_T3_mT4_P12ihipStream_tbEUlT_E_NS1_11comp_targetILNS1_3genE10ELNS1_11target_archE1201ELNS1_3gpuE5ELNS1_3repE0EEENS1_30default_config_static_selectorELNS0_4arch9wavefront6targetE1EEEvT1_,"axG",@progbits,_ZN7rocprim17ROCPRIM_400000_NS6detail17trampoline_kernelINS0_14default_configENS1_35adjacent_difference_config_selectorILb0ElEEZNS1_24adjacent_difference_implIS3_Lb0ELb0EPlS7_ZN2at6native12_GLOBAL__N_124unique_dim_cuda_templateIlEESt5tupleIJNS8_6TensorESD_SD_EERKSD_lbbbEUlllE1_EE10hipError_tPvRmT2_T3_mT4_P12ihipStream_tbEUlT_E_NS1_11comp_targetILNS1_3genE10ELNS1_11target_archE1201ELNS1_3gpuE5ELNS1_3repE0EEENS1_30default_config_static_selectorELNS0_4arch9wavefront6targetE1EEEvT1_,comdat
.Lfunc_end539:
	.size	_ZN7rocprim17ROCPRIM_400000_NS6detail17trampoline_kernelINS0_14default_configENS1_35adjacent_difference_config_selectorILb0ElEEZNS1_24adjacent_difference_implIS3_Lb0ELb0EPlS7_ZN2at6native12_GLOBAL__N_124unique_dim_cuda_templateIlEESt5tupleIJNS8_6TensorESD_SD_EERKSD_lbbbEUlllE1_EE10hipError_tPvRmT2_T3_mT4_P12ihipStream_tbEUlT_E_NS1_11comp_targetILNS1_3genE10ELNS1_11target_archE1201ELNS1_3gpuE5ELNS1_3repE0EEENS1_30default_config_static_selectorELNS0_4arch9wavefront6targetE1EEEvT1_, .Lfunc_end539-_ZN7rocprim17ROCPRIM_400000_NS6detail17trampoline_kernelINS0_14default_configENS1_35adjacent_difference_config_selectorILb0ElEEZNS1_24adjacent_difference_implIS3_Lb0ELb0EPlS7_ZN2at6native12_GLOBAL__N_124unique_dim_cuda_templateIlEESt5tupleIJNS8_6TensorESD_SD_EERKSD_lbbbEUlllE1_EE10hipError_tPvRmT2_T3_mT4_P12ihipStream_tbEUlT_E_NS1_11comp_targetILNS1_3genE10ELNS1_11target_archE1201ELNS1_3gpuE5ELNS1_3repE0EEENS1_30default_config_static_selectorELNS0_4arch9wavefront6targetE1EEEvT1_
                                        ; -- End function
	.set _ZN7rocprim17ROCPRIM_400000_NS6detail17trampoline_kernelINS0_14default_configENS1_35adjacent_difference_config_selectorILb0ElEEZNS1_24adjacent_difference_implIS3_Lb0ELb0EPlS7_ZN2at6native12_GLOBAL__N_124unique_dim_cuda_templateIlEESt5tupleIJNS8_6TensorESD_SD_EERKSD_lbbbEUlllE1_EE10hipError_tPvRmT2_T3_mT4_P12ihipStream_tbEUlT_E_NS1_11comp_targetILNS1_3genE10ELNS1_11target_archE1201ELNS1_3gpuE5ELNS1_3repE0EEENS1_30default_config_static_selectorELNS0_4arch9wavefront6targetE1EEEvT1_.num_vgpr, 0
	.set _ZN7rocprim17ROCPRIM_400000_NS6detail17trampoline_kernelINS0_14default_configENS1_35adjacent_difference_config_selectorILb0ElEEZNS1_24adjacent_difference_implIS3_Lb0ELb0EPlS7_ZN2at6native12_GLOBAL__N_124unique_dim_cuda_templateIlEESt5tupleIJNS8_6TensorESD_SD_EERKSD_lbbbEUlllE1_EE10hipError_tPvRmT2_T3_mT4_P12ihipStream_tbEUlT_E_NS1_11comp_targetILNS1_3genE10ELNS1_11target_archE1201ELNS1_3gpuE5ELNS1_3repE0EEENS1_30default_config_static_selectorELNS0_4arch9wavefront6targetE1EEEvT1_.num_agpr, 0
	.set _ZN7rocprim17ROCPRIM_400000_NS6detail17trampoline_kernelINS0_14default_configENS1_35adjacent_difference_config_selectorILb0ElEEZNS1_24adjacent_difference_implIS3_Lb0ELb0EPlS7_ZN2at6native12_GLOBAL__N_124unique_dim_cuda_templateIlEESt5tupleIJNS8_6TensorESD_SD_EERKSD_lbbbEUlllE1_EE10hipError_tPvRmT2_T3_mT4_P12ihipStream_tbEUlT_E_NS1_11comp_targetILNS1_3genE10ELNS1_11target_archE1201ELNS1_3gpuE5ELNS1_3repE0EEENS1_30default_config_static_selectorELNS0_4arch9wavefront6targetE1EEEvT1_.numbered_sgpr, 0
	.set _ZN7rocprim17ROCPRIM_400000_NS6detail17trampoline_kernelINS0_14default_configENS1_35adjacent_difference_config_selectorILb0ElEEZNS1_24adjacent_difference_implIS3_Lb0ELb0EPlS7_ZN2at6native12_GLOBAL__N_124unique_dim_cuda_templateIlEESt5tupleIJNS8_6TensorESD_SD_EERKSD_lbbbEUlllE1_EE10hipError_tPvRmT2_T3_mT4_P12ihipStream_tbEUlT_E_NS1_11comp_targetILNS1_3genE10ELNS1_11target_archE1201ELNS1_3gpuE5ELNS1_3repE0EEENS1_30default_config_static_selectorELNS0_4arch9wavefront6targetE1EEEvT1_.num_named_barrier, 0
	.set _ZN7rocprim17ROCPRIM_400000_NS6detail17trampoline_kernelINS0_14default_configENS1_35adjacent_difference_config_selectorILb0ElEEZNS1_24adjacent_difference_implIS3_Lb0ELb0EPlS7_ZN2at6native12_GLOBAL__N_124unique_dim_cuda_templateIlEESt5tupleIJNS8_6TensorESD_SD_EERKSD_lbbbEUlllE1_EE10hipError_tPvRmT2_T3_mT4_P12ihipStream_tbEUlT_E_NS1_11comp_targetILNS1_3genE10ELNS1_11target_archE1201ELNS1_3gpuE5ELNS1_3repE0EEENS1_30default_config_static_selectorELNS0_4arch9wavefront6targetE1EEEvT1_.private_seg_size, 0
	.set _ZN7rocprim17ROCPRIM_400000_NS6detail17trampoline_kernelINS0_14default_configENS1_35adjacent_difference_config_selectorILb0ElEEZNS1_24adjacent_difference_implIS3_Lb0ELb0EPlS7_ZN2at6native12_GLOBAL__N_124unique_dim_cuda_templateIlEESt5tupleIJNS8_6TensorESD_SD_EERKSD_lbbbEUlllE1_EE10hipError_tPvRmT2_T3_mT4_P12ihipStream_tbEUlT_E_NS1_11comp_targetILNS1_3genE10ELNS1_11target_archE1201ELNS1_3gpuE5ELNS1_3repE0EEENS1_30default_config_static_selectorELNS0_4arch9wavefront6targetE1EEEvT1_.uses_vcc, 0
	.set _ZN7rocprim17ROCPRIM_400000_NS6detail17trampoline_kernelINS0_14default_configENS1_35adjacent_difference_config_selectorILb0ElEEZNS1_24adjacent_difference_implIS3_Lb0ELb0EPlS7_ZN2at6native12_GLOBAL__N_124unique_dim_cuda_templateIlEESt5tupleIJNS8_6TensorESD_SD_EERKSD_lbbbEUlllE1_EE10hipError_tPvRmT2_T3_mT4_P12ihipStream_tbEUlT_E_NS1_11comp_targetILNS1_3genE10ELNS1_11target_archE1201ELNS1_3gpuE5ELNS1_3repE0EEENS1_30default_config_static_selectorELNS0_4arch9wavefront6targetE1EEEvT1_.uses_flat_scratch, 0
	.set _ZN7rocprim17ROCPRIM_400000_NS6detail17trampoline_kernelINS0_14default_configENS1_35adjacent_difference_config_selectorILb0ElEEZNS1_24adjacent_difference_implIS3_Lb0ELb0EPlS7_ZN2at6native12_GLOBAL__N_124unique_dim_cuda_templateIlEESt5tupleIJNS8_6TensorESD_SD_EERKSD_lbbbEUlllE1_EE10hipError_tPvRmT2_T3_mT4_P12ihipStream_tbEUlT_E_NS1_11comp_targetILNS1_3genE10ELNS1_11target_archE1201ELNS1_3gpuE5ELNS1_3repE0EEENS1_30default_config_static_selectorELNS0_4arch9wavefront6targetE1EEEvT1_.has_dyn_sized_stack, 0
	.set _ZN7rocprim17ROCPRIM_400000_NS6detail17trampoline_kernelINS0_14default_configENS1_35adjacent_difference_config_selectorILb0ElEEZNS1_24adjacent_difference_implIS3_Lb0ELb0EPlS7_ZN2at6native12_GLOBAL__N_124unique_dim_cuda_templateIlEESt5tupleIJNS8_6TensorESD_SD_EERKSD_lbbbEUlllE1_EE10hipError_tPvRmT2_T3_mT4_P12ihipStream_tbEUlT_E_NS1_11comp_targetILNS1_3genE10ELNS1_11target_archE1201ELNS1_3gpuE5ELNS1_3repE0EEENS1_30default_config_static_selectorELNS0_4arch9wavefront6targetE1EEEvT1_.has_recursion, 0
	.set _ZN7rocprim17ROCPRIM_400000_NS6detail17trampoline_kernelINS0_14default_configENS1_35adjacent_difference_config_selectorILb0ElEEZNS1_24adjacent_difference_implIS3_Lb0ELb0EPlS7_ZN2at6native12_GLOBAL__N_124unique_dim_cuda_templateIlEESt5tupleIJNS8_6TensorESD_SD_EERKSD_lbbbEUlllE1_EE10hipError_tPvRmT2_T3_mT4_P12ihipStream_tbEUlT_E_NS1_11comp_targetILNS1_3genE10ELNS1_11target_archE1201ELNS1_3gpuE5ELNS1_3repE0EEENS1_30default_config_static_selectorELNS0_4arch9wavefront6targetE1EEEvT1_.has_indirect_call, 0
	.section	.AMDGPU.csdata,"",@progbits
; Kernel info:
; codeLenInByte = 0
; TotalNumSgprs: 6
; NumVgprs: 0
; NumAgprs: 0
; TotalNumVgprs: 0
; ScratchSize: 0
; MemoryBound: 0
; FloatMode: 240
; IeeeMode: 1
; LDSByteSize: 0 bytes/workgroup (compile time only)
; SGPRBlocks: 0
; VGPRBlocks: 0
; NumSGPRsForWavesPerEU: 6
; NumVGPRsForWavesPerEU: 1
; AccumOffset: 4
; Occupancy: 8
; WaveLimiterHint : 0
; COMPUTE_PGM_RSRC2:SCRATCH_EN: 0
; COMPUTE_PGM_RSRC2:USER_SGPR: 2
; COMPUTE_PGM_RSRC2:TRAP_HANDLER: 0
; COMPUTE_PGM_RSRC2:TGID_X_EN: 1
; COMPUTE_PGM_RSRC2:TGID_Y_EN: 0
; COMPUTE_PGM_RSRC2:TGID_Z_EN: 0
; COMPUTE_PGM_RSRC2:TIDIG_COMP_CNT: 0
; COMPUTE_PGM_RSRC3_GFX90A:ACCUM_OFFSET: 0
; COMPUTE_PGM_RSRC3_GFX90A:TG_SPLIT: 0
	.section	.text._ZN7rocprim17ROCPRIM_400000_NS6detail17trampoline_kernelINS0_14default_configENS1_35adjacent_difference_config_selectorILb0ElEEZNS1_24adjacent_difference_implIS3_Lb0ELb0EPlS7_ZN2at6native12_GLOBAL__N_124unique_dim_cuda_templateIlEESt5tupleIJNS8_6TensorESD_SD_EERKSD_lbbbEUlllE1_EE10hipError_tPvRmT2_T3_mT4_P12ihipStream_tbEUlT_E_NS1_11comp_targetILNS1_3genE5ELNS1_11target_archE942ELNS1_3gpuE9ELNS1_3repE0EEENS1_30default_config_static_selectorELNS0_4arch9wavefront6targetE1EEEvT1_,"axG",@progbits,_ZN7rocprim17ROCPRIM_400000_NS6detail17trampoline_kernelINS0_14default_configENS1_35adjacent_difference_config_selectorILb0ElEEZNS1_24adjacent_difference_implIS3_Lb0ELb0EPlS7_ZN2at6native12_GLOBAL__N_124unique_dim_cuda_templateIlEESt5tupleIJNS8_6TensorESD_SD_EERKSD_lbbbEUlllE1_EE10hipError_tPvRmT2_T3_mT4_P12ihipStream_tbEUlT_E_NS1_11comp_targetILNS1_3genE5ELNS1_11target_archE942ELNS1_3gpuE9ELNS1_3repE0EEENS1_30default_config_static_selectorELNS0_4arch9wavefront6targetE1EEEvT1_,comdat
	.globl	_ZN7rocprim17ROCPRIM_400000_NS6detail17trampoline_kernelINS0_14default_configENS1_35adjacent_difference_config_selectorILb0ElEEZNS1_24adjacent_difference_implIS3_Lb0ELb0EPlS7_ZN2at6native12_GLOBAL__N_124unique_dim_cuda_templateIlEESt5tupleIJNS8_6TensorESD_SD_EERKSD_lbbbEUlllE1_EE10hipError_tPvRmT2_T3_mT4_P12ihipStream_tbEUlT_E_NS1_11comp_targetILNS1_3genE5ELNS1_11target_archE942ELNS1_3gpuE9ELNS1_3repE0EEENS1_30default_config_static_selectorELNS0_4arch9wavefront6targetE1EEEvT1_ ; -- Begin function _ZN7rocprim17ROCPRIM_400000_NS6detail17trampoline_kernelINS0_14default_configENS1_35adjacent_difference_config_selectorILb0ElEEZNS1_24adjacent_difference_implIS3_Lb0ELb0EPlS7_ZN2at6native12_GLOBAL__N_124unique_dim_cuda_templateIlEESt5tupleIJNS8_6TensorESD_SD_EERKSD_lbbbEUlllE1_EE10hipError_tPvRmT2_T3_mT4_P12ihipStream_tbEUlT_E_NS1_11comp_targetILNS1_3genE5ELNS1_11target_archE942ELNS1_3gpuE9ELNS1_3repE0EEENS1_30default_config_static_selectorELNS0_4arch9wavefront6targetE1EEEvT1_
	.p2align	8
	.type	_ZN7rocprim17ROCPRIM_400000_NS6detail17trampoline_kernelINS0_14default_configENS1_35adjacent_difference_config_selectorILb0ElEEZNS1_24adjacent_difference_implIS3_Lb0ELb0EPlS7_ZN2at6native12_GLOBAL__N_124unique_dim_cuda_templateIlEESt5tupleIJNS8_6TensorESD_SD_EERKSD_lbbbEUlllE1_EE10hipError_tPvRmT2_T3_mT4_P12ihipStream_tbEUlT_E_NS1_11comp_targetILNS1_3genE5ELNS1_11target_archE942ELNS1_3gpuE9ELNS1_3repE0EEENS1_30default_config_static_selectorELNS0_4arch9wavefront6targetE1EEEvT1_,@function
_ZN7rocprim17ROCPRIM_400000_NS6detail17trampoline_kernelINS0_14default_configENS1_35adjacent_difference_config_selectorILb0ElEEZNS1_24adjacent_difference_implIS3_Lb0ELb0EPlS7_ZN2at6native12_GLOBAL__N_124unique_dim_cuda_templateIlEESt5tupleIJNS8_6TensorESD_SD_EERKSD_lbbbEUlllE1_EE10hipError_tPvRmT2_T3_mT4_P12ihipStream_tbEUlT_E_NS1_11comp_targetILNS1_3genE5ELNS1_11target_archE942ELNS1_3gpuE9ELNS1_3repE0EEENS1_30default_config_static_selectorELNS0_4arch9wavefront6targetE1EEEvT1_: ; @_ZN7rocprim17ROCPRIM_400000_NS6detail17trampoline_kernelINS0_14default_configENS1_35adjacent_difference_config_selectorILb0ElEEZNS1_24adjacent_difference_implIS3_Lb0ELb0EPlS7_ZN2at6native12_GLOBAL__N_124unique_dim_cuda_templateIlEESt5tupleIJNS8_6TensorESD_SD_EERKSD_lbbbEUlllE1_EE10hipError_tPvRmT2_T3_mT4_P12ihipStream_tbEUlT_E_NS1_11comp_targetILNS1_3genE5ELNS1_11target_archE942ELNS1_3gpuE9ELNS1_3repE0EEENS1_30default_config_static_selectorELNS0_4arch9wavefront6targetE1EEEvT1_
; %bb.0:
	.section	.rodata,"a",@progbits
	.p2align	6, 0x0
	.amdhsa_kernel _ZN7rocprim17ROCPRIM_400000_NS6detail17trampoline_kernelINS0_14default_configENS1_35adjacent_difference_config_selectorILb0ElEEZNS1_24adjacent_difference_implIS3_Lb0ELb0EPlS7_ZN2at6native12_GLOBAL__N_124unique_dim_cuda_templateIlEESt5tupleIJNS8_6TensorESD_SD_EERKSD_lbbbEUlllE1_EE10hipError_tPvRmT2_T3_mT4_P12ihipStream_tbEUlT_E_NS1_11comp_targetILNS1_3genE5ELNS1_11target_archE942ELNS1_3gpuE9ELNS1_3repE0EEENS1_30default_config_static_selectorELNS0_4arch9wavefront6targetE1EEEvT1_
		.amdhsa_group_segment_fixed_size 0
		.amdhsa_private_segment_fixed_size 0
		.amdhsa_kernarg_size 64
		.amdhsa_user_sgpr_count 2
		.amdhsa_user_sgpr_dispatch_ptr 0
		.amdhsa_user_sgpr_queue_ptr 0
		.amdhsa_user_sgpr_kernarg_segment_ptr 1
		.amdhsa_user_sgpr_dispatch_id 0
		.amdhsa_user_sgpr_kernarg_preload_length 0
		.amdhsa_user_sgpr_kernarg_preload_offset 0
		.amdhsa_user_sgpr_private_segment_size 0
		.amdhsa_uses_dynamic_stack 0
		.amdhsa_enable_private_segment 0
		.amdhsa_system_sgpr_workgroup_id_x 1
		.amdhsa_system_sgpr_workgroup_id_y 0
		.amdhsa_system_sgpr_workgroup_id_z 0
		.amdhsa_system_sgpr_workgroup_info 0
		.amdhsa_system_vgpr_workitem_id 0
		.amdhsa_next_free_vgpr 1
		.amdhsa_next_free_sgpr 0
		.amdhsa_accum_offset 4
		.amdhsa_reserve_vcc 0
		.amdhsa_float_round_mode_32 0
		.amdhsa_float_round_mode_16_64 0
		.amdhsa_float_denorm_mode_32 3
		.amdhsa_float_denorm_mode_16_64 3
		.amdhsa_dx10_clamp 1
		.amdhsa_ieee_mode 1
		.amdhsa_fp16_overflow 0
		.amdhsa_tg_split 0
		.amdhsa_exception_fp_ieee_invalid_op 0
		.amdhsa_exception_fp_denorm_src 0
		.amdhsa_exception_fp_ieee_div_zero 0
		.amdhsa_exception_fp_ieee_overflow 0
		.amdhsa_exception_fp_ieee_underflow 0
		.amdhsa_exception_fp_ieee_inexact 0
		.amdhsa_exception_int_div_zero 0
	.end_amdhsa_kernel
	.section	.text._ZN7rocprim17ROCPRIM_400000_NS6detail17trampoline_kernelINS0_14default_configENS1_35adjacent_difference_config_selectorILb0ElEEZNS1_24adjacent_difference_implIS3_Lb0ELb0EPlS7_ZN2at6native12_GLOBAL__N_124unique_dim_cuda_templateIlEESt5tupleIJNS8_6TensorESD_SD_EERKSD_lbbbEUlllE1_EE10hipError_tPvRmT2_T3_mT4_P12ihipStream_tbEUlT_E_NS1_11comp_targetILNS1_3genE5ELNS1_11target_archE942ELNS1_3gpuE9ELNS1_3repE0EEENS1_30default_config_static_selectorELNS0_4arch9wavefront6targetE1EEEvT1_,"axG",@progbits,_ZN7rocprim17ROCPRIM_400000_NS6detail17trampoline_kernelINS0_14default_configENS1_35adjacent_difference_config_selectorILb0ElEEZNS1_24adjacent_difference_implIS3_Lb0ELb0EPlS7_ZN2at6native12_GLOBAL__N_124unique_dim_cuda_templateIlEESt5tupleIJNS8_6TensorESD_SD_EERKSD_lbbbEUlllE1_EE10hipError_tPvRmT2_T3_mT4_P12ihipStream_tbEUlT_E_NS1_11comp_targetILNS1_3genE5ELNS1_11target_archE942ELNS1_3gpuE9ELNS1_3repE0EEENS1_30default_config_static_selectorELNS0_4arch9wavefront6targetE1EEEvT1_,comdat
.Lfunc_end540:
	.size	_ZN7rocprim17ROCPRIM_400000_NS6detail17trampoline_kernelINS0_14default_configENS1_35adjacent_difference_config_selectorILb0ElEEZNS1_24adjacent_difference_implIS3_Lb0ELb0EPlS7_ZN2at6native12_GLOBAL__N_124unique_dim_cuda_templateIlEESt5tupleIJNS8_6TensorESD_SD_EERKSD_lbbbEUlllE1_EE10hipError_tPvRmT2_T3_mT4_P12ihipStream_tbEUlT_E_NS1_11comp_targetILNS1_3genE5ELNS1_11target_archE942ELNS1_3gpuE9ELNS1_3repE0EEENS1_30default_config_static_selectorELNS0_4arch9wavefront6targetE1EEEvT1_, .Lfunc_end540-_ZN7rocprim17ROCPRIM_400000_NS6detail17trampoline_kernelINS0_14default_configENS1_35adjacent_difference_config_selectorILb0ElEEZNS1_24adjacent_difference_implIS3_Lb0ELb0EPlS7_ZN2at6native12_GLOBAL__N_124unique_dim_cuda_templateIlEESt5tupleIJNS8_6TensorESD_SD_EERKSD_lbbbEUlllE1_EE10hipError_tPvRmT2_T3_mT4_P12ihipStream_tbEUlT_E_NS1_11comp_targetILNS1_3genE5ELNS1_11target_archE942ELNS1_3gpuE9ELNS1_3repE0EEENS1_30default_config_static_selectorELNS0_4arch9wavefront6targetE1EEEvT1_
                                        ; -- End function
	.set _ZN7rocprim17ROCPRIM_400000_NS6detail17trampoline_kernelINS0_14default_configENS1_35adjacent_difference_config_selectorILb0ElEEZNS1_24adjacent_difference_implIS3_Lb0ELb0EPlS7_ZN2at6native12_GLOBAL__N_124unique_dim_cuda_templateIlEESt5tupleIJNS8_6TensorESD_SD_EERKSD_lbbbEUlllE1_EE10hipError_tPvRmT2_T3_mT4_P12ihipStream_tbEUlT_E_NS1_11comp_targetILNS1_3genE5ELNS1_11target_archE942ELNS1_3gpuE9ELNS1_3repE0EEENS1_30default_config_static_selectorELNS0_4arch9wavefront6targetE1EEEvT1_.num_vgpr, 0
	.set _ZN7rocprim17ROCPRIM_400000_NS6detail17trampoline_kernelINS0_14default_configENS1_35adjacent_difference_config_selectorILb0ElEEZNS1_24adjacent_difference_implIS3_Lb0ELb0EPlS7_ZN2at6native12_GLOBAL__N_124unique_dim_cuda_templateIlEESt5tupleIJNS8_6TensorESD_SD_EERKSD_lbbbEUlllE1_EE10hipError_tPvRmT2_T3_mT4_P12ihipStream_tbEUlT_E_NS1_11comp_targetILNS1_3genE5ELNS1_11target_archE942ELNS1_3gpuE9ELNS1_3repE0EEENS1_30default_config_static_selectorELNS0_4arch9wavefront6targetE1EEEvT1_.num_agpr, 0
	.set _ZN7rocprim17ROCPRIM_400000_NS6detail17trampoline_kernelINS0_14default_configENS1_35adjacent_difference_config_selectorILb0ElEEZNS1_24adjacent_difference_implIS3_Lb0ELb0EPlS7_ZN2at6native12_GLOBAL__N_124unique_dim_cuda_templateIlEESt5tupleIJNS8_6TensorESD_SD_EERKSD_lbbbEUlllE1_EE10hipError_tPvRmT2_T3_mT4_P12ihipStream_tbEUlT_E_NS1_11comp_targetILNS1_3genE5ELNS1_11target_archE942ELNS1_3gpuE9ELNS1_3repE0EEENS1_30default_config_static_selectorELNS0_4arch9wavefront6targetE1EEEvT1_.numbered_sgpr, 0
	.set _ZN7rocprim17ROCPRIM_400000_NS6detail17trampoline_kernelINS0_14default_configENS1_35adjacent_difference_config_selectorILb0ElEEZNS1_24adjacent_difference_implIS3_Lb0ELb0EPlS7_ZN2at6native12_GLOBAL__N_124unique_dim_cuda_templateIlEESt5tupleIJNS8_6TensorESD_SD_EERKSD_lbbbEUlllE1_EE10hipError_tPvRmT2_T3_mT4_P12ihipStream_tbEUlT_E_NS1_11comp_targetILNS1_3genE5ELNS1_11target_archE942ELNS1_3gpuE9ELNS1_3repE0EEENS1_30default_config_static_selectorELNS0_4arch9wavefront6targetE1EEEvT1_.num_named_barrier, 0
	.set _ZN7rocprim17ROCPRIM_400000_NS6detail17trampoline_kernelINS0_14default_configENS1_35adjacent_difference_config_selectorILb0ElEEZNS1_24adjacent_difference_implIS3_Lb0ELb0EPlS7_ZN2at6native12_GLOBAL__N_124unique_dim_cuda_templateIlEESt5tupleIJNS8_6TensorESD_SD_EERKSD_lbbbEUlllE1_EE10hipError_tPvRmT2_T3_mT4_P12ihipStream_tbEUlT_E_NS1_11comp_targetILNS1_3genE5ELNS1_11target_archE942ELNS1_3gpuE9ELNS1_3repE0EEENS1_30default_config_static_selectorELNS0_4arch9wavefront6targetE1EEEvT1_.private_seg_size, 0
	.set _ZN7rocprim17ROCPRIM_400000_NS6detail17trampoline_kernelINS0_14default_configENS1_35adjacent_difference_config_selectorILb0ElEEZNS1_24adjacent_difference_implIS3_Lb0ELb0EPlS7_ZN2at6native12_GLOBAL__N_124unique_dim_cuda_templateIlEESt5tupleIJNS8_6TensorESD_SD_EERKSD_lbbbEUlllE1_EE10hipError_tPvRmT2_T3_mT4_P12ihipStream_tbEUlT_E_NS1_11comp_targetILNS1_3genE5ELNS1_11target_archE942ELNS1_3gpuE9ELNS1_3repE0EEENS1_30default_config_static_selectorELNS0_4arch9wavefront6targetE1EEEvT1_.uses_vcc, 0
	.set _ZN7rocprim17ROCPRIM_400000_NS6detail17trampoline_kernelINS0_14default_configENS1_35adjacent_difference_config_selectorILb0ElEEZNS1_24adjacent_difference_implIS3_Lb0ELb0EPlS7_ZN2at6native12_GLOBAL__N_124unique_dim_cuda_templateIlEESt5tupleIJNS8_6TensorESD_SD_EERKSD_lbbbEUlllE1_EE10hipError_tPvRmT2_T3_mT4_P12ihipStream_tbEUlT_E_NS1_11comp_targetILNS1_3genE5ELNS1_11target_archE942ELNS1_3gpuE9ELNS1_3repE0EEENS1_30default_config_static_selectorELNS0_4arch9wavefront6targetE1EEEvT1_.uses_flat_scratch, 0
	.set _ZN7rocprim17ROCPRIM_400000_NS6detail17trampoline_kernelINS0_14default_configENS1_35adjacent_difference_config_selectorILb0ElEEZNS1_24adjacent_difference_implIS3_Lb0ELb0EPlS7_ZN2at6native12_GLOBAL__N_124unique_dim_cuda_templateIlEESt5tupleIJNS8_6TensorESD_SD_EERKSD_lbbbEUlllE1_EE10hipError_tPvRmT2_T3_mT4_P12ihipStream_tbEUlT_E_NS1_11comp_targetILNS1_3genE5ELNS1_11target_archE942ELNS1_3gpuE9ELNS1_3repE0EEENS1_30default_config_static_selectorELNS0_4arch9wavefront6targetE1EEEvT1_.has_dyn_sized_stack, 0
	.set _ZN7rocprim17ROCPRIM_400000_NS6detail17trampoline_kernelINS0_14default_configENS1_35adjacent_difference_config_selectorILb0ElEEZNS1_24adjacent_difference_implIS3_Lb0ELb0EPlS7_ZN2at6native12_GLOBAL__N_124unique_dim_cuda_templateIlEESt5tupleIJNS8_6TensorESD_SD_EERKSD_lbbbEUlllE1_EE10hipError_tPvRmT2_T3_mT4_P12ihipStream_tbEUlT_E_NS1_11comp_targetILNS1_3genE5ELNS1_11target_archE942ELNS1_3gpuE9ELNS1_3repE0EEENS1_30default_config_static_selectorELNS0_4arch9wavefront6targetE1EEEvT1_.has_recursion, 0
	.set _ZN7rocprim17ROCPRIM_400000_NS6detail17trampoline_kernelINS0_14default_configENS1_35adjacent_difference_config_selectorILb0ElEEZNS1_24adjacent_difference_implIS3_Lb0ELb0EPlS7_ZN2at6native12_GLOBAL__N_124unique_dim_cuda_templateIlEESt5tupleIJNS8_6TensorESD_SD_EERKSD_lbbbEUlllE1_EE10hipError_tPvRmT2_T3_mT4_P12ihipStream_tbEUlT_E_NS1_11comp_targetILNS1_3genE5ELNS1_11target_archE942ELNS1_3gpuE9ELNS1_3repE0EEENS1_30default_config_static_selectorELNS0_4arch9wavefront6targetE1EEEvT1_.has_indirect_call, 0
	.section	.AMDGPU.csdata,"",@progbits
; Kernel info:
; codeLenInByte = 0
; TotalNumSgprs: 6
; NumVgprs: 0
; NumAgprs: 0
; TotalNumVgprs: 0
; ScratchSize: 0
; MemoryBound: 0
; FloatMode: 240
; IeeeMode: 1
; LDSByteSize: 0 bytes/workgroup (compile time only)
; SGPRBlocks: 0
; VGPRBlocks: 0
; NumSGPRsForWavesPerEU: 6
; NumVGPRsForWavesPerEU: 1
; AccumOffset: 4
; Occupancy: 8
; WaveLimiterHint : 0
; COMPUTE_PGM_RSRC2:SCRATCH_EN: 0
; COMPUTE_PGM_RSRC2:USER_SGPR: 2
; COMPUTE_PGM_RSRC2:TRAP_HANDLER: 0
; COMPUTE_PGM_RSRC2:TGID_X_EN: 1
; COMPUTE_PGM_RSRC2:TGID_Y_EN: 0
; COMPUTE_PGM_RSRC2:TGID_Z_EN: 0
; COMPUTE_PGM_RSRC2:TIDIG_COMP_CNT: 0
; COMPUTE_PGM_RSRC3_GFX90A:ACCUM_OFFSET: 0
; COMPUTE_PGM_RSRC3_GFX90A:TG_SPLIT: 0
	.section	.text._ZN7rocprim17ROCPRIM_400000_NS6detail17trampoline_kernelINS0_14default_configENS1_35adjacent_difference_config_selectorILb0ElEEZNS1_24adjacent_difference_implIS3_Lb0ELb0EPlS7_ZN2at6native12_GLOBAL__N_124unique_dim_cuda_templateIlEESt5tupleIJNS8_6TensorESD_SD_EERKSD_lbbbEUlllE1_EE10hipError_tPvRmT2_T3_mT4_P12ihipStream_tbEUlT_E_NS1_11comp_targetILNS1_3genE4ELNS1_11target_archE910ELNS1_3gpuE8ELNS1_3repE0EEENS1_30default_config_static_selectorELNS0_4arch9wavefront6targetE1EEEvT1_,"axG",@progbits,_ZN7rocprim17ROCPRIM_400000_NS6detail17trampoline_kernelINS0_14default_configENS1_35adjacent_difference_config_selectorILb0ElEEZNS1_24adjacent_difference_implIS3_Lb0ELb0EPlS7_ZN2at6native12_GLOBAL__N_124unique_dim_cuda_templateIlEESt5tupleIJNS8_6TensorESD_SD_EERKSD_lbbbEUlllE1_EE10hipError_tPvRmT2_T3_mT4_P12ihipStream_tbEUlT_E_NS1_11comp_targetILNS1_3genE4ELNS1_11target_archE910ELNS1_3gpuE8ELNS1_3repE0EEENS1_30default_config_static_selectorELNS0_4arch9wavefront6targetE1EEEvT1_,comdat
	.globl	_ZN7rocprim17ROCPRIM_400000_NS6detail17trampoline_kernelINS0_14default_configENS1_35adjacent_difference_config_selectorILb0ElEEZNS1_24adjacent_difference_implIS3_Lb0ELb0EPlS7_ZN2at6native12_GLOBAL__N_124unique_dim_cuda_templateIlEESt5tupleIJNS8_6TensorESD_SD_EERKSD_lbbbEUlllE1_EE10hipError_tPvRmT2_T3_mT4_P12ihipStream_tbEUlT_E_NS1_11comp_targetILNS1_3genE4ELNS1_11target_archE910ELNS1_3gpuE8ELNS1_3repE0EEENS1_30default_config_static_selectorELNS0_4arch9wavefront6targetE1EEEvT1_ ; -- Begin function _ZN7rocprim17ROCPRIM_400000_NS6detail17trampoline_kernelINS0_14default_configENS1_35adjacent_difference_config_selectorILb0ElEEZNS1_24adjacent_difference_implIS3_Lb0ELb0EPlS7_ZN2at6native12_GLOBAL__N_124unique_dim_cuda_templateIlEESt5tupleIJNS8_6TensorESD_SD_EERKSD_lbbbEUlllE1_EE10hipError_tPvRmT2_T3_mT4_P12ihipStream_tbEUlT_E_NS1_11comp_targetILNS1_3genE4ELNS1_11target_archE910ELNS1_3gpuE8ELNS1_3repE0EEENS1_30default_config_static_selectorELNS0_4arch9wavefront6targetE1EEEvT1_
	.p2align	8
	.type	_ZN7rocprim17ROCPRIM_400000_NS6detail17trampoline_kernelINS0_14default_configENS1_35adjacent_difference_config_selectorILb0ElEEZNS1_24adjacent_difference_implIS3_Lb0ELb0EPlS7_ZN2at6native12_GLOBAL__N_124unique_dim_cuda_templateIlEESt5tupleIJNS8_6TensorESD_SD_EERKSD_lbbbEUlllE1_EE10hipError_tPvRmT2_T3_mT4_P12ihipStream_tbEUlT_E_NS1_11comp_targetILNS1_3genE4ELNS1_11target_archE910ELNS1_3gpuE8ELNS1_3repE0EEENS1_30default_config_static_selectorELNS0_4arch9wavefront6targetE1EEEvT1_,@function
_ZN7rocprim17ROCPRIM_400000_NS6detail17trampoline_kernelINS0_14default_configENS1_35adjacent_difference_config_selectorILb0ElEEZNS1_24adjacent_difference_implIS3_Lb0ELb0EPlS7_ZN2at6native12_GLOBAL__N_124unique_dim_cuda_templateIlEESt5tupleIJNS8_6TensorESD_SD_EERKSD_lbbbEUlllE1_EE10hipError_tPvRmT2_T3_mT4_P12ihipStream_tbEUlT_E_NS1_11comp_targetILNS1_3genE4ELNS1_11target_archE910ELNS1_3gpuE8ELNS1_3repE0EEENS1_30default_config_static_selectorELNS0_4arch9wavefront6targetE1EEEvT1_: ; @_ZN7rocprim17ROCPRIM_400000_NS6detail17trampoline_kernelINS0_14default_configENS1_35adjacent_difference_config_selectorILb0ElEEZNS1_24adjacent_difference_implIS3_Lb0ELb0EPlS7_ZN2at6native12_GLOBAL__N_124unique_dim_cuda_templateIlEESt5tupleIJNS8_6TensorESD_SD_EERKSD_lbbbEUlllE1_EE10hipError_tPvRmT2_T3_mT4_P12ihipStream_tbEUlT_E_NS1_11comp_targetILNS1_3genE4ELNS1_11target_archE910ELNS1_3gpuE8ELNS1_3repE0EEENS1_30default_config_static_selectorELNS0_4arch9wavefront6targetE1EEEvT1_
; %bb.0:
	.section	.rodata,"a",@progbits
	.p2align	6, 0x0
	.amdhsa_kernel _ZN7rocprim17ROCPRIM_400000_NS6detail17trampoline_kernelINS0_14default_configENS1_35adjacent_difference_config_selectorILb0ElEEZNS1_24adjacent_difference_implIS3_Lb0ELb0EPlS7_ZN2at6native12_GLOBAL__N_124unique_dim_cuda_templateIlEESt5tupleIJNS8_6TensorESD_SD_EERKSD_lbbbEUlllE1_EE10hipError_tPvRmT2_T3_mT4_P12ihipStream_tbEUlT_E_NS1_11comp_targetILNS1_3genE4ELNS1_11target_archE910ELNS1_3gpuE8ELNS1_3repE0EEENS1_30default_config_static_selectorELNS0_4arch9wavefront6targetE1EEEvT1_
		.amdhsa_group_segment_fixed_size 0
		.amdhsa_private_segment_fixed_size 0
		.amdhsa_kernarg_size 64
		.amdhsa_user_sgpr_count 2
		.amdhsa_user_sgpr_dispatch_ptr 0
		.amdhsa_user_sgpr_queue_ptr 0
		.amdhsa_user_sgpr_kernarg_segment_ptr 1
		.amdhsa_user_sgpr_dispatch_id 0
		.amdhsa_user_sgpr_kernarg_preload_length 0
		.amdhsa_user_sgpr_kernarg_preload_offset 0
		.amdhsa_user_sgpr_private_segment_size 0
		.amdhsa_uses_dynamic_stack 0
		.amdhsa_enable_private_segment 0
		.amdhsa_system_sgpr_workgroup_id_x 1
		.amdhsa_system_sgpr_workgroup_id_y 0
		.amdhsa_system_sgpr_workgroup_id_z 0
		.amdhsa_system_sgpr_workgroup_info 0
		.amdhsa_system_vgpr_workitem_id 0
		.amdhsa_next_free_vgpr 1
		.amdhsa_next_free_sgpr 0
		.amdhsa_accum_offset 4
		.amdhsa_reserve_vcc 0
		.amdhsa_float_round_mode_32 0
		.amdhsa_float_round_mode_16_64 0
		.amdhsa_float_denorm_mode_32 3
		.amdhsa_float_denorm_mode_16_64 3
		.amdhsa_dx10_clamp 1
		.amdhsa_ieee_mode 1
		.amdhsa_fp16_overflow 0
		.amdhsa_tg_split 0
		.amdhsa_exception_fp_ieee_invalid_op 0
		.amdhsa_exception_fp_denorm_src 0
		.amdhsa_exception_fp_ieee_div_zero 0
		.amdhsa_exception_fp_ieee_overflow 0
		.amdhsa_exception_fp_ieee_underflow 0
		.amdhsa_exception_fp_ieee_inexact 0
		.amdhsa_exception_int_div_zero 0
	.end_amdhsa_kernel
	.section	.text._ZN7rocprim17ROCPRIM_400000_NS6detail17trampoline_kernelINS0_14default_configENS1_35adjacent_difference_config_selectorILb0ElEEZNS1_24adjacent_difference_implIS3_Lb0ELb0EPlS7_ZN2at6native12_GLOBAL__N_124unique_dim_cuda_templateIlEESt5tupleIJNS8_6TensorESD_SD_EERKSD_lbbbEUlllE1_EE10hipError_tPvRmT2_T3_mT4_P12ihipStream_tbEUlT_E_NS1_11comp_targetILNS1_3genE4ELNS1_11target_archE910ELNS1_3gpuE8ELNS1_3repE0EEENS1_30default_config_static_selectorELNS0_4arch9wavefront6targetE1EEEvT1_,"axG",@progbits,_ZN7rocprim17ROCPRIM_400000_NS6detail17trampoline_kernelINS0_14default_configENS1_35adjacent_difference_config_selectorILb0ElEEZNS1_24adjacent_difference_implIS3_Lb0ELb0EPlS7_ZN2at6native12_GLOBAL__N_124unique_dim_cuda_templateIlEESt5tupleIJNS8_6TensorESD_SD_EERKSD_lbbbEUlllE1_EE10hipError_tPvRmT2_T3_mT4_P12ihipStream_tbEUlT_E_NS1_11comp_targetILNS1_3genE4ELNS1_11target_archE910ELNS1_3gpuE8ELNS1_3repE0EEENS1_30default_config_static_selectorELNS0_4arch9wavefront6targetE1EEEvT1_,comdat
.Lfunc_end541:
	.size	_ZN7rocprim17ROCPRIM_400000_NS6detail17trampoline_kernelINS0_14default_configENS1_35adjacent_difference_config_selectorILb0ElEEZNS1_24adjacent_difference_implIS3_Lb0ELb0EPlS7_ZN2at6native12_GLOBAL__N_124unique_dim_cuda_templateIlEESt5tupleIJNS8_6TensorESD_SD_EERKSD_lbbbEUlllE1_EE10hipError_tPvRmT2_T3_mT4_P12ihipStream_tbEUlT_E_NS1_11comp_targetILNS1_3genE4ELNS1_11target_archE910ELNS1_3gpuE8ELNS1_3repE0EEENS1_30default_config_static_selectorELNS0_4arch9wavefront6targetE1EEEvT1_, .Lfunc_end541-_ZN7rocprim17ROCPRIM_400000_NS6detail17trampoline_kernelINS0_14default_configENS1_35adjacent_difference_config_selectorILb0ElEEZNS1_24adjacent_difference_implIS3_Lb0ELb0EPlS7_ZN2at6native12_GLOBAL__N_124unique_dim_cuda_templateIlEESt5tupleIJNS8_6TensorESD_SD_EERKSD_lbbbEUlllE1_EE10hipError_tPvRmT2_T3_mT4_P12ihipStream_tbEUlT_E_NS1_11comp_targetILNS1_3genE4ELNS1_11target_archE910ELNS1_3gpuE8ELNS1_3repE0EEENS1_30default_config_static_selectorELNS0_4arch9wavefront6targetE1EEEvT1_
                                        ; -- End function
	.set _ZN7rocprim17ROCPRIM_400000_NS6detail17trampoline_kernelINS0_14default_configENS1_35adjacent_difference_config_selectorILb0ElEEZNS1_24adjacent_difference_implIS3_Lb0ELb0EPlS7_ZN2at6native12_GLOBAL__N_124unique_dim_cuda_templateIlEESt5tupleIJNS8_6TensorESD_SD_EERKSD_lbbbEUlllE1_EE10hipError_tPvRmT2_T3_mT4_P12ihipStream_tbEUlT_E_NS1_11comp_targetILNS1_3genE4ELNS1_11target_archE910ELNS1_3gpuE8ELNS1_3repE0EEENS1_30default_config_static_selectorELNS0_4arch9wavefront6targetE1EEEvT1_.num_vgpr, 0
	.set _ZN7rocprim17ROCPRIM_400000_NS6detail17trampoline_kernelINS0_14default_configENS1_35adjacent_difference_config_selectorILb0ElEEZNS1_24adjacent_difference_implIS3_Lb0ELb0EPlS7_ZN2at6native12_GLOBAL__N_124unique_dim_cuda_templateIlEESt5tupleIJNS8_6TensorESD_SD_EERKSD_lbbbEUlllE1_EE10hipError_tPvRmT2_T3_mT4_P12ihipStream_tbEUlT_E_NS1_11comp_targetILNS1_3genE4ELNS1_11target_archE910ELNS1_3gpuE8ELNS1_3repE0EEENS1_30default_config_static_selectorELNS0_4arch9wavefront6targetE1EEEvT1_.num_agpr, 0
	.set _ZN7rocprim17ROCPRIM_400000_NS6detail17trampoline_kernelINS0_14default_configENS1_35adjacent_difference_config_selectorILb0ElEEZNS1_24adjacent_difference_implIS3_Lb0ELb0EPlS7_ZN2at6native12_GLOBAL__N_124unique_dim_cuda_templateIlEESt5tupleIJNS8_6TensorESD_SD_EERKSD_lbbbEUlllE1_EE10hipError_tPvRmT2_T3_mT4_P12ihipStream_tbEUlT_E_NS1_11comp_targetILNS1_3genE4ELNS1_11target_archE910ELNS1_3gpuE8ELNS1_3repE0EEENS1_30default_config_static_selectorELNS0_4arch9wavefront6targetE1EEEvT1_.numbered_sgpr, 0
	.set _ZN7rocprim17ROCPRIM_400000_NS6detail17trampoline_kernelINS0_14default_configENS1_35adjacent_difference_config_selectorILb0ElEEZNS1_24adjacent_difference_implIS3_Lb0ELb0EPlS7_ZN2at6native12_GLOBAL__N_124unique_dim_cuda_templateIlEESt5tupleIJNS8_6TensorESD_SD_EERKSD_lbbbEUlllE1_EE10hipError_tPvRmT2_T3_mT4_P12ihipStream_tbEUlT_E_NS1_11comp_targetILNS1_3genE4ELNS1_11target_archE910ELNS1_3gpuE8ELNS1_3repE0EEENS1_30default_config_static_selectorELNS0_4arch9wavefront6targetE1EEEvT1_.num_named_barrier, 0
	.set _ZN7rocprim17ROCPRIM_400000_NS6detail17trampoline_kernelINS0_14default_configENS1_35adjacent_difference_config_selectorILb0ElEEZNS1_24adjacent_difference_implIS3_Lb0ELb0EPlS7_ZN2at6native12_GLOBAL__N_124unique_dim_cuda_templateIlEESt5tupleIJNS8_6TensorESD_SD_EERKSD_lbbbEUlllE1_EE10hipError_tPvRmT2_T3_mT4_P12ihipStream_tbEUlT_E_NS1_11comp_targetILNS1_3genE4ELNS1_11target_archE910ELNS1_3gpuE8ELNS1_3repE0EEENS1_30default_config_static_selectorELNS0_4arch9wavefront6targetE1EEEvT1_.private_seg_size, 0
	.set _ZN7rocprim17ROCPRIM_400000_NS6detail17trampoline_kernelINS0_14default_configENS1_35adjacent_difference_config_selectorILb0ElEEZNS1_24adjacent_difference_implIS3_Lb0ELb0EPlS7_ZN2at6native12_GLOBAL__N_124unique_dim_cuda_templateIlEESt5tupleIJNS8_6TensorESD_SD_EERKSD_lbbbEUlllE1_EE10hipError_tPvRmT2_T3_mT4_P12ihipStream_tbEUlT_E_NS1_11comp_targetILNS1_3genE4ELNS1_11target_archE910ELNS1_3gpuE8ELNS1_3repE0EEENS1_30default_config_static_selectorELNS0_4arch9wavefront6targetE1EEEvT1_.uses_vcc, 0
	.set _ZN7rocprim17ROCPRIM_400000_NS6detail17trampoline_kernelINS0_14default_configENS1_35adjacent_difference_config_selectorILb0ElEEZNS1_24adjacent_difference_implIS3_Lb0ELb0EPlS7_ZN2at6native12_GLOBAL__N_124unique_dim_cuda_templateIlEESt5tupleIJNS8_6TensorESD_SD_EERKSD_lbbbEUlllE1_EE10hipError_tPvRmT2_T3_mT4_P12ihipStream_tbEUlT_E_NS1_11comp_targetILNS1_3genE4ELNS1_11target_archE910ELNS1_3gpuE8ELNS1_3repE0EEENS1_30default_config_static_selectorELNS0_4arch9wavefront6targetE1EEEvT1_.uses_flat_scratch, 0
	.set _ZN7rocprim17ROCPRIM_400000_NS6detail17trampoline_kernelINS0_14default_configENS1_35adjacent_difference_config_selectorILb0ElEEZNS1_24adjacent_difference_implIS3_Lb0ELb0EPlS7_ZN2at6native12_GLOBAL__N_124unique_dim_cuda_templateIlEESt5tupleIJNS8_6TensorESD_SD_EERKSD_lbbbEUlllE1_EE10hipError_tPvRmT2_T3_mT4_P12ihipStream_tbEUlT_E_NS1_11comp_targetILNS1_3genE4ELNS1_11target_archE910ELNS1_3gpuE8ELNS1_3repE0EEENS1_30default_config_static_selectorELNS0_4arch9wavefront6targetE1EEEvT1_.has_dyn_sized_stack, 0
	.set _ZN7rocprim17ROCPRIM_400000_NS6detail17trampoline_kernelINS0_14default_configENS1_35adjacent_difference_config_selectorILb0ElEEZNS1_24adjacent_difference_implIS3_Lb0ELb0EPlS7_ZN2at6native12_GLOBAL__N_124unique_dim_cuda_templateIlEESt5tupleIJNS8_6TensorESD_SD_EERKSD_lbbbEUlllE1_EE10hipError_tPvRmT2_T3_mT4_P12ihipStream_tbEUlT_E_NS1_11comp_targetILNS1_3genE4ELNS1_11target_archE910ELNS1_3gpuE8ELNS1_3repE0EEENS1_30default_config_static_selectorELNS0_4arch9wavefront6targetE1EEEvT1_.has_recursion, 0
	.set _ZN7rocprim17ROCPRIM_400000_NS6detail17trampoline_kernelINS0_14default_configENS1_35adjacent_difference_config_selectorILb0ElEEZNS1_24adjacent_difference_implIS3_Lb0ELb0EPlS7_ZN2at6native12_GLOBAL__N_124unique_dim_cuda_templateIlEESt5tupleIJNS8_6TensorESD_SD_EERKSD_lbbbEUlllE1_EE10hipError_tPvRmT2_T3_mT4_P12ihipStream_tbEUlT_E_NS1_11comp_targetILNS1_3genE4ELNS1_11target_archE910ELNS1_3gpuE8ELNS1_3repE0EEENS1_30default_config_static_selectorELNS0_4arch9wavefront6targetE1EEEvT1_.has_indirect_call, 0
	.section	.AMDGPU.csdata,"",@progbits
; Kernel info:
; codeLenInByte = 0
; TotalNumSgprs: 6
; NumVgprs: 0
; NumAgprs: 0
; TotalNumVgprs: 0
; ScratchSize: 0
; MemoryBound: 0
; FloatMode: 240
; IeeeMode: 1
; LDSByteSize: 0 bytes/workgroup (compile time only)
; SGPRBlocks: 0
; VGPRBlocks: 0
; NumSGPRsForWavesPerEU: 6
; NumVGPRsForWavesPerEU: 1
; AccumOffset: 4
; Occupancy: 8
; WaveLimiterHint : 0
; COMPUTE_PGM_RSRC2:SCRATCH_EN: 0
; COMPUTE_PGM_RSRC2:USER_SGPR: 2
; COMPUTE_PGM_RSRC2:TRAP_HANDLER: 0
; COMPUTE_PGM_RSRC2:TGID_X_EN: 1
; COMPUTE_PGM_RSRC2:TGID_Y_EN: 0
; COMPUTE_PGM_RSRC2:TGID_Z_EN: 0
; COMPUTE_PGM_RSRC2:TIDIG_COMP_CNT: 0
; COMPUTE_PGM_RSRC3_GFX90A:ACCUM_OFFSET: 0
; COMPUTE_PGM_RSRC3_GFX90A:TG_SPLIT: 0
	.section	.text._ZN7rocprim17ROCPRIM_400000_NS6detail17trampoline_kernelINS0_14default_configENS1_35adjacent_difference_config_selectorILb0ElEEZNS1_24adjacent_difference_implIS3_Lb0ELb0EPlS7_ZN2at6native12_GLOBAL__N_124unique_dim_cuda_templateIlEESt5tupleIJNS8_6TensorESD_SD_EERKSD_lbbbEUlllE1_EE10hipError_tPvRmT2_T3_mT4_P12ihipStream_tbEUlT_E_NS1_11comp_targetILNS1_3genE3ELNS1_11target_archE908ELNS1_3gpuE7ELNS1_3repE0EEENS1_30default_config_static_selectorELNS0_4arch9wavefront6targetE1EEEvT1_,"axG",@progbits,_ZN7rocprim17ROCPRIM_400000_NS6detail17trampoline_kernelINS0_14default_configENS1_35adjacent_difference_config_selectorILb0ElEEZNS1_24adjacent_difference_implIS3_Lb0ELb0EPlS7_ZN2at6native12_GLOBAL__N_124unique_dim_cuda_templateIlEESt5tupleIJNS8_6TensorESD_SD_EERKSD_lbbbEUlllE1_EE10hipError_tPvRmT2_T3_mT4_P12ihipStream_tbEUlT_E_NS1_11comp_targetILNS1_3genE3ELNS1_11target_archE908ELNS1_3gpuE7ELNS1_3repE0EEENS1_30default_config_static_selectorELNS0_4arch9wavefront6targetE1EEEvT1_,comdat
	.globl	_ZN7rocprim17ROCPRIM_400000_NS6detail17trampoline_kernelINS0_14default_configENS1_35adjacent_difference_config_selectorILb0ElEEZNS1_24adjacent_difference_implIS3_Lb0ELb0EPlS7_ZN2at6native12_GLOBAL__N_124unique_dim_cuda_templateIlEESt5tupleIJNS8_6TensorESD_SD_EERKSD_lbbbEUlllE1_EE10hipError_tPvRmT2_T3_mT4_P12ihipStream_tbEUlT_E_NS1_11comp_targetILNS1_3genE3ELNS1_11target_archE908ELNS1_3gpuE7ELNS1_3repE0EEENS1_30default_config_static_selectorELNS0_4arch9wavefront6targetE1EEEvT1_ ; -- Begin function _ZN7rocprim17ROCPRIM_400000_NS6detail17trampoline_kernelINS0_14default_configENS1_35adjacent_difference_config_selectorILb0ElEEZNS1_24adjacent_difference_implIS3_Lb0ELb0EPlS7_ZN2at6native12_GLOBAL__N_124unique_dim_cuda_templateIlEESt5tupleIJNS8_6TensorESD_SD_EERKSD_lbbbEUlllE1_EE10hipError_tPvRmT2_T3_mT4_P12ihipStream_tbEUlT_E_NS1_11comp_targetILNS1_3genE3ELNS1_11target_archE908ELNS1_3gpuE7ELNS1_3repE0EEENS1_30default_config_static_selectorELNS0_4arch9wavefront6targetE1EEEvT1_
	.p2align	8
	.type	_ZN7rocprim17ROCPRIM_400000_NS6detail17trampoline_kernelINS0_14default_configENS1_35adjacent_difference_config_selectorILb0ElEEZNS1_24adjacent_difference_implIS3_Lb0ELb0EPlS7_ZN2at6native12_GLOBAL__N_124unique_dim_cuda_templateIlEESt5tupleIJNS8_6TensorESD_SD_EERKSD_lbbbEUlllE1_EE10hipError_tPvRmT2_T3_mT4_P12ihipStream_tbEUlT_E_NS1_11comp_targetILNS1_3genE3ELNS1_11target_archE908ELNS1_3gpuE7ELNS1_3repE0EEENS1_30default_config_static_selectorELNS0_4arch9wavefront6targetE1EEEvT1_,@function
_ZN7rocprim17ROCPRIM_400000_NS6detail17trampoline_kernelINS0_14default_configENS1_35adjacent_difference_config_selectorILb0ElEEZNS1_24adjacent_difference_implIS3_Lb0ELb0EPlS7_ZN2at6native12_GLOBAL__N_124unique_dim_cuda_templateIlEESt5tupleIJNS8_6TensorESD_SD_EERKSD_lbbbEUlllE1_EE10hipError_tPvRmT2_T3_mT4_P12ihipStream_tbEUlT_E_NS1_11comp_targetILNS1_3genE3ELNS1_11target_archE908ELNS1_3gpuE7ELNS1_3repE0EEENS1_30default_config_static_selectorELNS0_4arch9wavefront6targetE1EEEvT1_: ; @_ZN7rocprim17ROCPRIM_400000_NS6detail17trampoline_kernelINS0_14default_configENS1_35adjacent_difference_config_selectorILb0ElEEZNS1_24adjacent_difference_implIS3_Lb0ELb0EPlS7_ZN2at6native12_GLOBAL__N_124unique_dim_cuda_templateIlEESt5tupleIJNS8_6TensorESD_SD_EERKSD_lbbbEUlllE1_EE10hipError_tPvRmT2_T3_mT4_P12ihipStream_tbEUlT_E_NS1_11comp_targetILNS1_3genE3ELNS1_11target_archE908ELNS1_3gpuE7ELNS1_3repE0EEENS1_30default_config_static_selectorELNS0_4arch9wavefront6targetE1EEEvT1_
; %bb.0:
	.section	.rodata,"a",@progbits
	.p2align	6, 0x0
	.amdhsa_kernel _ZN7rocprim17ROCPRIM_400000_NS6detail17trampoline_kernelINS0_14default_configENS1_35adjacent_difference_config_selectorILb0ElEEZNS1_24adjacent_difference_implIS3_Lb0ELb0EPlS7_ZN2at6native12_GLOBAL__N_124unique_dim_cuda_templateIlEESt5tupleIJNS8_6TensorESD_SD_EERKSD_lbbbEUlllE1_EE10hipError_tPvRmT2_T3_mT4_P12ihipStream_tbEUlT_E_NS1_11comp_targetILNS1_3genE3ELNS1_11target_archE908ELNS1_3gpuE7ELNS1_3repE0EEENS1_30default_config_static_selectorELNS0_4arch9wavefront6targetE1EEEvT1_
		.amdhsa_group_segment_fixed_size 0
		.amdhsa_private_segment_fixed_size 0
		.amdhsa_kernarg_size 64
		.amdhsa_user_sgpr_count 2
		.amdhsa_user_sgpr_dispatch_ptr 0
		.amdhsa_user_sgpr_queue_ptr 0
		.amdhsa_user_sgpr_kernarg_segment_ptr 1
		.amdhsa_user_sgpr_dispatch_id 0
		.amdhsa_user_sgpr_kernarg_preload_length 0
		.amdhsa_user_sgpr_kernarg_preload_offset 0
		.amdhsa_user_sgpr_private_segment_size 0
		.amdhsa_uses_dynamic_stack 0
		.amdhsa_enable_private_segment 0
		.amdhsa_system_sgpr_workgroup_id_x 1
		.amdhsa_system_sgpr_workgroup_id_y 0
		.amdhsa_system_sgpr_workgroup_id_z 0
		.amdhsa_system_sgpr_workgroup_info 0
		.amdhsa_system_vgpr_workitem_id 0
		.amdhsa_next_free_vgpr 1
		.amdhsa_next_free_sgpr 0
		.amdhsa_accum_offset 4
		.amdhsa_reserve_vcc 0
		.amdhsa_float_round_mode_32 0
		.amdhsa_float_round_mode_16_64 0
		.amdhsa_float_denorm_mode_32 3
		.amdhsa_float_denorm_mode_16_64 3
		.amdhsa_dx10_clamp 1
		.amdhsa_ieee_mode 1
		.amdhsa_fp16_overflow 0
		.amdhsa_tg_split 0
		.amdhsa_exception_fp_ieee_invalid_op 0
		.amdhsa_exception_fp_denorm_src 0
		.amdhsa_exception_fp_ieee_div_zero 0
		.amdhsa_exception_fp_ieee_overflow 0
		.amdhsa_exception_fp_ieee_underflow 0
		.amdhsa_exception_fp_ieee_inexact 0
		.amdhsa_exception_int_div_zero 0
	.end_amdhsa_kernel
	.section	.text._ZN7rocprim17ROCPRIM_400000_NS6detail17trampoline_kernelINS0_14default_configENS1_35adjacent_difference_config_selectorILb0ElEEZNS1_24adjacent_difference_implIS3_Lb0ELb0EPlS7_ZN2at6native12_GLOBAL__N_124unique_dim_cuda_templateIlEESt5tupleIJNS8_6TensorESD_SD_EERKSD_lbbbEUlllE1_EE10hipError_tPvRmT2_T3_mT4_P12ihipStream_tbEUlT_E_NS1_11comp_targetILNS1_3genE3ELNS1_11target_archE908ELNS1_3gpuE7ELNS1_3repE0EEENS1_30default_config_static_selectorELNS0_4arch9wavefront6targetE1EEEvT1_,"axG",@progbits,_ZN7rocprim17ROCPRIM_400000_NS6detail17trampoline_kernelINS0_14default_configENS1_35adjacent_difference_config_selectorILb0ElEEZNS1_24adjacent_difference_implIS3_Lb0ELb0EPlS7_ZN2at6native12_GLOBAL__N_124unique_dim_cuda_templateIlEESt5tupleIJNS8_6TensorESD_SD_EERKSD_lbbbEUlllE1_EE10hipError_tPvRmT2_T3_mT4_P12ihipStream_tbEUlT_E_NS1_11comp_targetILNS1_3genE3ELNS1_11target_archE908ELNS1_3gpuE7ELNS1_3repE0EEENS1_30default_config_static_selectorELNS0_4arch9wavefront6targetE1EEEvT1_,comdat
.Lfunc_end542:
	.size	_ZN7rocprim17ROCPRIM_400000_NS6detail17trampoline_kernelINS0_14default_configENS1_35adjacent_difference_config_selectorILb0ElEEZNS1_24adjacent_difference_implIS3_Lb0ELb0EPlS7_ZN2at6native12_GLOBAL__N_124unique_dim_cuda_templateIlEESt5tupleIJNS8_6TensorESD_SD_EERKSD_lbbbEUlllE1_EE10hipError_tPvRmT2_T3_mT4_P12ihipStream_tbEUlT_E_NS1_11comp_targetILNS1_3genE3ELNS1_11target_archE908ELNS1_3gpuE7ELNS1_3repE0EEENS1_30default_config_static_selectorELNS0_4arch9wavefront6targetE1EEEvT1_, .Lfunc_end542-_ZN7rocprim17ROCPRIM_400000_NS6detail17trampoline_kernelINS0_14default_configENS1_35adjacent_difference_config_selectorILb0ElEEZNS1_24adjacent_difference_implIS3_Lb0ELb0EPlS7_ZN2at6native12_GLOBAL__N_124unique_dim_cuda_templateIlEESt5tupleIJNS8_6TensorESD_SD_EERKSD_lbbbEUlllE1_EE10hipError_tPvRmT2_T3_mT4_P12ihipStream_tbEUlT_E_NS1_11comp_targetILNS1_3genE3ELNS1_11target_archE908ELNS1_3gpuE7ELNS1_3repE0EEENS1_30default_config_static_selectorELNS0_4arch9wavefront6targetE1EEEvT1_
                                        ; -- End function
	.set _ZN7rocprim17ROCPRIM_400000_NS6detail17trampoline_kernelINS0_14default_configENS1_35adjacent_difference_config_selectorILb0ElEEZNS1_24adjacent_difference_implIS3_Lb0ELb0EPlS7_ZN2at6native12_GLOBAL__N_124unique_dim_cuda_templateIlEESt5tupleIJNS8_6TensorESD_SD_EERKSD_lbbbEUlllE1_EE10hipError_tPvRmT2_T3_mT4_P12ihipStream_tbEUlT_E_NS1_11comp_targetILNS1_3genE3ELNS1_11target_archE908ELNS1_3gpuE7ELNS1_3repE0EEENS1_30default_config_static_selectorELNS0_4arch9wavefront6targetE1EEEvT1_.num_vgpr, 0
	.set _ZN7rocprim17ROCPRIM_400000_NS6detail17trampoline_kernelINS0_14default_configENS1_35adjacent_difference_config_selectorILb0ElEEZNS1_24adjacent_difference_implIS3_Lb0ELb0EPlS7_ZN2at6native12_GLOBAL__N_124unique_dim_cuda_templateIlEESt5tupleIJNS8_6TensorESD_SD_EERKSD_lbbbEUlllE1_EE10hipError_tPvRmT2_T3_mT4_P12ihipStream_tbEUlT_E_NS1_11comp_targetILNS1_3genE3ELNS1_11target_archE908ELNS1_3gpuE7ELNS1_3repE0EEENS1_30default_config_static_selectorELNS0_4arch9wavefront6targetE1EEEvT1_.num_agpr, 0
	.set _ZN7rocprim17ROCPRIM_400000_NS6detail17trampoline_kernelINS0_14default_configENS1_35adjacent_difference_config_selectorILb0ElEEZNS1_24adjacent_difference_implIS3_Lb0ELb0EPlS7_ZN2at6native12_GLOBAL__N_124unique_dim_cuda_templateIlEESt5tupleIJNS8_6TensorESD_SD_EERKSD_lbbbEUlllE1_EE10hipError_tPvRmT2_T3_mT4_P12ihipStream_tbEUlT_E_NS1_11comp_targetILNS1_3genE3ELNS1_11target_archE908ELNS1_3gpuE7ELNS1_3repE0EEENS1_30default_config_static_selectorELNS0_4arch9wavefront6targetE1EEEvT1_.numbered_sgpr, 0
	.set _ZN7rocprim17ROCPRIM_400000_NS6detail17trampoline_kernelINS0_14default_configENS1_35adjacent_difference_config_selectorILb0ElEEZNS1_24adjacent_difference_implIS3_Lb0ELb0EPlS7_ZN2at6native12_GLOBAL__N_124unique_dim_cuda_templateIlEESt5tupleIJNS8_6TensorESD_SD_EERKSD_lbbbEUlllE1_EE10hipError_tPvRmT2_T3_mT4_P12ihipStream_tbEUlT_E_NS1_11comp_targetILNS1_3genE3ELNS1_11target_archE908ELNS1_3gpuE7ELNS1_3repE0EEENS1_30default_config_static_selectorELNS0_4arch9wavefront6targetE1EEEvT1_.num_named_barrier, 0
	.set _ZN7rocprim17ROCPRIM_400000_NS6detail17trampoline_kernelINS0_14default_configENS1_35adjacent_difference_config_selectorILb0ElEEZNS1_24adjacent_difference_implIS3_Lb0ELb0EPlS7_ZN2at6native12_GLOBAL__N_124unique_dim_cuda_templateIlEESt5tupleIJNS8_6TensorESD_SD_EERKSD_lbbbEUlllE1_EE10hipError_tPvRmT2_T3_mT4_P12ihipStream_tbEUlT_E_NS1_11comp_targetILNS1_3genE3ELNS1_11target_archE908ELNS1_3gpuE7ELNS1_3repE0EEENS1_30default_config_static_selectorELNS0_4arch9wavefront6targetE1EEEvT1_.private_seg_size, 0
	.set _ZN7rocprim17ROCPRIM_400000_NS6detail17trampoline_kernelINS0_14default_configENS1_35adjacent_difference_config_selectorILb0ElEEZNS1_24adjacent_difference_implIS3_Lb0ELb0EPlS7_ZN2at6native12_GLOBAL__N_124unique_dim_cuda_templateIlEESt5tupleIJNS8_6TensorESD_SD_EERKSD_lbbbEUlllE1_EE10hipError_tPvRmT2_T3_mT4_P12ihipStream_tbEUlT_E_NS1_11comp_targetILNS1_3genE3ELNS1_11target_archE908ELNS1_3gpuE7ELNS1_3repE0EEENS1_30default_config_static_selectorELNS0_4arch9wavefront6targetE1EEEvT1_.uses_vcc, 0
	.set _ZN7rocprim17ROCPRIM_400000_NS6detail17trampoline_kernelINS0_14default_configENS1_35adjacent_difference_config_selectorILb0ElEEZNS1_24adjacent_difference_implIS3_Lb0ELb0EPlS7_ZN2at6native12_GLOBAL__N_124unique_dim_cuda_templateIlEESt5tupleIJNS8_6TensorESD_SD_EERKSD_lbbbEUlllE1_EE10hipError_tPvRmT2_T3_mT4_P12ihipStream_tbEUlT_E_NS1_11comp_targetILNS1_3genE3ELNS1_11target_archE908ELNS1_3gpuE7ELNS1_3repE0EEENS1_30default_config_static_selectorELNS0_4arch9wavefront6targetE1EEEvT1_.uses_flat_scratch, 0
	.set _ZN7rocprim17ROCPRIM_400000_NS6detail17trampoline_kernelINS0_14default_configENS1_35adjacent_difference_config_selectorILb0ElEEZNS1_24adjacent_difference_implIS3_Lb0ELb0EPlS7_ZN2at6native12_GLOBAL__N_124unique_dim_cuda_templateIlEESt5tupleIJNS8_6TensorESD_SD_EERKSD_lbbbEUlllE1_EE10hipError_tPvRmT2_T3_mT4_P12ihipStream_tbEUlT_E_NS1_11comp_targetILNS1_3genE3ELNS1_11target_archE908ELNS1_3gpuE7ELNS1_3repE0EEENS1_30default_config_static_selectorELNS0_4arch9wavefront6targetE1EEEvT1_.has_dyn_sized_stack, 0
	.set _ZN7rocprim17ROCPRIM_400000_NS6detail17trampoline_kernelINS0_14default_configENS1_35adjacent_difference_config_selectorILb0ElEEZNS1_24adjacent_difference_implIS3_Lb0ELb0EPlS7_ZN2at6native12_GLOBAL__N_124unique_dim_cuda_templateIlEESt5tupleIJNS8_6TensorESD_SD_EERKSD_lbbbEUlllE1_EE10hipError_tPvRmT2_T3_mT4_P12ihipStream_tbEUlT_E_NS1_11comp_targetILNS1_3genE3ELNS1_11target_archE908ELNS1_3gpuE7ELNS1_3repE0EEENS1_30default_config_static_selectorELNS0_4arch9wavefront6targetE1EEEvT1_.has_recursion, 0
	.set _ZN7rocprim17ROCPRIM_400000_NS6detail17trampoline_kernelINS0_14default_configENS1_35adjacent_difference_config_selectorILb0ElEEZNS1_24adjacent_difference_implIS3_Lb0ELb0EPlS7_ZN2at6native12_GLOBAL__N_124unique_dim_cuda_templateIlEESt5tupleIJNS8_6TensorESD_SD_EERKSD_lbbbEUlllE1_EE10hipError_tPvRmT2_T3_mT4_P12ihipStream_tbEUlT_E_NS1_11comp_targetILNS1_3genE3ELNS1_11target_archE908ELNS1_3gpuE7ELNS1_3repE0EEENS1_30default_config_static_selectorELNS0_4arch9wavefront6targetE1EEEvT1_.has_indirect_call, 0
	.section	.AMDGPU.csdata,"",@progbits
; Kernel info:
; codeLenInByte = 0
; TotalNumSgprs: 6
; NumVgprs: 0
; NumAgprs: 0
; TotalNumVgprs: 0
; ScratchSize: 0
; MemoryBound: 0
; FloatMode: 240
; IeeeMode: 1
; LDSByteSize: 0 bytes/workgroup (compile time only)
; SGPRBlocks: 0
; VGPRBlocks: 0
; NumSGPRsForWavesPerEU: 6
; NumVGPRsForWavesPerEU: 1
; AccumOffset: 4
; Occupancy: 8
; WaveLimiterHint : 0
; COMPUTE_PGM_RSRC2:SCRATCH_EN: 0
; COMPUTE_PGM_RSRC2:USER_SGPR: 2
; COMPUTE_PGM_RSRC2:TRAP_HANDLER: 0
; COMPUTE_PGM_RSRC2:TGID_X_EN: 1
; COMPUTE_PGM_RSRC2:TGID_Y_EN: 0
; COMPUTE_PGM_RSRC2:TGID_Z_EN: 0
; COMPUTE_PGM_RSRC2:TIDIG_COMP_CNT: 0
; COMPUTE_PGM_RSRC3_GFX90A:ACCUM_OFFSET: 0
; COMPUTE_PGM_RSRC3_GFX90A:TG_SPLIT: 0
	.section	.text._ZN7rocprim17ROCPRIM_400000_NS6detail17trampoline_kernelINS0_14default_configENS1_35adjacent_difference_config_selectorILb0ElEEZNS1_24adjacent_difference_implIS3_Lb0ELb0EPlS7_ZN2at6native12_GLOBAL__N_124unique_dim_cuda_templateIlEESt5tupleIJNS8_6TensorESD_SD_EERKSD_lbbbEUlllE1_EE10hipError_tPvRmT2_T3_mT4_P12ihipStream_tbEUlT_E_NS1_11comp_targetILNS1_3genE2ELNS1_11target_archE906ELNS1_3gpuE6ELNS1_3repE0EEENS1_30default_config_static_selectorELNS0_4arch9wavefront6targetE1EEEvT1_,"axG",@progbits,_ZN7rocprim17ROCPRIM_400000_NS6detail17trampoline_kernelINS0_14default_configENS1_35adjacent_difference_config_selectorILb0ElEEZNS1_24adjacent_difference_implIS3_Lb0ELb0EPlS7_ZN2at6native12_GLOBAL__N_124unique_dim_cuda_templateIlEESt5tupleIJNS8_6TensorESD_SD_EERKSD_lbbbEUlllE1_EE10hipError_tPvRmT2_T3_mT4_P12ihipStream_tbEUlT_E_NS1_11comp_targetILNS1_3genE2ELNS1_11target_archE906ELNS1_3gpuE6ELNS1_3repE0EEENS1_30default_config_static_selectorELNS0_4arch9wavefront6targetE1EEEvT1_,comdat
	.globl	_ZN7rocprim17ROCPRIM_400000_NS6detail17trampoline_kernelINS0_14default_configENS1_35adjacent_difference_config_selectorILb0ElEEZNS1_24adjacent_difference_implIS3_Lb0ELb0EPlS7_ZN2at6native12_GLOBAL__N_124unique_dim_cuda_templateIlEESt5tupleIJNS8_6TensorESD_SD_EERKSD_lbbbEUlllE1_EE10hipError_tPvRmT2_T3_mT4_P12ihipStream_tbEUlT_E_NS1_11comp_targetILNS1_3genE2ELNS1_11target_archE906ELNS1_3gpuE6ELNS1_3repE0EEENS1_30default_config_static_selectorELNS0_4arch9wavefront6targetE1EEEvT1_ ; -- Begin function _ZN7rocprim17ROCPRIM_400000_NS6detail17trampoline_kernelINS0_14default_configENS1_35adjacent_difference_config_selectorILb0ElEEZNS1_24adjacent_difference_implIS3_Lb0ELb0EPlS7_ZN2at6native12_GLOBAL__N_124unique_dim_cuda_templateIlEESt5tupleIJNS8_6TensorESD_SD_EERKSD_lbbbEUlllE1_EE10hipError_tPvRmT2_T3_mT4_P12ihipStream_tbEUlT_E_NS1_11comp_targetILNS1_3genE2ELNS1_11target_archE906ELNS1_3gpuE6ELNS1_3repE0EEENS1_30default_config_static_selectorELNS0_4arch9wavefront6targetE1EEEvT1_
	.p2align	8
	.type	_ZN7rocprim17ROCPRIM_400000_NS6detail17trampoline_kernelINS0_14default_configENS1_35adjacent_difference_config_selectorILb0ElEEZNS1_24adjacent_difference_implIS3_Lb0ELb0EPlS7_ZN2at6native12_GLOBAL__N_124unique_dim_cuda_templateIlEESt5tupleIJNS8_6TensorESD_SD_EERKSD_lbbbEUlllE1_EE10hipError_tPvRmT2_T3_mT4_P12ihipStream_tbEUlT_E_NS1_11comp_targetILNS1_3genE2ELNS1_11target_archE906ELNS1_3gpuE6ELNS1_3repE0EEENS1_30default_config_static_selectorELNS0_4arch9wavefront6targetE1EEEvT1_,@function
_ZN7rocprim17ROCPRIM_400000_NS6detail17trampoline_kernelINS0_14default_configENS1_35adjacent_difference_config_selectorILb0ElEEZNS1_24adjacent_difference_implIS3_Lb0ELb0EPlS7_ZN2at6native12_GLOBAL__N_124unique_dim_cuda_templateIlEESt5tupleIJNS8_6TensorESD_SD_EERKSD_lbbbEUlllE1_EE10hipError_tPvRmT2_T3_mT4_P12ihipStream_tbEUlT_E_NS1_11comp_targetILNS1_3genE2ELNS1_11target_archE906ELNS1_3gpuE6ELNS1_3repE0EEENS1_30default_config_static_selectorELNS0_4arch9wavefront6targetE1EEEvT1_: ; @_ZN7rocprim17ROCPRIM_400000_NS6detail17trampoline_kernelINS0_14default_configENS1_35adjacent_difference_config_selectorILb0ElEEZNS1_24adjacent_difference_implIS3_Lb0ELb0EPlS7_ZN2at6native12_GLOBAL__N_124unique_dim_cuda_templateIlEESt5tupleIJNS8_6TensorESD_SD_EERKSD_lbbbEUlllE1_EE10hipError_tPvRmT2_T3_mT4_P12ihipStream_tbEUlT_E_NS1_11comp_targetILNS1_3genE2ELNS1_11target_archE906ELNS1_3gpuE6ELNS1_3repE0EEENS1_30default_config_static_selectorELNS0_4arch9wavefront6targetE1EEEvT1_
; %bb.0:
	.section	.rodata,"a",@progbits
	.p2align	6, 0x0
	.amdhsa_kernel _ZN7rocprim17ROCPRIM_400000_NS6detail17trampoline_kernelINS0_14default_configENS1_35adjacent_difference_config_selectorILb0ElEEZNS1_24adjacent_difference_implIS3_Lb0ELb0EPlS7_ZN2at6native12_GLOBAL__N_124unique_dim_cuda_templateIlEESt5tupleIJNS8_6TensorESD_SD_EERKSD_lbbbEUlllE1_EE10hipError_tPvRmT2_T3_mT4_P12ihipStream_tbEUlT_E_NS1_11comp_targetILNS1_3genE2ELNS1_11target_archE906ELNS1_3gpuE6ELNS1_3repE0EEENS1_30default_config_static_selectorELNS0_4arch9wavefront6targetE1EEEvT1_
		.amdhsa_group_segment_fixed_size 0
		.amdhsa_private_segment_fixed_size 0
		.amdhsa_kernarg_size 64
		.amdhsa_user_sgpr_count 2
		.amdhsa_user_sgpr_dispatch_ptr 0
		.amdhsa_user_sgpr_queue_ptr 0
		.amdhsa_user_sgpr_kernarg_segment_ptr 1
		.amdhsa_user_sgpr_dispatch_id 0
		.amdhsa_user_sgpr_kernarg_preload_length 0
		.amdhsa_user_sgpr_kernarg_preload_offset 0
		.amdhsa_user_sgpr_private_segment_size 0
		.amdhsa_uses_dynamic_stack 0
		.amdhsa_enable_private_segment 0
		.amdhsa_system_sgpr_workgroup_id_x 1
		.amdhsa_system_sgpr_workgroup_id_y 0
		.amdhsa_system_sgpr_workgroup_id_z 0
		.amdhsa_system_sgpr_workgroup_info 0
		.amdhsa_system_vgpr_workitem_id 0
		.amdhsa_next_free_vgpr 1
		.amdhsa_next_free_sgpr 0
		.amdhsa_accum_offset 4
		.amdhsa_reserve_vcc 0
		.amdhsa_float_round_mode_32 0
		.amdhsa_float_round_mode_16_64 0
		.amdhsa_float_denorm_mode_32 3
		.amdhsa_float_denorm_mode_16_64 3
		.amdhsa_dx10_clamp 1
		.amdhsa_ieee_mode 1
		.amdhsa_fp16_overflow 0
		.amdhsa_tg_split 0
		.amdhsa_exception_fp_ieee_invalid_op 0
		.amdhsa_exception_fp_denorm_src 0
		.amdhsa_exception_fp_ieee_div_zero 0
		.amdhsa_exception_fp_ieee_overflow 0
		.amdhsa_exception_fp_ieee_underflow 0
		.amdhsa_exception_fp_ieee_inexact 0
		.amdhsa_exception_int_div_zero 0
	.end_amdhsa_kernel
	.section	.text._ZN7rocprim17ROCPRIM_400000_NS6detail17trampoline_kernelINS0_14default_configENS1_35adjacent_difference_config_selectorILb0ElEEZNS1_24adjacent_difference_implIS3_Lb0ELb0EPlS7_ZN2at6native12_GLOBAL__N_124unique_dim_cuda_templateIlEESt5tupleIJNS8_6TensorESD_SD_EERKSD_lbbbEUlllE1_EE10hipError_tPvRmT2_T3_mT4_P12ihipStream_tbEUlT_E_NS1_11comp_targetILNS1_3genE2ELNS1_11target_archE906ELNS1_3gpuE6ELNS1_3repE0EEENS1_30default_config_static_selectorELNS0_4arch9wavefront6targetE1EEEvT1_,"axG",@progbits,_ZN7rocprim17ROCPRIM_400000_NS6detail17trampoline_kernelINS0_14default_configENS1_35adjacent_difference_config_selectorILb0ElEEZNS1_24adjacent_difference_implIS3_Lb0ELb0EPlS7_ZN2at6native12_GLOBAL__N_124unique_dim_cuda_templateIlEESt5tupleIJNS8_6TensorESD_SD_EERKSD_lbbbEUlllE1_EE10hipError_tPvRmT2_T3_mT4_P12ihipStream_tbEUlT_E_NS1_11comp_targetILNS1_3genE2ELNS1_11target_archE906ELNS1_3gpuE6ELNS1_3repE0EEENS1_30default_config_static_selectorELNS0_4arch9wavefront6targetE1EEEvT1_,comdat
.Lfunc_end543:
	.size	_ZN7rocprim17ROCPRIM_400000_NS6detail17trampoline_kernelINS0_14default_configENS1_35adjacent_difference_config_selectorILb0ElEEZNS1_24adjacent_difference_implIS3_Lb0ELb0EPlS7_ZN2at6native12_GLOBAL__N_124unique_dim_cuda_templateIlEESt5tupleIJNS8_6TensorESD_SD_EERKSD_lbbbEUlllE1_EE10hipError_tPvRmT2_T3_mT4_P12ihipStream_tbEUlT_E_NS1_11comp_targetILNS1_3genE2ELNS1_11target_archE906ELNS1_3gpuE6ELNS1_3repE0EEENS1_30default_config_static_selectorELNS0_4arch9wavefront6targetE1EEEvT1_, .Lfunc_end543-_ZN7rocprim17ROCPRIM_400000_NS6detail17trampoline_kernelINS0_14default_configENS1_35adjacent_difference_config_selectorILb0ElEEZNS1_24adjacent_difference_implIS3_Lb0ELb0EPlS7_ZN2at6native12_GLOBAL__N_124unique_dim_cuda_templateIlEESt5tupleIJNS8_6TensorESD_SD_EERKSD_lbbbEUlllE1_EE10hipError_tPvRmT2_T3_mT4_P12ihipStream_tbEUlT_E_NS1_11comp_targetILNS1_3genE2ELNS1_11target_archE906ELNS1_3gpuE6ELNS1_3repE0EEENS1_30default_config_static_selectorELNS0_4arch9wavefront6targetE1EEEvT1_
                                        ; -- End function
	.set _ZN7rocprim17ROCPRIM_400000_NS6detail17trampoline_kernelINS0_14default_configENS1_35adjacent_difference_config_selectorILb0ElEEZNS1_24adjacent_difference_implIS3_Lb0ELb0EPlS7_ZN2at6native12_GLOBAL__N_124unique_dim_cuda_templateIlEESt5tupleIJNS8_6TensorESD_SD_EERKSD_lbbbEUlllE1_EE10hipError_tPvRmT2_T3_mT4_P12ihipStream_tbEUlT_E_NS1_11comp_targetILNS1_3genE2ELNS1_11target_archE906ELNS1_3gpuE6ELNS1_3repE0EEENS1_30default_config_static_selectorELNS0_4arch9wavefront6targetE1EEEvT1_.num_vgpr, 0
	.set _ZN7rocprim17ROCPRIM_400000_NS6detail17trampoline_kernelINS0_14default_configENS1_35adjacent_difference_config_selectorILb0ElEEZNS1_24adjacent_difference_implIS3_Lb0ELb0EPlS7_ZN2at6native12_GLOBAL__N_124unique_dim_cuda_templateIlEESt5tupleIJNS8_6TensorESD_SD_EERKSD_lbbbEUlllE1_EE10hipError_tPvRmT2_T3_mT4_P12ihipStream_tbEUlT_E_NS1_11comp_targetILNS1_3genE2ELNS1_11target_archE906ELNS1_3gpuE6ELNS1_3repE0EEENS1_30default_config_static_selectorELNS0_4arch9wavefront6targetE1EEEvT1_.num_agpr, 0
	.set _ZN7rocprim17ROCPRIM_400000_NS6detail17trampoline_kernelINS0_14default_configENS1_35adjacent_difference_config_selectorILb0ElEEZNS1_24adjacent_difference_implIS3_Lb0ELb0EPlS7_ZN2at6native12_GLOBAL__N_124unique_dim_cuda_templateIlEESt5tupleIJNS8_6TensorESD_SD_EERKSD_lbbbEUlllE1_EE10hipError_tPvRmT2_T3_mT4_P12ihipStream_tbEUlT_E_NS1_11comp_targetILNS1_3genE2ELNS1_11target_archE906ELNS1_3gpuE6ELNS1_3repE0EEENS1_30default_config_static_selectorELNS0_4arch9wavefront6targetE1EEEvT1_.numbered_sgpr, 0
	.set _ZN7rocprim17ROCPRIM_400000_NS6detail17trampoline_kernelINS0_14default_configENS1_35adjacent_difference_config_selectorILb0ElEEZNS1_24adjacent_difference_implIS3_Lb0ELb0EPlS7_ZN2at6native12_GLOBAL__N_124unique_dim_cuda_templateIlEESt5tupleIJNS8_6TensorESD_SD_EERKSD_lbbbEUlllE1_EE10hipError_tPvRmT2_T3_mT4_P12ihipStream_tbEUlT_E_NS1_11comp_targetILNS1_3genE2ELNS1_11target_archE906ELNS1_3gpuE6ELNS1_3repE0EEENS1_30default_config_static_selectorELNS0_4arch9wavefront6targetE1EEEvT1_.num_named_barrier, 0
	.set _ZN7rocprim17ROCPRIM_400000_NS6detail17trampoline_kernelINS0_14default_configENS1_35adjacent_difference_config_selectorILb0ElEEZNS1_24adjacent_difference_implIS3_Lb0ELb0EPlS7_ZN2at6native12_GLOBAL__N_124unique_dim_cuda_templateIlEESt5tupleIJNS8_6TensorESD_SD_EERKSD_lbbbEUlllE1_EE10hipError_tPvRmT2_T3_mT4_P12ihipStream_tbEUlT_E_NS1_11comp_targetILNS1_3genE2ELNS1_11target_archE906ELNS1_3gpuE6ELNS1_3repE0EEENS1_30default_config_static_selectorELNS0_4arch9wavefront6targetE1EEEvT1_.private_seg_size, 0
	.set _ZN7rocprim17ROCPRIM_400000_NS6detail17trampoline_kernelINS0_14default_configENS1_35adjacent_difference_config_selectorILb0ElEEZNS1_24adjacent_difference_implIS3_Lb0ELb0EPlS7_ZN2at6native12_GLOBAL__N_124unique_dim_cuda_templateIlEESt5tupleIJNS8_6TensorESD_SD_EERKSD_lbbbEUlllE1_EE10hipError_tPvRmT2_T3_mT4_P12ihipStream_tbEUlT_E_NS1_11comp_targetILNS1_3genE2ELNS1_11target_archE906ELNS1_3gpuE6ELNS1_3repE0EEENS1_30default_config_static_selectorELNS0_4arch9wavefront6targetE1EEEvT1_.uses_vcc, 0
	.set _ZN7rocprim17ROCPRIM_400000_NS6detail17trampoline_kernelINS0_14default_configENS1_35adjacent_difference_config_selectorILb0ElEEZNS1_24adjacent_difference_implIS3_Lb0ELb0EPlS7_ZN2at6native12_GLOBAL__N_124unique_dim_cuda_templateIlEESt5tupleIJNS8_6TensorESD_SD_EERKSD_lbbbEUlllE1_EE10hipError_tPvRmT2_T3_mT4_P12ihipStream_tbEUlT_E_NS1_11comp_targetILNS1_3genE2ELNS1_11target_archE906ELNS1_3gpuE6ELNS1_3repE0EEENS1_30default_config_static_selectorELNS0_4arch9wavefront6targetE1EEEvT1_.uses_flat_scratch, 0
	.set _ZN7rocprim17ROCPRIM_400000_NS6detail17trampoline_kernelINS0_14default_configENS1_35adjacent_difference_config_selectorILb0ElEEZNS1_24adjacent_difference_implIS3_Lb0ELb0EPlS7_ZN2at6native12_GLOBAL__N_124unique_dim_cuda_templateIlEESt5tupleIJNS8_6TensorESD_SD_EERKSD_lbbbEUlllE1_EE10hipError_tPvRmT2_T3_mT4_P12ihipStream_tbEUlT_E_NS1_11comp_targetILNS1_3genE2ELNS1_11target_archE906ELNS1_3gpuE6ELNS1_3repE0EEENS1_30default_config_static_selectorELNS0_4arch9wavefront6targetE1EEEvT1_.has_dyn_sized_stack, 0
	.set _ZN7rocprim17ROCPRIM_400000_NS6detail17trampoline_kernelINS0_14default_configENS1_35adjacent_difference_config_selectorILb0ElEEZNS1_24adjacent_difference_implIS3_Lb0ELb0EPlS7_ZN2at6native12_GLOBAL__N_124unique_dim_cuda_templateIlEESt5tupleIJNS8_6TensorESD_SD_EERKSD_lbbbEUlllE1_EE10hipError_tPvRmT2_T3_mT4_P12ihipStream_tbEUlT_E_NS1_11comp_targetILNS1_3genE2ELNS1_11target_archE906ELNS1_3gpuE6ELNS1_3repE0EEENS1_30default_config_static_selectorELNS0_4arch9wavefront6targetE1EEEvT1_.has_recursion, 0
	.set _ZN7rocprim17ROCPRIM_400000_NS6detail17trampoline_kernelINS0_14default_configENS1_35adjacent_difference_config_selectorILb0ElEEZNS1_24adjacent_difference_implIS3_Lb0ELb0EPlS7_ZN2at6native12_GLOBAL__N_124unique_dim_cuda_templateIlEESt5tupleIJNS8_6TensorESD_SD_EERKSD_lbbbEUlllE1_EE10hipError_tPvRmT2_T3_mT4_P12ihipStream_tbEUlT_E_NS1_11comp_targetILNS1_3genE2ELNS1_11target_archE906ELNS1_3gpuE6ELNS1_3repE0EEENS1_30default_config_static_selectorELNS0_4arch9wavefront6targetE1EEEvT1_.has_indirect_call, 0
	.section	.AMDGPU.csdata,"",@progbits
; Kernel info:
; codeLenInByte = 0
; TotalNumSgprs: 6
; NumVgprs: 0
; NumAgprs: 0
; TotalNumVgprs: 0
; ScratchSize: 0
; MemoryBound: 0
; FloatMode: 240
; IeeeMode: 1
; LDSByteSize: 0 bytes/workgroup (compile time only)
; SGPRBlocks: 0
; VGPRBlocks: 0
; NumSGPRsForWavesPerEU: 6
; NumVGPRsForWavesPerEU: 1
; AccumOffset: 4
; Occupancy: 8
; WaveLimiterHint : 0
; COMPUTE_PGM_RSRC2:SCRATCH_EN: 0
; COMPUTE_PGM_RSRC2:USER_SGPR: 2
; COMPUTE_PGM_RSRC2:TRAP_HANDLER: 0
; COMPUTE_PGM_RSRC2:TGID_X_EN: 1
; COMPUTE_PGM_RSRC2:TGID_Y_EN: 0
; COMPUTE_PGM_RSRC2:TGID_Z_EN: 0
; COMPUTE_PGM_RSRC2:TIDIG_COMP_CNT: 0
; COMPUTE_PGM_RSRC3_GFX90A:ACCUM_OFFSET: 0
; COMPUTE_PGM_RSRC3_GFX90A:TG_SPLIT: 0
	.section	.text._ZN7rocprim17ROCPRIM_400000_NS6detail17trampoline_kernelINS0_14default_configENS1_35adjacent_difference_config_selectorILb0ElEEZNS1_24adjacent_difference_implIS3_Lb0ELb0EPlS7_ZN2at6native12_GLOBAL__N_124unique_dim_cuda_templateIlEESt5tupleIJNS8_6TensorESD_SD_EERKSD_lbbbEUlllE1_EE10hipError_tPvRmT2_T3_mT4_P12ihipStream_tbEUlT_E_NS1_11comp_targetILNS1_3genE9ELNS1_11target_archE1100ELNS1_3gpuE3ELNS1_3repE0EEENS1_30default_config_static_selectorELNS0_4arch9wavefront6targetE1EEEvT1_,"axG",@progbits,_ZN7rocprim17ROCPRIM_400000_NS6detail17trampoline_kernelINS0_14default_configENS1_35adjacent_difference_config_selectorILb0ElEEZNS1_24adjacent_difference_implIS3_Lb0ELb0EPlS7_ZN2at6native12_GLOBAL__N_124unique_dim_cuda_templateIlEESt5tupleIJNS8_6TensorESD_SD_EERKSD_lbbbEUlllE1_EE10hipError_tPvRmT2_T3_mT4_P12ihipStream_tbEUlT_E_NS1_11comp_targetILNS1_3genE9ELNS1_11target_archE1100ELNS1_3gpuE3ELNS1_3repE0EEENS1_30default_config_static_selectorELNS0_4arch9wavefront6targetE1EEEvT1_,comdat
	.globl	_ZN7rocprim17ROCPRIM_400000_NS6detail17trampoline_kernelINS0_14default_configENS1_35adjacent_difference_config_selectorILb0ElEEZNS1_24adjacent_difference_implIS3_Lb0ELb0EPlS7_ZN2at6native12_GLOBAL__N_124unique_dim_cuda_templateIlEESt5tupleIJNS8_6TensorESD_SD_EERKSD_lbbbEUlllE1_EE10hipError_tPvRmT2_T3_mT4_P12ihipStream_tbEUlT_E_NS1_11comp_targetILNS1_3genE9ELNS1_11target_archE1100ELNS1_3gpuE3ELNS1_3repE0EEENS1_30default_config_static_selectorELNS0_4arch9wavefront6targetE1EEEvT1_ ; -- Begin function _ZN7rocprim17ROCPRIM_400000_NS6detail17trampoline_kernelINS0_14default_configENS1_35adjacent_difference_config_selectorILb0ElEEZNS1_24adjacent_difference_implIS3_Lb0ELb0EPlS7_ZN2at6native12_GLOBAL__N_124unique_dim_cuda_templateIlEESt5tupleIJNS8_6TensorESD_SD_EERKSD_lbbbEUlllE1_EE10hipError_tPvRmT2_T3_mT4_P12ihipStream_tbEUlT_E_NS1_11comp_targetILNS1_3genE9ELNS1_11target_archE1100ELNS1_3gpuE3ELNS1_3repE0EEENS1_30default_config_static_selectorELNS0_4arch9wavefront6targetE1EEEvT1_
	.p2align	8
	.type	_ZN7rocprim17ROCPRIM_400000_NS6detail17trampoline_kernelINS0_14default_configENS1_35adjacent_difference_config_selectorILb0ElEEZNS1_24adjacent_difference_implIS3_Lb0ELb0EPlS7_ZN2at6native12_GLOBAL__N_124unique_dim_cuda_templateIlEESt5tupleIJNS8_6TensorESD_SD_EERKSD_lbbbEUlllE1_EE10hipError_tPvRmT2_T3_mT4_P12ihipStream_tbEUlT_E_NS1_11comp_targetILNS1_3genE9ELNS1_11target_archE1100ELNS1_3gpuE3ELNS1_3repE0EEENS1_30default_config_static_selectorELNS0_4arch9wavefront6targetE1EEEvT1_,@function
_ZN7rocprim17ROCPRIM_400000_NS6detail17trampoline_kernelINS0_14default_configENS1_35adjacent_difference_config_selectorILb0ElEEZNS1_24adjacent_difference_implIS3_Lb0ELb0EPlS7_ZN2at6native12_GLOBAL__N_124unique_dim_cuda_templateIlEESt5tupleIJNS8_6TensorESD_SD_EERKSD_lbbbEUlllE1_EE10hipError_tPvRmT2_T3_mT4_P12ihipStream_tbEUlT_E_NS1_11comp_targetILNS1_3genE9ELNS1_11target_archE1100ELNS1_3gpuE3ELNS1_3repE0EEENS1_30default_config_static_selectorELNS0_4arch9wavefront6targetE1EEEvT1_: ; @_ZN7rocprim17ROCPRIM_400000_NS6detail17trampoline_kernelINS0_14default_configENS1_35adjacent_difference_config_selectorILb0ElEEZNS1_24adjacent_difference_implIS3_Lb0ELb0EPlS7_ZN2at6native12_GLOBAL__N_124unique_dim_cuda_templateIlEESt5tupleIJNS8_6TensorESD_SD_EERKSD_lbbbEUlllE1_EE10hipError_tPvRmT2_T3_mT4_P12ihipStream_tbEUlT_E_NS1_11comp_targetILNS1_3genE9ELNS1_11target_archE1100ELNS1_3gpuE3ELNS1_3repE0EEENS1_30default_config_static_selectorELNS0_4arch9wavefront6targetE1EEEvT1_
; %bb.0:
	.section	.rodata,"a",@progbits
	.p2align	6, 0x0
	.amdhsa_kernel _ZN7rocprim17ROCPRIM_400000_NS6detail17trampoline_kernelINS0_14default_configENS1_35adjacent_difference_config_selectorILb0ElEEZNS1_24adjacent_difference_implIS3_Lb0ELb0EPlS7_ZN2at6native12_GLOBAL__N_124unique_dim_cuda_templateIlEESt5tupleIJNS8_6TensorESD_SD_EERKSD_lbbbEUlllE1_EE10hipError_tPvRmT2_T3_mT4_P12ihipStream_tbEUlT_E_NS1_11comp_targetILNS1_3genE9ELNS1_11target_archE1100ELNS1_3gpuE3ELNS1_3repE0EEENS1_30default_config_static_selectorELNS0_4arch9wavefront6targetE1EEEvT1_
		.amdhsa_group_segment_fixed_size 0
		.amdhsa_private_segment_fixed_size 0
		.amdhsa_kernarg_size 64
		.amdhsa_user_sgpr_count 2
		.amdhsa_user_sgpr_dispatch_ptr 0
		.amdhsa_user_sgpr_queue_ptr 0
		.amdhsa_user_sgpr_kernarg_segment_ptr 1
		.amdhsa_user_sgpr_dispatch_id 0
		.amdhsa_user_sgpr_kernarg_preload_length 0
		.amdhsa_user_sgpr_kernarg_preload_offset 0
		.amdhsa_user_sgpr_private_segment_size 0
		.amdhsa_uses_dynamic_stack 0
		.amdhsa_enable_private_segment 0
		.amdhsa_system_sgpr_workgroup_id_x 1
		.amdhsa_system_sgpr_workgroup_id_y 0
		.amdhsa_system_sgpr_workgroup_id_z 0
		.amdhsa_system_sgpr_workgroup_info 0
		.amdhsa_system_vgpr_workitem_id 0
		.amdhsa_next_free_vgpr 1
		.amdhsa_next_free_sgpr 0
		.amdhsa_accum_offset 4
		.amdhsa_reserve_vcc 0
		.amdhsa_float_round_mode_32 0
		.amdhsa_float_round_mode_16_64 0
		.amdhsa_float_denorm_mode_32 3
		.amdhsa_float_denorm_mode_16_64 3
		.amdhsa_dx10_clamp 1
		.amdhsa_ieee_mode 1
		.amdhsa_fp16_overflow 0
		.amdhsa_tg_split 0
		.amdhsa_exception_fp_ieee_invalid_op 0
		.amdhsa_exception_fp_denorm_src 0
		.amdhsa_exception_fp_ieee_div_zero 0
		.amdhsa_exception_fp_ieee_overflow 0
		.amdhsa_exception_fp_ieee_underflow 0
		.amdhsa_exception_fp_ieee_inexact 0
		.amdhsa_exception_int_div_zero 0
	.end_amdhsa_kernel
	.section	.text._ZN7rocprim17ROCPRIM_400000_NS6detail17trampoline_kernelINS0_14default_configENS1_35adjacent_difference_config_selectorILb0ElEEZNS1_24adjacent_difference_implIS3_Lb0ELb0EPlS7_ZN2at6native12_GLOBAL__N_124unique_dim_cuda_templateIlEESt5tupleIJNS8_6TensorESD_SD_EERKSD_lbbbEUlllE1_EE10hipError_tPvRmT2_T3_mT4_P12ihipStream_tbEUlT_E_NS1_11comp_targetILNS1_3genE9ELNS1_11target_archE1100ELNS1_3gpuE3ELNS1_3repE0EEENS1_30default_config_static_selectorELNS0_4arch9wavefront6targetE1EEEvT1_,"axG",@progbits,_ZN7rocprim17ROCPRIM_400000_NS6detail17trampoline_kernelINS0_14default_configENS1_35adjacent_difference_config_selectorILb0ElEEZNS1_24adjacent_difference_implIS3_Lb0ELb0EPlS7_ZN2at6native12_GLOBAL__N_124unique_dim_cuda_templateIlEESt5tupleIJNS8_6TensorESD_SD_EERKSD_lbbbEUlllE1_EE10hipError_tPvRmT2_T3_mT4_P12ihipStream_tbEUlT_E_NS1_11comp_targetILNS1_3genE9ELNS1_11target_archE1100ELNS1_3gpuE3ELNS1_3repE0EEENS1_30default_config_static_selectorELNS0_4arch9wavefront6targetE1EEEvT1_,comdat
.Lfunc_end544:
	.size	_ZN7rocprim17ROCPRIM_400000_NS6detail17trampoline_kernelINS0_14default_configENS1_35adjacent_difference_config_selectorILb0ElEEZNS1_24adjacent_difference_implIS3_Lb0ELb0EPlS7_ZN2at6native12_GLOBAL__N_124unique_dim_cuda_templateIlEESt5tupleIJNS8_6TensorESD_SD_EERKSD_lbbbEUlllE1_EE10hipError_tPvRmT2_T3_mT4_P12ihipStream_tbEUlT_E_NS1_11comp_targetILNS1_3genE9ELNS1_11target_archE1100ELNS1_3gpuE3ELNS1_3repE0EEENS1_30default_config_static_selectorELNS0_4arch9wavefront6targetE1EEEvT1_, .Lfunc_end544-_ZN7rocprim17ROCPRIM_400000_NS6detail17trampoline_kernelINS0_14default_configENS1_35adjacent_difference_config_selectorILb0ElEEZNS1_24adjacent_difference_implIS3_Lb0ELb0EPlS7_ZN2at6native12_GLOBAL__N_124unique_dim_cuda_templateIlEESt5tupleIJNS8_6TensorESD_SD_EERKSD_lbbbEUlllE1_EE10hipError_tPvRmT2_T3_mT4_P12ihipStream_tbEUlT_E_NS1_11comp_targetILNS1_3genE9ELNS1_11target_archE1100ELNS1_3gpuE3ELNS1_3repE0EEENS1_30default_config_static_selectorELNS0_4arch9wavefront6targetE1EEEvT1_
                                        ; -- End function
	.set _ZN7rocprim17ROCPRIM_400000_NS6detail17trampoline_kernelINS0_14default_configENS1_35adjacent_difference_config_selectorILb0ElEEZNS1_24adjacent_difference_implIS3_Lb0ELb0EPlS7_ZN2at6native12_GLOBAL__N_124unique_dim_cuda_templateIlEESt5tupleIJNS8_6TensorESD_SD_EERKSD_lbbbEUlllE1_EE10hipError_tPvRmT2_T3_mT4_P12ihipStream_tbEUlT_E_NS1_11comp_targetILNS1_3genE9ELNS1_11target_archE1100ELNS1_3gpuE3ELNS1_3repE0EEENS1_30default_config_static_selectorELNS0_4arch9wavefront6targetE1EEEvT1_.num_vgpr, 0
	.set _ZN7rocprim17ROCPRIM_400000_NS6detail17trampoline_kernelINS0_14default_configENS1_35adjacent_difference_config_selectorILb0ElEEZNS1_24adjacent_difference_implIS3_Lb0ELb0EPlS7_ZN2at6native12_GLOBAL__N_124unique_dim_cuda_templateIlEESt5tupleIJNS8_6TensorESD_SD_EERKSD_lbbbEUlllE1_EE10hipError_tPvRmT2_T3_mT4_P12ihipStream_tbEUlT_E_NS1_11comp_targetILNS1_3genE9ELNS1_11target_archE1100ELNS1_3gpuE3ELNS1_3repE0EEENS1_30default_config_static_selectorELNS0_4arch9wavefront6targetE1EEEvT1_.num_agpr, 0
	.set _ZN7rocprim17ROCPRIM_400000_NS6detail17trampoline_kernelINS0_14default_configENS1_35adjacent_difference_config_selectorILb0ElEEZNS1_24adjacent_difference_implIS3_Lb0ELb0EPlS7_ZN2at6native12_GLOBAL__N_124unique_dim_cuda_templateIlEESt5tupleIJNS8_6TensorESD_SD_EERKSD_lbbbEUlllE1_EE10hipError_tPvRmT2_T3_mT4_P12ihipStream_tbEUlT_E_NS1_11comp_targetILNS1_3genE9ELNS1_11target_archE1100ELNS1_3gpuE3ELNS1_3repE0EEENS1_30default_config_static_selectorELNS0_4arch9wavefront6targetE1EEEvT1_.numbered_sgpr, 0
	.set _ZN7rocprim17ROCPRIM_400000_NS6detail17trampoline_kernelINS0_14default_configENS1_35adjacent_difference_config_selectorILb0ElEEZNS1_24adjacent_difference_implIS3_Lb0ELb0EPlS7_ZN2at6native12_GLOBAL__N_124unique_dim_cuda_templateIlEESt5tupleIJNS8_6TensorESD_SD_EERKSD_lbbbEUlllE1_EE10hipError_tPvRmT2_T3_mT4_P12ihipStream_tbEUlT_E_NS1_11comp_targetILNS1_3genE9ELNS1_11target_archE1100ELNS1_3gpuE3ELNS1_3repE0EEENS1_30default_config_static_selectorELNS0_4arch9wavefront6targetE1EEEvT1_.num_named_barrier, 0
	.set _ZN7rocprim17ROCPRIM_400000_NS6detail17trampoline_kernelINS0_14default_configENS1_35adjacent_difference_config_selectorILb0ElEEZNS1_24adjacent_difference_implIS3_Lb0ELb0EPlS7_ZN2at6native12_GLOBAL__N_124unique_dim_cuda_templateIlEESt5tupleIJNS8_6TensorESD_SD_EERKSD_lbbbEUlllE1_EE10hipError_tPvRmT2_T3_mT4_P12ihipStream_tbEUlT_E_NS1_11comp_targetILNS1_3genE9ELNS1_11target_archE1100ELNS1_3gpuE3ELNS1_3repE0EEENS1_30default_config_static_selectorELNS0_4arch9wavefront6targetE1EEEvT1_.private_seg_size, 0
	.set _ZN7rocprim17ROCPRIM_400000_NS6detail17trampoline_kernelINS0_14default_configENS1_35adjacent_difference_config_selectorILb0ElEEZNS1_24adjacent_difference_implIS3_Lb0ELb0EPlS7_ZN2at6native12_GLOBAL__N_124unique_dim_cuda_templateIlEESt5tupleIJNS8_6TensorESD_SD_EERKSD_lbbbEUlllE1_EE10hipError_tPvRmT2_T3_mT4_P12ihipStream_tbEUlT_E_NS1_11comp_targetILNS1_3genE9ELNS1_11target_archE1100ELNS1_3gpuE3ELNS1_3repE0EEENS1_30default_config_static_selectorELNS0_4arch9wavefront6targetE1EEEvT1_.uses_vcc, 0
	.set _ZN7rocprim17ROCPRIM_400000_NS6detail17trampoline_kernelINS0_14default_configENS1_35adjacent_difference_config_selectorILb0ElEEZNS1_24adjacent_difference_implIS3_Lb0ELb0EPlS7_ZN2at6native12_GLOBAL__N_124unique_dim_cuda_templateIlEESt5tupleIJNS8_6TensorESD_SD_EERKSD_lbbbEUlllE1_EE10hipError_tPvRmT2_T3_mT4_P12ihipStream_tbEUlT_E_NS1_11comp_targetILNS1_3genE9ELNS1_11target_archE1100ELNS1_3gpuE3ELNS1_3repE0EEENS1_30default_config_static_selectorELNS0_4arch9wavefront6targetE1EEEvT1_.uses_flat_scratch, 0
	.set _ZN7rocprim17ROCPRIM_400000_NS6detail17trampoline_kernelINS0_14default_configENS1_35adjacent_difference_config_selectorILb0ElEEZNS1_24adjacent_difference_implIS3_Lb0ELb0EPlS7_ZN2at6native12_GLOBAL__N_124unique_dim_cuda_templateIlEESt5tupleIJNS8_6TensorESD_SD_EERKSD_lbbbEUlllE1_EE10hipError_tPvRmT2_T3_mT4_P12ihipStream_tbEUlT_E_NS1_11comp_targetILNS1_3genE9ELNS1_11target_archE1100ELNS1_3gpuE3ELNS1_3repE0EEENS1_30default_config_static_selectorELNS0_4arch9wavefront6targetE1EEEvT1_.has_dyn_sized_stack, 0
	.set _ZN7rocprim17ROCPRIM_400000_NS6detail17trampoline_kernelINS0_14default_configENS1_35adjacent_difference_config_selectorILb0ElEEZNS1_24adjacent_difference_implIS3_Lb0ELb0EPlS7_ZN2at6native12_GLOBAL__N_124unique_dim_cuda_templateIlEESt5tupleIJNS8_6TensorESD_SD_EERKSD_lbbbEUlllE1_EE10hipError_tPvRmT2_T3_mT4_P12ihipStream_tbEUlT_E_NS1_11comp_targetILNS1_3genE9ELNS1_11target_archE1100ELNS1_3gpuE3ELNS1_3repE0EEENS1_30default_config_static_selectorELNS0_4arch9wavefront6targetE1EEEvT1_.has_recursion, 0
	.set _ZN7rocprim17ROCPRIM_400000_NS6detail17trampoline_kernelINS0_14default_configENS1_35adjacent_difference_config_selectorILb0ElEEZNS1_24adjacent_difference_implIS3_Lb0ELb0EPlS7_ZN2at6native12_GLOBAL__N_124unique_dim_cuda_templateIlEESt5tupleIJNS8_6TensorESD_SD_EERKSD_lbbbEUlllE1_EE10hipError_tPvRmT2_T3_mT4_P12ihipStream_tbEUlT_E_NS1_11comp_targetILNS1_3genE9ELNS1_11target_archE1100ELNS1_3gpuE3ELNS1_3repE0EEENS1_30default_config_static_selectorELNS0_4arch9wavefront6targetE1EEEvT1_.has_indirect_call, 0
	.section	.AMDGPU.csdata,"",@progbits
; Kernel info:
; codeLenInByte = 0
; TotalNumSgprs: 6
; NumVgprs: 0
; NumAgprs: 0
; TotalNumVgprs: 0
; ScratchSize: 0
; MemoryBound: 0
; FloatMode: 240
; IeeeMode: 1
; LDSByteSize: 0 bytes/workgroup (compile time only)
; SGPRBlocks: 0
; VGPRBlocks: 0
; NumSGPRsForWavesPerEU: 6
; NumVGPRsForWavesPerEU: 1
; AccumOffset: 4
; Occupancy: 8
; WaveLimiterHint : 0
; COMPUTE_PGM_RSRC2:SCRATCH_EN: 0
; COMPUTE_PGM_RSRC2:USER_SGPR: 2
; COMPUTE_PGM_RSRC2:TRAP_HANDLER: 0
; COMPUTE_PGM_RSRC2:TGID_X_EN: 1
; COMPUTE_PGM_RSRC2:TGID_Y_EN: 0
; COMPUTE_PGM_RSRC2:TGID_Z_EN: 0
; COMPUTE_PGM_RSRC2:TIDIG_COMP_CNT: 0
; COMPUTE_PGM_RSRC3_GFX90A:ACCUM_OFFSET: 0
; COMPUTE_PGM_RSRC3_GFX90A:TG_SPLIT: 0
	.section	.text._ZN7rocprim17ROCPRIM_400000_NS6detail17trampoline_kernelINS0_14default_configENS1_35adjacent_difference_config_selectorILb0ElEEZNS1_24adjacent_difference_implIS3_Lb0ELb0EPlS7_ZN2at6native12_GLOBAL__N_124unique_dim_cuda_templateIlEESt5tupleIJNS8_6TensorESD_SD_EERKSD_lbbbEUlllE1_EE10hipError_tPvRmT2_T3_mT4_P12ihipStream_tbEUlT_E_NS1_11comp_targetILNS1_3genE8ELNS1_11target_archE1030ELNS1_3gpuE2ELNS1_3repE0EEENS1_30default_config_static_selectorELNS0_4arch9wavefront6targetE1EEEvT1_,"axG",@progbits,_ZN7rocprim17ROCPRIM_400000_NS6detail17trampoline_kernelINS0_14default_configENS1_35adjacent_difference_config_selectorILb0ElEEZNS1_24adjacent_difference_implIS3_Lb0ELb0EPlS7_ZN2at6native12_GLOBAL__N_124unique_dim_cuda_templateIlEESt5tupleIJNS8_6TensorESD_SD_EERKSD_lbbbEUlllE1_EE10hipError_tPvRmT2_T3_mT4_P12ihipStream_tbEUlT_E_NS1_11comp_targetILNS1_3genE8ELNS1_11target_archE1030ELNS1_3gpuE2ELNS1_3repE0EEENS1_30default_config_static_selectorELNS0_4arch9wavefront6targetE1EEEvT1_,comdat
	.globl	_ZN7rocprim17ROCPRIM_400000_NS6detail17trampoline_kernelINS0_14default_configENS1_35adjacent_difference_config_selectorILb0ElEEZNS1_24adjacent_difference_implIS3_Lb0ELb0EPlS7_ZN2at6native12_GLOBAL__N_124unique_dim_cuda_templateIlEESt5tupleIJNS8_6TensorESD_SD_EERKSD_lbbbEUlllE1_EE10hipError_tPvRmT2_T3_mT4_P12ihipStream_tbEUlT_E_NS1_11comp_targetILNS1_3genE8ELNS1_11target_archE1030ELNS1_3gpuE2ELNS1_3repE0EEENS1_30default_config_static_selectorELNS0_4arch9wavefront6targetE1EEEvT1_ ; -- Begin function _ZN7rocprim17ROCPRIM_400000_NS6detail17trampoline_kernelINS0_14default_configENS1_35adjacent_difference_config_selectorILb0ElEEZNS1_24adjacent_difference_implIS3_Lb0ELb0EPlS7_ZN2at6native12_GLOBAL__N_124unique_dim_cuda_templateIlEESt5tupleIJNS8_6TensorESD_SD_EERKSD_lbbbEUlllE1_EE10hipError_tPvRmT2_T3_mT4_P12ihipStream_tbEUlT_E_NS1_11comp_targetILNS1_3genE8ELNS1_11target_archE1030ELNS1_3gpuE2ELNS1_3repE0EEENS1_30default_config_static_selectorELNS0_4arch9wavefront6targetE1EEEvT1_
	.p2align	8
	.type	_ZN7rocprim17ROCPRIM_400000_NS6detail17trampoline_kernelINS0_14default_configENS1_35adjacent_difference_config_selectorILb0ElEEZNS1_24adjacent_difference_implIS3_Lb0ELb0EPlS7_ZN2at6native12_GLOBAL__N_124unique_dim_cuda_templateIlEESt5tupleIJNS8_6TensorESD_SD_EERKSD_lbbbEUlllE1_EE10hipError_tPvRmT2_T3_mT4_P12ihipStream_tbEUlT_E_NS1_11comp_targetILNS1_3genE8ELNS1_11target_archE1030ELNS1_3gpuE2ELNS1_3repE0EEENS1_30default_config_static_selectorELNS0_4arch9wavefront6targetE1EEEvT1_,@function
_ZN7rocprim17ROCPRIM_400000_NS6detail17trampoline_kernelINS0_14default_configENS1_35adjacent_difference_config_selectorILb0ElEEZNS1_24adjacent_difference_implIS3_Lb0ELb0EPlS7_ZN2at6native12_GLOBAL__N_124unique_dim_cuda_templateIlEESt5tupleIJNS8_6TensorESD_SD_EERKSD_lbbbEUlllE1_EE10hipError_tPvRmT2_T3_mT4_P12ihipStream_tbEUlT_E_NS1_11comp_targetILNS1_3genE8ELNS1_11target_archE1030ELNS1_3gpuE2ELNS1_3repE0EEENS1_30default_config_static_selectorELNS0_4arch9wavefront6targetE1EEEvT1_: ; @_ZN7rocprim17ROCPRIM_400000_NS6detail17trampoline_kernelINS0_14default_configENS1_35adjacent_difference_config_selectorILb0ElEEZNS1_24adjacent_difference_implIS3_Lb0ELb0EPlS7_ZN2at6native12_GLOBAL__N_124unique_dim_cuda_templateIlEESt5tupleIJNS8_6TensorESD_SD_EERKSD_lbbbEUlllE1_EE10hipError_tPvRmT2_T3_mT4_P12ihipStream_tbEUlT_E_NS1_11comp_targetILNS1_3genE8ELNS1_11target_archE1030ELNS1_3gpuE2ELNS1_3repE0EEENS1_30default_config_static_selectorELNS0_4arch9wavefront6targetE1EEEvT1_
; %bb.0:
	.section	.rodata,"a",@progbits
	.p2align	6, 0x0
	.amdhsa_kernel _ZN7rocprim17ROCPRIM_400000_NS6detail17trampoline_kernelINS0_14default_configENS1_35adjacent_difference_config_selectorILb0ElEEZNS1_24adjacent_difference_implIS3_Lb0ELb0EPlS7_ZN2at6native12_GLOBAL__N_124unique_dim_cuda_templateIlEESt5tupleIJNS8_6TensorESD_SD_EERKSD_lbbbEUlllE1_EE10hipError_tPvRmT2_T3_mT4_P12ihipStream_tbEUlT_E_NS1_11comp_targetILNS1_3genE8ELNS1_11target_archE1030ELNS1_3gpuE2ELNS1_3repE0EEENS1_30default_config_static_selectorELNS0_4arch9wavefront6targetE1EEEvT1_
		.amdhsa_group_segment_fixed_size 0
		.amdhsa_private_segment_fixed_size 0
		.amdhsa_kernarg_size 64
		.amdhsa_user_sgpr_count 2
		.amdhsa_user_sgpr_dispatch_ptr 0
		.amdhsa_user_sgpr_queue_ptr 0
		.amdhsa_user_sgpr_kernarg_segment_ptr 1
		.amdhsa_user_sgpr_dispatch_id 0
		.amdhsa_user_sgpr_kernarg_preload_length 0
		.amdhsa_user_sgpr_kernarg_preload_offset 0
		.amdhsa_user_sgpr_private_segment_size 0
		.amdhsa_uses_dynamic_stack 0
		.amdhsa_enable_private_segment 0
		.amdhsa_system_sgpr_workgroup_id_x 1
		.amdhsa_system_sgpr_workgroup_id_y 0
		.amdhsa_system_sgpr_workgroup_id_z 0
		.amdhsa_system_sgpr_workgroup_info 0
		.amdhsa_system_vgpr_workitem_id 0
		.amdhsa_next_free_vgpr 1
		.amdhsa_next_free_sgpr 0
		.amdhsa_accum_offset 4
		.amdhsa_reserve_vcc 0
		.amdhsa_float_round_mode_32 0
		.amdhsa_float_round_mode_16_64 0
		.amdhsa_float_denorm_mode_32 3
		.amdhsa_float_denorm_mode_16_64 3
		.amdhsa_dx10_clamp 1
		.amdhsa_ieee_mode 1
		.amdhsa_fp16_overflow 0
		.amdhsa_tg_split 0
		.amdhsa_exception_fp_ieee_invalid_op 0
		.amdhsa_exception_fp_denorm_src 0
		.amdhsa_exception_fp_ieee_div_zero 0
		.amdhsa_exception_fp_ieee_overflow 0
		.amdhsa_exception_fp_ieee_underflow 0
		.amdhsa_exception_fp_ieee_inexact 0
		.amdhsa_exception_int_div_zero 0
	.end_amdhsa_kernel
	.section	.text._ZN7rocprim17ROCPRIM_400000_NS6detail17trampoline_kernelINS0_14default_configENS1_35adjacent_difference_config_selectorILb0ElEEZNS1_24adjacent_difference_implIS3_Lb0ELb0EPlS7_ZN2at6native12_GLOBAL__N_124unique_dim_cuda_templateIlEESt5tupleIJNS8_6TensorESD_SD_EERKSD_lbbbEUlllE1_EE10hipError_tPvRmT2_T3_mT4_P12ihipStream_tbEUlT_E_NS1_11comp_targetILNS1_3genE8ELNS1_11target_archE1030ELNS1_3gpuE2ELNS1_3repE0EEENS1_30default_config_static_selectorELNS0_4arch9wavefront6targetE1EEEvT1_,"axG",@progbits,_ZN7rocprim17ROCPRIM_400000_NS6detail17trampoline_kernelINS0_14default_configENS1_35adjacent_difference_config_selectorILb0ElEEZNS1_24adjacent_difference_implIS3_Lb0ELb0EPlS7_ZN2at6native12_GLOBAL__N_124unique_dim_cuda_templateIlEESt5tupleIJNS8_6TensorESD_SD_EERKSD_lbbbEUlllE1_EE10hipError_tPvRmT2_T3_mT4_P12ihipStream_tbEUlT_E_NS1_11comp_targetILNS1_3genE8ELNS1_11target_archE1030ELNS1_3gpuE2ELNS1_3repE0EEENS1_30default_config_static_selectorELNS0_4arch9wavefront6targetE1EEEvT1_,comdat
.Lfunc_end545:
	.size	_ZN7rocprim17ROCPRIM_400000_NS6detail17trampoline_kernelINS0_14default_configENS1_35adjacent_difference_config_selectorILb0ElEEZNS1_24adjacent_difference_implIS3_Lb0ELb0EPlS7_ZN2at6native12_GLOBAL__N_124unique_dim_cuda_templateIlEESt5tupleIJNS8_6TensorESD_SD_EERKSD_lbbbEUlllE1_EE10hipError_tPvRmT2_T3_mT4_P12ihipStream_tbEUlT_E_NS1_11comp_targetILNS1_3genE8ELNS1_11target_archE1030ELNS1_3gpuE2ELNS1_3repE0EEENS1_30default_config_static_selectorELNS0_4arch9wavefront6targetE1EEEvT1_, .Lfunc_end545-_ZN7rocprim17ROCPRIM_400000_NS6detail17trampoline_kernelINS0_14default_configENS1_35adjacent_difference_config_selectorILb0ElEEZNS1_24adjacent_difference_implIS3_Lb0ELb0EPlS7_ZN2at6native12_GLOBAL__N_124unique_dim_cuda_templateIlEESt5tupleIJNS8_6TensorESD_SD_EERKSD_lbbbEUlllE1_EE10hipError_tPvRmT2_T3_mT4_P12ihipStream_tbEUlT_E_NS1_11comp_targetILNS1_3genE8ELNS1_11target_archE1030ELNS1_3gpuE2ELNS1_3repE0EEENS1_30default_config_static_selectorELNS0_4arch9wavefront6targetE1EEEvT1_
                                        ; -- End function
	.set _ZN7rocprim17ROCPRIM_400000_NS6detail17trampoline_kernelINS0_14default_configENS1_35adjacent_difference_config_selectorILb0ElEEZNS1_24adjacent_difference_implIS3_Lb0ELb0EPlS7_ZN2at6native12_GLOBAL__N_124unique_dim_cuda_templateIlEESt5tupleIJNS8_6TensorESD_SD_EERKSD_lbbbEUlllE1_EE10hipError_tPvRmT2_T3_mT4_P12ihipStream_tbEUlT_E_NS1_11comp_targetILNS1_3genE8ELNS1_11target_archE1030ELNS1_3gpuE2ELNS1_3repE0EEENS1_30default_config_static_selectorELNS0_4arch9wavefront6targetE1EEEvT1_.num_vgpr, 0
	.set _ZN7rocprim17ROCPRIM_400000_NS6detail17trampoline_kernelINS0_14default_configENS1_35adjacent_difference_config_selectorILb0ElEEZNS1_24adjacent_difference_implIS3_Lb0ELb0EPlS7_ZN2at6native12_GLOBAL__N_124unique_dim_cuda_templateIlEESt5tupleIJNS8_6TensorESD_SD_EERKSD_lbbbEUlllE1_EE10hipError_tPvRmT2_T3_mT4_P12ihipStream_tbEUlT_E_NS1_11comp_targetILNS1_3genE8ELNS1_11target_archE1030ELNS1_3gpuE2ELNS1_3repE0EEENS1_30default_config_static_selectorELNS0_4arch9wavefront6targetE1EEEvT1_.num_agpr, 0
	.set _ZN7rocprim17ROCPRIM_400000_NS6detail17trampoline_kernelINS0_14default_configENS1_35adjacent_difference_config_selectorILb0ElEEZNS1_24adjacent_difference_implIS3_Lb0ELb0EPlS7_ZN2at6native12_GLOBAL__N_124unique_dim_cuda_templateIlEESt5tupleIJNS8_6TensorESD_SD_EERKSD_lbbbEUlllE1_EE10hipError_tPvRmT2_T3_mT4_P12ihipStream_tbEUlT_E_NS1_11comp_targetILNS1_3genE8ELNS1_11target_archE1030ELNS1_3gpuE2ELNS1_3repE0EEENS1_30default_config_static_selectorELNS0_4arch9wavefront6targetE1EEEvT1_.numbered_sgpr, 0
	.set _ZN7rocprim17ROCPRIM_400000_NS6detail17trampoline_kernelINS0_14default_configENS1_35adjacent_difference_config_selectorILb0ElEEZNS1_24adjacent_difference_implIS3_Lb0ELb0EPlS7_ZN2at6native12_GLOBAL__N_124unique_dim_cuda_templateIlEESt5tupleIJNS8_6TensorESD_SD_EERKSD_lbbbEUlllE1_EE10hipError_tPvRmT2_T3_mT4_P12ihipStream_tbEUlT_E_NS1_11comp_targetILNS1_3genE8ELNS1_11target_archE1030ELNS1_3gpuE2ELNS1_3repE0EEENS1_30default_config_static_selectorELNS0_4arch9wavefront6targetE1EEEvT1_.num_named_barrier, 0
	.set _ZN7rocprim17ROCPRIM_400000_NS6detail17trampoline_kernelINS0_14default_configENS1_35adjacent_difference_config_selectorILb0ElEEZNS1_24adjacent_difference_implIS3_Lb0ELb0EPlS7_ZN2at6native12_GLOBAL__N_124unique_dim_cuda_templateIlEESt5tupleIJNS8_6TensorESD_SD_EERKSD_lbbbEUlllE1_EE10hipError_tPvRmT2_T3_mT4_P12ihipStream_tbEUlT_E_NS1_11comp_targetILNS1_3genE8ELNS1_11target_archE1030ELNS1_3gpuE2ELNS1_3repE0EEENS1_30default_config_static_selectorELNS0_4arch9wavefront6targetE1EEEvT1_.private_seg_size, 0
	.set _ZN7rocprim17ROCPRIM_400000_NS6detail17trampoline_kernelINS0_14default_configENS1_35adjacent_difference_config_selectorILb0ElEEZNS1_24adjacent_difference_implIS3_Lb0ELb0EPlS7_ZN2at6native12_GLOBAL__N_124unique_dim_cuda_templateIlEESt5tupleIJNS8_6TensorESD_SD_EERKSD_lbbbEUlllE1_EE10hipError_tPvRmT2_T3_mT4_P12ihipStream_tbEUlT_E_NS1_11comp_targetILNS1_3genE8ELNS1_11target_archE1030ELNS1_3gpuE2ELNS1_3repE0EEENS1_30default_config_static_selectorELNS0_4arch9wavefront6targetE1EEEvT1_.uses_vcc, 0
	.set _ZN7rocprim17ROCPRIM_400000_NS6detail17trampoline_kernelINS0_14default_configENS1_35adjacent_difference_config_selectorILb0ElEEZNS1_24adjacent_difference_implIS3_Lb0ELb0EPlS7_ZN2at6native12_GLOBAL__N_124unique_dim_cuda_templateIlEESt5tupleIJNS8_6TensorESD_SD_EERKSD_lbbbEUlllE1_EE10hipError_tPvRmT2_T3_mT4_P12ihipStream_tbEUlT_E_NS1_11comp_targetILNS1_3genE8ELNS1_11target_archE1030ELNS1_3gpuE2ELNS1_3repE0EEENS1_30default_config_static_selectorELNS0_4arch9wavefront6targetE1EEEvT1_.uses_flat_scratch, 0
	.set _ZN7rocprim17ROCPRIM_400000_NS6detail17trampoline_kernelINS0_14default_configENS1_35adjacent_difference_config_selectorILb0ElEEZNS1_24adjacent_difference_implIS3_Lb0ELb0EPlS7_ZN2at6native12_GLOBAL__N_124unique_dim_cuda_templateIlEESt5tupleIJNS8_6TensorESD_SD_EERKSD_lbbbEUlllE1_EE10hipError_tPvRmT2_T3_mT4_P12ihipStream_tbEUlT_E_NS1_11comp_targetILNS1_3genE8ELNS1_11target_archE1030ELNS1_3gpuE2ELNS1_3repE0EEENS1_30default_config_static_selectorELNS0_4arch9wavefront6targetE1EEEvT1_.has_dyn_sized_stack, 0
	.set _ZN7rocprim17ROCPRIM_400000_NS6detail17trampoline_kernelINS0_14default_configENS1_35adjacent_difference_config_selectorILb0ElEEZNS1_24adjacent_difference_implIS3_Lb0ELb0EPlS7_ZN2at6native12_GLOBAL__N_124unique_dim_cuda_templateIlEESt5tupleIJNS8_6TensorESD_SD_EERKSD_lbbbEUlllE1_EE10hipError_tPvRmT2_T3_mT4_P12ihipStream_tbEUlT_E_NS1_11comp_targetILNS1_3genE8ELNS1_11target_archE1030ELNS1_3gpuE2ELNS1_3repE0EEENS1_30default_config_static_selectorELNS0_4arch9wavefront6targetE1EEEvT1_.has_recursion, 0
	.set _ZN7rocprim17ROCPRIM_400000_NS6detail17trampoline_kernelINS0_14default_configENS1_35adjacent_difference_config_selectorILb0ElEEZNS1_24adjacent_difference_implIS3_Lb0ELb0EPlS7_ZN2at6native12_GLOBAL__N_124unique_dim_cuda_templateIlEESt5tupleIJNS8_6TensorESD_SD_EERKSD_lbbbEUlllE1_EE10hipError_tPvRmT2_T3_mT4_P12ihipStream_tbEUlT_E_NS1_11comp_targetILNS1_3genE8ELNS1_11target_archE1030ELNS1_3gpuE2ELNS1_3repE0EEENS1_30default_config_static_selectorELNS0_4arch9wavefront6targetE1EEEvT1_.has_indirect_call, 0
	.section	.AMDGPU.csdata,"",@progbits
; Kernel info:
; codeLenInByte = 0
; TotalNumSgprs: 6
; NumVgprs: 0
; NumAgprs: 0
; TotalNumVgprs: 0
; ScratchSize: 0
; MemoryBound: 0
; FloatMode: 240
; IeeeMode: 1
; LDSByteSize: 0 bytes/workgroup (compile time only)
; SGPRBlocks: 0
; VGPRBlocks: 0
; NumSGPRsForWavesPerEU: 6
; NumVGPRsForWavesPerEU: 1
; AccumOffset: 4
; Occupancy: 8
; WaveLimiterHint : 0
; COMPUTE_PGM_RSRC2:SCRATCH_EN: 0
; COMPUTE_PGM_RSRC2:USER_SGPR: 2
; COMPUTE_PGM_RSRC2:TRAP_HANDLER: 0
; COMPUTE_PGM_RSRC2:TGID_X_EN: 1
; COMPUTE_PGM_RSRC2:TGID_Y_EN: 0
; COMPUTE_PGM_RSRC2:TGID_Z_EN: 0
; COMPUTE_PGM_RSRC2:TIDIG_COMP_CNT: 0
; COMPUTE_PGM_RSRC3_GFX90A:ACCUM_OFFSET: 0
; COMPUTE_PGM_RSRC3_GFX90A:TG_SPLIT: 0
	.section	.text._ZN7rocprim17ROCPRIM_400000_NS6detail17trampoline_kernelINS0_14default_configENS1_25transform_config_selectorIlLb0EEEZNS1_14transform_implILb0ES3_S5_NS0_18transform_iteratorINS0_17counting_iteratorImlEEZNS1_24adjacent_difference_implIS3_Lb1ELb0EPlSB_ZN2at6native12_GLOBAL__N_124unique_dim_cuda_templateIlEESt5tupleIJNSC_6TensorESH_SH_EERKSH_lbbbEUlllE1_EE10hipError_tPvRmT2_T3_mT4_P12ihipStream_tbEUlmE_lEESB_NS0_8identityIvEEEESM_SP_SQ_mSR_ST_bEUlT_E_NS1_11comp_targetILNS1_3genE0ELNS1_11target_archE4294967295ELNS1_3gpuE0ELNS1_3repE0EEENS1_30default_config_static_selectorELNS0_4arch9wavefront6targetE1EEEvT1_,"axG",@progbits,_ZN7rocprim17ROCPRIM_400000_NS6detail17trampoline_kernelINS0_14default_configENS1_25transform_config_selectorIlLb0EEEZNS1_14transform_implILb0ES3_S5_NS0_18transform_iteratorINS0_17counting_iteratorImlEEZNS1_24adjacent_difference_implIS3_Lb1ELb0EPlSB_ZN2at6native12_GLOBAL__N_124unique_dim_cuda_templateIlEESt5tupleIJNSC_6TensorESH_SH_EERKSH_lbbbEUlllE1_EE10hipError_tPvRmT2_T3_mT4_P12ihipStream_tbEUlmE_lEESB_NS0_8identityIvEEEESM_SP_SQ_mSR_ST_bEUlT_E_NS1_11comp_targetILNS1_3genE0ELNS1_11target_archE4294967295ELNS1_3gpuE0ELNS1_3repE0EEENS1_30default_config_static_selectorELNS0_4arch9wavefront6targetE1EEEvT1_,comdat
	.globl	_ZN7rocprim17ROCPRIM_400000_NS6detail17trampoline_kernelINS0_14default_configENS1_25transform_config_selectorIlLb0EEEZNS1_14transform_implILb0ES3_S5_NS0_18transform_iteratorINS0_17counting_iteratorImlEEZNS1_24adjacent_difference_implIS3_Lb1ELb0EPlSB_ZN2at6native12_GLOBAL__N_124unique_dim_cuda_templateIlEESt5tupleIJNSC_6TensorESH_SH_EERKSH_lbbbEUlllE1_EE10hipError_tPvRmT2_T3_mT4_P12ihipStream_tbEUlmE_lEESB_NS0_8identityIvEEEESM_SP_SQ_mSR_ST_bEUlT_E_NS1_11comp_targetILNS1_3genE0ELNS1_11target_archE4294967295ELNS1_3gpuE0ELNS1_3repE0EEENS1_30default_config_static_selectorELNS0_4arch9wavefront6targetE1EEEvT1_ ; -- Begin function _ZN7rocprim17ROCPRIM_400000_NS6detail17trampoline_kernelINS0_14default_configENS1_25transform_config_selectorIlLb0EEEZNS1_14transform_implILb0ES3_S5_NS0_18transform_iteratorINS0_17counting_iteratorImlEEZNS1_24adjacent_difference_implIS3_Lb1ELb0EPlSB_ZN2at6native12_GLOBAL__N_124unique_dim_cuda_templateIlEESt5tupleIJNSC_6TensorESH_SH_EERKSH_lbbbEUlllE1_EE10hipError_tPvRmT2_T3_mT4_P12ihipStream_tbEUlmE_lEESB_NS0_8identityIvEEEESM_SP_SQ_mSR_ST_bEUlT_E_NS1_11comp_targetILNS1_3genE0ELNS1_11target_archE4294967295ELNS1_3gpuE0ELNS1_3repE0EEENS1_30default_config_static_selectorELNS0_4arch9wavefront6targetE1EEEvT1_
	.p2align	8
	.type	_ZN7rocprim17ROCPRIM_400000_NS6detail17trampoline_kernelINS0_14default_configENS1_25transform_config_selectorIlLb0EEEZNS1_14transform_implILb0ES3_S5_NS0_18transform_iteratorINS0_17counting_iteratorImlEEZNS1_24adjacent_difference_implIS3_Lb1ELb0EPlSB_ZN2at6native12_GLOBAL__N_124unique_dim_cuda_templateIlEESt5tupleIJNSC_6TensorESH_SH_EERKSH_lbbbEUlllE1_EE10hipError_tPvRmT2_T3_mT4_P12ihipStream_tbEUlmE_lEESB_NS0_8identityIvEEEESM_SP_SQ_mSR_ST_bEUlT_E_NS1_11comp_targetILNS1_3genE0ELNS1_11target_archE4294967295ELNS1_3gpuE0ELNS1_3repE0EEENS1_30default_config_static_selectorELNS0_4arch9wavefront6targetE1EEEvT1_,@function
_ZN7rocprim17ROCPRIM_400000_NS6detail17trampoline_kernelINS0_14default_configENS1_25transform_config_selectorIlLb0EEEZNS1_14transform_implILb0ES3_S5_NS0_18transform_iteratorINS0_17counting_iteratorImlEEZNS1_24adjacent_difference_implIS3_Lb1ELb0EPlSB_ZN2at6native12_GLOBAL__N_124unique_dim_cuda_templateIlEESt5tupleIJNSC_6TensorESH_SH_EERKSH_lbbbEUlllE1_EE10hipError_tPvRmT2_T3_mT4_P12ihipStream_tbEUlmE_lEESB_NS0_8identityIvEEEESM_SP_SQ_mSR_ST_bEUlT_E_NS1_11comp_targetILNS1_3genE0ELNS1_11target_archE4294967295ELNS1_3gpuE0ELNS1_3repE0EEENS1_30default_config_static_selectorELNS0_4arch9wavefront6targetE1EEEvT1_: ; @_ZN7rocprim17ROCPRIM_400000_NS6detail17trampoline_kernelINS0_14default_configENS1_25transform_config_selectorIlLb0EEEZNS1_14transform_implILb0ES3_S5_NS0_18transform_iteratorINS0_17counting_iteratorImlEEZNS1_24adjacent_difference_implIS3_Lb1ELb0EPlSB_ZN2at6native12_GLOBAL__N_124unique_dim_cuda_templateIlEESt5tupleIJNSC_6TensorESH_SH_EERKSH_lbbbEUlllE1_EE10hipError_tPvRmT2_T3_mT4_P12ihipStream_tbEUlmE_lEESB_NS0_8identityIvEEEESM_SP_SQ_mSR_ST_bEUlT_E_NS1_11comp_targetILNS1_3genE0ELNS1_11target_archE4294967295ELNS1_3gpuE0ELNS1_3repE0EEENS1_30default_config_static_selectorELNS0_4arch9wavefront6targetE1EEEvT1_
; %bb.0:
	s_load_dword s3, s[0:1], 0x38
	s_load_dword s5, s[0:1], 0x20
	s_lshl_b32 s4, s2, 7
	s_waitcnt lgkmcnt(0)
	s_add_i32 s3, s3, -1
	s_cmp_lg_u32 s2, s3
	s_cselect_b64 s[2:3], -1, 0
	s_sub_i32 s5, s5, s4
	v_cmp_gt_u32_e32 vcc, s5, v0
	s_or_b64 s[2:3], s[2:3], vcc
	s_and_saveexec_b64 s[6:7], s[2:3]
	s_cbranch_execz .LBB546_2
; %bb.1:
	s_load_dwordx2 s[2:3], s[0:1], 0x18
	s_load_dwordx4 s[8:11], s[0:1], 0x0
	s_load_dwordx2 s[6:7], s[0:1], 0x28
	s_load_dword s5, s[0:1], 0x10
	v_mov_b32_e32 v1, 0
	s_waitcnt lgkmcnt(0)
	s_lshl_b64 s[0:1], s[2:3], 3
	v_mov_b32_e32 v2, s10
	s_add_u32 s6, s6, s0
	s_addc_u32 s7, s7, s1
	s_add_u32 s0, s8, s2
	s_addc_u32 s1, s9, s3
	;; [unrolled: 2-line block ×3, first 2 shown]
	v_lshl_add_u64 v[4:5], s[0:1], 0, v[0:1]
	v_mad_u64_u32 v[6:7], s[0:1], v4, s5, 0
	v_mov_b32_e32 v4, v7
	v_mad_u64_u32 v[4:5], s[0:1], v5, s5, v[4:5]
	v_mov_b32_e32 v3, s11
	v_mov_b32_e32 v7, v4
	v_lshl_add_u64 v[2:3], v[6:7], 3, v[2:3]
	global_load_dwordx2 v[2:3], v[2:3], off
	s_mov_b32 s5, 0
	s_lshl_b64 s[0:1], s[4:5], 3
	s_add_u32 s0, s6, s0
	s_addc_u32 s1, s7, s1
	v_lshl_add_u64 v[0:1], v[0:1], 3, s[0:1]
	s_waitcnt vmcnt(0)
	global_store_dwordx2 v[0:1], v[2:3], off
.LBB546_2:
	s_endpgm
	.section	.rodata,"a",@progbits
	.p2align	6, 0x0
	.amdhsa_kernel _ZN7rocprim17ROCPRIM_400000_NS6detail17trampoline_kernelINS0_14default_configENS1_25transform_config_selectorIlLb0EEEZNS1_14transform_implILb0ES3_S5_NS0_18transform_iteratorINS0_17counting_iteratorImlEEZNS1_24adjacent_difference_implIS3_Lb1ELb0EPlSB_ZN2at6native12_GLOBAL__N_124unique_dim_cuda_templateIlEESt5tupleIJNSC_6TensorESH_SH_EERKSH_lbbbEUlllE1_EE10hipError_tPvRmT2_T3_mT4_P12ihipStream_tbEUlmE_lEESB_NS0_8identityIvEEEESM_SP_SQ_mSR_ST_bEUlT_E_NS1_11comp_targetILNS1_3genE0ELNS1_11target_archE4294967295ELNS1_3gpuE0ELNS1_3repE0EEENS1_30default_config_static_selectorELNS0_4arch9wavefront6targetE1EEEvT1_
		.amdhsa_group_segment_fixed_size 0
		.amdhsa_private_segment_fixed_size 0
		.amdhsa_kernarg_size 312
		.amdhsa_user_sgpr_count 2
		.amdhsa_user_sgpr_dispatch_ptr 0
		.amdhsa_user_sgpr_queue_ptr 0
		.amdhsa_user_sgpr_kernarg_segment_ptr 1
		.amdhsa_user_sgpr_dispatch_id 0
		.amdhsa_user_sgpr_kernarg_preload_length 0
		.amdhsa_user_sgpr_kernarg_preload_offset 0
		.amdhsa_user_sgpr_private_segment_size 0
		.amdhsa_uses_dynamic_stack 0
		.amdhsa_enable_private_segment 0
		.amdhsa_system_sgpr_workgroup_id_x 1
		.amdhsa_system_sgpr_workgroup_id_y 0
		.amdhsa_system_sgpr_workgroup_id_z 0
		.amdhsa_system_sgpr_workgroup_info 0
		.amdhsa_system_vgpr_workitem_id 0
		.amdhsa_next_free_vgpr 8
		.amdhsa_next_free_sgpr 12
		.amdhsa_accum_offset 8
		.amdhsa_reserve_vcc 1
		.amdhsa_float_round_mode_32 0
		.amdhsa_float_round_mode_16_64 0
		.amdhsa_float_denorm_mode_32 3
		.amdhsa_float_denorm_mode_16_64 3
		.amdhsa_dx10_clamp 1
		.amdhsa_ieee_mode 1
		.amdhsa_fp16_overflow 0
		.amdhsa_tg_split 0
		.amdhsa_exception_fp_ieee_invalid_op 0
		.amdhsa_exception_fp_denorm_src 0
		.amdhsa_exception_fp_ieee_div_zero 0
		.amdhsa_exception_fp_ieee_overflow 0
		.amdhsa_exception_fp_ieee_underflow 0
		.amdhsa_exception_fp_ieee_inexact 0
		.amdhsa_exception_int_div_zero 0
	.end_amdhsa_kernel
	.section	.text._ZN7rocprim17ROCPRIM_400000_NS6detail17trampoline_kernelINS0_14default_configENS1_25transform_config_selectorIlLb0EEEZNS1_14transform_implILb0ES3_S5_NS0_18transform_iteratorINS0_17counting_iteratorImlEEZNS1_24adjacent_difference_implIS3_Lb1ELb0EPlSB_ZN2at6native12_GLOBAL__N_124unique_dim_cuda_templateIlEESt5tupleIJNSC_6TensorESH_SH_EERKSH_lbbbEUlllE1_EE10hipError_tPvRmT2_T3_mT4_P12ihipStream_tbEUlmE_lEESB_NS0_8identityIvEEEESM_SP_SQ_mSR_ST_bEUlT_E_NS1_11comp_targetILNS1_3genE0ELNS1_11target_archE4294967295ELNS1_3gpuE0ELNS1_3repE0EEENS1_30default_config_static_selectorELNS0_4arch9wavefront6targetE1EEEvT1_,"axG",@progbits,_ZN7rocprim17ROCPRIM_400000_NS6detail17trampoline_kernelINS0_14default_configENS1_25transform_config_selectorIlLb0EEEZNS1_14transform_implILb0ES3_S5_NS0_18transform_iteratorINS0_17counting_iteratorImlEEZNS1_24adjacent_difference_implIS3_Lb1ELb0EPlSB_ZN2at6native12_GLOBAL__N_124unique_dim_cuda_templateIlEESt5tupleIJNSC_6TensorESH_SH_EERKSH_lbbbEUlllE1_EE10hipError_tPvRmT2_T3_mT4_P12ihipStream_tbEUlmE_lEESB_NS0_8identityIvEEEESM_SP_SQ_mSR_ST_bEUlT_E_NS1_11comp_targetILNS1_3genE0ELNS1_11target_archE4294967295ELNS1_3gpuE0ELNS1_3repE0EEENS1_30default_config_static_selectorELNS0_4arch9wavefront6targetE1EEEvT1_,comdat
.Lfunc_end546:
	.size	_ZN7rocprim17ROCPRIM_400000_NS6detail17trampoline_kernelINS0_14default_configENS1_25transform_config_selectorIlLb0EEEZNS1_14transform_implILb0ES3_S5_NS0_18transform_iteratorINS0_17counting_iteratorImlEEZNS1_24adjacent_difference_implIS3_Lb1ELb0EPlSB_ZN2at6native12_GLOBAL__N_124unique_dim_cuda_templateIlEESt5tupleIJNSC_6TensorESH_SH_EERKSH_lbbbEUlllE1_EE10hipError_tPvRmT2_T3_mT4_P12ihipStream_tbEUlmE_lEESB_NS0_8identityIvEEEESM_SP_SQ_mSR_ST_bEUlT_E_NS1_11comp_targetILNS1_3genE0ELNS1_11target_archE4294967295ELNS1_3gpuE0ELNS1_3repE0EEENS1_30default_config_static_selectorELNS0_4arch9wavefront6targetE1EEEvT1_, .Lfunc_end546-_ZN7rocprim17ROCPRIM_400000_NS6detail17trampoline_kernelINS0_14default_configENS1_25transform_config_selectorIlLb0EEEZNS1_14transform_implILb0ES3_S5_NS0_18transform_iteratorINS0_17counting_iteratorImlEEZNS1_24adjacent_difference_implIS3_Lb1ELb0EPlSB_ZN2at6native12_GLOBAL__N_124unique_dim_cuda_templateIlEESt5tupleIJNSC_6TensorESH_SH_EERKSH_lbbbEUlllE1_EE10hipError_tPvRmT2_T3_mT4_P12ihipStream_tbEUlmE_lEESB_NS0_8identityIvEEEESM_SP_SQ_mSR_ST_bEUlT_E_NS1_11comp_targetILNS1_3genE0ELNS1_11target_archE4294967295ELNS1_3gpuE0ELNS1_3repE0EEENS1_30default_config_static_selectorELNS0_4arch9wavefront6targetE1EEEvT1_
                                        ; -- End function
	.set _ZN7rocprim17ROCPRIM_400000_NS6detail17trampoline_kernelINS0_14default_configENS1_25transform_config_selectorIlLb0EEEZNS1_14transform_implILb0ES3_S5_NS0_18transform_iteratorINS0_17counting_iteratorImlEEZNS1_24adjacent_difference_implIS3_Lb1ELb0EPlSB_ZN2at6native12_GLOBAL__N_124unique_dim_cuda_templateIlEESt5tupleIJNSC_6TensorESH_SH_EERKSH_lbbbEUlllE1_EE10hipError_tPvRmT2_T3_mT4_P12ihipStream_tbEUlmE_lEESB_NS0_8identityIvEEEESM_SP_SQ_mSR_ST_bEUlT_E_NS1_11comp_targetILNS1_3genE0ELNS1_11target_archE4294967295ELNS1_3gpuE0ELNS1_3repE0EEENS1_30default_config_static_selectorELNS0_4arch9wavefront6targetE1EEEvT1_.num_vgpr, 8
	.set _ZN7rocprim17ROCPRIM_400000_NS6detail17trampoline_kernelINS0_14default_configENS1_25transform_config_selectorIlLb0EEEZNS1_14transform_implILb0ES3_S5_NS0_18transform_iteratorINS0_17counting_iteratorImlEEZNS1_24adjacent_difference_implIS3_Lb1ELb0EPlSB_ZN2at6native12_GLOBAL__N_124unique_dim_cuda_templateIlEESt5tupleIJNSC_6TensorESH_SH_EERKSH_lbbbEUlllE1_EE10hipError_tPvRmT2_T3_mT4_P12ihipStream_tbEUlmE_lEESB_NS0_8identityIvEEEESM_SP_SQ_mSR_ST_bEUlT_E_NS1_11comp_targetILNS1_3genE0ELNS1_11target_archE4294967295ELNS1_3gpuE0ELNS1_3repE0EEENS1_30default_config_static_selectorELNS0_4arch9wavefront6targetE1EEEvT1_.num_agpr, 0
	.set _ZN7rocprim17ROCPRIM_400000_NS6detail17trampoline_kernelINS0_14default_configENS1_25transform_config_selectorIlLb0EEEZNS1_14transform_implILb0ES3_S5_NS0_18transform_iteratorINS0_17counting_iteratorImlEEZNS1_24adjacent_difference_implIS3_Lb1ELb0EPlSB_ZN2at6native12_GLOBAL__N_124unique_dim_cuda_templateIlEESt5tupleIJNSC_6TensorESH_SH_EERKSH_lbbbEUlllE1_EE10hipError_tPvRmT2_T3_mT4_P12ihipStream_tbEUlmE_lEESB_NS0_8identityIvEEEESM_SP_SQ_mSR_ST_bEUlT_E_NS1_11comp_targetILNS1_3genE0ELNS1_11target_archE4294967295ELNS1_3gpuE0ELNS1_3repE0EEENS1_30default_config_static_selectorELNS0_4arch9wavefront6targetE1EEEvT1_.numbered_sgpr, 12
	.set _ZN7rocprim17ROCPRIM_400000_NS6detail17trampoline_kernelINS0_14default_configENS1_25transform_config_selectorIlLb0EEEZNS1_14transform_implILb0ES3_S5_NS0_18transform_iteratorINS0_17counting_iteratorImlEEZNS1_24adjacent_difference_implIS3_Lb1ELb0EPlSB_ZN2at6native12_GLOBAL__N_124unique_dim_cuda_templateIlEESt5tupleIJNSC_6TensorESH_SH_EERKSH_lbbbEUlllE1_EE10hipError_tPvRmT2_T3_mT4_P12ihipStream_tbEUlmE_lEESB_NS0_8identityIvEEEESM_SP_SQ_mSR_ST_bEUlT_E_NS1_11comp_targetILNS1_3genE0ELNS1_11target_archE4294967295ELNS1_3gpuE0ELNS1_3repE0EEENS1_30default_config_static_selectorELNS0_4arch9wavefront6targetE1EEEvT1_.num_named_barrier, 0
	.set _ZN7rocprim17ROCPRIM_400000_NS6detail17trampoline_kernelINS0_14default_configENS1_25transform_config_selectorIlLb0EEEZNS1_14transform_implILb0ES3_S5_NS0_18transform_iteratorINS0_17counting_iteratorImlEEZNS1_24adjacent_difference_implIS3_Lb1ELb0EPlSB_ZN2at6native12_GLOBAL__N_124unique_dim_cuda_templateIlEESt5tupleIJNSC_6TensorESH_SH_EERKSH_lbbbEUlllE1_EE10hipError_tPvRmT2_T3_mT4_P12ihipStream_tbEUlmE_lEESB_NS0_8identityIvEEEESM_SP_SQ_mSR_ST_bEUlT_E_NS1_11comp_targetILNS1_3genE0ELNS1_11target_archE4294967295ELNS1_3gpuE0ELNS1_3repE0EEENS1_30default_config_static_selectorELNS0_4arch9wavefront6targetE1EEEvT1_.private_seg_size, 0
	.set _ZN7rocprim17ROCPRIM_400000_NS6detail17trampoline_kernelINS0_14default_configENS1_25transform_config_selectorIlLb0EEEZNS1_14transform_implILb0ES3_S5_NS0_18transform_iteratorINS0_17counting_iteratorImlEEZNS1_24adjacent_difference_implIS3_Lb1ELb0EPlSB_ZN2at6native12_GLOBAL__N_124unique_dim_cuda_templateIlEESt5tupleIJNSC_6TensorESH_SH_EERKSH_lbbbEUlllE1_EE10hipError_tPvRmT2_T3_mT4_P12ihipStream_tbEUlmE_lEESB_NS0_8identityIvEEEESM_SP_SQ_mSR_ST_bEUlT_E_NS1_11comp_targetILNS1_3genE0ELNS1_11target_archE4294967295ELNS1_3gpuE0ELNS1_3repE0EEENS1_30default_config_static_selectorELNS0_4arch9wavefront6targetE1EEEvT1_.uses_vcc, 1
	.set _ZN7rocprim17ROCPRIM_400000_NS6detail17trampoline_kernelINS0_14default_configENS1_25transform_config_selectorIlLb0EEEZNS1_14transform_implILb0ES3_S5_NS0_18transform_iteratorINS0_17counting_iteratorImlEEZNS1_24adjacent_difference_implIS3_Lb1ELb0EPlSB_ZN2at6native12_GLOBAL__N_124unique_dim_cuda_templateIlEESt5tupleIJNSC_6TensorESH_SH_EERKSH_lbbbEUlllE1_EE10hipError_tPvRmT2_T3_mT4_P12ihipStream_tbEUlmE_lEESB_NS0_8identityIvEEEESM_SP_SQ_mSR_ST_bEUlT_E_NS1_11comp_targetILNS1_3genE0ELNS1_11target_archE4294967295ELNS1_3gpuE0ELNS1_3repE0EEENS1_30default_config_static_selectorELNS0_4arch9wavefront6targetE1EEEvT1_.uses_flat_scratch, 0
	.set _ZN7rocprim17ROCPRIM_400000_NS6detail17trampoline_kernelINS0_14default_configENS1_25transform_config_selectorIlLb0EEEZNS1_14transform_implILb0ES3_S5_NS0_18transform_iteratorINS0_17counting_iteratorImlEEZNS1_24adjacent_difference_implIS3_Lb1ELb0EPlSB_ZN2at6native12_GLOBAL__N_124unique_dim_cuda_templateIlEESt5tupleIJNSC_6TensorESH_SH_EERKSH_lbbbEUlllE1_EE10hipError_tPvRmT2_T3_mT4_P12ihipStream_tbEUlmE_lEESB_NS0_8identityIvEEEESM_SP_SQ_mSR_ST_bEUlT_E_NS1_11comp_targetILNS1_3genE0ELNS1_11target_archE4294967295ELNS1_3gpuE0ELNS1_3repE0EEENS1_30default_config_static_selectorELNS0_4arch9wavefront6targetE1EEEvT1_.has_dyn_sized_stack, 0
	.set _ZN7rocprim17ROCPRIM_400000_NS6detail17trampoline_kernelINS0_14default_configENS1_25transform_config_selectorIlLb0EEEZNS1_14transform_implILb0ES3_S5_NS0_18transform_iteratorINS0_17counting_iteratorImlEEZNS1_24adjacent_difference_implIS3_Lb1ELb0EPlSB_ZN2at6native12_GLOBAL__N_124unique_dim_cuda_templateIlEESt5tupleIJNSC_6TensorESH_SH_EERKSH_lbbbEUlllE1_EE10hipError_tPvRmT2_T3_mT4_P12ihipStream_tbEUlmE_lEESB_NS0_8identityIvEEEESM_SP_SQ_mSR_ST_bEUlT_E_NS1_11comp_targetILNS1_3genE0ELNS1_11target_archE4294967295ELNS1_3gpuE0ELNS1_3repE0EEENS1_30default_config_static_selectorELNS0_4arch9wavefront6targetE1EEEvT1_.has_recursion, 0
	.set _ZN7rocprim17ROCPRIM_400000_NS6detail17trampoline_kernelINS0_14default_configENS1_25transform_config_selectorIlLb0EEEZNS1_14transform_implILb0ES3_S5_NS0_18transform_iteratorINS0_17counting_iteratorImlEEZNS1_24adjacent_difference_implIS3_Lb1ELb0EPlSB_ZN2at6native12_GLOBAL__N_124unique_dim_cuda_templateIlEESt5tupleIJNSC_6TensorESH_SH_EERKSH_lbbbEUlllE1_EE10hipError_tPvRmT2_T3_mT4_P12ihipStream_tbEUlmE_lEESB_NS0_8identityIvEEEESM_SP_SQ_mSR_ST_bEUlT_E_NS1_11comp_targetILNS1_3genE0ELNS1_11target_archE4294967295ELNS1_3gpuE0ELNS1_3repE0EEENS1_30default_config_static_selectorELNS0_4arch9wavefront6targetE1EEEvT1_.has_indirect_call, 0
	.section	.AMDGPU.csdata,"",@progbits
; Kernel info:
; codeLenInByte = 220
; TotalNumSgprs: 18
; NumVgprs: 8
; NumAgprs: 0
; TotalNumVgprs: 8
; ScratchSize: 0
; MemoryBound: 0
; FloatMode: 240
; IeeeMode: 1
; LDSByteSize: 0 bytes/workgroup (compile time only)
; SGPRBlocks: 2
; VGPRBlocks: 0
; NumSGPRsForWavesPerEU: 18
; NumVGPRsForWavesPerEU: 8
; AccumOffset: 8
; Occupancy: 8
; WaveLimiterHint : 0
; COMPUTE_PGM_RSRC2:SCRATCH_EN: 0
; COMPUTE_PGM_RSRC2:USER_SGPR: 2
; COMPUTE_PGM_RSRC2:TRAP_HANDLER: 0
; COMPUTE_PGM_RSRC2:TGID_X_EN: 1
; COMPUTE_PGM_RSRC2:TGID_Y_EN: 0
; COMPUTE_PGM_RSRC2:TGID_Z_EN: 0
; COMPUTE_PGM_RSRC2:TIDIG_COMP_CNT: 0
; COMPUTE_PGM_RSRC3_GFX90A:ACCUM_OFFSET: 1
; COMPUTE_PGM_RSRC3_GFX90A:TG_SPLIT: 0
	.section	.text._ZN7rocprim17ROCPRIM_400000_NS6detail17trampoline_kernelINS0_14default_configENS1_25transform_config_selectorIlLb0EEEZNS1_14transform_implILb0ES3_S5_NS0_18transform_iteratorINS0_17counting_iteratorImlEEZNS1_24adjacent_difference_implIS3_Lb1ELb0EPlSB_ZN2at6native12_GLOBAL__N_124unique_dim_cuda_templateIlEESt5tupleIJNSC_6TensorESH_SH_EERKSH_lbbbEUlllE1_EE10hipError_tPvRmT2_T3_mT4_P12ihipStream_tbEUlmE_lEESB_NS0_8identityIvEEEESM_SP_SQ_mSR_ST_bEUlT_E_NS1_11comp_targetILNS1_3genE5ELNS1_11target_archE942ELNS1_3gpuE9ELNS1_3repE0EEENS1_30default_config_static_selectorELNS0_4arch9wavefront6targetE1EEEvT1_,"axG",@progbits,_ZN7rocprim17ROCPRIM_400000_NS6detail17trampoline_kernelINS0_14default_configENS1_25transform_config_selectorIlLb0EEEZNS1_14transform_implILb0ES3_S5_NS0_18transform_iteratorINS0_17counting_iteratorImlEEZNS1_24adjacent_difference_implIS3_Lb1ELb0EPlSB_ZN2at6native12_GLOBAL__N_124unique_dim_cuda_templateIlEESt5tupleIJNSC_6TensorESH_SH_EERKSH_lbbbEUlllE1_EE10hipError_tPvRmT2_T3_mT4_P12ihipStream_tbEUlmE_lEESB_NS0_8identityIvEEEESM_SP_SQ_mSR_ST_bEUlT_E_NS1_11comp_targetILNS1_3genE5ELNS1_11target_archE942ELNS1_3gpuE9ELNS1_3repE0EEENS1_30default_config_static_selectorELNS0_4arch9wavefront6targetE1EEEvT1_,comdat
	.globl	_ZN7rocprim17ROCPRIM_400000_NS6detail17trampoline_kernelINS0_14default_configENS1_25transform_config_selectorIlLb0EEEZNS1_14transform_implILb0ES3_S5_NS0_18transform_iteratorINS0_17counting_iteratorImlEEZNS1_24adjacent_difference_implIS3_Lb1ELb0EPlSB_ZN2at6native12_GLOBAL__N_124unique_dim_cuda_templateIlEESt5tupleIJNSC_6TensorESH_SH_EERKSH_lbbbEUlllE1_EE10hipError_tPvRmT2_T3_mT4_P12ihipStream_tbEUlmE_lEESB_NS0_8identityIvEEEESM_SP_SQ_mSR_ST_bEUlT_E_NS1_11comp_targetILNS1_3genE5ELNS1_11target_archE942ELNS1_3gpuE9ELNS1_3repE0EEENS1_30default_config_static_selectorELNS0_4arch9wavefront6targetE1EEEvT1_ ; -- Begin function _ZN7rocprim17ROCPRIM_400000_NS6detail17trampoline_kernelINS0_14default_configENS1_25transform_config_selectorIlLb0EEEZNS1_14transform_implILb0ES3_S5_NS0_18transform_iteratorINS0_17counting_iteratorImlEEZNS1_24adjacent_difference_implIS3_Lb1ELb0EPlSB_ZN2at6native12_GLOBAL__N_124unique_dim_cuda_templateIlEESt5tupleIJNSC_6TensorESH_SH_EERKSH_lbbbEUlllE1_EE10hipError_tPvRmT2_T3_mT4_P12ihipStream_tbEUlmE_lEESB_NS0_8identityIvEEEESM_SP_SQ_mSR_ST_bEUlT_E_NS1_11comp_targetILNS1_3genE5ELNS1_11target_archE942ELNS1_3gpuE9ELNS1_3repE0EEENS1_30default_config_static_selectorELNS0_4arch9wavefront6targetE1EEEvT1_
	.p2align	8
	.type	_ZN7rocprim17ROCPRIM_400000_NS6detail17trampoline_kernelINS0_14default_configENS1_25transform_config_selectorIlLb0EEEZNS1_14transform_implILb0ES3_S5_NS0_18transform_iteratorINS0_17counting_iteratorImlEEZNS1_24adjacent_difference_implIS3_Lb1ELb0EPlSB_ZN2at6native12_GLOBAL__N_124unique_dim_cuda_templateIlEESt5tupleIJNSC_6TensorESH_SH_EERKSH_lbbbEUlllE1_EE10hipError_tPvRmT2_T3_mT4_P12ihipStream_tbEUlmE_lEESB_NS0_8identityIvEEEESM_SP_SQ_mSR_ST_bEUlT_E_NS1_11comp_targetILNS1_3genE5ELNS1_11target_archE942ELNS1_3gpuE9ELNS1_3repE0EEENS1_30default_config_static_selectorELNS0_4arch9wavefront6targetE1EEEvT1_,@function
_ZN7rocprim17ROCPRIM_400000_NS6detail17trampoline_kernelINS0_14default_configENS1_25transform_config_selectorIlLb0EEEZNS1_14transform_implILb0ES3_S5_NS0_18transform_iteratorINS0_17counting_iteratorImlEEZNS1_24adjacent_difference_implIS3_Lb1ELb0EPlSB_ZN2at6native12_GLOBAL__N_124unique_dim_cuda_templateIlEESt5tupleIJNSC_6TensorESH_SH_EERKSH_lbbbEUlllE1_EE10hipError_tPvRmT2_T3_mT4_P12ihipStream_tbEUlmE_lEESB_NS0_8identityIvEEEESM_SP_SQ_mSR_ST_bEUlT_E_NS1_11comp_targetILNS1_3genE5ELNS1_11target_archE942ELNS1_3gpuE9ELNS1_3repE0EEENS1_30default_config_static_selectorELNS0_4arch9wavefront6targetE1EEEvT1_: ; @_ZN7rocprim17ROCPRIM_400000_NS6detail17trampoline_kernelINS0_14default_configENS1_25transform_config_selectorIlLb0EEEZNS1_14transform_implILb0ES3_S5_NS0_18transform_iteratorINS0_17counting_iteratorImlEEZNS1_24adjacent_difference_implIS3_Lb1ELb0EPlSB_ZN2at6native12_GLOBAL__N_124unique_dim_cuda_templateIlEESt5tupleIJNSC_6TensorESH_SH_EERKSH_lbbbEUlllE1_EE10hipError_tPvRmT2_T3_mT4_P12ihipStream_tbEUlmE_lEESB_NS0_8identityIvEEEESM_SP_SQ_mSR_ST_bEUlT_E_NS1_11comp_targetILNS1_3genE5ELNS1_11target_archE942ELNS1_3gpuE9ELNS1_3repE0EEENS1_30default_config_static_selectorELNS0_4arch9wavefront6targetE1EEEvT1_
; %bb.0:
	.section	.rodata,"a",@progbits
	.p2align	6, 0x0
	.amdhsa_kernel _ZN7rocprim17ROCPRIM_400000_NS6detail17trampoline_kernelINS0_14default_configENS1_25transform_config_selectorIlLb0EEEZNS1_14transform_implILb0ES3_S5_NS0_18transform_iteratorINS0_17counting_iteratorImlEEZNS1_24adjacent_difference_implIS3_Lb1ELb0EPlSB_ZN2at6native12_GLOBAL__N_124unique_dim_cuda_templateIlEESt5tupleIJNSC_6TensorESH_SH_EERKSH_lbbbEUlllE1_EE10hipError_tPvRmT2_T3_mT4_P12ihipStream_tbEUlmE_lEESB_NS0_8identityIvEEEESM_SP_SQ_mSR_ST_bEUlT_E_NS1_11comp_targetILNS1_3genE5ELNS1_11target_archE942ELNS1_3gpuE9ELNS1_3repE0EEENS1_30default_config_static_selectorELNS0_4arch9wavefront6targetE1EEEvT1_
		.amdhsa_group_segment_fixed_size 0
		.amdhsa_private_segment_fixed_size 0
		.amdhsa_kernarg_size 56
		.amdhsa_user_sgpr_count 2
		.amdhsa_user_sgpr_dispatch_ptr 0
		.amdhsa_user_sgpr_queue_ptr 0
		.amdhsa_user_sgpr_kernarg_segment_ptr 1
		.amdhsa_user_sgpr_dispatch_id 0
		.amdhsa_user_sgpr_kernarg_preload_length 0
		.amdhsa_user_sgpr_kernarg_preload_offset 0
		.amdhsa_user_sgpr_private_segment_size 0
		.amdhsa_uses_dynamic_stack 0
		.amdhsa_enable_private_segment 0
		.amdhsa_system_sgpr_workgroup_id_x 1
		.amdhsa_system_sgpr_workgroup_id_y 0
		.amdhsa_system_sgpr_workgroup_id_z 0
		.amdhsa_system_sgpr_workgroup_info 0
		.amdhsa_system_vgpr_workitem_id 0
		.amdhsa_next_free_vgpr 1
		.amdhsa_next_free_sgpr 0
		.amdhsa_accum_offset 4
		.amdhsa_reserve_vcc 0
		.amdhsa_float_round_mode_32 0
		.amdhsa_float_round_mode_16_64 0
		.amdhsa_float_denorm_mode_32 3
		.amdhsa_float_denorm_mode_16_64 3
		.amdhsa_dx10_clamp 1
		.amdhsa_ieee_mode 1
		.amdhsa_fp16_overflow 0
		.amdhsa_tg_split 0
		.amdhsa_exception_fp_ieee_invalid_op 0
		.amdhsa_exception_fp_denorm_src 0
		.amdhsa_exception_fp_ieee_div_zero 0
		.amdhsa_exception_fp_ieee_overflow 0
		.amdhsa_exception_fp_ieee_underflow 0
		.amdhsa_exception_fp_ieee_inexact 0
		.amdhsa_exception_int_div_zero 0
	.end_amdhsa_kernel
	.section	.text._ZN7rocprim17ROCPRIM_400000_NS6detail17trampoline_kernelINS0_14default_configENS1_25transform_config_selectorIlLb0EEEZNS1_14transform_implILb0ES3_S5_NS0_18transform_iteratorINS0_17counting_iteratorImlEEZNS1_24adjacent_difference_implIS3_Lb1ELb0EPlSB_ZN2at6native12_GLOBAL__N_124unique_dim_cuda_templateIlEESt5tupleIJNSC_6TensorESH_SH_EERKSH_lbbbEUlllE1_EE10hipError_tPvRmT2_T3_mT4_P12ihipStream_tbEUlmE_lEESB_NS0_8identityIvEEEESM_SP_SQ_mSR_ST_bEUlT_E_NS1_11comp_targetILNS1_3genE5ELNS1_11target_archE942ELNS1_3gpuE9ELNS1_3repE0EEENS1_30default_config_static_selectorELNS0_4arch9wavefront6targetE1EEEvT1_,"axG",@progbits,_ZN7rocprim17ROCPRIM_400000_NS6detail17trampoline_kernelINS0_14default_configENS1_25transform_config_selectorIlLb0EEEZNS1_14transform_implILb0ES3_S5_NS0_18transform_iteratorINS0_17counting_iteratorImlEEZNS1_24adjacent_difference_implIS3_Lb1ELb0EPlSB_ZN2at6native12_GLOBAL__N_124unique_dim_cuda_templateIlEESt5tupleIJNSC_6TensorESH_SH_EERKSH_lbbbEUlllE1_EE10hipError_tPvRmT2_T3_mT4_P12ihipStream_tbEUlmE_lEESB_NS0_8identityIvEEEESM_SP_SQ_mSR_ST_bEUlT_E_NS1_11comp_targetILNS1_3genE5ELNS1_11target_archE942ELNS1_3gpuE9ELNS1_3repE0EEENS1_30default_config_static_selectorELNS0_4arch9wavefront6targetE1EEEvT1_,comdat
.Lfunc_end547:
	.size	_ZN7rocprim17ROCPRIM_400000_NS6detail17trampoline_kernelINS0_14default_configENS1_25transform_config_selectorIlLb0EEEZNS1_14transform_implILb0ES3_S5_NS0_18transform_iteratorINS0_17counting_iteratorImlEEZNS1_24adjacent_difference_implIS3_Lb1ELb0EPlSB_ZN2at6native12_GLOBAL__N_124unique_dim_cuda_templateIlEESt5tupleIJNSC_6TensorESH_SH_EERKSH_lbbbEUlllE1_EE10hipError_tPvRmT2_T3_mT4_P12ihipStream_tbEUlmE_lEESB_NS0_8identityIvEEEESM_SP_SQ_mSR_ST_bEUlT_E_NS1_11comp_targetILNS1_3genE5ELNS1_11target_archE942ELNS1_3gpuE9ELNS1_3repE0EEENS1_30default_config_static_selectorELNS0_4arch9wavefront6targetE1EEEvT1_, .Lfunc_end547-_ZN7rocprim17ROCPRIM_400000_NS6detail17trampoline_kernelINS0_14default_configENS1_25transform_config_selectorIlLb0EEEZNS1_14transform_implILb0ES3_S5_NS0_18transform_iteratorINS0_17counting_iteratorImlEEZNS1_24adjacent_difference_implIS3_Lb1ELb0EPlSB_ZN2at6native12_GLOBAL__N_124unique_dim_cuda_templateIlEESt5tupleIJNSC_6TensorESH_SH_EERKSH_lbbbEUlllE1_EE10hipError_tPvRmT2_T3_mT4_P12ihipStream_tbEUlmE_lEESB_NS0_8identityIvEEEESM_SP_SQ_mSR_ST_bEUlT_E_NS1_11comp_targetILNS1_3genE5ELNS1_11target_archE942ELNS1_3gpuE9ELNS1_3repE0EEENS1_30default_config_static_selectorELNS0_4arch9wavefront6targetE1EEEvT1_
                                        ; -- End function
	.set _ZN7rocprim17ROCPRIM_400000_NS6detail17trampoline_kernelINS0_14default_configENS1_25transform_config_selectorIlLb0EEEZNS1_14transform_implILb0ES3_S5_NS0_18transform_iteratorINS0_17counting_iteratorImlEEZNS1_24adjacent_difference_implIS3_Lb1ELb0EPlSB_ZN2at6native12_GLOBAL__N_124unique_dim_cuda_templateIlEESt5tupleIJNSC_6TensorESH_SH_EERKSH_lbbbEUlllE1_EE10hipError_tPvRmT2_T3_mT4_P12ihipStream_tbEUlmE_lEESB_NS0_8identityIvEEEESM_SP_SQ_mSR_ST_bEUlT_E_NS1_11comp_targetILNS1_3genE5ELNS1_11target_archE942ELNS1_3gpuE9ELNS1_3repE0EEENS1_30default_config_static_selectorELNS0_4arch9wavefront6targetE1EEEvT1_.num_vgpr, 0
	.set _ZN7rocprim17ROCPRIM_400000_NS6detail17trampoline_kernelINS0_14default_configENS1_25transform_config_selectorIlLb0EEEZNS1_14transform_implILb0ES3_S5_NS0_18transform_iteratorINS0_17counting_iteratorImlEEZNS1_24adjacent_difference_implIS3_Lb1ELb0EPlSB_ZN2at6native12_GLOBAL__N_124unique_dim_cuda_templateIlEESt5tupleIJNSC_6TensorESH_SH_EERKSH_lbbbEUlllE1_EE10hipError_tPvRmT2_T3_mT4_P12ihipStream_tbEUlmE_lEESB_NS0_8identityIvEEEESM_SP_SQ_mSR_ST_bEUlT_E_NS1_11comp_targetILNS1_3genE5ELNS1_11target_archE942ELNS1_3gpuE9ELNS1_3repE0EEENS1_30default_config_static_selectorELNS0_4arch9wavefront6targetE1EEEvT1_.num_agpr, 0
	.set _ZN7rocprim17ROCPRIM_400000_NS6detail17trampoline_kernelINS0_14default_configENS1_25transform_config_selectorIlLb0EEEZNS1_14transform_implILb0ES3_S5_NS0_18transform_iteratorINS0_17counting_iteratorImlEEZNS1_24adjacent_difference_implIS3_Lb1ELb0EPlSB_ZN2at6native12_GLOBAL__N_124unique_dim_cuda_templateIlEESt5tupleIJNSC_6TensorESH_SH_EERKSH_lbbbEUlllE1_EE10hipError_tPvRmT2_T3_mT4_P12ihipStream_tbEUlmE_lEESB_NS0_8identityIvEEEESM_SP_SQ_mSR_ST_bEUlT_E_NS1_11comp_targetILNS1_3genE5ELNS1_11target_archE942ELNS1_3gpuE9ELNS1_3repE0EEENS1_30default_config_static_selectorELNS0_4arch9wavefront6targetE1EEEvT1_.numbered_sgpr, 0
	.set _ZN7rocprim17ROCPRIM_400000_NS6detail17trampoline_kernelINS0_14default_configENS1_25transform_config_selectorIlLb0EEEZNS1_14transform_implILb0ES3_S5_NS0_18transform_iteratorINS0_17counting_iteratorImlEEZNS1_24adjacent_difference_implIS3_Lb1ELb0EPlSB_ZN2at6native12_GLOBAL__N_124unique_dim_cuda_templateIlEESt5tupleIJNSC_6TensorESH_SH_EERKSH_lbbbEUlllE1_EE10hipError_tPvRmT2_T3_mT4_P12ihipStream_tbEUlmE_lEESB_NS0_8identityIvEEEESM_SP_SQ_mSR_ST_bEUlT_E_NS1_11comp_targetILNS1_3genE5ELNS1_11target_archE942ELNS1_3gpuE9ELNS1_3repE0EEENS1_30default_config_static_selectorELNS0_4arch9wavefront6targetE1EEEvT1_.num_named_barrier, 0
	.set _ZN7rocprim17ROCPRIM_400000_NS6detail17trampoline_kernelINS0_14default_configENS1_25transform_config_selectorIlLb0EEEZNS1_14transform_implILb0ES3_S5_NS0_18transform_iteratorINS0_17counting_iteratorImlEEZNS1_24adjacent_difference_implIS3_Lb1ELb0EPlSB_ZN2at6native12_GLOBAL__N_124unique_dim_cuda_templateIlEESt5tupleIJNSC_6TensorESH_SH_EERKSH_lbbbEUlllE1_EE10hipError_tPvRmT2_T3_mT4_P12ihipStream_tbEUlmE_lEESB_NS0_8identityIvEEEESM_SP_SQ_mSR_ST_bEUlT_E_NS1_11comp_targetILNS1_3genE5ELNS1_11target_archE942ELNS1_3gpuE9ELNS1_3repE0EEENS1_30default_config_static_selectorELNS0_4arch9wavefront6targetE1EEEvT1_.private_seg_size, 0
	.set _ZN7rocprim17ROCPRIM_400000_NS6detail17trampoline_kernelINS0_14default_configENS1_25transform_config_selectorIlLb0EEEZNS1_14transform_implILb0ES3_S5_NS0_18transform_iteratorINS0_17counting_iteratorImlEEZNS1_24adjacent_difference_implIS3_Lb1ELb0EPlSB_ZN2at6native12_GLOBAL__N_124unique_dim_cuda_templateIlEESt5tupleIJNSC_6TensorESH_SH_EERKSH_lbbbEUlllE1_EE10hipError_tPvRmT2_T3_mT4_P12ihipStream_tbEUlmE_lEESB_NS0_8identityIvEEEESM_SP_SQ_mSR_ST_bEUlT_E_NS1_11comp_targetILNS1_3genE5ELNS1_11target_archE942ELNS1_3gpuE9ELNS1_3repE0EEENS1_30default_config_static_selectorELNS0_4arch9wavefront6targetE1EEEvT1_.uses_vcc, 0
	.set _ZN7rocprim17ROCPRIM_400000_NS6detail17trampoline_kernelINS0_14default_configENS1_25transform_config_selectorIlLb0EEEZNS1_14transform_implILb0ES3_S5_NS0_18transform_iteratorINS0_17counting_iteratorImlEEZNS1_24adjacent_difference_implIS3_Lb1ELb0EPlSB_ZN2at6native12_GLOBAL__N_124unique_dim_cuda_templateIlEESt5tupleIJNSC_6TensorESH_SH_EERKSH_lbbbEUlllE1_EE10hipError_tPvRmT2_T3_mT4_P12ihipStream_tbEUlmE_lEESB_NS0_8identityIvEEEESM_SP_SQ_mSR_ST_bEUlT_E_NS1_11comp_targetILNS1_3genE5ELNS1_11target_archE942ELNS1_3gpuE9ELNS1_3repE0EEENS1_30default_config_static_selectorELNS0_4arch9wavefront6targetE1EEEvT1_.uses_flat_scratch, 0
	.set _ZN7rocprim17ROCPRIM_400000_NS6detail17trampoline_kernelINS0_14default_configENS1_25transform_config_selectorIlLb0EEEZNS1_14transform_implILb0ES3_S5_NS0_18transform_iteratorINS0_17counting_iteratorImlEEZNS1_24adjacent_difference_implIS3_Lb1ELb0EPlSB_ZN2at6native12_GLOBAL__N_124unique_dim_cuda_templateIlEESt5tupleIJNSC_6TensorESH_SH_EERKSH_lbbbEUlllE1_EE10hipError_tPvRmT2_T3_mT4_P12ihipStream_tbEUlmE_lEESB_NS0_8identityIvEEEESM_SP_SQ_mSR_ST_bEUlT_E_NS1_11comp_targetILNS1_3genE5ELNS1_11target_archE942ELNS1_3gpuE9ELNS1_3repE0EEENS1_30default_config_static_selectorELNS0_4arch9wavefront6targetE1EEEvT1_.has_dyn_sized_stack, 0
	.set _ZN7rocprim17ROCPRIM_400000_NS6detail17trampoline_kernelINS0_14default_configENS1_25transform_config_selectorIlLb0EEEZNS1_14transform_implILb0ES3_S5_NS0_18transform_iteratorINS0_17counting_iteratorImlEEZNS1_24adjacent_difference_implIS3_Lb1ELb0EPlSB_ZN2at6native12_GLOBAL__N_124unique_dim_cuda_templateIlEESt5tupleIJNSC_6TensorESH_SH_EERKSH_lbbbEUlllE1_EE10hipError_tPvRmT2_T3_mT4_P12ihipStream_tbEUlmE_lEESB_NS0_8identityIvEEEESM_SP_SQ_mSR_ST_bEUlT_E_NS1_11comp_targetILNS1_3genE5ELNS1_11target_archE942ELNS1_3gpuE9ELNS1_3repE0EEENS1_30default_config_static_selectorELNS0_4arch9wavefront6targetE1EEEvT1_.has_recursion, 0
	.set _ZN7rocprim17ROCPRIM_400000_NS6detail17trampoline_kernelINS0_14default_configENS1_25transform_config_selectorIlLb0EEEZNS1_14transform_implILb0ES3_S5_NS0_18transform_iteratorINS0_17counting_iteratorImlEEZNS1_24adjacent_difference_implIS3_Lb1ELb0EPlSB_ZN2at6native12_GLOBAL__N_124unique_dim_cuda_templateIlEESt5tupleIJNSC_6TensorESH_SH_EERKSH_lbbbEUlllE1_EE10hipError_tPvRmT2_T3_mT4_P12ihipStream_tbEUlmE_lEESB_NS0_8identityIvEEEESM_SP_SQ_mSR_ST_bEUlT_E_NS1_11comp_targetILNS1_3genE5ELNS1_11target_archE942ELNS1_3gpuE9ELNS1_3repE0EEENS1_30default_config_static_selectorELNS0_4arch9wavefront6targetE1EEEvT1_.has_indirect_call, 0
	.section	.AMDGPU.csdata,"",@progbits
; Kernel info:
; codeLenInByte = 0
; TotalNumSgprs: 6
; NumVgprs: 0
; NumAgprs: 0
; TotalNumVgprs: 0
; ScratchSize: 0
; MemoryBound: 0
; FloatMode: 240
; IeeeMode: 1
; LDSByteSize: 0 bytes/workgroup (compile time only)
; SGPRBlocks: 0
; VGPRBlocks: 0
; NumSGPRsForWavesPerEU: 6
; NumVGPRsForWavesPerEU: 1
; AccumOffset: 4
; Occupancy: 8
; WaveLimiterHint : 0
; COMPUTE_PGM_RSRC2:SCRATCH_EN: 0
; COMPUTE_PGM_RSRC2:USER_SGPR: 2
; COMPUTE_PGM_RSRC2:TRAP_HANDLER: 0
; COMPUTE_PGM_RSRC2:TGID_X_EN: 1
; COMPUTE_PGM_RSRC2:TGID_Y_EN: 0
; COMPUTE_PGM_RSRC2:TGID_Z_EN: 0
; COMPUTE_PGM_RSRC2:TIDIG_COMP_CNT: 0
; COMPUTE_PGM_RSRC3_GFX90A:ACCUM_OFFSET: 0
; COMPUTE_PGM_RSRC3_GFX90A:TG_SPLIT: 0
	.section	.text._ZN7rocprim17ROCPRIM_400000_NS6detail17trampoline_kernelINS0_14default_configENS1_25transform_config_selectorIlLb0EEEZNS1_14transform_implILb0ES3_S5_NS0_18transform_iteratorINS0_17counting_iteratorImlEEZNS1_24adjacent_difference_implIS3_Lb1ELb0EPlSB_ZN2at6native12_GLOBAL__N_124unique_dim_cuda_templateIlEESt5tupleIJNSC_6TensorESH_SH_EERKSH_lbbbEUlllE1_EE10hipError_tPvRmT2_T3_mT4_P12ihipStream_tbEUlmE_lEESB_NS0_8identityIvEEEESM_SP_SQ_mSR_ST_bEUlT_E_NS1_11comp_targetILNS1_3genE4ELNS1_11target_archE910ELNS1_3gpuE8ELNS1_3repE0EEENS1_30default_config_static_selectorELNS0_4arch9wavefront6targetE1EEEvT1_,"axG",@progbits,_ZN7rocprim17ROCPRIM_400000_NS6detail17trampoline_kernelINS0_14default_configENS1_25transform_config_selectorIlLb0EEEZNS1_14transform_implILb0ES3_S5_NS0_18transform_iteratorINS0_17counting_iteratorImlEEZNS1_24adjacent_difference_implIS3_Lb1ELb0EPlSB_ZN2at6native12_GLOBAL__N_124unique_dim_cuda_templateIlEESt5tupleIJNSC_6TensorESH_SH_EERKSH_lbbbEUlllE1_EE10hipError_tPvRmT2_T3_mT4_P12ihipStream_tbEUlmE_lEESB_NS0_8identityIvEEEESM_SP_SQ_mSR_ST_bEUlT_E_NS1_11comp_targetILNS1_3genE4ELNS1_11target_archE910ELNS1_3gpuE8ELNS1_3repE0EEENS1_30default_config_static_selectorELNS0_4arch9wavefront6targetE1EEEvT1_,comdat
	.globl	_ZN7rocprim17ROCPRIM_400000_NS6detail17trampoline_kernelINS0_14default_configENS1_25transform_config_selectorIlLb0EEEZNS1_14transform_implILb0ES3_S5_NS0_18transform_iteratorINS0_17counting_iteratorImlEEZNS1_24adjacent_difference_implIS3_Lb1ELb0EPlSB_ZN2at6native12_GLOBAL__N_124unique_dim_cuda_templateIlEESt5tupleIJNSC_6TensorESH_SH_EERKSH_lbbbEUlllE1_EE10hipError_tPvRmT2_T3_mT4_P12ihipStream_tbEUlmE_lEESB_NS0_8identityIvEEEESM_SP_SQ_mSR_ST_bEUlT_E_NS1_11comp_targetILNS1_3genE4ELNS1_11target_archE910ELNS1_3gpuE8ELNS1_3repE0EEENS1_30default_config_static_selectorELNS0_4arch9wavefront6targetE1EEEvT1_ ; -- Begin function _ZN7rocprim17ROCPRIM_400000_NS6detail17trampoline_kernelINS0_14default_configENS1_25transform_config_selectorIlLb0EEEZNS1_14transform_implILb0ES3_S5_NS0_18transform_iteratorINS0_17counting_iteratorImlEEZNS1_24adjacent_difference_implIS3_Lb1ELb0EPlSB_ZN2at6native12_GLOBAL__N_124unique_dim_cuda_templateIlEESt5tupleIJNSC_6TensorESH_SH_EERKSH_lbbbEUlllE1_EE10hipError_tPvRmT2_T3_mT4_P12ihipStream_tbEUlmE_lEESB_NS0_8identityIvEEEESM_SP_SQ_mSR_ST_bEUlT_E_NS1_11comp_targetILNS1_3genE4ELNS1_11target_archE910ELNS1_3gpuE8ELNS1_3repE0EEENS1_30default_config_static_selectorELNS0_4arch9wavefront6targetE1EEEvT1_
	.p2align	8
	.type	_ZN7rocprim17ROCPRIM_400000_NS6detail17trampoline_kernelINS0_14default_configENS1_25transform_config_selectorIlLb0EEEZNS1_14transform_implILb0ES3_S5_NS0_18transform_iteratorINS0_17counting_iteratorImlEEZNS1_24adjacent_difference_implIS3_Lb1ELb0EPlSB_ZN2at6native12_GLOBAL__N_124unique_dim_cuda_templateIlEESt5tupleIJNSC_6TensorESH_SH_EERKSH_lbbbEUlllE1_EE10hipError_tPvRmT2_T3_mT4_P12ihipStream_tbEUlmE_lEESB_NS0_8identityIvEEEESM_SP_SQ_mSR_ST_bEUlT_E_NS1_11comp_targetILNS1_3genE4ELNS1_11target_archE910ELNS1_3gpuE8ELNS1_3repE0EEENS1_30default_config_static_selectorELNS0_4arch9wavefront6targetE1EEEvT1_,@function
_ZN7rocprim17ROCPRIM_400000_NS6detail17trampoline_kernelINS0_14default_configENS1_25transform_config_selectorIlLb0EEEZNS1_14transform_implILb0ES3_S5_NS0_18transform_iteratorINS0_17counting_iteratorImlEEZNS1_24adjacent_difference_implIS3_Lb1ELb0EPlSB_ZN2at6native12_GLOBAL__N_124unique_dim_cuda_templateIlEESt5tupleIJNSC_6TensorESH_SH_EERKSH_lbbbEUlllE1_EE10hipError_tPvRmT2_T3_mT4_P12ihipStream_tbEUlmE_lEESB_NS0_8identityIvEEEESM_SP_SQ_mSR_ST_bEUlT_E_NS1_11comp_targetILNS1_3genE4ELNS1_11target_archE910ELNS1_3gpuE8ELNS1_3repE0EEENS1_30default_config_static_selectorELNS0_4arch9wavefront6targetE1EEEvT1_: ; @_ZN7rocprim17ROCPRIM_400000_NS6detail17trampoline_kernelINS0_14default_configENS1_25transform_config_selectorIlLb0EEEZNS1_14transform_implILb0ES3_S5_NS0_18transform_iteratorINS0_17counting_iteratorImlEEZNS1_24adjacent_difference_implIS3_Lb1ELb0EPlSB_ZN2at6native12_GLOBAL__N_124unique_dim_cuda_templateIlEESt5tupleIJNSC_6TensorESH_SH_EERKSH_lbbbEUlllE1_EE10hipError_tPvRmT2_T3_mT4_P12ihipStream_tbEUlmE_lEESB_NS0_8identityIvEEEESM_SP_SQ_mSR_ST_bEUlT_E_NS1_11comp_targetILNS1_3genE4ELNS1_11target_archE910ELNS1_3gpuE8ELNS1_3repE0EEENS1_30default_config_static_selectorELNS0_4arch9wavefront6targetE1EEEvT1_
; %bb.0:
	.section	.rodata,"a",@progbits
	.p2align	6, 0x0
	.amdhsa_kernel _ZN7rocprim17ROCPRIM_400000_NS6detail17trampoline_kernelINS0_14default_configENS1_25transform_config_selectorIlLb0EEEZNS1_14transform_implILb0ES3_S5_NS0_18transform_iteratorINS0_17counting_iteratorImlEEZNS1_24adjacent_difference_implIS3_Lb1ELb0EPlSB_ZN2at6native12_GLOBAL__N_124unique_dim_cuda_templateIlEESt5tupleIJNSC_6TensorESH_SH_EERKSH_lbbbEUlllE1_EE10hipError_tPvRmT2_T3_mT4_P12ihipStream_tbEUlmE_lEESB_NS0_8identityIvEEEESM_SP_SQ_mSR_ST_bEUlT_E_NS1_11comp_targetILNS1_3genE4ELNS1_11target_archE910ELNS1_3gpuE8ELNS1_3repE0EEENS1_30default_config_static_selectorELNS0_4arch9wavefront6targetE1EEEvT1_
		.amdhsa_group_segment_fixed_size 0
		.amdhsa_private_segment_fixed_size 0
		.amdhsa_kernarg_size 56
		.amdhsa_user_sgpr_count 2
		.amdhsa_user_sgpr_dispatch_ptr 0
		.amdhsa_user_sgpr_queue_ptr 0
		.amdhsa_user_sgpr_kernarg_segment_ptr 1
		.amdhsa_user_sgpr_dispatch_id 0
		.amdhsa_user_sgpr_kernarg_preload_length 0
		.amdhsa_user_sgpr_kernarg_preload_offset 0
		.amdhsa_user_sgpr_private_segment_size 0
		.amdhsa_uses_dynamic_stack 0
		.amdhsa_enable_private_segment 0
		.amdhsa_system_sgpr_workgroup_id_x 1
		.amdhsa_system_sgpr_workgroup_id_y 0
		.amdhsa_system_sgpr_workgroup_id_z 0
		.amdhsa_system_sgpr_workgroup_info 0
		.amdhsa_system_vgpr_workitem_id 0
		.amdhsa_next_free_vgpr 1
		.amdhsa_next_free_sgpr 0
		.amdhsa_accum_offset 4
		.amdhsa_reserve_vcc 0
		.amdhsa_float_round_mode_32 0
		.amdhsa_float_round_mode_16_64 0
		.amdhsa_float_denorm_mode_32 3
		.amdhsa_float_denorm_mode_16_64 3
		.amdhsa_dx10_clamp 1
		.amdhsa_ieee_mode 1
		.amdhsa_fp16_overflow 0
		.amdhsa_tg_split 0
		.amdhsa_exception_fp_ieee_invalid_op 0
		.amdhsa_exception_fp_denorm_src 0
		.amdhsa_exception_fp_ieee_div_zero 0
		.amdhsa_exception_fp_ieee_overflow 0
		.amdhsa_exception_fp_ieee_underflow 0
		.amdhsa_exception_fp_ieee_inexact 0
		.amdhsa_exception_int_div_zero 0
	.end_amdhsa_kernel
	.section	.text._ZN7rocprim17ROCPRIM_400000_NS6detail17trampoline_kernelINS0_14default_configENS1_25transform_config_selectorIlLb0EEEZNS1_14transform_implILb0ES3_S5_NS0_18transform_iteratorINS0_17counting_iteratorImlEEZNS1_24adjacent_difference_implIS3_Lb1ELb0EPlSB_ZN2at6native12_GLOBAL__N_124unique_dim_cuda_templateIlEESt5tupleIJNSC_6TensorESH_SH_EERKSH_lbbbEUlllE1_EE10hipError_tPvRmT2_T3_mT4_P12ihipStream_tbEUlmE_lEESB_NS0_8identityIvEEEESM_SP_SQ_mSR_ST_bEUlT_E_NS1_11comp_targetILNS1_3genE4ELNS1_11target_archE910ELNS1_3gpuE8ELNS1_3repE0EEENS1_30default_config_static_selectorELNS0_4arch9wavefront6targetE1EEEvT1_,"axG",@progbits,_ZN7rocprim17ROCPRIM_400000_NS6detail17trampoline_kernelINS0_14default_configENS1_25transform_config_selectorIlLb0EEEZNS1_14transform_implILb0ES3_S5_NS0_18transform_iteratorINS0_17counting_iteratorImlEEZNS1_24adjacent_difference_implIS3_Lb1ELb0EPlSB_ZN2at6native12_GLOBAL__N_124unique_dim_cuda_templateIlEESt5tupleIJNSC_6TensorESH_SH_EERKSH_lbbbEUlllE1_EE10hipError_tPvRmT2_T3_mT4_P12ihipStream_tbEUlmE_lEESB_NS0_8identityIvEEEESM_SP_SQ_mSR_ST_bEUlT_E_NS1_11comp_targetILNS1_3genE4ELNS1_11target_archE910ELNS1_3gpuE8ELNS1_3repE0EEENS1_30default_config_static_selectorELNS0_4arch9wavefront6targetE1EEEvT1_,comdat
.Lfunc_end548:
	.size	_ZN7rocprim17ROCPRIM_400000_NS6detail17trampoline_kernelINS0_14default_configENS1_25transform_config_selectorIlLb0EEEZNS1_14transform_implILb0ES3_S5_NS0_18transform_iteratorINS0_17counting_iteratorImlEEZNS1_24adjacent_difference_implIS3_Lb1ELb0EPlSB_ZN2at6native12_GLOBAL__N_124unique_dim_cuda_templateIlEESt5tupleIJNSC_6TensorESH_SH_EERKSH_lbbbEUlllE1_EE10hipError_tPvRmT2_T3_mT4_P12ihipStream_tbEUlmE_lEESB_NS0_8identityIvEEEESM_SP_SQ_mSR_ST_bEUlT_E_NS1_11comp_targetILNS1_3genE4ELNS1_11target_archE910ELNS1_3gpuE8ELNS1_3repE0EEENS1_30default_config_static_selectorELNS0_4arch9wavefront6targetE1EEEvT1_, .Lfunc_end548-_ZN7rocprim17ROCPRIM_400000_NS6detail17trampoline_kernelINS0_14default_configENS1_25transform_config_selectorIlLb0EEEZNS1_14transform_implILb0ES3_S5_NS0_18transform_iteratorINS0_17counting_iteratorImlEEZNS1_24adjacent_difference_implIS3_Lb1ELb0EPlSB_ZN2at6native12_GLOBAL__N_124unique_dim_cuda_templateIlEESt5tupleIJNSC_6TensorESH_SH_EERKSH_lbbbEUlllE1_EE10hipError_tPvRmT2_T3_mT4_P12ihipStream_tbEUlmE_lEESB_NS0_8identityIvEEEESM_SP_SQ_mSR_ST_bEUlT_E_NS1_11comp_targetILNS1_3genE4ELNS1_11target_archE910ELNS1_3gpuE8ELNS1_3repE0EEENS1_30default_config_static_selectorELNS0_4arch9wavefront6targetE1EEEvT1_
                                        ; -- End function
	.set _ZN7rocprim17ROCPRIM_400000_NS6detail17trampoline_kernelINS0_14default_configENS1_25transform_config_selectorIlLb0EEEZNS1_14transform_implILb0ES3_S5_NS0_18transform_iteratorINS0_17counting_iteratorImlEEZNS1_24adjacent_difference_implIS3_Lb1ELb0EPlSB_ZN2at6native12_GLOBAL__N_124unique_dim_cuda_templateIlEESt5tupleIJNSC_6TensorESH_SH_EERKSH_lbbbEUlllE1_EE10hipError_tPvRmT2_T3_mT4_P12ihipStream_tbEUlmE_lEESB_NS0_8identityIvEEEESM_SP_SQ_mSR_ST_bEUlT_E_NS1_11comp_targetILNS1_3genE4ELNS1_11target_archE910ELNS1_3gpuE8ELNS1_3repE0EEENS1_30default_config_static_selectorELNS0_4arch9wavefront6targetE1EEEvT1_.num_vgpr, 0
	.set _ZN7rocprim17ROCPRIM_400000_NS6detail17trampoline_kernelINS0_14default_configENS1_25transform_config_selectorIlLb0EEEZNS1_14transform_implILb0ES3_S5_NS0_18transform_iteratorINS0_17counting_iteratorImlEEZNS1_24adjacent_difference_implIS3_Lb1ELb0EPlSB_ZN2at6native12_GLOBAL__N_124unique_dim_cuda_templateIlEESt5tupleIJNSC_6TensorESH_SH_EERKSH_lbbbEUlllE1_EE10hipError_tPvRmT2_T3_mT4_P12ihipStream_tbEUlmE_lEESB_NS0_8identityIvEEEESM_SP_SQ_mSR_ST_bEUlT_E_NS1_11comp_targetILNS1_3genE4ELNS1_11target_archE910ELNS1_3gpuE8ELNS1_3repE0EEENS1_30default_config_static_selectorELNS0_4arch9wavefront6targetE1EEEvT1_.num_agpr, 0
	.set _ZN7rocprim17ROCPRIM_400000_NS6detail17trampoline_kernelINS0_14default_configENS1_25transform_config_selectorIlLb0EEEZNS1_14transform_implILb0ES3_S5_NS0_18transform_iteratorINS0_17counting_iteratorImlEEZNS1_24adjacent_difference_implIS3_Lb1ELb0EPlSB_ZN2at6native12_GLOBAL__N_124unique_dim_cuda_templateIlEESt5tupleIJNSC_6TensorESH_SH_EERKSH_lbbbEUlllE1_EE10hipError_tPvRmT2_T3_mT4_P12ihipStream_tbEUlmE_lEESB_NS0_8identityIvEEEESM_SP_SQ_mSR_ST_bEUlT_E_NS1_11comp_targetILNS1_3genE4ELNS1_11target_archE910ELNS1_3gpuE8ELNS1_3repE0EEENS1_30default_config_static_selectorELNS0_4arch9wavefront6targetE1EEEvT1_.numbered_sgpr, 0
	.set _ZN7rocprim17ROCPRIM_400000_NS6detail17trampoline_kernelINS0_14default_configENS1_25transform_config_selectorIlLb0EEEZNS1_14transform_implILb0ES3_S5_NS0_18transform_iteratorINS0_17counting_iteratorImlEEZNS1_24adjacent_difference_implIS3_Lb1ELb0EPlSB_ZN2at6native12_GLOBAL__N_124unique_dim_cuda_templateIlEESt5tupleIJNSC_6TensorESH_SH_EERKSH_lbbbEUlllE1_EE10hipError_tPvRmT2_T3_mT4_P12ihipStream_tbEUlmE_lEESB_NS0_8identityIvEEEESM_SP_SQ_mSR_ST_bEUlT_E_NS1_11comp_targetILNS1_3genE4ELNS1_11target_archE910ELNS1_3gpuE8ELNS1_3repE0EEENS1_30default_config_static_selectorELNS0_4arch9wavefront6targetE1EEEvT1_.num_named_barrier, 0
	.set _ZN7rocprim17ROCPRIM_400000_NS6detail17trampoline_kernelINS0_14default_configENS1_25transform_config_selectorIlLb0EEEZNS1_14transform_implILb0ES3_S5_NS0_18transform_iteratorINS0_17counting_iteratorImlEEZNS1_24adjacent_difference_implIS3_Lb1ELb0EPlSB_ZN2at6native12_GLOBAL__N_124unique_dim_cuda_templateIlEESt5tupleIJNSC_6TensorESH_SH_EERKSH_lbbbEUlllE1_EE10hipError_tPvRmT2_T3_mT4_P12ihipStream_tbEUlmE_lEESB_NS0_8identityIvEEEESM_SP_SQ_mSR_ST_bEUlT_E_NS1_11comp_targetILNS1_3genE4ELNS1_11target_archE910ELNS1_3gpuE8ELNS1_3repE0EEENS1_30default_config_static_selectorELNS0_4arch9wavefront6targetE1EEEvT1_.private_seg_size, 0
	.set _ZN7rocprim17ROCPRIM_400000_NS6detail17trampoline_kernelINS0_14default_configENS1_25transform_config_selectorIlLb0EEEZNS1_14transform_implILb0ES3_S5_NS0_18transform_iteratorINS0_17counting_iteratorImlEEZNS1_24adjacent_difference_implIS3_Lb1ELb0EPlSB_ZN2at6native12_GLOBAL__N_124unique_dim_cuda_templateIlEESt5tupleIJNSC_6TensorESH_SH_EERKSH_lbbbEUlllE1_EE10hipError_tPvRmT2_T3_mT4_P12ihipStream_tbEUlmE_lEESB_NS0_8identityIvEEEESM_SP_SQ_mSR_ST_bEUlT_E_NS1_11comp_targetILNS1_3genE4ELNS1_11target_archE910ELNS1_3gpuE8ELNS1_3repE0EEENS1_30default_config_static_selectorELNS0_4arch9wavefront6targetE1EEEvT1_.uses_vcc, 0
	.set _ZN7rocprim17ROCPRIM_400000_NS6detail17trampoline_kernelINS0_14default_configENS1_25transform_config_selectorIlLb0EEEZNS1_14transform_implILb0ES3_S5_NS0_18transform_iteratorINS0_17counting_iteratorImlEEZNS1_24adjacent_difference_implIS3_Lb1ELb0EPlSB_ZN2at6native12_GLOBAL__N_124unique_dim_cuda_templateIlEESt5tupleIJNSC_6TensorESH_SH_EERKSH_lbbbEUlllE1_EE10hipError_tPvRmT2_T3_mT4_P12ihipStream_tbEUlmE_lEESB_NS0_8identityIvEEEESM_SP_SQ_mSR_ST_bEUlT_E_NS1_11comp_targetILNS1_3genE4ELNS1_11target_archE910ELNS1_3gpuE8ELNS1_3repE0EEENS1_30default_config_static_selectorELNS0_4arch9wavefront6targetE1EEEvT1_.uses_flat_scratch, 0
	.set _ZN7rocprim17ROCPRIM_400000_NS6detail17trampoline_kernelINS0_14default_configENS1_25transform_config_selectorIlLb0EEEZNS1_14transform_implILb0ES3_S5_NS0_18transform_iteratorINS0_17counting_iteratorImlEEZNS1_24adjacent_difference_implIS3_Lb1ELb0EPlSB_ZN2at6native12_GLOBAL__N_124unique_dim_cuda_templateIlEESt5tupleIJNSC_6TensorESH_SH_EERKSH_lbbbEUlllE1_EE10hipError_tPvRmT2_T3_mT4_P12ihipStream_tbEUlmE_lEESB_NS0_8identityIvEEEESM_SP_SQ_mSR_ST_bEUlT_E_NS1_11comp_targetILNS1_3genE4ELNS1_11target_archE910ELNS1_3gpuE8ELNS1_3repE0EEENS1_30default_config_static_selectorELNS0_4arch9wavefront6targetE1EEEvT1_.has_dyn_sized_stack, 0
	.set _ZN7rocprim17ROCPRIM_400000_NS6detail17trampoline_kernelINS0_14default_configENS1_25transform_config_selectorIlLb0EEEZNS1_14transform_implILb0ES3_S5_NS0_18transform_iteratorINS0_17counting_iteratorImlEEZNS1_24adjacent_difference_implIS3_Lb1ELb0EPlSB_ZN2at6native12_GLOBAL__N_124unique_dim_cuda_templateIlEESt5tupleIJNSC_6TensorESH_SH_EERKSH_lbbbEUlllE1_EE10hipError_tPvRmT2_T3_mT4_P12ihipStream_tbEUlmE_lEESB_NS0_8identityIvEEEESM_SP_SQ_mSR_ST_bEUlT_E_NS1_11comp_targetILNS1_3genE4ELNS1_11target_archE910ELNS1_3gpuE8ELNS1_3repE0EEENS1_30default_config_static_selectorELNS0_4arch9wavefront6targetE1EEEvT1_.has_recursion, 0
	.set _ZN7rocprim17ROCPRIM_400000_NS6detail17trampoline_kernelINS0_14default_configENS1_25transform_config_selectorIlLb0EEEZNS1_14transform_implILb0ES3_S5_NS0_18transform_iteratorINS0_17counting_iteratorImlEEZNS1_24adjacent_difference_implIS3_Lb1ELb0EPlSB_ZN2at6native12_GLOBAL__N_124unique_dim_cuda_templateIlEESt5tupleIJNSC_6TensorESH_SH_EERKSH_lbbbEUlllE1_EE10hipError_tPvRmT2_T3_mT4_P12ihipStream_tbEUlmE_lEESB_NS0_8identityIvEEEESM_SP_SQ_mSR_ST_bEUlT_E_NS1_11comp_targetILNS1_3genE4ELNS1_11target_archE910ELNS1_3gpuE8ELNS1_3repE0EEENS1_30default_config_static_selectorELNS0_4arch9wavefront6targetE1EEEvT1_.has_indirect_call, 0
	.section	.AMDGPU.csdata,"",@progbits
; Kernel info:
; codeLenInByte = 0
; TotalNumSgprs: 6
; NumVgprs: 0
; NumAgprs: 0
; TotalNumVgprs: 0
; ScratchSize: 0
; MemoryBound: 0
; FloatMode: 240
; IeeeMode: 1
; LDSByteSize: 0 bytes/workgroup (compile time only)
; SGPRBlocks: 0
; VGPRBlocks: 0
; NumSGPRsForWavesPerEU: 6
; NumVGPRsForWavesPerEU: 1
; AccumOffset: 4
; Occupancy: 8
; WaveLimiterHint : 0
; COMPUTE_PGM_RSRC2:SCRATCH_EN: 0
; COMPUTE_PGM_RSRC2:USER_SGPR: 2
; COMPUTE_PGM_RSRC2:TRAP_HANDLER: 0
; COMPUTE_PGM_RSRC2:TGID_X_EN: 1
; COMPUTE_PGM_RSRC2:TGID_Y_EN: 0
; COMPUTE_PGM_RSRC2:TGID_Z_EN: 0
; COMPUTE_PGM_RSRC2:TIDIG_COMP_CNT: 0
; COMPUTE_PGM_RSRC3_GFX90A:ACCUM_OFFSET: 0
; COMPUTE_PGM_RSRC3_GFX90A:TG_SPLIT: 0
	.section	.text._ZN7rocprim17ROCPRIM_400000_NS6detail17trampoline_kernelINS0_14default_configENS1_25transform_config_selectorIlLb0EEEZNS1_14transform_implILb0ES3_S5_NS0_18transform_iteratorINS0_17counting_iteratorImlEEZNS1_24adjacent_difference_implIS3_Lb1ELb0EPlSB_ZN2at6native12_GLOBAL__N_124unique_dim_cuda_templateIlEESt5tupleIJNSC_6TensorESH_SH_EERKSH_lbbbEUlllE1_EE10hipError_tPvRmT2_T3_mT4_P12ihipStream_tbEUlmE_lEESB_NS0_8identityIvEEEESM_SP_SQ_mSR_ST_bEUlT_E_NS1_11comp_targetILNS1_3genE3ELNS1_11target_archE908ELNS1_3gpuE7ELNS1_3repE0EEENS1_30default_config_static_selectorELNS0_4arch9wavefront6targetE1EEEvT1_,"axG",@progbits,_ZN7rocprim17ROCPRIM_400000_NS6detail17trampoline_kernelINS0_14default_configENS1_25transform_config_selectorIlLb0EEEZNS1_14transform_implILb0ES3_S5_NS0_18transform_iteratorINS0_17counting_iteratorImlEEZNS1_24adjacent_difference_implIS3_Lb1ELb0EPlSB_ZN2at6native12_GLOBAL__N_124unique_dim_cuda_templateIlEESt5tupleIJNSC_6TensorESH_SH_EERKSH_lbbbEUlllE1_EE10hipError_tPvRmT2_T3_mT4_P12ihipStream_tbEUlmE_lEESB_NS0_8identityIvEEEESM_SP_SQ_mSR_ST_bEUlT_E_NS1_11comp_targetILNS1_3genE3ELNS1_11target_archE908ELNS1_3gpuE7ELNS1_3repE0EEENS1_30default_config_static_selectorELNS0_4arch9wavefront6targetE1EEEvT1_,comdat
	.globl	_ZN7rocprim17ROCPRIM_400000_NS6detail17trampoline_kernelINS0_14default_configENS1_25transform_config_selectorIlLb0EEEZNS1_14transform_implILb0ES3_S5_NS0_18transform_iteratorINS0_17counting_iteratorImlEEZNS1_24adjacent_difference_implIS3_Lb1ELb0EPlSB_ZN2at6native12_GLOBAL__N_124unique_dim_cuda_templateIlEESt5tupleIJNSC_6TensorESH_SH_EERKSH_lbbbEUlllE1_EE10hipError_tPvRmT2_T3_mT4_P12ihipStream_tbEUlmE_lEESB_NS0_8identityIvEEEESM_SP_SQ_mSR_ST_bEUlT_E_NS1_11comp_targetILNS1_3genE3ELNS1_11target_archE908ELNS1_3gpuE7ELNS1_3repE0EEENS1_30default_config_static_selectorELNS0_4arch9wavefront6targetE1EEEvT1_ ; -- Begin function _ZN7rocprim17ROCPRIM_400000_NS6detail17trampoline_kernelINS0_14default_configENS1_25transform_config_selectorIlLb0EEEZNS1_14transform_implILb0ES3_S5_NS0_18transform_iteratorINS0_17counting_iteratorImlEEZNS1_24adjacent_difference_implIS3_Lb1ELb0EPlSB_ZN2at6native12_GLOBAL__N_124unique_dim_cuda_templateIlEESt5tupleIJNSC_6TensorESH_SH_EERKSH_lbbbEUlllE1_EE10hipError_tPvRmT2_T3_mT4_P12ihipStream_tbEUlmE_lEESB_NS0_8identityIvEEEESM_SP_SQ_mSR_ST_bEUlT_E_NS1_11comp_targetILNS1_3genE3ELNS1_11target_archE908ELNS1_3gpuE7ELNS1_3repE0EEENS1_30default_config_static_selectorELNS0_4arch9wavefront6targetE1EEEvT1_
	.p2align	8
	.type	_ZN7rocprim17ROCPRIM_400000_NS6detail17trampoline_kernelINS0_14default_configENS1_25transform_config_selectorIlLb0EEEZNS1_14transform_implILb0ES3_S5_NS0_18transform_iteratorINS0_17counting_iteratorImlEEZNS1_24adjacent_difference_implIS3_Lb1ELb0EPlSB_ZN2at6native12_GLOBAL__N_124unique_dim_cuda_templateIlEESt5tupleIJNSC_6TensorESH_SH_EERKSH_lbbbEUlllE1_EE10hipError_tPvRmT2_T3_mT4_P12ihipStream_tbEUlmE_lEESB_NS0_8identityIvEEEESM_SP_SQ_mSR_ST_bEUlT_E_NS1_11comp_targetILNS1_3genE3ELNS1_11target_archE908ELNS1_3gpuE7ELNS1_3repE0EEENS1_30default_config_static_selectorELNS0_4arch9wavefront6targetE1EEEvT1_,@function
_ZN7rocprim17ROCPRIM_400000_NS6detail17trampoline_kernelINS0_14default_configENS1_25transform_config_selectorIlLb0EEEZNS1_14transform_implILb0ES3_S5_NS0_18transform_iteratorINS0_17counting_iteratorImlEEZNS1_24adjacent_difference_implIS3_Lb1ELb0EPlSB_ZN2at6native12_GLOBAL__N_124unique_dim_cuda_templateIlEESt5tupleIJNSC_6TensorESH_SH_EERKSH_lbbbEUlllE1_EE10hipError_tPvRmT2_T3_mT4_P12ihipStream_tbEUlmE_lEESB_NS0_8identityIvEEEESM_SP_SQ_mSR_ST_bEUlT_E_NS1_11comp_targetILNS1_3genE3ELNS1_11target_archE908ELNS1_3gpuE7ELNS1_3repE0EEENS1_30default_config_static_selectorELNS0_4arch9wavefront6targetE1EEEvT1_: ; @_ZN7rocprim17ROCPRIM_400000_NS6detail17trampoline_kernelINS0_14default_configENS1_25transform_config_selectorIlLb0EEEZNS1_14transform_implILb0ES3_S5_NS0_18transform_iteratorINS0_17counting_iteratorImlEEZNS1_24adjacent_difference_implIS3_Lb1ELb0EPlSB_ZN2at6native12_GLOBAL__N_124unique_dim_cuda_templateIlEESt5tupleIJNSC_6TensorESH_SH_EERKSH_lbbbEUlllE1_EE10hipError_tPvRmT2_T3_mT4_P12ihipStream_tbEUlmE_lEESB_NS0_8identityIvEEEESM_SP_SQ_mSR_ST_bEUlT_E_NS1_11comp_targetILNS1_3genE3ELNS1_11target_archE908ELNS1_3gpuE7ELNS1_3repE0EEENS1_30default_config_static_selectorELNS0_4arch9wavefront6targetE1EEEvT1_
; %bb.0:
	.section	.rodata,"a",@progbits
	.p2align	6, 0x0
	.amdhsa_kernel _ZN7rocprim17ROCPRIM_400000_NS6detail17trampoline_kernelINS0_14default_configENS1_25transform_config_selectorIlLb0EEEZNS1_14transform_implILb0ES3_S5_NS0_18transform_iteratorINS0_17counting_iteratorImlEEZNS1_24adjacent_difference_implIS3_Lb1ELb0EPlSB_ZN2at6native12_GLOBAL__N_124unique_dim_cuda_templateIlEESt5tupleIJNSC_6TensorESH_SH_EERKSH_lbbbEUlllE1_EE10hipError_tPvRmT2_T3_mT4_P12ihipStream_tbEUlmE_lEESB_NS0_8identityIvEEEESM_SP_SQ_mSR_ST_bEUlT_E_NS1_11comp_targetILNS1_3genE3ELNS1_11target_archE908ELNS1_3gpuE7ELNS1_3repE0EEENS1_30default_config_static_selectorELNS0_4arch9wavefront6targetE1EEEvT1_
		.amdhsa_group_segment_fixed_size 0
		.amdhsa_private_segment_fixed_size 0
		.amdhsa_kernarg_size 56
		.amdhsa_user_sgpr_count 2
		.amdhsa_user_sgpr_dispatch_ptr 0
		.amdhsa_user_sgpr_queue_ptr 0
		.amdhsa_user_sgpr_kernarg_segment_ptr 1
		.amdhsa_user_sgpr_dispatch_id 0
		.amdhsa_user_sgpr_kernarg_preload_length 0
		.amdhsa_user_sgpr_kernarg_preload_offset 0
		.amdhsa_user_sgpr_private_segment_size 0
		.amdhsa_uses_dynamic_stack 0
		.amdhsa_enable_private_segment 0
		.amdhsa_system_sgpr_workgroup_id_x 1
		.amdhsa_system_sgpr_workgroup_id_y 0
		.amdhsa_system_sgpr_workgroup_id_z 0
		.amdhsa_system_sgpr_workgroup_info 0
		.amdhsa_system_vgpr_workitem_id 0
		.amdhsa_next_free_vgpr 1
		.amdhsa_next_free_sgpr 0
		.amdhsa_accum_offset 4
		.amdhsa_reserve_vcc 0
		.amdhsa_float_round_mode_32 0
		.amdhsa_float_round_mode_16_64 0
		.amdhsa_float_denorm_mode_32 3
		.amdhsa_float_denorm_mode_16_64 3
		.amdhsa_dx10_clamp 1
		.amdhsa_ieee_mode 1
		.amdhsa_fp16_overflow 0
		.amdhsa_tg_split 0
		.amdhsa_exception_fp_ieee_invalid_op 0
		.amdhsa_exception_fp_denorm_src 0
		.amdhsa_exception_fp_ieee_div_zero 0
		.amdhsa_exception_fp_ieee_overflow 0
		.amdhsa_exception_fp_ieee_underflow 0
		.amdhsa_exception_fp_ieee_inexact 0
		.amdhsa_exception_int_div_zero 0
	.end_amdhsa_kernel
	.section	.text._ZN7rocprim17ROCPRIM_400000_NS6detail17trampoline_kernelINS0_14default_configENS1_25transform_config_selectorIlLb0EEEZNS1_14transform_implILb0ES3_S5_NS0_18transform_iteratorINS0_17counting_iteratorImlEEZNS1_24adjacent_difference_implIS3_Lb1ELb0EPlSB_ZN2at6native12_GLOBAL__N_124unique_dim_cuda_templateIlEESt5tupleIJNSC_6TensorESH_SH_EERKSH_lbbbEUlllE1_EE10hipError_tPvRmT2_T3_mT4_P12ihipStream_tbEUlmE_lEESB_NS0_8identityIvEEEESM_SP_SQ_mSR_ST_bEUlT_E_NS1_11comp_targetILNS1_3genE3ELNS1_11target_archE908ELNS1_3gpuE7ELNS1_3repE0EEENS1_30default_config_static_selectorELNS0_4arch9wavefront6targetE1EEEvT1_,"axG",@progbits,_ZN7rocprim17ROCPRIM_400000_NS6detail17trampoline_kernelINS0_14default_configENS1_25transform_config_selectorIlLb0EEEZNS1_14transform_implILb0ES3_S5_NS0_18transform_iteratorINS0_17counting_iteratorImlEEZNS1_24adjacent_difference_implIS3_Lb1ELb0EPlSB_ZN2at6native12_GLOBAL__N_124unique_dim_cuda_templateIlEESt5tupleIJNSC_6TensorESH_SH_EERKSH_lbbbEUlllE1_EE10hipError_tPvRmT2_T3_mT4_P12ihipStream_tbEUlmE_lEESB_NS0_8identityIvEEEESM_SP_SQ_mSR_ST_bEUlT_E_NS1_11comp_targetILNS1_3genE3ELNS1_11target_archE908ELNS1_3gpuE7ELNS1_3repE0EEENS1_30default_config_static_selectorELNS0_4arch9wavefront6targetE1EEEvT1_,comdat
.Lfunc_end549:
	.size	_ZN7rocprim17ROCPRIM_400000_NS6detail17trampoline_kernelINS0_14default_configENS1_25transform_config_selectorIlLb0EEEZNS1_14transform_implILb0ES3_S5_NS0_18transform_iteratorINS0_17counting_iteratorImlEEZNS1_24adjacent_difference_implIS3_Lb1ELb0EPlSB_ZN2at6native12_GLOBAL__N_124unique_dim_cuda_templateIlEESt5tupleIJNSC_6TensorESH_SH_EERKSH_lbbbEUlllE1_EE10hipError_tPvRmT2_T3_mT4_P12ihipStream_tbEUlmE_lEESB_NS0_8identityIvEEEESM_SP_SQ_mSR_ST_bEUlT_E_NS1_11comp_targetILNS1_3genE3ELNS1_11target_archE908ELNS1_3gpuE7ELNS1_3repE0EEENS1_30default_config_static_selectorELNS0_4arch9wavefront6targetE1EEEvT1_, .Lfunc_end549-_ZN7rocprim17ROCPRIM_400000_NS6detail17trampoline_kernelINS0_14default_configENS1_25transform_config_selectorIlLb0EEEZNS1_14transform_implILb0ES3_S5_NS0_18transform_iteratorINS0_17counting_iteratorImlEEZNS1_24adjacent_difference_implIS3_Lb1ELb0EPlSB_ZN2at6native12_GLOBAL__N_124unique_dim_cuda_templateIlEESt5tupleIJNSC_6TensorESH_SH_EERKSH_lbbbEUlllE1_EE10hipError_tPvRmT2_T3_mT4_P12ihipStream_tbEUlmE_lEESB_NS0_8identityIvEEEESM_SP_SQ_mSR_ST_bEUlT_E_NS1_11comp_targetILNS1_3genE3ELNS1_11target_archE908ELNS1_3gpuE7ELNS1_3repE0EEENS1_30default_config_static_selectorELNS0_4arch9wavefront6targetE1EEEvT1_
                                        ; -- End function
	.set _ZN7rocprim17ROCPRIM_400000_NS6detail17trampoline_kernelINS0_14default_configENS1_25transform_config_selectorIlLb0EEEZNS1_14transform_implILb0ES3_S5_NS0_18transform_iteratorINS0_17counting_iteratorImlEEZNS1_24adjacent_difference_implIS3_Lb1ELb0EPlSB_ZN2at6native12_GLOBAL__N_124unique_dim_cuda_templateIlEESt5tupleIJNSC_6TensorESH_SH_EERKSH_lbbbEUlllE1_EE10hipError_tPvRmT2_T3_mT4_P12ihipStream_tbEUlmE_lEESB_NS0_8identityIvEEEESM_SP_SQ_mSR_ST_bEUlT_E_NS1_11comp_targetILNS1_3genE3ELNS1_11target_archE908ELNS1_3gpuE7ELNS1_3repE0EEENS1_30default_config_static_selectorELNS0_4arch9wavefront6targetE1EEEvT1_.num_vgpr, 0
	.set _ZN7rocprim17ROCPRIM_400000_NS6detail17trampoline_kernelINS0_14default_configENS1_25transform_config_selectorIlLb0EEEZNS1_14transform_implILb0ES3_S5_NS0_18transform_iteratorINS0_17counting_iteratorImlEEZNS1_24adjacent_difference_implIS3_Lb1ELb0EPlSB_ZN2at6native12_GLOBAL__N_124unique_dim_cuda_templateIlEESt5tupleIJNSC_6TensorESH_SH_EERKSH_lbbbEUlllE1_EE10hipError_tPvRmT2_T3_mT4_P12ihipStream_tbEUlmE_lEESB_NS0_8identityIvEEEESM_SP_SQ_mSR_ST_bEUlT_E_NS1_11comp_targetILNS1_3genE3ELNS1_11target_archE908ELNS1_3gpuE7ELNS1_3repE0EEENS1_30default_config_static_selectorELNS0_4arch9wavefront6targetE1EEEvT1_.num_agpr, 0
	.set _ZN7rocprim17ROCPRIM_400000_NS6detail17trampoline_kernelINS0_14default_configENS1_25transform_config_selectorIlLb0EEEZNS1_14transform_implILb0ES3_S5_NS0_18transform_iteratorINS0_17counting_iteratorImlEEZNS1_24adjacent_difference_implIS3_Lb1ELb0EPlSB_ZN2at6native12_GLOBAL__N_124unique_dim_cuda_templateIlEESt5tupleIJNSC_6TensorESH_SH_EERKSH_lbbbEUlllE1_EE10hipError_tPvRmT2_T3_mT4_P12ihipStream_tbEUlmE_lEESB_NS0_8identityIvEEEESM_SP_SQ_mSR_ST_bEUlT_E_NS1_11comp_targetILNS1_3genE3ELNS1_11target_archE908ELNS1_3gpuE7ELNS1_3repE0EEENS1_30default_config_static_selectorELNS0_4arch9wavefront6targetE1EEEvT1_.numbered_sgpr, 0
	.set _ZN7rocprim17ROCPRIM_400000_NS6detail17trampoline_kernelINS0_14default_configENS1_25transform_config_selectorIlLb0EEEZNS1_14transform_implILb0ES3_S5_NS0_18transform_iteratorINS0_17counting_iteratorImlEEZNS1_24adjacent_difference_implIS3_Lb1ELb0EPlSB_ZN2at6native12_GLOBAL__N_124unique_dim_cuda_templateIlEESt5tupleIJNSC_6TensorESH_SH_EERKSH_lbbbEUlllE1_EE10hipError_tPvRmT2_T3_mT4_P12ihipStream_tbEUlmE_lEESB_NS0_8identityIvEEEESM_SP_SQ_mSR_ST_bEUlT_E_NS1_11comp_targetILNS1_3genE3ELNS1_11target_archE908ELNS1_3gpuE7ELNS1_3repE0EEENS1_30default_config_static_selectorELNS0_4arch9wavefront6targetE1EEEvT1_.num_named_barrier, 0
	.set _ZN7rocprim17ROCPRIM_400000_NS6detail17trampoline_kernelINS0_14default_configENS1_25transform_config_selectorIlLb0EEEZNS1_14transform_implILb0ES3_S5_NS0_18transform_iteratorINS0_17counting_iteratorImlEEZNS1_24adjacent_difference_implIS3_Lb1ELb0EPlSB_ZN2at6native12_GLOBAL__N_124unique_dim_cuda_templateIlEESt5tupleIJNSC_6TensorESH_SH_EERKSH_lbbbEUlllE1_EE10hipError_tPvRmT2_T3_mT4_P12ihipStream_tbEUlmE_lEESB_NS0_8identityIvEEEESM_SP_SQ_mSR_ST_bEUlT_E_NS1_11comp_targetILNS1_3genE3ELNS1_11target_archE908ELNS1_3gpuE7ELNS1_3repE0EEENS1_30default_config_static_selectorELNS0_4arch9wavefront6targetE1EEEvT1_.private_seg_size, 0
	.set _ZN7rocprim17ROCPRIM_400000_NS6detail17trampoline_kernelINS0_14default_configENS1_25transform_config_selectorIlLb0EEEZNS1_14transform_implILb0ES3_S5_NS0_18transform_iteratorINS0_17counting_iteratorImlEEZNS1_24adjacent_difference_implIS3_Lb1ELb0EPlSB_ZN2at6native12_GLOBAL__N_124unique_dim_cuda_templateIlEESt5tupleIJNSC_6TensorESH_SH_EERKSH_lbbbEUlllE1_EE10hipError_tPvRmT2_T3_mT4_P12ihipStream_tbEUlmE_lEESB_NS0_8identityIvEEEESM_SP_SQ_mSR_ST_bEUlT_E_NS1_11comp_targetILNS1_3genE3ELNS1_11target_archE908ELNS1_3gpuE7ELNS1_3repE0EEENS1_30default_config_static_selectorELNS0_4arch9wavefront6targetE1EEEvT1_.uses_vcc, 0
	.set _ZN7rocprim17ROCPRIM_400000_NS6detail17trampoline_kernelINS0_14default_configENS1_25transform_config_selectorIlLb0EEEZNS1_14transform_implILb0ES3_S5_NS0_18transform_iteratorINS0_17counting_iteratorImlEEZNS1_24adjacent_difference_implIS3_Lb1ELb0EPlSB_ZN2at6native12_GLOBAL__N_124unique_dim_cuda_templateIlEESt5tupleIJNSC_6TensorESH_SH_EERKSH_lbbbEUlllE1_EE10hipError_tPvRmT2_T3_mT4_P12ihipStream_tbEUlmE_lEESB_NS0_8identityIvEEEESM_SP_SQ_mSR_ST_bEUlT_E_NS1_11comp_targetILNS1_3genE3ELNS1_11target_archE908ELNS1_3gpuE7ELNS1_3repE0EEENS1_30default_config_static_selectorELNS0_4arch9wavefront6targetE1EEEvT1_.uses_flat_scratch, 0
	.set _ZN7rocprim17ROCPRIM_400000_NS6detail17trampoline_kernelINS0_14default_configENS1_25transform_config_selectorIlLb0EEEZNS1_14transform_implILb0ES3_S5_NS0_18transform_iteratorINS0_17counting_iteratorImlEEZNS1_24adjacent_difference_implIS3_Lb1ELb0EPlSB_ZN2at6native12_GLOBAL__N_124unique_dim_cuda_templateIlEESt5tupleIJNSC_6TensorESH_SH_EERKSH_lbbbEUlllE1_EE10hipError_tPvRmT2_T3_mT4_P12ihipStream_tbEUlmE_lEESB_NS0_8identityIvEEEESM_SP_SQ_mSR_ST_bEUlT_E_NS1_11comp_targetILNS1_3genE3ELNS1_11target_archE908ELNS1_3gpuE7ELNS1_3repE0EEENS1_30default_config_static_selectorELNS0_4arch9wavefront6targetE1EEEvT1_.has_dyn_sized_stack, 0
	.set _ZN7rocprim17ROCPRIM_400000_NS6detail17trampoline_kernelINS0_14default_configENS1_25transform_config_selectorIlLb0EEEZNS1_14transform_implILb0ES3_S5_NS0_18transform_iteratorINS0_17counting_iteratorImlEEZNS1_24adjacent_difference_implIS3_Lb1ELb0EPlSB_ZN2at6native12_GLOBAL__N_124unique_dim_cuda_templateIlEESt5tupleIJNSC_6TensorESH_SH_EERKSH_lbbbEUlllE1_EE10hipError_tPvRmT2_T3_mT4_P12ihipStream_tbEUlmE_lEESB_NS0_8identityIvEEEESM_SP_SQ_mSR_ST_bEUlT_E_NS1_11comp_targetILNS1_3genE3ELNS1_11target_archE908ELNS1_3gpuE7ELNS1_3repE0EEENS1_30default_config_static_selectorELNS0_4arch9wavefront6targetE1EEEvT1_.has_recursion, 0
	.set _ZN7rocprim17ROCPRIM_400000_NS6detail17trampoline_kernelINS0_14default_configENS1_25transform_config_selectorIlLb0EEEZNS1_14transform_implILb0ES3_S5_NS0_18transform_iteratorINS0_17counting_iteratorImlEEZNS1_24adjacent_difference_implIS3_Lb1ELb0EPlSB_ZN2at6native12_GLOBAL__N_124unique_dim_cuda_templateIlEESt5tupleIJNSC_6TensorESH_SH_EERKSH_lbbbEUlllE1_EE10hipError_tPvRmT2_T3_mT4_P12ihipStream_tbEUlmE_lEESB_NS0_8identityIvEEEESM_SP_SQ_mSR_ST_bEUlT_E_NS1_11comp_targetILNS1_3genE3ELNS1_11target_archE908ELNS1_3gpuE7ELNS1_3repE0EEENS1_30default_config_static_selectorELNS0_4arch9wavefront6targetE1EEEvT1_.has_indirect_call, 0
	.section	.AMDGPU.csdata,"",@progbits
; Kernel info:
; codeLenInByte = 0
; TotalNumSgprs: 6
; NumVgprs: 0
; NumAgprs: 0
; TotalNumVgprs: 0
; ScratchSize: 0
; MemoryBound: 0
; FloatMode: 240
; IeeeMode: 1
; LDSByteSize: 0 bytes/workgroup (compile time only)
; SGPRBlocks: 0
; VGPRBlocks: 0
; NumSGPRsForWavesPerEU: 6
; NumVGPRsForWavesPerEU: 1
; AccumOffset: 4
; Occupancy: 8
; WaveLimiterHint : 0
; COMPUTE_PGM_RSRC2:SCRATCH_EN: 0
; COMPUTE_PGM_RSRC2:USER_SGPR: 2
; COMPUTE_PGM_RSRC2:TRAP_HANDLER: 0
; COMPUTE_PGM_RSRC2:TGID_X_EN: 1
; COMPUTE_PGM_RSRC2:TGID_Y_EN: 0
; COMPUTE_PGM_RSRC2:TGID_Z_EN: 0
; COMPUTE_PGM_RSRC2:TIDIG_COMP_CNT: 0
; COMPUTE_PGM_RSRC3_GFX90A:ACCUM_OFFSET: 0
; COMPUTE_PGM_RSRC3_GFX90A:TG_SPLIT: 0
	.section	.text._ZN7rocprim17ROCPRIM_400000_NS6detail17trampoline_kernelINS0_14default_configENS1_25transform_config_selectorIlLb0EEEZNS1_14transform_implILb0ES3_S5_NS0_18transform_iteratorINS0_17counting_iteratorImlEEZNS1_24adjacent_difference_implIS3_Lb1ELb0EPlSB_ZN2at6native12_GLOBAL__N_124unique_dim_cuda_templateIlEESt5tupleIJNSC_6TensorESH_SH_EERKSH_lbbbEUlllE1_EE10hipError_tPvRmT2_T3_mT4_P12ihipStream_tbEUlmE_lEESB_NS0_8identityIvEEEESM_SP_SQ_mSR_ST_bEUlT_E_NS1_11comp_targetILNS1_3genE2ELNS1_11target_archE906ELNS1_3gpuE6ELNS1_3repE0EEENS1_30default_config_static_selectorELNS0_4arch9wavefront6targetE1EEEvT1_,"axG",@progbits,_ZN7rocprim17ROCPRIM_400000_NS6detail17trampoline_kernelINS0_14default_configENS1_25transform_config_selectorIlLb0EEEZNS1_14transform_implILb0ES3_S5_NS0_18transform_iteratorINS0_17counting_iteratorImlEEZNS1_24adjacent_difference_implIS3_Lb1ELb0EPlSB_ZN2at6native12_GLOBAL__N_124unique_dim_cuda_templateIlEESt5tupleIJNSC_6TensorESH_SH_EERKSH_lbbbEUlllE1_EE10hipError_tPvRmT2_T3_mT4_P12ihipStream_tbEUlmE_lEESB_NS0_8identityIvEEEESM_SP_SQ_mSR_ST_bEUlT_E_NS1_11comp_targetILNS1_3genE2ELNS1_11target_archE906ELNS1_3gpuE6ELNS1_3repE0EEENS1_30default_config_static_selectorELNS0_4arch9wavefront6targetE1EEEvT1_,comdat
	.globl	_ZN7rocprim17ROCPRIM_400000_NS6detail17trampoline_kernelINS0_14default_configENS1_25transform_config_selectorIlLb0EEEZNS1_14transform_implILb0ES3_S5_NS0_18transform_iteratorINS0_17counting_iteratorImlEEZNS1_24adjacent_difference_implIS3_Lb1ELb0EPlSB_ZN2at6native12_GLOBAL__N_124unique_dim_cuda_templateIlEESt5tupleIJNSC_6TensorESH_SH_EERKSH_lbbbEUlllE1_EE10hipError_tPvRmT2_T3_mT4_P12ihipStream_tbEUlmE_lEESB_NS0_8identityIvEEEESM_SP_SQ_mSR_ST_bEUlT_E_NS1_11comp_targetILNS1_3genE2ELNS1_11target_archE906ELNS1_3gpuE6ELNS1_3repE0EEENS1_30default_config_static_selectorELNS0_4arch9wavefront6targetE1EEEvT1_ ; -- Begin function _ZN7rocprim17ROCPRIM_400000_NS6detail17trampoline_kernelINS0_14default_configENS1_25transform_config_selectorIlLb0EEEZNS1_14transform_implILb0ES3_S5_NS0_18transform_iteratorINS0_17counting_iteratorImlEEZNS1_24adjacent_difference_implIS3_Lb1ELb0EPlSB_ZN2at6native12_GLOBAL__N_124unique_dim_cuda_templateIlEESt5tupleIJNSC_6TensorESH_SH_EERKSH_lbbbEUlllE1_EE10hipError_tPvRmT2_T3_mT4_P12ihipStream_tbEUlmE_lEESB_NS0_8identityIvEEEESM_SP_SQ_mSR_ST_bEUlT_E_NS1_11comp_targetILNS1_3genE2ELNS1_11target_archE906ELNS1_3gpuE6ELNS1_3repE0EEENS1_30default_config_static_selectorELNS0_4arch9wavefront6targetE1EEEvT1_
	.p2align	8
	.type	_ZN7rocprim17ROCPRIM_400000_NS6detail17trampoline_kernelINS0_14default_configENS1_25transform_config_selectorIlLb0EEEZNS1_14transform_implILb0ES3_S5_NS0_18transform_iteratorINS0_17counting_iteratorImlEEZNS1_24adjacent_difference_implIS3_Lb1ELb0EPlSB_ZN2at6native12_GLOBAL__N_124unique_dim_cuda_templateIlEESt5tupleIJNSC_6TensorESH_SH_EERKSH_lbbbEUlllE1_EE10hipError_tPvRmT2_T3_mT4_P12ihipStream_tbEUlmE_lEESB_NS0_8identityIvEEEESM_SP_SQ_mSR_ST_bEUlT_E_NS1_11comp_targetILNS1_3genE2ELNS1_11target_archE906ELNS1_3gpuE6ELNS1_3repE0EEENS1_30default_config_static_selectorELNS0_4arch9wavefront6targetE1EEEvT1_,@function
_ZN7rocprim17ROCPRIM_400000_NS6detail17trampoline_kernelINS0_14default_configENS1_25transform_config_selectorIlLb0EEEZNS1_14transform_implILb0ES3_S5_NS0_18transform_iteratorINS0_17counting_iteratorImlEEZNS1_24adjacent_difference_implIS3_Lb1ELb0EPlSB_ZN2at6native12_GLOBAL__N_124unique_dim_cuda_templateIlEESt5tupleIJNSC_6TensorESH_SH_EERKSH_lbbbEUlllE1_EE10hipError_tPvRmT2_T3_mT4_P12ihipStream_tbEUlmE_lEESB_NS0_8identityIvEEEESM_SP_SQ_mSR_ST_bEUlT_E_NS1_11comp_targetILNS1_3genE2ELNS1_11target_archE906ELNS1_3gpuE6ELNS1_3repE0EEENS1_30default_config_static_selectorELNS0_4arch9wavefront6targetE1EEEvT1_: ; @_ZN7rocprim17ROCPRIM_400000_NS6detail17trampoline_kernelINS0_14default_configENS1_25transform_config_selectorIlLb0EEEZNS1_14transform_implILb0ES3_S5_NS0_18transform_iteratorINS0_17counting_iteratorImlEEZNS1_24adjacent_difference_implIS3_Lb1ELb0EPlSB_ZN2at6native12_GLOBAL__N_124unique_dim_cuda_templateIlEESt5tupleIJNSC_6TensorESH_SH_EERKSH_lbbbEUlllE1_EE10hipError_tPvRmT2_T3_mT4_P12ihipStream_tbEUlmE_lEESB_NS0_8identityIvEEEESM_SP_SQ_mSR_ST_bEUlT_E_NS1_11comp_targetILNS1_3genE2ELNS1_11target_archE906ELNS1_3gpuE6ELNS1_3repE0EEENS1_30default_config_static_selectorELNS0_4arch9wavefront6targetE1EEEvT1_
; %bb.0:
	.section	.rodata,"a",@progbits
	.p2align	6, 0x0
	.amdhsa_kernel _ZN7rocprim17ROCPRIM_400000_NS6detail17trampoline_kernelINS0_14default_configENS1_25transform_config_selectorIlLb0EEEZNS1_14transform_implILb0ES3_S5_NS0_18transform_iteratorINS0_17counting_iteratorImlEEZNS1_24adjacent_difference_implIS3_Lb1ELb0EPlSB_ZN2at6native12_GLOBAL__N_124unique_dim_cuda_templateIlEESt5tupleIJNSC_6TensorESH_SH_EERKSH_lbbbEUlllE1_EE10hipError_tPvRmT2_T3_mT4_P12ihipStream_tbEUlmE_lEESB_NS0_8identityIvEEEESM_SP_SQ_mSR_ST_bEUlT_E_NS1_11comp_targetILNS1_3genE2ELNS1_11target_archE906ELNS1_3gpuE6ELNS1_3repE0EEENS1_30default_config_static_selectorELNS0_4arch9wavefront6targetE1EEEvT1_
		.amdhsa_group_segment_fixed_size 0
		.amdhsa_private_segment_fixed_size 0
		.amdhsa_kernarg_size 56
		.amdhsa_user_sgpr_count 2
		.amdhsa_user_sgpr_dispatch_ptr 0
		.amdhsa_user_sgpr_queue_ptr 0
		.amdhsa_user_sgpr_kernarg_segment_ptr 1
		.amdhsa_user_sgpr_dispatch_id 0
		.amdhsa_user_sgpr_kernarg_preload_length 0
		.amdhsa_user_sgpr_kernarg_preload_offset 0
		.amdhsa_user_sgpr_private_segment_size 0
		.amdhsa_uses_dynamic_stack 0
		.amdhsa_enable_private_segment 0
		.amdhsa_system_sgpr_workgroup_id_x 1
		.amdhsa_system_sgpr_workgroup_id_y 0
		.amdhsa_system_sgpr_workgroup_id_z 0
		.amdhsa_system_sgpr_workgroup_info 0
		.amdhsa_system_vgpr_workitem_id 0
		.amdhsa_next_free_vgpr 1
		.amdhsa_next_free_sgpr 0
		.amdhsa_accum_offset 4
		.amdhsa_reserve_vcc 0
		.amdhsa_float_round_mode_32 0
		.amdhsa_float_round_mode_16_64 0
		.amdhsa_float_denorm_mode_32 3
		.amdhsa_float_denorm_mode_16_64 3
		.amdhsa_dx10_clamp 1
		.amdhsa_ieee_mode 1
		.amdhsa_fp16_overflow 0
		.amdhsa_tg_split 0
		.amdhsa_exception_fp_ieee_invalid_op 0
		.amdhsa_exception_fp_denorm_src 0
		.amdhsa_exception_fp_ieee_div_zero 0
		.amdhsa_exception_fp_ieee_overflow 0
		.amdhsa_exception_fp_ieee_underflow 0
		.amdhsa_exception_fp_ieee_inexact 0
		.amdhsa_exception_int_div_zero 0
	.end_amdhsa_kernel
	.section	.text._ZN7rocprim17ROCPRIM_400000_NS6detail17trampoline_kernelINS0_14default_configENS1_25transform_config_selectorIlLb0EEEZNS1_14transform_implILb0ES3_S5_NS0_18transform_iteratorINS0_17counting_iteratorImlEEZNS1_24adjacent_difference_implIS3_Lb1ELb0EPlSB_ZN2at6native12_GLOBAL__N_124unique_dim_cuda_templateIlEESt5tupleIJNSC_6TensorESH_SH_EERKSH_lbbbEUlllE1_EE10hipError_tPvRmT2_T3_mT4_P12ihipStream_tbEUlmE_lEESB_NS0_8identityIvEEEESM_SP_SQ_mSR_ST_bEUlT_E_NS1_11comp_targetILNS1_3genE2ELNS1_11target_archE906ELNS1_3gpuE6ELNS1_3repE0EEENS1_30default_config_static_selectorELNS0_4arch9wavefront6targetE1EEEvT1_,"axG",@progbits,_ZN7rocprim17ROCPRIM_400000_NS6detail17trampoline_kernelINS0_14default_configENS1_25transform_config_selectorIlLb0EEEZNS1_14transform_implILb0ES3_S5_NS0_18transform_iteratorINS0_17counting_iteratorImlEEZNS1_24adjacent_difference_implIS3_Lb1ELb0EPlSB_ZN2at6native12_GLOBAL__N_124unique_dim_cuda_templateIlEESt5tupleIJNSC_6TensorESH_SH_EERKSH_lbbbEUlllE1_EE10hipError_tPvRmT2_T3_mT4_P12ihipStream_tbEUlmE_lEESB_NS0_8identityIvEEEESM_SP_SQ_mSR_ST_bEUlT_E_NS1_11comp_targetILNS1_3genE2ELNS1_11target_archE906ELNS1_3gpuE6ELNS1_3repE0EEENS1_30default_config_static_selectorELNS0_4arch9wavefront6targetE1EEEvT1_,comdat
.Lfunc_end550:
	.size	_ZN7rocprim17ROCPRIM_400000_NS6detail17trampoline_kernelINS0_14default_configENS1_25transform_config_selectorIlLb0EEEZNS1_14transform_implILb0ES3_S5_NS0_18transform_iteratorINS0_17counting_iteratorImlEEZNS1_24adjacent_difference_implIS3_Lb1ELb0EPlSB_ZN2at6native12_GLOBAL__N_124unique_dim_cuda_templateIlEESt5tupleIJNSC_6TensorESH_SH_EERKSH_lbbbEUlllE1_EE10hipError_tPvRmT2_T3_mT4_P12ihipStream_tbEUlmE_lEESB_NS0_8identityIvEEEESM_SP_SQ_mSR_ST_bEUlT_E_NS1_11comp_targetILNS1_3genE2ELNS1_11target_archE906ELNS1_3gpuE6ELNS1_3repE0EEENS1_30default_config_static_selectorELNS0_4arch9wavefront6targetE1EEEvT1_, .Lfunc_end550-_ZN7rocprim17ROCPRIM_400000_NS6detail17trampoline_kernelINS0_14default_configENS1_25transform_config_selectorIlLb0EEEZNS1_14transform_implILb0ES3_S5_NS0_18transform_iteratorINS0_17counting_iteratorImlEEZNS1_24adjacent_difference_implIS3_Lb1ELb0EPlSB_ZN2at6native12_GLOBAL__N_124unique_dim_cuda_templateIlEESt5tupleIJNSC_6TensorESH_SH_EERKSH_lbbbEUlllE1_EE10hipError_tPvRmT2_T3_mT4_P12ihipStream_tbEUlmE_lEESB_NS0_8identityIvEEEESM_SP_SQ_mSR_ST_bEUlT_E_NS1_11comp_targetILNS1_3genE2ELNS1_11target_archE906ELNS1_3gpuE6ELNS1_3repE0EEENS1_30default_config_static_selectorELNS0_4arch9wavefront6targetE1EEEvT1_
                                        ; -- End function
	.set _ZN7rocprim17ROCPRIM_400000_NS6detail17trampoline_kernelINS0_14default_configENS1_25transform_config_selectorIlLb0EEEZNS1_14transform_implILb0ES3_S5_NS0_18transform_iteratorINS0_17counting_iteratorImlEEZNS1_24adjacent_difference_implIS3_Lb1ELb0EPlSB_ZN2at6native12_GLOBAL__N_124unique_dim_cuda_templateIlEESt5tupleIJNSC_6TensorESH_SH_EERKSH_lbbbEUlllE1_EE10hipError_tPvRmT2_T3_mT4_P12ihipStream_tbEUlmE_lEESB_NS0_8identityIvEEEESM_SP_SQ_mSR_ST_bEUlT_E_NS1_11comp_targetILNS1_3genE2ELNS1_11target_archE906ELNS1_3gpuE6ELNS1_3repE0EEENS1_30default_config_static_selectorELNS0_4arch9wavefront6targetE1EEEvT1_.num_vgpr, 0
	.set _ZN7rocprim17ROCPRIM_400000_NS6detail17trampoline_kernelINS0_14default_configENS1_25transform_config_selectorIlLb0EEEZNS1_14transform_implILb0ES3_S5_NS0_18transform_iteratorINS0_17counting_iteratorImlEEZNS1_24adjacent_difference_implIS3_Lb1ELb0EPlSB_ZN2at6native12_GLOBAL__N_124unique_dim_cuda_templateIlEESt5tupleIJNSC_6TensorESH_SH_EERKSH_lbbbEUlllE1_EE10hipError_tPvRmT2_T3_mT4_P12ihipStream_tbEUlmE_lEESB_NS0_8identityIvEEEESM_SP_SQ_mSR_ST_bEUlT_E_NS1_11comp_targetILNS1_3genE2ELNS1_11target_archE906ELNS1_3gpuE6ELNS1_3repE0EEENS1_30default_config_static_selectorELNS0_4arch9wavefront6targetE1EEEvT1_.num_agpr, 0
	.set _ZN7rocprim17ROCPRIM_400000_NS6detail17trampoline_kernelINS0_14default_configENS1_25transform_config_selectorIlLb0EEEZNS1_14transform_implILb0ES3_S5_NS0_18transform_iteratorINS0_17counting_iteratorImlEEZNS1_24adjacent_difference_implIS3_Lb1ELb0EPlSB_ZN2at6native12_GLOBAL__N_124unique_dim_cuda_templateIlEESt5tupleIJNSC_6TensorESH_SH_EERKSH_lbbbEUlllE1_EE10hipError_tPvRmT2_T3_mT4_P12ihipStream_tbEUlmE_lEESB_NS0_8identityIvEEEESM_SP_SQ_mSR_ST_bEUlT_E_NS1_11comp_targetILNS1_3genE2ELNS1_11target_archE906ELNS1_3gpuE6ELNS1_3repE0EEENS1_30default_config_static_selectorELNS0_4arch9wavefront6targetE1EEEvT1_.numbered_sgpr, 0
	.set _ZN7rocprim17ROCPRIM_400000_NS6detail17trampoline_kernelINS0_14default_configENS1_25transform_config_selectorIlLb0EEEZNS1_14transform_implILb0ES3_S5_NS0_18transform_iteratorINS0_17counting_iteratorImlEEZNS1_24adjacent_difference_implIS3_Lb1ELb0EPlSB_ZN2at6native12_GLOBAL__N_124unique_dim_cuda_templateIlEESt5tupleIJNSC_6TensorESH_SH_EERKSH_lbbbEUlllE1_EE10hipError_tPvRmT2_T3_mT4_P12ihipStream_tbEUlmE_lEESB_NS0_8identityIvEEEESM_SP_SQ_mSR_ST_bEUlT_E_NS1_11comp_targetILNS1_3genE2ELNS1_11target_archE906ELNS1_3gpuE6ELNS1_3repE0EEENS1_30default_config_static_selectorELNS0_4arch9wavefront6targetE1EEEvT1_.num_named_barrier, 0
	.set _ZN7rocprim17ROCPRIM_400000_NS6detail17trampoline_kernelINS0_14default_configENS1_25transform_config_selectorIlLb0EEEZNS1_14transform_implILb0ES3_S5_NS0_18transform_iteratorINS0_17counting_iteratorImlEEZNS1_24adjacent_difference_implIS3_Lb1ELb0EPlSB_ZN2at6native12_GLOBAL__N_124unique_dim_cuda_templateIlEESt5tupleIJNSC_6TensorESH_SH_EERKSH_lbbbEUlllE1_EE10hipError_tPvRmT2_T3_mT4_P12ihipStream_tbEUlmE_lEESB_NS0_8identityIvEEEESM_SP_SQ_mSR_ST_bEUlT_E_NS1_11comp_targetILNS1_3genE2ELNS1_11target_archE906ELNS1_3gpuE6ELNS1_3repE0EEENS1_30default_config_static_selectorELNS0_4arch9wavefront6targetE1EEEvT1_.private_seg_size, 0
	.set _ZN7rocprim17ROCPRIM_400000_NS6detail17trampoline_kernelINS0_14default_configENS1_25transform_config_selectorIlLb0EEEZNS1_14transform_implILb0ES3_S5_NS0_18transform_iteratorINS0_17counting_iteratorImlEEZNS1_24adjacent_difference_implIS3_Lb1ELb0EPlSB_ZN2at6native12_GLOBAL__N_124unique_dim_cuda_templateIlEESt5tupleIJNSC_6TensorESH_SH_EERKSH_lbbbEUlllE1_EE10hipError_tPvRmT2_T3_mT4_P12ihipStream_tbEUlmE_lEESB_NS0_8identityIvEEEESM_SP_SQ_mSR_ST_bEUlT_E_NS1_11comp_targetILNS1_3genE2ELNS1_11target_archE906ELNS1_3gpuE6ELNS1_3repE0EEENS1_30default_config_static_selectorELNS0_4arch9wavefront6targetE1EEEvT1_.uses_vcc, 0
	.set _ZN7rocprim17ROCPRIM_400000_NS6detail17trampoline_kernelINS0_14default_configENS1_25transform_config_selectorIlLb0EEEZNS1_14transform_implILb0ES3_S5_NS0_18transform_iteratorINS0_17counting_iteratorImlEEZNS1_24adjacent_difference_implIS3_Lb1ELb0EPlSB_ZN2at6native12_GLOBAL__N_124unique_dim_cuda_templateIlEESt5tupleIJNSC_6TensorESH_SH_EERKSH_lbbbEUlllE1_EE10hipError_tPvRmT2_T3_mT4_P12ihipStream_tbEUlmE_lEESB_NS0_8identityIvEEEESM_SP_SQ_mSR_ST_bEUlT_E_NS1_11comp_targetILNS1_3genE2ELNS1_11target_archE906ELNS1_3gpuE6ELNS1_3repE0EEENS1_30default_config_static_selectorELNS0_4arch9wavefront6targetE1EEEvT1_.uses_flat_scratch, 0
	.set _ZN7rocprim17ROCPRIM_400000_NS6detail17trampoline_kernelINS0_14default_configENS1_25transform_config_selectorIlLb0EEEZNS1_14transform_implILb0ES3_S5_NS0_18transform_iteratorINS0_17counting_iteratorImlEEZNS1_24adjacent_difference_implIS3_Lb1ELb0EPlSB_ZN2at6native12_GLOBAL__N_124unique_dim_cuda_templateIlEESt5tupleIJNSC_6TensorESH_SH_EERKSH_lbbbEUlllE1_EE10hipError_tPvRmT2_T3_mT4_P12ihipStream_tbEUlmE_lEESB_NS0_8identityIvEEEESM_SP_SQ_mSR_ST_bEUlT_E_NS1_11comp_targetILNS1_3genE2ELNS1_11target_archE906ELNS1_3gpuE6ELNS1_3repE0EEENS1_30default_config_static_selectorELNS0_4arch9wavefront6targetE1EEEvT1_.has_dyn_sized_stack, 0
	.set _ZN7rocprim17ROCPRIM_400000_NS6detail17trampoline_kernelINS0_14default_configENS1_25transform_config_selectorIlLb0EEEZNS1_14transform_implILb0ES3_S5_NS0_18transform_iteratorINS0_17counting_iteratorImlEEZNS1_24adjacent_difference_implIS3_Lb1ELb0EPlSB_ZN2at6native12_GLOBAL__N_124unique_dim_cuda_templateIlEESt5tupleIJNSC_6TensorESH_SH_EERKSH_lbbbEUlllE1_EE10hipError_tPvRmT2_T3_mT4_P12ihipStream_tbEUlmE_lEESB_NS0_8identityIvEEEESM_SP_SQ_mSR_ST_bEUlT_E_NS1_11comp_targetILNS1_3genE2ELNS1_11target_archE906ELNS1_3gpuE6ELNS1_3repE0EEENS1_30default_config_static_selectorELNS0_4arch9wavefront6targetE1EEEvT1_.has_recursion, 0
	.set _ZN7rocprim17ROCPRIM_400000_NS6detail17trampoline_kernelINS0_14default_configENS1_25transform_config_selectorIlLb0EEEZNS1_14transform_implILb0ES3_S5_NS0_18transform_iteratorINS0_17counting_iteratorImlEEZNS1_24adjacent_difference_implIS3_Lb1ELb0EPlSB_ZN2at6native12_GLOBAL__N_124unique_dim_cuda_templateIlEESt5tupleIJNSC_6TensorESH_SH_EERKSH_lbbbEUlllE1_EE10hipError_tPvRmT2_T3_mT4_P12ihipStream_tbEUlmE_lEESB_NS0_8identityIvEEEESM_SP_SQ_mSR_ST_bEUlT_E_NS1_11comp_targetILNS1_3genE2ELNS1_11target_archE906ELNS1_3gpuE6ELNS1_3repE0EEENS1_30default_config_static_selectorELNS0_4arch9wavefront6targetE1EEEvT1_.has_indirect_call, 0
	.section	.AMDGPU.csdata,"",@progbits
; Kernel info:
; codeLenInByte = 0
; TotalNumSgprs: 6
; NumVgprs: 0
; NumAgprs: 0
; TotalNumVgprs: 0
; ScratchSize: 0
; MemoryBound: 0
; FloatMode: 240
; IeeeMode: 1
; LDSByteSize: 0 bytes/workgroup (compile time only)
; SGPRBlocks: 0
; VGPRBlocks: 0
; NumSGPRsForWavesPerEU: 6
; NumVGPRsForWavesPerEU: 1
; AccumOffset: 4
; Occupancy: 8
; WaveLimiterHint : 0
; COMPUTE_PGM_RSRC2:SCRATCH_EN: 0
; COMPUTE_PGM_RSRC2:USER_SGPR: 2
; COMPUTE_PGM_RSRC2:TRAP_HANDLER: 0
; COMPUTE_PGM_RSRC2:TGID_X_EN: 1
; COMPUTE_PGM_RSRC2:TGID_Y_EN: 0
; COMPUTE_PGM_RSRC2:TGID_Z_EN: 0
; COMPUTE_PGM_RSRC2:TIDIG_COMP_CNT: 0
; COMPUTE_PGM_RSRC3_GFX90A:ACCUM_OFFSET: 0
; COMPUTE_PGM_RSRC3_GFX90A:TG_SPLIT: 0
	.section	.text._ZN7rocprim17ROCPRIM_400000_NS6detail17trampoline_kernelINS0_14default_configENS1_25transform_config_selectorIlLb0EEEZNS1_14transform_implILb0ES3_S5_NS0_18transform_iteratorINS0_17counting_iteratorImlEEZNS1_24adjacent_difference_implIS3_Lb1ELb0EPlSB_ZN2at6native12_GLOBAL__N_124unique_dim_cuda_templateIlEESt5tupleIJNSC_6TensorESH_SH_EERKSH_lbbbEUlllE1_EE10hipError_tPvRmT2_T3_mT4_P12ihipStream_tbEUlmE_lEESB_NS0_8identityIvEEEESM_SP_SQ_mSR_ST_bEUlT_E_NS1_11comp_targetILNS1_3genE10ELNS1_11target_archE1201ELNS1_3gpuE5ELNS1_3repE0EEENS1_30default_config_static_selectorELNS0_4arch9wavefront6targetE1EEEvT1_,"axG",@progbits,_ZN7rocprim17ROCPRIM_400000_NS6detail17trampoline_kernelINS0_14default_configENS1_25transform_config_selectorIlLb0EEEZNS1_14transform_implILb0ES3_S5_NS0_18transform_iteratorINS0_17counting_iteratorImlEEZNS1_24adjacent_difference_implIS3_Lb1ELb0EPlSB_ZN2at6native12_GLOBAL__N_124unique_dim_cuda_templateIlEESt5tupleIJNSC_6TensorESH_SH_EERKSH_lbbbEUlllE1_EE10hipError_tPvRmT2_T3_mT4_P12ihipStream_tbEUlmE_lEESB_NS0_8identityIvEEEESM_SP_SQ_mSR_ST_bEUlT_E_NS1_11comp_targetILNS1_3genE10ELNS1_11target_archE1201ELNS1_3gpuE5ELNS1_3repE0EEENS1_30default_config_static_selectorELNS0_4arch9wavefront6targetE1EEEvT1_,comdat
	.globl	_ZN7rocprim17ROCPRIM_400000_NS6detail17trampoline_kernelINS0_14default_configENS1_25transform_config_selectorIlLb0EEEZNS1_14transform_implILb0ES3_S5_NS0_18transform_iteratorINS0_17counting_iteratorImlEEZNS1_24adjacent_difference_implIS3_Lb1ELb0EPlSB_ZN2at6native12_GLOBAL__N_124unique_dim_cuda_templateIlEESt5tupleIJNSC_6TensorESH_SH_EERKSH_lbbbEUlllE1_EE10hipError_tPvRmT2_T3_mT4_P12ihipStream_tbEUlmE_lEESB_NS0_8identityIvEEEESM_SP_SQ_mSR_ST_bEUlT_E_NS1_11comp_targetILNS1_3genE10ELNS1_11target_archE1201ELNS1_3gpuE5ELNS1_3repE0EEENS1_30default_config_static_selectorELNS0_4arch9wavefront6targetE1EEEvT1_ ; -- Begin function _ZN7rocprim17ROCPRIM_400000_NS6detail17trampoline_kernelINS0_14default_configENS1_25transform_config_selectorIlLb0EEEZNS1_14transform_implILb0ES3_S5_NS0_18transform_iteratorINS0_17counting_iteratorImlEEZNS1_24adjacent_difference_implIS3_Lb1ELb0EPlSB_ZN2at6native12_GLOBAL__N_124unique_dim_cuda_templateIlEESt5tupleIJNSC_6TensorESH_SH_EERKSH_lbbbEUlllE1_EE10hipError_tPvRmT2_T3_mT4_P12ihipStream_tbEUlmE_lEESB_NS0_8identityIvEEEESM_SP_SQ_mSR_ST_bEUlT_E_NS1_11comp_targetILNS1_3genE10ELNS1_11target_archE1201ELNS1_3gpuE5ELNS1_3repE0EEENS1_30default_config_static_selectorELNS0_4arch9wavefront6targetE1EEEvT1_
	.p2align	8
	.type	_ZN7rocprim17ROCPRIM_400000_NS6detail17trampoline_kernelINS0_14default_configENS1_25transform_config_selectorIlLb0EEEZNS1_14transform_implILb0ES3_S5_NS0_18transform_iteratorINS0_17counting_iteratorImlEEZNS1_24adjacent_difference_implIS3_Lb1ELb0EPlSB_ZN2at6native12_GLOBAL__N_124unique_dim_cuda_templateIlEESt5tupleIJNSC_6TensorESH_SH_EERKSH_lbbbEUlllE1_EE10hipError_tPvRmT2_T3_mT4_P12ihipStream_tbEUlmE_lEESB_NS0_8identityIvEEEESM_SP_SQ_mSR_ST_bEUlT_E_NS1_11comp_targetILNS1_3genE10ELNS1_11target_archE1201ELNS1_3gpuE5ELNS1_3repE0EEENS1_30default_config_static_selectorELNS0_4arch9wavefront6targetE1EEEvT1_,@function
_ZN7rocprim17ROCPRIM_400000_NS6detail17trampoline_kernelINS0_14default_configENS1_25transform_config_selectorIlLb0EEEZNS1_14transform_implILb0ES3_S5_NS0_18transform_iteratorINS0_17counting_iteratorImlEEZNS1_24adjacent_difference_implIS3_Lb1ELb0EPlSB_ZN2at6native12_GLOBAL__N_124unique_dim_cuda_templateIlEESt5tupleIJNSC_6TensorESH_SH_EERKSH_lbbbEUlllE1_EE10hipError_tPvRmT2_T3_mT4_P12ihipStream_tbEUlmE_lEESB_NS0_8identityIvEEEESM_SP_SQ_mSR_ST_bEUlT_E_NS1_11comp_targetILNS1_3genE10ELNS1_11target_archE1201ELNS1_3gpuE5ELNS1_3repE0EEENS1_30default_config_static_selectorELNS0_4arch9wavefront6targetE1EEEvT1_: ; @_ZN7rocprim17ROCPRIM_400000_NS6detail17trampoline_kernelINS0_14default_configENS1_25transform_config_selectorIlLb0EEEZNS1_14transform_implILb0ES3_S5_NS0_18transform_iteratorINS0_17counting_iteratorImlEEZNS1_24adjacent_difference_implIS3_Lb1ELb0EPlSB_ZN2at6native12_GLOBAL__N_124unique_dim_cuda_templateIlEESt5tupleIJNSC_6TensorESH_SH_EERKSH_lbbbEUlllE1_EE10hipError_tPvRmT2_T3_mT4_P12ihipStream_tbEUlmE_lEESB_NS0_8identityIvEEEESM_SP_SQ_mSR_ST_bEUlT_E_NS1_11comp_targetILNS1_3genE10ELNS1_11target_archE1201ELNS1_3gpuE5ELNS1_3repE0EEENS1_30default_config_static_selectorELNS0_4arch9wavefront6targetE1EEEvT1_
; %bb.0:
	.section	.rodata,"a",@progbits
	.p2align	6, 0x0
	.amdhsa_kernel _ZN7rocprim17ROCPRIM_400000_NS6detail17trampoline_kernelINS0_14default_configENS1_25transform_config_selectorIlLb0EEEZNS1_14transform_implILb0ES3_S5_NS0_18transform_iteratorINS0_17counting_iteratorImlEEZNS1_24adjacent_difference_implIS3_Lb1ELb0EPlSB_ZN2at6native12_GLOBAL__N_124unique_dim_cuda_templateIlEESt5tupleIJNSC_6TensorESH_SH_EERKSH_lbbbEUlllE1_EE10hipError_tPvRmT2_T3_mT4_P12ihipStream_tbEUlmE_lEESB_NS0_8identityIvEEEESM_SP_SQ_mSR_ST_bEUlT_E_NS1_11comp_targetILNS1_3genE10ELNS1_11target_archE1201ELNS1_3gpuE5ELNS1_3repE0EEENS1_30default_config_static_selectorELNS0_4arch9wavefront6targetE1EEEvT1_
		.amdhsa_group_segment_fixed_size 0
		.amdhsa_private_segment_fixed_size 0
		.amdhsa_kernarg_size 56
		.amdhsa_user_sgpr_count 2
		.amdhsa_user_sgpr_dispatch_ptr 0
		.amdhsa_user_sgpr_queue_ptr 0
		.amdhsa_user_sgpr_kernarg_segment_ptr 1
		.amdhsa_user_sgpr_dispatch_id 0
		.amdhsa_user_sgpr_kernarg_preload_length 0
		.amdhsa_user_sgpr_kernarg_preload_offset 0
		.amdhsa_user_sgpr_private_segment_size 0
		.amdhsa_uses_dynamic_stack 0
		.amdhsa_enable_private_segment 0
		.amdhsa_system_sgpr_workgroup_id_x 1
		.amdhsa_system_sgpr_workgroup_id_y 0
		.amdhsa_system_sgpr_workgroup_id_z 0
		.amdhsa_system_sgpr_workgroup_info 0
		.amdhsa_system_vgpr_workitem_id 0
		.amdhsa_next_free_vgpr 1
		.amdhsa_next_free_sgpr 0
		.amdhsa_accum_offset 4
		.amdhsa_reserve_vcc 0
		.amdhsa_float_round_mode_32 0
		.amdhsa_float_round_mode_16_64 0
		.amdhsa_float_denorm_mode_32 3
		.amdhsa_float_denorm_mode_16_64 3
		.amdhsa_dx10_clamp 1
		.amdhsa_ieee_mode 1
		.amdhsa_fp16_overflow 0
		.amdhsa_tg_split 0
		.amdhsa_exception_fp_ieee_invalid_op 0
		.amdhsa_exception_fp_denorm_src 0
		.amdhsa_exception_fp_ieee_div_zero 0
		.amdhsa_exception_fp_ieee_overflow 0
		.amdhsa_exception_fp_ieee_underflow 0
		.amdhsa_exception_fp_ieee_inexact 0
		.amdhsa_exception_int_div_zero 0
	.end_amdhsa_kernel
	.section	.text._ZN7rocprim17ROCPRIM_400000_NS6detail17trampoline_kernelINS0_14default_configENS1_25transform_config_selectorIlLb0EEEZNS1_14transform_implILb0ES3_S5_NS0_18transform_iteratorINS0_17counting_iteratorImlEEZNS1_24adjacent_difference_implIS3_Lb1ELb0EPlSB_ZN2at6native12_GLOBAL__N_124unique_dim_cuda_templateIlEESt5tupleIJNSC_6TensorESH_SH_EERKSH_lbbbEUlllE1_EE10hipError_tPvRmT2_T3_mT4_P12ihipStream_tbEUlmE_lEESB_NS0_8identityIvEEEESM_SP_SQ_mSR_ST_bEUlT_E_NS1_11comp_targetILNS1_3genE10ELNS1_11target_archE1201ELNS1_3gpuE5ELNS1_3repE0EEENS1_30default_config_static_selectorELNS0_4arch9wavefront6targetE1EEEvT1_,"axG",@progbits,_ZN7rocprim17ROCPRIM_400000_NS6detail17trampoline_kernelINS0_14default_configENS1_25transform_config_selectorIlLb0EEEZNS1_14transform_implILb0ES3_S5_NS0_18transform_iteratorINS0_17counting_iteratorImlEEZNS1_24adjacent_difference_implIS3_Lb1ELb0EPlSB_ZN2at6native12_GLOBAL__N_124unique_dim_cuda_templateIlEESt5tupleIJNSC_6TensorESH_SH_EERKSH_lbbbEUlllE1_EE10hipError_tPvRmT2_T3_mT4_P12ihipStream_tbEUlmE_lEESB_NS0_8identityIvEEEESM_SP_SQ_mSR_ST_bEUlT_E_NS1_11comp_targetILNS1_3genE10ELNS1_11target_archE1201ELNS1_3gpuE5ELNS1_3repE0EEENS1_30default_config_static_selectorELNS0_4arch9wavefront6targetE1EEEvT1_,comdat
.Lfunc_end551:
	.size	_ZN7rocprim17ROCPRIM_400000_NS6detail17trampoline_kernelINS0_14default_configENS1_25transform_config_selectorIlLb0EEEZNS1_14transform_implILb0ES3_S5_NS0_18transform_iteratorINS0_17counting_iteratorImlEEZNS1_24adjacent_difference_implIS3_Lb1ELb0EPlSB_ZN2at6native12_GLOBAL__N_124unique_dim_cuda_templateIlEESt5tupleIJNSC_6TensorESH_SH_EERKSH_lbbbEUlllE1_EE10hipError_tPvRmT2_T3_mT4_P12ihipStream_tbEUlmE_lEESB_NS0_8identityIvEEEESM_SP_SQ_mSR_ST_bEUlT_E_NS1_11comp_targetILNS1_3genE10ELNS1_11target_archE1201ELNS1_3gpuE5ELNS1_3repE0EEENS1_30default_config_static_selectorELNS0_4arch9wavefront6targetE1EEEvT1_, .Lfunc_end551-_ZN7rocprim17ROCPRIM_400000_NS6detail17trampoline_kernelINS0_14default_configENS1_25transform_config_selectorIlLb0EEEZNS1_14transform_implILb0ES3_S5_NS0_18transform_iteratorINS0_17counting_iteratorImlEEZNS1_24adjacent_difference_implIS3_Lb1ELb0EPlSB_ZN2at6native12_GLOBAL__N_124unique_dim_cuda_templateIlEESt5tupleIJNSC_6TensorESH_SH_EERKSH_lbbbEUlllE1_EE10hipError_tPvRmT2_T3_mT4_P12ihipStream_tbEUlmE_lEESB_NS0_8identityIvEEEESM_SP_SQ_mSR_ST_bEUlT_E_NS1_11comp_targetILNS1_3genE10ELNS1_11target_archE1201ELNS1_3gpuE5ELNS1_3repE0EEENS1_30default_config_static_selectorELNS0_4arch9wavefront6targetE1EEEvT1_
                                        ; -- End function
	.set _ZN7rocprim17ROCPRIM_400000_NS6detail17trampoline_kernelINS0_14default_configENS1_25transform_config_selectorIlLb0EEEZNS1_14transform_implILb0ES3_S5_NS0_18transform_iteratorINS0_17counting_iteratorImlEEZNS1_24adjacent_difference_implIS3_Lb1ELb0EPlSB_ZN2at6native12_GLOBAL__N_124unique_dim_cuda_templateIlEESt5tupleIJNSC_6TensorESH_SH_EERKSH_lbbbEUlllE1_EE10hipError_tPvRmT2_T3_mT4_P12ihipStream_tbEUlmE_lEESB_NS0_8identityIvEEEESM_SP_SQ_mSR_ST_bEUlT_E_NS1_11comp_targetILNS1_3genE10ELNS1_11target_archE1201ELNS1_3gpuE5ELNS1_3repE0EEENS1_30default_config_static_selectorELNS0_4arch9wavefront6targetE1EEEvT1_.num_vgpr, 0
	.set _ZN7rocprim17ROCPRIM_400000_NS6detail17trampoline_kernelINS0_14default_configENS1_25transform_config_selectorIlLb0EEEZNS1_14transform_implILb0ES3_S5_NS0_18transform_iteratorINS0_17counting_iteratorImlEEZNS1_24adjacent_difference_implIS3_Lb1ELb0EPlSB_ZN2at6native12_GLOBAL__N_124unique_dim_cuda_templateIlEESt5tupleIJNSC_6TensorESH_SH_EERKSH_lbbbEUlllE1_EE10hipError_tPvRmT2_T3_mT4_P12ihipStream_tbEUlmE_lEESB_NS0_8identityIvEEEESM_SP_SQ_mSR_ST_bEUlT_E_NS1_11comp_targetILNS1_3genE10ELNS1_11target_archE1201ELNS1_3gpuE5ELNS1_3repE0EEENS1_30default_config_static_selectorELNS0_4arch9wavefront6targetE1EEEvT1_.num_agpr, 0
	.set _ZN7rocprim17ROCPRIM_400000_NS6detail17trampoline_kernelINS0_14default_configENS1_25transform_config_selectorIlLb0EEEZNS1_14transform_implILb0ES3_S5_NS0_18transform_iteratorINS0_17counting_iteratorImlEEZNS1_24adjacent_difference_implIS3_Lb1ELb0EPlSB_ZN2at6native12_GLOBAL__N_124unique_dim_cuda_templateIlEESt5tupleIJNSC_6TensorESH_SH_EERKSH_lbbbEUlllE1_EE10hipError_tPvRmT2_T3_mT4_P12ihipStream_tbEUlmE_lEESB_NS0_8identityIvEEEESM_SP_SQ_mSR_ST_bEUlT_E_NS1_11comp_targetILNS1_3genE10ELNS1_11target_archE1201ELNS1_3gpuE5ELNS1_3repE0EEENS1_30default_config_static_selectorELNS0_4arch9wavefront6targetE1EEEvT1_.numbered_sgpr, 0
	.set _ZN7rocprim17ROCPRIM_400000_NS6detail17trampoline_kernelINS0_14default_configENS1_25transform_config_selectorIlLb0EEEZNS1_14transform_implILb0ES3_S5_NS0_18transform_iteratorINS0_17counting_iteratorImlEEZNS1_24adjacent_difference_implIS3_Lb1ELb0EPlSB_ZN2at6native12_GLOBAL__N_124unique_dim_cuda_templateIlEESt5tupleIJNSC_6TensorESH_SH_EERKSH_lbbbEUlllE1_EE10hipError_tPvRmT2_T3_mT4_P12ihipStream_tbEUlmE_lEESB_NS0_8identityIvEEEESM_SP_SQ_mSR_ST_bEUlT_E_NS1_11comp_targetILNS1_3genE10ELNS1_11target_archE1201ELNS1_3gpuE5ELNS1_3repE0EEENS1_30default_config_static_selectorELNS0_4arch9wavefront6targetE1EEEvT1_.num_named_barrier, 0
	.set _ZN7rocprim17ROCPRIM_400000_NS6detail17trampoline_kernelINS0_14default_configENS1_25transform_config_selectorIlLb0EEEZNS1_14transform_implILb0ES3_S5_NS0_18transform_iteratorINS0_17counting_iteratorImlEEZNS1_24adjacent_difference_implIS3_Lb1ELb0EPlSB_ZN2at6native12_GLOBAL__N_124unique_dim_cuda_templateIlEESt5tupleIJNSC_6TensorESH_SH_EERKSH_lbbbEUlllE1_EE10hipError_tPvRmT2_T3_mT4_P12ihipStream_tbEUlmE_lEESB_NS0_8identityIvEEEESM_SP_SQ_mSR_ST_bEUlT_E_NS1_11comp_targetILNS1_3genE10ELNS1_11target_archE1201ELNS1_3gpuE5ELNS1_3repE0EEENS1_30default_config_static_selectorELNS0_4arch9wavefront6targetE1EEEvT1_.private_seg_size, 0
	.set _ZN7rocprim17ROCPRIM_400000_NS6detail17trampoline_kernelINS0_14default_configENS1_25transform_config_selectorIlLb0EEEZNS1_14transform_implILb0ES3_S5_NS0_18transform_iteratorINS0_17counting_iteratorImlEEZNS1_24adjacent_difference_implIS3_Lb1ELb0EPlSB_ZN2at6native12_GLOBAL__N_124unique_dim_cuda_templateIlEESt5tupleIJNSC_6TensorESH_SH_EERKSH_lbbbEUlllE1_EE10hipError_tPvRmT2_T3_mT4_P12ihipStream_tbEUlmE_lEESB_NS0_8identityIvEEEESM_SP_SQ_mSR_ST_bEUlT_E_NS1_11comp_targetILNS1_3genE10ELNS1_11target_archE1201ELNS1_3gpuE5ELNS1_3repE0EEENS1_30default_config_static_selectorELNS0_4arch9wavefront6targetE1EEEvT1_.uses_vcc, 0
	.set _ZN7rocprim17ROCPRIM_400000_NS6detail17trampoline_kernelINS0_14default_configENS1_25transform_config_selectorIlLb0EEEZNS1_14transform_implILb0ES3_S5_NS0_18transform_iteratorINS0_17counting_iteratorImlEEZNS1_24adjacent_difference_implIS3_Lb1ELb0EPlSB_ZN2at6native12_GLOBAL__N_124unique_dim_cuda_templateIlEESt5tupleIJNSC_6TensorESH_SH_EERKSH_lbbbEUlllE1_EE10hipError_tPvRmT2_T3_mT4_P12ihipStream_tbEUlmE_lEESB_NS0_8identityIvEEEESM_SP_SQ_mSR_ST_bEUlT_E_NS1_11comp_targetILNS1_3genE10ELNS1_11target_archE1201ELNS1_3gpuE5ELNS1_3repE0EEENS1_30default_config_static_selectorELNS0_4arch9wavefront6targetE1EEEvT1_.uses_flat_scratch, 0
	.set _ZN7rocprim17ROCPRIM_400000_NS6detail17trampoline_kernelINS0_14default_configENS1_25transform_config_selectorIlLb0EEEZNS1_14transform_implILb0ES3_S5_NS0_18transform_iteratorINS0_17counting_iteratorImlEEZNS1_24adjacent_difference_implIS3_Lb1ELb0EPlSB_ZN2at6native12_GLOBAL__N_124unique_dim_cuda_templateIlEESt5tupleIJNSC_6TensorESH_SH_EERKSH_lbbbEUlllE1_EE10hipError_tPvRmT2_T3_mT4_P12ihipStream_tbEUlmE_lEESB_NS0_8identityIvEEEESM_SP_SQ_mSR_ST_bEUlT_E_NS1_11comp_targetILNS1_3genE10ELNS1_11target_archE1201ELNS1_3gpuE5ELNS1_3repE0EEENS1_30default_config_static_selectorELNS0_4arch9wavefront6targetE1EEEvT1_.has_dyn_sized_stack, 0
	.set _ZN7rocprim17ROCPRIM_400000_NS6detail17trampoline_kernelINS0_14default_configENS1_25transform_config_selectorIlLb0EEEZNS1_14transform_implILb0ES3_S5_NS0_18transform_iteratorINS0_17counting_iteratorImlEEZNS1_24adjacent_difference_implIS3_Lb1ELb0EPlSB_ZN2at6native12_GLOBAL__N_124unique_dim_cuda_templateIlEESt5tupleIJNSC_6TensorESH_SH_EERKSH_lbbbEUlllE1_EE10hipError_tPvRmT2_T3_mT4_P12ihipStream_tbEUlmE_lEESB_NS0_8identityIvEEEESM_SP_SQ_mSR_ST_bEUlT_E_NS1_11comp_targetILNS1_3genE10ELNS1_11target_archE1201ELNS1_3gpuE5ELNS1_3repE0EEENS1_30default_config_static_selectorELNS0_4arch9wavefront6targetE1EEEvT1_.has_recursion, 0
	.set _ZN7rocprim17ROCPRIM_400000_NS6detail17trampoline_kernelINS0_14default_configENS1_25transform_config_selectorIlLb0EEEZNS1_14transform_implILb0ES3_S5_NS0_18transform_iteratorINS0_17counting_iteratorImlEEZNS1_24adjacent_difference_implIS3_Lb1ELb0EPlSB_ZN2at6native12_GLOBAL__N_124unique_dim_cuda_templateIlEESt5tupleIJNSC_6TensorESH_SH_EERKSH_lbbbEUlllE1_EE10hipError_tPvRmT2_T3_mT4_P12ihipStream_tbEUlmE_lEESB_NS0_8identityIvEEEESM_SP_SQ_mSR_ST_bEUlT_E_NS1_11comp_targetILNS1_3genE10ELNS1_11target_archE1201ELNS1_3gpuE5ELNS1_3repE0EEENS1_30default_config_static_selectorELNS0_4arch9wavefront6targetE1EEEvT1_.has_indirect_call, 0
	.section	.AMDGPU.csdata,"",@progbits
; Kernel info:
; codeLenInByte = 0
; TotalNumSgprs: 6
; NumVgprs: 0
; NumAgprs: 0
; TotalNumVgprs: 0
; ScratchSize: 0
; MemoryBound: 0
; FloatMode: 240
; IeeeMode: 1
; LDSByteSize: 0 bytes/workgroup (compile time only)
; SGPRBlocks: 0
; VGPRBlocks: 0
; NumSGPRsForWavesPerEU: 6
; NumVGPRsForWavesPerEU: 1
; AccumOffset: 4
; Occupancy: 8
; WaveLimiterHint : 0
; COMPUTE_PGM_RSRC2:SCRATCH_EN: 0
; COMPUTE_PGM_RSRC2:USER_SGPR: 2
; COMPUTE_PGM_RSRC2:TRAP_HANDLER: 0
; COMPUTE_PGM_RSRC2:TGID_X_EN: 1
; COMPUTE_PGM_RSRC2:TGID_Y_EN: 0
; COMPUTE_PGM_RSRC2:TGID_Z_EN: 0
; COMPUTE_PGM_RSRC2:TIDIG_COMP_CNT: 0
; COMPUTE_PGM_RSRC3_GFX90A:ACCUM_OFFSET: 0
; COMPUTE_PGM_RSRC3_GFX90A:TG_SPLIT: 0
	.section	.text._ZN7rocprim17ROCPRIM_400000_NS6detail17trampoline_kernelINS0_14default_configENS1_25transform_config_selectorIlLb0EEEZNS1_14transform_implILb0ES3_S5_NS0_18transform_iteratorINS0_17counting_iteratorImlEEZNS1_24adjacent_difference_implIS3_Lb1ELb0EPlSB_ZN2at6native12_GLOBAL__N_124unique_dim_cuda_templateIlEESt5tupleIJNSC_6TensorESH_SH_EERKSH_lbbbEUlllE1_EE10hipError_tPvRmT2_T3_mT4_P12ihipStream_tbEUlmE_lEESB_NS0_8identityIvEEEESM_SP_SQ_mSR_ST_bEUlT_E_NS1_11comp_targetILNS1_3genE10ELNS1_11target_archE1200ELNS1_3gpuE4ELNS1_3repE0EEENS1_30default_config_static_selectorELNS0_4arch9wavefront6targetE1EEEvT1_,"axG",@progbits,_ZN7rocprim17ROCPRIM_400000_NS6detail17trampoline_kernelINS0_14default_configENS1_25transform_config_selectorIlLb0EEEZNS1_14transform_implILb0ES3_S5_NS0_18transform_iteratorINS0_17counting_iteratorImlEEZNS1_24adjacent_difference_implIS3_Lb1ELb0EPlSB_ZN2at6native12_GLOBAL__N_124unique_dim_cuda_templateIlEESt5tupleIJNSC_6TensorESH_SH_EERKSH_lbbbEUlllE1_EE10hipError_tPvRmT2_T3_mT4_P12ihipStream_tbEUlmE_lEESB_NS0_8identityIvEEEESM_SP_SQ_mSR_ST_bEUlT_E_NS1_11comp_targetILNS1_3genE10ELNS1_11target_archE1200ELNS1_3gpuE4ELNS1_3repE0EEENS1_30default_config_static_selectorELNS0_4arch9wavefront6targetE1EEEvT1_,comdat
	.globl	_ZN7rocprim17ROCPRIM_400000_NS6detail17trampoline_kernelINS0_14default_configENS1_25transform_config_selectorIlLb0EEEZNS1_14transform_implILb0ES3_S5_NS0_18transform_iteratorINS0_17counting_iteratorImlEEZNS1_24adjacent_difference_implIS3_Lb1ELb0EPlSB_ZN2at6native12_GLOBAL__N_124unique_dim_cuda_templateIlEESt5tupleIJNSC_6TensorESH_SH_EERKSH_lbbbEUlllE1_EE10hipError_tPvRmT2_T3_mT4_P12ihipStream_tbEUlmE_lEESB_NS0_8identityIvEEEESM_SP_SQ_mSR_ST_bEUlT_E_NS1_11comp_targetILNS1_3genE10ELNS1_11target_archE1200ELNS1_3gpuE4ELNS1_3repE0EEENS1_30default_config_static_selectorELNS0_4arch9wavefront6targetE1EEEvT1_ ; -- Begin function _ZN7rocprim17ROCPRIM_400000_NS6detail17trampoline_kernelINS0_14default_configENS1_25transform_config_selectorIlLb0EEEZNS1_14transform_implILb0ES3_S5_NS0_18transform_iteratorINS0_17counting_iteratorImlEEZNS1_24adjacent_difference_implIS3_Lb1ELb0EPlSB_ZN2at6native12_GLOBAL__N_124unique_dim_cuda_templateIlEESt5tupleIJNSC_6TensorESH_SH_EERKSH_lbbbEUlllE1_EE10hipError_tPvRmT2_T3_mT4_P12ihipStream_tbEUlmE_lEESB_NS0_8identityIvEEEESM_SP_SQ_mSR_ST_bEUlT_E_NS1_11comp_targetILNS1_3genE10ELNS1_11target_archE1200ELNS1_3gpuE4ELNS1_3repE0EEENS1_30default_config_static_selectorELNS0_4arch9wavefront6targetE1EEEvT1_
	.p2align	8
	.type	_ZN7rocprim17ROCPRIM_400000_NS6detail17trampoline_kernelINS0_14default_configENS1_25transform_config_selectorIlLb0EEEZNS1_14transform_implILb0ES3_S5_NS0_18transform_iteratorINS0_17counting_iteratorImlEEZNS1_24adjacent_difference_implIS3_Lb1ELb0EPlSB_ZN2at6native12_GLOBAL__N_124unique_dim_cuda_templateIlEESt5tupleIJNSC_6TensorESH_SH_EERKSH_lbbbEUlllE1_EE10hipError_tPvRmT2_T3_mT4_P12ihipStream_tbEUlmE_lEESB_NS0_8identityIvEEEESM_SP_SQ_mSR_ST_bEUlT_E_NS1_11comp_targetILNS1_3genE10ELNS1_11target_archE1200ELNS1_3gpuE4ELNS1_3repE0EEENS1_30default_config_static_selectorELNS0_4arch9wavefront6targetE1EEEvT1_,@function
_ZN7rocprim17ROCPRIM_400000_NS6detail17trampoline_kernelINS0_14default_configENS1_25transform_config_selectorIlLb0EEEZNS1_14transform_implILb0ES3_S5_NS0_18transform_iteratorINS0_17counting_iteratorImlEEZNS1_24adjacent_difference_implIS3_Lb1ELb0EPlSB_ZN2at6native12_GLOBAL__N_124unique_dim_cuda_templateIlEESt5tupleIJNSC_6TensorESH_SH_EERKSH_lbbbEUlllE1_EE10hipError_tPvRmT2_T3_mT4_P12ihipStream_tbEUlmE_lEESB_NS0_8identityIvEEEESM_SP_SQ_mSR_ST_bEUlT_E_NS1_11comp_targetILNS1_3genE10ELNS1_11target_archE1200ELNS1_3gpuE4ELNS1_3repE0EEENS1_30default_config_static_selectorELNS0_4arch9wavefront6targetE1EEEvT1_: ; @_ZN7rocprim17ROCPRIM_400000_NS6detail17trampoline_kernelINS0_14default_configENS1_25transform_config_selectorIlLb0EEEZNS1_14transform_implILb0ES3_S5_NS0_18transform_iteratorINS0_17counting_iteratorImlEEZNS1_24adjacent_difference_implIS3_Lb1ELb0EPlSB_ZN2at6native12_GLOBAL__N_124unique_dim_cuda_templateIlEESt5tupleIJNSC_6TensorESH_SH_EERKSH_lbbbEUlllE1_EE10hipError_tPvRmT2_T3_mT4_P12ihipStream_tbEUlmE_lEESB_NS0_8identityIvEEEESM_SP_SQ_mSR_ST_bEUlT_E_NS1_11comp_targetILNS1_3genE10ELNS1_11target_archE1200ELNS1_3gpuE4ELNS1_3repE0EEENS1_30default_config_static_selectorELNS0_4arch9wavefront6targetE1EEEvT1_
; %bb.0:
	.section	.rodata,"a",@progbits
	.p2align	6, 0x0
	.amdhsa_kernel _ZN7rocprim17ROCPRIM_400000_NS6detail17trampoline_kernelINS0_14default_configENS1_25transform_config_selectorIlLb0EEEZNS1_14transform_implILb0ES3_S5_NS0_18transform_iteratorINS0_17counting_iteratorImlEEZNS1_24adjacent_difference_implIS3_Lb1ELb0EPlSB_ZN2at6native12_GLOBAL__N_124unique_dim_cuda_templateIlEESt5tupleIJNSC_6TensorESH_SH_EERKSH_lbbbEUlllE1_EE10hipError_tPvRmT2_T3_mT4_P12ihipStream_tbEUlmE_lEESB_NS0_8identityIvEEEESM_SP_SQ_mSR_ST_bEUlT_E_NS1_11comp_targetILNS1_3genE10ELNS1_11target_archE1200ELNS1_3gpuE4ELNS1_3repE0EEENS1_30default_config_static_selectorELNS0_4arch9wavefront6targetE1EEEvT1_
		.amdhsa_group_segment_fixed_size 0
		.amdhsa_private_segment_fixed_size 0
		.amdhsa_kernarg_size 56
		.amdhsa_user_sgpr_count 2
		.amdhsa_user_sgpr_dispatch_ptr 0
		.amdhsa_user_sgpr_queue_ptr 0
		.amdhsa_user_sgpr_kernarg_segment_ptr 1
		.amdhsa_user_sgpr_dispatch_id 0
		.amdhsa_user_sgpr_kernarg_preload_length 0
		.amdhsa_user_sgpr_kernarg_preload_offset 0
		.amdhsa_user_sgpr_private_segment_size 0
		.amdhsa_uses_dynamic_stack 0
		.amdhsa_enable_private_segment 0
		.amdhsa_system_sgpr_workgroup_id_x 1
		.amdhsa_system_sgpr_workgroup_id_y 0
		.amdhsa_system_sgpr_workgroup_id_z 0
		.amdhsa_system_sgpr_workgroup_info 0
		.amdhsa_system_vgpr_workitem_id 0
		.amdhsa_next_free_vgpr 1
		.amdhsa_next_free_sgpr 0
		.amdhsa_accum_offset 4
		.amdhsa_reserve_vcc 0
		.amdhsa_float_round_mode_32 0
		.amdhsa_float_round_mode_16_64 0
		.amdhsa_float_denorm_mode_32 3
		.amdhsa_float_denorm_mode_16_64 3
		.amdhsa_dx10_clamp 1
		.amdhsa_ieee_mode 1
		.amdhsa_fp16_overflow 0
		.amdhsa_tg_split 0
		.amdhsa_exception_fp_ieee_invalid_op 0
		.amdhsa_exception_fp_denorm_src 0
		.amdhsa_exception_fp_ieee_div_zero 0
		.amdhsa_exception_fp_ieee_overflow 0
		.amdhsa_exception_fp_ieee_underflow 0
		.amdhsa_exception_fp_ieee_inexact 0
		.amdhsa_exception_int_div_zero 0
	.end_amdhsa_kernel
	.section	.text._ZN7rocprim17ROCPRIM_400000_NS6detail17trampoline_kernelINS0_14default_configENS1_25transform_config_selectorIlLb0EEEZNS1_14transform_implILb0ES3_S5_NS0_18transform_iteratorINS0_17counting_iteratorImlEEZNS1_24adjacent_difference_implIS3_Lb1ELb0EPlSB_ZN2at6native12_GLOBAL__N_124unique_dim_cuda_templateIlEESt5tupleIJNSC_6TensorESH_SH_EERKSH_lbbbEUlllE1_EE10hipError_tPvRmT2_T3_mT4_P12ihipStream_tbEUlmE_lEESB_NS0_8identityIvEEEESM_SP_SQ_mSR_ST_bEUlT_E_NS1_11comp_targetILNS1_3genE10ELNS1_11target_archE1200ELNS1_3gpuE4ELNS1_3repE0EEENS1_30default_config_static_selectorELNS0_4arch9wavefront6targetE1EEEvT1_,"axG",@progbits,_ZN7rocprim17ROCPRIM_400000_NS6detail17trampoline_kernelINS0_14default_configENS1_25transform_config_selectorIlLb0EEEZNS1_14transform_implILb0ES3_S5_NS0_18transform_iteratorINS0_17counting_iteratorImlEEZNS1_24adjacent_difference_implIS3_Lb1ELb0EPlSB_ZN2at6native12_GLOBAL__N_124unique_dim_cuda_templateIlEESt5tupleIJNSC_6TensorESH_SH_EERKSH_lbbbEUlllE1_EE10hipError_tPvRmT2_T3_mT4_P12ihipStream_tbEUlmE_lEESB_NS0_8identityIvEEEESM_SP_SQ_mSR_ST_bEUlT_E_NS1_11comp_targetILNS1_3genE10ELNS1_11target_archE1200ELNS1_3gpuE4ELNS1_3repE0EEENS1_30default_config_static_selectorELNS0_4arch9wavefront6targetE1EEEvT1_,comdat
.Lfunc_end552:
	.size	_ZN7rocprim17ROCPRIM_400000_NS6detail17trampoline_kernelINS0_14default_configENS1_25transform_config_selectorIlLb0EEEZNS1_14transform_implILb0ES3_S5_NS0_18transform_iteratorINS0_17counting_iteratorImlEEZNS1_24adjacent_difference_implIS3_Lb1ELb0EPlSB_ZN2at6native12_GLOBAL__N_124unique_dim_cuda_templateIlEESt5tupleIJNSC_6TensorESH_SH_EERKSH_lbbbEUlllE1_EE10hipError_tPvRmT2_T3_mT4_P12ihipStream_tbEUlmE_lEESB_NS0_8identityIvEEEESM_SP_SQ_mSR_ST_bEUlT_E_NS1_11comp_targetILNS1_3genE10ELNS1_11target_archE1200ELNS1_3gpuE4ELNS1_3repE0EEENS1_30default_config_static_selectorELNS0_4arch9wavefront6targetE1EEEvT1_, .Lfunc_end552-_ZN7rocprim17ROCPRIM_400000_NS6detail17trampoline_kernelINS0_14default_configENS1_25transform_config_selectorIlLb0EEEZNS1_14transform_implILb0ES3_S5_NS0_18transform_iteratorINS0_17counting_iteratorImlEEZNS1_24adjacent_difference_implIS3_Lb1ELb0EPlSB_ZN2at6native12_GLOBAL__N_124unique_dim_cuda_templateIlEESt5tupleIJNSC_6TensorESH_SH_EERKSH_lbbbEUlllE1_EE10hipError_tPvRmT2_T3_mT4_P12ihipStream_tbEUlmE_lEESB_NS0_8identityIvEEEESM_SP_SQ_mSR_ST_bEUlT_E_NS1_11comp_targetILNS1_3genE10ELNS1_11target_archE1200ELNS1_3gpuE4ELNS1_3repE0EEENS1_30default_config_static_selectorELNS0_4arch9wavefront6targetE1EEEvT1_
                                        ; -- End function
	.set _ZN7rocprim17ROCPRIM_400000_NS6detail17trampoline_kernelINS0_14default_configENS1_25transform_config_selectorIlLb0EEEZNS1_14transform_implILb0ES3_S5_NS0_18transform_iteratorINS0_17counting_iteratorImlEEZNS1_24adjacent_difference_implIS3_Lb1ELb0EPlSB_ZN2at6native12_GLOBAL__N_124unique_dim_cuda_templateIlEESt5tupleIJNSC_6TensorESH_SH_EERKSH_lbbbEUlllE1_EE10hipError_tPvRmT2_T3_mT4_P12ihipStream_tbEUlmE_lEESB_NS0_8identityIvEEEESM_SP_SQ_mSR_ST_bEUlT_E_NS1_11comp_targetILNS1_3genE10ELNS1_11target_archE1200ELNS1_3gpuE4ELNS1_3repE0EEENS1_30default_config_static_selectorELNS0_4arch9wavefront6targetE1EEEvT1_.num_vgpr, 0
	.set _ZN7rocprim17ROCPRIM_400000_NS6detail17trampoline_kernelINS0_14default_configENS1_25transform_config_selectorIlLb0EEEZNS1_14transform_implILb0ES3_S5_NS0_18transform_iteratorINS0_17counting_iteratorImlEEZNS1_24adjacent_difference_implIS3_Lb1ELb0EPlSB_ZN2at6native12_GLOBAL__N_124unique_dim_cuda_templateIlEESt5tupleIJNSC_6TensorESH_SH_EERKSH_lbbbEUlllE1_EE10hipError_tPvRmT2_T3_mT4_P12ihipStream_tbEUlmE_lEESB_NS0_8identityIvEEEESM_SP_SQ_mSR_ST_bEUlT_E_NS1_11comp_targetILNS1_3genE10ELNS1_11target_archE1200ELNS1_3gpuE4ELNS1_3repE0EEENS1_30default_config_static_selectorELNS0_4arch9wavefront6targetE1EEEvT1_.num_agpr, 0
	.set _ZN7rocprim17ROCPRIM_400000_NS6detail17trampoline_kernelINS0_14default_configENS1_25transform_config_selectorIlLb0EEEZNS1_14transform_implILb0ES3_S5_NS0_18transform_iteratorINS0_17counting_iteratorImlEEZNS1_24adjacent_difference_implIS3_Lb1ELb0EPlSB_ZN2at6native12_GLOBAL__N_124unique_dim_cuda_templateIlEESt5tupleIJNSC_6TensorESH_SH_EERKSH_lbbbEUlllE1_EE10hipError_tPvRmT2_T3_mT4_P12ihipStream_tbEUlmE_lEESB_NS0_8identityIvEEEESM_SP_SQ_mSR_ST_bEUlT_E_NS1_11comp_targetILNS1_3genE10ELNS1_11target_archE1200ELNS1_3gpuE4ELNS1_3repE0EEENS1_30default_config_static_selectorELNS0_4arch9wavefront6targetE1EEEvT1_.numbered_sgpr, 0
	.set _ZN7rocprim17ROCPRIM_400000_NS6detail17trampoline_kernelINS0_14default_configENS1_25transform_config_selectorIlLb0EEEZNS1_14transform_implILb0ES3_S5_NS0_18transform_iteratorINS0_17counting_iteratorImlEEZNS1_24adjacent_difference_implIS3_Lb1ELb0EPlSB_ZN2at6native12_GLOBAL__N_124unique_dim_cuda_templateIlEESt5tupleIJNSC_6TensorESH_SH_EERKSH_lbbbEUlllE1_EE10hipError_tPvRmT2_T3_mT4_P12ihipStream_tbEUlmE_lEESB_NS0_8identityIvEEEESM_SP_SQ_mSR_ST_bEUlT_E_NS1_11comp_targetILNS1_3genE10ELNS1_11target_archE1200ELNS1_3gpuE4ELNS1_3repE0EEENS1_30default_config_static_selectorELNS0_4arch9wavefront6targetE1EEEvT1_.num_named_barrier, 0
	.set _ZN7rocprim17ROCPRIM_400000_NS6detail17trampoline_kernelINS0_14default_configENS1_25transform_config_selectorIlLb0EEEZNS1_14transform_implILb0ES3_S5_NS0_18transform_iteratorINS0_17counting_iteratorImlEEZNS1_24adjacent_difference_implIS3_Lb1ELb0EPlSB_ZN2at6native12_GLOBAL__N_124unique_dim_cuda_templateIlEESt5tupleIJNSC_6TensorESH_SH_EERKSH_lbbbEUlllE1_EE10hipError_tPvRmT2_T3_mT4_P12ihipStream_tbEUlmE_lEESB_NS0_8identityIvEEEESM_SP_SQ_mSR_ST_bEUlT_E_NS1_11comp_targetILNS1_3genE10ELNS1_11target_archE1200ELNS1_3gpuE4ELNS1_3repE0EEENS1_30default_config_static_selectorELNS0_4arch9wavefront6targetE1EEEvT1_.private_seg_size, 0
	.set _ZN7rocprim17ROCPRIM_400000_NS6detail17trampoline_kernelINS0_14default_configENS1_25transform_config_selectorIlLb0EEEZNS1_14transform_implILb0ES3_S5_NS0_18transform_iteratorINS0_17counting_iteratorImlEEZNS1_24adjacent_difference_implIS3_Lb1ELb0EPlSB_ZN2at6native12_GLOBAL__N_124unique_dim_cuda_templateIlEESt5tupleIJNSC_6TensorESH_SH_EERKSH_lbbbEUlllE1_EE10hipError_tPvRmT2_T3_mT4_P12ihipStream_tbEUlmE_lEESB_NS0_8identityIvEEEESM_SP_SQ_mSR_ST_bEUlT_E_NS1_11comp_targetILNS1_3genE10ELNS1_11target_archE1200ELNS1_3gpuE4ELNS1_3repE0EEENS1_30default_config_static_selectorELNS0_4arch9wavefront6targetE1EEEvT1_.uses_vcc, 0
	.set _ZN7rocprim17ROCPRIM_400000_NS6detail17trampoline_kernelINS0_14default_configENS1_25transform_config_selectorIlLb0EEEZNS1_14transform_implILb0ES3_S5_NS0_18transform_iteratorINS0_17counting_iteratorImlEEZNS1_24adjacent_difference_implIS3_Lb1ELb0EPlSB_ZN2at6native12_GLOBAL__N_124unique_dim_cuda_templateIlEESt5tupleIJNSC_6TensorESH_SH_EERKSH_lbbbEUlllE1_EE10hipError_tPvRmT2_T3_mT4_P12ihipStream_tbEUlmE_lEESB_NS0_8identityIvEEEESM_SP_SQ_mSR_ST_bEUlT_E_NS1_11comp_targetILNS1_3genE10ELNS1_11target_archE1200ELNS1_3gpuE4ELNS1_3repE0EEENS1_30default_config_static_selectorELNS0_4arch9wavefront6targetE1EEEvT1_.uses_flat_scratch, 0
	.set _ZN7rocprim17ROCPRIM_400000_NS6detail17trampoline_kernelINS0_14default_configENS1_25transform_config_selectorIlLb0EEEZNS1_14transform_implILb0ES3_S5_NS0_18transform_iteratorINS0_17counting_iteratorImlEEZNS1_24adjacent_difference_implIS3_Lb1ELb0EPlSB_ZN2at6native12_GLOBAL__N_124unique_dim_cuda_templateIlEESt5tupleIJNSC_6TensorESH_SH_EERKSH_lbbbEUlllE1_EE10hipError_tPvRmT2_T3_mT4_P12ihipStream_tbEUlmE_lEESB_NS0_8identityIvEEEESM_SP_SQ_mSR_ST_bEUlT_E_NS1_11comp_targetILNS1_3genE10ELNS1_11target_archE1200ELNS1_3gpuE4ELNS1_3repE0EEENS1_30default_config_static_selectorELNS0_4arch9wavefront6targetE1EEEvT1_.has_dyn_sized_stack, 0
	.set _ZN7rocprim17ROCPRIM_400000_NS6detail17trampoline_kernelINS0_14default_configENS1_25transform_config_selectorIlLb0EEEZNS1_14transform_implILb0ES3_S5_NS0_18transform_iteratorINS0_17counting_iteratorImlEEZNS1_24adjacent_difference_implIS3_Lb1ELb0EPlSB_ZN2at6native12_GLOBAL__N_124unique_dim_cuda_templateIlEESt5tupleIJNSC_6TensorESH_SH_EERKSH_lbbbEUlllE1_EE10hipError_tPvRmT2_T3_mT4_P12ihipStream_tbEUlmE_lEESB_NS0_8identityIvEEEESM_SP_SQ_mSR_ST_bEUlT_E_NS1_11comp_targetILNS1_3genE10ELNS1_11target_archE1200ELNS1_3gpuE4ELNS1_3repE0EEENS1_30default_config_static_selectorELNS0_4arch9wavefront6targetE1EEEvT1_.has_recursion, 0
	.set _ZN7rocprim17ROCPRIM_400000_NS6detail17trampoline_kernelINS0_14default_configENS1_25transform_config_selectorIlLb0EEEZNS1_14transform_implILb0ES3_S5_NS0_18transform_iteratorINS0_17counting_iteratorImlEEZNS1_24adjacent_difference_implIS3_Lb1ELb0EPlSB_ZN2at6native12_GLOBAL__N_124unique_dim_cuda_templateIlEESt5tupleIJNSC_6TensorESH_SH_EERKSH_lbbbEUlllE1_EE10hipError_tPvRmT2_T3_mT4_P12ihipStream_tbEUlmE_lEESB_NS0_8identityIvEEEESM_SP_SQ_mSR_ST_bEUlT_E_NS1_11comp_targetILNS1_3genE10ELNS1_11target_archE1200ELNS1_3gpuE4ELNS1_3repE0EEENS1_30default_config_static_selectorELNS0_4arch9wavefront6targetE1EEEvT1_.has_indirect_call, 0
	.section	.AMDGPU.csdata,"",@progbits
; Kernel info:
; codeLenInByte = 0
; TotalNumSgprs: 6
; NumVgprs: 0
; NumAgprs: 0
; TotalNumVgprs: 0
; ScratchSize: 0
; MemoryBound: 0
; FloatMode: 240
; IeeeMode: 1
; LDSByteSize: 0 bytes/workgroup (compile time only)
; SGPRBlocks: 0
; VGPRBlocks: 0
; NumSGPRsForWavesPerEU: 6
; NumVGPRsForWavesPerEU: 1
; AccumOffset: 4
; Occupancy: 8
; WaveLimiterHint : 0
; COMPUTE_PGM_RSRC2:SCRATCH_EN: 0
; COMPUTE_PGM_RSRC2:USER_SGPR: 2
; COMPUTE_PGM_RSRC2:TRAP_HANDLER: 0
; COMPUTE_PGM_RSRC2:TGID_X_EN: 1
; COMPUTE_PGM_RSRC2:TGID_Y_EN: 0
; COMPUTE_PGM_RSRC2:TGID_Z_EN: 0
; COMPUTE_PGM_RSRC2:TIDIG_COMP_CNT: 0
; COMPUTE_PGM_RSRC3_GFX90A:ACCUM_OFFSET: 0
; COMPUTE_PGM_RSRC3_GFX90A:TG_SPLIT: 0
	.section	.text._ZN7rocprim17ROCPRIM_400000_NS6detail17trampoline_kernelINS0_14default_configENS1_25transform_config_selectorIlLb0EEEZNS1_14transform_implILb0ES3_S5_NS0_18transform_iteratorINS0_17counting_iteratorImlEEZNS1_24adjacent_difference_implIS3_Lb1ELb0EPlSB_ZN2at6native12_GLOBAL__N_124unique_dim_cuda_templateIlEESt5tupleIJNSC_6TensorESH_SH_EERKSH_lbbbEUlllE1_EE10hipError_tPvRmT2_T3_mT4_P12ihipStream_tbEUlmE_lEESB_NS0_8identityIvEEEESM_SP_SQ_mSR_ST_bEUlT_E_NS1_11comp_targetILNS1_3genE9ELNS1_11target_archE1100ELNS1_3gpuE3ELNS1_3repE0EEENS1_30default_config_static_selectorELNS0_4arch9wavefront6targetE1EEEvT1_,"axG",@progbits,_ZN7rocprim17ROCPRIM_400000_NS6detail17trampoline_kernelINS0_14default_configENS1_25transform_config_selectorIlLb0EEEZNS1_14transform_implILb0ES3_S5_NS0_18transform_iteratorINS0_17counting_iteratorImlEEZNS1_24adjacent_difference_implIS3_Lb1ELb0EPlSB_ZN2at6native12_GLOBAL__N_124unique_dim_cuda_templateIlEESt5tupleIJNSC_6TensorESH_SH_EERKSH_lbbbEUlllE1_EE10hipError_tPvRmT2_T3_mT4_P12ihipStream_tbEUlmE_lEESB_NS0_8identityIvEEEESM_SP_SQ_mSR_ST_bEUlT_E_NS1_11comp_targetILNS1_3genE9ELNS1_11target_archE1100ELNS1_3gpuE3ELNS1_3repE0EEENS1_30default_config_static_selectorELNS0_4arch9wavefront6targetE1EEEvT1_,comdat
	.globl	_ZN7rocprim17ROCPRIM_400000_NS6detail17trampoline_kernelINS0_14default_configENS1_25transform_config_selectorIlLb0EEEZNS1_14transform_implILb0ES3_S5_NS0_18transform_iteratorINS0_17counting_iteratorImlEEZNS1_24adjacent_difference_implIS3_Lb1ELb0EPlSB_ZN2at6native12_GLOBAL__N_124unique_dim_cuda_templateIlEESt5tupleIJNSC_6TensorESH_SH_EERKSH_lbbbEUlllE1_EE10hipError_tPvRmT2_T3_mT4_P12ihipStream_tbEUlmE_lEESB_NS0_8identityIvEEEESM_SP_SQ_mSR_ST_bEUlT_E_NS1_11comp_targetILNS1_3genE9ELNS1_11target_archE1100ELNS1_3gpuE3ELNS1_3repE0EEENS1_30default_config_static_selectorELNS0_4arch9wavefront6targetE1EEEvT1_ ; -- Begin function _ZN7rocprim17ROCPRIM_400000_NS6detail17trampoline_kernelINS0_14default_configENS1_25transform_config_selectorIlLb0EEEZNS1_14transform_implILb0ES3_S5_NS0_18transform_iteratorINS0_17counting_iteratorImlEEZNS1_24adjacent_difference_implIS3_Lb1ELb0EPlSB_ZN2at6native12_GLOBAL__N_124unique_dim_cuda_templateIlEESt5tupleIJNSC_6TensorESH_SH_EERKSH_lbbbEUlllE1_EE10hipError_tPvRmT2_T3_mT4_P12ihipStream_tbEUlmE_lEESB_NS0_8identityIvEEEESM_SP_SQ_mSR_ST_bEUlT_E_NS1_11comp_targetILNS1_3genE9ELNS1_11target_archE1100ELNS1_3gpuE3ELNS1_3repE0EEENS1_30default_config_static_selectorELNS0_4arch9wavefront6targetE1EEEvT1_
	.p2align	8
	.type	_ZN7rocprim17ROCPRIM_400000_NS6detail17trampoline_kernelINS0_14default_configENS1_25transform_config_selectorIlLb0EEEZNS1_14transform_implILb0ES3_S5_NS0_18transform_iteratorINS0_17counting_iteratorImlEEZNS1_24adjacent_difference_implIS3_Lb1ELb0EPlSB_ZN2at6native12_GLOBAL__N_124unique_dim_cuda_templateIlEESt5tupleIJNSC_6TensorESH_SH_EERKSH_lbbbEUlllE1_EE10hipError_tPvRmT2_T3_mT4_P12ihipStream_tbEUlmE_lEESB_NS0_8identityIvEEEESM_SP_SQ_mSR_ST_bEUlT_E_NS1_11comp_targetILNS1_3genE9ELNS1_11target_archE1100ELNS1_3gpuE3ELNS1_3repE0EEENS1_30default_config_static_selectorELNS0_4arch9wavefront6targetE1EEEvT1_,@function
_ZN7rocprim17ROCPRIM_400000_NS6detail17trampoline_kernelINS0_14default_configENS1_25transform_config_selectorIlLb0EEEZNS1_14transform_implILb0ES3_S5_NS0_18transform_iteratorINS0_17counting_iteratorImlEEZNS1_24adjacent_difference_implIS3_Lb1ELb0EPlSB_ZN2at6native12_GLOBAL__N_124unique_dim_cuda_templateIlEESt5tupleIJNSC_6TensorESH_SH_EERKSH_lbbbEUlllE1_EE10hipError_tPvRmT2_T3_mT4_P12ihipStream_tbEUlmE_lEESB_NS0_8identityIvEEEESM_SP_SQ_mSR_ST_bEUlT_E_NS1_11comp_targetILNS1_3genE9ELNS1_11target_archE1100ELNS1_3gpuE3ELNS1_3repE0EEENS1_30default_config_static_selectorELNS0_4arch9wavefront6targetE1EEEvT1_: ; @_ZN7rocprim17ROCPRIM_400000_NS6detail17trampoline_kernelINS0_14default_configENS1_25transform_config_selectorIlLb0EEEZNS1_14transform_implILb0ES3_S5_NS0_18transform_iteratorINS0_17counting_iteratorImlEEZNS1_24adjacent_difference_implIS3_Lb1ELb0EPlSB_ZN2at6native12_GLOBAL__N_124unique_dim_cuda_templateIlEESt5tupleIJNSC_6TensorESH_SH_EERKSH_lbbbEUlllE1_EE10hipError_tPvRmT2_T3_mT4_P12ihipStream_tbEUlmE_lEESB_NS0_8identityIvEEEESM_SP_SQ_mSR_ST_bEUlT_E_NS1_11comp_targetILNS1_3genE9ELNS1_11target_archE1100ELNS1_3gpuE3ELNS1_3repE0EEENS1_30default_config_static_selectorELNS0_4arch9wavefront6targetE1EEEvT1_
; %bb.0:
	.section	.rodata,"a",@progbits
	.p2align	6, 0x0
	.amdhsa_kernel _ZN7rocprim17ROCPRIM_400000_NS6detail17trampoline_kernelINS0_14default_configENS1_25transform_config_selectorIlLb0EEEZNS1_14transform_implILb0ES3_S5_NS0_18transform_iteratorINS0_17counting_iteratorImlEEZNS1_24adjacent_difference_implIS3_Lb1ELb0EPlSB_ZN2at6native12_GLOBAL__N_124unique_dim_cuda_templateIlEESt5tupleIJNSC_6TensorESH_SH_EERKSH_lbbbEUlllE1_EE10hipError_tPvRmT2_T3_mT4_P12ihipStream_tbEUlmE_lEESB_NS0_8identityIvEEEESM_SP_SQ_mSR_ST_bEUlT_E_NS1_11comp_targetILNS1_3genE9ELNS1_11target_archE1100ELNS1_3gpuE3ELNS1_3repE0EEENS1_30default_config_static_selectorELNS0_4arch9wavefront6targetE1EEEvT1_
		.amdhsa_group_segment_fixed_size 0
		.amdhsa_private_segment_fixed_size 0
		.amdhsa_kernarg_size 56
		.amdhsa_user_sgpr_count 2
		.amdhsa_user_sgpr_dispatch_ptr 0
		.amdhsa_user_sgpr_queue_ptr 0
		.amdhsa_user_sgpr_kernarg_segment_ptr 1
		.amdhsa_user_sgpr_dispatch_id 0
		.amdhsa_user_sgpr_kernarg_preload_length 0
		.amdhsa_user_sgpr_kernarg_preload_offset 0
		.amdhsa_user_sgpr_private_segment_size 0
		.amdhsa_uses_dynamic_stack 0
		.amdhsa_enable_private_segment 0
		.amdhsa_system_sgpr_workgroup_id_x 1
		.amdhsa_system_sgpr_workgroup_id_y 0
		.amdhsa_system_sgpr_workgroup_id_z 0
		.amdhsa_system_sgpr_workgroup_info 0
		.amdhsa_system_vgpr_workitem_id 0
		.amdhsa_next_free_vgpr 1
		.amdhsa_next_free_sgpr 0
		.amdhsa_accum_offset 4
		.amdhsa_reserve_vcc 0
		.amdhsa_float_round_mode_32 0
		.amdhsa_float_round_mode_16_64 0
		.amdhsa_float_denorm_mode_32 3
		.amdhsa_float_denorm_mode_16_64 3
		.amdhsa_dx10_clamp 1
		.amdhsa_ieee_mode 1
		.amdhsa_fp16_overflow 0
		.amdhsa_tg_split 0
		.amdhsa_exception_fp_ieee_invalid_op 0
		.amdhsa_exception_fp_denorm_src 0
		.amdhsa_exception_fp_ieee_div_zero 0
		.amdhsa_exception_fp_ieee_overflow 0
		.amdhsa_exception_fp_ieee_underflow 0
		.amdhsa_exception_fp_ieee_inexact 0
		.amdhsa_exception_int_div_zero 0
	.end_amdhsa_kernel
	.section	.text._ZN7rocprim17ROCPRIM_400000_NS6detail17trampoline_kernelINS0_14default_configENS1_25transform_config_selectorIlLb0EEEZNS1_14transform_implILb0ES3_S5_NS0_18transform_iteratorINS0_17counting_iteratorImlEEZNS1_24adjacent_difference_implIS3_Lb1ELb0EPlSB_ZN2at6native12_GLOBAL__N_124unique_dim_cuda_templateIlEESt5tupleIJNSC_6TensorESH_SH_EERKSH_lbbbEUlllE1_EE10hipError_tPvRmT2_T3_mT4_P12ihipStream_tbEUlmE_lEESB_NS0_8identityIvEEEESM_SP_SQ_mSR_ST_bEUlT_E_NS1_11comp_targetILNS1_3genE9ELNS1_11target_archE1100ELNS1_3gpuE3ELNS1_3repE0EEENS1_30default_config_static_selectorELNS0_4arch9wavefront6targetE1EEEvT1_,"axG",@progbits,_ZN7rocprim17ROCPRIM_400000_NS6detail17trampoline_kernelINS0_14default_configENS1_25transform_config_selectorIlLb0EEEZNS1_14transform_implILb0ES3_S5_NS0_18transform_iteratorINS0_17counting_iteratorImlEEZNS1_24adjacent_difference_implIS3_Lb1ELb0EPlSB_ZN2at6native12_GLOBAL__N_124unique_dim_cuda_templateIlEESt5tupleIJNSC_6TensorESH_SH_EERKSH_lbbbEUlllE1_EE10hipError_tPvRmT2_T3_mT4_P12ihipStream_tbEUlmE_lEESB_NS0_8identityIvEEEESM_SP_SQ_mSR_ST_bEUlT_E_NS1_11comp_targetILNS1_3genE9ELNS1_11target_archE1100ELNS1_3gpuE3ELNS1_3repE0EEENS1_30default_config_static_selectorELNS0_4arch9wavefront6targetE1EEEvT1_,comdat
.Lfunc_end553:
	.size	_ZN7rocprim17ROCPRIM_400000_NS6detail17trampoline_kernelINS0_14default_configENS1_25transform_config_selectorIlLb0EEEZNS1_14transform_implILb0ES3_S5_NS0_18transform_iteratorINS0_17counting_iteratorImlEEZNS1_24adjacent_difference_implIS3_Lb1ELb0EPlSB_ZN2at6native12_GLOBAL__N_124unique_dim_cuda_templateIlEESt5tupleIJNSC_6TensorESH_SH_EERKSH_lbbbEUlllE1_EE10hipError_tPvRmT2_T3_mT4_P12ihipStream_tbEUlmE_lEESB_NS0_8identityIvEEEESM_SP_SQ_mSR_ST_bEUlT_E_NS1_11comp_targetILNS1_3genE9ELNS1_11target_archE1100ELNS1_3gpuE3ELNS1_3repE0EEENS1_30default_config_static_selectorELNS0_4arch9wavefront6targetE1EEEvT1_, .Lfunc_end553-_ZN7rocprim17ROCPRIM_400000_NS6detail17trampoline_kernelINS0_14default_configENS1_25transform_config_selectorIlLb0EEEZNS1_14transform_implILb0ES3_S5_NS0_18transform_iteratorINS0_17counting_iteratorImlEEZNS1_24adjacent_difference_implIS3_Lb1ELb0EPlSB_ZN2at6native12_GLOBAL__N_124unique_dim_cuda_templateIlEESt5tupleIJNSC_6TensorESH_SH_EERKSH_lbbbEUlllE1_EE10hipError_tPvRmT2_T3_mT4_P12ihipStream_tbEUlmE_lEESB_NS0_8identityIvEEEESM_SP_SQ_mSR_ST_bEUlT_E_NS1_11comp_targetILNS1_3genE9ELNS1_11target_archE1100ELNS1_3gpuE3ELNS1_3repE0EEENS1_30default_config_static_selectorELNS0_4arch9wavefront6targetE1EEEvT1_
                                        ; -- End function
	.set _ZN7rocprim17ROCPRIM_400000_NS6detail17trampoline_kernelINS0_14default_configENS1_25transform_config_selectorIlLb0EEEZNS1_14transform_implILb0ES3_S5_NS0_18transform_iteratorINS0_17counting_iteratorImlEEZNS1_24adjacent_difference_implIS3_Lb1ELb0EPlSB_ZN2at6native12_GLOBAL__N_124unique_dim_cuda_templateIlEESt5tupleIJNSC_6TensorESH_SH_EERKSH_lbbbEUlllE1_EE10hipError_tPvRmT2_T3_mT4_P12ihipStream_tbEUlmE_lEESB_NS0_8identityIvEEEESM_SP_SQ_mSR_ST_bEUlT_E_NS1_11comp_targetILNS1_3genE9ELNS1_11target_archE1100ELNS1_3gpuE3ELNS1_3repE0EEENS1_30default_config_static_selectorELNS0_4arch9wavefront6targetE1EEEvT1_.num_vgpr, 0
	.set _ZN7rocprim17ROCPRIM_400000_NS6detail17trampoline_kernelINS0_14default_configENS1_25transform_config_selectorIlLb0EEEZNS1_14transform_implILb0ES3_S5_NS0_18transform_iteratorINS0_17counting_iteratorImlEEZNS1_24adjacent_difference_implIS3_Lb1ELb0EPlSB_ZN2at6native12_GLOBAL__N_124unique_dim_cuda_templateIlEESt5tupleIJNSC_6TensorESH_SH_EERKSH_lbbbEUlllE1_EE10hipError_tPvRmT2_T3_mT4_P12ihipStream_tbEUlmE_lEESB_NS0_8identityIvEEEESM_SP_SQ_mSR_ST_bEUlT_E_NS1_11comp_targetILNS1_3genE9ELNS1_11target_archE1100ELNS1_3gpuE3ELNS1_3repE0EEENS1_30default_config_static_selectorELNS0_4arch9wavefront6targetE1EEEvT1_.num_agpr, 0
	.set _ZN7rocprim17ROCPRIM_400000_NS6detail17trampoline_kernelINS0_14default_configENS1_25transform_config_selectorIlLb0EEEZNS1_14transform_implILb0ES3_S5_NS0_18transform_iteratorINS0_17counting_iteratorImlEEZNS1_24adjacent_difference_implIS3_Lb1ELb0EPlSB_ZN2at6native12_GLOBAL__N_124unique_dim_cuda_templateIlEESt5tupleIJNSC_6TensorESH_SH_EERKSH_lbbbEUlllE1_EE10hipError_tPvRmT2_T3_mT4_P12ihipStream_tbEUlmE_lEESB_NS0_8identityIvEEEESM_SP_SQ_mSR_ST_bEUlT_E_NS1_11comp_targetILNS1_3genE9ELNS1_11target_archE1100ELNS1_3gpuE3ELNS1_3repE0EEENS1_30default_config_static_selectorELNS0_4arch9wavefront6targetE1EEEvT1_.numbered_sgpr, 0
	.set _ZN7rocprim17ROCPRIM_400000_NS6detail17trampoline_kernelINS0_14default_configENS1_25transform_config_selectorIlLb0EEEZNS1_14transform_implILb0ES3_S5_NS0_18transform_iteratorINS0_17counting_iteratorImlEEZNS1_24adjacent_difference_implIS3_Lb1ELb0EPlSB_ZN2at6native12_GLOBAL__N_124unique_dim_cuda_templateIlEESt5tupleIJNSC_6TensorESH_SH_EERKSH_lbbbEUlllE1_EE10hipError_tPvRmT2_T3_mT4_P12ihipStream_tbEUlmE_lEESB_NS0_8identityIvEEEESM_SP_SQ_mSR_ST_bEUlT_E_NS1_11comp_targetILNS1_3genE9ELNS1_11target_archE1100ELNS1_3gpuE3ELNS1_3repE0EEENS1_30default_config_static_selectorELNS0_4arch9wavefront6targetE1EEEvT1_.num_named_barrier, 0
	.set _ZN7rocprim17ROCPRIM_400000_NS6detail17trampoline_kernelINS0_14default_configENS1_25transform_config_selectorIlLb0EEEZNS1_14transform_implILb0ES3_S5_NS0_18transform_iteratorINS0_17counting_iteratorImlEEZNS1_24adjacent_difference_implIS3_Lb1ELb0EPlSB_ZN2at6native12_GLOBAL__N_124unique_dim_cuda_templateIlEESt5tupleIJNSC_6TensorESH_SH_EERKSH_lbbbEUlllE1_EE10hipError_tPvRmT2_T3_mT4_P12ihipStream_tbEUlmE_lEESB_NS0_8identityIvEEEESM_SP_SQ_mSR_ST_bEUlT_E_NS1_11comp_targetILNS1_3genE9ELNS1_11target_archE1100ELNS1_3gpuE3ELNS1_3repE0EEENS1_30default_config_static_selectorELNS0_4arch9wavefront6targetE1EEEvT1_.private_seg_size, 0
	.set _ZN7rocprim17ROCPRIM_400000_NS6detail17trampoline_kernelINS0_14default_configENS1_25transform_config_selectorIlLb0EEEZNS1_14transform_implILb0ES3_S5_NS0_18transform_iteratorINS0_17counting_iteratorImlEEZNS1_24adjacent_difference_implIS3_Lb1ELb0EPlSB_ZN2at6native12_GLOBAL__N_124unique_dim_cuda_templateIlEESt5tupleIJNSC_6TensorESH_SH_EERKSH_lbbbEUlllE1_EE10hipError_tPvRmT2_T3_mT4_P12ihipStream_tbEUlmE_lEESB_NS0_8identityIvEEEESM_SP_SQ_mSR_ST_bEUlT_E_NS1_11comp_targetILNS1_3genE9ELNS1_11target_archE1100ELNS1_3gpuE3ELNS1_3repE0EEENS1_30default_config_static_selectorELNS0_4arch9wavefront6targetE1EEEvT1_.uses_vcc, 0
	.set _ZN7rocprim17ROCPRIM_400000_NS6detail17trampoline_kernelINS0_14default_configENS1_25transform_config_selectorIlLb0EEEZNS1_14transform_implILb0ES3_S5_NS0_18transform_iteratorINS0_17counting_iteratorImlEEZNS1_24adjacent_difference_implIS3_Lb1ELb0EPlSB_ZN2at6native12_GLOBAL__N_124unique_dim_cuda_templateIlEESt5tupleIJNSC_6TensorESH_SH_EERKSH_lbbbEUlllE1_EE10hipError_tPvRmT2_T3_mT4_P12ihipStream_tbEUlmE_lEESB_NS0_8identityIvEEEESM_SP_SQ_mSR_ST_bEUlT_E_NS1_11comp_targetILNS1_3genE9ELNS1_11target_archE1100ELNS1_3gpuE3ELNS1_3repE0EEENS1_30default_config_static_selectorELNS0_4arch9wavefront6targetE1EEEvT1_.uses_flat_scratch, 0
	.set _ZN7rocprim17ROCPRIM_400000_NS6detail17trampoline_kernelINS0_14default_configENS1_25transform_config_selectorIlLb0EEEZNS1_14transform_implILb0ES3_S5_NS0_18transform_iteratorINS0_17counting_iteratorImlEEZNS1_24adjacent_difference_implIS3_Lb1ELb0EPlSB_ZN2at6native12_GLOBAL__N_124unique_dim_cuda_templateIlEESt5tupleIJNSC_6TensorESH_SH_EERKSH_lbbbEUlllE1_EE10hipError_tPvRmT2_T3_mT4_P12ihipStream_tbEUlmE_lEESB_NS0_8identityIvEEEESM_SP_SQ_mSR_ST_bEUlT_E_NS1_11comp_targetILNS1_3genE9ELNS1_11target_archE1100ELNS1_3gpuE3ELNS1_3repE0EEENS1_30default_config_static_selectorELNS0_4arch9wavefront6targetE1EEEvT1_.has_dyn_sized_stack, 0
	.set _ZN7rocprim17ROCPRIM_400000_NS6detail17trampoline_kernelINS0_14default_configENS1_25transform_config_selectorIlLb0EEEZNS1_14transform_implILb0ES3_S5_NS0_18transform_iteratorINS0_17counting_iteratorImlEEZNS1_24adjacent_difference_implIS3_Lb1ELb0EPlSB_ZN2at6native12_GLOBAL__N_124unique_dim_cuda_templateIlEESt5tupleIJNSC_6TensorESH_SH_EERKSH_lbbbEUlllE1_EE10hipError_tPvRmT2_T3_mT4_P12ihipStream_tbEUlmE_lEESB_NS0_8identityIvEEEESM_SP_SQ_mSR_ST_bEUlT_E_NS1_11comp_targetILNS1_3genE9ELNS1_11target_archE1100ELNS1_3gpuE3ELNS1_3repE0EEENS1_30default_config_static_selectorELNS0_4arch9wavefront6targetE1EEEvT1_.has_recursion, 0
	.set _ZN7rocprim17ROCPRIM_400000_NS6detail17trampoline_kernelINS0_14default_configENS1_25transform_config_selectorIlLb0EEEZNS1_14transform_implILb0ES3_S5_NS0_18transform_iteratorINS0_17counting_iteratorImlEEZNS1_24adjacent_difference_implIS3_Lb1ELb0EPlSB_ZN2at6native12_GLOBAL__N_124unique_dim_cuda_templateIlEESt5tupleIJNSC_6TensorESH_SH_EERKSH_lbbbEUlllE1_EE10hipError_tPvRmT2_T3_mT4_P12ihipStream_tbEUlmE_lEESB_NS0_8identityIvEEEESM_SP_SQ_mSR_ST_bEUlT_E_NS1_11comp_targetILNS1_3genE9ELNS1_11target_archE1100ELNS1_3gpuE3ELNS1_3repE0EEENS1_30default_config_static_selectorELNS0_4arch9wavefront6targetE1EEEvT1_.has_indirect_call, 0
	.section	.AMDGPU.csdata,"",@progbits
; Kernel info:
; codeLenInByte = 0
; TotalNumSgprs: 6
; NumVgprs: 0
; NumAgprs: 0
; TotalNumVgprs: 0
; ScratchSize: 0
; MemoryBound: 0
; FloatMode: 240
; IeeeMode: 1
; LDSByteSize: 0 bytes/workgroup (compile time only)
; SGPRBlocks: 0
; VGPRBlocks: 0
; NumSGPRsForWavesPerEU: 6
; NumVGPRsForWavesPerEU: 1
; AccumOffset: 4
; Occupancy: 8
; WaveLimiterHint : 0
; COMPUTE_PGM_RSRC2:SCRATCH_EN: 0
; COMPUTE_PGM_RSRC2:USER_SGPR: 2
; COMPUTE_PGM_RSRC2:TRAP_HANDLER: 0
; COMPUTE_PGM_RSRC2:TGID_X_EN: 1
; COMPUTE_PGM_RSRC2:TGID_Y_EN: 0
; COMPUTE_PGM_RSRC2:TGID_Z_EN: 0
; COMPUTE_PGM_RSRC2:TIDIG_COMP_CNT: 0
; COMPUTE_PGM_RSRC3_GFX90A:ACCUM_OFFSET: 0
; COMPUTE_PGM_RSRC3_GFX90A:TG_SPLIT: 0
	.section	.text._ZN7rocprim17ROCPRIM_400000_NS6detail17trampoline_kernelINS0_14default_configENS1_25transform_config_selectorIlLb0EEEZNS1_14transform_implILb0ES3_S5_NS0_18transform_iteratorINS0_17counting_iteratorImlEEZNS1_24adjacent_difference_implIS3_Lb1ELb0EPlSB_ZN2at6native12_GLOBAL__N_124unique_dim_cuda_templateIlEESt5tupleIJNSC_6TensorESH_SH_EERKSH_lbbbEUlllE1_EE10hipError_tPvRmT2_T3_mT4_P12ihipStream_tbEUlmE_lEESB_NS0_8identityIvEEEESM_SP_SQ_mSR_ST_bEUlT_E_NS1_11comp_targetILNS1_3genE8ELNS1_11target_archE1030ELNS1_3gpuE2ELNS1_3repE0EEENS1_30default_config_static_selectorELNS0_4arch9wavefront6targetE1EEEvT1_,"axG",@progbits,_ZN7rocprim17ROCPRIM_400000_NS6detail17trampoline_kernelINS0_14default_configENS1_25transform_config_selectorIlLb0EEEZNS1_14transform_implILb0ES3_S5_NS0_18transform_iteratorINS0_17counting_iteratorImlEEZNS1_24adjacent_difference_implIS3_Lb1ELb0EPlSB_ZN2at6native12_GLOBAL__N_124unique_dim_cuda_templateIlEESt5tupleIJNSC_6TensorESH_SH_EERKSH_lbbbEUlllE1_EE10hipError_tPvRmT2_T3_mT4_P12ihipStream_tbEUlmE_lEESB_NS0_8identityIvEEEESM_SP_SQ_mSR_ST_bEUlT_E_NS1_11comp_targetILNS1_3genE8ELNS1_11target_archE1030ELNS1_3gpuE2ELNS1_3repE0EEENS1_30default_config_static_selectorELNS0_4arch9wavefront6targetE1EEEvT1_,comdat
	.globl	_ZN7rocprim17ROCPRIM_400000_NS6detail17trampoline_kernelINS0_14default_configENS1_25transform_config_selectorIlLb0EEEZNS1_14transform_implILb0ES3_S5_NS0_18transform_iteratorINS0_17counting_iteratorImlEEZNS1_24adjacent_difference_implIS3_Lb1ELb0EPlSB_ZN2at6native12_GLOBAL__N_124unique_dim_cuda_templateIlEESt5tupleIJNSC_6TensorESH_SH_EERKSH_lbbbEUlllE1_EE10hipError_tPvRmT2_T3_mT4_P12ihipStream_tbEUlmE_lEESB_NS0_8identityIvEEEESM_SP_SQ_mSR_ST_bEUlT_E_NS1_11comp_targetILNS1_3genE8ELNS1_11target_archE1030ELNS1_3gpuE2ELNS1_3repE0EEENS1_30default_config_static_selectorELNS0_4arch9wavefront6targetE1EEEvT1_ ; -- Begin function _ZN7rocprim17ROCPRIM_400000_NS6detail17trampoline_kernelINS0_14default_configENS1_25transform_config_selectorIlLb0EEEZNS1_14transform_implILb0ES3_S5_NS0_18transform_iteratorINS0_17counting_iteratorImlEEZNS1_24adjacent_difference_implIS3_Lb1ELb0EPlSB_ZN2at6native12_GLOBAL__N_124unique_dim_cuda_templateIlEESt5tupleIJNSC_6TensorESH_SH_EERKSH_lbbbEUlllE1_EE10hipError_tPvRmT2_T3_mT4_P12ihipStream_tbEUlmE_lEESB_NS0_8identityIvEEEESM_SP_SQ_mSR_ST_bEUlT_E_NS1_11comp_targetILNS1_3genE8ELNS1_11target_archE1030ELNS1_3gpuE2ELNS1_3repE0EEENS1_30default_config_static_selectorELNS0_4arch9wavefront6targetE1EEEvT1_
	.p2align	8
	.type	_ZN7rocprim17ROCPRIM_400000_NS6detail17trampoline_kernelINS0_14default_configENS1_25transform_config_selectorIlLb0EEEZNS1_14transform_implILb0ES3_S5_NS0_18transform_iteratorINS0_17counting_iteratorImlEEZNS1_24adjacent_difference_implIS3_Lb1ELb0EPlSB_ZN2at6native12_GLOBAL__N_124unique_dim_cuda_templateIlEESt5tupleIJNSC_6TensorESH_SH_EERKSH_lbbbEUlllE1_EE10hipError_tPvRmT2_T3_mT4_P12ihipStream_tbEUlmE_lEESB_NS0_8identityIvEEEESM_SP_SQ_mSR_ST_bEUlT_E_NS1_11comp_targetILNS1_3genE8ELNS1_11target_archE1030ELNS1_3gpuE2ELNS1_3repE0EEENS1_30default_config_static_selectorELNS0_4arch9wavefront6targetE1EEEvT1_,@function
_ZN7rocprim17ROCPRIM_400000_NS6detail17trampoline_kernelINS0_14default_configENS1_25transform_config_selectorIlLb0EEEZNS1_14transform_implILb0ES3_S5_NS0_18transform_iteratorINS0_17counting_iteratorImlEEZNS1_24adjacent_difference_implIS3_Lb1ELb0EPlSB_ZN2at6native12_GLOBAL__N_124unique_dim_cuda_templateIlEESt5tupleIJNSC_6TensorESH_SH_EERKSH_lbbbEUlllE1_EE10hipError_tPvRmT2_T3_mT4_P12ihipStream_tbEUlmE_lEESB_NS0_8identityIvEEEESM_SP_SQ_mSR_ST_bEUlT_E_NS1_11comp_targetILNS1_3genE8ELNS1_11target_archE1030ELNS1_3gpuE2ELNS1_3repE0EEENS1_30default_config_static_selectorELNS0_4arch9wavefront6targetE1EEEvT1_: ; @_ZN7rocprim17ROCPRIM_400000_NS6detail17trampoline_kernelINS0_14default_configENS1_25transform_config_selectorIlLb0EEEZNS1_14transform_implILb0ES3_S5_NS0_18transform_iteratorINS0_17counting_iteratorImlEEZNS1_24adjacent_difference_implIS3_Lb1ELb0EPlSB_ZN2at6native12_GLOBAL__N_124unique_dim_cuda_templateIlEESt5tupleIJNSC_6TensorESH_SH_EERKSH_lbbbEUlllE1_EE10hipError_tPvRmT2_T3_mT4_P12ihipStream_tbEUlmE_lEESB_NS0_8identityIvEEEESM_SP_SQ_mSR_ST_bEUlT_E_NS1_11comp_targetILNS1_3genE8ELNS1_11target_archE1030ELNS1_3gpuE2ELNS1_3repE0EEENS1_30default_config_static_selectorELNS0_4arch9wavefront6targetE1EEEvT1_
; %bb.0:
	.section	.rodata,"a",@progbits
	.p2align	6, 0x0
	.amdhsa_kernel _ZN7rocprim17ROCPRIM_400000_NS6detail17trampoline_kernelINS0_14default_configENS1_25transform_config_selectorIlLb0EEEZNS1_14transform_implILb0ES3_S5_NS0_18transform_iteratorINS0_17counting_iteratorImlEEZNS1_24adjacent_difference_implIS3_Lb1ELb0EPlSB_ZN2at6native12_GLOBAL__N_124unique_dim_cuda_templateIlEESt5tupleIJNSC_6TensorESH_SH_EERKSH_lbbbEUlllE1_EE10hipError_tPvRmT2_T3_mT4_P12ihipStream_tbEUlmE_lEESB_NS0_8identityIvEEEESM_SP_SQ_mSR_ST_bEUlT_E_NS1_11comp_targetILNS1_3genE8ELNS1_11target_archE1030ELNS1_3gpuE2ELNS1_3repE0EEENS1_30default_config_static_selectorELNS0_4arch9wavefront6targetE1EEEvT1_
		.amdhsa_group_segment_fixed_size 0
		.amdhsa_private_segment_fixed_size 0
		.amdhsa_kernarg_size 56
		.amdhsa_user_sgpr_count 2
		.amdhsa_user_sgpr_dispatch_ptr 0
		.amdhsa_user_sgpr_queue_ptr 0
		.amdhsa_user_sgpr_kernarg_segment_ptr 1
		.amdhsa_user_sgpr_dispatch_id 0
		.amdhsa_user_sgpr_kernarg_preload_length 0
		.amdhsa_user_sgpr_kernarg_preload_offset 0
		.amdhsa_user_sgpr_private_segment_size 0
		.amdhsa_uses_dynamic_stack 0
		.amdhsa_enable_private_segment 0
		.amdhsa_system_sgpr_workgroup_id_x 1
		.amdhsa_system_sgpr_workgroup_id_y 0
		.amdhsa_system_sgpr_workgroup_id_z 0
		.amdhsa_system_sgpr_workgroup_info 0
		.amdhsa_system_vgpr_workitem_id 0
		.amdhsa_next_free_vgpr 1
		.amdhsa_next_free_sgpr 0
		.amdhsa_accum_offset 4
		.amdhsa_reserve_vcc 0
		.amdhsa_float_round_mode_32 0
		.amdhsa_float_round_mode_16_64 0
		.amdhsa_float_denorm_mode_32 3
		.amdhsa_float_denorm_mode_16_64 3
		.amdhsa_dx10_clamp 1
		.amdhsa_ieee_mode 1
		.amdhsa_fp16_overflow 0
		.amdhsa_tg_split 0
		.amdhsa_exception_fp_ieee_invalid_op 0
		.amdhsa_exception_fp_denorm_src 0
		.amdhsa_exception_fp_ieee_div_zero 0
		.amdhsa_exception_fp_ieee_overflow 0
		.amdhsa_exception_fp_ieee_underflow 0
		.amdhsa_exception_fp_ieee_inexact 0
		.amdhsa_exception_int_div_zero 0
	.end_amdhsa_kernel
	.section	.text._ZN7rocprim17ROCPRIM_400000_NS6detail17trampoline_kernelINS0_14default_configENS1_25transform_config_selectorIlLb0EEEZNS1_14transform_implILb0ES3_S5_NS0_18transform_iteratorINS0_17counting_iteratorImlEEZNS1_24adjacent_difference_implIS3_Lb1ELb0EPlSB_ZN2at6native12_GLOBAL__N_124unique_dim_cuda_templateIlEESt5tupleIJNSC_6TensorESH_SH_EERKSH_lbbbEUlllE1_EE10hipError_tPvRmT2_T3_mT4_P12ihipStream_tbEUlmE_lEESB_NS0_8identityIvEEEESM_SP_SQ_mSR_ST_bEUlT_E_NS1_11comp_targetILNS1_3genE8ELNS1_11target_archE1030ELNS1_3gpuE2ELNS1_3repE0EEENS1_30default_config_static_selectorELNS0_4arch9wavefront6targetE1EEEvT1_,"axG",@progbits,_ZN7rocprim17ROCPRIM_400000_NS6detail17trampoline_kernelINS0_14default_configENS1_25transform_config_selectorIlLb0EEEZNS1_14transform_implILb0ES3_S5_NS0_18transform_iteratorINS0_17counting_iteratorImlEEZNS1_24adjacent_difference_implIS3_Lb1ELb0EPlSB_ZN2at6native12_GLOBAL__N_124unique_dim_cuda_templateIlEESt5tupleIJNSC_6TensorESH_SH_EERKSH_lbbbEUlllE1_EE10hipError_tPvRmT2_T3_mT4_P12ihipStream_tbEUlmE_lEESB_NS0_8identityIvEEEESM_SP_SQ_mSR_ST_bEUlT_E_NS1_11comp_targetILNS1_3genE8ELNS1_11target_archE1030ELNS1_3gpuE2ELNS1_3repE0EEENS1_30default_config_static_selectorELNS0_4arch9wavefront6targetE1EEEvT1_,comdat
.Lfunc_end554:
	.size	_ZN7rocprim17ROCPRIM_400000_NS6detail17trampoline_kernelINS0_14default_configENS1_25transform_config_selectorIlLb0EEEZNS1_14transform_implILb0ES3_S5_NS0_18transform_iteratorINS0_17counting_iteratorImlEEZNS1_24adjacent_difference_implIS3_Lb1ELb0EPlSB_ZN2at6native12_GLOBAL__N_124unique_dim_cuda_templateIlEESt5tupleIJNSC_6TensorESH_SH_EERKSH_lbbbEUlllE1_EE10hipError_tPvRmT2_T3_mT4_P12ihipStream_tbEUlmE_lEESB_NS0_8identityIvEEEESM_SP_SQ_mSR_ST_bEUlT_E_NS1_11comp_targetILNS1_3genE8ELNS1_11target_archE1030ELNS1_3gpuE2ELNS1_3repE0EEENS1_30default_config_static_selectorELNS0_4arch9wavefront6targetE1EEEvT1_, .Lfunc_end554-_ZN7rocprim17ROCPRIM_400000_NS6detail17trampoline_kernelINS0_14default_configENS1_25transform_config_selectorIlLb0EEEZNS1_14transform_implILb0ES3_S5_NS0_18transform_iteratorINS0_17counting_iteratorImlEEZNS1_24adjacent_difference_implIS3_Lb1ELb0EPlSB_ZN2at6native12_GLOBAL__N_124unique_dim_cuda_templateIlEESt5tupleIJNSC_6TensorESH_SH_EERKSH_lbbbEUlllE1_EE10hipError_tPvRmT2_T3_mT4_P12ihipStream_tbEUlmE_lEESB_NS0_8identityIvEEEESM_SP_SQ_mSR_ST_bEUlT_E_NS1_11comp_targetILNS1_3genE8ELNS1_11target_archE1030ELNS1_3gpuE2ELNS1_3repE0EEENS1_30default_config_static_selectorELNS0_4arch9wavefront6targetE1EEEvT1_
                                        ; -- End function
	.set _ZN7rocprim17ROCPRIM_400000_NS6detail17trampoline_kernelINS0_14default_configENS1_25transform_config_selectorIlLb0EEEZNS1_14transform_implILb0ES3_S5_NS0_18transform_iteratorINS0_17counting_iteratorImlEEZNS1_24adjacent_difference_implIS3_Lb1ELb0EPlSB_ZN2at6native12_GLOBAL__N_124unique_dim_cuda_templateIlEESt5tupleIJNSC_6TensorESH_SH_EERKSH_lbbbEUlllE1_EE10hipError_tPvRmT2_T3_mT4_P12ihipStream_tbEUlmE_lEESB_NS0_8identityIvEEEESM_SP_SQ_mSR_ST_bEUlT_E_NS1_11comp_targetILNS1_3genE8ELNS1_11target_archE1030ELNS1_3gpuE2ELNS1_3repE0EEENS1_30default_config_static_selectorELNS0_4arch9wavefront6targetE1EEEvT1_.num_vgpr, 0
	.set _ZN7rocprim17ROCPRIM_400000_NS6detail17trampoline_kernelINS0_14default_configENS1_25transform_config_selectorIlLb0EEEZNS1_14transform_implILb0ES3_S5_NS0_18transform_iteratorINS0_17counting_iteratorImlEEZNS1_24adjacent_difference_implIS3_Lb1ELb0EPlSB_ZN2at6native12_GLOBAL__N_124unique_dim_cuda_templateIlEESt5tupleIJNSC_6TensorESH_SH_EERKSH_lbbbEUlllE1_EE10hipError_tPvRmT2_T3_mT4_P12ihipStream_tbEUlmE_lEESB_NS0_8identityIvEEEESM_SP_SQ_mSR_ST_bEUlT_E_NS1_11comp_targetILNS1_3genE8ELNS1_11target_archE1030ELNS1_3gpuE2ELNS1_3repE0EEENS1_30default_config_static_selectorELNS0_4arch9wavefront6targetE1EEEvT1_.num_agpr, 0
	.set _ZN7rocprim17ROCPRIM_400000_NS6detail17trampoline_kernelINS0_14default_configENS1_25transform_config_selectorIlLb0EEEZNS1_14transform_implILb0ES3_S5_NS0_18transform_iteratorINS0_17counting_iteratorImlEEZNS1_24adjacent_difference_implIS3_Lb1ELb0EPlSB_ZN2at6native12_GLOBAL__N_124unique_dim_cuda_templateIlEESt5tupleIJNSC_6TensorESH_SH_EERKSH_lbbbEUlllE1_EE10hipError_tPvRmT2_T3_mT4_P12ihipStream_tbEUlmE_lEESB_NS0_8identityIvEEEESM_SP_SQ_mSR_ST_bEUlT_E_NS1_11comp_targetILNS1_3genE8ELNS1_11target_archE1030ELNS1_3gpuE2ELNS1_3repE0EEENS1_30default_config_static_selectorELNS0_4arch9wavefront6targetE1EEEvT1_.numbered_sgpr, 0
	.set _ZN7rocprim17ROCPRIM_400000_NS6detail17trampoline_kernelINS0_14default_configENS1_25transform_config_selectorIlLb0EEEZNS1_14transform_implILb0ES3_S5_NS0_18transform_iteratorINS0_17counting_iteratorImlEEZNS1_24adjacent_difference_implIS3_Lb1ELb0EPlSB_ZN2at6native12_GLOBAL__N_124unique_dim_cuda_templateIlEESt5tupleIJNSC_6TensorESH_SH_EERKSH_lbbbEUlllE1_EE10hipError_tPvRmT2_T3_mT4_P12ihipStream_tbEUlmE_lEESB_NS0_8identityIvEEEESM_SP_SQ_mSR_ST_bEUlT_E_NS1_11comp_targetILNS1_3genE8ELNS1_11target_archE1030ELNS1_3gpuE2ELNS1_3repE0EEENS1_30default_config_static_selectorELNS0_4arch9wavefront6targetE1EEEvT1_.num_named_barrier, 0
	.set _ZN7rocprim17ROCPRIM_400000_NS6detail17trampoline_kernelINS0_14default_configENS1_25transform_config_selectorIlLb0EEEZNS1_14transform_implILb0ES3_S5_NS0_18transform_iteratorINS0_17counting_iteratorImlEEZNS1_24adjacent_difference_implIS3_Lb1ELb0EPlSB_ZN2at6native12_GLOBAL__N_124unique_dim_cuda_templateIlEESt5tupleIJNSC_6TensorESH_SH_EERKSH_lbbbEUlllE1_EE10hipError_tPvRmT2_T3_mT4_P12ihipStream_tbEUlmE_lEESB_NS0_8identityIvEEEESM_SP_SQ_mSR_ST_bEUlT_E_NS1_11comp_targetILNS1_3genE8ELNS1_11target_archE1030ELNS1_3gpuE2ELNS1_3repE0EEENS1_30default_config_static_selectorELNS0_4arch9wavefront6targetE1EEEvT1_.private_seg_size, 0
	.set _ZN7rocprim17ROCPRIM_400000_NS6detail17trampoline_kernelINS0_14default_configENS1_25transform_config_selectorIlLb0EEEZNS1_14transform_implILb0ES3_S5_NS0_18transform_iteratorINS0_17counting_iteratorImlEEZNS1_24adjacent_difference_implIS3_Lb1ELb0EPlSB_ZN2at6native12_GLOBAL__N_124unique_dim_cuda_templateIlEESt5tupleIJNSC_6TensorESH_SH_EERKSH_lbbbEUlllE1_EE10hipError_tPvRmT2_T3_mT4_P12ihipStream_tbEUlmE_lEESB_NS0_8identityIvEEEESM_SP_SQ_mSR_ST_bEUlT_E_NS1_11comp_targetILNS1_3genE8ELNS1_11target_archE1030ELNS1_3gpuE2ELNS1_3repE0EEENS1_30default_config_static_selectorELNS0_4arch9wavefront6targetE1EEEvT1_.uses_vcc, 0
	.set _ZN7rocprim17ROCPRIM_400000_NS6detail17trampoline_kernelINS0_14default_configENS1_25transform_config_selectorIlLb0EEEZNS1_14transform_implILb0ES3_S5_NS0_18transform_iteratorINS0_17counting_iteratorImlEEZNS1_24adjacent_difference_implIS3_Lb1ELb0EPlSB_ZN2at6native12_GLOBAL__N_124unique_dim_cuda_templateIlEESt5tupleIJNSC_6TensorESH_SH_EERKSH_lbbbEUlllE1_EE10hipError_tPvRmT2_T3_mT4_P12ihipStream_tbEUlmE_lEESB_NS0_8identityIvEEEESM_SP_SQ_mSR_ST_bEUlT_E_NS1_11comp_targetILNS1_3genE8ELNS1_11target_archE1030ELNS1_3gpuE2ELNS1_3repE0EEENS1_30default_config_static_selectorELNS0_4arch9wavefront6targetE1EEEvT1_.uses_flat_scratch, 0
	.set _ZN7rocprim17ROCPRIM_400000_NS6detail17trampoline_kernelINS0_14default_configENS1_25transform_config_selectorIlLb0EEEZNS1_14transform_implILb0ES3_S5_NS0_18transform_iteratorINS0_17counting_iteratorImlEEZNS1_24adjacent_difference_implIS3_Lb1ELb0EPlSB_ZN2at6native12_GLOBAL__N_124unique_dim_cuda_templateIlEESt5tupleIJNSC_6TensorESH_SH_EERKSH_lbbbEUlllE1_EE10hipError_tPvRmT2_T3_mT4_P12ihipStream_tbEUlmE_lEESB_NS0_8identityIvEEEESM_SP_SQ_mSR_ST_bEUlT_E_NS1_11comp_targetILNS1_3genE8ELNS1_11target_archE1030ELNS1_3gpuE2ELNS1_3repE0EEENS1_30default_config_static_selectorELNS0_4arch9wavefront6targetE1EEEvT1_.has_dyn_sized_stack, 0
	.set _ZN7rocprim17ROCPRIM_400000_NS6detail17trampoline_kernelINS0_14default_configENS1_25transform_config_selectorIlLb0EEEZNS1_14transform_implILb0ES3_S5_NS0_18transform_iteratorINS0_17counting_iteratorImlEEZNS1_24adjacent_difference_implIS3_Lb1ELb0EPlSB_ZN2at6native12_GLOBAL__N_124unique_dim_cuda_templateIlEESt5tupleIJNSC_6TensorESH_SH_EERKSH_lbbbEUlllE1_EE10hipError_tPvRmT2_T3_mT4_P12ihipStream_tbEUlmE_lEESB_NS0_8identityIvEEEESM_SP_SQ_mSR_ST_bEUlT_E_NS1_11comp_targetILNS1_3genE8ELNS1_11target_archE1030ELNS1_3gpuE2ELNS1_3repE0EEENS1_30default_config_static_selectorELNS0_4arch9wavefront6targetE1EEEvT1_.has_recursion, 0
	.set _ZN7rocprim17ROCPRIM_400000_NS6detail17trampoline_kernelINS0_14default_configENS1_25transform_config_selectorIlLb0EEEZNS1_14transform_implILb0ES3_S5_NS0_18transform_iteratorINS0_17counting_iteratorImlEEZNS1_24adjacent_difference_implIS3_Lb1ELb0EPlSB_ZN2at6native12_GLOBAL__N_124unique_dim_cuda_templateIlEESt5tupleIJNSC_6TensorESH_SH_EERKSH_lbbbEUlllE1_EE10hipError_tPvRmT2_T3_mT4_P12ihipStream_tbEUlmE_lEESB_NS0_8identityIvEEEESM_SP_SQ_mSR_ST_bEUlT_E_NS1_11comp_targetILNS1_3genE8ELNS1_11target_archE1030ELNS1_3gpuE2ELNS1_3repE0EEENS1_30default_config_static_selectorELNS0_4arch9wavefront6targetE1EEEvT1_.has_indirect_call, 0
	.section	.AMDGPU.csdata,"",@progbits
; Kernel info:
; codeLenInByte = 0
; TotalNumSgprs: 6
; NumVgprs: 0
; NumAgprs: 0
; TotalNumVgprs: 0
; ScratchSize: 0
; MemoryBound: 0
; FloatMode: 240
; IeeeMode: 1
; LDSByteSize: 0 bytes/workgroup (compile time only)
; SGPRBlocks: 0
; VGPRBlocks: 0
; NumSGPRsForWavesPerEU: 6
; NumVGPRsForWavesPerEU: 1
; AccumOffset: 4
; Occupancy: 8
; WaveLimiterHint : 0
; COMPUTE_PGM_RSRC2:SCRATCH_EN: 0
; COMPUTE_PGM_RSRC2:USER_SGPR: 2
; COMPUTE_PGM_RSRC2:TRAP_HANDLER: 0
; COMPUTE_PGM_RSRC2:TGID_X_EN: 1
; COMPUTE_PGM_RSRC2:TGID_Y_EN: 0
; COMPUTE_PGM_RSRC2:TGID_Z_EN: 0
; COMPUTE_PGM_RSRC2:TIDIG_COMP_CNT: 0
; COMPUTE_PGM_RSRC3_GFX90A:ACCUM_OFFSET: 0
; COMPUTE_PGM_RSRC3_GFX90A:TG_SPLIT: 0
	.section	.text._ZN7rocprim17ROCPRIM_400000_NS6detail17trampoline_kernelINS0_14default_configENS1_35adjacent_difference_config_selectorILb1ElEEZNS1_24adjacent_difference_implIS3_Lb1ELb0EPlS7_ZN2at6native12_GLOBAL__N_124unique_dim_cuda_templateIlEESt5tupleIJNS8_6TensorESD_SD_EERKSD_lbbbEUlllE1_EE10hipError_tPvRmT2_T3_mT4_P12ihipStream_tbEUlT_E_NS1_11comp_targetILNS1_3genE0ELNS1_11target_archE4294967295ELNS1_3gpuE0ELNS1_3repE0EEENS1_30default_config_static_selectorELNS0_4arch9wavefront6targetE1EEEvT1_,"axG",@progbits,_ZN7rocprim17ROCPRIM_400000_NS6detail17trampoline_kernelINS0_14default_configENS1_35adjacent_difference_config_selectorILb1ElEEZNS1_24adjacent_difference_implIS3_Lb1ELb0EPlS7_ZN2at6native12_GLOBAL__N_124unique_dim_cuda_templateIlEESt5tupleIJNS8_6TensorESD_SD_EERKSD_lbbbEUlllE1_EE10hipError_tPvRmT2_T3_mT4_P12ihipStream_tbEUlT_E_NS1_11comp_targetILNS1_3genE0ELNS1_11target_archE4294967295ELNS1_3gpuE0ELNS1_3repE0EEENS1_30default_config_static_selectorELNS0_4arch9wavefront6targetE1EEEvT1_,comdat
	.globl	_ZN7rocprim17ROCPRIM_400000_NS6detail17trampoline_kernelINS0_14default_configENS1_35adjacent_difference_config_selectorILb1ElEEZNS1_24adjacent_difference_implIS3_Lb1ELb0EPlS7_ZN2at6native12_GLOBAL__N_124unique_dim_cuda_templateIlEESt5tupleIJNS8_6TensorESD_SD_EERKSD_lbbbEUlllE1_EE10hipError_tPvRmT2_T3_mT4_P12ihipStream_tbEUlT_E_NS1_11comp_targetILNS1_3genE0ELNS1_11target_archE4294967295ELNS1_3gpuE0ELNS1_3repE0EEENS1_30default_config_static_selectorELNS0_4arch9wavefront6targetE1EEEvT1_ ; -- Begin function _ZN7rocprim17ROCPRIM_400000_NS6detail17trampoline_kernelINS0_14default_configENS1_35adjacent_difference_config_selectorILb1ElEEZNS1_24adjacent_difference_implIS3_Lb1ELb0EPlS7_ZN2at6native12_GLOBAL__N_124unique_dim_cuda_templateIlEESt5tupleIJNS8_6TensorESD_SD_EERKSD_lbbbEUlllE1_EE10hipError_tPvRmT2_T3_mT4_P12ihipStream_tbEUlT_E_NS1_11comp_targetILNS1_3genE0ELNS1_11target_archE4294967295ELNS1_3gpuE0ELNS1_3repE0EEENS1_30default_config_static_selectorELNS0_4arch9wavefront6targetE1EEEvT1_
	.p2align	8
	.type	_ZN7rocprim17ROCPRIM_400000_NS6detail17trampoline_kernelINS0_14default_configENS1_35adjacent_difference_config_selectorILb1ElEEZNS1_24adjacent_difference_implIS3_Lb1ELb0EPlS7_ZN2at6native12_GLOBAL__N_124unique_dim_cuda_templateIlEESt5tupleIJNS8_6TensorESD_SD_EERKSD_lbbbEUlllE1_EE10hipError_tPvRmT2_T3_mT4_P12ihipStream_tbEUlT_E_NS1_11comp_targetILNS1_3genE0ELNS1_11target_archE4294967295ELNS1_3gpuE0ELNS1_3repE0EEENS1_30default_config_static_selectorELNS0_4arch9wavefront6targetE1EEEvT1_,@function
_ZN7rocprim17ROCPRIM_400000_NS6detail17trampoline_kernelINS0_14default_configENS1_35adjacent_difference_config_selectorILb1ElEEZNS1_24adjacent_difference_implIS3_Lb1ELb0EPlS7_ZN2at6native12_GLOBAL__N_124unique_dim_cuda_templateIlEESt5tupleIJNS8_6TensorESD_SD_EERKSD_lbbbEUlllE1_EE10hipError_tPvRmT2_T3_mT4_P12ihipStream_tbEUlT_E_NS1_11comp_targetILNS1_3genE0ELNS1_11target_archE4294967295ELNS1_3gpuE0ELNS1_3repE0EEENS1_30default_config_static_selectorELNS0_4arch9wavefront6targetE1EEEvT1_: ; @_ZN7rocprim17ROCPRIM_400000_NS6detail17trampoline_kernelINS0_14default_configENS1_35adjacent_difference_config_selectorILb1ElEEZNS1_24adjacent_difference_implIS3_Lb1ELb0EPlS7_ZN2at6native12_GLOBAL__N_124unique_dim_cuda_templateIlEESt5tupleIJNS8_6TensorESD_SD_EERKSD_lbbbEUlllE1_EE10hipError_tPvRmT2_T3_mT4_P12ihipStream_tbEUlT_E_NS1_11comp_targetILNS1_3genE0ELNS1_11target_archE4294967295ELNS1_3gpuE0ELNS1_3repE0EEENS1_30default_config_static_selectorELNS0_4arch9wavefront6targetE1EEEvT1_
; %bb.0:
	s_load_dwordx16 s[4:19], s[0:1], 0x0
	s_mov_b32 s25, 0
	s_mov_b64 s[26:27], -1
	s_waitcnt lgkmcnt(0)
	s_lshl_b64 s[6:7], s[6:7], 3
	s_add_u32 s30, s4, s6
	s_addc_u32 s31, s5, s7
	s_lshl_b32 s4, s2, 10
	s_lshr_b64 s[0:1], s[10:11], 10
	s_and_b32 s24, s10, 0x3ff
	s_cmp_lg_u64 s[24:25], 0
	s_cselect_b64 s[20:21], -1, 0
	v_cndmask_b32_e64 v1, 0, 1, s[20:21]
	s_mov_b32 s24, s2
	v_readfirstlane_b32 s3, v1
	s_add_u32 s22, s0, s3
	s_addc_u32 s23, s1, 0
	s_add_u32 s2, s18, s2
	s_addc_u32 s3, s19, 0
	s_add_u32 s20, s22, -1
	s_addc_u32 s21, s23, -1
	v_mov_b64_e32 v[2:3], s[20:21]
	v_cmp_ge_u64_e64 s[0:1], s[2:3], v[2:3]
	s_and_b64 vcc, exec, s[0:1]
	s_cbranch_vccz .LBB555_6
; %bb.1:
	s_lshl_b32 s5, s20, 10
	s_sub_i32 s11, s10, s5
	s_mov_b32 s5, s25
	s_lshl_b64 s[26:27], s[4:5], 3
	s_add_u32 s26, s30, s26
	v_mov_b32_e32 v2, 0
	s_addc_u32 s27, s31, s27
	v_cmp_gt_u32_e32 vcc, s11, v0
	v_mov_b32_e32 v3, v2
	v_mov_b32_e32 v4, v2
	;; [unrolled: 1-line block ×3, first 2 shown]
	s_and_saveexec_b64 s[28:29], vcc
	s_cbranch_execz .LBB555_3
; %bb.2:
	v_lshlrev_b32_e32 v1, 3, v0
	global_load_dwordx2 v[4:5], v1, s[26:27]
	v_mov_b32_e32 v6, v2
	v_mov_b32_e32 v7, v2
	s_waitcnt vmcnt(0)
	v_mov_b64_e32 v[2:3], v[4:5]
	v_mov_b64_e32 v[4:5], v[6:7]
.LBB555_3:
	s_or_b64 exec, exec, s[28:29]
	v_or_b32_e32 v1, 0x200, v0
	v_cmp_gt_u32_e32 vcc, s11, v1
	s_and_saveexec_b64 s[28:29], vcc
	s_cbranch_execz .LBB555_5
; %bb.4:
	v_lshlrev_b32_e32 v4, 3, v1
	global_load_dwordx2 v[4:5], v4, s[26:27]
.LBB555_5:
	s_or_b64 exec, exec, s[28:29]
	v_lshrrev_b32_e32 v6, 2, v0
	v_lshrrev_b32_e32 v1, 2, v1
	v_and_b32_e32 v6, 0x78, v6
	v_lshlrev_b32_e32 v7, 3, v0
	v_and_b32_e32 v1, 0xf8, v1
	v_add_u32_e32 v6, v6, v7
	v_add_u32_e32 v1, v1, v7
	s_mov_b64 s[26:27], 0
	ds_write_b64 v6, v[2:3]
	s_waitcnt vmcnt(0)
	ds_write_b64 v1, v[4:5] offset:4096
	s_waitcnt lgkmcnt(0)
	s_barrier
.LBB555_6:
	s_and_b64 vcc, exec, s[26:27]
	s_cbranch_vccz .LBB555_8
; %bb.7:
	s_mov_b32 s5, 0
	s_lshl_b64 s[26:27], s[4:5], 3
	s_add_u32 s26, s30, s26
	s_addc_u32 s27, s31, s27
	v_lshlrev_b32_e32 v2, 3, v0
	v_mov_b32_e32 v3, 0
	v_lshl_add_u64 v[4:5], s[26:27], 0, v[2:3]
	v_add_co_u32_e32 v4, vcc, 0x1000, v4
	v_lshrrev_b32_e32 v1, 2, v0
	s_nop 0
	v_addc_co_u32_e32 v5, vcc, 0, v5, vcc
	global_load_dwordx2 v[6:7], v2, s[26:27]
	global_load_dwordx2 v[8:9], v[4:5], off
	v_or_b32_e32 v3, 0x200, v0
	v_and_b32_e32 v1, 0x78, v1
	v_lshrrev_b32_e32 v3, 2, v3
	v_add_u32_e32 v1, v1, v2
	v_and_b32_e32 v3, 0xf8, v3
	v_add_u32_e32 v2, v3, v2
	s_waitcnt vmcnt(1)
	ds_write_b64 v1, v[6:7]
	s_waitcnt vmcnt(0)
	ds_write_b64 v2, v[8:9] offset:4096
	s_waitcnt lgkmcnt(0)
	s_barrier
.LBB555_8:
	v_lshrrev_b32_e32 v1, 1, v0
	v_and_b32_e32 v2, 0xf8, v1
	v_lshl_add_u32 v2, v0, 4, v2
	ds_read2_b64 v[2:5], v2 offset1:1
	s_cmp_eq_u64 s[2:3], 0
	s_waitcnt lgkmcnt(0)
	s_barrier
	s_cbranch_scc1 .LBB555_15
; %bb.9:
	s_lshl_b64 s[18:19], s[18:19], 3
	s_add_u32 s5, s16, s18
	s_addc_u32 s11, s17, s19
	s_lshl_b64 s[16:17], s[24:25], 3
	s_add_u32 s5, s5, s16
	s_addc_u32 s11, s11, s17
	s_add_u32 s16, s5, -8
	s_addc_u32 s17, s11, -1
	s_load_dwordx2 s[16:17], s[16:17], 0x0
	s_cmp_eq_u64 s[2:3], s[20:21]
	s_cbranch_scc1 .LBB555_16
; %bb.10:
	v_cmp_lt_i64_e64 s[24:25], s[12:13], 1
	v_lshlrev_b32_e32 v12, 3, v0
	v_mov_b64_e32 v[8:9], 0
	v_cmp_gt_i64_e64 s[18:19], s[12:13], 0
	s_and_b64 vcc, exec, s[24:25]
	ds_write_b64 v12, v[4:5]
	s_cbranch_vccnz .LBB555_18
; %bb.11:
	v_mul_lo_u32 v8, v5, s12
	v_mul_lo_u32 v9, v4, s13
	v_mad_u64_u32 v[6:7], s[24:25], v4, s12, 0
	v_add3_u32 v7, v7, v9, v8
	v_mul_lo_u32 v10, v3, s12
	v_mul_lo_u32 v11, v2, s13
	v_mad_u64_u32 v[8:9], s[24:25], v2, s12, 0
	v_add3_u32 v9, v9, v11, v10
	v_lshl_add_u64 v[6:7], v[6:7], 3, s[14:15]
	v_lshl_add_u64 v[10:11], v[8:9], 3, s[14:15]
	s_mov_b64 s[24:25], 0
	s_mov_b64 s[26:27], s[12:13]
                                        ; implicit-def: $sgpr28_sgpr29
	s_branch .LBB555_13
.LBB555_12:                             ;   in Loop: Header=BB555_13 Depth=1
	s_or_b64 exec, exec, s[30:31]
	s_and_b64 s[30:31], exec, s[28:29]
	s_or_b64 s[24:25], s[30:31], s[24:25]
	s_andn2_b64 exec, exec, s[24:25]
	s_cbranch_execz .LBB555_17
.LBB555_13:                             ; =>This Inner Loop Header: Depth=1
	global_load_dwordx2 v[14:15], v[6:7], off
	global_load_dwordx2 v[16:17], v[10:11], off
	v_mov_b64_e32 v[8:9], 1
	s_or_b64 s[28:29], s[28:29], exec
	s_waitcnt vmcnt(0)
	v_cmp_eq_u64_e32 vcc, v[14:15], v[16:17]
	s_and_saveexec_b64 s[30:31], vcc
	s_cbranch_execz .LBB555_12
; %bb.14:                               ;   in Loop: Header=BB555_13 Depth=1
	s_add_u32 s26, s26, -1
	s_addc_u32 s27, s27, -1
	s_cmp_eq_u64 s[26:27], 0
	s_cselect_b64 s[34:35], -1, 0
	s_andn2_b64 s[28:29], s[28:29], exec
	s_and_b64 s[34:35], s[34:35], exec
	v_lshl_add_u64 v[6:7], v[6:7], 0, 8
	v_lshl_add_u64 v[10:11], v[10:11], 0, 8
	v_mov_b64_e32 v[8:9], 0
	s_or_b64 s[28:29], s[28:29], s[34:35]
	s_branch .LBB555_12
.LBB555_15:
                                        ; implicit-def: $vgpr8_vgpr9
                                        ; implicit-def: $vgpr6_vgpr7
	s_branch .LBB555_47
.LBB555_16:
                                        ; implicit-def: $vgpr8_vgpr9
                                        ; implicit-def: $vgpr6_vgpr7
	s_cbranch_execnz .LBB555_27
	s_branch .LBB555_46
.LBB555_17:
	s_or_b64 exec, exec, s[24:25]
.LBB555_18:
	v_cmp_ne_u32_e32 vcc, 0, v0
	s_waitcnt lgkmcnt(0)
	v_mov_b64_e32 v[6:7], s[16:17]
	s_barrier
	s_and_saveexec_b64 s[24:25], vcc
; %bb.19:
	v_add_u32_e32 v6, -8, v12
	ds_read_b64 v[6:7], v6
; %bb.20:
	s_or_b64 exec, exec, s[24:25]
	s_andn2_b64 vcc, exec, s[18:19]
	s_cbranch_vccnz .LBB555_26
; %bb.21:
	v_mul_lo_u32 v12, v3, s12
	v_mul_lo_u32 v13, v2, s13
	v_mad_u64_u32 v[10:11], s[18:19], v2, s12, 0
	v_add3_u32 v11, v11, v13, v12
	s_waitcnt lgkmcnt(0)
	v_mul_lo_u32 v12, v7, s12
	v_mul_lo_u32 v13, v6, s13
	v_mad_u64_u32 v[6:7], s[18:19], v6, s12, 0
	v_add3_u32 v7, v7, v13, v12
	v_lshl_add_u64 v[10:11], v[10:11], 3, s[14:15]
	v_lshl_add_u64 v[12:13], v[6:7], 3, s[14:15]
	s_mov_b64 s[18:19], 0
	s_mov_b64 s[24:25], s[12:13]
                                        ; implicit-def: $sgpr26_sgpr27
	s_branch .LBB555_23
.LBB555_22:                             ;   in Loop: Header=BB555_23 Depth=1
	s_or_b64 exec, exec, s[28:29]
	s_and_b64 s[28:29], exec, s[26:27]
	s_or_b64 s[18:19], s[28:29], s[18:19]
	s_andn2_b64 exec, exec, s[18:19]
	s_cbranch_execz .LBB555_25
.LBB555_23:                             ; =>This Inner Loop Header: Depth=1
	global_load_dwordx2 v[14:15], v[10:11], off
	global_load_dwordx2 v[16:17], v[12:13], off
	v_mov_b64_e32 v[6:7], 1
	s_or_b64 s[26:27], s[26:27], exec
	s_waitcnt vmcnt(0)
	v_cmp_eq_u64_e32 vcc, v[14:15], v[16:17]
	s_and_saveexec_b64 s[28:29], vcc
	s_cbranch_execz .LBB555_22
; %bb.24:                               ;   in Loop: Header=BB555_23 Depth=1
	s_add_u32 s24, s24, -1
	s_addc_u32 s25, s25, -1
	s_cmp_eq_u64 s[24:25], 0
	s_cselect_b64 s[30:31], -1, 0
	s_andn2_b64 s[26:27], s[26:27], exec
	s_and_b64 s[30:31], s[30:31], exec
	v_lshl_add_u64 v[10:11], v[10:11], 0, 8
	v_lshl_add_u64 v[12:13], v[12:13], 0, 8
	v_mov_b64_e32 v[6:7], 0
	s_or_b64 s[26:27], s[26:27], s[30:31]
	s_branch .LBB555_22
.LBB555_25:
	s_or_b64 exec, exec, s[18:19]
	s_branch .LBB555_46
.LBB555_26:
	s_waitcnt lgkmcnt(0)
	v_mov_b64_e32 v[6:7], 0
	s_branch .LBB555_46
.LBB555_27:
	s_lshl_b32 s2, s2, 10
	v_lshlrev_b32_e32 v14, 1, v0
	s_sub_i32 s5, s10, s2
	v_or_b32_e32 v6, 1, v14
	v_lshlrev_b32_e32 v15, 3, v0
	v_cmp_gt_u32_e32 vcc, s5, v6
	v_mov_b64_e32 v[8:9], v[4:5]
	ds_write_b64 v15, v[4:5]
	v_mov_b64_e32 v[6:7], v[2:3]
	s_and_saveexec_b64 s[2:3], vcc
	s_cbranch_execz .LBB555_35
; %bb.28:
	v_cmp_lt_i64_e64 s[18:19], s[12:13], 1
	s_and_b64 vcc, exec, s[18:19]
	s_cbranch_vccnz .LBB555_34
; %bb.29:
	v_mul_lo_u32 v8, v5, s12
	v_mul_lo_u32 v9, v4, s13
	v_mad_u64_u32 v[6:7], s[18:19], v4, s12, 0
	v_add3_u32 v7, v7, v9, v8
	v_mul_lo_u32 v10, v3, s12
	v_mul_lo_u32 v11, v2, s13
	v_mad_u64_u32 v[8:9], s[18:19], v2, s12, 0
	v_add3_u32 v9, v9, v11, v10
	v_lshl_add_u64 v[6:7], v[6:7], 3, s[14:15]
	v_lshl_add_u64 v[10:11], v[8:9], 3, s[14:15]
	s_mov_b64 s[18:19], 0
	s_mov_b64 s[24:25], s[12:13]
                                        ; implicit-def: $sgpr26_sgpr27
	s_branch .LBB555_31
.LBB555_30:                             ;   in Loop: Header=BB555_31 Depth=1
	s_or_b64 exec, exec, s[28:29]
	s_and_b64 s[28:29], exec, s[26:27]
	s_or_b64 s[18:19], s[28:29], s[18:19]
	s_andn2_b64 exec, exec, s[18:19]
	s_cbranch_execz .LBB555_33
.LBB555_31:                             ; =>This Inner Loop Header: Depth=1
	global_load_dwordx2 v[12:13], v[6:7], off
	global_load_dwordx2 v[16:17], v[10:11], off
	v_mov_b64_e32 v[8:9], 1
	s_or_b64 s[26:27], s[26:27], exec
	s_waitcnt vmcnt(0)
	v_cmp_eq_u64_e32 vcc, v[12:13], v[16:17]
	s_and_saveexec_b64 s[28:29], vcc
	s_cbranch_execz .LBB555_30
; %bb.32:                               ;   in Loop: Header=BB555_31 Depth=1
	s_add_u32 s24, s24, -1
	s_addc_u32 s25, s25, -1
	s_cmp_eq_u64 s[24:25], 0
	s_cselect_b64 s[30:31], -1, 0
	s_andn2_b64 s[26:27], s[26:27], exec
	s_and_b64 s[30:31], s[30:31], exec
	v_lshl_add_u64 v[6:7], v[6:7], 0, 8
	v_lshl_add_u64 v[10:11], v[10:11], 0, 8
	v_mov_b64_e32 v[8:9], 0
	s_or_b64 s[26:27], s[26:27], s[30:31]
	s_branch .LBB555_30
.LBB555_33:
	s_or_b64 exec, exec, s[18:19]
	s_branch .LBB555_35
.LBB555_34:
	v_mov_b64_e32 v[8:9], 0
.LBB555_35:
	s_or_b64 exec, exec, s[2:3]
	v_cmp_ne_u32_e32 vcc, 0, v0
	s_waitcnt lgkmcnt(0)
	v_mov_b64_e32 v[12:13], s[16:17]
	s_barrier
	s_and_saveexec_b64 s[2:3], vcc
; %bb.36:
	v_add_u32_e32 v6, -8, v15
	ds_read_b64 v[12:13], v6
; %bb.37:
	s_or_b64 exec, exec, s[2:3]
	v_cmp_gt_u32_e32 vcc, s5, v14
	v_mov_b64_e32 v[6:7], v[2:3]
	s_and_saveexec_b64 s[2:3], vcc
	s_cbranch_execz .LBB555_45
; %bb.38:
	v_cmp_lt_i64_e64 s[16:17], s[12:13], 1
	s_and_b64 vcc, exec, s[16:17]
	s_cbranch_vccnz .LBB555_44
; %bb.39:
	v_mul_lo_u32 v10, v3, s12
	v_mul_lo_u32 v11, v2, s13
	v_mad_u64_u32 v[6:7], s[16:17], v2, s12, 0
	v_add3_u32 v7, v7, v11, v10
	v_lshl_add_u64 v[10:11], v[6:7], 3, s[14:15]
	s_waitcnt lgkmcnt(0)
	v_mul_lo_u32 v13, v13, s12
	v_mul_lo_u32 v14, v12, s13
	v_mad_u64_u32 v[6:7], s[16:17], v12, s12, 0
	v_add3_u32 v7, v7, v14, v13
	v_lshl_add_u64 v[12:13], v[6:7], 3, s[14:15]
	s_mov_b64 s[16:17], 0
	s_mov_b64 s[18:19], s[12:13]
                                        ; implicit-def: $sgpr24_sgpr25
	s_branch .LBB555_41
.LBB555_40:                             ;   in Loop: Header=BB555_41 Depth=1
	s_or_b64 exec, exec, s[26:27]
	s_and_b64 s[26:27], exec, s[24:25]
	s_or_b64 s[16:17], s[26:27], s[16:17]
	s_andn2_b64 exec, exec, s[16:17]
	s_cbranch_execz .LBB555_43
.LBB555_41:                             ; =>This Inner Loop Header: Depth=1
	global_load_dwordx2 v[14:15], v[10:11], off
	global_load_dwordx2 v[16:17], v[12:13], off
	v_mov_b64_e32 v[6:7], 1
	s_or_b64 s[24:25], s[24:25], exec
	s_waitcnt vmcnt(0)
	v_cmp_eq_u64_e32 vcc, v[14:15], v[16:17]
	s_and_saveexec_b64 s[26:27], vcc
	s_cbranch_execz .LBB555_40
; %bb.42:                               ;   in Loop: Header=BB555_41 Depth=1
	s_add_u32 s18, s18, -1
	s_addc_u32 s19, s19, -1
	s_cmp_eq_u64 s[18:19], 0
	s_cselect_b64 s[28:29], -1, 0
	s_andn2_b64 s[24:25], s[24:25], exec
	s_and_b64 s[28:29], s[28:29], exec
	v_lshl_add_u64 v[10:11], v[10:11], 0, 8
	v_lshl_add_u64 v[12:13], v[12:13], 0, 8
	v_mov_b64_e32 v[6:7], 0
	s_or_b64 s[24:25], s[24:25], s[28:29]
	s_branch .LBB555_40
.LBB555_43:
	s_or_b64 exec, exec, s[16:17]
	s_branch .LBB555_45
.LBB555_44:
	v_mov_b64_e32 v[6:7], 0
.LBB555_45:
	s_or_b64 exec, exec, s[2:3]
.LBB555_46:
	s_cbranch_execnz .LBB555_81
.LBB555_47:
	s_cmp_eq_u64 s[22:23], 1
	s_cbranch_scc1 .LBB555_53
; %bb.48:
	s_waitcnt lgkmcnt(0)
	v_cmp_lt_i64_e64 s[16:17], s[12:13], 1
	v_lshlrev_b32_e32 v12, 3, v0
	v_mov_b64_e32 v[8:9], 0
	v_cmp_gt_i64_e64 s[2:3], s[12:13], 0
	s_and_b64 vcc, exec, s[16:17]
	ds_write_b64 v12, v[4:5]
	s_cbranch_vccnz .LBB555_55
; %bb.49:
	v_mul_lo_u32 v8, v5, s12
	v_mul_lo_u32 v9, v4, s13
	v_mad_u64_u32 v[6:7], s[16:17], v4, s12, 0
	v_add3_u32 v7, v7, v9, v8
	v_mul_lo_u32 v10, v3, s12
	v_mul_lo_u32 v11, v2, s13
	v_mad_u64_u32 v[8:9], s[16:17], v2, s12, 0
	v_add3_u32 v9, v9, v11, v10
	v_lshl_add_u64 v[6:7], v[6:7], 3, s[14:15]
	v_lshl_add_u64 v[10:11], v[8:9], 3, s[14:15]
	s_mov_b64 s[16:17], 0
	s_mov_b64 s[18:19], s[12:13]
                                        ; implicit-def: $sgpr22_sgpr23
	s_branch .LBB555_51
.LBB555_50:                             ;   in Loop: Header=BB555_51 Depth=1
	s_or_b64 exec, exec, s[24:25]
	s_and_b64 s[24:25], exec, s[22:23]
	s_or_b64 s[16:17], s[24:25], s[16:17]
	s_andn2_b64 exec, exec, s[16:17]
	s_cbranch_execz .LBB555_54
.LBB555_51:                             ; =>This Inner Loop Header: Depth=1
	global_load_dwordx2 v[14:15], v[6:7], off
	global_load_dwordx2 v[16:17], v[10:11], off
	v_mov_b64_e32 v[8:9], 1
	s_or_b64 s[22:23], s[22:23], exec
	s_waitcnt vmcnt(0)
	v_cmp_eq_u64_e32 vcc, v[14:15], v[16:17]
	s_and_saveexec_b64 s[24:25], vcc
	s_cbranch_execz .LBB555_50
; %bb.52:                               ;   in Loop: Header=BB555_51 Depth=1
	s_add_u32 s18, s18, -1
	s_addc_u32 s19, s19, -1
	s_cmp_eq_u64 s[18:19], 0
	s_cselect_b64 s[26:27], -1, 0
	s_andn2_b64 s[22:23], s[22:23], exec
	s_and_b64 s[26:27], s[26:27], exec
	v_lshl_add_u64 v[6:7], v[6:7], 0, 8
	v_lshl_add_u64 v[10:11], v[10:11], 0, 8
	v_mov_b64_e32 v[8:9], 0
	s_or_b64 s[22:23], s[22:23], s[26:27]
	s_branch .LBB555_50
.LBB555_53:
                                        ; implicit-def: $vgpr8_vgpr9
                                        ; implicit-def: $vgpr6_vgpr7
	s_cbranch_execnz .LBB555_64
	s_branch .LBB555_81
.LBB555_54:
	s_or_b64 exec, exec, s[16:17]
.LBB555_55:
	v_cmp_ne_u32_e32 vcc, 0, v0
	v_mov_b64_e32 v[6:7], v[2:3]
	s_waitcnt lgkmcnt(0)
	s_barrier
	s_and_saveexec_b64 s[16:17], vcc
	s_cbranch_execz .LBB555_63
; %bb.56:
	s_andn2_b64 vcc, exec, s[2:3]
	s_cbranch_vccnz .LBB555_62
; %bb.57:
	v_add_u32_e32 v6, -8, v12
	ds_read_b64 v[6:7], v6
	v_mul_lo_u32 v12, v3, s12
	v_mul_lo_u32 v13, v2, s13
	v_mad_u64_u32 v[10:11], s[2:3], v2, s12, 0
	v_add3_u32 v11, v11, v13, v12
	s_waitcnt lgkmcnt(0)
	v_mul_lo_u32 v12, s13, v6
	v_mul_lo_u32 v13, s12, v7
	v_mad_u64_u32 v[6:7], s[2:3], s12, v6, 0
	v_add3_u32 v7, v7, v13, v12
	v_lshl_add_u64 v[10:11], v[10:11], 3, s[14:15]
	v_lshl_add_u64 v[12:13], v[6:7], 3, s[14:15]
	s_mov_b64 s[2:3], 0
	s_mov_b64 s[18:19], s[12:13]
                                        ; implicit-def: $sgpr22_sgpr23
	s_branch .LBB555_59
.LBB555_58:                             ;   in Loop: Header=BB555_59 Depth=1
	s_or_b64 exec, exec, s[24:25]
	s_and_b64 s[24:25], exec, s[22:23]
	s_or_b64 s[2:3], s[24:25], s[2:3]
	s_andn2_b64 exec, exec, s[2:3]
	s_cbranch_execz .LBB555_61
.LBB555_59:                             ; =>This Inner Loop Header: Depth=1
	global_load_dwordx2 v[14:15], v[10:11], off
	global_load_dwordx2 v[16:17], v[12:13], off
	v_mov_b64_e32 v[6:7], 1
	s_or_b64 s[22:23], s[22:23], exec
	s_waitcnt vmcnt(0)
	v_cmp_eq_u64_e32 vcc, v[14:15], v[16:17]
	s_and_saveexec_b64 s[24:25], vcc
	s_cbranch_execz .LBB555_58
; %bb.60:                               ;   in Loop: Header=BB555_59 Depth=1
	s_add_u32 s18, s18, -1
	s_addc_u32 s19, s19, -1
	s_cmp_eq_u64 s[18:19], 0
	s_cselect_b64 s[26:27], -1, 0
	s_andn2_b64 s[22:23], s[22:23], exec
	s_and_b64 s[26:27], s[26:27], exec
	v_lshl_add_u64 v[10:11], v[10:11], 0, 8
	v_lshl_add_u64 v[12:13], v[12:13], 0, 8
	v_mov_b64_e32 v[6:7], 0
	s_or_b64 s[22:23], s[22:23], s[26:27]
	s_branch .LBB555_58
.LBB555_61:
	s_or_b64 exec, exec, s[2:3]
	s_branch .LBB555_63
.LBB555_62:
	v_mov_b64_e32 v[6:7], 0
.LBB555_63:
	s_or_b64 exec, exec, s[16:17]
	s_branch .LBB555_81
.LBB555_64:
	v_lshlrev_b32_e32 v11, 1, v0
	v_or_b32_e32 v6, 1, v11
	v_lshlrev_b32_e32 v10, 3, v0
	v_cmp_gt_u32_e32 vcc, s10, v6
	v_mov_b64_e32 v[8:9], v[4:5]
	ds_write_b64 v10, v[4:5]
	v_mov_b64_e32 v[6:7], v[2:3]
	s_and_saveexec_b64 s[2:3], vcc
	s_cbranch_execz .LBB555_72
; %bb.65:
	s_waitcnt lgkmcnt(0)
	v_cmp_lt_i64_e64 s[16:17], s[12:13], 1
	s_and_b64 vcc, exec, s[16:17]
	s_cbranch_vccnz .LBB555_71
; %bb.66:
	v_mul_lo_u32 v6, v5, s12
	v_mul_lo_u32 v7, v4, s13
	v_mad_u64_u32 v[4:5], s[16:17], v4, s12, 0
	v_add3_u32 v5, v5, v7, v6
	v_mul_lo_u32 v8, v3, s12
	v_mul_lo_u32 v9, v2, s13
	v_mad_u64_u32 v[6:7], s[16:17], v2, s12, 0
	v_add3_u32 v7, v7, v9, v8
	v_lshl_add_u64 v[4:5], v[4:5], 3, s[14:15]
	v_lshl_add_u64 v[6:7], v[6:7], 3, s[14:15]
	s_mov_b64 s[16:17], 0
	s_mov_b64 s[18:19], s[12:13]
                                        ; implicit-def: $sgpr22_sgpr23
	s_branch .LBB555_68
.LBB555_67:                             ;   in Loop: Header=BB555_68 Depth=1
	s_or_b64 exec, exec, s[24:25]
	s_and_b64 s[24:25], exec, s[22:23]
	s_or_b64 s[16:17], s[24:25], s[16:17]
	s_andn2_b64 exec, exec, s[16:17]
	s_cbranch_execz .LBB555_70
.LBB555_68:                             ; =>This Inner Loop Header: Depth=1
	global_load_dwordx2 v[12:13], v[4:5], off
	global_load_dwordx2 v[14:15], v[6:7], off
	v_mov_b64_e32 v[8:9], 1
	s_or_b64 s[22:23], s[22:23], exec
	s_waitcnt vmcnt(0)
	v_cmp_eq_u64_e32 vcc, v[12:13], v[14:15]
	s_and_saveexec_b64 s[24:25], vcc
	s_cbranch_execz .LBB555_67
; %bb.69:                               ;   in Loop: Header=BB555_68 Depth=1
	s_add_u32 s18, s18, -1
	s_addc_u32 s19, s19, -1
	s_cmp_eq_u64 s[18:19], 0
	s_cselect_b64 s[26:27], -1, 0
	s_andn2_b64 s[22:23], s[22:23], exec
	s_and_b64 s[26:27], s[26:27], exec
	v_lshl_add_u64 v[4:5], v[4:5], 0, 8
	v_lshl_add_u64 v[6:7], v[6:7], 0, 8
	v_mov_b64_e32 v[8:9], 0
	s_or_b64 s[22:23], s[22:23], s[26:27]
	s_branch .LBB555_67
.LBB555_70:
	s_or_b64 exec, exec, s[16:17]
	s_branch .LBB555_72
.LBB555_71:
	v_mov_b64_e32 v[8:9], 0
.LBB555_72:
	s_or_b64 exec, exec, s[2:3]
	v_cmp_ne_u32_e32 vcc, 0, v0
	v_cmp_gt_u32_e64 s[2:3], s10, v11
	s_waitcnt lgkmcnt(0)
	s_and_b64 s[16:17], vcc, s[2:3]
	s_barrier
	s_and_saveexec_b64 s[2:3], s[16:17]
	s_cbranch_execz .LBB555_80
; %bb.73:
	v_cmp_lt_i64_e64 s[16:17], s[12:13], 1
	s_and_b64 vcc, exec, s[16:17]
	s_cbranch_vccnz .LBB555_79
; %bb.74:
	v_add_u32_e32 v4, -8, v10
	ds_read_b64 v[6:7], v4
	v_mul_lo_u32 v4, v3, s12
	v_mul_lo_u32 v5, v2, s13
	v_mad_u64_u32 v[2:3], s[16:17], v2, s12, 0
	v_add3_u32 v3, v3, v5, v4
	v_lshl_add_u64 v[4:5], v[2:3], 3, s[14:15]
	s_waitcnt lgkmcnt(0)
	v_mul_lo_u32 v10, s13, v6
	v_mul_lo_u32 v7, s12, v7
	v_mad_u64_u32 v[2:3], s[16:17], s12, v6, 0
	v_add3_u32 v3, v3, v7, v10
	v_lshl_add_u64 v[6:7], v[2:3], 3, s[14:15]
	s_mov_b64 s[14:15], 0
                                        ; implicit-def: $sgpr16_sgpr17
	s_branch .LBB555_76
.LBB555_75:                             ;   in Loop: Header=BB555_76 Depth=1
	s_or_b64 exec, exec, s[18:19]
	s_and_b64 s[18:19], exec, s[16:17]
	s_or_b64 s[14:15], s[18:19], s[14:15]
	s_andn2_b64 exec, exec, s[14:15]
	s_cbranch_execz .LBB555_78
.LBB555_76:                             ; =>This Inner Loop Header: Depth=1
	global_load_dwordx2 v[10:11], v[4:5], off
	global_load_dwordx2 v[12:13], v[6:7], off
	v_mov_b64_e32 v[2:3], 1
	s_or_b64 s[16:17], s[16:17], exec
	s_waitcnt vmcnt(0)
	v_cmp_eq_u64_e32 vcc, v[10:11], v[12:13]
	s_and_saveexec_b64 s[18:19], vcc
	s_cbranch_execz .LBB555_75
; %bb.77:                               ;   in Loop: Header=BB555_76 Depth=1
	s_add_u32 s12, s12, -1
	s_addc_u32 s13, s13, -1
	s_cmp_eq_u64 s[12:13], 0
	s_cselect_b64 s[22:23], -1, 0
	s_andn2_b64 s[16:17], s[16:17], exec
	s_and_b64 s[22:23], s[22:23], exec
	v_lshl_add_u64 v[4:5], v[4:5], 0, 8
	v_lshl_add_u64 v[6:7], v[6:7], 0, 8
	v_mov_b64_e32 v[2:3], 0
	s_or_b64 s[16:17], s[16:17], s[22:23]
	s_branch .LBB555_75
.LBB555_78:
	s_or_b64 exec, exec, s[14:15]
	s_branch .LBB555_80
.LBB555_79:
	v_mov_b64_e32 v[2:3], 0
.LBB555_80:
	s_or_b64 exec, exec, s[2:3]
	v_mov_b64_e32 v[6:7], v[2:3]
.LBB555_81:
	s_add_u32 s6, s8, s6
	s_addc_u32 s7, s9, s7
	s_and_b64 vcc, exec, s[0:1]
	s_waitcnt lgkmcnt(0)
	s_barrier
	s_cbranch_vccz .LBB555_85
; %bb.82:
	v_and_b32_e32 v2, 0xf8, v1
	v_lshl_add_u32 v2, v0, 4, v2
	v_or_b32_e32 v10, 0x200, v0
	ds_write2_b64 v2, v[6:7], v[8:9] offset1:1
	v_lshrrev_b32_e32 v2, 2, v10
	v_and_b32_e32 v2, 0xf8, v2
	v_lshlrev_b32_e32 v4, 3, v0
	v_add_u32_e32 v2, v2, v4
	s_lshl_b32 s0, s20, 10
	s_mov_b32 s5, 0
	s_waitcnt lgkmcnt(0)
	s_barrier
	ds_read_b64 v[2:3], v2 offset:4096
	s_sub_i32 s2, s10, s0
	s_lshl_b64 s[0:1], s[4:5], 3
	s_add_u32 s0, s6, s0
	s_addc_u32 s1, s7, s1
	v_mov_b32_e32 v5, 0
	v_lshl_add_u64 v[4:5], s[0:1], 0, v[4:5]
	v_cmp_gt_u32_e32 vcc, s2, v0
	s_and_saveexec_b64 s[0:1], vcc
	s_cbranch_execz .LBB555_84
; %bb.83:
	v_lshrrev_b32_e32 v11, 2, v0
	v_and_b32_e32 v11, 0x78, v11
	v_lshl_add_u32 v11, v0, 3, v11
	ds_read_b64 v[12:13], v11
	s_waitcnt lgkmcnt(0)
	global_store_dwordx2 v[4:5], v[12:13], off
.LBB555_84:
	s_or_b64 exec, exec, s[0:1]
	v_cmp_gt_u32_e64 s[0:1], s2, v10
	s_branch .LBB555_87
.LBB555_85:
	s_mov_b64 s[0:1], 0
                                        ; implicit-def: $vgpr2_vgpr3
                                        ; implicit-def: $vgpr4_vgpr5
	s_cbranch_execz .LBB555_87
; %bb.86:
	v_and_b32_e32 v1, 0xf8, v1
	v_lshl_add_u32 v1, v0, 4, v1
	ds_write2_b64 v1, v[6:7], v[8:9] offset1:1
	v_lshrrev_b32_e32 v1, 2, v0
	v_lshlrev_b32_e32 v6, 3, v0
	v_or_b32_e32 v0, 0x200, v0
	v_lshrrev_b32_e32 v0, 2, v0
	v_and_b32_e32 v1, 0x78, v1
	v_and_b32_e32 v0, 0xf8, v0
	v_add_u32_e32 v1, v1, v6
	v_add_u32_e32 v0, v0, v6
	s_mov_b32 s5, 0
	s_waitcnt lgkmcnt(0)
	s_barrier
	ds_read_b64 v[8:9], v1
	ds_read_b64 v[2:3], v0 offset:4096
	s_lshl_b64 s[2:3], s[4:5], 3
	s_add_u32 s2, s6, s2
	s_addc_u32 s3, s7, s3
	v_mov_b32_e32 v7, 0
	v_lshl_add_u64 v[4:5], s[2:3], 0, v[6:7]
	s_or_b64 s[0:1], s[0:1], exec
	s_waitcnt lgkmcnt(1)
	global_store_dwordx2 v6, v[8:9], s[2:3]
.LBB555_87:
	s_and_saveexec_b64 s[2:3], s[0:1]
	s_cbranch_execnz .LBB555_89
; %bb.88:
	s_endpgm
.LBB555_89:
	v_add_co_u32_e32 v0, vcc, 0x1000, v4
	s_nop 1
	v_addc_co_u32_e32 v1, vcc, 0, v5, vcc
	s_waitcnt lgkmcnt(0)
	global_store_dwordx2 v[0:1], v[2:3], off
	s_endpgm
	.section	.rodata,"a",@progbits
	.p2align	6, 0x0
	.amdhsa_kernel _ZN7rocprim17ROCPRIM_400000_NS6detail17trampoline_kernelINS0_14default_configENS1_35adjacent_difference_config_selectorILb1ElEEZNS1_24adjacent_difference_implIS3_Lb1ELb0EPlS7_ZN2at6native12_GLOBAL__N_124unique_dim_cuda_templateIlEESt5tupleIJNS8_6TensorESD_SD_EERKSD_lbbbEUlllE1_EE10hipError_tPvRmT2_T3_mT4_P12ihipStream_tbEUlT_E_NS1_11comp_targetILNS1_3genE0ELNS1_11target_archE4294967295ELNS1_3gpuE0ELNS1_3repE0EEENS1_30default_config_static_selectorELNS0_4arch9wavefront6targetE1EEEvT1_
		.amdhsa_group_segment_fixed_size 8448
		.amdhsa_private_segment_fixed_size 0
		.amdhsa_kernarg_size 64
		.amdhsa_user_sgpr_count 2
		.amdhsa_user_sgpr_dispatch_ptr 0
		.amdhsa_user_sgpr_queue_ptr 0
		.amdhsa_user_sgpr_kernarg_segment_ptr 1
		.amdhsa_user_sgpr_dispatch_id 0
		.amdhsa_user_sgpr_kernarg_preload_length 0
		.amdhsa_user_sgpr_kernarg_preload_offset 0
		.amdhsa_user_sgpr_private_segment_size 0
		.amdhsa_uses_dynamic_stack 0
		.amdhsa_enable_private_segment 0
		.amdhsa_system_sgpr_workgroup_id_x 1
		.amdhsa_system_sgpr_workgroup_id_y 0
		.amdhsa_system_sgpr_workgroup_id_z 0
		.amdhsa_system_sgpr_workgroup_info 0
		.amdhsa_system_vgpr_workitem_id 0
		.amdhsa_next_free_vgpr 18
		.amdhsa_next_free_sgpr 36
		.amdhsa_accum_offset 20
		.amdhsa_reserve_vcc 1
		.amdhsa_float_round_mode_32 0
		.amdhsa_float_round_mode_16_64 0
		.amdhsa_float_denorm_mode_32 3
		.amdhsa_float_denorm_mode_16_64 3
		.amdhsa_dx10_clamp 1
		.amdhsa_ieee_mode 1
		.amdhsa_fp16_overflow 0
		.amdhsa_tg_split 0
		.amdhsa_exception_fp_ieee_invalid_op 0
		.amdhsa_exception_fp_denorm_src 0
		.amdhsa_exception_fp_ieee_div_zero 0
		.amdhsa_exception_fp_ieee_overflow 0
		.amdhsa_exception_fp_ieee_underflow 0
		.amdhsa_exception_fp_ieee_inexact 0
		.amdhsa_exception_int_div_zero 0
	.end_amdhsa_kernel
	.section	.text._ZN7rocprim17ROCPRIM_400000_NS6detail17trampoline_kernelINS0_14default_configENS1_35adjacent_difference_config_selectorILb1ElEEZNS1_24adjacent_difference_implIS3_Lb1ELb0EPlS7_ZN2at6native12_GLOBAL__N_124unique_dim_cuda_templateIlEESt5tupleIJNS8_6TensorESD_SD_EERKSD_lbbbEUlllE1_EE10hipError_tPvRmT2_T3_mT4_P12ihipStream_tbEUlT_E_NS1_11comp_targetILNS1_3genE0ELNS1_11target_archE4294967295ELNS1_3gpuE0ELNS1_3repE0EEENS1_30default_config_static_selectorELNS0_4arch9wavefront6targetE1EEEvT1_,"axG",@progbits,_ZN7rocprim17ROCPRIM_400000_NS6detail17trampoline_kernelINS0_14default_configENS1_35adjacent_difference_config_selectorILb1ElEEZNS1_24adjacent_difference_implIS3_Lb1ELb0EPlS7_ZN2at6native12_GLOBAL__N_124unique_dim_cuda_templateIlEESt5tupleIJNS8_6TensorESD_SD_EERKSD_lbbbEUlllE1_EE10hipError_tPvRmT2_T3_mT4_P12ihipStream_tbEUlT_E_NS1_11comp_targetILNS1_3genE0ELNS1_11target_archE4294967295ELNS1_3gpuE0ELNS1_3repE0EEENS1_30default_config_static_selectorELNS0_4arch9wavefront6targetE1EEEvT1_,comdat
.Lfunc_end555:
	.size	_ZN7rocprim17ROCPRIM_400000_NS6detail17trampoline_kernelINS0_14default_configENS1_35adjacent_difference_config_selectorILb1ElEEZNS1_24adjacent_difference_implIS3_Lb1ELb0EPlS7_ZN2at6native12_GLOBAL__N_124unique_dim_cuda_templateIlEESt5tupleIJNS8_6TensorESD_SD_EERKSD_lbbbEUlllE1_EE10hipError_tPvRmT2_T3_mT4_P12ihipStream_tbEUlT_E_NS1_11comp_targetILNS1_3genE0ELNS1_11target_archE4294967295ELNS1_3gpuE0ELNS1_3repE0EEENS1_30default_config_static_selectorELNS0_4arch9wavefront6targetE1EEEvT1_, .Lfunc_end555-_ZN7rocprim17ROCPRIM_400000_NS6detail17trampoline_kernelINS0_14default_configENS1_35adjacent_difference_config_selectorILb1ElEEZNS1_24adjacent_difference_implIS3_Lb1ELb0EPlS7_ZN2at6native12_GLOBAL__N_124unique_dim_cuda_templateIlEESt5tupleIJNS8_6TensorESD_SD_EERKSD_lbbbEUlllE1_EE10hipError_tPvRmT2_T3_mT4_P12ihipStream_tbEUlT_E_NS1_11comp_targetILNS1_3genE0ELNS1_11target_archE4294967295ELNS1_3gpuE0ELNS1_3repE0EEENS1_30default_config_static_selectorELNS0_4arch9wavefront6targetE1EEEvT1_
                                        ; -- End function
	.set _ZN7rocprim17ROCPRIM_400000_NS6detail17trampoline_kernelINS0_14default_configENS1_35adjacent_difference_config_selectorILb1ElEEZNS1_24adjacent_difference_implIS3_Lb1ELb0EPlS7_ZN2at6native12_GLOBAL__N_124unique_dim_cuda_templateIlEESt5tupleIJNS8_6TensorESD_SD_EERKSD_lbbbEUlllE1_EE10hipError_tPvRmT2_T3_mT4_P12ihipStream_tbEUlT_E_NS1_11comp_targetILNS1_3genE0ELNS1_11target_archE4294967295ELNS1_3gpuE0ELNS1_3repE0EEENS1_30default_config_static_selectorELNS0_4arch9wavefront6targetE1EEEvT1_.num_vgpr, 18
	.set _ZN7rocprim17ROCPRIM_400000_NS6detail17trampoline_kernelINS0_14default_configENS1_35adjacent_difference_config_selectorILb1ElEEZNS1_24adjacent_difference_implIS3_Lb1ELb0EPlS7_ZN2at6native12_GLOBAL__N_124unique_dim_cuda_templateIlEESt5tupleIJNS8_6TensorESD_SD_EERKSD_lbbbEUlllE1_EE10hipError_tPvRmT2_T3_mT4_P12ihipStream_tbEUlT_E_NS1_11comp_targetILNS1_3genE0ELNS1_11target_archE4294967295ELNS1_3gpuE0ELNS1_3repE0EEENS1_30default_config_static_selectorELNS0_4arch9wavefront6targetE1EEEvT1_.num_agpr, 0
	.set _ZN7rocprim17ROCPRIM_400000_NS6detail17trampoline_kernelINS0_14default_configENS1_35adjacent_difference_config_selectorILb1ElEEZNS1_24adjacent_difference_implIS3_Lb1ELb0EPlS7_ZN2at6native12_GLOBAL__N_124unique_dim_cuda_templateIlEESt5tupleIJNS8_6TensorESD_SD_EERKSD_lbbbEUlllE1_EE10hipError_tPvRmT2_T3_mT4_P12ihipStream_tbEUlT_E_NS1_11comp_targetILNS1_3genE0ELNS1_11target_archE4294967295ELNS1_3gpuE0ELNS1_3repE0EEENS1_30default_config_static_selectorELNS0_4arch9wavefront6targetE1EEEvT1_.numbered_sgpr, 36
	.set _ZN7rocprim17ROCPRIM_400000_NS6detail17trampoline_kernelINS0_14default_configENS1_35adjacent_difference_config_selectorILb1ElEEZNS1_24adjacent_difference_implIS3_Lb1ELb0EPlS7_ZN2at6native12_GLOBAL__N_124unique_dim_cuda_templateIlEESt5tupleIJNS8_6TensorESD_SD_EERKSD_lbbbEUlllE1_EE10hipError_tPvRmT2_T3_mT4_P12ihipStream_tbEUlT_E_NS1_11comp_targetILNS1_3genE0ELNS1_11target_archE4294967295ELNS1_3gpuE0ELNS1_3repE0EEENS1_30default_config_static_selectorELNS0_4arch9wavefront6targetE1EEEvT1_.num_named_barrier, 0
	.set _ZN7rocprim17ROCPRIM_400000_NS6detail17trampoline_kernelINS0_14default_configENS1_35adjacent_difference_config_selectorILb1ElEEZNS1_24adjacent_difference_implIS3_Lb1ELb0EPlS7_ZN2at6native12_GLOBAL__N_124unique_dim_cuda_templateIlEESt5tupleIJNS8_6TensorESD_SD_EERKSD_lbbbEUlllE1_EE10hipError_tPvRmT2_T3_mT4_P12ihipStream_tbEUlT_E_NS1_11comp_targetILNS1_3genE0ELNS1_11target_archE4294967295ELNS1_3gpuE0ELNS1_3repE0EEENS1_30default_config_static_selectorELNS0_4arch9wavefront6targetE1EEEvT1_.private_seg_size, 0
	.set _ZN7rocprim17ROCPRIM_400000_NS6detail17trampoline_kernelINS0_14default_configENS1_35adjacent_difference_config_selectorILb1ElEEZNS1_24adjacent_difference_implIS3_Lb1ELb0EPlS7_ZN2at6native12_GLOBAL__N_124unique_dim_cuda_templateIlEESt5tupleIJNS8_6TensorESD_SD_EERKSD_lbbbEUlllE1_EE10hipError_tPvRmT2_T3_mT4_P12ihipStream_tbEUlT_E_NS1_11comp_targetILNS1_3genE0ELNS1_11target_archE4294967295ELNS1_3gpuE0ELNS1_3repE0EEENS1_30default_config_static_selectorELNS0_4arch9wavefront6targetE1EEEvT1_.uses_vcc, 1
	.set _ZN7rocprim17ROCPRIM_400000_NS6detail17trampoline_kernelINS0_14default_configENS1_35adjacent_difference_config_selectorILb1ElEEZNS1_24adjacent_difference_implIS3_Lb1ELb0EPlS7_ZN2at6native12_GLOBAL__N_124unique_dim_cuda_templateIlEESt5tupleIJNS8_6TensorESD_SD_EERKSD_lbbbEUlllE1_EE10hipError_tPvRmT2_T3_mT4_P12ihipStream_tbEUlT_E_NS1_11comp_targetILNS1_3genE0ELNS1_11target_archE4294967295ELNS1_3gpuE0ELNS1_3repE0EEENS1_30default_config_static_selectorELNS0_4arch9wavefront6targetE1EEEvT1_.uses_flat_scratch, 0
	.set _ZN7rocprim17ROCPRIM_400000_NS6detail17trampoline_kernelINS0_14default_configENS1_35adjacent_difference_config_selectorILb1ElEEZNS1_24adjacent_difference_implIS3_Lb1ELb0EPlS7_ZN2at6native12_GLOBAL__N_124unique_dim_cuda_templateIlEESt5tupleIJNS8_6TensorESD_SD_EERKSD_lbbbEUlllE1_EE10hipError_tPvRmT2_T3_mT4_P12ihipStream_tbEUlT_E_NS1_11comp_targetILNS1_3genE0ELNS1_11target_archE4294967295ELNS1_3gpuE0ELNS1_3repE0EEENS1_30default_config_static_selectorELNS0_4arch9wavefront6targetE1EEEvT1_.has_dyn_sized_stack, 0
	.set _ZN7rocprim17ROCPRIM_400000_NS6detail17trampoline_kernelINS0_14default_configENS1_35adjacent_difference_config_selectorILb1ElEEZNS1_24adjacent_difference_implIS3_Lb1ELb0EPlS7_ZN2at6native12_GLOBAL__N_124unique_dim_cuda_templateIlEESt5tupleIJNS8_6TensorESD_SD_EERKSD_lbbbEUlllE1_EE10hipError_tPvRmT2_T3_mT4_P12ihipStream_tbEUlT_E_NS1_11comp_targetILNS1_3genE0ELNS1_11target_archE4294967295ELNS1_3gpuE0ELNS1_3repE0EEENS1_30default_config_static_selectorELNS0_4arch9wavefront6targetE1EEEvT1_.has_recursion, 0
	.set _ZN7rocprim17ROCPRIM_400000_NS6detail17trampoline_kernelINS0_14default_configENS1_35adjacent_difference_config_selectorILb1ElEEZNS1_24adjacent_difference_implIS3_Lb1ELb0EPlS7_ZN2at6native12_GLOBAL__N_124unique_dim_cuda_templateIlEESt5tupleIJNS8_6TensorESD_SD_EERKSD_lbbbEUlllE1_EE10hipError_tPvRmT2_T3_mT4_P12ihipStream_tbEUlT_E_NS1_11comp_targetILNS1_3genE0ELNS1_11target_archE4294967295ELNS1_3gpuE0ELNS1_3repE0EEENS1_30default_config_static_selectorELNS0_4arch9wavefront6targetE1EEEvT1_.has_indirect_call, 0
	.section	.AMDGPU.csdata,"",@progbits
; Kernel info:
; codeLenInByte = 3144
; TotalNumSgprs: 42
; NumVgprs: 18
; NumAgprs: 0
; TotalNumVgprs: 18
; ScratchSize: 0
; MemoryBound: 0
; FloatMode: 240
; IeeeMode: 1
; LDSByteSize: 8448 bytes/workgroup (compile time only)
; SGPRBlocks: 5
; VGPRBlocks: 2
; NumSGPRsForWavesPerEU: 42
; NumVGPRsForWavesPerEU: 18
; AccumOffset: 20
; Occupancy: 8
; WaveLimiterHint : 1
; COMPUTE_PGM_RSRC2:SCRATCH_EN: 0
; COMPUTE_PGM_RSRC2:USER_SGPR: 2
; COMPUTE_PGM_RSRC2:TRAP_HANDLER: 0
; COMPUTE_PGM_RSRC2:TGID_X_EN: 1
; COMPUTE_PGM_RSRC2:TGID_Y_EN: 0
; COMPUTE_PGM_RSRC2:TGID_Z_EN: 0
; COMPUTE_PGM_RSRC2:TIDIG_COMP_CNT: 0
; COMPUTE_PGM_RSRC3_GFX90A:ACCUM_OFFSET: 4
; COMPUTE_PGM_RSRC3_GFX90A:TG_SPLIT: 0
	.section	.text._ZN7rocprim17ROCPRIM_400000_NS6detail17trampoline_kernelINS0_14default_configENS1_35adjacent_difference_config_selectorILb1ElEEZNS1_24adjacent_difference_implIS3_Lb1ELb0EPlS7_ZN2at6native12_GLOBAL__N_124unique_dim_cuda_templateIlEESt5tupleIJNS8_6TensorESD_SD_EERKSD_lbbbEUlllE1_EE10hipError_tPvRmT2_T3_mT4_P12ihipStream_tbEUlT_E_NS1_11comp_targetILNS1_3genE10ELNS1_11target_archE1201ELNS1_3gpuE5ELNS1_3repE0EEENS1_30default_config_static_selectorELNS0_4arch9wavefront6targetE1EEEvT1_,"axG",@progbits,_ZN7rocprim17ROCPRIM_400000_NS6detail17trampoline_kernelINS0_14default_configENS1_35adjacent_difference_config_selectorILb1ElEEZNS1_24adjacent_difference_implIS3_Lb1ELb0EPlS7_ZN2at6native12_GLOBAL__N_124unique_dim_cuda_templateIlEESt5tupleIJNS8_6TensorESD_SD_EERKSD_lbbbEUlllE1_EE10hipError_tPvRmT2_T3_mT4_P12ihipStream_tbEUlT_E_NS1_11comp_targetILNS1_3genE10ELNS1_11target_archE1201ELNS1_3gpuE5ELNS1_3repE0EEENS1_30default_config_static_selectorELNS0_4arch9wavefront6targetE1EEEvT1_,comdat
	.globl	_ZN7rocprim17ROCPRIM_400000_NS6detail17trampoline_kernelINS0_14default_configENS1_35adjacent_difference_config_selectorILb1ElEEZNS1_24adjacent_difference_implIS3_Lb1ELb0EPlS7_ZN2at6native12_GLOBAL__N_124unique_dim_cuda_templateIlEESt5tupleIJNS8_6TensorESD_SD_EERKSD_lbbbEUlllE1_EE10hipError_tPvRmT2_T3_mT4_P12ihipStream_tbEUlT_E_NS1_11comp_targetILNS1_3genE10ELNS1_11target_archE1201ELNS1_3gpuE5ELNS1_3repE0EEENS1_30default_config_static_selectorELNS0_4arch9wavefront6targetE1EEEvT1_ ; -- Begin function _ZN7rocprim17ROCPRIM_400000_NS6detail17trampoline_kernelINS0_14default_configENS1_35adjacent_difference_config_selectorILb1ElEEZNS1_24adjacent_difference_implIS3_Lb1ELb0EPlS7_ZN2at6native12_GLOBAL__N_124unique_dim_cuda_templateIlEESt5tupleIJNS8_6TensorESD_SD_EERKSD_lbbbEUlllE1_EE10hipError_tPvRmT2_T3_mT4_P12ihipStream_tbEUlT_E_NS1_11comp_targetILNS1_3genE10ELNS1_11target_archE1201ELNS1_3gpuE5ELNS1_3repE0EEENS1_30default_config_static_selectorELNS0_4arch9wavefront6targetE1EEEvT1_
	.p2align	8
	.type	_ZN7rocprim17ROCPRIM_400000_NS6detail17trampoline_kernelINS0_14default_configENS1_35adjacent_difference_config_selectorILb1ElEEZNS1_24adjacent_difference_implIS3_Lb1ELb0EPlS7_ZN2at6native12_GLOBAL__N_124unique_dim_cuda_templateIlEESt5tupleIJNS8_6TensorESD_SD_EERKSD_lbbbEUlllE1_EE10hipError_tPvRmT2_T3_mT4_P12ihipStream_tbEUlT_E_NS1_11comp_targetILNS1_3genE10ELNS1_11target_archE1201ELNS1_3gpuE5ELNS1_3repE0EEENS1_30default_config_static_selectorELNS0_4arch9wavefront6targetE1EEEvT1_,@function
_ZN7rocprim17ROCPRIM_400000_NS6detail17trampoline_kernelINS0_14default_configENS1_35adjacent_difference_config_selectorILb1ElEEZNS1_24adjacent_difference_implIS3_Lb1ELb0EPlS7_ZN2at6native12_GLOBAL__N_124unique_dim_cuda_templateIlEESt5tupleIJNS8_6TensorESD_SD_EERKSD_lbbbEUlllE1_EE10hipError_tPvRmT2_T3_mT4_P12ihipStream_tbEUlT_E_NS1_11comp_targetILNS1_3genE10ELNS1_11target_archE1201ELNS1_3gpuE5ELNS1_3repE0EEENS1_30default_config_static_selectorELNS0_4arch9wavefront6targetE1EEEvT1_: ; @_ZN7rocprim17ROCPRIM_400000_NS6detail17trampoline_kernelINS0_14default_configENS1_35adjacent_difference_config_selectorILb1ElEEZNS1_24adjacent_difference_implIS3_Lb1ELb0EPlS7_ZN2at6native12_GLOBAL__N_124unique_dim_cuda_templateIlEESt5tupleIJNS8_6TensorESD_SD_EERKSD_lbbbEUlllE1_EE10hipError_tPvRmT2_T3_mT4_P12ihipStream_tbEUlT_E_NS1_11comp_targetILNS1_3genE10ELNS1_11target_archE1201ELNS1_3gpuE5ELNS1_3repE0EEENS1_30default_config_static_selectorELNS0_4arch9wavefront6targetE1EEEvT1_
; %bb.0:
	.section	.rodata,"a",@progbits
	.p2align	6, 0x0
	.amdhsa_kernel _ZN7rocprim17ROCPRIM_400000_NS6detail17trampoline_kernelINS0_14default_configENS1_35adjacent_difference_config_selectorILb1ElEEZNS1_24adjacent_difference_implIS3_Lb1ELb0EPlS7_ZN2at6native12_GLOBAL__N_124unique_dim_cuda_templateIlEESt5tupleIJNS8_6TensorESD_SD_EERKSD_lbbbEUlllE1_EE10hipError_tPvRmT2_T3_mT4_P12ihipStream_tbEUlT_E_NS1_11comp_targetILNS1_3genE10ELNS1_11target_archE1201ELNS1_3gpuE5ELNS1_3repE0EEENS1_30default_config_static_selectorELNS0_4arch9wavefront6targetE1EEEvT1_
		.amdhsa_group_segment_fixed_size 0
		.amdhsa_private_segment_fixed_size 0
		.amdhsa_kernarg_size 64
		.amdhsa_user_sgpr_count 2
		.amdhsa_user_sgpr_dispatch_ptr 0
		.amdhsa_user_sgpr_queue_ptr 0
		.amdhsa_user_sgpr_kernarg_segment_ptr 1
		.amdhsa_user_sgpr_dispatch_id 0
		.amdhsa_user_sgpr_kernarg_preload_length 0
		.amdhsa_user_sgpr_kernarg_preload_offset 0
		.amdhsa_user_sgpr_private_segment_size 0
		.amdhsa_uses_dynamic_stack 0
		.amdhsa_enable_private_segment 0
		.amdhsa_system_sgpr_workgroup_id_x 1
		.amdhsa_system_sgpr_workgroup_id_y 0
		.amdhsa_system_sgpr_workgroup_id_z 0
		.amdhsa_system_sgpr_workgroup_info 0
		.amdhsa_system_vgpr_workitem_id 0
		.amdhsa_next_free_vgpr 1
		.amdhsa_next_free_sgpr 0
		.amdhsa_accum_offset 4
		.amdhsa_reserve_vcc 0
		.amdhsa_float_round_mode_32 0
		.amdhsa_float_round_mode_16_64 0
		.amdhsa_float_denorm_mode_32 3
		.amdhsa_float_denorm_mode_16_64 3
		.amdhsa_dx10_clamp 1
		.amdhsa_ieee_mode 1
		.amdhsa_fp16_overflow 0
		.amdhsa_tg_split 0
		.amdhsa_exception_fp_ieee_invalid_op 0
		.amdhsa_exception_fp_denorm_src 0
		.amdhsa_exception_fp_ieee_div_zero 0
		.amdhsa_exception_fp_ieee_overflow 0
		.amdhsa_exception_fp_ieee_underflow 0
		.amdhsa_exception_fp_ieee_inexact 0
		.amdhsa_exception_int_div_zero 0
	.end_amdhsa_kernel
	.section	.text._ZN7rocprim17ROCPRIM_400000_NS6detail17trampoline_kernelINS0_14default_configENS1_35adjacent_difference_config_selectorILb1ElEEZNS1_24adjacent_difference_implIS3_Lb1ELb0EPlS7_ZN2at6native12_GLOBAL__N_124unique_dim_cuda_templateIlEESt5tupleIJNS8_6TensorESD_SD_EERKSD_lbbbEUlllE1_EE10hipError_tPvRmT2_T3_mT4_P12ihipStream_tbEUlT_E_NS1_11comp_targetILNS1_3genE10ELNS1_11target_archE1201ELNS1_3gpuE5ELNS1_3repE0EEENS1_30default_config_static_selectorELNS0_4arch9wavefront6targetE1EEEvT1_,"axG",@progbits,_ZN7rocprim17ROCPRIM_400000_NS6detail17trampoline_kernelINS0_14default_configENS1_35adjacent_difference_config_selectorILb1ElEEZNS1_24adjacent_difference_implIS3_Lb1ELb0EPlS7_ZN2at6native12_GLOBAL__N_124unique_dim_cuda_templateIlEESt5tupleIJNS8_6TensorESD_SD_EERKSD_lbbbEUlllE1_EE10hipError_tPvRmT2_T3_mT4_P12ihipStream_tbEUlT_E_NS1_11comp_targetILNS1_3genE10ELNS1_11target_archE1201ELNS1_3gpuE5ELNS1_3repE0EEENS1_30default_config_static_selectorELNS0_4arch9wavefront6targetE1EEEvT1_,comdat
.Lfunc_end556:
	.size	_ZN7rocprim17ROCPRIM_400000_NS6detail17trampoline_kernelINS0_14default_configENS1_35adjacent_difference_config_selectorILb1ElEEZNS1_24adjacent_difference_implIS3_Lb1ELb0EPlS7_ZN2at6native12_GLOBAL__N_124unique_dim_cuda_templateIlEESt5tupleIJNS8_6TensorESD_SD_EERKSD_lbbbEUlllE1_EE10hipError_tPvRmT2_T3_mT4_P12ihipStream_tbEUlT_E_NS1_11comp_targetILNS1_3genE10ELNS1_11target_archE1201ELNS1_3gpuE5ELNS1_3repE0EEENS1_30default_config_static_selectorELNS0_4arch9wavefront6targetE1EEEvT1_, .Lfunc_end556-_ZN7rocprim17ROCPRIM_400000_NS6detail17trampoline_kernelINS0_14default_configENS1_35adjacent_difference_config_selectorILb1ElEEZNS1_24adjacent_difference_implIS3_Lb1ELb0EPlS7_ZN2at6native12_GLOBAL__N_124unique_dim_cuda_templateIlEESt5tupleIJNS8_6TensorESD_SD_EERKSD_lbbbEUlllE1_EE10hipError_tPvRmT2_T3_mT4_P12ihipStream_tbEUlT_E_NS1_11comp_targetILNS1_3genE10ELNS1_11target_archE1201ELNS1_3gpuE5ELNS1_3repE0EEENS1_30default_config_static_selectorELNS0_4arch9wavefront6targetE1EEEvT1_
                                        ; -- End function
	.set _ZN7rocprim17ROCPRIM_400000_NS6detail17trampoline_kernelINS0_14default_configENS1_35adjacent_difference_config_selectorILb1ElEEZNS1_24adjacent_difference_implIS3_Lb1ELb0EPlS7_ZN2at6native12_GLOBAL__N_124unique_dim_cuda_templateIlEESt5tupleIJNS8_6TensorESD_SD_EERKSD_lbbbEUlllE1_EE10hipError_tPvRmT2_T3_mT4_P12ihipStream_tbEUlT_E_NS1_11comp_targetILNS1_3genE10ELNS1_11target_archE1201ELNS1_3gpuE5ELNS1_3repE0EEENS1_30default_config_static_selectorELNS0_4arch9wavefront6targetE1EEEvT1_.num_vgpr, 0
	.set _ZN7rocprim17ROCPRIM_400000_NS6detail17trampoline_kernelINS0_14default_configENS1_35adjacent_difference_config_selectorILb1ElEEZNS1_24adjacent_difference_implIS3_Lb1ELb0EPlS7_ZN2at6native12_GLOBAL__N_124unique_dim_cuda_templateIlEESt5tupleIJNS8_6TensorESD_SD_EERKSD_lbbbEUlllE1_EE10hipError_tPvRmT2_T3_mT4_P12ihipStream_tbEUlT_E_NS1_11comp_targetILNS1_3genE10ELNS1_11target_archE1201ELNS1_3gpuE5ELNS1_3repE0EEENS1_30default_config_static_selectorELNS0_4arch9wavefront6targetE1EEEvT1_.num_agpr, 0
	.set _ZN7rocprim17ROCPRIM_400000_NS6detail17trampoline_kernelINS0_14default_configENS1_35adjacent_difference_config_selectorILb1ElEEZNS1_24adjacent_difference_implIS3_Lb1ELb0EPlS7_ZN2at6native12_GLOBAL__N_124unique_dim_cuda_templateIlEESt5tupleIJNS8_6TensorESD_SD_EERKSD_lbbbEUlllE1_EE10hipError_tPvRmT2_T3_mT4_P12ihipStream_tbEUlT_E_NS1_11comp_targetILNS1_3genE10ELNS1_11target_archE1201ELNS1_3gpuE5ELNS1_3repE0EEENS1_30default_config_static_selectorELNS0_4arch9wavefront6targetE1EEEvT1_.numbered_sgpr, 0
	.set _ZN7rocprim17ROCPRIM_400000_NS6detail17trampoline_kernelINS0_14default_configENS1_35adjacent_difference_config_selectorILb1ElEEZNS1_24adjacent_difference_implIS3_Lb1ELb0EPlS7_ZN2at6native12_GLOBAL__N_124unique_dim_cuda_templateIlEESt5tupleIJNS8_6TensorESD_SD_EERKSD_lbbbEUlllE1_EE10hipError_tPvRmT2_T3_mT4_P12ihipStream_tbEUlT_E_NS1_11comp_targetILNS1_3genE10ELNS1_11target_archE1201ELNS1_3gpuE5ELNS1_3repE0EEENS1_30default_config_static_selectorELNS0_4arch9wavefront6targetE1EEEvT1_.num_named_barrier, 0
	.set _ZN7rocprim17ROCPRIM_400000_NS6detail17trampoline_kernelINS0_14default_configENS1_35adjacent_difference_config_selectorILb1ElEEZNS1_24adjacent_difference_implIS3_Lb1ELb0EPlS7_ZN2at6native12_GLOBAL__N_124unique_dim_cuda_templateIlEESt5tupleIJNS8_6TensorESD_SD_EERKSD_lbbbEUlllE1_EE10hipError_tPvRmT2_T3_mT4_P12ihipStream_tbEUlT_E_NS1_11comp_targetILNS1_3genE10ELNS1_11target_archE1201ELNS1_3gpuE5ELNS1_3repE0EEENS1_30default_config_static_selectorELNS0_4arch9wavefront6targetE1EEEvT1_.private_seg_size, 0
	.set _ZN7rocprim17ROCPRIM_400000_NS6detail17trampoline_kernelINS0_14default_configENS1_35adjacent_difference_config_selectorILb1ElEEZNS1_24adjacent_difference_implIS3_Lb1ELb0EPlS7_ZN2at6native12_GLOBAL__N_124unique_dim_cuda_templateIlEESt5tupleIJNS8_6TensorESD_SD_EERKSD_lbbbEUlllE1_EE10hipError_tPvRmT2_T3_mT4_P12ihipStream_tbEUlT_E_NS1_11comp_targetILNS1_3genE10ELNS1_11target_archE1201ELNS1_3gpuE5ELNS1_3repE0EEENS1_30default_config_static_selectorELNS0_4arch9wavefront6targetE1EEEvT1_.uses_vcc, 0
	.set _ZN7rocprim17ROCPRIM_400000_NS6detail17trampoline_kernelINS0_14default_configENS1_35adjacent_difference_config_selectorILb1ElEEZNS1_24adjacent_difference_implIS3_Lb1ELb0EPlS7_ZN2at6native12_GLOBAL__N_124unique_dim_cuda_templateIlEESt5tupleIJNS8_6TensorESD_SD_EERKSD_lbbbEUlllE1_EE10hipError_tPvRmT2_T3_mT4_P12ihipStream_tbEUlT_E_NS1_11comp_targetILNS1_3genE10ELNS1_11target_archE1201ELNS1_3gpuE5ELNS1_3repE0EEENS1_30default_config_static_selectorELNS0_4arch9wavefront6targetE1EEEvT1_.uses_flat_scratch, 0
	.set _ZN7rocprim17ROCPRIM_400000_NS6detail17trampoline_kernelINS0_14default_configENS1_35adjacent_difference_config_selectorILb1ElEEZNS1_24adjacent_difference_implIS3_Lb1ELb0EPlS7_ZN2at6native12_GLOBAL__N_124unique_dim_cuda_templateIlEESt5tupleIJNS8_6TensorESD_SD_EERKSD_lbbbEUlllE1_EE10hipError_tPvRmT2_T3_mT4_P12ihipStream_tbEUlT_E_NS1_11comp_targetILNS1_3genE10ELNS1_11target_archE1201ELNS1_3gpuE5ELNS1_3repE0EEENS1_30default_config_static_selectorELNS0_4arch9wavefront6targetE1EEEvT1_.has_dyn_sized_stack, 0
	.set _ZN7rocprim17ROCPRIM_400000_NS6detail17trampoline_kernelINS0_14default_configENS1_35adjacent_difference_config_selectorILb1ElEEZNS1_24adjacent_difference_implIS3_Lb1ELb0EPlS7_ZN2at6native12_GLOBAL__N_124unique_dim_cuda_templateIlEESt5tupleIJNS8_6TensorESD_SD_EERKSD_lbbbEUlllE1_EE10hipError_tPvRmT2_T3_mT4_P12ihipStream_tbEUlT_E_NS1_11comp_targetILNS1_3genE10ELNS1_11target_archE1201ELNS1_3gpuE5ELNS1_3repE0EEENS1_30default_config_static_selectorELNS0_4arch9wavefront6targetE1EEEvT1_.has_recursion, 0
	.set _ZN7rocprim17ROCPRIM_400000_NS6detail17trampoline_kernelINS0_14default_configENS1_35adjacent_difference_config_selectorILb1ElEEZNS1_24adjacent_difference_implIS3_Lb1ELb0EPlS7_ZN2at6native12_GLOBAL__N_124unique_dim_cuda_templateIlEESt5tupleIJNS8_6TensorESD_SD_EERKSD_lbbbEUlllE1_EE10hipError_tPvRmT2_T3_mT4_P12ihipStream_tbEUlT_E_NS1_11comp_targetILNS1_3genE10ELNS1_11target_archE1201ELNS1_3gpuE5ELNS1_3repE0EEENS1_30default_config_static_selectorELNS0_4arch9wavefront6targetE1EEEvT1_.has_indirect_call, 0
	.section	.AMDGPU.csdata,"",@progbits
; Kernel info:
; codeLenInByte = 0
; TotalNumSgprs: 6
; NumVgprs: 0
; NumAgprs: 0
; TotalNumVgprs: 0
; ScratchSize: 0
; MemoryBound: 0
; FloatMode: 240
; IeeeMode: 1
; LDSByteSize: 0 bytes/workgroup (compile time only)
; SGPRBlocks: 0
; VGPRBlocks: 0
; NumSGPRsForWavesPerEU: 6
; NumVGPRsForWavesPerEU: 1
; AccumOffset: 4
; Occupancy: 8
; WaveLimiterHint : 0
; COMPUTE_PGM_RSRC2:SCRATCH_EN: 0
; COMPUTE_PGM_RSRC2:USER_SGPR: 2
; COMPUTE_PGM_RSRC2:TRAP_HANDLER: 0
; COMPUTE_PGM_RSRC2:TGID_X_EN: 1
; COMPUTE_PGM_RSRC2:TGID_Y_EN: 0
; COMPUTE_PGM_RSRC2:TGID_Z_EN: 0
; COMPUTE_PGM_RSRC2:TIDIG_COMP_CNT: 0
; COMPUTE_PGM_RSRC3_GFX90A:ACCUM_OFFSET: 0
; COMPUTE_PGM_RSRC3_GFX90A:TG_SPLIT: 0
	.section	.text._ZN7rocprim17ROCPRIM_400000_NS6detail17trampoline_kernelINS0_14default_configENS1_35adjacent_difference_config_selectorILb1ElEEZNS1_24adjacent_difference_implIS3_Lb1ELb0EPlS7_ZN2at6native12_GLOBAL__N_124unique_dim_cuda_templateIlEESt5tupleIJNS8_6TensorESD_SD_EERKSD_lbbbEUlllE1_EE10hipError_tPvRmT2_T3_mT4_P12ihipStream_tbEUlT_E_NS1_11comp_targetILNS1_3genE5ELNS1_11target_archE942ELNS1_3gpuE9ELNS1_3repE0EEENS1_30default_config_static_selectorELNS0_4arch9wavefront6targetE1EEEvT1_,"axG",@progbits,_ZN7rocprim17ROCPRIM_400000_NS6detail17trampoline_kernelINS0_14default_configENS1_35adjacent_difference_config_selectorILb1ElEEZNS1_24adjacent_difference_implIS3_Lb1ELb0EPlS7_ZN2at6native12_GLOBAL__N_124unique_dim_cuda_templateIlEESt5tupleIJNS8_6TensorESD_SD_EERKSD_lbbbEUlllE1_EE10hipError_tPvRmT2_T3_mT4_P12ihipStream_tbEUlT_E_NS1_11comp_targetILNS1_3genE5ELNS1_11target_archE942ELNS1_3gpuE9ELNS1_3repE0EEENS1_30default_config_static_selectorELNS0_4arch9wavefront6targetE1EEEvT1_,comdat
	.globl	_ZN7rocprim17ROCPRIM_400000_NS6detail17trampoline_kernelINS0_14default_configENS1_35adjacent_difference_config_selectorILb1ElEEZNS1_24adjacent_difference_implIS3_Lb1ELb0EPlS7_ZN2at6native12_GLOBAL__N_124unique_dim_cuda_templateIlEESt5tupleIJNS8_6TensorESD_SD_EERKSD_lbbbEUlllE1_EE10hipError_tPvRmT2_T3_mT4_P12ihipStream_tbEUlT_E_NS1_11comp_targetILNS1_3genE5ELNS1_11target_archE942ELNS1_3gpuE9ELNS1_3repE0EEENS1_30default_config_static_selectorELNS0_4arch9wavefront6targetE1EEEvT1_ ; -- Begin function _ZN7rocprim17ROCPRIM_400000_NS6detail17trampoline_kernelINS0_14default_configENS1_35adjacent_difference_config_selectorILb1ElEEZNS1_24adjacent_difference_implIS3_Lb1ELb0EPlS7_ZN2at6native12_GLOBAL__N_124unique_dim_cuda_templateIlEESt5tupleIJNS8_6TensorESD_SD_EERKSD_lbbbEUlllE1_EE10hipError_tPvRmT2_T3_mT4_P12ihipStream_tbEUlT_E_NS1_11comp_targetILNS1_3genE5ELNS1_11target_archE942ELNS1_3gpuE9ELNS1_3repE0EEENS1_30default_config_static_selectorELNS0_4arch9wavefront6targetE1EEEvT1_
	.p2align	8
	.type	_ZN7rocprim17ROCPRIM_400000_NS6detail17trampoline_kernelINS0_14default_configENS1_35adjacent_difference_config_selectorILb1ElEEZNS1_24adjacent_difference_implIS3_Lb1ELb0EPlS7_ZN2at6native12_GLOBAL__N_124unique_dim_cuda_templateIlEESt5tupleIJNS8_6TensorESD_SD_EERKSD_lbbbEUlllE1_EE10hipError_tPvRmT2_T3_mT4_P12ihipStream_tbEUlT_E_NS1_11comp_targetILNS1_3genE5ELNS1_11target_archE942ELNS1_3gpuE9ELNS1_3repE0EEENS1_30default_config_static_selectorELNS0_4arch9wavefront6targetE1EEEvT1_,@function
_ZN7rocprim17ROCPRIM_400000_NS6detail17trampoline_kernelINS0_14default_configENS1_35adjacent_difference_config_selectorILb1ElEEZNS1_24adjacent_difference_implIS3_Lb1ELb0EPlS7_ZN2at6native12_GLOBAL__N_124unique_dim_cuda_templateIlEESt5tupleIJNS8_6TensorESD_SD_EERKSD_lbbbEUlllE1_EE10hipError_tPvRmT2_T3_mT4_P12ihipStream_tbEUlT_E_NS1_11comp_targetILNS1_3genE5ELNS1_11target_archE942ELNS1_3gpuE9ELNS1_3repE0EEENS1_30default_config_static_selectorELNS0_4arch9wavefront6targetE1EEEvT1_: ; @_ZN7rocprim17ROCPRIM_400000_NS6detail17trampoline_kernelINS0_14default_configENS1_35adjacent_difference_config_selectorILb1ElEEZNS1_24adjacent_difference_implIS3_Lb1ELb0EPlS7_ZN2at6native12_GLOBAL__N_124unique_dim_cuda_templateIlEESt5tupleIJNS8_6TensorESD_SD_EERKSD_lbbbEUlllE1_EE10hipError_tPvRmT2_T3_mT4_P12ihipStream_tbEUlT_E_NS1_11comp_targetILNS1_3genE5ELNS1_11target_archE942ELNS1_3gpuE9ELNS1_3repE0EEENS1_30default_config_static_selectorELNS0_4arch9wavefront6targetE1EEEvT1_
; %bb.0:
	.section	.rodata,"a",@progbits
	.p2align	6, 0x0
	.amdhsa_kernel _ZN7rocprim17ROCPRIM_400000_NS6detail17trampoline_kernelINS0_14default_configENS1_35adjacent_difference_config_selectorILb1ElEEZNS1_24adjacent_difference_implIS3_Lb1ELb0EPlS7_ZN2at6native12_GLOBAL__N_124unique_dim_cuda_templateIlEESt5tupleIJNS8_6TensorESD_SD_EERKSD_lbbbEUlllE1_EE10hipError_tPvRmT2_T3_mT4_P12ihipStream_tbEUlT_E_NS1_11comp_targetILNS1_3genE5ELNS1_11target_archE942ELNS1_3gpuE9ELNS1_3repE0EEENS1_30default_config_static_selectorELNS0_4arch9wavefront6targetE1EEEvT1_
		.amdhsa_group_segment_fixed_size 0
		.amdhsa_private_segment_fixed_size 0
		.amdhsa_kernarg_size 64
		.amdhsa_user_sgpr_count 2
		.amdhsa_user_sgpr_dispatch_ptr 0
		.amdhsa_user_sgpr_queue_ptr 0
		.amdhsa_user_sgpr_kernarg_segment_ptr 1
		.amdhsa_user_sgpr_dispatch_id 0
		.amdhsa_user_sgpr_kernarg_preload_length 0
		.amdhsa_user_sgpr_kernarg_preload_offset 0
		.amdhsa_user_sgpr_private_segment_size 0
		.amdhsa_uses_dynamic_stack 0
		.amdhsa_enable_private_segment 0
		.amdhsa_system_sgpr_workgroup_id_x 1
		.amdhsa_system_sgpr_workgroup_id_y 0
		.amdhsa_system_sgpr_workgroup_id_z 0
		.amdhsa_system_sgpr_workgroup_info 0
		.amdhsa_system_vgpr_workitem_id 0
		.amdhsa_next_free_vgpr 1
		.amdhsa_next_free_sgpr 0
		.amdhsa_accum_offset 4
		.amdhsa_reserve_vcc 0
		.amdhsa_float_round_mode_32 0
		.amdhsa_float_round_mode_16_64 0
		.amdhsa_float_denorm_mode_32 3
		.amdhsa_float_denorm_mode_16_64 3
		.amdhsa_dx10_clamp 1
		.amdhsa_ieee_mode 1
		.amdhsa_fp16_overflow 0
		.amdhsa_tg_split 0
		.amdhsa_exception_fp_ieee_invalid_op 0
		.amdhsa_exception_fp_denorm_src 0
		.amdhsa_exception_fp_ieee_div_zero 0
		.amdhsa_exception_fp_ieee_overflow 0
		.amdhsa_exception_fp_ieee_underflow 0
		.amdhsa_exception_fp_ieee_inexact 0
		.amdhsa_exception_int_div_zero 0
	.end_amdhsa_kernel
	.section	.text._ZN7rocprim17ROCPRIM_400000_NS6detail17trampoline_kernelINS0_14default_configENS1_35adjacent_difference_config_selectorILb1ElEEZNS1_24adjacent_difference_implIS3_Lb1ELb0EPlS7_ZN2at6native12_GLOBAL__N_124unique_dim_cuda_templateIlEESt5tupleIJNS8_6TensorESD_SD_EERKSD_lbbbEUlllE1_EE10hipError_tPvRmT2_T3_mT4_P12ihipStream_tbEUlT_E_NS1_11comp_targetILNS1_3genE5ELNS1_11target_archE942ELNS1_3gpuE9ELNS1_3repE0EEENS1_30default_config_static_selectorELNS0_4arch9wavefront6targetE1EEEvT1_,"axG",@progbits,_ZN7rocprim17ROCPRIM_400000_NS6detail17trampoline_kernelINS0_14default_configENS1_35adjacent_difference_config_selectorILb1ElEEZNS1_24adjacent_difference_implIS3_Lb1ELb0EPlS7_ZN2at6native12_GLOBAL__N_124unique_dim_cuda_templateIlEESt5tupleIJNS8_6TensorESD_SD_EERKSD_lbbbEUlllE1_EE10hipError_tPvRmT2_T3_mT4_P12ihipStream_tbEUlT_E_NS1_11comp_targetILNS1_3genE5ELNS1_11target_archE942ELNS1_3gpuE9ELNS1_3repE0EEENS1_30default_config_static_selectorELNS0_4arch9wavefront6targetE1EEEvT1_,comdat
.Lfunc_end557:
	.size	_ZN7rocprim17ROCPRIM_400000_NS6detail17trampoline_kernelINS0_14default_configENS1_35adjacent_difference_config_selectorILb1ElEEZNS1_24adjacent_difference_implIS3_Lb1ELb0EPlS7_ZN2at6native12_GLOBAL__N_124unique_dim_cuda_templateIlEESt5tupleIJNS8_6TensorESD_SD_EERKSD_lbbbEUlllE1_EE10hipError_tPvRmT2_T3_mT4_P12ihipStream_tbEUlT_E_NS1_11comp_targetILNS1_3genE5ELNS1_11target_archE942ELNS1_3gpuE9ELNS1_3repE0EEENS1_30default_config_static_selectorELNS0_4arch9wavefront6targetE1EEEvT1_, .Lfunc_end557-_ZN7rocprim17ROCPRIM_400000_NS6detail17trampoline_kernelINS0_14default_configENS1_35adjacent_difference_config_selectorILb1ElEEZNS1_24adjacent_difference_implIS3_Lb1ELb0EPlS7_ZN2at6native12_GLOBAL__N_124unique_dim_cuda_templateIlEESt5tupleIJNS8_6TensorESD_SD_EERKSD_lbbbEUlllE1_EE10hipError_tPvRmT2_T3_mT4_P12ihipStream_tbEUlT_E_NS1_11comp_targetILNS1_3genE5ELNS1_11target_archE942ELNS1_3gpuE9ELNS1_3repE0EEENS1_30default_config_static_selectorELNS0_4arch9wavefront6targetE1EEEvT1_
                                        ; -- End function
	.set _ZN7rocprim17ROCPRIM_400000_NS6detail17trampoline_kernelINS0_14default_configENS1_35adjacent_difference_config_selectorILb1ElEEZNS1_24adjacent_difference_implIS3_Lb1ELb0EPlS7_ZN2at6native12_GLOBAL__N_124unique_dim_cuda_templateIlEESt5tupleIJNS8_6TensorESD_SD_EERKSD_lbbbEUlllE1_EE10hipError_tPvRmT2_T3_mT4_P12ihipStream_tbEUlT_E_NS1_11comp_targetILNS1_3genE5ELNS1_11target_archE942ELNS1_3gpuE9ELNS1_3repE0EEENS1_30default_config_static_selectorELNS0_4arch9wavefront6targetE1EEEvT1_.num_vgpr, 0
	.set _ZN7rocprim17ROCPRIM_400000_NS6detail17trampoline_kernelINS0_14default_configENS1_35adjacent_difference_config_selectorILb1ElEEZNS1_24adjacent_difference_implIS3_Lb1ELb0EPlS7_ZN2at6native12_GLOBAL__N_124unique_dim_cuda_templateIlEESt5tupleIJNS8_6TensorESD_SD_EERKSD_lbbbEUlllE1_EE10hipError_tPvRmT2_T3_mT4_P12ihipStream_tbEUlT_E_NS1_11comp_targetILNS1_3genE5ELNS1_11target_archE942ELNS1_3gpuE9ELNS1_3repE0EEENS1_30default_config_static_selectorELNS0_4arch9wavefront6targetE1EEEvT1_.num_agpr, 0
	.set _ZN7rocprim17ROCPRIM_400000_NS6detail17trampoline_kernelINS0_14default_configENS1_35adjacent_difference_config_selectorILb1ElEEZNS1_24adjacent_difference_implIS3_Lb1ELb0EPlS7_ZN2at6native12_GLOBAL__N_124unique_dim_cuda_templateIlEESt5tupleIJNS8_6TensorESD_SD_EERKSD_lbbbEUlllE1_EE10hipError_tPvRmT2_T3_mT4_P12ihipStream_tbEUlT_E_NS1_11comp_targetILNS1_3genE5ELNS1_11target_archE942ELNS1_3gpuE9ELNS1_3repE0EEENS1_30default_config_static_selectorELNS0_4arch9wavefront6targetE1EEEvT1_.numbered_sgpr, 0
	.set _ZN7rocprim17ROCPRIM_400000_NS6detail17trampoline_kernelINS0_14default_configENS1_35adjacent_difference_config_selectorILb1ElEEZNS1_24adjacent_difference_implIS3_Lb1ELb0EPlS7_ZN2at6native12_GLOBAL__N_124unique_dim_cuda_templateIlEESt5tupleIJNS8_6TensorESD_SD_EERKSD_lbbbEUlllE1_EE10hipError_tPvRmT2_T3_mT4_P12ihipStream_tbEUlT_E_NS1_11comp_targetILNS1_3genE5ELNS1_11target_archE942ELNS1_3gpuE9ELNS1_3repE0EEENS1_30default_config_static_selectorELNS0_4arch9wavefront6targetE1EEEvT1_.num_named_barrier, 0
	.set _ZN7rocprim17ROCPRIM_400000_NS6detail17trampoline_kernelINS0_14default_configENS1_35adjacent_difference_config_selectorILb1ElEEZNS1_24adjacent_difference_implIS3_Lb1ELb0EPlS7_ZN2at6native12_GLOBAL__N_124unique_dim_cuda_templateIlEESt5tupleIJNS8_6TensorESD_SD_EERKSD_lbbbEUlllE1_EE10hipError_tPvRmT2_T3_mT4_P12ihipStream_tbEUlT_E_NS1_11comp_targetILNS1_3genE5ELNS1_11target_archE942ELNS1_3gpuE9ELNS1_3repE0EEENS1_30default_config_static_selectorELNS0_4arch9wavefront6targetE1EEEvT1_.private_seg_size, 0
	.set _ZN7rocprim17ROCPRIM_400000_NS6detail17trampoline_kernelINS0_14default_configENS1_35adjacent_difference_config_selectorILb1ElEEZNS1_24adjacent_difference_implIS3_Lb1ELb0EPlS7_ZN2at6native12_GLOBAL__N_124unique_dim_cuda_templateIlEESt5tupleIJNS8_6TensorESD_SD_EERKSD_lbbbEUlllE1_EE10hipError_tPvRmT2_T3_mT4_P12ihipStream_tbEUlT_E_NS1_11comp_targetILNS1_3genE5ELNS1_11target_archE942ELNS1_3gpuE9ELNS1_3repE0EEENS1_30default_config_static_selectorELNS0_4arch9wavefront6targetE1EEEvT1_.uses_vcc, 0
	.set _ZN7rocprim17ROCPRIM_400000_NS6detail17trampoline_kernelINS0_14default_configENS1_35adjacent_difference_config_selectorILb1ElEEZNS1_24adjacent_difference_implIS3_Lb1ELb0EPlS7_ZN2at6native12_GLOBAL__N_124unique_dim_cuda_templateIlEESt5tupleIJNS8_6TensorESD_SD_EERKSD_lbbbEUlllE1_EE10hipError_tPvRmT2_T3_mT4_P12ihipStream_tbEUlT_E_NS1_11comp_targetILNS1_3genE5ELNS1_11target_archE942ELNS1_3gpuE9ELNS1_3repE0EEENS1_30default_config_static_selectorELNS0_4arch9wavefront6targetE1EEEvT1_.uses_flat_scratch, 0
	.set _ZN7rocprim17ROCPRIM_400000_NS6detail17trampoline_kernelINS0_14default_configENS1_35adjacent_difference_config_selectorILb1ElEEZNS1_24adjacent_difference_implIS3_Lb1ELb0EPlS7_ZN2at6native12_GLOBAL__N_124unique_dim_cuda_templateIlEESt5tupleIJNS8_6TensorESD_SD_EERKSD_lbbbEUlllE1_EE10hipError_tPvRmT2_T3_mT4_P12ihipStream_tbEUlT_E_NS1_11comp_targetILNS1_3genE5ELNS1_11target_archE942ELNS1_3gpuE9ELNS1_3repE0EEENS1_30default_config_static_selectorELNS0_4arch9wavefront6targetE1EEEvT1_.has_dyn_sized_stack, 0
	.set _ZN7rocprim17ROCPRIM_400000_NS6detail17trampoline_kernelINS0_14default_configENS1_35adjacent_difference_config_selectorILb1ElEEZNS1_24adjacent_difference_implIS3_Lb1ELb0EPlS7_ZN2at6native12_GLOBAL__N_124unique_dim_cuda_templateIlEESt5tupleIJNS8_6TensorESD_SD_EERKSD_lbbbEUlllE1_EE10hipError_tPvRmT2_T3_mT4_P12ihipStream_tbEUlT_E_NS1_11comp_targetILNS1_3genE5ELNS1_11target_archE942ELNS1_3gpuE9ELNS1_3repE0EEENS1_30default_config_static_selectorELNS0_4arch9wavefront6targetE1EEEvT1_.has_recursion, 0
	.set _ZN7rocprim17ROCPRIM_400000_NS6detail17trampoline_kernelINS0_14default_configENS1_35adjacent_difference_config_selectorILb1ElEEZNS1_24adjacent_difference_implIS3_Lb1ELb0EPlS7_ZN2at6native12_GLOBAL__N_124unique_dim_cuda_templateIlEESt5tupleIJNS8_6TensorESD_SD_EERKSD_lbbbEUlllE1_EE10hipError_tPvRmT2_T3_mT4_P12ihipStream_tbEUlT_E_NS1_11comp_targetILNS1_3genE5ELNS1_11target_archE942ELNS1_3gpuE9ELNS1_3repE0EEENS1_30default_config_static_selectorELNS0_4arch9wavefront6targetE1EEEvT1_.has_indirect_call, 0
	.section	.AMDGPU.csdata,"",@progbits
; Kernel info:
; codeLenInByte = 0
; TotalNumSgprs: 6
; NumVgprs: 0
; NumAgprs: 0
; TotalNumVgprs: 0
; ScratchSize: 0
; MemoryBound: 0
; FloatMode: 240
; IeeeMode: 1
; LDSByteSize: 0 bytes/workgroup (compile time only)
; SGPRBlocks: 0
; VGPRBlocks: 0
; NumSGPRsForWavesPerEU: 6
; NumVGPRsForWavesPerEU: 1
; AccumOffset: 4
; Occupancy: 8
; WaveLimiterHint : 0
; COMPUTE_PGM_RSRC2:SCRATCH_EN: 0
; COMPUTE_PGM_RSRC2:USER_SGPR: 2
; COMPUTE_PGM_RSRC2:TRAP_HANDLER: 0
; COMPUTE_PGM_RSRC2:TGID_X_EN: 1
; COMPUTE_PGM_RSRC2:TGID_Y_EN: 0
; COMPUTE_PGM_RSRC2:TGID_Z_EN: 0
; COMPUTE_PGM_RSRC2:TIDIG_COMP_CNT: 0
; COMPUTE_PGM_RSRC3_GFX90A:ACCUM_OFFSET: 0
; COMPUTE_PGM_RSRC3_GFX90A:TG_SPLIT: 0
	.section	.text._ZN7rocprim17ROCPRIM_400000_NS6detail17trampoline_kernelINS0_14default_configENS1_35adjacent_difference_config_selectorILb1ElEEZNS1_24adjacent_difference_implIS3_Lb1ELb0EPlS7_ZN2at6native12_GLOBAL__N_124unique_dim_cuda_templateIlEESt5tupleIJNS8_6TensorESD_SD_EERKSD_lbbbEUlllE1_EE10hipError_tPvRmT2_T3_mT4_P12ihipStream_tbEUlT_E_NS1_11comp_targetILNS1_3genE4ELNS1_11target_archE910ELNS1_3gpuE8ELNS1_3repE0EEENS1_30default_config_static_selectorELNS0_4arch9wavefront6targetE1EEEvT1_,"axG",@progbits,_ZN7rocprim17ROCPRIM_400000_NS6detail17trampoline_kernelINS0_14default_configENS1_35adjacent_difference_config_selectorILb1ElEEZNS1_24adjacent_difference_implIS3_Lb1ELb0EPlS7_ZN2at6native12_GLOBAL__N_124unique_dim_cuda_templateIlEESt5tupleIJNS8_6TensorESD_SD_EERKSD_lbbbEUlllE1_EE10hipError_tPvRmT2_T3_mT4_P12ihipStream_tbEUlT_E_NS1_11comp_targetILNS1_3genE4ELNS1_11target_archE910ELNS1_3gpuE8ELNS1_3repE0EEENS1_30default_config_static_selectorELNS0_4arch9wavefront6targetE1EEEvT1_,comdat
	.globl	_ZN7rocprim17ROCPRIM_400000_NS6detail17trampoline_kernelINS0_14default_configENS1_35adjacent_difference_config_selectorILb1ElEEZNS1_24adjacent_difference_implIS3_Lb1ELb0EPlS7_ZN2at6native12_GLOBAL__N_124unique_dim_cuda_templateIlEESt5tupleIJNS8_6TensorESD_SD_EERKSD_lbbbEUlllE1_EE10hipError_tPvRmT2_T3_mT4_P12ihipStream_tbEUlT_E_NS1_11comp_targetILNS1_3genE4ELNS1_11target_archE910ELNS1_3gpuE8ELNS1_3repE0EEENS1_30default_config_static_selectorELNS0_4arch9wavefront6targetE1EEEvT1_ ; -- Begin function _ZN7rocprim17ROCPRIM_400000_NS6detail17trampoline_kernelINS0_14default_configENS1_35adjacent_difference_config_selectorILb1ElEEZNS1_24adjacent_difference_implIS3_Lb1ELb0EPlS7_ZN2at6native12_GLOBAL__N_124unique_dim_cuda_templateIlEESt5tupleIJNS8_6TensorESD_SD_EERKSD_lbbbEUlllE1_EE10hipError_tPvRmT2_T3_mT4_P12ihipStream_tbEUlT_E_NS1_11comp_targetILNS1_3genE4ELNS1_11target_archE910ELNS1_3gpuE8ELNS1_3repE0EEENS1_30default_config_static_selectorELNS0_4arch9wavefront6targetE1EEEvT1_
	.p2align	8
	.type	_ZN7rocprim17ROCPRIM_400000_NS6detail17trampoline_kernelINS0_14default_configENS1_35adjacent_difference_config_selectorILb1ElEEZNS1_24adjacent_difference_implIS3_Lb1ELb0EPlS7_ZN2at6native12_GLOBAL__N_124unique_dim_cuda_templateIlEESt5tupleIJNS8_6TensorESD_SD_EERKSD_lbbbEUlllE1_EE10hipError_tPvRmT2_T3_mT4_P12ihipStream_tbEUlT_E_NS1_11comp_targetILNS1_3genE4ELNS1_11target_archE910ELNS1_3gpuE8ELNS1_3repE0EEENS1_30default_config_static_selectorELNS0_4arch9wavefront6targetE1EEEvT1_,@function
_ZN7rocprim17ROCPRIM_400000_NS6detail17trampoline_kernelINS0_14default_configENS1_35adjacent_difference_config_selectorILb1ElEEZNS1_24adjacent_difference_implIS3_Lb1ELb0EPlS7_ZN2at6native12_GLOBAL__N_124unique_dim_cuda_templateIlEESt5tupleIJNS8_6TensorESD_SD_EERKSD_lbbbEUlllE1_EE10hipError_tPvRmT2_T3_mT4_P12ihipStream_tbEUlT_E_NS1_11comp_targetILNS1_3genE4ELNS1_11target_archE910ELNS1_3gpuE8ELNS1_3repE0EEENS1_30default_config_static_selectorELNS0_4arch9wavefront6targetE1EEEvT1_: ; @_ZN7rocprim17ROCPRIM_400000_NS6detail17trampoline_kernelINS0_14default_configENS1_35adjacent_difference_config_selectorILb1ElEEZNS1_24adjacent_difference_implIS3_Lb1ELb0EPlS7_ZN2at6native12_GLOBAL__N_124unique_dim_cuda_templateIlEESt5tupleIJNS8_6TensorESD_SD_EERKSD_lbbbEUlllE1_EE10hipError_tPvRmT2_T3_mT4_P12ihipStream_tbEUlT_E_NS1_11comp_targetILNS1_3genE4ELNS1_11target_archE910ELNS1_3gpuE8ELNS1_3repE0EEENS1_30default_config_static_selectorELNS0_4arch9wavefront6targetE1EEEvT1_
; %bb.0:
	.section	.rodata,"a",@progbits
	.p2align	6, 0x0
	.amdhsa_kernel _ZN7rocprim17ROCPRIM_400000_NS6detail17trampoline_kernelINS0_14default_configENS1_35adjacent_difference_config_selectorILb1ElEEZNS1_24adjacent_difference_implIS3_Lb1ELb0EPlS7_ZN2at6native12_GLOBAL__N_124unique_dim_cuda_templateIlEESt5tupleIJNS8_6TensorESD_SD_EERKSD_lbbbEUlllE1_EE10hipError_tPvRmT2_T3_mT4_P12ihipStream_tbEUlT_E_NS1_11comp_targetILNS1_3genE4ELNS1_11target_archE910ELNS1_3gpuE8ELNS1_3repE0EEENS1_30default_config_static_selectorELNS0_4arch9wavefront6targetE1EEEvT1_
		.amdhsa_group_segment_fixed_size 0
		.amdhsa_private_segment_fixed_size 0
		.amdhsa_kernarg_size 64
		.amdhsa_user_sgpr_count 2
		.amdhsa_user_sgpr_dispatch_ptr 0
		.amdhsa_user_sgpr_queue_ptr 0
		.amdhsa_user_sgpr_kernarg_segment_ptr 1
		.amdhsa_user_sgpr_dispatch_id 0
		.amdhsa_user_sgpr_kernarg_preload_length 0
		.amdhsa_user_sgpr_kernarg_preload_offset 0
		.amdhsa_user_sgpr_private_segment_size 0
		.amdhsa_uses_dynamic_stack 0
		.amdhsa_enable_private_segment 0
		.amdhsa_system_sgpr_workgroup_id_x 1
		.amdhsa_system_sgpr_workgroup_id_y 0
		.amdhsa_system_sgpr_workgroup_id_z 0
		.amdhsa_system_sgpr_workgroup_info 0
		.amdhsa_system_vgpr_workitem_id 0
		.amdhsa_next_free_vgpr 1
		.amdhsa_next_free_sgpr 0
		.amdhsa_accum_offset 4
		.amdhsa_reserve_vcc 0
		.amdhsa_float_round_mode_32 0
		.amdhsa_float_round_mode_16_64 0
		.amdhsa_float_denorm_mode_32 3
		.amdhsa_float_denorm_mode_16_64 3
		.amdhsa_dx10_clamp 1
		.amdhsa_ieee_mode 1
		.amdhsa_fp16_overflow 0
		.amdhsa_tg_split 0
		.amdhsa_exception_fp_ieee_invalid_op 0
		.amdhsa_exception_fp_denorm_src 0
		.amdhsa_exception_fp_ieee_div_zero 0
		.amdhsa_exception_fp_ieee_overflow 0
		.amdhsa_exception_fp_ieee_underflow 0
		.amdhsa_exception_fp_ieee_inexact 0
		.amdhsa_exception_int_div_zero 0
	.end_amdhsa_kernel
	.section	.text._ZN7rocprim17ROCPRIM_400000_NS6detail17trampoline_kernelINS0_14default_configENS1_35adjacent_difference_config_selectorILb1ElEEZNS1_24adjacent_difference_implIS3_Lb1ELb0EPlS7_ZN2at6native12_GLOBAL__N_124unique_dim_cuda_templateIlEESt5tupleIJNS8_6TensorESD_SD_EERKSD_lbbbEUlllE1_EE10hipError_tPvRmT2_T3_mT4_P12ihipStream_tbEUlT_E_NS1_11comp_targetILNS1_3genE4ELNS1_11target_archE910ELNS1_3gpuE8ELNS1_3repE0EEENS1_30default_config_static_selectorELNS0_4arch9wavefront6targetE1EEEvT1_,"axG",@progbits,_ZN7rocprim17ROCPRIM_400000_NS6detail17trampoline_kernelINS0_14default_configENS1_35adjacent_difference_config_selectorILb1ElEEZNS1_24adjacent_difference_implIS3_Lb1ELb0EPlS7_ZN2at6native12_GLOBAL__N_124unique_dim_cuda_templateIlEESt5tupleIJNS8_6TensorESD_SD_EERKSD_lbbbEUlllE1_EE10hipError_tPvRmT2_T3_mT4_P12ihipStream_tbEUlT_E_NS1_11comp_targetILNS1_3genE4ELNS1_11target_archE910ELNS1_3gpuE8ELNS1_3repE0EEENS1_30default_config_static_selectorELNS0_4arch9wavefront6targetE1EEEvT1_,comdat
.Lfunc_end558:
	.size	_ZN7rocprim17ROCPRIM_400000_NS6detail17trampoline_kernelINS0_14default_configENS1_35adjacent_difference_config_selectorILb1ElEEZNS1_24adjacent_difference_implIS3_Lb1ELb0EPlS7_ZN2at6native12_GLOBAL__N_124unique_dim_cuda_templateIlEESt5tupleIJNS8_6TensorESD_SD_EERKSD_lbbbEUlllE1_EE10hipError_tPvRmT2_T3_mT4_P12ihipStream_tbEUlT_E_NS1_11comp_targetILNS1_3genE4ELNS1_11target_archE910ELNS1_3gpuE8ELNS1_3repE0EEENS1_30default_config_static_selectorELNS0_4arch9wavefront6targetE1EEEvT1_, .Lfunc_end558-_ZN7rocprim17ROCPRIM_400000_NS6detail17trampoline_kernelINS0_14default_configENS1_35adjacent_difference_config_selectorILb1ElEEZNS1_24adjacent_difference_implIS3_Lb1ELb0EPlS7_ZN2at6native12_GLOBAL__N_124unique_dim_cuda_templateIlEESt5tupleIJNS8_6TensorESD_SD_EERKSD_lbbbEUlllE1_EE10hipError_tPvRmT2_T3_mT4_P12ihipStream_tbEUlT_E_NS1_11comp_targetILNS1_3genE4ELNS1_11target_archE910ELNS1_3gpuE8ELNS1_3repE0EEENS1_30default_config_static_selectorELNS0_4arch9wavefront6targetE1EEEvT1_
                                        ; -- End function
	.set _ZN7rocprim17ROCPRIM_400000_NS6detail17trampoline_kernelINS0_14default_configENS1_35adjacent_difference_config_selectorILb1ElEEZNS1_24adjacent_difference_implIS3_Lb1ELb0EPlS7_ZN2at6native12_GLOBAL__N_124unique_dim_cuda_templateIlEESt5tupleIJNS8_6TensorESD_SD_EERKSD_lbbbEUlllE1_EE10hipError_tPvRmT2_T3_mT4_P12ihipStream_tbEUlT_E_NS1_11comp_targetILNS1_3genE4ELNS1_11target_archE910ELNS1_3gpuE8ELNS1_3repE0EEENS1_30default_config_static_selectorELNS0_4arch9wavefront6targetE1EEEvT1_.num_vgpr, 0
	.set _ZN7rocprim17ROCPRIM_400000_NS6detail17trampoline_kernelINS0_14default_configENS1_35adjacent_difference_config_selectorILb1ElEEZNS1_24adjacent_difference_implIS3_Lb1ELb0EPlS7_ZN2at6native12_GLOBAL__N_124unique_dim_cuda_templateIlEESt5tupleIJNS8_6TensorESD_SD_EERKSD_lbbbEUlllE1_EE10hipError_tPvRmT2_T3_mT4_P12ihipStream_tbEUlT_E_NS1_11comp_targetILNS1_3genE4ELNS1_11target_archE910ELNS1_3gpuE8ELNS1_3repE0EEENS1_30default_config_static_selectorELNS0_4arch9wavefront6targetE1EEEvT1_.num_agpr, 0
	.set _ZN7rocprim17ROCPRIM_400000_NS6detail17trampoline_kernelINS0_14default_configENS1_35adjacent_difference_config_selectorILb1ElEEZNS1_24adjacent_difference_implIS3_Lb1ELb0EPlS7_ZN2at6native12_GLOBAL__N_124unique_dim_cuda_templateIlEESt5tupleIJNS8_6TensorESD_SD_EERKSD_lbbbEUlllE1_EE10hipError_tPvRmT2_T3_mT4_P12ihipStream_tbEUlT_E_NS1_11comp_targetILNS1_3genE4ELNS1_11target_archE910ELNS1_3gpuE8ELNS1_3repE0EEENS1_30default_config_static_selectorELNS0_4arch9wavefront6targetE1EEEvT1_.numbered_sgpr, 0
	.set _ZN7rocprim17ROCPRIM_400000_NS6detail17trampoline_kernelINS0_14default_configENS1_35adjacent_difference_config_selectorILb1ElEEZNS1_24adjacent_difference_implIS3_Lb1ELb0EPlS7_ZN2at6native12_GLOBAL__N_124unique_dim_cuda_templateIlEESt5tupleIJNS8_6TensorESD_SD_EERKSD_lbbbEUlllE1_EE10hipError_tPvRmT2_T3_mT4_P12ihipStream_tbEUlT_E_NS1_11comp_targetILNS1_3genE4ELNS1_11target_archE910ELNS1_3gpuE8ELNS1_3repE0EEENS1_30default_config_static_selectorELNS0_4arch9wavefront6targetE1EEEvT1_.num_named_barrier, 0
	.set _ZN7rocprim17ROCPRIM_400000_NS6detail17trampoline_kernelINS0_14default_configENS1_35adjacent_difference_config_selectorILb1ElEEZNS1_24adjacent_difference_implIS3_Lb1ELb0EPlS7_ZN2at6native12_GLOBAL__N_124unique_dim_cuda_templateIlEESt5tupleIJNS8_6TensorESD_SD_EERKSD_lbbbEUlllE1_EE10hipError_tPvRmT2_T3_mT4_P12ihipStream_tbEUlT_E_NS1_11comp_targetILNS1_3genE4ELNS1_11target_archE910ELNS1_3gpuE8ELNS1_3repE0EEENS1_30default_config_static_selectorELNS0_4arch9wavefront6targetE1EEEvT1_.private_seg_size, 0
	.set _ZN7rocprim17ROCPRIM_400000_NS6detail17trampoline_kernelINS0_14default_configENS1_35adjacent_difference_config_selectorILb1ElEEZNS1_24adjacent_difference_implIS3_Lb1ELb0EPlS7_ZN2at6native12_GLOBAL__N_124unique_dim_cuda_templateIlEESt5tupleIJNS8_6TensorESD_SD_EERKSD_lbbbEUlllE1_EE10hipError_tPvRmT2_T3_mT4_P12ihipStream_tbEUlT_E_NS1_11comp_targetILNS1_3genE4ELNS1_11target_archE910ELNS1_3gpuE8ELNS1_3repE0EEENS1_30default_config_static_selectorELNS0_4arch9wavefront6targetE1EEEvT1_.uses_vcc, 0
	.set _ZN7rocprim17ROCPRIM_400000_NS6detail17trampoline_kernelINS0_14default_configENS1_35adjacent_difference_config_selectorILb1ElEEZNS1_24adjacent_difference_implIS3_Lb1ELb0EPlS7_ZN2at6native12_GLOBAL__N_124unique_dim_cuda_templateIlEESt5tupleIJNS8_6TensorESD_SD_EERKSD_lbbbEUlllE1_EE10hipError_tPvRmT2_T3_mT4_P12ihipStream_tbEUlT_E_NS1_11comp_targetILNS1_3genE4ELNS1_11target_archE910ELNS1_3gpuE8ELNS1_3repE0EEENS1_30default_config_static_selectorELNS0_4arch9wavefront6targetE1EEEvT1_.uses_flat_scratch, 0
	.set _ZN7rocprim17ROCPRIM_400000_NS6detail17trampoline_kernelINS0_14default_configENS1_35adjacent_difference_config_selectorILb1ElEEZNS1_24adjacent_difference_implIS3_Lb1ELb0EPlS7_ZN2at6native12_GLOBAL__N_124unique_dim_cuda_templateIlEESt5tupleIJNS8_6TensorESD_SD_EERKSD_lbbbEUlllE1_EE10hipError_tPvRmT2_T3_mT4_P12ihipStream_tbEUlT_E_NS1_11comp_targetILNS1_3genE4ELNS1_11target_archE910ELNS1_3gpuE8ELNS1_3repE0EEENS1_30default_config_static_selectorELNS0_4arch9wavefront6targetE1EEEvT1_.has_dyn_sized_stack, 0
	.set _ZN7rocprim17ROCPRIM_400000_NS6detail17trampoline_kernelINS0_14default_configENS1_35adjacent_difference_config_selectorILb1ElEEZNS1_24adjacent_difference_implIS3_Lb1ELb0EPlS7_ZN2at6native12_GLOBAL__N_124unique_dim_cuda_templateIlEESt5tupleIJNS8_6TensorESD_SD_EERKSD_lbbbEUlllE1_EE10hipError_tPvRmT2_T3_mT4_P12ihipStream_tbEUlT_E_NS1_11comp_targetILNS1_3genE4ELNS1_11target_archE910ELNS1_3gpuE8ELNS1_3repE0EEENS1_30default_config_static_selectorELNS0_4arch9wavefront6targetE1EEEvT1_.has_recursion, 0
	.set _ZN7rocprim17ROCPRIM_400000_NS6detail17trampoline_kernelINS0_14default_configENS1_35adjacent_difference_config_selectorILb1ElEEZNS1_24adjacent_difference_implIS3_Lb1ELb0EPlS7_ZN2at6native12_GLOBAL__N_124unique_dim_cuda_templateIlEESt5tupleIJNS8_6TensorESD_SD_EERKSD_lbbbEUlllE1_EE10hipError_tPvRmT2_T3_mT4_P12ihipStream_tbEUlT_E_NS1_11comp_targetILNS1_3genE4ELNS1_11target_archE910ELNS1_3gpuE8ELNS1_3repE0EEENS1_30default_config_static_selectorELNS0_4arch9wavefront6targetE1EEEvT1_.has_indirect_call, 0
	.section	.AMDGPU.csdata,"",@progbits
; Kernel info:
; codeLenInByte = 0
; TotalNumSgprs: 6
; NumVgprs: 0
; NumAgprs: 0
; TotalNumVgprs: 0
; ScratchSize: 0
; MemoryBound: 0
; FloatMode: 240
; IeeeMode: 1
; LDSByteSize: 0 bytes/workgroup (compile time only)
; SGPRBlocks: 0
; VGPRBlocks: 0
; NumSGPRsForWavesPerEU: 6
; NumVGPRsForWavesPerEU: 1
; AccumOffset: 4
; Occupancy: 8
; WaveLimiterHint : 0
; COMPUTE_PGM_RSRC2:SCRATCH_EN: 0
; COMPUTE_PGM_RSRC2:USER_SGPR: 2
; COMPUTE_PGM_RSRC2:TRAP_HANDLER: 0
; COMPUTE_PGM_RSRC2:TGID_X_EN: 1
; COMPUTE_PGM_RSRC2:TGID_Y_EN: 0
; COMPUTE_PGM_RSRC2:TGID_Z_EN: 0
; COMPUTE_PGM_RSRC2:TIDIG_COMP_CNT: 0
; COMPUTE_PGM_RSRC3_GFX90A:ACCUM_OFFSET: 0
; COMPUTE_PGM_RSRC3_GFX90A:TG_SPLIT: 0
	.section	.text._ZN7rocprim17ROCPRIM_400000_NS6detail17trampoline_kernelINS0_14default_configENS1_35adjacent_difference_config_selectorILb1ElEEZNS1_24adjacent_difference_implIS3_Lb1ELb0EPlS7_ZN2at6native12_GLOBAL__N_124unique_dim_cuda_templateIlEESt5tupleIJNS8_6TensorESD_SD_EERKSD_lbbbEUlllE1_EE10hipError_tPvRmT2_T3_mT4_P12ihipStream_tbEUlT_E_NS1_11comp_targetILNS1_3genE3ELNS1_11target_archE908ELNS1_3gpuE7ELNS1_3repE0EEENS1_30default_config_static_selectorELNS0_4arch9wavefront6targetE1EEEvT1_,"axG",@progbits,_ZN7rocprim17ROCPRIM_400000_NS6detail17trampoline_kernelINS0_14default_configENS1_35adjacent_difference_config_selectorILb1ElEEZNS1_24adjacent_difference_implIS3_Lb1ELb0EPlS7_ZN2at6native12_GLOBAL__N_124unique_dim_cuda_templateIlEESt5tupleIJNS8_6TensorESD_SD_EERKSD_lbbbEUlllE1_EE10hipError_tPvRmT2_T3_mT4_P12ihipStream_tbEUlT_E_NS1_11comp_targetILNS1_3genE3ELNS1_11target_archE908ELNS1_3gpuE7ELNS1_3repE0EEENS1_30default_config_static_selectorELNS0_4arch9wavefront6targetE1EEEvT1_,comdat
	.globl	_ZN7rocprim17ROCPRIM_400000_NS6detail17trampoline_kernelINS0_14default_configENS1_35adjacent_difference_config_selectorILb1ElEEZNS1_24adjacent_difference_implIS3_Lb1ELb0EPlS7_ZN2at6native12_GLOBAL__N_124unique_dim_cuda_templateIlEESt5tupleIJNS8_6TensorESD_SD_EERKSD_lbbbEUlllE1_EE10hipError_tPvRmT2_T3_mT4_P12ihipStream_tbEUlT_E_NS1_11comp_targetILNS1_3genE3ELNS1_11target_archE908ELNS1_3gpuE7ELNS1_3repE0EEENS1_30default_config_static_selectorELNS0_4arch9wavefront6targetE1EEEvT1_ ; -- Begin function _ZN7rocprim17ROCPRIM_400000_NS6detail17trampoline_kernelINS0_14default_configENS1_35adjacent_difference_config_selectorILb1ElEEZNS1_24adjacent_difference_implIS3_Lb1ELb0EPlS7_ZN2at6native12_GLOBAL__N_124unique_dim_cuda_templateIlEESt5tupleIJNS8_6TensorESD_SD_EERKSD_lbbbEUlllE1_EE10hipError_tPvRmT2_T3_mT4_P12ihipStream_tbEUlT_E_NS1_11comp_targetILNS1_3genE3ELNS1_11target_archE908ELNS1_3gpuE7ELNS1_3repE0EEENS1_30default_config_static_selectorELNS0_4arch9wavefront6targetE1EEEvT1_
	.p2align	8
	.type	_ZN7rocprim17ROCPRIM_400000_NS6detail17trampoline_kernelINS0_14default_configENS1_35adjacent_difference_config_selectorILb1ElEEZNS1_24adjacent_difference_implIS3_Lb1ELb0EPlS7_ZN2at6native12_GLOBAL__N_124unique_dim_cuda_templateIlEESt5tupleIJNS8_6TensorESD_SD_EERKSD_lbbbEUlllE1_EE10hipError_tPvRmT2_T3_mT4_P12ihipStream_tbEUlT_E_NS1_11comp_targetILNS1_3genE3ELNS1_11target_archE908ELNS1_3gpuE7ELNS1_3repE0EEENS1_30default_config_static_selectorELNS0_4arch9wavefront6targetE1EEEvT1_,@function
_ZN7rocprim17ROCPRIM_400000_NS6detail17trampoline_kernelINS0_14default_configENS1_35adjacent_difference_config_selectorILb1ElEEZNS1_24adjacent_difference_implIS3_Lb1ELb0EPlS7_ZN2at6native12_GLOBAL__N_124unique_dim_cuda_templateIlEESt5tupleIJNS8_6TensorESD_SD_EERKSD_lbbbEUlllE1_EE10hipError_tPvRmT2_T3_mT4_P12ihipStream_tbEUlT_E_NS1_11comp_targetILNS1_3genE3ELNS1_11target_archE908ELNS1_3gpuE7ELNS1_3repE0EEENS1_30default_config_static_selectorELNS0_4arch9wavefront6targetE1EEEvT1_: ; @_ZN7rocprim17ROCPRIM_400000_NS6detail17trampoline_kernelINS0_14default_configENS1_35adjacent_difference_config_selectorILb1ElEEZNS1_24adjacent_difference_implIS3_Lb1ELb0EPlS7_ZN2at6native12_GLOBAL__N_124unique_dim_cuda_templateIlEESt5tupleIJNS8_6TensorESD_SD_EERKSD_lbbbEUlllE1_EE10hipError_tPvRmT2_T3_mT4_P12ihipStream_tbEUlT_E_NS1_11comp_targetILNS1_3genE3ELNS1_11target_archE908ELNS1_3gpuE7ELNS1_3repE0EEENS1_30default_config_static_selectorELNS0_4arch9wavefront6targetE1EEEvT1_
; %bb.0:
	.section	.rodata,"a",@progbits
	.p2align	6, 0x0
	.amdhsa_kernel _ZN7rocprim17ROCPRIM_400000_NS6detail17trampoline_kernelINS0_14default_configENS1_35adjacent_difference_config_selectorILb1ElEEZNS1_24adjacent_difference_implIS3_Lb1ELb0EPlS7_ZN2at6native12_GLOBAL__N_124unique_dim_cuda_templateIlEESt5tupleIJNS8_6TensorESD_SD_EERKSD_lbbbEUlllE1_EE10hipError_tPvRmT2_T3_mT4_P12ihipStream_tbEUlT_E_NS1_11comp_targetILNS1_3genE3ELNS1_11target_archE908ELNS1_3gpuE7ELNS1_3repE0EEENS1_30default_config_static_selectorELNS0_4arch9wavefront6targetE1EEEvT1_
		.amdhsa_group_segment_fixed_size 0
		.amdhsa_private_segment_fixed_size 0
		.amdhsa_kernarg_size 64
		.amdhsa_user_sgpr_count 2
		.amdhsa_user_sgpr_dispatch_ptr 0
		.amdhsa_user_sgpr_queue_ptr 0
		.amdhsa_user_sgpr_kernarg_segment_ptr 1
		.amdhsa_user_sgpr_dispatch_id 0
		.amdhsa_user_sgpr_kernarg_preload_length 0
		.amdhsa_user_sgpr_kernarg_preload_offset 0
		.amdhsa_user_sgpr_private_segment_size 0
		.amdhsa_uses_dynamic_stack 0
		.amdhsa_enable_private_segment 0
		.amdhsa_system_sgpr_workgroup_id_x 1
		.amdhsa_system_sgpr_workgroup_id_y 0
		.amdhsa_system_sgpr_workgroup_id_z 0
		.amdhsa_system_sgpr_workgroup_info 0
		.amdhsa_system_vgpr_workitem_id 0
		.amdhsa_next_free_vgpr 1
		.amdhsa_next_free_sgpr 0
		.amdhsa_accum_offset 4
		.amdhsa_reserve_vcc 0
		.amdhsa_float_round_mode_32 0
		.amdhsa_float_round_mode_16_64 0
		.amdhsa_float_denorm_mode_32 3
		.amdhsa_float_denorm_mode_16_64 3
		.amdhsa_dx10_clamp 1
		.amdhsa_ieee_mode 1
		.amdhsa_fp16_overflow 0
		.amdhsa_tg_split 0
		.amdhsa_exception_fp_ieee_invalid_op 0
		.amdhsa_exception_fp_denorm_src 0
		.amdhsa_exception_fp_ieee_div_zero 0
		.amdhsa_exception_fp_ieee_overflow 0
		.amdhsa_exception_fp_ieee_underflow 0
		.amdhsa_exception_fp_ieee_inexact 0
		.amdhsa_exception_int_div_zero 0
	.end_amdhsa_kernel
	.section	.text._ZN7rocprim17ROCPRIM_400000_NS6detail17trampoline_kernelINS0_14default_configENS1_35adjacent_difference_config_selectorILb1ElEEZNS1_24adjacent_difference_implIS3_Lb1ELb0EPlS7_ZN2at6native12_GLOBAL__N_124unique_dim_cuda_templateIlEESt5tupleIJNS8_6TensorESD_SD_EERKSD_lbbbEUlllE1_EE10hipError_tPvRmT2_T3_mT4_P12ihipStream_tbEUlT_E_NS1_11comp_targetILNS1_3genE3ELNS1_11target_archE908ELNS1_3gpuE7ELNS1_3repE0EEENS1_30default_config_static_selectorELNS0_4arch9wavefront6targetE1EEEvT1_,"axG",@progbits,_ZN7rocprim17ROCPRIM_400000_NS6detail17trampoline_kernelINS0_14default_configENS1_35adjacent_difference_config_selectorILb1ElEEZNS1_24adjacent_difference_implIS3_Lb1ELb0EPlS7_ZN2at6native12_GLOBAL__N_124unique_dim_cuda_templateIlEESt5tupleIJNS8_6TensorESD_SD_EERKSD_lbbbEUlllE1_EE10hipError_tPvRmT2_T3_mT4_P12ihipStream_tbEUlT_E_NS1_11comp_targetILNS1_3genE3ELNS1_11target_archE908ELNS1_3gpuE7ELNS1_3repE0EEENS1_30default_config_static_selectorELNS0_4arch9wavefront6targetE1EEEvT1_,comdat
.Lfunc_end559:
	.size	_ZN7rocprim17ROCPRIM_400000_NS6detail17trampoline_kernelINS0_14default_configENS1_35adjacent_difference_config_selectorILb1ElEEZNS1_24adjacent_difference_implIS3_Lb1ELb0EPlS7_ZN2at6native12_GLOBAL__N_124unique_dim_cuda_templateIlEESt5tupleIJNS8_6TensorESD_SD_EERKSD_lbbbEUlllE1_EE10hipError_tPvRmT2_T3_mT4_P12ihipStream_tbEUlT_E_NS1_11comp_targetILNS1_3genE3ELNS1_11target_archE908ELNS1_3gpuE7ELNS1_3repE0EEENS1_30default_config_static_selectorELNS0_4arch9wavefront6targetE1EEEvT1_, .Lfunc_end559-_ZN7rocprim17ROCPRIM_400000_NS6detail17trampoline_kernelINS0_14default_configENS1_35adjacent_difference_config_selectorILb1ElEEZNS1_24adjacent_difference_implIS3_Lb1ELb0EPlS7_ZN2at6native12_GLOBAL__N_124unique_dim_cuda_templateIlEESt5tupleIJNS8_6TensorESD_SD_EERKSD_lbbbEUlllE1_EE10hipError_tPvRmT2_T3_mT4_P12ihipStream_tbEUlT_E_NS1_11comp_targetILNS1_3genE3ELNS1_11target_archE908ELNS1_3gpuE7ELNS1_3repE0EEENS1_30default_config_static_selectorELNS0_4arch9wavefront6targetE1EEEvT1_
                                        ; -- End function
	.set _ZN7rocprim17ROCPRIM_400000_NS6detail17trampoline_kernelINS0_14default_configENS1_35adjacent_difference_config_selectorILb1ElEEZNS1_24adjacent_difference_implIS3_Lb1ELb0EPlS7_ZN2at6native12_GLOBAL__N_124unique_dim_cuda_templateIlEESt5tupleIJNS8_6TensorESD_SD_EERKSD_lbbbEUlllE1_EE10hipError_tPvRmT2_T3_mT4_P12ihipStream_tbEUlT_E_NS1_11comp_targetILNS1_3genE3ELNS1_11target_archE908ELNS1_3gpuE7ELNS1_3repE0EEENS1_30default_config_static_selectorELNS0_4arch9wavefront6targetE1EEEvT1_.num_vgpr, 0
	.set _ZN7rocprim17ROCPRIM_400000_NS6detail17trampoline_kernelINS0_14default_configENS1_35adjacent_difference_config_selectorILb1ElEEZNS1_24adjacent_difference_implIS3_Lb1ELb0EPlS7_ZN2at6native12_GLOBAL__N_124unique_dim_cuda_templateIlEESt5tupleIJNS8_6TensorESD_SD_EERKSD_lbbbEUlllE1_EE10hipError_tPvRmT2_T3_mT4_P12ihipStream_tbEUlT_E_NS1_11comp_targetILNS1_3genE3ELNS1_11target_archE908ELNS1_3gpuE7ELNS1_3repE0EEENS1_30default_config_static_selectorELNS0_4arch9wavefront6targetE1EEEvT1_.num_agpr, 0
	.set _ZN7rocprim17ROCPRIM_400000_NS6detail17trampoline_kernelINS0_14default_configENS1_35adjacent_difference_config_selectorILb1ElEEZNS1_24adjacent_difference_implIS3_Lb1ELb0EPlS7_ZN2at6native12_GLOBAL__N_124unique_dim_cuda_templateIlEESt5tupleIJNS8_6TensorESD_SD_EERKSD_lbbbEUlllE1_EE10hipError_tPvRmT2_T3_mT4_P12ihipStream_tbEUlT_E_NS1_11comp_targetILNS1_3genE3ELNS1_11target_archE908ELNS1_3gpuE7ELNS1_3repE0EEENS1_30default_config_static_selectorELNS0_4arch9wavefront6targetE1EEEvT1_.numbered_sgpr, 0
	.set _ZN7rocprim17ROCPRIM_400000_NS6detail17trampoline_kernelINS0_14default_configENS1_35adjacent_difference_config_selectorILb1ElEEZNS1_24adjacent_difference_implIS3_Lb1ELb0EPlS7_ZN2at6native12_GLOBAL__N_124unique_dim_cuda_templateIlEESt5tupleIJNS8_6TensorESD_SD_EERKSD_lbbbEUlllE1_EE10hipError_tPvRmT2_T3_mT4_P12ihipStream_tbEUlT_E_NS1_11comp_targetILNS1_3genE3ELNS1_11target_archE908ELNS1_3gpuE7ELNS1_3repE0EEENS1_30default_config_static_selectorELNS0_4arch9wavefront6targetE1EEEvT1_.num_named_barrier, 0
	.set _ZN7rocprim17ROCPRIM_400000_NS6detail17trampoline_kernelINS0_14default_configENS1_35adjacent_difference_config_selectorILb1ElEEZNS1_24adjacent_difference_implIS3_Lb1ELb0EPlS7_ZN2at6native12_GLOBAL__N_124unique_dim_cuda_templateIlEESt5tupleIJNS8_6TensorESD_SD_EERKSD_lbbbEUlllE1_EE10hipError_tPvRmT2_T3_mT4_P12ihipStream_tbEUlT_E_NS1_11comp_targetILNS1_3genE3ELNS1_11target_archE908ELNS1_3gpuE7ELNS1_3repE0EEENS1_30default_config_static_selectorELNS0_4arch9wavefront6targetE1EEEvT1_.private_seg_size, 0
	.set _ZN7rocprim17ROCPRIM_400000_NS6detail17trampoline_kernelINS0_14default_configENS1_35adjacent_difference_config_selectorILb1ElEEZNS1_24adjacent_difference_implIS3_Lb1ELb0EPlS7_ZN2at6native12_GLOBAL__N_124unique_dim_cuda_templateIlEESt5tupleIJNS8_6TensorESD_SD_EERKSD_lbbbEUlllE1_EE10hipError_tPvRmT2_T3_mT4_P12ihipStream_tbEUlT_E_NS1_11comp_targetILNS1_3genE3ELNS1_11target_archE908ELNS1_3gpuE7ELNS1_3repE0EEENS1_30default_config_static_selectorELNS0_4arch9wavefront6targetE1EEEvT1_.uses_vcc, 0
	.set _ZN7rocprim17ROCPRIM_400000_NS6detail17trampoline_kernelINS0_14default_configENS1_35adjacent_difference_config_selectorILb1ElEEZNS1_24adjacent_difference_implIS3_Lb1ELb0EPlS7_ZN2at6native12_GLOBAL__N_124unique_dim_cuda_templateIlEESt5tupleIJNS8_6TensorESD_SD_EERKSD_lbbbEUlllE1_EE10hipError_tPvRmT2_T3_mT4_P12ihipStream_tbEUlT_E_NS1_11comp_targetILNS1_3genE3ELNS1_11target_archE908ELNS1_3gpuE7ELNS1_3repE0EEENS1_30default_config_static_selectorELNS0_4arch9wavefront6targetE1EEEvT1_.uses_flat_scratch, 0
	.set _ZN7rocprim17ROCPRIM_400000_NS6detail17trampoline_kernelINS0_14default_configENS1_35adjacent_difference_config_selectorILb1ElEEZNS1_24adjacent_difference_implIS3_Lb1ELb0EPlS7_ZN2at6native12_GLOBAL__N_124unique_dim_cuda_templateIlEESt5tupleIJNS8_6TensorESD_SD_EERKSD_lbbbEUlllE1_EE10hipError_tPvRmT2_T3_mT4_P12ihipStream_tbEUlT_E_NS1_11comp_targetILNS1_3genE3ELNS1_11target_archE908ELNS1_3gpuE7ELNS1_3repE0EEENS1_30default_config_static_selectorELNS0_4arch9wavefront6targetE1EEEvT1_.has_dyn_sized_stack, 0
	.set _ZN7rocprim17ROCPRIM_400000_NS6detail17trampoline_kernelINS0_14default_configENS1_35adjacent_difference_config_selectorILb1ElEEZNS1_24adjacent_difference_implIS3_Lb1ELb0EPlS7_ZN2at6native12_GLOBAL__N_124unique_dim_cuda_templateIlEESt5tupleIJNS8_6TensorESD_SD_EERKSD_lbbbEUlllE1_EE10hipError_tPvRmT2_T3_mT4_P12ihipStream_tbEUlT_E_NS1_11comp_targetILNS1_3genE3ELNS1_11target_archE908ELNS1_3gpuE7ELNS1_3repE0EEENS1_30default_config_static_selectorELNS0_4arch9wavefront6targetE1EEEvT1_.has_recursion, 0
	.set _ZN7rocprim17ROCPRIM_400000_NS6detail17trampoline_kernelINS0_14default_configENS1_35adjacent_difference_config_selectorILb1ElEEZNS1_24adjacent_difference_implIS3_Lb1ELb0EPlS7_ZN2at6native12_GLOBAL__N_124unique_dim_cuda_templateIlEESt5tupleIJNS8_6TensorESD_SD_EERKSD_lbbbEUlllE1_EE10hipError_tPvRmT2_T3_mT4_P12ihipStream_tbEUlT_E_NS1_11comp_targetILNS1_3genE3ELNS1_11target_archE908ELNS1_3gpuE7ELNS1_3repE0EEENS1_30default_config_static_selectorELNS0_4arch9wavefront6targetE1EEEvT1_.has_indirect_call, 0
	.section	.AMDGPU.csdata,"",@progbits
; Kernel info:
; codeLenInByte = 0
; TotalNumSgprs: 6
; NumVgprs: 0
; NumAgprs: 0
; TotalNumVgprs: 0
; ScratchSize: 0
; MemoryBound: 0
; FloatMode: 240
; IeeeMode: 1
; LDSByteSize: 0 bytes/workgroup (compile time only)
; SGPRBlocks: 0
; VGPRBlocks: 0
; NumSGPRsForWavesPerEU: 6
; NumVGPRsForWavesPerEU: 1
; AccumOffset: 4
; Occupancy: 8
; WaveLimiterHint : 0
; COMPUTE_PGM_RSRC2:SCRATCH_EN: 0
; COMPUTE_PGM_RSRC2:USER_SGPR: 2
; COMPUTE_PGM_RSRC2:TRAP_HANDLER: 0
; COMPUTE_PGM_RSRC2:TGID_X_EN: 1
; COMPUTE_PGM_RSRC2:TGID_Y_EN: 0
; COMPUTE_PGM_RSRC2:TGID_Z_EN: 0
; COMPUTE_PGM_RSRC2:TIDIG_COMP_CNT: 0
; COMPUTE_PGM_RSRC3_GFX90A:ACCUM_OFFSET: 0
; COMPUTE_PGM_RSRC3_GFX90A:TG_SPLIT: 0
	.section	.text._ZN7rocprim17ROCPRIM_400000_NS6detail17trampoline_kernelINS0_14default_configENS1_35adjacent_difference_config_selectorILb1ElEEZNS1_24adjacent_difference_implIS3_Lb1ELb0EPlS7_ZN2at6native12_GLOBAL__N_124unique_dim_cuda_templateIlEESt5tupleIJNS8_6TensorESD_SD_EERKSD_lbbbEUlllE1_EE10hipError_tPvRmT2_T3_mT4_P12ihipStream_tbEUlT_E_NS1_11comp_targetILNS1_3genE2ELNS1_11target_archE906ELNS1_3gpuE6ELNS1_3repE0EEENS1_30default_config_static_selectorELNS0_4arch9wavefront6targetE1EEEvT1_,"axG",@progbits,_ZN7rocprim17ROCPRIM_400000_NS6detail17trampoline_kernelINS0_14default_configENS1_35adjacent_difference_config_selectorILb1ElEEZNS1_24adjacent_difference_implIS3_Lb1ELb0EPlS7_ZN2at6native12_GLOBAL__N_124unique_dim_cuda_templateIlEESt5tupleIJNS8_6TensorESD_SD_EERKSD_lbbbEUlllE1_EE10hipError_tPvRmT2_T3_mT4_P12ihipStream_tbEUlT_E_NS1_11comp_targetILNS1_3genE2ELNS1_11target_archE906ELNS1_3gpuE6ELNS1_3repE0EEENS1_30default_config_static_selectorELNS0_4arch9wavefront6targetE1EEEvT1_,comdat
	.globl	_ZN7rocprim17ROCPRIM_400000_NS6detail17trampoline_kernelINS0_14default_configENS1_35adjacent_difference_config_selectorILb1ElEEZNS1_24adjacent_difference_implIS3_Lb1ELb0EPlS7_ZN2at6native12_GLOBAL__N_124unique_dim_cuda_templateIlEESt5tupleIJNS8_6TensorESD_SD_EERKSD_lbbbEUlllE1_EE10hipError_tPvRmT2_T3_mT4_P12ihipStream_tbEUlT_E_NS1_11comp_targetILNS1_3genE2ELNS1_11target_archE906ELNS1_3gpuE6ELNS1_3repE0EEENS1_30default_config_static_selectorELNS0_4arch9wavefront6targetE1EEEvT1_ ; -- Begin function _ZN7rocprim17ROCPRIM_400000_NS6detail17trampoline_kernelINS0_14default_configENS1_35adjacent_difference_config_selectorILb1ElEEZNS1_24adjacent_difference_implIS3_Lb1ELb0EPlS7_ZN2at6native12_GLOBAL__N_124unique_dim_cuda_templateIlEESt5tupleIJNS8_6TensorESD_SD_EERKSD_lbbbEUlllE1_EE10hipError_tPvRmT2_T3_mT4_P12ihipStream_tbEUlT_E_NS1_11comp_targetILNS1_3genE2ELNS1_11target_archE906ELNS1_3gpuE6ELNS1_3repE0EEENS1_30default_config_static_selectorELNS0_4arch9wavefront6targetE1EEEvT1_
	.p2align	8
	.type	_ZN7rocprim17ROCPRIM_400000_NS6detail17trampoline_kernelINS0_14default_configENS1_35adjacent_difference_config_selectorILb1ElEEZNS1_24adjacent_difference_implIS3_Lb1ELb0EPlS7_ZN2at6native12_GLOBAL__N_124unique_dim_cuda_templateIlEESt5tupleIJNS8_6TensorESD_SD_EERKSD_lbbbEUlllE1_EE10hipError_tPvRmT2_T3_mT4_P12ihipStream_tbEUlT_E_NS1_11comp_targetILNS1_3genE2ELNS1_11target_archE906ELNS1_3gpuE6ELNS1_3repE0EEENS1_30default_config_static_selectorELNS0_4arch9wavefront6targetE1EEEvT1_,@function
_ZN7rocprim17ROCPRIM_400000_NS6detail17trampoline_kernelINS0_14default_configENS1_35adjacent_difference_config_selectorILb1ElEEZNS1_24adjacent_difference_implIS3_Lb1ELb0EPlS7_ZN2at6native12_GLOBAL__N_124unique_dim_cuda_templateIlEESt5tupleIJNS8_6TensorESD_SD_EERKSD_lbbbEUlllE1_EE10hipError_tPvRmT2_T3_mT4_P12ihipStream_tbEUlT_E_NS1_11comp_targetILNS1_3genE2ELNS1_11target_archE906ELNS1_3gpuE6ELNS1_3repE0EEENS1_30default_config_static_selectorELNS0_4arch9wavefront6targetE1EEEvT1_: ; @_ZN7rocprim17ROCPRIM_400000_NS6detail17trampoline_kernelINS0_14default_configENS1_35adjacent_difference_config_selectorILb1ElEEZNS1_24adjacent_difference_implIS3_Lb1ELb0EPlS7_ZN2at6native12_GLOBAL__N_124unique_dim_cuda_templateIlEESt5tupleIJNS8_6TensorESD_SD_EERKSD_lbbbEUlllE1_EE10hipError_tPvRmT2_T3_mT4_P12ihipStream_tbEUlT_E_NS1_11comp_targetILNS1_3genE2ELNS1_11target_archE906ELNS1_3gpuE6ELNS1_3repE0EEENS1_30default_config_static_selectorELNS0_4arch9wavefront6targetE1EEEvT1_
; %bb.0:
	.section	.rodata,"a",@progbits
	.p2align	6, 0x0
	.amdhsa_kernel _ZN7rocprim17ROCPRIM_400000_NS6detail17trampoline_kernelINS0_14default_configENS1_35adjacent_difference_config_selectorILb1ElEEZNS1_24adjacent_difference_implIS3_Lb1ELb0EPlS7_ZN2at6native12_GLOBAL__N_124unique_dim_cuda_templateIlEESt5tupleIJNS8_6TensorESD_SD_EERKSD_lbbbEUlllE1_EE10hipError_tPvRmT2_T3_mT4_P12ihipStream_tbEUlT_E_NS1_11comp_targetILNS1_3genE2ELNS1_11target_archE906ELNS1_3gpuE6ELNS1_3repE0EEENS1_30default_config_static_selectorELNS0_4arch9wavefront6targetE1EEEvT1_
		.amdhsa_group_segment_fixed_size 0
		.amdhsa_private_segment_fixed_size 0
		.amdhsa_kernarg_size 64
		.amdhsa_user_sgpr_count 2
		.amdhsa_user_sgpr_dispatch_ptr 0
		.amdhsa_user_sgpr_queue_ptr 0
		.amdhsa_user_sgpr_kernarg_segment_ptr 1
		.amdhsa_user_sgpr_dispatch_id 0
		.amdhsa_user_sgpr_kernarg_preload_length 0
		.amdhsa_user_sgpr_kernarg_preload_offset 0
		.amdhsa_user_sgpr_private_segment_size 0
		.amdhsa_uses_dynamic_stack 0
		.amdhsa_enable_private_segment 0
		.amdhsa_system_sgpr_workgroup_id_x 1
		.amdhsa_system_sgpr_workgroup_id_y 0
		.amdhsa_system_sgpr_workgroup_id_z 0
		.amdhsa_system_sgpr_workgroup_info 0
		.amdhsa_system_vgpr_workitem_id 0
		.amdhsa_next_free_vgpr 1
		.amdhsa_next_free_sgpr 0
		.amdhsa_accum_offset 4
		.amdhsa_reserve_vcc 0
		.amdhsa_float_round_mode_32 0
		.amdhsa_float_round_mode_16_64 0
		.amdhsa_float_denorm_mode_32 3
		.amdhsa_float_denorm_mode_16_64 3
		.amdhsa_dx10_clamp 1
		.amdhsa_ieee_mode 1
		.amdhsa_fp16_overflow 0
		.amdhsa_tg_split 0
		.amdhsa_exception_fp_ieee_invalid_op 0
		.amdhsa_exception_fp_denorm_src 0
		.amdhsa_exception_fp_ieee_div_zero 0
		.amdhsa_exception_fp_ieee_overflow 0
		.amdhsa_exception_fp_ieee_underflow 0
		.amdhsa_exception_fp_ieee_inexact 0
		.amdhsa_exception_int_div_zero 0
	.end_amdhsa_kernel
	.section	.text._ZN7rocprim17ROCPRIM_400000_NS6detail17trampoline_kernelINS0_14default_configENS1_35adjacent_difference_config_selectorILb1ElEEZNS1_24adjacent_difference_implIS3_Lb1ELb0EPlS7_ZN2at6native12_GLOBAL__N_124unique_dim_cuda_templateIlEESt5tupleIJNS8_6TensorESD_SD_EERKSD_lbbbEUlllE1_EE10hipError_tPvRmT2_T3_mT4_P12ihipStream_tbEUlT_E_NS1_11comp_targetILNS1_3genE2ELNS1_11target_archE906ELNS1_3gpuE6ELNS1_3repE0EEENS1_30default_config_static_selectorELNS0_4arch9wavefront6targetE1EEEvT1_,"axG",@progbits,_ZN7rocprim17ROCPRIM_400000_NS6detail17trampoline_kernelINS0_14default_configENS1_35adjacent_difference_config_selectorILb1ElEEZNS1_24adjacent_difference_implIS3_Lb1ELb0EPlS7_ZN2at6native12_GLOBAL__N_124unique_dim_cuda_templateIlEESt5tupleIJNS8_6TensorESD_SD_EERKSD_lbbbEUlllE1_EE10hipError_tPvRmT2_T3_mT4_P12ihipStream_tbEUlT_E_NS1_11comp_targetILNS1_3genE2ELNS1_11target_archE906ELNS1_3gpuE6ELNS1_3repE0EEENS1_30default_config_static_selectorELNS0_4arch9wavefront6targetE1EEEvT1_,comdat
.Lfunc_end560:
	.size	_ZN7rocprim17ROCPRIM_400000_NS6detail17trampoline_kernelINS0_14default_configENS1_35adjacent_difference_config_selectorILb1ElEEZNS1_24adjacent_difference_implIS3_Lb1ELb0EPlS7_ZN2at6native12_GLOBAL__N_124unique_dim_cuda_templateIlEESt5tupleIJNS8_6TensorESD_SD_EERKSD_lbbbEUlllE1_EE10hipError_tPvRmT2_T3_mT4_P12ihipStream_tbEUlT_E_NS1_11comp_targetILNS1_3genE2ELNS1_11target_archE906ELNS1_3gpuE6ELNS1_3repE0EEENS1_30default_config_static_selectorELNS0_4arch9wavefront6targetE1EEEvT1_, .Lfunc_end560-_ZN7rocprim17ROCPRIM_400000_NS6detail17trampoline_kernelINS0_14default_configENS1_35adjacent_difference_config_selectorILb1ElEEZNS1_24adjacent_difference_implIS3_Lb1ELb0EPlS7_ZN2at6native12_GLOBAL__N_124unique_dim_cuda_templateIlEESt5tupleIJNS8_6TensorESD_SD_EERKSD_lbbbEUlllE1_EE10hipError_tPvRmT2_T3_mT4_P12ihipStream_tbEUlT_E_NS1_11comp_targetILNS1_3genE2ELNS1_11target_archE906ELNS1_3gpuE6ELNS1_3repE0EEENS1_30default_config_static_selectorELNS0_4arch9wavefront6targetE1EEEvT1_
                                        ; -- End function
	.set _ZN7rocprim17ROCPRIM_400000_NS6detail17trampoline_kernelINS0_14default_configENS1_35adjacent_difference_config_selectorILb1ElEEZNS1_24adjacent_difference_implIS3_Lb1ELb0EPlS7_ZN2at6native12_GLOBAL__N_124unique_dim_cuda_templateIlEESt5tupleIJNS8_6TensorESD_SD_EERKSD_lbbbEUlllE1_EE10hipError_tPvRmT2_T3_mT4_P12ihipStream_tbEUlT_E_NS1_11comp_targetILNS1_3genE2ELNS1_11target_archE906ELNS1_3gpuE6ELNS1_3repE0EEENS1_30default_config_static_selectorELNS0_4arch9wavefront6targetE1EEEvT1_.num_vgpr, 0
	.set _ZN7rocprim17ROCPRIM_400000_NS6detail17trampoline_kernelINS0_14default_configENS1_35adjacent_difference_config_selectorILb1ElEEZNS1_24adjacent_difference_implIS3_Lb1ELb0EPlS7_ZN2at6native12_GLOBAL__N_124unique_dim_cuda_templateIlEESt5tupleIJNS8_6TensorESD_SD_EERKSD_lbbbEUlllE1_EE10hipError_tPvRmT2_T3_mT4_P12ihipStream_tbEUlT_E_NS1_11comp_targetILNS1_3genE2ELNS1_11target_archE906ELNS1_3gpuE6ELNS1_3repE0EEENS1_30default_config_static_selectorELNS0_4arch9wavefront6targetE1EEEvT1_.num_agpr, 0
	.set _ZN7rocprim17ROCPRIM_400000_NS6detail17trampoline_kernelINS0_14default_configENS1_35adjacent_difference_config_selectorILb1ElEEZNS1_24adjacent_difference_implIS3_Lb1ELb0EPlS7_ZN2at6native12_GLOBAL__N_124unique_dim_cuda_templateIlEESt5tupleIJNS8_6TensorESD_SD_EERKSD_lbbbEUlllE1_EE10hipError_tPvRmT2_T3_mT4_P12ihipStream_tbEUlT_E_NS1_11comp_targetILNS1_3genE2ELNS1_11target_archE906ELNS1_3gpuE6ELNS1_3repE0EEENS1_30default_config_static_selectorELNS0_4arch9wavefront6targetE1EEEvT1_.numbered_sgpr, 0
	.set _ZN7rocprim17ROCPRIM_400000_NS6detail17trampoline_kernelINS0_14default_configENS1_35adjacent_difference_config_selectorILb1ElEEZNS1_24adjacent_difference_implIS3_Lb1ELb0EPlS7_ZN2at6native12_GLOBAL__N_124unique_dim_cuda_templateIlEESt5tupleIJNS8_6TensorESD_SD_EERKSD_lbbbEUlllE1_EE10hipError_tPvRmT2_T3_mT4_P12ihipStream_tbEUlT_E_NS1_11comp_targetILNS1_3genE2ELNS1_11target_archE906ELNS1_3gpuE6ELNS1_3repE0EEENS1_30default_config_static_selectorELNS0_4arch9wavefront6targetE1EEEvT1_.num_named_barrier, 0
	.set _ZN7rocprim17ROCPRIM_400000_NS6detail17trampoline_kernelINS0_14default_configENS1_35adjacent_difference_config_selectorILb1ElEEZNS1_24adjacent_difference_implIS3_Lb1ELb0EPlS7_ZN2at6native12_GLOBAL__N_124unique_dim_cuda_templateIlEESt5tupleIJNS8_6TensorESD_SD_EERKSD_lbbbEUlllE1_EE10hipError_tPvRmT2_T3_mT4_P12ihipStream_tbEUlT_E_NS1_11comp_targetILNS1_3genE2ELNS1_11target_archE906ELNS1_3gpuE6ELNS1_3repE0EEENS1_30default_config_static_selectorELNS0_4arch9wavefront6targetE1EEEvT1_.private_seg_size, 0
	.set _ZN7rocprim17ROCPRIM_400000_NS6detail17trampoline_kernelINS0_14default_configENS1_35adjacent_difference_config_selectorILb1ElEEZNS1_24adjacent_difference_implIS3_Lb1ELb0EPlS7_ZN2at6native12_GLOBAL__N_124unique_dim_cuda_templateIlEESt5tupleIJNS8_6TensorESD_SD_EERKSD_lbbbEUlllE1_EE10hipError_tPvRmT2_T3_mT4_P12ihipStream_tbEUlT_E_NS1_11comp_targetILNS1_3genE2ELNS1_11target_archE906ELNS1_3gpuE6ELNS1_3repE0EEENS1_30default_config_static_selectorELNS0_4arch9wavefront6targetE1EEEvT1_.uses_vcc, 0
	.set _ZN7rocprim17ROCPRIM_400000_NS6detail17trampoline_kernelINS0_14default_configENS1_35adjacent_difference_config_selectorILb1ElEEZNS1_24adjacent_difference_implIS3_Lb1ELb0EPlS7_ZN2at6native12_GLOBAL__N_124unique_dim_cuda_templateIlEESt5tupleIJNS8_6TensorESD_SD_EERKSD_lbbbEUlllE1_EE10hipError_tPvRmT2_T3_mT4_P12ihipStream_tbEUlT_E_NS1_11comp_targetILNS1_3genE2ELNS1_11target_archE906ELNS1_3gpuE6ELNS1_3repE0EEENS1_30default_config_static_selectorELNS0_4arch9wavefront6targetE1EEEvT1_.uses_flat_scratch, 0
	.set _ZN7rocprim17ROCPRIM_400000_NS6detail17trampoline_kernelINS0_14default_configENS1_35adjacent_difference_config_selectorILb1ElEEZNS1_24adjacent_difference_implIS3_Lb1ELb0EPlS7_ZN2at6native12_GLOBAL__N_124unique_dim_cuda_templateIlEESt5tupleIJNS8_6TensorESD_SD_EERKSD_lbbbEUlllE1_EE10hipError_tPvRmT2_T3_mT4_P12ihipStream_tbEUlT_E_NS1_11comp_targetILNS1_3genE2ELNS1_11target_archE906ELNS1_3gpuE6ELNS1_3repE0EEENS1_30default_config_static_selectorELNS0_4arch9wavefront6targetE1EEEvT1_.has_dyn_sized_stack, 0
	.set _ZN7rocprim17ROCPRIM_400000_NS6detail17trampoline_kernelINS0_14default_configENS1_35adjacent_difference_config_selectorILb1ElEEZNS1_24adjacent_difference_implIS3_Lb1ELb0EPlS7_ZN2at6native12_GLOBAL__N_124unique_dim_cuda_templateIlEESt5tupleIJNS8_6TensorESD_SD_EERKSD_lbbbEUlllE1_EE10hipError_tPvRmT2_T3_mT4_P12ihipStream_tbEUlT_E_NS1_11comp_targetILNS1_3genE2ELNS1_11target_archE906ELNS1_3gpuE6ELNS1_3repE0EEENS1_30default_config_static_selectorELNS0_4arch9wavefront6targetE1EEEvT1_.has_recursion, 0
	.set _ZN7rocprim17ROCPRIM_400000_NS6detail17trampoline_kernelINS0_14default_configENS1_35adjacent_difference_config_selectorILb1ElEEZNS1_24adjacent_difference_implIS3_Lb1ELb0EPlS7_ZN2at6native12_GLOBAL__N_124unique_dim_cuda_templateIlEESt5tupleIJNS8_6TensorESD_SD_EERKSD_lbbbEUlllE1_EE10hipError_tPvRmT2_T3_mT4_P12ihipStream_tbEUlT_E_NS1_11comp_targetILNS1_3genE2ELNS1_11target_archE906ELNS1_3gpuE6ELNS1_3repE0EEENS1_30default_config_static_selectorELNS0_4arch9wavefront6targetE1EEEvT1_.has_indirect_call, 0
	.section	.AMDGPU.csdata,"",@progbits
; Kernel info:
; codeLenInByte = 0
; TotalNumSgprs: 6
; NumVgprs: 0
; NumAgprs: 0
; TotalNumVgprs: 0
; ScratchSize: 0
; MemoryBound: 0
; FloatMode: 240
; IeeeMode: 1
; LDSByteSize: 0 bytes/workgroup (compile time only)
; SGPRBlocks: 0
; VGPRBlocks: 0
; NumSGPRsForWavesPerEU: 6
; NumVGPRsForWavesPerEU: 1
; AccumOffset: 4
; Occupancy: 8
; WaveLimiterHint : 0
; COMPUTE_PGM_RSRC2:SCRATCH_EN: 0
; COMPUTE_PGM_RSRC2:USER_SGPR: 2
; COMPUTE_PGM_RSRC2:TRAP_HANDLER: 0
; COMPUTE_PGM_RSRC2:TGID_X_EN: 1
; COMPUTE_PGM_RSRC2:TGID_Y_EN: 0
; COMPUTE_PGM_RSRC2:TGID_Z_EN: 0
; COMPUTE_PGM_RSRC2:TIDIG_COMP_CNT: 0
; COMPUTE_PGM_RSRC3_GFX90A:ACCUM_OFFSET: 0
; COMPUTE_PGM_RSRC3_GFX90A:TG_SPLIT: 0
	.section	.text._ZN7rocprim17ROCPRIM_400000_NS6detail17trampoline_kernelINS0_14default_configENS1_35adjacent_difference_config_selectorILb1ElEEZNS1_24adjacent_difference_implIS3_Lb1ELb0EPlS7_ZN2at6native12_GLOBAL__N_124unique_dim_cuda_templateIlEESt5tupleIJNS8_6TensorESD_SD_EERKSD_lbbbEUlllE1_EE10hipError_tPvRmT2_T3_mT4_P12ihipStream_tbEUlT_E_NS1_11comp_targetILNS1_3genE9ELNS1_11target_archE1100ELNS1_3gpuE3ELNS1_3repE0EEENS1_30default_config_static_selectorELNS0_4arch9wavefront6targetE1EEEvT1_,"axG",@progbits,_ZN7rocprim17ROCPRIM_400000_NS6detail17trampoline_kernelINS0_14default_configENS1_35adjacent_difference_config_selectorILb1ElEEZNS1_24adjacent_difference_implIS3_Lb1ELb0EPlS7_ZN2at6native12_GLOBAL__N_124unique_dim_cuda_templateIlEESt5tupleIJNS8_6TensorESD_SD_EERKSD_lbbbEUlllE1_EE10hipError_tPvRmT2_T3_mT4_P12ihipStream_tbEUlT_E_NS1_11comp_targetILNS1_3genE9ELNS1_11target_archE1100ELNS1_3gpuE3ELNS1_3repE0EEENS1_30default_config_static_selectorELNS0_4arch9wavefront6targetE1EEEvT1_,comdat
	.globl	_ZN7rocprim17ROCPRIM_400000_NS6detail17trampoline_kernelINS0_14default_configENS1_35adjacent_difference_config_selectorILb1ElEEZNS1_24adjacent_difference_implIS3_Lb1ELb0EPlS7_ZN2at6native12_GLOBAL__N_124unique_dim_cuda_templateIlEESt5tupleIJNS8_6TensorESD_SD_EERKSD_lbbbEUlllE1_EE10hipError_tPvRmT2_T3_mT4_P12ihipStream_tbEUlT_E_NS1_11comp_targetILNS1_3genE9ELNS1_11target_archE1100ELNS1_3gpuE3ELNS1_3repE0EEENS1_30default_config_static_selectorELNS0_4arch9wavefront6targetE1EEEvT1_ ; -- Begin function _ZN7rocprim17ROCPRIM_400000_NS6detail17trampoline_kernelINS0_14default_configENS1_35adjacent_difference_config_selectorILb1ElEEZNS1_24adjacent_difference_implIS3_Lb1ELb0EPlS7_ZN2at6native12_GLOBAL__N_124unique_dim_cuda_templateIlEESt5tupleIJNS8_6TensorESD_SD_EERKSD_lbbbEUlllE1_EE10hipError_tPvRmT2_T3_mT4_P12ihipStream_tbEUlT_E_NS1_11comp_targetILNS1_3genE9ELNS1_11target_archE1100ELNS1_3gpuE3ELNS1_3repE0EEENS1_30default_config_static_selectorELNS0_4arch9wavefront6targetE1EEEvT1_
	.p2align	8
	.type	_ZN7rocprim17ROCPRIM_400000_NS6detail17trampoline_kernelINS0_14default_configENS1_35adjacent_difference_config_selectorILb1ElEEZNS1_24adjacent_difference_implIS3_Lb1ELb0EPlS7_ZN2at6native12_GLOBAL__N_124unique_dim_cuda_templateIlEESt5tupleIJNS8_6TensorESD_SD_EERKSD_lbbbEUlllE1_EE10hipError_tPvRmT2_T3_mT4_P12ihipStream_tbEUlT_E_NS1_11comp_targetILNS1_3genE9ELNS1_11target_archE1100ELNS1_3gpuE3ELNS1_3repE0EEENS1_30default_config_static_selectorELNS0_4arch9wavefront6targetE1EEEvT1_,@function
_ZN7rocprim17ROCPRIM_400000_NS6detail17trampoline_kernelINS0_14default_configENS1_35adjacent_difference_config_selectorILb1ElEEZNS1_24adjacent_difference_implIS3_Lb1ELb0EPlS7_ZN2at6native12_GLOBAL__N_124unique_dim_cuda_templateIlEESt5tupleIJNS8_6TensorESD_SD_EERKSD_lbbbEUlllE1_EE10hipError_tPvRmT2_T3_mT4_P12ihipStream_tbEUlT_E_NS1_11comp_targetILNS1_3genE9ELNS1_11target_archE1100ELNS1_3gpuE3ELNS1_3repE0EEENS1_30default_config_static_selectorELNS0_4arch9wavefront6targetE1EEEvT1_: ; @_ZN7rocprim17ROCPRIM_400000_NS6detail17trampoline_kernelINS0_14default_configENS1_35adjacent_difference_config_selectorILb1ElEEZNS1_24adjacent_difference_implIS3_Lb1ELb0EPlS7_ZN2at6native12_GLOBAL__N_124unique_dim_cuda_templateIlEESt5tupleIJNS8_6TensorESD_SD_EERKSD_lbbbEUlllE1_EE10hipError_tPvRmT2_T3_mT4_P12ihipStream_tbEUlT_E_NS1_11comp_targetILNS1_3genE9ELNS1_11target_archE1100ELNS1_3gpuE3ELNS1_3repE0EEENS1_30default_config_static_selectorELNS0_4arch9wavefront6targetE1EEEvT1_
; %bb.0:
	.section	.rodata,"a",@progbits
	.p2align	6, 0x0
	.amdhsa_kernel _ZN7rocprim17ROCPRIM_400000_NS6detail17trampoline_kernelINS0_14default_configENS1_35adjacent_difference_config_selectorILb1ElEEZNS1_24adjacent_difference_implIS3_Lb1ELb0EPlS7_ZN2at6native12_GLOBAL__N_124unique_dim_cuda_templateIlEESt5tupleIJNS8_6TensorESD_SD_EERKSD_lbbbEUlllE1_EE10hipError_tPvRmT2_T3_mT4_P12ihipStream_tbEUlT_E_NS1_11comp_targetILNS1_3genE9ELNS1_11target_archE1100ELNS1_3gpuE3ELNS1_3repE0EEENS1_30default_config_static_selectorELNS0_4arch9wavefront6targetE1EEEvT1_
		.amdhsa_group_segment_fixed_size 0
		.amdhsa_private_segment_fixed_size 0
		.amdhsa_kernarg_size 64
		.amdhsa_user_sgpr_count 2
		.amdhsa_user_sgpr_dispatch_ptr 0
		.amdhsa_user_sgpr_queue_ptr 0
		.amdhsa_user_sgpr_kernarg_segment_ptr 1
		.amdhsa_user_sgpr_dispatch_id 0
		.amdhsa_user_sgpr_kernarg_preload_length 0
		.amdhsa_user_sgpr_kernarg_preload_offset 0
		.amdhsa_user_sgpr_private_segment_size 0
		.amdhsa_uses_dynamic_stack 0
		.amdhsa_enable_private_segment 0
		.amdhsa_system_sgpr_workgroup_id_x 1
		.amdhsa_system_sgpr_workgroup_id_y 0
		.amdhsa_system_sgpr_workgroup_id_z 0
		.amdhsa_system_sgpr_workgroup_info 0
		.amdhsa_system_vgpr_workitem_id 0
		.amdhsa_next_free_vgpr 1
		.amdhsa_next_free_sgpr 0
		.amdhsa_accum_offset 4
		.amdhsa_reserve_vcc 0
		.amdhsa_float_round_mode_32 0
		.amdhsa_float_round_mode_16_64 0
		.amdhsa_float_denorm_mode_32 3
		.amdhsa_float_denorm_mode_16_64 3
		.amdhsa_dx10_clamp 1
		.amdhsa_ieee_mode 1
		.amdhsa_fp16_overflow 0
		.amdhsa_tg_split 0
		.amdhsa_exception_fp_ieee_invalid_op 0
		.amdhsa_exception_fp_denorm_src 0
		.amdhsa_exception_fp_ieee_div_zero 0
		.amdhsa_exception_fp_ieee_overflow 0
		.amdhsa_exception_fp_ieee_underflow 0
		.amdhsa_exception_fp_ieee_inexact 0
		.amdhsa_exception_int_div_zero 0
	.end_amdhsa_kernel
	.section	.text._ZN7rocprim17ROCPRIM_400000_NS6detail17trampoline_kernelINS0_14default_configENS1_35adjacent_difference_config_selectorILb1ElEEZNS1_24adjacent_difference_implIS3_Lb1ELb0EPlS7_ZN2at6native12_GLOBAL__N_124unique_dim_cuda_templateIlEESt5tupleIJNS8_6TensorESD_SD_EERKSD_lbbbEUlllE1_EE10hipError_tPvRmT2_T3_mT4_P12ihipStream_tbEUlT_E_NS1_11comp_targetILNS1_3genE9ELNS1_11target_archE1100ELNS1_3gpuE3ELNS1_3repE0EEENS1_30default_config_static_selectorELNS0_4arch9wavefront6targetE1EEEvT1_,"axG",@progbits,_ZN7rocprim17ROCPRIM_400000_NS6detail17trampoline_kernelINS0_14default_configENS1_35adjacent_difference_config_selectorILb1ElEEZNS1_24adjacent_difference_implIS3_Lb1ELb0EPlS7_ZN2at6native12_GLOBAL__N_124unique_dim_cuda_templateIlEESt5tupleIJNS8_6TensorESD_SD_EERKSD_lbbbEUlllE1_EE10hipError_tPvRmT2_T3_mT4_P12ihipStream_tbEUlT_E_NS1_11comp_targetILNS1_3genE9ELNS1_11target_archE1100ELNS1_3gpuE3ELNS1_3repE0EEENS1_30default_config_static_selectorELNS0_4arch9wavefront6targetE1EEEvT1_,comdat
.Lfunc_end561:
	.size	_ZN7rocprim17ROCPRIM_400000_NS6detail17trampoline_kernelINS0_14default_configENS1_35adjacent_difference_config_selectorILb1ElEEZNS1_24adjacent_difference_implIS3_Lb1ELb0EPlS7_ZN2at6native12_GLOBAL__N_124unique_dim_cuda_templateIlEESt5tupleIJNS8_6TensorESD_SD_EERKSD_lbbbEUlllE1_EE10hipError_tPvRmT2_T3_mT4_P12ihipStream_tbEUlT_E_NS1_11comp_targetILNS1_3genE9ELNS1_11target_archE1100ELNS1_3gpuE3ELNS1_3repE0EEENS1_30default_config_static_selectorELNS0_4arch9wavefront6targetE1EEEvT1_, .Lfunc_end561-_ZN7rocprim17ROCPRIM_400000_NS6detail17trampoline_kernelINS0_14default_configENS1_35adjacent_difference_config_selectorILb1ElEEZNS1_24adjacent_difference_implIS3_Lb1ELb0EPlS7_ZN2at6native12_GLOBAL__N_124unique_dim_cuda_templateIlEESt5tupleIJNS8_6TensorESD_SD_EERKSD_lbbbEUlllE1_EE10hipError_tPvRmT2_T3_mT4_P12ihipStream_tbEUlT_E_NS1_11comp_targetILNS1_3genE9ELNS1_11target_archE1100ELNS1_3gpuE3ELNS1_3repE0EEENS1_30default_config_static_selectorELNS0_4arch9wavefront6targetE1EEEvT1_
                                        ; -- End function
	.set _ZN7rocprim17ROCPRIM_400000_NS6detail17trampoline_kernelINS0_14default_configENS1_35adjacent_difference_config_selectorILb1ElEEZNS1_24adjacent_difference_implIS3_Lb1ELb0EPlS7_ZN2at6native12_GLOBAL__N_124unique_dim_cuda_templateIlEESt5tupleIJNS8_6TensorESD_SD_EERKSD_lbbbEUlllE1_EE10hipError_tPvRmT2_T3_mT4_P12ihipStream_tbEUlT_E_NS1_11comp_targetILNS1_3genE9ELNS1_11target_archE1100ELNS1_3gpuE3ELNS1_3repE0EEENS1_30default_config_static_selectorELNS0_4arch9wavefront6targetE1EEEvT1_.num_vgpr, 0
	.set _ZN7rocprim17ROCPRIM_400000_NS6detail17trampoline_kernelINS0_14default_configENS1_35adjacent_difference_config_selectorILb1ElEEZNS1_24adjacent_difference_implIS3_Lb1ELb0EPlS7_ZN2at6native12_GLOBAL__N_124unique_dim_cuda_templateIlEESt5tupleIJNS8_6TensorESD_SD_EERKSD_lbbbEUlllE1_EE10hipError_tPvRmT2_T3_mT4_P12ihipStream_tbEUlT_E_NS1_11comp_targetILNS1_3genE9ELNS1_11target_archE1100ELNS1_3gpuE3ELNS1_3repE0EEENS1_30default_config_static_selectorELNS0_4arch9wavefront6targetE1EEEvT1_.num_agpr, 0
	.set _ZN7rocprim17ROCPRIM_400000_NS6detail17trampoline_kernelINS0_14default_configENS1_35adjacent_difference_config_selectorILb1ElEEZNS1_24adjacent_difference_implIS3_Lb1ELb0EPlS7_ZN2at6native12_GLOBAL__N_124unique_dim_cuda_templateIlEESt5tupleIJNS8_6TensorESD_SD_EERKSD_lbbbEUlllE1_EE10hipError_tPvRmT2_T3_mT4_P12ihipStream_tbEUlT_E_NS1_11comp_targetILNS1_3genE9ELNS1_11target_archE1100ELNS1_3gpuE3ELNS1_3repE0EEENS1_30default_config_static_selectorELNS0_4arch9wavefront6targetE1EEEvT1_.numbered_sgpr, 0
	.set _ZN7rocprim17ROCPRIM_400000_NS6detail17trampoline_kernelINS0_14default_configENS1_35adjacent_difference_config_selectorILb1ElEEZNS1_24adjacent_difference_implIS3_Lb1ELb0EPlS7_ZN2at6native12_GLOBAL__N_124unique_dim_cuda_templateIlEESt5tupleIJNS8_6TensorESD_SD_EERKSD_lbbbEUlllE1_EE10hipError_tPvRmT2_T3_mT4_P12ihipStream_tbEUlT_E_NS1_11comp_targetILNS1_3genE9ELNS1_11target_archE1100ELNS1_3gpuE3ELNS1_3repE0EEENS1_30default_config_static_selectorELNS0_4arch9wavefront6targetE1EEEvT1_.num_named_barrier, 0
	.set _ZN7rocprim17ROCPRIM_400000_NS6detail17trampoline_kernelINS0_14default_configENS1_35adjacent_difference_config_selectorILb1ElEEZNS1_24adjacent_difference_implIS3_Lb1ELb0EPlS7_ZN2at6native12_GLOBAL__N_124unique_dim_cuda_templateIlEESt5tupleIJNS8_6TensorESD_SD_EERKSD_lbbbEUlllE1_EE10hipError_tPvRmT2_T3_mT4_P12ihipStream_tbEUlT_E_NS1_11comp_targetILNS1_3genE9ELNS1_11target_archE1100ELNS1_3gpuE3ELNS1_3repE0EEENS1_30default_config_static_selectorELNS0_4arch9wavefront6targetE1EEEvT1_.private_seg_size, 0
	.set _ZN7rocprim17ROCPRIM_400000_NS6detail17trampoline_kernelINS0_14default_configENS1_35adjacent_difference_config_selectorILb1ElEEZNS1_24adjacent_difference_implIS3_Lb1ELb0EPlS7_ZN2at6native12_GLOBAL__N_124unique_dim_cuda_templateIlEESt5tupleIJNS8_6TensorESD_SD_EERKSD_lbbbEUlllE1_EE10hipError_tPvRmT2_T3_mT4_P12ihipStream_tbEUlT_E_NS1_11comp_targetILNS1_3genE9ELNS1_11target_archE1100ELNS1_3gpuE3ELNS1_3repE0EEENS1_30default_config_static_selectorELNS0_4arch9wavefront6targetE1EEEvT1_.uses_vcc, 0
	.set _ZN7rocprim17ROCPRIM_400000_NS6detail17trampoline_kernelINS0_14default_configENS1_35adjacent_difference_config_selectorILb1ElEEZNS1_24adjacent_difference_implIS3_Lb1ELb0EPlS7_ZN2at6native12_GLOBAL__N_124unique_dim_cuda_templateIlEESt5tupleIJNS8_6TensorESD_SD_EERKSD_lbbbEUlllE1_EE10hipError_tPvRmT2_T3_mT4_P12ihipStream_tbEUlT_E_NS1_11comp_targetILNS1_3genE9ELNS1_11target_archE1100ELNS1_3gpuE3ELNS1_3repE0EEENS1_30default_config_static_selectorELNS0_4arch9wavefront6targetE1EEEvT1_.uses_flat_scratch, 0
	.set _ZN7rocprim17ROCPRIM_400000_NS6detail17trampoline_kernelINS0_14default_configENS1_35adjacent_difference_config_selectorILb1ElEEZNS1_24adjacent_difference_implIS3_Lb1ELb0EPlS7_ZN2at6native12_GLOBAL__N_124unique_dim_cuda_templateIlEESt5tupleIJNS8_6TensorESD_SD_EERKSD_lbbbEUlllE1_EE10hipError_tPvRmT2_T3_mT4_P12ihipStream_tbEUlT_E_NS1_11comp_targetILNS1_3genE9ELNS1_11target_archE1100ELNS1_3gpuE3ELNS1_3repE0EEENS1_30default_config_static_selectorELNS0_4arch9wavefront6targetE1EEEvT1_.has_dyn_sized_stack, 0
	.set _ZN7rocprim17ROCPRIM_400000_NS6detail17trampoline_kernelINS0_14default_configENS1_35adjacent_difference_config_selectorILb1ElEEZNS1_24adjacent_difference_implIS3_Lb1ELb0EPlS7_ZN2at6native12_GLOBAL__N_124unique_dim_cuda_templateIlEESt5tupleIJNS8_6TensorESD_SD_EERKSD_lbbbEUlllE1_EE10hipError_tPvRmT2_T3_mT4_P12ihipStream_tbEUlT_E_NS1_11comp_targetILNS1_3genE9ELNS1_11target_archE1100ELNS1_3gpuE3ELNS1_3repE0EEENS1_30default_config_static_selectorELNS0_4arch9wavefront6targetE1EEEvT1_.has_recursion, 0
	.set _ZN7rocprim17ROCPRIM_400000_NS6detail17trampoline_kernelINS0_14default_configENS1_35adjacent_difference_config_selectorILb1ElEEZNS1_24adjacent_difference_implIS3_Lb1ELb0EPlS7_ZN2at6native12_GLOBAL__N_124unique_dim_cuda_templateIlEESt5tupleIJNS8_6TensorESD_SD_EERKSD_lbbbEUlllE1_EE10hipError_tPvRmT2_T3_mT4_P12ihipStream_tbEUlT_E_NS1_11comp_targetILNS1_3genE9ELNS1_11target_archE1100ELNS1_3gpuE3ELNS1_3repE0EEENS1_30default_config_static_selectorELNS0_4arch9wavefront6targetE1EEEvT1_.has_indirect_call, 0
	.section	.AMDGPU.csdata,"",@progbits
; Kernel info:
; codeLenInByte = 0
; TotalNumSgprs: 6
; NumVgprs: 0
; NumAgprs: 0
; TotalNumVgprs: 0
; ScratchSize: 0
; MemoryBound: 0
; FloatMode: 240
; IeeeMode: 1
; LDSByteSize: 0 bytes/workgroup (compile time only)
; SGPRBlocks: 0
; VGPRBlocks: 0
; NumSGPRsForWavesPerEU: 6
; NumVGPRsForWavesPerEU: 1
; AccumOffset: 4
; Occupancy: 8
; WaveLimiterHint : 0
; COMPUTE_PGM_RSRC2:SCRATCH_EN: 0
; COMPUTE_PGM_RSRC2:USER_SGPR: 2
; COMPUTE_PGM_RSRC2:TRAP_HANDLER: 0
; COMPUTE_PGM_RSRC2:TGID_X_EN: 1
; COMPUTE_PGM_RSRC2:TGID_Y_EN: 0
; COMPUTE_PGM_RSRC2:TGID_Z_EN: 0
; COMPUTE_PGM_RSRC2:TIDIG_COMP_CNT: 0
; COMPUTE_PGM_RSRC3_GFX90A:ACCUM_OFFSET: 0
; COMPUTE_PGM_RSRC3_GFX90A:TG_SPLIT: 0
	.section	.text._ZN7rocprim17ROCPRIM_400000_NS6detail17trampoline_kernelINS0_14default_configENS1_35adjacent_difference_config_selectorILb1ElEEZNS1_24adjacent_difference_implIS3_Lb1ELb0EPlS7_ZN2at6native12_GLOBAL__N_124unique_dim_cuda_templateIlEESt5tupleIJNS8_6TensorESD_SD_EERKSD_lbbbEUlllE1_EE10hipError_tPvRmT2_T3_mT4_P12ihipStream_tbEUlT_E_NS1_11comp_targetILNS1_3genE8ELNS1_11target_archE1030ELNS1_3gpuE2ELNS1_3repE0EEENS1_30default_config_static_selectorELNS0_4arch9wavefront6targetE1EEEvT1_,"axG",@progbits,_ZN7rocprim17ROCPRIM_400000_NS6detail17trampoline_kernelINS0_14default_configENS1_35adjacent_difference_config_selectorILb1ElEEZNS1_24adjacent_difference_implIS3_Lb1ELb0EPlS7_ZN2at6native12_GLOBAL__N_124unique_dim_cuda_templateIlEESt5tupleIJNS8_6TensorESD_SD_EERKSD_lbbbEUlllE1_EE10hipError_tPvRmT2_T3_mT4_P12ihipStream_tbEUlT_E_NS1_11comp_targetILNS1_3genE8ELNS1_11target_archE1030ELNS1_3gpuE2ELNS1_3repE0EEENS1_30default_config_static_selectorELNS0_4arch9wavefront6targetE1EEEvT1_,comdat
	.globl	_ZN7rocprim17ROCPRIM_400000_NS6detail17trampoline_kernelINS0_14default_configENS1_35adjacent_difference_config_selectorILb1ElEEZNS1_24adjacent_difference_implIS3_Lb1ELb0EPlS7_ZN2at6native12_GLOBAL__N_124unique_dim_cuda_templateIlEESt5tupleIJNS8_6TensorESD_SD_EERKSD_lbbbEUlllE1_EE10hipError_tPvRmT2_T3_mT4_P12ihipStream_tbEUlT_E_NS1_11comp_targetILNS1_3genE8ELNS1_11target_archE1030ELNS1_3gpuE2ELNS1_3repE0EEENS1_30default_config_static_selectorELNS0_4arch9wavefront6targetE1EEEvT1_ ; -- Begin function _ZN7rocprim17ROCPRIM_400000_NS6detail17trampoline_kernelINS0_14default_configENS1_35adjacent_difference_config_selectorILb1ElEEZNS1_24adjacent_difference_implIS3_Lb1ELb0EPlS7_ZN2at6native12_GLOBAL__N_124unique_dim_cuda_templateIlEESt5tupleIJNS8_6TensorESD_SD_EERKSD_lbbbEUlllE1_EE10hipError_tPvRmT2_T3_mT4_P12ihipStream_tbEUlT_E_NS1_11comp_targetILNS1_3genE8ELNS1_11target_archE1030ELNS1_3gpuE2ELNS1_3repE0EEENS1_30default_config_static_selectorELNS0_4arch9wavefront6targetE1EEEvT1_
	.p2align	8
	.type	_ZN7rocprim17ROCPRIM_400000_NS6detail17trampoline_kernelINS0_14default_configENS1_35adjacent_difference_config_selectorILb1ElEEZNS1_24adjacent_difference_implIS3_Lb1ELb0EPlS7_ZN2at6native12_GLOBAL__N_124unique_dim_cuda_templateIlEESt5tupleIJNS8_6TensorESD_SD_EERKSD_lbbbEUlllE1_EE10hipError_tPvRmT2_T3_mT4_P12ihipStream_tbEUlT_E_NS1_11comp_targetILNS1_3genE8ELNS1_11target_archE1030ELNS1_3gpuE2ELNS1_3repE0EEENS1_30default_config_static_selectorELNS0_4arch9wavefront6targetE1EEEvT1_,@function
_ZN7rocprim17ROCPRIM_400000_NS6detail17trampoline_kernelINS0_14default_configENS1_35adjacent_difference_config_selectorILb1ElEEZNS1_24adjacent_difference_implIS3_Lb1ELb0EPlS7_ZN2at6native12_GLOBAL__N_124unique_dim_cuda_templateIlEESt5tupleIJNS8_6TensorESD_SD_EERKSD_lbbbEUlllE1_EE10hipError_tPvRmT2_T3_mT4_P12ihipStream_tbEUlT_E_NS1_11comp_targetILNS1_3genE8ELNS1_11target_archE1030ELNS1_3gpuE2ELNS1_3repE0EEENS1_30default_config_static_selectorELNS0_4arch9wavefront6targetE1EEEvT1_: ; @_ZN7rocprim17ROCPRIM_400000_NS6detail17trampoline_kernelINS0_14default_configENS1_35adjacent_difference_config_selectorILb1ElEEZNS1_24adjacent_difference_implIS3_Lb1ELb0EPlS7_ZN2at6native12_GLOBAL__N_124unique_dim_cuda_templateIlEESt5tupleIJNS8_6TensorESD_SD_EERKSD_lbbbEUlllE1_EE10hipError_tPvRmT2_T3_mT4_P12ihipStream_tbEUlT_E_NS1_11comp_targetILNS1_3genE8ELNS1_11target_archE1030ELNS1_3gpuE2ELNS1_3repE0EEENS1_30default_config_static_selectorELNS0_4arch9wavefront6targetE1EEEvT1_
; %bb.0:
	.section	.rodata,"a",@progbits
	.p2align	6, 0x0
	.amdhsa_kernel _ZN7rocprim17ROCPRIM_400000_NS6detail17trampoline_kernelINS0_14default_configENS1_35adjacent_difference_config_selectorILb1ElEEZNS1_24adjacent_difference_implIS3_Lb1ELb0EPlS7_ZN2at6native12_GLOBAL__N_124unique_dim_cuda_templateIlEESt5tupleIJNS8_6TensorESD_SD_EERKSD_lbbbEUlllE1_EE10hipError_tPvRmT2_T3_mT4_P12ihipStream_tbEUlT_E_NS1_11comp_targetILNS1_3genE8ELNS1_11target_archE1030ELNS1_3gpuE2ELNS1_3repE0EEENS1_30default_config_static_selectorELNS0_4arch9wavefront6targetE1EEEvT1_
		.amdhsa_group_segment_fixed_size 0
		.amdhsa_private_segment_fixed_size 0
		.amdhsa_kernarg_size 64
		.amdhsa_user_sgpr_count 2
		.amdhsa_user_sgpr_dispatch_ptr 0
		.amdhsa_user_sgpr_queue_ptr 0
		.amdhsa_user_sgpr_kernarg_segment_ptr 1
		.amdhsa_user_sgpr_dispatch_id 0
		.amdhsa_user_sgpr_kernarg_preload_length 0
		.amdhsa_user_sgpr_kernarg_preload_offset 0
		.amdhsa_user_sgpr_private_segment_size 0
		.amdhsa_uses_dynamic_stack 0
		.amdhsa_enable_private_segment 0
		.amdhsa_system_sgpr_workgroup_id_x 1
		.amdhsa_system_sgpr_workgroup_id_y 0
		.amdhsa_system_sgpr_workgroup_id_z 0
		.amdhsa_system_sgpr_workgroup_info 0
		.amdhsa_system_vgpr_workitem_id 0
		.amdhsa_next_free_vgpr 1
		.amdhsa_next_free_sgpr 0
		.amdhsa_accum_offset 4
		.amdhsa_reserve_vcc 0
		.amdhsa_float_round_mode_32 0
		.amdhsa_float_round_mode_16_64 0
		.amdhsa_float_denorm_mode_32 3
		.amdhsa_float_denorm_mode_16_64 3
		.amdhsa_dx10_clamp 1
		.amdhsa_ieee_mode 1
		.amdhsa_fp16_overflow 0
		.amdhsa_tg_split 0
		.amdhsa_exception_fp_ieee_invalid_op 0
		.amdhsa_exception_fp_denorm_src 0
		.amdhsa_exception_fp_ieee_div_zero 0
		.amdhsa_exception_fp_ieee_overflow 0
		.amdhsa_exception_fp_ieee_underflow 0
		.amdhsa_exception_fp_ieee_inexact 0
		.amdhsa_exception_int_div_zero 0
	.end_amdhsa_kernel
	.section	.text._ZN7rocprim17ROCPRIM_400000_NS6detail17trampoline_kernelINS0_14default_configENS1_35adjacent_difference_config_selectorILb1ElEEZNS1_24adjacent_difference_implIS3_Lb1ELb0EPlS7_ZN2at6native12_GLOBAL__N_124unique_dim_cuda_templateIlEESt5tupleIJNS8_6TensorESD_SD_EERKSD_lbbbEUlllE1_EE10hipError_tPvRmT2_T3_mT4_P12ihipStream_tbEUlT_E_NS1_11comp_targetILNS1_3genE8ELNS1_11target_archE1030ELNS1_3gpuE2ELNS1_3repE0EEENS1_30default_config_static_selectorELNS0_4arch9wavefront6targetE1EEEvT1_,"axG",@progbits,_ZN7rocprim17ROCPRIM_400000_NS6detail17trampoline_kernelINS0_14default_configENS1_35adjacent_difference_config_selectorILb1ElEEZNS1_24adjacent_difference_implIS3_Lb1ELb0EPlS7_ZN2at6native12_GLOBAL__N_124unique_dim_cuda_templateIlEESt5tupleIJNS8_6TensorESD_SD_EERKSD_lbbbEUlllE1_EE10hipError_tPvRmT2_T3_mT4_P12ihipStream_tbEUlT_E_NS1_11comp_targetILNS1_3genE8ELNS1_11target_archE1030ELNS1_3gpuE2ELNS1_3repE0EEENS1_30default_config_static_selectorELNS0_4arch9wavefront6targetE1EEEvT1_,comdat
.Lfunc_end562:
	.size	_ZN7rocprim17ROCPRIM_400000_NS6detail17trampoline_kernelINS0_14default_configENS1_35adjacent_difference_config_selectorILb1ElEEZNS1_24adjacent_difference_implIS3_Lb1ELb0EPlS7_ZN2at6native12_GLOBAL__N_124unique_dim_cuda_templateIlEESt5tupleIJNS8_6TensorESD_SD_EERKSD_lbbbEUlllE1_EE10hipError_tPvRmT2_T3_mT4_P12ihipStream_tbEUlT_E_NS1_11comp_targetILNS1_3genE8ELNS1_11target_archE1030ELNS1_3gpuE2ELNS1_3repE0EEENS1_30default_config_static_selectorELNS0_4arch9wavefront6targetE1EEEvT1_, .Lfunc_end562-_ZN7rocprim17ROCPRIM_400000_NS6detail17trampoline_kernelINS0_14default_configENS1_35adjacent_difference_config_selectorILb1ElEEZNS1_24adjacent_difference_implIS3_Lb1ELb0EPlS7_ZN2at6native12_GLOBAL__N_124unique_dim_cuda_templateIlEESt5tupleIJNS8_6TensorESD_SD_EERKSD_lbbbEUlllE1_EE10hipError_tPvRmT2_T3_mT4_P12ihipStream_tbEUlT_E_NS1_11comp_targetILNS1_3genE8ELNS1_11target_archE1030ELNS1_3gpuE2ELNS1_3repE0EEENS1_30default_config_static_selectorELNS0_4arch9wavefront6targetE1EEEvT1_
                                        ; -- End function
	.set _ZN7rocprim17ROCPRIM_400000_NS6detail17trampoline_kernelINS0_14default_configENS1_35adjacent_difference_config_selectorILb1ElEEZNS1_24adjacent_difference_implIS3_Lb1ELb0EPlS7_ZN2at6native12_GLOBAL__N_124unique_dim_cuda_templateIlEESt5tupleIJNS8_6TensorESD_SD_EERKSD_lbbbEUlllE1_EE10hipError_tPvRmT2_T3_mT4_P12ihipStream_tbEUlT_E_NS1_11comp_targetILNS1_3genE8ELNS1_11target_archE1030ELNS1_3gpuE2ELNS1_3repE0EEENS1_30default_config_static_selectorELNS0_4arch9wavefront6targetE1EEEvT1_.num_vgpr, 0
	.set _ZN7rocprim17ROCPRIM_400000_NS6detail17trampoline_kernelINS0_14default_configENS1_35adjacent_difference_config_selectorILb1ElEEZNS1_24adjacent_difference_implIS3_Lb1ELb0EPlS7_ZN2at6native12_GLOBAL__N_124unique_dim_cuda_templateIlEESt5tupleIJNS8_6TensorESD_SD_EERKSD_lbbbEUlllE1_EE10hipError_tPvRmT2_T3_mT4_P12ihipStream_tbEUlT_E_NS1_11comp_targetILNS1_3genE8ELNS1_11target_archE1030ELNS1_3gpuE2ELNS1_3repE0EEENS1_30default_config_static_selectorELNS0_4arch9wavefront6targetE1EEEvT1_.num_agpr, 0
	.set _ZN7rocprim17ROCPRIM_400000_NS6detail17trampoline_kernelINS0_14default_configENS1_35adjacent_difference_config_selectorILb1ElEEZNS1_24adjacent_difference_implIS3_Lb1ELb0EPlS7_ZN2at6native12_GLOBAL__N_124unique_dim_cuda_templateIlEESt5tupleIJNS8_6TensorESD_SD_EERKSD_lbbbEUlllE1_EE10hipError_tPvRmT2_T3_mT4_P12ihipStream_tbEUlT_E_NS1_11comp_targetILNS1_3genE8ELNS1_11target_archE1030ELNS1_3gpuE2ELNS1_3repE0EEENS1_30default_config_static_selectorELNS0_4arch9wavefront6targetE1EEEvT1_.numbered_sgpr, 0
	.set _ZN7rocprim17ROCPRIM_400000_NS6detail17trampoline_kernelINS0_14default_configENS1_35adjacent_difference_config_selectorILb1ElEEZNS1_24adjacent_difference_implIS3_Lb1ELb0EPlS7_ZN2at6native12_GLOBAL__N_124unique_dim_cuda_templateIlEESt5tupleIJNS8_6TensorESD_SD_EERKSD_lbbbEUlllE1_EE10hipError_tPvRmT2_T3_mT4_P12ihipStream_tbEUlT_E_NS1_11comp_targetILNS1_3genE8ELNS1_11target_archE1030ELNS1_3gpuE2ELNS1_3repE0EEENS1_30default_config_static_selectorELNS0_4arch9wavefront6targetE1EEEvT1_.num_named_barrier, 0
	.set _ZN7rocprim17ROCPRIM_400000_NS6detail17trampoline_kernelINS0_14default_configENS1_35adjacent_difference_config_selectorILb1ElEEZNS1_24adjacent_difference_implIS3_Lb1ELb0EPlS7_ZN2at6native12_GLOBAL__N_124unique_dim_cuda_templateIlEESt5tupleIJNS8_6TensorESD_SD_EERKSD_lbbbEUlllE1_EE10hipError_tPvRmT2_T3_mT4_P12ihipStream_tbEUlT_E_NS1_11comp_targetILNS1_3genE8ELNS1_11target_archE1030ELNS1_3gpuE2ELNS1_3repE0EEENS1_30default_config_static_selectorELNS0_4arch9wavefront6targetE1EEEvT1_.private_seg_size, 0
	.set _ZN7rocprim17ROCPRIM_400000_NS6detail17trampoline_kernelINS0_14default_configENS1_35adjacent_difference_config_selectorILb1ElEEZNS1_24adjacent_difference_implIS3_Lb1ELb0EPlS7_ZN2at6native12_GLOBAL__N_124unique_dim_cuda_templateIlEESt5tupleIJNS8_6TensorESD_SD_EERKSD_lbbbEUlllE1_EE10hipError_tPvRmT2_T3_mT4_P12ihipStream_tbEUlT_E_NS1_11comp_targetILNS1_3genE8ELNS1_11target_archE1030ELNS1_3gpuE2ELNS1_3repE0EEENS1_30default_config_static_selectorELNS0_4arch9wavefront6targetE1EEEvT1_.uses_vcc, 0
	.set _ZN7rocprim17ROCPRIM_400000_NS6detail17trampoline_kernelINS0_14default_configENS1_35adjacent_difference_config_selectorILb1ElEEZNS1_24adjacent_difference_implIS3_Lb1ELb0EPlS7_ZN2at6native12_GLOBAL__N_124unique_dim_cuda_templateIlEESt5tupleIJNS8_6TensorESD_SD_EERKSD_lbbbEUlllE1_EE10hipError_tPvRmT2_T3_mT4_P12ihipStream_tbEUlT_E_NS1_11comp_targetILNS1_3genE8ELNS1_11target_archE1030ELNS1_3gpuE2ELNS1_3repE0EEENS1_30default_config_static_selectorELNS0_4arch9wavefront6targetE1EEEvT1_.uses_flat_scratch, 0
	.set _ZN7rocprim17ROCPRIM_400000_NS6detail17trampoline_kernelINS0_14default_configENS1_35adjacent_difference_config_selectorILb1ElEEZNS1_24adjacent_difference_implIS3_Lb1ELb0EPlS7_ZN2at6native12_GLOBAL__N_124unique_dim_cuda_templateIlEESt5tupleIJNS8_6TensorESD_SD_EERKSD_lbbbEUlllE1_EE10hipError_tPvRmT2_T3_mT4_P12ihipStream_tbEUlT_E_NS1_11comp_targetILNS1_3genE8ELNS1_11target_archE1030ELNS1_3gpuE2ELNS1_3repE0EEENS1_30default_config_static_selectorELNS0_4arch9wavefront6targetE1EEEvT1_.has_dyn_sized_stack, 0
	.set _ZN7rocprim17ROCPRIM_400000_NS6detail17trampoline_kernelINS0_14default_configENS1_35adjacent_difference_config_selectorILb1ElEEZNS1_24adjacent_difference_implIS3_Lb1ELb0EPlS7_ZN2at6native12_GLOBAL__N_124unique_dim_cuda_templateIlEESt5tupleIJNS8_6TensorESD_SD_EERKSD_lbbbEUlllE1_EE10hipError_tPvRmT2_T3_mT4_P12ihipStream_tbEUlT_E_NS1_11comp_targetILNS1_3genE8ELNS1_11target_archE1030ELNS1_3gpuE2ELNS1_3repE0EEENS1_30default_config_static_selectorELNS0_4arch9wavefront6targetE1EEEvT1_.has_recursion, 0
	.set _ZN7rocprim17ROCPRIM_400000_NS6detail17trampoline_kernelINS0_14default_configENS1_35adjacent_difference_config_selectorILb1ElEEZNS1_24adjacent_difference_implIS3_Lb1ELb0EPlS7_ZN2at6native12_GLOBAL__N_124unique_dim_cuda_templateIlEESt5tupleIJNS8_6TensorESD_SD_EERKSD_lbbbEUlllE1_EE10hipError_tPvRmT2_T3_mT4_P12ihipStream_tbEUlT_E_NS1_11comp_targetILNS1_3genE8ELNS1_11target_archE1030ELNS1_3gpuE2ELNS1_3repE0EEENS1_30default_config_static_selectorELNS0_4arch9wavefront6targetE1EEEvT1_.has_indirect_call, 0
	.section	.AMDGPU.csdata,"",@progbits
; Kernel info:
; codeLenInByte = 0
; TotalNumSgprs: 6
; NumVgprs: 0
; NumAgprs: 0
; TotalNumVgprs: 0
; ScratchSize: 0
; MemoryBound: 0
; FloatMode: 240
; IeeeMode: 1
; LDSByteSize: 0 bytes/workgroup (compile time only)
; SGPRBlocks: 0
; VGPRBlocks: 0
; NumSGPRsForWavesPerEU: 6
; NumVGPRsForWavesPerEU: 1
; AccumOffset: 4
; Occupancy: 8
; WaveLimiterHint : 0
; COMPUTE_PGM_RSRC2:SCRATCH_EN: 0
; COMPUTE_PGM_RSRC2:USER_SGPR: 2
; COMPUTE_PGM_RSRC2:TRAP_HANDLER: 0
; COMPUTE_PGM_RSRC2:TGID_X_EN: 1
; COMPUTE_PGM_RSRC2:TGID_Y_EN: 0
; COMPUTE_PGM_RSRC2:TGID_Z_EN: 0
; COMPUTE_PGM_RSRC2:TIDIG_COMP_CNT: 0
; COMPUTE_PGM_RSRC3_GFX90A:ACCUM_OFFSET: 0
; COMPUTE_PGM_RSRC3_GFX90A:TG_SPLIT: 0
	.section	.text._ZN7rocprim17ROCPRIM_400000_NS6detail17trampoline_kernelINS0_14default_configENS1_25partition_config_selectorILNS1_17partition_subalgoE8ElNS0_10empty_typeEbEEZZNS1_14partition_implILS5_8ELb0ES3_jPlPS6_PKS6_NS0_5tupleIJS9_S6_EEENSD_IJSA_SA_EEENS0_18inequality_wrapperIZN2at6native12_GLOBAL__N_124unique_dim_cuda_templateIlEESt5tupleIJNSH_6TensorESM_SM_EERKSM_lbbbEUlllE0_EEPmJS6_EEE10hipError_tPvRmT3_T4_T5_T6_T7_T9_mT8_P12ihipStream_tbDpT10_ENKUlT_T0_E_clISt17integral_constantIbLb0EES1C_EEDaS17_S18_EUlS17_E_NS1_11comp_targetILNS1_3genE0ELNS1_11target_archE4294967295ELNS1_3gpuE0ELNS1_3repE0EEENS1_30default_config_static_selectorELNS0_4arch9wavefront6targetE1EEEvT1_,"axG",@progbits,_ZN7rocprim17ROCPRIM_400000_NS6detail17trampoline_kernelINS0_14default_configENS1_25partition_config_selectorILNS1_17partition_subalgoE8ElNS0_10empty_typeEbEEZZNS1_14partition_implILS5_8ELb0ES3_jPlPS6_PKS6_NS0_5tupleIJS9_S6_EEENSD_IJSA_SA_EEENS0_18inequality_wrapperIZN2at6native12_GLOBAL__N_124unique_dim_cuda_templateIlEESt5tupleIJNSH_6TensorESM_SM_EERKSM_lbbbEUlllE0_EEPmJS6_EEE10hipError_tPvRmT3_T4_T5_T6_T7_T9_mT8_P12ihipStream_tbDpT10_ENKUlT_T0_E_clISt17integral_constantIbLb0EES1C_EEDaS17_S18_EUlS17_E_NS1_11comp_targetILNS1_3genE0ELNS1_11target_archE4294967295ELNS1_3gpuE0ELNS1_3repE0EEENS1_30default_config_static_selectorELNS0_4arch9wavefront6targetE1EEEvT1_,comdat
	.globl	_ZN7rocprim17ROCPRIM_400000_NS6detail17trampoline_kernelINS0_14default_configENS1_25partition_config_selectorILNS1_17partition_subalgoE8ElNS0_10empty_typeEbEEZZNS1_14partition_implILS5_8ELb0ES3_jPlPS6_PKS6_NS0_5tupleIJS9_S6_EEENSD_IJSA_SA_EEENS0_18inequality_wrapperIZN2at6native12_GLOBAL__N_124unique_dim_cuda_templateIlEESt5tupleIJNSH_6TensorESM_SM_EERKSM_lbbbEUlllE0_EEPmJS6_EEE10hipError_tPvRmT3_T4_T5_T6_T7_T9_mT8_P12ihipStream_tbDpT10_ENKUlT_T0_E_clISt17integral_constantIbLb0EES1C_EEDaS17_S18_EUlS17_E_NS1_11comp_targetILNS1_3genE0ELNS1_11target_archE4294967295ELNS1_3gpuE0ELNS1_3repE0EEENS1_30default_config_static_selectorELNS0_4arch9wavefront6targetE1EEEvT1_ ; -- Begin function _ZN7rocprim17ROCPRIM_400000_NS6detail17trampoline_kernelINS0_14default_configENS1_25partition_config_selectorILNS1_17partition_subalgoE8ElNS0_10empty_typeEbEEZZNS1_14partition_implILS5_8ELb0ES3_jPlPS6_PKS6_NS0_5tupleIJS9_S6_EEENSD_IJSA_SA_EEENS0_18inequality_wrapperIZN2at6native12_GLOBAL__N_124unique_dim_cuda_templateIlEESt5tupleIJNSH_6TensorESM_SM_EERKSM_lbbbEUlllE0_EEPmJS6_EEE10hipError_tPvRmT3_T4_T5_T6_T7_T9_mT8_P12ihipStream_tbDpT10_ENKUlT_T0_E_clISt17integral_constantIbLb0EES1C_EEDaS17_S18_EUlS17_E_NS1_11comp_targetILNS1_3genE0ELNS1_11target_archE4294967295ELNS1_3gpuE0ELNS1_3repE0EEENS1_30default_config_static_selectorELNS0_4arch9wavefront6targetE1EEEvT1_
	.p2align	8
	.type	_ZN7rocprim17ROCPRIM_400000_NS6detail17trampoline_kernelINS0_14default_configENS1_25partition_config_selectorILNS1_17partition_subalgoE8ElNS0_10empty_typeEbEEZZNS1_14partition_implILS5_8ELb0ES3_jPlPS6_PKS6_NS0_5tupleIJS9_S6_EEENSD_IJSA_SA_EEENS0_18inequality_wrapperIZN2at6native12_GLOBAL__N_124unique_dim_cuda_templateIlEESt5tupleIJNSH_6TensorESM_SM_EERKSM_lbbbEUlllE0_EEPmJS6_EEE10hipError_tPvRmT3_T4_T5_T6_T7_T9_mT8_P12ihipStream_tbDpT10_ENKUlT_T0_E_clISt17integral_constantIbLb0EES1C_EEDaS17_S18_EUlS17_E_NS1_11comp_targetILNS1_3genE0ELNS1_11target_archE4294967295ELNS1_3gpuE0ELNS1_3repE0EEENS1_30default_config_static_selectorELNS0_4arch9wavefront6targetE1EEEvT1_,@function
_ZN7rocprim17ROCPRIM_400000_NS6detail17trampoline_kernelINS0_14default_configENS1_25partition_config_selectorILNS1_17partition_subalgoE8ElNS0_10empty_typeEbEEZZNS1_14partition_implILS5_8ELb0ES3_jPlPS6_PKS6_NS0_5tupleIJS9_S6_EEENSD_IJSA_SA_EEENS0_18inequality_wrapperIZN2at6native12_GLOBAL__N_124unique_dim_cuda_templateIlEESt5tupleIJNSH_6TensorESM_SM_EERKSM_lbbbEUlllE0_EEPmJS6_EEE10hipError_tPvRmT3_T4_T5_T6_T7_T9_mT8_P12ihipStream_tbDpT10_ENKUlT_T0_E_clISt17integral_constantIbLb0EES1C_EEDaS17_S18_EUlS17_E_NS1_11comp_targetILNS1_3genE0ELNS1_11target_archE4294967295ELNS1_3gpuE0ELNS1_3repE0EEENS1_30default_config_static_selectorELNS0_4arch9wavefront6targetE1EEEvT1_: ; @_ZN7rocprim17ROCPRIM_400000_NS6detail17trampoline_kernelINS0_14default_configENS1_25partition_config_selectorILNS1_17partition_subalgoE8ElNS0_10empty_typeEbEEZZNS1_14partition_implILS5_8ELb0ES3_jPlPS6_PKS6_NS0_5tupleIJS9_S6_EEENSD_IJSA_SA_EEENS0_18inequality_wrapperIZN2at6native12_GLOBAL__N_124unique_dim_cuda_templateIlEESt5tupleIJNSH_6TensorESM_SM_EERKSM_lbbbEUlllE0_EEPmJS6_EEE10hipError_tPvRmT3_T4_T5_T6_T7_T9_mT8_P12ihipStream_tbDpT10_ENKUlT_T0_E_clISt17integral_constantIbLb0EES1C_EEDaS17_S18_EUlS17_E_NS1_11comp_targetILNS1_3genE0ELNS1_11target_archE4294967295ELNS1_3gpuE0ELNS1_3repE0EEENS1_30default_config_static_selectorELNS0_4arch9wavefront6targetE1EEEvT1_
; %bb.0:
	s_load_dwordx4 s[4:7], s[0:1], 0x8
	s_load_dwordx8 s[24:31], s[0:1], 0x40
	s_load_dwordx4 s[20:23], s[0:1], 0x60
	s_load_dword s3, s[0:1], 0x70
	v_lshlrev_b32_e32 v18, 3, v0
	s_waitcnt lgkmcnt(0)
	s_lshl_b64 s[8:9], s[6:7], 3
	s_add_u32 s12, s4, s8
	s_addc_u32 s13, s5, s9
	s_mul_i32 s8, s3, 0xe00
	s_add_i32 s10, s3, -1
	s_add_i32 s3, s8, s6
	s_sub_i32 s3, s28, s3
	s_add_u32 s8, s6, s8
	s_addc_u32 s9, s7, 0
	v_mov_b64_e32 v[2:3], s[8:9]
	s_cmp_eq_u32 s2, s10
	s_load_dwordx2 s[26:27], s[26:27], 0x0
	v_cmp_le_u64_e32 vcc, s[28:29], v[2:3]
	s_cselect_b64 s[28:29], -1, 0
	s_mul_i32 s4, s2, 0xe00
	s_mov_b32 s5, 0
	s_and_b64 s[8:9], s[28:29], vcc
	s_xor_b64 s[34:35], s[8:9], -1
	s_lshl_b64 s[4:5], s[4:5], 3
	s_add_u32 s4, s12, s4
	s_mov_b64 s[10:11], -1
	s_addc_u32 s5, s13, s5
	s_and_b64 vcc, exec, s[34:35]
	s_cbranch_vccz .LBB563_2
; %bb.1:
	v_lshlrev_b32_e32 v2, 3, v0
	v_mov_b32_e32 v3, 0
	v_lshl_add_u64 v[4:5], s[4:5], 0, v[2:3]
	v_add_co_u32_e32 v8, vcc, 0x1000, v4
	global_load_dwordx2 v[6:7], v2, s[4:5]
	s_nop 0
	v_addc_co_u32_e32 v9, vcc, 0, v5, vcc
	v_add_co_u32_e32 v10, vcc, 0x2000, v4
	s_mov_b64 s[10:11], 0
	s_nop 0
	v_addc_co_u32_e32 v11, vcc, 0, v5, vcc
	v_add_co_u32_e32 v12, vcc, 0x3000, v4
	s_nop 1
	v_addc_co_u32_e32 v13, vcc, 0, v5, vcc
	v_add_co_u32_e32 v14, vcc, 0x4000, v4
	s_nop 1
	v_addc_co_u32_e32 v15, vcc, 0, v5, vcc
	global_load_dwordx2 v[16:17], v[8:9], off
	global_load_dwordx2 v[20:21], v[10:11], off
	;; [unrolled: 1-line block ×4, first 2 shown]
	v_add_co_u32_e32 v8, vcc, 0x5000, v4
	s_nop 1
	v_addc_co_u32_e32 v9, vcc, 0, v5, vcc
	v_add_co_u32_e32 v4, vcc, 0x6000, v4
	s_nop 1
	v_addc_co_u32_e32 v5, vcc, 0, v5, vcc
	global_load_dwordx2 v[10:11], v[8:9], off
	global_load_dwordx2 v[12:13], v[4:5], off
	s_waitcnt vmcnt(5)
	ds_write2st64_b64 v2, v[6:7], v[16:17] offset1:8
	s_waitcnt vmcnt(3)
	ds_write2st64_b64 v2, v[20:21], v[22:23] offset0:16 offset1:24
	s_waitcnt vmcnt(1)
	ds_write2st64_b64 v2, v[24:25], v[10:11] offset0:32 offset1:40
	s_waitcnt vmcnt(0)
	ds_write_b64 v2, v[12:13] offset:24576
	s_waitcnt lgkmcnt(0)
	s_barrier
.LBB563_2:
	s_andn2_b64 vcc, exec, s[10:11]
	s_addk_i32 s3, 0xe00
	s_cbranch_vccnz .LBB563_18
; %bb.3:
	v_mov_b32_e32 v2, 0
	v_cmp_gt_u32_e32 vcc, s3, v0
	v_mov_b32_e32 v3, v2
	v_mov_b32_e32 v4, v2
	;; [unrolled: 1-line block ×13, first 2 shown]
	s_and_saveexec_b64 s[10:11], vcc
	s_cbranch_execz .LBB563_5
; %bb.4:
	v_lshlrev_b32_e32 v1, 3, v0
	global_load_dwordx2 v[4:5], v1, s[4:5]
	v_mov_b32_e32 v6, v2
	v_mov_b32_e32 v7, v2
	;; [unrolled: 1-line block ×12, first 2 shown]
	s_waitcnt vmcnt(0)
	v_mov_b64_e32 v[2:3], v[4:5]
	v_mov_b64_e32 v[4:5], v[6:7]
	;; [unrolled: 1-line block ×8, first 2 shown]
.LBB563_5:
	s_or_b64 exec, exec, s[10:11]
	v_or_b32_e32 v1, 0x200, v0
	v_cmp_gt_u32_e32 vcc, s3, v1
	s_and_saveexec_b64 s[10:11], vcc
	s_cbranch_execz .LBB563_7
; %bb.6:
	v_lshlrev_b32_e32 v1, 3, v1
	global_load_dwordx2 v[4:5], v1, s[4:5]
.LBB563_7:
	s_or_b64 exec, exec, s[10:11]
	v_or_b32_e32 v1, 0x400, v0
	v_cmp_gt_u32_e32 vcc, s3, v1
	s_and_saveexec_b64 s[10:11], vcc
	s_cbranch_execz .LBB563_9
; %bb.8:
	v_lshlrev_b32_e32 v1, 3, v1
	global_load_dwordx2 v[6:7], v1, s[4:5]
.LBB563_9:
	;; [unrolled: 9-line block ×6, first 2 shown]
	s_or_b64 exec, exec, s[10:11]
	v_lshlrev_b32_e32 v1, 3, v0
	s_waitcnt vmcnt(0)
	ds_write2st64_b64 v1, v[2:3], v[4:5] offset1:8
	ds_write2st64_b64 v1, v[6:7], v[8:9] offset0:16 offset1:24
	ds_write2st64_b64 v1, v[10:11], v[12:13] offset0:32 offset1:40
	ds_write_b64 v1, v[14:15] offset:24576
	s_waitcnt lgkmcnt(0)
	s_barrier
.LBB563_18:
	v_mul_u32_u24_e32 v1, 7, v0
	v_lshlrev_b32_e32 v24, 3, v1
	s_waitcnt lgkmcnt(0)
	ds_read2_b64 v[10:13], v24 offset1:1
	ds_read2_b64 v[6:9], v24 offset0:2 offset1:3
	ds_read2_b64 v[2:5], v24 offset0:4 offset1:5
	ds_read_b64 v[14:15], v24 offset:48
	s_cmp_lg_u32 s2, 0
	s_cselect_b64 s[16:17], -1, 0
	s_cmp_lg_u64 s[6:7], 0
	s_cselect_b64 s[6:7], -1, 0
	s_or_b64 s[6:7], s[16:17], s[6:7]
	s_mov_b64 s[10:11], 0
	s_and_b64 vcc, exec, s[6:7]
	v_cmp_gt_i64_e64 s[12:13], s[30:31], 0
	s_waitcnt lgkmcnt(0)
	s_barrier
	s_cbranch_vccz .LBB563_34
; %bb.19:
	s_add_u32 s4, s4, -8
	s_addc_u32 s5, s5, -1
	s_load_dwordx2 s[10:11], s[4:5], 0x0
	v_cndmask_b32_e64 v16, 0, 1, s[12:13]
	v_lshlrev_b32_e32 v25, 3, v0
	s_mov_b64 s[6:7], 0
	s_and_b64 vcc, exec, s[34:35]
	v_cmp_ne_u32_e64 s[4:5], 1, v16
	ds_write_b64 v25, v[14:15]
	s_cbranch_vccz .LBB563_36
; %bb.20:
	s_and_b64 vcc, exec, s[4:5]
	s_cbranch_vccnz .LBB563_37
; %bb.21:
	v_mul_lo_u32 v19, v5, s30
	v_mul_lo_u32 v20, v4, s31
	v_mad_u64_u32 v[16:17], s[6:7], v4, s30, 0
	v_add3_u32 v17, v17, v20, v19
	v_mul_lo_u32 v19, v15, s30
	v_mul_lo_u32 v22, v14, s31
	v_mad_u64_u32 v[20:21], s[6:7], v14, s30, 0
	s_add_u32 s14, s30, -1
	v_lshl_add_u64 v[16:17], v[16:17], 3, s[20:21]
	v_add3_u32 v21, v21, v22, v19
	s_addc_u32 s15, s31, -1
	v_lshl_add_u64 v[20:21], v[20:21], 3, s[20:21]
	s_mov_b64 s[18:19], 0
	s_mov_b64 s[36:37], s[14:15]
	v_mov_b64_e32 v[22:23], v[16:17]
                                        ; implicit-def: $sgpr12_sgpr13
.LBB563_22:                             ; =>This Inner Loop Header: Depth=1
	global_load_dwordx2 v[26:27], v[22:23], off
	global_load_dwordx2 v[28:29], v[20:21], off
	s_add_u32 s6, s36, -1
	s_addc_u32 s7, s37, -1
	s_cmp_eq_u64 s[36:37], 0
	s_mov_b64 s[36:37], s[6:7]
	s_cselect_b64 s[38:39], -1, 0
	v_lshl_add_u64 v[22:23], v[22:23], 0, 8
	v_lshl_add_u64 v[20:21], v[20:21], 0, 8
	s_waitcnt vmcnt(0)
	v_cmp_ne_u64_e64 s[6:7], v[26:27], v[28:29]
	s_or_b64 s[6:7], s[6:7], s[38:39]
	s_and_b64 s[6:7], exec, s[6:7]
	v_cmp_eq_u64_e32 vcc, v[26:27], v[28:29]
	s_or_b64 s[18:19], s[6:7], s[18:19]
	s_andn2_b64 s[6:7], s[12:13], exec
	s_and_b64 s[12:13], vcc, exec
	s_or_b64 s[12:13], s[6:7], s[12:13]
	s_andn2_b64 exec, exec, s[18:19]
	s_cbranch_execnz .LBB563_22
; %bb.23:
	s_or_b64 exec, exec, s[18:19]
	v_mul_lo_u32 v19, v3, s30
	v_mul_lo_u32 v22, v2, s31
	v_mad_u64_u32 v[20:21], s[6:7], v2, s30, 0
	v_add3_u32 v21, v21, v22, v19
	v_lshl_add_u64 v[20:21], v[20:21], 3, s[20:21]
	s_mov_b64 s[36:37], 0
	s_mov_b64 s[38:39], s[14:15]
	v_mov_b64_e32 v[22:23], v[20:21]
                                        ; implicit-def: $sgpr18_sgpr19
.LBB563_24:                             ; =>This Inner Loop Header: Depth=1
	global_load_dwordx2 v[26:27], v[22:23], off
	global_load_dwordx2 v[28:29], v[16:17], off
	s_add_u32 s6, s38, -1
	s_addc_u32 s7, s39, -1
	s_cmp_eq_u64 s[38:39], 0
	s_mov_b64 s[38:39], s[6:7]
	s_cselect_b64 s[40:41], -1, 0
	v_lshl_add_u64 v[22:23], v[22:23], 0, 8
	v_lshl_add_u64 v[16:17], v[16:17], 0, 8
	s_waitcnt vmcnt(0)
	v_cmp_ne_u64_e64 s[6:7], v[26:27], v[28:29]
	s_or_b64 s[6:7], s[6:7], s[40:41]
	s_and_b64 s[6:7], exec, s[6:7]
	v_cmp_eq_u64_e32 vcc, v[26:27], v[28:29]
	s_or_b64 s[36:37], s[6:7], s[36:37]
	s_andn2_b64 s[6:7], s[18:19], exec
	s_and_b64 s[18:19], vcc, exec
	s_or_b64 s[18:19], s[6:7], s[18:19]
	s_andn2_b64 exec, exec, s[36:37]
	s_cbranch_execnz .LBB563_24
; %bb.25:
	s_or_b64 exec, exec, s[36:37]
	v_mul_lo_u32 v19, v9, s30
	v_mul_lo_u32 v22, v8, s31
	v_mad_u64_u32 v[16:17], s[6:7], v8, s30, 0
	v_add3_u32 v17, v17, v22, v19
	v_lshl_add_u64 v[16:17], v[16:17], 3, s[20:21]
	s_mov_b64 s[38:39], 0
	s_mov_b64 s[40:41], s[14:15]
	v_mov_b64_e32 v[22:23], v[16:17]
                                        ; implicit-def: $sgpr36_sgpr37
.LBB563_26:                             ; =>This Inner Loop Header: Depth=1
	global_load_dwordx2 v[26:27], v[22:23], off
	global_load_dwordx2 v[28:29], v[20:21], off
	s_add_u32 s6, s40, -1
	s_addc_u32 s7, s41, -1
	s_cmp_eq_u64 s[40:41], 0
	s_mov_b64 s[40:41], s[6:7]
	s_cselect_b64 s[42:43], -1, 0
	v_lshl_add_u64 v[22:23], v[22:23], 0, 8
	v_lshl_add_u64 v[20:21], v[20:21], 0, 8
	s_waitcnt vmcnt(0)
	v_cmp_ne_u64_e64 s[6:7], v[26:27], v[28:29]
	s_or_b64 s[6:7], s[6:7], s[42:43]
	s_and_b64 s[6:7], exec, s[6:7]
	v_cmp_eq_u64_e32 vcc, v[26:27], v[28:29]
	s_or_b64 s[38:39], s[6:7], s[38:39]
	s_andn2_b64 s[6:7], s[36:37], exec
	s_and_b64 s[36:37], vcc, exec
	s_or_b64 s[36:37], s[6:7], s[36:37]
	s_andn2_b64 exec, exec, s[38:39]
	s_cbranch_execnz .LBB563_26
; %bb.27:
	s_or_b64 exec, exec, s[38:39]
	v_mul_lo_u32 v19, v7, s30
	v_mul_lo_u32 v22, v6, s31
	v_mad_u64_u32 v[20:21], s[6:7], v6, s30, 0
	v_add3_u32 v21, v21, v22, v19
	v_lshl_add_u64 v[20:21], v[20:21], 3, s[20:21]
	s_mov_b64 s[40:41], 0
	s_mov_b64 s[42:43], s[14:15]
	v_mov_b64_e32 v[22:23], v[20:21]
                                        ; implicit-def: $sgpr38_sgpr39
.LBB563_28:                             ; =>This Inner Loop Header: Depth=1
	global_load_dwordx2 v[26:27], v[22:23], off
	global_load_dwordx2 v[28:29], v[16:17], off
	s_add_u32 s6, s42, -1
	s_addc_u32 s7, s43, -1
	s_cmp_eq_u64 s[42:43], 0
	s_mov_b64 s[42:43], s[6:7]
	s_cselect_b64 s[44:45], -1, 0
	v_lshl_add_u64 v[22:23], v[22:23], 0, 8
	v_lshl_add_u64 v[16:17], v[16:17], 0, 8
	s_waitcnt vmcnt(0)
	v_cmp_ne_u64_e64 s[6:7], v[26:27], v[28:29]
	s_or_b64 s[6:7], s[6:7], s[44:45]
	s_and_b64 s[6:7], exec, s[6:7]
	v_cmp_eq_u64_e32 vcc, v[26:27], v[28:29]
	s_or_b64 s[40:41], s[6:7], s[40:41]
	s_andn2_b64 s[6:7], s[38:39], exec
	s_and_b64 s[38:39], vcc, exec
	s_or_b64 s[38:39], s[6:7], s[38:39]
	s_andn2_b64 exec, exec, s[40:41]
	s_cbranch_execnz .LBB563_28
; %bb.29:
	s_or_b64 exec, exec, s[40:41]
	v_mul_lo_u32 v19, v13, s30
	v_mul_lo_u32 v22, v12, s31
	v_mad_u64_u32 v[16:17], s[6:7], v12, s30, 0
	v_add3_u32 v17, v17, v22, v19
	v_lshl_add_u64 v[16:17], v[16:17], 3, s[20:21]
	s_mov_b64 s[42:43], 0
	s_mov_b64 s[44:45], s[14:15]
	v_mov_b64_e32 v[22:23], v[16:17]
                                        ; implicit-def: $sgpr40_sgpr41
.LBB563_30:                             ; =>This Inner Loop Header: Depth=1
	global_load_dwordx2 v[26:27], v[22:23], off
	global_load_dwordx2 v[28:29], v[20:21], off
	s_add_u32 s6, s44, -1
	s_addc_u32 s7, s45, -1
	s_cmp_eq_u64 s[44:45], 0
	s_mov_b64 s[44:45], s[6:7]
	s_cselect_b64 s[46:47], -1, 0
	v_lshl_add_u64 v[22:23], v[22:23], 0, 8
	v_lshl_add_u64 v[20:21], v[20:21], 0, 8
	s_waitcnt vmcnt(0)
	v_cmp_ne_u64_e64 s[6:7], v[26:27], v[28:29]
	s_or_b64 s[6:7], s[6:7], s[46:47]
	s_and_b64 s[6:7], exec, s[6:7]
	v_cmp_eq_u64_e32 vcc, v[26:27], v[28:29]
	s_or_b64 s[42:43], s[6:7], s[42:43]
	s_andn2_b64 s[6:7], s[40:41], exec
	s_and_b64 s[40:41], vcc, exec
	s_or_b64 s[40:41], s[6:7], s[40:41]
	s_andn2_b64 exec, exec, s[42:43]
	s_cbranch_execnz .LBB563_30
; %bb.31:
	s_or_b64 exec, exec, s[42:43]
	v_mul_lo_u32 v19, v11, s30
	v_mul_lo_u32 v22, v10, s31
	v_mad_u64_u32 v[20:21], s[6:7], v10, s30, 0
	v_add3_u32 v21, v21, v22, v19
	v_lshl_add_u64 v[20:21], v[20:21], 3, s[20:21]
	s_mov_b64 s[44:45], 0
                                        ; implicit-def: $sgpr42_sgpr43
.LBB563_32:                             ; =>This Inner Loop Header: Depth=1
	global_load_dwordx2 v[22:23], v[20:21], off
	global_load_dwordx2 v[26:27], v[16:17], off
	s_add_u32 s6, s14, -1
	s_addc_u32 s7, s15, -1
	s_cmp_eq_u64 s[14:15], 0
	s_mov_b64 s[14:15], s[6:7]
	s_cselect_b64 s[46:47], -1, 0
	v_lshl_add_u64 v[20:21], v[20:21], 0, 8
	v_lshl_add_u64 v[16:17], v[16:17], 0, 8
	s_waitcnt vmcnt(0)
	v_cmp_ne_u64_e64 s[6:7], v[22:23], v[26:27]
	s_or_b64 s[6:7], s[6:7], s[46:47]
	s_and_b64 s[6:7], exec, s[6:7]
	v_cmp_eq_u64_e32 vcc, v[22:23], v[26:27]
	s_or_b64 s[44:45], s[6:7], s[44:45]
	s_andn2_b64 s[6:7], s[42:43], exec
	s_and_b64 s[42:43], vcc, exec
	s_or_b64 s[42:43], s[6:7], s[42:43]
	s_andn2_b64 exec, exec, s[44:45]
	s_cbranch_execnz .LBB563_32
; %bb.33:
	s_or_b64 exec, exec, s[44:45]
	s_xor_b64 s[6:7], s[18:19], -1
	v_cndmask_b32_e64 v40, 0, 1, s[6:7]
	s_xor_b64 s[6:7], s[38:39], -1
	v_cndmask_b32_e64 v16, 0, 1, s[6:7]
	v_lshlrev_b16_e32 v16, 8, v16
	s_xor_b64 s[6:7], s[12:13], -1
	v_lshrrev_b32_e32 v16, 8, v16
	v_mov_b32_e32 v20, 1
	s_xor_b64 s[12:13], s[40:41], -1
	v_cndmask_b32_e64 v19, 0, 1, s[6:7]
	s_xor_b64 s[6:7], s[36:37], -1
	v_and_b32_sdwa v16, v16, v20 dst_sel:BYTE_1 dst_unused:UNUSED_PAD src0_sel:DWORD src1_sel:DWORD
	v_cndmask_b32_e64 v20, 0, 1, s[12:13]
	v_cndmask_b32_e64 v17, 0, 1, s[6:7]
	s_xor_b64 s[6:7], s[42:43], -1
	v_or_b32_sdwa v22, v20, v16 dst_sel:WORD_1 dst_unused:UNUSED_PAD src0_sel:DWORD src1_sel:DWORD
	s_branch .LBB563_38
.LBB563_34:
                                        ; implicit-def: $sgpr6_sgpr7
                                        ; implicit-def: $vgpr19
                                        ; implicit-def: $vgpr40
                                        ; implicit-def: $vgpr17
                                        ; implicit-def: $vgpr21
	s_branch .LBB563_91
.LBB563_35:
                                        ; implicit-def: $vgpr42
                                        ; implicit-def: $vgpr41
                                        ; implicit-def: $vgpr20
	s_branch .LBB563_160
.LBB563_36:
                                        ; implicit-def: $sgpr6_sgpr7
                                        ; implicit-def: $vgpr19
                                        ; implicit-def: $vgpr40
                                        ; implicit-def: $vgpr17
                                        ; implicit-def: $vgpr21
	s_cbranch_execnz .LBB563_45
	s_branch .LBB563_90
.LBB563_37:
	v_mov_b32_e32 v22, 0
	v_mov_b32_e32 v19, 0
	;; [unrolled: 1-line block ×4, first 2 shown]
.LBB563_38:
	v_cmp_ne_u32_e32 vcc, 0, v0
	s_waitcnt lgkmcnt(0)
	v_mov_b64_e32 v[20:21], s[10:11]
	s_barrier
	s_and_saveexec_b64 s[12:13], vcc
; %bb.39:
	v_add_u32_e32 v16, -8, v25
	ds_read_b64 v[20:21], v16
; %bb.40:
	s_or_b64 exec, exec, s[12:13]
	v_cndmask_b32_e64 v23, 0, 1, s[6:7]
	v_lshrrev_b32_e32 v16, 16, v22
	s_mov_b32 s6, 0xc0c0304
	v_perm_b32 v16, v16, v22, s6
	v_lshlrev_b16_e32 v23, 8, v23
	s_movk_i32 s6, 0xff
	v_bitop3_b16 v22, v22, v23, s6 bitop3:0xec
	v_and_b32_e32 v26, 0xffff, v22
	s_mov_b64 s[12:13], 0
	s_and_b64 vcc, exec, s[4:5]
	s_mov_b64 s[6:7], 0
	s_cbranch_vccnz .LBB563_44
; %bb.41:
	s_waitcnt lgkmcnt(0)
	v_mul_lo_u32 v22, v21, s30
	v_mul_lo_u32 v23, v20, s31
	v_mad_u64_u32 v[20:21], s[6:7], v20, s30, 0
	v_add3_u32 v21, v21, v23, v22
	v_mul_lo_u32 v27, v11, s30
	v_mul_lo_u32 v28, v10, s31
	v_mad_u64_u32 v[22:23], s[6:7], v10, s30, 0
	v_add3_u32 v23, v23, v28, v27
	s_add_u32 s36, s30, -1
	v_lshl_add_u64 v[20:21], v[20:21], 3, s[20:21]
	v_lshl_add_u64 v[22:23], v[22:23], 3, s[20:21]
	s_addc_u32 s37, s31, -1
	s_mov_b64 s[14:15], 0
                                        ; implicit-def: $sgpr18_sgpr19
.LBB563_42:                             ; =>This Inner Loop Header: Depth=1
	global_load_dwordx2 v[28:29], v[20:21], off
	global_load_dwordx2 v[30:31], v[22:23], off
	s_add_u32 s6, s36, -1
	s_addc_u32 s7, s37, -1
	s_cmp_eq_u64 s[36:37], 0
	s_mov_b64 s[36:37], s[6:7]
	s_cselect_b64 s[38:39], -1, 0
	v_lshl_add_u64 v[20:21], v[20:21], 0, 8
	v_lshl_add_u64 v[22:23], v[22:23], 0, 8
	s_waitcnt vmcnt(0)
	v_cmp_ne_u64_e64 s[6:7], v[28:29], v[30:31]
	s_or_b64 s[6:7], s[6:7], s[38:39]
	s_and_b64 s[6:7], exec, s[6:7]
	v_cmp_eq_u64_e32 vcc, v[28:29], v[30:31]
	s_or_b64 s[14:15], s[6:7], s[14:15]
	s_andn2_b64 s[6:7], s[18:19], exec
	s_and_b64 s[18:19], vcc, exec
	s_or_b64 s[18:19], s[6:7], s[18:19]
	s_andn2_b64 exec, exec, s[14:15]
	s_cbranch_execnz .LBB563_42
; %bb.43:
	s_or_b64 exec, exec, s[14:15]
	s_xor_b64 s[6:7], s[18:19], -1
.LBB563_44:
	s_waitcnt lgkmcnt(0)
	v_lshl_or_b32 v21, v16, 16, v26
	s_and_b64 vcc, exec, s[12:13]
	s_cbranch_vccz .LBB563_90
.LBB563_45:
	v_add_u32_e32 v16, 6, v1
	v_cmp_gt_u32_e32 vcc, s3, v16
	s_mov_b64 s[14:15], 0
	s_mov_b64 s[12:13], 0
	s_and_saveexec_b64 s[18:19], vcc
	s_cbranch_execz .LBB563_51
; %bb.46:
	s_and_b64 vcc, exec, s[4:5]
	s_mov_b64 s[6:7], 0
	s_cbranch_vccnz .LBB563_50
; %bb.47:
	v_mul_lo_u32 v19, v5, s30
	v_mul_lo_u32 v20, v4, s31
	v_mad_u64_u32 v[16:17], s[6:7], v4, s30, 0
	v_add3_u32 v17, v17, v20, v19
	v_mul_lo_u32 v19, v15, s30
	v_mul_lo_u32 v22, v14, s31
	v_mad_u64_u32 v[20:21], s[6:7], v14, s30, 0
	v_add3_u32 v21, v21, v22, v19
	s_add_u32 s38, s30, -1
	v_lshl_add_u64 v[16:17], v[16:17], 3, s[20:21]
	v_lshl_add_u64 v[20:21], v[20:21], 3, s[20:21]
	s_addc_u32 s39, s31, -1
                                        ; implicit-def: $sgpr36_sgpr37
.LBB563_48:                             ; =>This Inner Loop Header: Depth=1
	global_load_dwordx2 v[22:23], v[16:17], off
	global_load_dwordx2 v[26:27], v[20:21], off
	s_add_u32 s6, s38, -1
	s_addc_u32 s7, s39, -1
	s_cmp_eq_u64 s[38:39], 0
	s_mov_b64 s[38:39], s[6:7]
	s_cselect_b64 s[40:41], -1, 0
	v_lshl_add_u64 v[16:17], v[16:17], 0, 8
	v_lshl_add_u64 v[20:21], v[20:21], 0, 8
	s_waitcnt vmcnt(0)
	v_cmp_ne_u64_e64 s[6:7], v[22:23], v[26:27]
	s_or_b64 s[6:7], s[6:7], s[40:41]
	s_and_b64 s[6:7], exec, s[6:7]
	v_cmp_eq_u64_e32 vcc, v[22:23], v[26:27]
	s_or_b64 s[12:13], s[6:7], s[12:13]
	s_andn2_b64 s[6:7], s[36:37], exec
	s_and_b64 s[36:37], vcc, exec
	s_or_b64 s[36:37], s[6:7], s[36:37]
	s_andn2_b64 exec, exec, s[12:13]
	s_cbranch_execnz .LBB563_48
; %bb.49:
	s_or_b64 exec, exec, s[12:13]
	s_xor_b64 s[6:7], s[36:37], -1
.LBB563_50:
	s_and_b64 s[12:13], s[6:7], exec
.LBB563_51:
	s_or_b64 exec, exec, s[18:19]
	v_add_u32_e32 v16, 5, v1
	v_cmp_gt_u32_e32 vcc, s3, v16
	s_and_saveexec_b64 s[18:19], vcc
	s_cbranch_execz .LBB563_57
; %bb.52:
	s_and_b64 vcc, exec, s[4:5]
	s_mov_b64 s[6:7], 0
	s_cbranch_vccnz .LBB563_56
; %bb.53:
	v_mul_lo_u32 v19, v3, s30
	v_mul_lo_u32 v20, v2, s31
	v_mad_u64_u32 v[16:17], s[6:7], v2, s30, 0
	v_add3_u32 v17, v17, v20, v19
	v_mul_lo_u32 v19, v5, s30
	v_mul_lo_u32 v22, v4, s31
	v_mad_u64_u32 v[20:21], s[6:7], v4, s30, 0
	v_add3_u32 v21, v21, v22, v19
	s_add_u32 s38, s30, -1
	v_lshl_add_u64 v[16:17], v[16:17], 3, s[20:21]
	v_lshl_add_u64 v[20:21], v[20:21], 3, s[20:21]
	s_addc_u32 s39, s31, -1
	s_mov_b64 s[14:15], 0
                                        ; implicit-def: $sgpr36_sgpr37
.LBB563_54:                             ; =>This Inner Loop Header: Depth=1
	global_load_dwordx2 v[22:23], v[16:17], off
	global_load_dwordx2 v[26:27], v[20:21], off
	s_add_u32 s6, s38, -1
	s_addc_u32 s7, s39, -1
	s_cmp_eq_u64 s[38:39], 0
	s_mov_b64 s[38:39], s[6:7]
	s_cselect_b64 s[40:41], -1, 0
	v_lshl_add_u64 v[16:17], v[16:17], 0, 8
	v_lshl_add_u64 v[20:21], v[20:21], 0, 8
	s_waitcnt vmcnt(0)
	v_cmp_ne_u64_e64 s[6:7], v[22:23], v[26:27]
	s_or_b64 s[6:7], s[6:7], s[40:41]
	s_and_b64 s[6:7], exec, s[6:7]
	v_cmp_eq_u64_e32 vcc, v[22:23], v[26:27]
	s_or_b64 s[14:15], s[6:7], s[14:15]
	s_andn2_b64 s[6:7], s[36:37], exec
	s_and_b64 s[36:37], vcc, exec
	s_or_b64 s[36:37], s[6:7], s[36:37]
	s_andn2_b64 exec, exec, s[14:15]
	s_cbranch_execnz .LBB563_54
; %bb.55:
	s_or_b64 exec, exec, s[14:15]
	s_xor_b64 s[6:7], s[36:37], -1
.LBB563_56:
	s_and_b64 s[14:15], s[6:7], exec
.LBB563_57:
	s_or_b64 exec, exec, s[18:19]
	v_add_u32_e32 v16, 4, v1
	v_cmp_gt_u32_e32 vcc, s3, v16
	s_mov_b64 s[36:37], 0
	s_mov_b64 s[18:19], 0
	s_and_saveexec_b64 s[38:39], vcc
	s_cbranch_execz .LBB563_63
; %bb.58:
	s_and_b64 vcc, exec, s[4:5]
	s_mov_b64 s[6:7], 0
	s_cbranch_vccnz .LBB563_62
; %bb.59:
	v_mul_lo_u32 v19, v9, s30
	v_mul_lo_u32 v20, v8, s31
	v_mad_u64_u32 v[16:17], s[6:7], v8, s30, 0
	v_add3_u32 v17, v17, v20, v19
	v_mul_lo_u32 v19, v3, s30
	v_mul_lo_u32 v22, v2, s31
	v_mad_u64_u32 v[20:21], s[6:7], v2, s30, 0
	v_add3_u32 v21, v21, v22, v19
	s_add_u32 s42, s30, -1
	v_lshl_add_u64 v[16:17], v[16:17], 3, s[20:21]
	v_lshl_add_u64 v[20:21], v[20:21], 3, s[20:21]
	s_addc_u32 s43, s31, -1
                                        ; implicit-def: $sgpr40_sgpr41
.LBB563_60:                             ; =>This Inner Loop Header: Depth=1
	global_load_dwordx2 v[22:23], v[16:17], off
	global_load_dwordx2 v[26:27], v[20:21], off
	s_add_u32 s6, s42, -1
	s_addc_u32 s7, s43, -1
	s_cmp_eq_u64 s[42:43], 0
	s_mov_b64 s[42:43], s[6:7]
	s_cselect_b64 s[44:45], -1, 0
	v_lshl_add_u64 v[16:17], v[16:17], 0, 8
	v_lshl_add_u64 v[20:21], v[20:21], 0, 8
	s_waitcnt vmcnt(0)
	v_cmp_ne_u64_e64 s[6:7], v[22:23], v[26:27]
	s_or_b64 s[6:7], s[6:7], s[44:45]
	s_and_b64 s[6:7], exec, s[6:7]
	v_cmp_eq_u64_e32 vcc, v[22:23], v[26:27]
	s_or_b64 s[18:19], s[6:7], s[18:19]
	s_andn2_b64 s[6:7], s[40:41], exec
	s_and_b64 s[40:41], vcc, exec
	s_or_b64 s[40:41], s[6:7], s[40:41]
	s_andn2_b64 exec, exec, s[18:19]
	s_cbranch_execnz .LBB563_60
; %bb.61:
	s_or_b64 exec, exec, s[18:19]
	s_xor_b64 s[6:7], s[40:41], -1
.LBB563_62:
	s_and_b64 s[18:19], s[6:7], exec
.LBB563_63:
	s_or_b64 exec, exec, s[38:39]
	v_add_u32_e32 v16, 3, v1
	v_cmp_gt_u32_e32 vcc, s3, v16
	s_and_saveexec_b64 s[38:39], vcc
	s_cbranch_execz .LBB563_69
; %bb.64:
	s_and_b64 vcc, exec, s[4:5]
	s_mov_b64 s[6:7], 0
	s_cbranch_vccnz .LBB563_68
; %bb.65:
	v_mul_lo_u32 v19, v7, s30
	v_mul_lo_u32 v20, v6, s31
	v_mad_u64_u32 v[16:17], s[6:7], v6, s30, 0
	v_add3_u32 v17, v17, v20, v19
	v_mul_lo_u32 v19, v9, s30
	v_mul_lo_u32 v22, v8, s31
	v_mad_u64_u32 v[20:21], s[6:7], v8, s30, 0
	v_add3_u32 v21, v21, v22, v19
	s_add_u32 s42, s30, -1
	v_lshl_add_u64 v[16:17], v[16:17], 3, s[20:21]
	v_lshl_add_u64 v[20:21], v[20:21], 3, s[20:21]
	s_addc_u32 s43, s31, -1
	s_mov_b64 s[36:37], 0
                                        ; implicit-def: $sgpr40_sgpr41
.LBB563_66:                             ; =>This Inner Loop Header: Depth=1
	global_load_dwordx2 v[22:23], v[16:17], off
	global_load_dwordx2 v[26:27], v[20:21], off
	s_add_u32 s6, s42, -1
	s_addc_u32 s7, s43, -1
	s_cmp_eq_u64 s[42:43], 0
	s_mov_b64 s[42:43], s[6:7]
	s_cselect_b64 s[44:45], -1, 0
	v_lshl_add_u64 v[16:17], v[16:17], 0, 8
	v_lshl_add_u64 v[20:21], v[20:21], 0, 8
	s_waitcnt vmcnt(0)
	v_cmp_ne_u64_e64 s[6:7], v[22:23], v[26:27]
	s_or_b64 s[6:7], s[6:7], s[44:45]
	s_and_b64 s[6:7], exec, s[6:7]
	v_cmp_eq_u64_e32 vcc, v[22:23], v[26:27]
	s_or_b64 s[36:37], s[6:7], s[36:37]
	s_andn2_b64 s[6:7], s[40:41], exec
	s_and_b64 s[40:41], vcc, exec
	s_or_b64 s[40:41], s[6:7], s[40:41]
	s_andn2_b64 exec, exec, s[36:37]
	s_cbranch_execnz .LBB563_66
; %bb.67:
	s_or_b64 exec, exec, s[36:37]
	s_xor_b64 s[6:7], s[40:41], -1
.LBB563_68:
	s_and_b64 s[36:37], s[6:7], exec
.LBB563_69:
	s_or_b64 exec, exec, s[38:39]
	v_add_u32_e32 v16, 2, v1
	v_cmp_gt_u32_e32 vcc, s3, v16
	s_mov_b64 s[38:39], 0
	s_mov_b64 s[40:41], 0
	s_and_saveexec_b64 s[42:43], vcc
	s_cbranch_execz .LBB563_75
; %bb.70:
	s_and_b64 vcc, exec, s[4:5]
	s_mov_b64 s[6:7], 0
	s_cbranch_vccnz .LBB563_74
; %bb.71:
	v_mul_lo_u32 v19, v13, s30
	v_mul_lo_u32 v20, v12, s31
	v_mad_u64_u32 v[16:17], s[6:7], v12, s30, 0
	v_add3_u32 v17, v17, v20, v19
	v_mul_lo_u32 v19, v7, s30
	v_mul_lo_u32 v22, v6, s31
	v_mad_u64_u32 v[20:21], s[6:7], v6, s30, 0
	v_add3_u32 v21, v21, v22, v19
	s_add_u32 s46, s30, -1
	v_lshl_add_u64 v[16:17], v[16:17], 3, s[20:21]
	v_lshl_add_u64 v[20:21], v[20:21], 3, s[20:21]
	s_addc_u32 s47, s31, -1
                                        ; implicit-def: $sgpr44_sgpr45
.LBB563_72:                             ; =>This Inner Loop Header: Depth=1
	global_load_dwordx2 v[22:23], v[16:17], off
	global_load_dwordx2 v[26:27], v[20:21], off
	s_add_u32 s6, s46, -1
	s_addc_u32 s7, s47, -1
	s_cmp_eq_u64 s[46:47], 0
	s_mov_b64 s[46:47], s[6:7]
	s_cselect_b64 s[48:49], -1, 0
	v_lshl_add_u64 v[16:17], v[16:17], 0, 8
	v_lshl_add_u64 v[20:21], v[20:21], 0, 8
	s_waitcnt vmcnt(0)
	v_cmp_ne_u64_e64 s[6:7], v[22:23], v[26:27]
	s_or_b64 s[6:7], s[6:7], s[48:49]
	s_and_b64 s[6:7], exec, s[6:7]
	v_cmp_eq_u64_e32 vcc, v[22:23], v[26:27]
	s_or_b64 s[40:41], s[6:7], s[40:41]
	s_andn2_b64 s[6:7], s[44:45], exec
	s_and_b64 s[44:45], vcc, exec
	s_or_b64 s[44:45], s[6:7], s[44:45]
	s_andn2_b64 exec, exec, s[40:41]
	s_cbranch_execnz .LBB563_72
; %bb.73:
	s_or_b64 exec, exec, s[40:41]
	s_xor_b64 s[6:7], s[44:45], -1
.LBB563_74:
	s_and_b64 s[40:41], s[6:7], exec
.LBB563_75:
	s_or_b64 exec, exec, s[42:43]
	v_add_u32_e32 v16, 1, v1
	v_cmp_gt_u32_e32 vcc, s3, v16
	s_and_saveexec_b64 s[42:43], vcc
	s_cbranch_execz .LBB563_81
; %bb.76:
	s_and_b64 vcc, exec, s[4:5]
	s_mov_b64 s[6:7], 0
	s_cbranch_vccnz .LBB563_80
; %bb.77:
	v_mul_lo_u32 v19, v11, s30
	v_mul_lo_u32 v20, v10, s31
	v_mad_u64_u32 v[16:17], s[6:7], v10, s30, 0
	v_add3_u32 v17, v17, v20, v19
	v_mul_lo_u32 v19, v13, s30
	v_mul_lo_u32 v22, v12, s31
	v_mad_u64_u32 v[20:21], s[6:7], v12, s30, 0
	v_add3_u32 v21, v21, v22, v19
	s_add_u32 s46, s30, -1
	v_lshl_add_u64 v[16:17], v[16:17], 3, s[20:21]
	v_lshl_add_u64 v[20:21], v[20:21], 3, s[20:21]
	s_addc_u32 s47, s31, -1
	s_mov_b64 s[38:39], 0
                                        ; implicit-def: $sgpr44_sgpr45
.LBB563_78:                             ; =>This Inner Loop Header: Depth=1
	global_load_dwordx2 v[22:23], v[16:17], off
	global_load_dwordx2 v[26:27], v[20:21], off
	s_add_u32 s6, s46, -1
	s_addc_u32 s7, s47, -1
	s_cmp_eq_u64 s[46:47], 0
	s_mov_b64 s[46:47], s[6:7]
	s_cselect_b64 s[48:49], -1, 0
	v_lshl_add_u64 v[16:17], v[16:17], 0, 8
	v_lshl_add_u64 v[20:21], v[20:21], 0, 8
	s_waitcnt vmcnt(0)
	v_cmp_ne_u64_e64 s[6:7], v[22:23], v[26:27]
	s_or_b64 s[6:7], s[6:7], s[48:49]
	s_and_b64 s[6:7], exec, s[6:7]
	v_cmp_eq_u64_e32 vcc, v[22:23], v[26:27]
	s_or_b64 s[38:39], s[6:7], s[38:39]
	s_andn2_b64 s[6:7], s[44:45], exec
	s_and_b64 s[44:45], vcc, exec
	s_or_b64 s[44:45], s[6:7], s[44:45]
	s_andn2_b64 exec, exec, s[38:39]
	s_cbranch_execnz .LBB563_78
; %bb.79:
	s_or_b64 exec, exec, s[38:39]
	s_xor_b64 s[6:7], s[44:45], -1
.LBB563_80:
	s_and_b64 s[38:39], s[6:7], exec
.LBB563_81:
	s_or_b64 exec, exec, s[42:43]
	v_cmp_ne_u32_e32 vcc, 0, v0
	s_waitcnt lgkmcnt(0)
	v_mov_b64_e32 v[16:17], s[10:11]
	s_barrier
	s_and_saveexec_b64 s[6:7], vcc
; %bb.82:
	v_add_u32_e32 v16, -8, v25
	ds_read_b64 v[16:17], v16
; %bb.83:
	s_or_b64 exec, exec, s[6:7]
	v_cndmask_b32_e64 v20, 0, 1, s[36:37]
	v_cndmask_b32_e64 v19, 0, 1, s[40:41]
	;; [unrolled: 1-line block ×3, first 2 shown]
	v_lshlrev_b16_e32 v20, 8, v20
	v_cmp_gt_u32_e32 vcc, s3, v1
	v_lshlrev_b16_e32 v22, 8, v21
	v_or_b32_sdwa v23, v19, v20 dst_sel:WORD_1 dst_unused:UNUSED_PAD src0_sel:DWORD src1_sel:DWORD
	s_mov_b64 s[6:7], 0
	s_and_saveexec_b64 s[10:11], vcc
	s_cbranch_execz .LBB563_89
; %bb.84:
	s_and_b64 vcc, exec, s[4:5]
	s_mov_b64 s[4:5], 0
	s_cbranch_vccnz .LBB563_88
; %bb.85:
	s_waitcnt lgkmcnt(0)
	v_mul_lo_u32 v19, v17, s30
	v_mul_lo_u32 v20, v16, s31
	v_mad_u64_u32 v[16:17], s[4:5], v16, s30, 0
	v_add3_u32 v17, v17, v20, v19
	v_mul_lo_u32 v19, v11, s30
	v_mul_lo_u32 v25, v10, s31
	v_mad_u64_u32 v[20:21], s[4:5], v10, s30, 0
	v_add3_u32 v21, v21, v25, v19
	s_add_u32 s38, s30, -1
	v_lshl_add_u64 v[16:17], v[16:17], 3, s[20:21]
	v_lshl_add_u64 v[20:21], v[20:21], 3, s[20:21]
	s_addc_u32 s39, s31, -1
                                        ; implicit-def: $sgpr36_sgpr37
.LBB563_86:                             ; =>This Inner Loop Header: Depth=1
	global_load_dwordx2 v[26:27], v[16:17], off
	global_load_dwordx2 v[28:29], v[20:21], off
	s_add_u32 s4, s38, -1
	s_addc_u32 s5, s39, -1
	s_cmp_eq_u64 s[38:39], 0
	s_mov_b64 s[38:39], s[4:5]
	s_cselect_b64 s[40:41], -1, 0
	v_lshl_add_u64 v[16:17], v[16:17], 0, 8
	v_lshl_add_u64 v[20:21], v[20:21], 0, 8
	s_waitcnt vmcnt(0)
	v_cmp_ne_u64_e64 s[4:5], v[26:27], v[28:29]
	s_or_b64 s[4:5], s[4:5], s[40:41]
	s_and_b64 s[4:5], exec, s[4:5]
	v_cmp_eq_u64_e32 vcc, v[26:27], v[28:29]
	s_or_b64 s[6:7], s[4:5], s[6:7]
	s_andn2_b64 s[4:5], s[36:37], exec
	s_and_b64 s[36:37], vcc, exec
	s_or_b64 s[36:37], s[4:5], s[36:37]
	s_andn2_b64 exec, exec, s[6:7]
	s_cbranch_execnz .LBB563_86
; %bb.87:
	s_or_b64 exec, exec, s[6:7]
	s_xor_b64 s[4:5], s[36:37], -1
.LBB563_88:
	s_and_b64 s[6:7], s[4:5], exec
.LBB563_89:
	s_or_b64 exec, exec, s[10:11]
	s_waitcnt lgkmcnt(0)
	v_cndmask_b32_e64 v17, 0, 1, s[18:19]
	v_cndmask_b32_e64 v40, 0, 1, s[14:15]
	;; [unrolled: 1-line block ×3, first 2 shown]
	v_or_b32_e32 v21, v22, v23
.LBB563_90:
	s_waitcnt lgkmcnt(0)
	s_mov_b64 s[10:11], -1
	s_cbranch_execnz .LBB563_35
.LBB563_91:
	s_movk_i32 s4, 0xffd0
	v_mad_i32_i24 v26, v0, s4, v24
	s_mov_b64 s[6:7], 0
	v_cmp_gt_i64_e64 s[12:13], s[30:31], 0
	s_and_b64 vcc, exec, s[34:35]
	ds_write_b64 v26, v[14:15]
	s_cbranch_vccz .LBB563_106
; %bb.92:
	v_cndmask_b32_e64 v16, 0, 1, s[12:13]
	v_cmp_ne_u32_e64 s[4:5], 1, v16
	s_andn2_b64 vcc, exec, s[12:13]
	s_cbranch_vccnz .LBB563_107
; %bb.93:
	v_mul_lo_u32 v19, v5, s30
	v_mul_lo_u32 v20, v4, s31
	v_mad_u64_u32 v[16:17], s[6:7], v4, s30, 0
	v_add3_u32 v17, v17, v20, v19
	v_mul_lo_u32 v19, v15, s30
	v_mul_lo_u32 v22, v14, s31
	v_mad_u64_u32 v[20:21], s[6:7], v14, s30, 0
	s_add_u32 s18, s30, -1
	v_lshl_add_u64 v[16:17], v[16:17], 3, s[20:21]
	v_add3_u32 v21, v21, v22, v19
	s_addc_u32 s19, s31, -1
	v_lshl_add_u64 v[20:21], v[20:21], 3, s[20:21]
	s_mov_b64 s[36:37], 0
	s_mov_b64 s[38:39], s[18:19]
	v_mov_b64_e32 v[22:23], v[16:17]
                                        ; implicit-def: $sgpr14_sgpr15
.LBB563_94:                             ; =>This Inner Loop Header: Depth=1
	global_load_dwordx2 v[24:25], v[22:23], off
	global_load_dwordx2 v[28:29], v[20:21], off
	s_add_u32 s6, s38, -1
	s_addc_u32 s7, s39, -1
	s_cmp_eq_u64 s[38:39], 0
	s_mov_b64 s[38:39], s[6:7]
	s_cselect_b64 s[40:41], -1, 0
	v_lshl_add_u64 v[22:23], v[22:23], 0, 8
	v_lshl_add_u64 v[20:21], v[20:21], 0, 8
	s_waitcnt vmcnt(0)
	v_cmp_ne_u64_e64 s[6:7], v[24:25], v[28:29]
	s_or_b64 s[6:7], s[6:7], s[40:41]
	s_and_b64 s[6:7], exec, s[6:7]
	v_cmp_eq_u64_e32 vcc, v[24:25], v[28:29]
	s_or_b64 s[36:37], s[6:7], s[36:37]
	s_andn2_b64 s[6:7], s[14:15], exec
	s_and_b64 s[14:15], vcc, exec
	s_or_b64 s[14:15], s[6:7], s[14:15]
	s_andn2_b64 exec, exec, s[36:37]
	s_cbranch_execnz .LBB563_94
; %bb.95:
	s_or_b64 exec, exec, s[36:37]
	v_mul_lo_u32 v19, v3, s30
	v_mul_lo_u32 v22, v2, s31
	v_mad_u64_u32 v[20:21], s[6:7], v2, s30, 0
	v_add3_u32 v21, v21, v22, v19
	v_lshl_add_u64 v[20:21], v[20:21], 3, s[20:21]
	s_mov_b64 s[38:39], 0
	s_mov_b64 s[40:41], s[18:19]
	v_mov_b64_e32 v[22:23], v[20:21]
                                        ; implicit-def: $sgpr36_sgpr37
.LBB563_96:                             ; =>This Inner Loop Header: Depth=1
	global_load_dwordx2 v[24:25], v[22:23], off
	global_load_dwordx2 v[28:29], v[16:17], off
	s_add_u32 s6, s40, -1
	s_addc_u32 s7, s41, -1
	s_cmp_eq_u64 s[40:41], 0
	s_mov_b64 s[40:41], s[6:7]
	s_cselect_b64 s[42:43], -1, 0
	v_lshl_add_u64 v[22:23], v[22:23], 0, 8
	v_lshl_add_u64 v[16:17], v[16:17], 0, 8
	s_waitcnt vmcnt(0)
	v_cmp_ne_u64_e64 s[6:7], v[24:25], v[28:29]
	s_or_b64 s[6:7], s[6:7], s[42:43]
	s_and_b64 s[6:7], exec, s[6:7]
	v_cmp_eq_u64_e32 vcc, v[24:25], v[28:29]
	s_or_b64 s[38:39], s[6:7], s[38:39]
	s_andn2_b64 s[6:7], s[36:37], exec
	s_and_b64 s[36:37], vcc, exec
	s_or_b64 s[36:37], s[6:7], s[36:37]
	s_andn2_b64 exec, exec, s[38:39]
	s_cbranch_execnz .LBB563_96
; %bb.97:
	s_or_b64 exec, exec, s[38:39]
	v_mul_lo_u32 v19, v9, s30
	v_mul_lo_u32 v22, v8, s31
	v_mad_u64_u32 v[16:17], s[6:7], v8, s30, 0
	v_add3_u32 v17, v17, v22, v19
	v_lshl_add_u64 v[16:17], v[16:17], 3, s[20:21]
	s_mov_b64 s[40:41], 0
	s_mov_b64 s[42:43], s[18:19]
	v_mov_b64_e32 v[22:23], v[16:17]
                                        ; implicit-def: $sgpr38_sgpr39
.LBB563_98:                             ; =>This Inner Loop Header: Depth=1
	global_load_dwordx2 v[24:25], v[22:23], off
	global_load_dwordx2 v[28:29], v[20:21], off
	s_add_u32 s6, s42, -1
	s_addc_u32 s7, s43, -1
	s_cmp_eq_u64 s[42:43], 0
	s_mov_b64 s[42:43], s[6:7]
	s_cselect_b64 s[44:45], -1, 0
	v_lshl_add_u64 v[22:23], v[22:23], 0, 8
	v_lshl_add_u64 v[20:21], v[20:21], 0, 8
	s_waitcnt vmcnt(0)
	v_cmp_ne_u64_e64 s[6:7], v[24:25], v[28:29]
	s_or_b64 s[6:7], s[6:7], s[44:45]
	s_and_b64 s[6:7], exec, s[6:7]
	v_cmp_eq_u64_e32 vcc, v[24:25], v[28:29]
	s_or_b64 s[40:41], s[6:7], s[40:41]
	s_andn2_b64 s[6:7], s[38:39], exec
	s_and_b64 s[38:39], vcc, exec
	s_or_b64 s[38:39], s[6:7], s[38:39]
	s_andn2_b64 exec, exec, s[40:41]
	s_cbranch_execnz .LBB563_98
; %bb.99:
	s_or_b64 exec, exec, s[40:41]
	v_mul_lo_u32 v19, v7, s30
	v_mul_lo_u32 v22, v6, s31
	v_mad_u64_u32 v[20:21], s[6:7], v6, s30, 0
	v_add3_u32 v21, v21, v22, v19
	v_lshl_add_u64 v[20:21], v[20:21], 3, s[20:21]
	s_mov_b64 s[42:43], 0
	s_mov_b64 s[44:45], s[18:19]
	v_mov_b64_e32 v[22:23], v[20:21]
                                        ; implicit-def: $sgpr40_sgpr41
.LBB563_100:                            ; =>This Inner Loop Header: Depth=1
	global_load_dwordx2 v[24:25], v[22:23], off
	global_load_dwordx2 v[28:29], v[16:17], off
	s_add_u32 s6, s44, -1
	s_addc_u32 s7, s45, -1
	s_cmp_eq_u64 s[44:45], 0
	s_mov_b64 s[44:45], s[6:7]
	s_cselect_b64 s[46:47], -1, 0
	v_lshl_add_u64 v[22:23], v[22:23], 0, 8
	v_lshl_add_u64 v[16:17], v[16:17], 0, 8
	s_waitcnt vmcnt(0)
	v_cmp_ne_u64_e64 s[6:7], v[24:25], v[28:29]
	s_or_b64 s[6:7], s[6:7], s[46:47]
	s_and_b64 s[6:7], exec, s[6:7]
	v_cmp_eq_u64_e32 vcc, v[24:25], v[28:29]
	s_or_b64 s[42:43], s[6:7], s[42:43]
	s_andn2_b64 s[6:7], s[40:41], exec
	s_and_b64 s[40:41], vcc, exec
	s_or_b64 s[40:41], s[6:7], s[40:41]
	s_andn2_b64 exec, exec, s[42:43]
	s_cbranch_execnz .LBB563_100
; %bb.101:
	s_or_b64 exec, exec, s[42:43]
	v_mul_lo_u32 v19, v13, s30
	v_mul_lo_u32 v22, v12, s31
	v_mad_u64_u32 v[16:17], s[6:7], v12, s30, 0
	v_add3_u32 v17, v17, v22, v19
	v_lshl_add_u64 v[16:17], v[16:17], 3, s[20:21]
	s_mov_b64 s[44:45], 0
	s_mov_b64 s[46:47], s[18:19]
	v_mov_b64_e32 v[22:23], v[16:17]
                                        ; implicit-def: $sgpr42_sgpr43
.LBB563_102:                            ; =>This Inner Loop Header: Depth=1
	global_load_dwordx2 v[24:25], v[22:23], off
	global_load_dwordx2 v[28:29], v[20:21], off
	s_add_u32 s6, s46, -1
	s_addc_u32 s7, s47, -1
	s_cmp_eq_u64 s[46:47], 0
	s_mov_b64 s[46:47], s[6:7]
	s_cselect_b64 s[48:49], -1, 0
	v_lshl_add_u64 v[22:23], v[22:23], 0, 8
	v_lshl_add_u64 v[20:21], v[20:21], 0, 8
	s_waitcnt vmcnt(0)
	v_cmp_ne_u64_e64 s[6:7], v[24:25], v[28:29]
	s_or_b64 s[6:7], s[6:7], s[48:49]
	s_and_b64 s[6:7], exec, s[6:7]
	v_cmp_eq_u64_e32 vcc, v[24:25], v[28:29]
	s_or_b64 s[44:45], s[6:7], s[44:45]
	s_andn2_b64 s[6:7], s[42:43], exec
	s_and_b64 s[42:43], vcc, exec
	s_or_b64 s[42:43], s[6:7], s[42:43]
	s_andn2_b64 exec, exec, s[44:45]
	s_cbranch_execnz .LBB563_102
; %bb.103:
	s_or_b64 exec, exec, s[44:45]
	v_mul_lo_u32 v19, v11, s30
	v_mul_lo_u32 v22, v10, s31
	v_mad_u64_u32 v[20:21], s[6:7], v10, s30, 0
	v_add3_u32 v21, v21, v22, v19
	v_lshl_add_u64 v[20:21], v[20:21], 3, s[20:21]
	s_mov_b64 s[46:47], 0
                                        ; implicit-def: $sgpr44_sgpr45
.LBB563_104:                            ; =>This Inner Loop Header: Depth=1
	global_load_dwordx2 v[22:23], v[20:21], off
	global_load_dwordx2 v[24:25], v[16:17], off
	s_add_u32 s6, s18, -1
	s_addc_u32 s7, s19, -1
	s_cmp_eq_u64 s[18:19], 0
	s_mov_b64 s[18:19], s[6:7]
	s_cselect_b64 s[48:49], -1, 0
	v_lshl_add_u64 v[20:21], v[20:21], 0, 8
	v_lshl_add_u64 v[16:17], v[16:17], 0, 8
	s_waitcnt vmcnt(0)
	v_cmp_ne_u64_e64 s[6:7], v[22:23], v[24:25]
	s_or_b64 s[6:7], s[6:7], s[48:49]
	s_and_b64 s[6:7], exec, s[6:7]
	v_cmp_eq_u64_e32 vcc, v[22:23], v[24:25]
	s_or_b64 s[46:47], s[6:7], s[46:47]
	s_andn2_b64 s[6:7], s[44:45], exec
	s_and_b64 s[44:45], vcc, exec
	s_or_b64 s[44:45], s[6:7], s[44:45]
	s_andn2_b64 exec, exec, s[46:47]
	s_cbranch_execnz .LBB563_104
; %bb.105:
	s_or_b64 exec, exec, s[46:47]
	s_xor_b64 s[6:7], s[36:37], -1
	v_cndmask_b32_e64 v40, 0, 1, s[6:7]
	s_xor_b64 s[6:7], s[40:41], -1
	v_cndmask_b32_e64 v16, 0, 1, s[6:7]
	v_lshlrev_b16_e32 v16, 8, v16
	s_xor_b64 s[6:7], s[14:15], -1
	v_lshrrev_b32_e32 v16, 8, v16
	v_mov_b32_e32 v20, 1
	s_xor_b64 s[14:15], s[42:43], -1
	v_cndmask_b32_e64 v19, 0, 1, s[6:7]
	s_xor_b64 s[6:7], s[38:39], -1
	v_and_b32_sdwa v16, v16, v20 dst_sel:BYTE_1 dst_unused:UNUSED_PAD src0_sel:DWORD src1_sel:DWORD
	v_cndmask_b32_e64 v20, 0, 1, s[14:15]
	v_cndmask_b32_e64 v17, 0, 1, s[6:7]
	s_xor_b64 s[6:7], s[44:45], -1
	v_or_b32_sdwa v16, v20, v16 dst_sel:WORD_1 dst_unused:UNUSED_PAD src0_sel:DWORD src1_sel:DWORD
	s_branch .LBB563_108
.LBB563_106:
                                        ; implicit-def: $sgpr6_sgpr7
                                        ; implicit-def: $vgpr19
                                        ; implicit-def: $vgpr40
                                        ; implicit-def: $vgpr17
                                        ; implicit-def: $vgpr21
                                        ; implicit-def: $vgpr42
                                        ; implicit-def: $vgpr41
                                        ; implicit-def: $vgpr20
	s_cbranch_execnz .LBB563_115
	s_branch .LBB563_160
.LBB563_107:
	v_mov_b32_e32 v16, 0
	v_mov_b32_e32 v19, 0
	;; [unrolled: 1-line block ×4, first 2 shown]
.LBB563_108:
	v_lshrrev_b32_e32 v41, 16, v16
	v_lshrrev_b32_e32 v20, 24, v16
	v_cndmask_b32_e64 v42, 0, 1, s[6:7]
	v_mov_b32_e32 v16, 1
	v_cmp_ne_u32_e32 vcc, 0, v0
	s_waitcnt lgkmcnt(0)
	s_barrier
                                        ; implicit-def: $sgpr6_sgpr7
                                        ; implicit-def: $vgpr21
	s_and_saveexec_b64 s[14:15], vcc
	s_xor_b64 s[14:15], exec, s[14:15]
	s_cbranch_execz .LBB563_114
; %bb.109:
	v_lshlrev_b16_e32 v21, 8, v20
	s_movk_i32 s6, 0xff
	v_bitop3_b16 v21, v41, v21, s6 bitop3:0xec
	v_lshlrev_b16_e32 v22, 8, v42
	v_lshlrev_b32_e32 v21, 16, v21
	v_or_b32_e32 v22, 1, v22
	v_or_b32_sdwa v21, v22, v21 dst_sel:DWORD dst_unused:UNUSED_PAD src0_sel:WORD_0 src1_sel:DWORD
	s_mov_b32 s33, 0x3020104
	s_and_b64 vcc, exec, s[4:5]
	s_mov_b64 s[6:7], 0
	s_cbranch_vccnz .LBB563_113
; %bb.110:
	v_add_u32_e32 v22, -8, v26
	ds_read_b64 v[22:23], v22
	v_mul_lo_u32 v27, v11, s30
	v_mul_lo_u32 v28, v10, s31
	s_add_u32 s36, s30, -1
	s_addc_u32 s37, s31, -1
	s_waitcnt lgkmcnt(0)
	v_mul_lo_u32 v24, v23, s30
	v_mul_lo_u32 v25, v22, s31
	v_mad_u64_u32 v[22:23], s[4:5], v22, s30, 0
	v_add3_u32 v23, v23, v25, v24
	v_mad_u64_u32 v[24:25], s[4:5], v10, s30, 0
	v_add3_u32 v25, v25, v28, v27
	v_lshl_add_u64 v[22:23], v[22:23], 3, s[20:21]
	v_lshl_add_u64 v[24:25], v[24:25], 3, s[20:21]
                                        ; implicit-def: $sgpr18_sgpr19
.LBB563_111:                            ; =>This Inner Loop Header: Depth=1
	global_load_dwordx2 v[28:29], v[22:23], off
	global_load_dwordx2 v[30:31], v[24:25], off
	s_add_u32 s4, s36, -1
	s_addc_u32 s5, s37, -1
	s_cmp_eq_u64 s[36:37], 0
	s_mov_b64 s[36:37], s[4:5]
	s_cselect_b64 s[38:39], -1, 0
	v_lshl_add_u64 v[22:23], v[22:23], 0, 8
	v_lshl_add_u64 v[24:25], v[24:25], 0, 8
	s_waitcnt vmcnt(0)
	v_cmp_ne_u64_e64 s[4:5], v[28:29], v[30:31]
	s_or_b64 s[4:5], s[4:5], s[38:39]
	s_and_b64 s[4:5], exec, s[4:5]
	v_cmp_eq_u64_e32 vcc, v[28:29], v[30:31]
	s_or_b64 s[6:7], s[4:5], s[6:7]
	s_andn2_b64 s[4:5], s[18:19], exec
	s_and_b64 s[18:19], vcc, exec
	s_or_b64 s[18:19], s[4:5], s[18:19]
	s_andn2_b64 exec, exec, s[6:7]
	s_cbranch_execnz .LBB563_111
; %bb.112:
	s_or_b64 exec, exec, s[6:7]
	s_xor_b64 s[6:7], s[18:19], -1
.LBB563_113:
	v_perm_b32 v21, v21, v21, s33
	s_or_b64 s[10:11], s[10:11], exec
.LBB563_114:
	s_or_b64 exec, exec, s[14:15]
	s_branch .LBB563_160
.LBB563_115:
	v_add_u32_e32 v16, 6, v1
	v_cmp_gt_u32_e32 vcc, s3, v16
	s_mov_b64 s[14:15], 0
	s_mov_b64 s[6:7], 0
	s_and_saveexec_b64 s[18:19], vcc
	s_cbranch_execz .LBB563_121
; %bb.116:
	s_andn2_b64 vcc, exec, s[12:13]
	s_mov_b64 s[4:5], 0
	s_cbranch_vccnz .LBB563_120
; %bb.117:
	v_mul_lo_u32 v19, v5, s30
	v_mul_lo_u32 v20, v4, s31
	v_mad_u64_u32 v[16:17], s[4:5], v4, s30, 0
	v_add3_u32 v17, v17, v20, v19
	v_mul_lo_u32 v19, v15, s30
	v_mul_lo_u32 v22, v14, s31
	v_mad_u64_u32 v[20:21], s[4:5], v14, s30, 0
	v_add3_u32 v21, v21, v22, v19
	s_add_u32 s38, s30, -1
	v_lshl_add_u64 v[16:17], v[16:17], 3, s[20:21]
	v_lshl_add_u64 v[20:21], v[20:21], 3, s[20:21]
	s_addc_u32 s39, s31, -1
                                        ; implicit-def: $sgpr36_sgpr37
.LBB563_118:                            ; =>This Inner Loop Header: Depth=1
	global_load_dwordx2 v[22:23], v[16:17], off
	global_load_dwordx2 v[24:25], v[20:21], off
	s_add_u32 s4, s38, -1
	s_addc_u32 s5, s39, -1
	s_cmp_eq_u64 s[38:39], 0
	s_mov_b64 s[38:39], s[4:5]
	s_cselect_b64 s[40:41], -1, 0
	v_lshl_add_u64 v[16:17], v[16:17], 0, 8
	v_lshl_add_u64 v[20:21], v[20:21], 0, 8
	s_waitcnt vmcnt(0)
	v_cmp_ne_u64_e64 s[4:5], v[22:23], v[24:25]
	s_or_b64 s[4:5], s[4:5], s[40:41]
	s_and_b64 s[4:5], exec, s[4:5]
	v_cmp_eq_u64_e32 vcc, v[22:23], v[24:25]
	s_or_b64 s[6:7], s[4:5], s[6:7]
	s_andn2_b64 s[4:5], s[36:37], exec
	s_and_b64 s[36:37], vcc, exec
	s_or_b64 s[36:37], s[4:5], s[36:37]
	s_andn2_b64 exec, exec, s[6:7]
	s_cbranch_execnz .LBB563_118
; %bb.119:
	s_or_b64 exec, exec, s[6:7]
	s_xor_b64 s[4:5], s[36:37], -1
.LBB563_120:
	s_and_b64 s[6:7], s[4:5], exec
.LBB563_121:
	s_or_b64 exec, exec, s[18:19]
	v_add_u32_e32 v16, 5, v1
	v_cmp_gt_u32_e32 vcc, s3, v16
	s_and_saveexec_b64 s[18:19], vcc
	s_cbranch_execz .LBB563_127
; %bb.122:
	s_andn2_b64 vcc, exec, s[12:13]
	s_mov_b64 s[4:5], 0
	s_cbranch_vccnz .LBB563_126
; %bb.123:
	v_mul_lo_u32 v19, v3, s30
	v_mul_lo_u32 v20, v2, s31
	v_mad_u64_u32 v[16:17], s[4:5], v2, s30, 0
	v_add3_u32 v17, v17, v20, v19
	v_mul_lo_u32 v19, v5, s30
	v_mul_lo_u32 v22, v4, s31
	v_mad_u64_u32 v[20:21], s[4:5], v4, s30, 0
	v_add3_u32 v21, v21, v22, v19
	s_add_u32 s38, s30, -1
	v_lshl_add_u64 v[16:17], v[16:17], 3, s[20:21]
	v_lshl_add_u64 v[20:21], v[20:21], 3, s[20:21]
	s_addc_u32 s39, s31, -1
	s_mov_b64 s[14:15], 0
                                        ; implicit-def: $sgpr36_sgpr37
.LBB563_124:                            ; =>This Inner Loop Header: Depth=1
	global_load_dwordx2 v[22:23], v[16:17], off
	global_load_dwordx2 v[24:25], v[20:21], off
	s_add_u32 s4, s38, -1
	s_addc_u32 s5, s39, -1
	s_cmp_eq_u64 s[38:39], 0
	s_mov_b64 s[38:39], s[4:5]
	s_cselect_b64 s[40:41], -1, 0
	v_lshl_add_u64 v[16:17], v[16:17], 0, 8
	v_lshl_add_u64 v[20:21], v[20:21], 0, 8
	s_waitcnt vmcnt(0)
	v_cmp_ne_u64_e64 s[4:5], v[22:23], v[24:25]
	s_or_b64 s[4:5], s[4:5], s[40:41]
	s_and_b64 s[4:5], exec, s[4:5]
	v_cmp_eq_u64_e32 vcc, v[22:23], v[24:25]
	s_or_b64 s[14:15], s[4:5], s[14:15]
	s_andn2_b64 s[4:5], s[36:37], exec
	s_and_b64 s[36:37], vcc, exec
	s_or_b64 s[36:37], s[4:5], s[36:37]
	s_andn2_b64 exec, exec, s[14:15]
	s_cbranch_execnz .LBB563_124
; %bb.125:
	s_or_b64 exec, exec, s[14:15]
	s_xor_b64 s[4:5], s[36:37], -1
.LBB563_126:
	s_and_b64 s[14:15], s[4:5], exec
.LBB563_127:
	s_or_b64 exec, exec, s[18:19]
	v_add_u32_e32 v16, 4, v1
	v_cmp_gt_u32_e32 vcc, s3, v16
	s_mov_b64 s[18:19], 0
	s_mov_b64 s[36:37], 0
	s_and_saveexec_b64 s[38:39], vcc
	s_cbranch_execz .LBB563_133
; %bb.128:
	s_andn2_b64 vcc, exec, s[12:13]
	s_mov_b64 s[4:5], 0
	s_cbranch_vccnz .LBB563_132
; %bb.129:
	v_mul_lo_u32 v19, v9, s30
	v_mul_lo_u32 v20, v8, s31
	v_mad_u64_u32 v[16:17], s[4:5], v8, s30, 0
	v_add3_u32 v17, v17, v20, v19
	v_mul_lo_u32 v19, v3, s30
	v_mul_lo_u32 v22, v2, s31
	v_mad_u64_u32 v[20:21], s[4:5], v2, s30, 0
	v_add3_u32 v21, v21, v22, v19
	s_add_u32 s42, s30, -1
	v_lshl_add_u64 v[16:17], v[16:17], 3, s[20:21]
	v_lshl_add_u64 v[20:21], v[20:21], 3, s[20:21]
	s_addc_u32 s43, s31, -1
                                        ; implicit-def: $sgpr40_sgpr41
.LBB563_130:                            ; =>This Inner Loop Header: Depth=1
	global_load_dwordx2 v[22:23], v[16:17], off
	global_load_dwordx2 v[24:25], v[20:21], off
	s_add_u32 s4, s42, -1
	s_addc_u32 s5, s43, -1
	s_cmp_eq_u64 s[42:43], 0
	s_mov_b64 s[42:43], s[4:5]
	s_cselect_b64 s[44:45], -1, 0
	v_lshl_add_u64 v[16:17], v[16:17], 0, 8
	v_lshl_add_u64 v[20:21], v[20:21], 0, 8
	s_waitcnt vmcnt(0)
	v_cmp_ne_u64_e64 s[4:5], v[22:23], v[24:25]
	s_or_b64 s[4:5], s[4:5], s[44:45]
	s_and_b64 s[4:5], exec, s[4:5]
	v_cmp_eq_u64_e32 vcc, v[22:23], v[24:25]
	s_or_b64 s[36:37], s[4:5], s[36:37]
	s_andn2_b64 s[4:5], s[40:41], exec
	s_and_b64 s[40:41], vcc, exec
	s_or_b64 s[40:41], s[4:5], s[40:41]
	s_andn2_b64 exec, exec, s[36:37]
	s_cbranch_execnz .LBB563_130
; %bb.131:
	s_or_b64 exec, exec, s[36:37]
	s_xor_b64 s[4:5], s[40:41], -1
.LBB563_132:
	s_and_b64 s[36:37], s[4:5], exec
.LBB563_133:
	s_or_b64 exec, exec, s[38:39]
	v_add_u32_e32 v16, 3, v1
	v_cmp_gt_u32_e32 vcc, s3, v16
	s_and_saveexec_b64 s[38:39], vcc
	s_cbranch_execz .LBB563_139
; %bb.134:
	s_andn2_b64 vcc, exec, s[12:13]
	s_mov_b64 s[4:5], 0
	s_cbranch_vccnz .LBB563_138
; %bb.135:
	v_mul_lo_u32 v19, v7, s30
	v_mul_lo_u32 v20, v6, s31
	v_mad_u64_u32 v[16:17], s[4:5], v6, s30, 0
	v_add3_u32 v17, v17, v20, v19
	v_mul_lo_u32 v19, v9, s30
	v_mul_lo_u32 v22, v8, s31
	v_mad_u64_u32 v[20:21], s[4:5], v8, s30, 0
	v_add3_u32 v21, v21, v22, v19
	s_add_u32 s42, s30, -1
	v_lshl_add_u64 v[16:17], v[16:17], 3, s[20:21]
	v_lshl_add_u64 v[20:21], v[20:21], 3, s[20:21]
	s_addc_u32 s43, s31, -1
	s_mov_b64 s[18:19], 0
                                        ; implicit-def: $sgpr40_sgpr41
.LBB563_136:                            ; =>This Inner Loop Header: Depth=1
	global_load_dwordx2 v[22:23], v[16:17], off
	global_load_dwordx2 v[24:25], v[20:21], off
	s_add_u32 s4, s42, -1
	s_addc_u32 s5, s43, -1
	s_cmp_eq_u64 s[42:43], 0
	s_mov_b64 s[42:43], s[4:5]
	s_cselect_b64 s[44:45], -1, 0
	v_lshl_add_u64 v[16:17], v[16:17], 0, 8
	v_lshl_add_u64 v[20:21], v[20:21], 0, 8
	s_waitcnt vmcnt(0)
	v_cmp_ne_u64_e64 s[4:5], v[22:23], v[24:25]
	s_or_b64 s[4:5], s[4:5], s[44:45]
	s_and_b64 s[4:5], exec, s[4:5]
	v_cmp_eq_u64_e32 vcc, v[22:23], v[24:25]
	s_or_b64 s[18:19], s[4:5], s[18:19]
	s_andn2_b64 s[4:5], s[40:41], exec
	s_and_b64 s[40:41], vcc, exec
	s_or_b64 s[40:41], s[4:5], s[40:41]
	s_andn2_b64 exec, exec, s[18:19]
	s_cbranch_execnz .LBB563_136
; %bb.137:
	s_or_b64 exec, exec, s[18:19]
	s_xor_b64 s[4:5], s[40:41], -1
.LBB563_138:
	s_and_b64 s[18:19], s[4:5], exec
.LBB563_139:
	s_or_b64 exec, exec, s[38:39]
	v_add_u32_e32 v16, 2, v1
	v_cmp_gt_u32_e32 vcc, s3, v16
	s_mov_b64 s[38:39], 0
	s_mov_b64 s[40:41], 0
	s_and_saveexec_b64 s[42:43], vcc
	s_cbranch_execz .LBB563_145
; %bb.140:
	s_andn2_b64 vcc, exec, s[12:13]
	s_mov_b64 s[4:5], 0
	s_cbranch_vccnz .LBB563_144
; %bb.141:
	v_mul_lo_u32 v19, v13, s30
	v_mul_lo_u32 v20, v12, s31
	v_mad_u64_u32 v[16:17], s[4:5], v12, s30, 0
	v_add3_u32 v17, v17, v20, v19
	v_mul_lo_u32 v19, v7, s30
	v_mul_lo_u32 v22, v6, s31
	v_mad_u64_u32 v[20:21], s[4:5], v6, s30, 0
	v_add3_u32 v21, v21, v22, v19
	s_add_u32 s46, s30, -1
	v_lshl_add_u64 v[16:17], v[16:17], 3, s[20:21]
	v_lshl_add_u64 v[20:21], v[20:21], 3, s[20:21]
	s_addc_u32 s47, s31, -1
                                        ; implicit-def: $sgpr44_sgpr45
.LBB563_142:                            ; =>This Inner Loop Header: Depth=1
	global_load_dwordx2 v[22:23], v[16:17], off
	global_load_dwordx2 v[24:25], v[20:21], off
	s_add_u32 s4, s46, -1
	s_addc_u32 s5, s47, -1
	s_cmp_eq_u64 s[46:47], 0
	s_mov_b64 s[46:47], s[4:5]
	s_cselect_b64 s[48:49], -1, 0
	v_lshl_add_u64 v[16:17], v[16:17], 0, 8
	v_lshl_add_u64 v[20:21], v[20:21], 0, 8
	s_waitcnt vmcnt(0)
	v_cmp_ne_u64_e64 s[4:5], v[22:23], v[24:25]
	s_or_b64 s[4:5], s[4:5], s[48:49]
	s_and_b64 s[4:5], exec, s[4:5]
	v_cmp_eq_u64_e32 vcc, v[22:23], v[24:25]
	s_or_b64 s[40:41], s[4:5], s[40:41]
	s_andn2_b64 s[4:5], s[44:45], exec
	s_and_b64 s[44:45], vcc, exec
	s_or_b64 s[44:45], s[4:5], s[44:45]
	s_andn2_b64 exec, exec, s[40:41]
	s_cbranch_execnz .LBB563_142
; %bb.143:
	s_or_b64 exec, exec, s[40:41]
	s_xor_b64 s[4:5], s[44:45], -1
.LBB563_144:
	s_and_b64 s[40:41], s[4:5], exec
.LBB563_145:
	s_or_b64 exec, exec, s[42:43]
	v_add_u32_e32 v16, 1, v1
	v_cmp_gt_u32_e32 vcc, s3, v16
	s_and_saveexec_b64 s[42:43], vcc
	s_cbranch_execz .LBB563_151
; %bb.146:
	s_andn2_b64 vcc, exec, s[12:13]
	s_mov_b64 s[4:5], 0
	s_cbranch_vccnz .LBB563_150
; %bb.147:
	v_mul_lo_u32 v19, v11, s30
	v_mul_lo_u32 v20, v10, s31
	v_mad_u64_u32 v[16:17], s[4:5], v10, s30, 0
	v_add3_u32 v17, v17, v20, v19
	v_mul_lo_u32 v19, v13, s30
	v_mul_lo_u32 v22, v12, s31
	v_mad_u64_u32 v[20:21], s[4:5], v12, s30, 0
	v_add3_u32 v21, v21, v22, v19
	s_add_u32 s46, s30, -1
	v_lshl_add_u64 v[16:17], v[16:17], 3, s[20:21]
	v_lshl_add_u64 v[20:21], v[20:21], 3, s[20:21]
	s_addc_u32 s47, s31, -1
	s_mov_b64 s[38:39], 0
                                        ; implicit-def: $sgpr44_sgpr45
.LBB563_148:                            ; =>This Inner Loop Header: Depth=1
	global_load_dwordx2 v[22:23], v[16:17], off
	global_load_dwordx2 v[24:25], v[20:21], off
	s_add_u32 s4, s46, -1
	s_addc_u32 s5, s47, -1
	s_cmp_eq_u64 s[46:47], 0
	s_mov_b64 s[46:47], s[4:5]
	s_cselect_b64 s[48:49], -1, 0
	v_lshl_add_u64 v[16:17], v[16:17], 0, 8
	v_lshl_add_u64 v[20:21], v[20:21], 0, 8
	s_waitcnt vmcnt(0)
	v_cmp_ne_u64_e64 s[4:5], v[22:23], v[24:25]
	s_or_b64 s[4:5], s[4:5], s[48:49]
	s_and_b64 s[4:5], exec, s[4:5]
	v_cmp_eq_u64_e32 vcc, v[22:23], v[24:25]
	s_or_b64 s[38:39], s[4:5], s[38:39]
	s_andn2_b64 s[4:5], s[44:45], exec
	s_and_b64 s[44:45], vcc, exec
	s_or_b64 s[44:45], s[4:5], s[44:45]
	s_andn2_b64 exec, exec, s[38:39]
	s_cbranch_execnz .LBB563_148
; %bb.149:
	s_or_b64 exec, exec, s[38:39]
	s_xor_b64 s[4:5], s[44:45], -1
.LBB563_150:
	s_and_b64 s[38:39], s[4:5], exec
.LBB563_151:
	s_or_b64 exec, exec, s[42:43]
	v_cndmask_b32_e64 v17, 0, 1, s[36:37]
	v_cndmask_b32_e64 v40, 0, 1, s[14:15]
	;; [unrolled: 1-line block ×6, first 2 shown]
	v_mov_b32_e32 v16, 1
	v_cmp_ne_u32_e32 vcc, 0, v0
	s_waitcnt lgkmcnt(0)
	s_barrier
                                        ; implicit-def: $sgpr6_sgpr7
                                        ; implicit-def: $vgpr21
	s_and_saveexec_b64 s[14:15], vcc
	s_cbranch_execz .LBB563_159
; %bb.152:
	v_lshlrev_b16_e32 v21, 8, v42
	v_lshlrev_b16_e32 v22, 8, v20
	v_or_b32_e32 v21, 1, v21
	v_or_b32_sdwa v22, v41, v22 dst_sel:WORD_1 dst_unused:UNUSED_PAD src0_sel:DWORD src1_sel:DWORD
	v_cmp_gt_u32_e32 vcc, s3, v1
	v_or_b32_sdwa v21, v21, v22 dst_sel:DWORD dst_unused:UNUSED_PAD src0_sel:WORD_0 src1_sel:DWORD
	s_mov_b32 s33, 0x3020104
	s_mov_b64 s[6:7], 0
	s_and_saveexec_b64 s[18:19], vcc
	s_cbranch_execz .LBB563_158
; %bb.153:
	s_andn2_b64 vcc, exec, s[12:13]
	s_mov_b64 s[4:5], 0
	s_cbranch_vccnz .LBB563_157
; %bb.154:
	v_add_u32_e32 v22, -8, v26
	ds_read_b64 v[22:23], v22
	v_mul_lo_u32 v26, v11, s30
	v_mul_lo_u32 v27, v10, s31
                                        ; implicit-def: $sgpr12_sgpr13
	s_waitcnt lgkmcnt(0)
	v_mul_lo_u32 v24, v23, s30
	v_mul_lo_u32 v25, v22, s31
	v_mad_u64_u32 v[22:23], s[4:5], v22, s30, 0
	v_add3_u32 v23, v23, v25, v24
	v_mad_u64_u32 v[24:25], s[4:5], v10, s30, 0
	v_add3_u32 v25, v25, v27, v26
	v_lshl_add_u64 v[22:23], v[22:23], 3, s[20:21]
	v_lshl_add_u64 v[24:25], v[24:25], 3, s[20:21]
	s_add_u32 s20, s30, -1
	s_addc_u32 s21, s31, -1
.LBB563_155:                            ; =>This Inner Loop Header: Depth=1
	global_load_dwordx2 v[26:27], v[22:23], off
	global_load_dwordx2 v[28:29], v[24:25], off
	s_add_u32 s4, s20, -1
	s_addc_u32 s5, s21, -1
	s_cmp_eq_u64 s[20:21], 0
	s_mov_b64 s[20:21], s[4:5]
	s_cselect_b64 s[30:31], -1, 0
	v_lshl_add_u64 v[22:23], v[22:23], 0, 8
	v_lshl_add_u64 v[24:25], v[24:25], 0, 8
	s_waitcnt vmcnt(0)
	v_cmp_ne_u64_e64 s[4:5], v[26:27], v[28:29]
	s_or_b64 s[4:5], s[4:5], s[30:31]
	s_and_b64 s[4:5], exec, s[4:5]
	v_cmp_eq_u64_e32 vcc, v[26:27], v[28:29]
	s_or_b64 s[6:7], s[4:5], s[6:7]
	s_andn2_b64 s[4:5], s[12:13], exec
	s_and_b64 s[12:13], vcc, exec
	s_or_b64 s[12:13], s[4:5], s[12:13]
	s_andn2_b64 exec, exec, s[6:7]
	s_cbranch_execnz .LBB563_155
; %bb.156:
	s_or_b64 exec, exec, s[6:7]
	s_xor_b64 s[4:5], s[12:13], -1
.LBB563_157:
	s_and_b64 s[6:7], s[4:5], exec
.LBB563_158:
	s_or_b64 exec, exec, s[18:19]
	v_perm_b32 v21, v21, v21, s33
	s_or_b64 s[10:11], s[10:11], exec
.LBB563_159:
	s_or_b64 exec, exec, s[14:15]
.LBB563_160:
	s_and_saveexec_b64 s[4:5], s[10:11]
; %bb.161:
	v_lshrrev_b32_e32 v20, 24, v21
	v_lshrrev_b32_e32 v41, 16, v21
	;; [unrolled: 1-line block ×3, first 2 shown]
	v_cndmask_b32_e64 v16, 0, 1, s[6:7]
; %bb.162:
	s_or_b64 exec, exec, s[4:5]
	s_andn2_b64 vcc, exec, s[8:9]
	s_cbranch_vccnz .LBB563_166
; %bb.163:
	s_mov_b32 s4, 0xc0c0004
	v_perm_b32 v20, v41, v20, s4
	v_perm_b32 v16, v16, v42, s4
	v_lshlrev_b32_e32 v20, 16, v20
	v_or_b32_e32 v16, v16, v20
	v_cmp_gt_u32_e32 vcc, s3, v1
	v_add_u32_e32 v22, 1, v1
	v_perm_b32 v17, v17, v40, s4
	v_cndmask_b32_e32 v20, v20, v16, vcc
	v_and_b32_e32 v20, 0xffff00ff, v20
	v_cmp_gt_u32_e32 vcc, s3, v22
	v_add_u32_e32 v22, 2, v1
	s_mov_b32 s4, 0x40c0100
	v_cndmask_b32_e32 v20, v20, v16, vcc
	v_lshrrev_b32_e32 v23, 24, v20
	v_and_b32_e32 v19, 0xff, v19
	v_perm_b32 v20, v23, v20, s4
	v_cmp_gt_u32_e32 vcc, s3, v22
	v_lshlrev_b32_e32 v19, 16, v19
	v_add_u32_e32 v22, 3, v1
	v_cndmask_b32_e32 v20, v20, v16, vcc
	s_mov_b32 s4, 0xffff00
	v_or_b32_e32 v21, v17, v19
	v_and_b32_e32 v20, 0xffffff, v20
	v_cmp_gt_u32_e32 vcc, s3, v22
	v_bitop3_b32 v17, v17, s4, v19 bitop3:0xc8
	v_add_u32_e32 v19, 4, v1
	v_cndmask_b32_e32 v20, v20, v16, vcc
	v_cmp_gt_u32_e32 vcc, s3, v19
	v_add_u32_e32 v19, 5, v1
	v_cmp_gt_u32_e64 s[4:5], s3, v19
	v_cndmask_b32_e32 v17, v17, v21, vcc
	v_and_b32_e32 v17, 0xffff00ff, v17
	s_or_b64 vcc, s[4:5], vcc
	v_cndmask_b32_e64 v17, v17, v21, s[4:5]
	v_cndmask_b32_e32 v16, v20, v16, vcc
	v_add_u32_e32 v1, 6, v1
	v_lshrrev_b32_e32 v41, 16, v16
	v_lshrrev_b32_e32 v42, 8, v16
	v_lshrrev_b64 v[20:21], 24, v[16:17]
	v_lshrrev_b32_e32 v19, 16, v17
	v_lshrrev_b32_e32 v40, 8, v17
	v_cmp_le_u32_e32 vcc, s3, v1
	s_and_saveexec_b64 s[4:5], vcc
; %bb.164:
	v_mov_b32_e32 v19, 0
; %bb.165:
	s_or_b64 exec, exec, s[4:5]
.LBB563_166:
	v_and_b32_e32 v1, 0xff, v16
	v_and_b32_e32 v21, 0xff, v42
	;; [unrolled: 1-line block ×5, first 2 shown]
	v_add3_u32 v23, v21, v1, v33
	v_and_b32_e32 v39, 0xff, v40
	v_and_b32_e32 v22, 0xff, v19
	v_add3_u32 v23, v23, v35, v37
	v_add3_u32 v45, v23, v39, v22
	v_mbcnt_lo_u32_b32 v22, -1, 0
	v_mbcnt_hi_u32_b32 v43, -1, v22
	v_and_b32_e32 v22, 15, v43
	v_cmp_eq_u32_e64 s[14:15], 0, v22
	v_cmp_lt_u32_e64 s[12:13], 1, v22
	v_cmp_lt_u32_e64 s[10:11], 3, v22
	;; [unrolled: 1-line block ×3, first 2 shown]
	v_and_b32_e32 v22, 16, v43
	v_cmp_eq_u32_e64 s[6:7], 0, v22
	v_or_b32_e32 v22, 63, v0
	v_cmp_lt_u32_e64 s[18:19], 31, v43
	v_lshrrev_b32_e32 v44, 6, v0
	v_cmp_eq_u32_e64 s[4:5], v0, v22
	s_and_b64 vcc, exec, s[16:17]
	s_waitcnt lgkmcnt(0)
	s_barrier
	s_cbranch_vccz .LBB563_188
; %bb.167:
	v_mov_b32_dpp v22, v45 row_shr:1 row_mask:0xf bank_mask:0xf
	v_cndmask_b32_e64 v22, v22, 0, s[14:15]
	v_add_u32_e32 v22, v22, v45
	s_nop 1
	v_mov_b32_dpp v23, v22 row_shr:2 row_mask:0xf bank_mask:0xf
	v_cndmask_b32_e64 v23, 0, v23, s[12:13]
	v_add_u32_e32 v22, v22, v23
	s_nop 1
	;; [unrolled: 4-line block ×4, first 2 shown]
	v_mov_b32_dpp v23, v22 row_bcast:15 row_mask:0xf bank_mask:0xf
	v_cndmask_b32_e64 v23, v23, 0, s[6:7]
	v_add_u32_e32 v22, v22, v23
	s_nop 1
	v_mov_b32_dpp v23, v22 row_bcast:31 row_mask:0xf bank_mask:0xf
	v_cndmask_b32_e64 v23, 0, v23, s[18:19]
	v_add_u32_e32 v22, v22, v23
	s_and_saveexec_b64 s[16:17], s[4:5]
; %bb.168:
	v_lshlrev_b32_e32 v23, 2, v44
	ds_write_b32 v23, v22
; %bb.169:
	s_or_b64 exec, exec, s[16:17]
	v_cmp_gt_u32_e32 vcc, 8, v0
	s_waitcnt lgkmcnt(0)
	s_barrier
	s_and_saveexec_b64 s[16:17], vcc
	s_cbranch_execz .LBB563_171
; %bb.170:
	v_lshlrev_b32_e32 v23, 2, v0
	ds_read_b32 v24, v23
	v_and_b32_e32 v25, 7, v43
	v_cmp_ne_u32_e32 vcc, 0, v25
	s_waitcnt lgkmcnt(0)
	v_mov_b32_dpp v26, v24 row_shr:1 row_mask:0xf bank_mask:0xf
	v_cndmask_b32_e32 v26, 0, v26, vcc
	v_add_u32_e32 v24, v26, v24
	v_cmp_lt_u32_e32 vcc, 1, v25
	s_nop 0
	v_mov_b32_dpp v26, v24 row_shr:2 row_mask:0xf bank_mask:0xf
	v_cndmask_b32_e32 v26, 0, v26, vcc
	v_add_u32_e32 v24, v24, v26
	v_cmp_lt_u32_e32 vcc, 3, v25
	s_nop 0
	v_mov_b32_dpp v26, v24 row_shr:4 row_mask:0xf bank_mask:0xf
	v_cndmask_b32_e32 v25, 0, v26, vcc
	v_add_u32_e32 v24, v24, v25
	ds_write_b32 v23, v24
.LBB563_171:
	s_or_b64 exec, exec, s[16:17]
	v_cmp_gt_u32_e32 vcc, 64, v0
	v_cmp_lt_u32_e64 s[16:17], 63, v0
	s_waitcnt lgkmcnt(0)
	s_barrier
                                        ; implicit-def: $vgpr32
	s_and_saveexec_b64 s[20:21], s[16:17]
	s_cbranch_execz .LBB563_173
; %bb.172:
	v_lshl_add_u32 v23, v44, 2, -4
	ds_read_b32 v32, v23
	s_waitcnt lgkmcnt(0)
	v_add_u32_e32 v22, v32, v22
.LBB563_173:
	s_or_b64 exec, exec, s[20:21]
	v_subrev_co_u32_e64 v23, s[16:17], 1, v43
	v_and_b32_e32 v24, 64, v43
	v_cmp_lt_i32_e64 s[20:21], v23, v24
	s_nop 1
	v_cndmask_b32_e64 v23, v23, v43, s[20:21]
	v_lshlrev_b32_e32 v23, 2, v23
	ds_bpermute_b32 v34, v23, v22
	s_and_saveexec_b64 s[20:21], vcc
	s_cbranch_execz .LBB563_193
; %bb.174:
	v_mov_b32_e32 v29, 0
	ds_read_b32 v22, v29 offset:28
	s_and_saveexec_b64 s[30:31], s[16:17]
	s_cbranch_execz .LBB563_176
; %bb.175:
	s_add_i32 s36, s2, 64
	s_mov_b32 s37, 0
	s_lshl_b64 s[36:37], s[36:37], 3
	s_add_u32 s36, s22, s36
	v_mov_b32_e32 v23, 1
	s_addc_u32 s37, s23, s37
	s_waitcnt lgkmcnt(0)
	global_store_dwordx2 v29, v[22:23], s[36:37] sc1
.LBB563_176:
	s_or_b64 exec, exec, s[30:31]
	v_xad_u32 v24, v43, -1, s2
	v_add_u32_e32 v28, 64, v24
	v_lshl_add_u64 v[30:31], v[28:29], 3, s[22:23]
	global_load_dwordx2 v[26:27], v[30:31], off sc1
	s_waitcnt vmcnt(0)
	v_cmp_eq_u16_sdwa s[36:37], v27, v29 src0_sel:BYTE_0 src1_sel:DWORD
	s_and_saveexec_b64 s[30:31], s[36:37]
	s_cbranch_execz .LBB563_180
; %bb.177:
	s_mov_b64 s[36:37], 0
	v_mov_b32_e32 v23, 0
.LBB563_178:                            ; =>This Inner Loop Header: Depth=1
	global_load_dwordx2 v[26:27], v[30:31], off sc1
	s_waitcnt vmcnt(0)
	v_cmp_ne_u16_sdwa s[38:39], v27, v23 src0_sel:BYTE_0 src1_sel:DWORD
	s_or_b64 s[36:37], s[38:39], s[36:37]
	s_andn2_b64 exec, exec, s[36:37]
	s_cbranch_execnz .LBB563_178
; %bb.179:
	s_or_b64 exec, exec, s[36:37]
.LBB563_180:
	s_or_b64 exec, exec, s[30:31]
	v_and_b32_e32 v38, 63, v43
	v_mov_b32_e32 v36, 2
	v_cmp_ne_u32_e32 vcc, 63, v38
	v_cmp_eq_u16_sdwa s[30:31], v27, v36 src0_sel:BYTE_0 src1_sel:DWORD
	v_lshlrev_b64 v[28:29], v43, -1
	v_addc_co_u32_e32 v30, vcc, 0, v43, vcc
	v_and_b32_e32 v23, s31, v29
	v_lshlrev_b32_e32 v46, 2, v30
	v_or_b32_e32 v23, 0x80000000, v23
	ds_bpermute_b32 v30, v46, v26
	v_and_b32_e32 v25, s30, v28
	v_ffbl_b32_e32 v23, v23
	v_add_u32_e32 v23, 32, v23
	v_ffbl_b32_e32 v25, v25
	v_min_u32_e32 v23, v25, v23
	v_cmp_lt_u32_e32 vcc, v38, v23
	v_add_u32_e32 v48, 2, v38
	v_add_u32_e32 v50, 4, v38
	s_waitcnt lgkmcnt(0)
	v_cndmask_b32_e32 v25, 0, v30, vcc
	v_cmp_gt_u32_e32 vcc, 62, v38
	v_add_u32_e32 v25, v25, v26
	v_add_u32_e32 v52, 8, v38
	v_cndmask_b32_e64 v26, 0, 2, vcc
	v_add_lshl_u32 v47, v26, v43, 2
	ds_bpermute_b32 v26, v47, v25
	v_cmp_le_u32_e32 vcc, v48, v23
	v_add_u32_e32 v54, 16, v38
	v_add_u32_e32 v56, 32, v38
	s_waitcnt lgkmcnt(0)
	v_cndmask_b32_e32 v26, 0, v26, vcc
	v_cmp_gt_u32_e32 vcc, 60, v38
	v_add_u32_e32 v25, v25, v26
	s_nop 0
	v_cndmask_b32_e64 v26, 0, 4, vcc
	v_add_lshl_u32 v49, v26, v43, 2
	ds_bpermute_b32 v26, v49, v25
	v_cmp_le_u32_e32 vcc, v50, v23
	s_waitcnt lgkmcnt(0)
	s_nop 0
	v_cndmask_b32_e32 v26, 0, v26, vcc
	v_cmp_gt_u32_e32 vcc, 56, v38
	v_add_u32_e32 v25, v25, v26
	s_nop 0
	v_cndmask_b32_e64 v26, 0, 8, vcc
	v_add_lshl_u32 v51, v26, v43, 2
	ds_bpermute_b32 v26, v51, v25
	v_cmp_le_u32_e32 vcc, v52, v23
	s_waitcnt lgkmcnt(0)
	s_nop 0
	;; [unrolled: 10-line block ×3, first 2 shown]
	v_cndmask_b32_e32 v26, 0, v26, vcc
	v_add_u32_e32 v25, v25, v26
	v_mov_b32_e32 v26, 0x80
	v_lshl_or_b32 v55, v43, 2, v26
	ds_bpermute_b32 v26, v55, v25
	v_cmp_le_u32_e32 vcc, v56, v23
	s_waitcnt lgkmcnt(0)
	s_nop 0
	v_cndmask_b32_e32 v23, 0, v26, vcc
	v_add_u32_e32 v26, v25, v23
	v_mov_b32_e32 v25, 0
	s_branch .LBB563_183
.LBB563_181:                            ;   in Loop: Header=BB563_183 Depth=1
	s_or_b64 exec, exec, s[30:31]
	v_cmp_eq_u16_sdwa s[30:31], v27, v36 src0_sel:BYTE_0 src1_sel:DWORD
	ds_bpermute_b32 v57, v46, v26
	v_subrev_u32_e32 v24, 64, v24
	v_and_b32_e32 v30, s31, v29
	v_or_b32_e32 v30, 0x80000000, v30
	v_and_b32_e32 v31, s30, v28
	v_ffbl_b32_e32 v30, v30
	v_add_u32_e32 v30, 32, v30
	v_ffbl_b32_e32 v31, v31
	v_min_u32_e32 v30, v31, v30
	v_cmp_lt_u32_e32 vcc, v38, v30
	s_mov_b64 s[30:31], 0
	s_waitcnt lgkmcnt(0)
	v_cndmask_b32_e32 v31, 0, v57, vcc
	v_add_u32_e32 v26, v31, v26
	ds_bpermute_b32 v31, v47, v26
	v_cmp_le_u32_e32 vcc, v48, v30
	s_waitcnt lgkmcnt(0)
	s_nop 0
	v_cndmask_b32_e32 v31, 0, v31, vcc
	v_add_u32_e32 v26, v26, v31
	ds_bpermute_b32 v31, v49, v26
	v_cmp_le_u32_e32 vcc, v50, v30
	s_waitcnt lgkmcnt(0)
	s_nop 0
	;; [unrolled: 6-line block ×5, first 2 shown]
	v_cndmask_b32_e32 v30, 0, v31, vcc
	v_add3_u32 v26, v30, v23, v26
.LBB563_182:                            ;   in Loop: Header=BB563_183 Depth=1
	s_and_b64 vcc, exec, s[30:31]
	s_cbranch_vccnz .LBB563_189
.LBB563_183:                            ; =>This Loop Header: Depth=1
                                        ;     Child Loop BB563_186 Depth 2
	v_cmp_ne_u16_sdwa s[30:31], v27, v36 src0_sel:BYTE_0 src1_sel:DWORD
	v_mov_b32_e32 v23, v26
	s_cmp_lg_u64 s[30:31], exec
	s_mov_b64 s[30:31], -1
                                        ; implicit-def: $vgpr26
                                        ; implicit-def: $vgpr27
	s_cbranch_scc1 .LBB563_182
; %bb.184:                              ;   in Loop: Header=BB563_183 Depth=1
	v_lshl_add_u64 v[30:31], v[24:25], 3, s[22:23]
	global_load_dwordx2 v[26:27], v[30:31], off sc1
	s_waitcnt vmcnt(0)
	v_cmp_eq_u16_sdwa s[36:37], v27, v25 src0_sel:BYTE_0 src1_sel:DWORD
	s_and_saveexec_b64 s[30:31], s[36:37]
	s_cbranch_execz .LBB563_181
; %bb.185:                              ;   in Loop: Header=BB563_183 Depth=1
	s_mov_b64 s[36:37], 0
.LBB563_186:                            ;   Parent Loop BB563_183 Depth=1
                                        ; =>  This Inner Loop Header: Depth=2
	global_load_dwordx2 v[26:27], v[30:31], off sc1
	s_waitcnt vmcnt(0)
	v_cmp_ne_u16_sdwa s[38:39], v27, v25 src0_sel:BYTE_0 src1_sel:DWORD
	s_or_b64 s[36:37], s[38:39], s[36:37]
	s_andn2_b64 exec, exec, s[36:37]
	s_cbranch_execnz .LBB563_186
; %bb.187:                              ;   in Loop: Header=BB563_183 Depth=1
	s_or_b64 exec, exec, s[36:37]
	s_branch .LBB563_181
.LBB563_188:
                                        ; implicit-def: $vgpr26
                                        ; implicit-def: $vgpr28
                                        ; implicit-def: $vgpr30
                                        ; implicit-def: $vgpr32
                                        ; implicit-def: $vgpr34
                                        ; implicit-def: $vgpr36
                                        ; implicit-def: $vgpr38
                                        ; implicit-def: $vgpr24
                                        ; implicit-def: $vgpr22
	s_load_dwordx2 s[2:3], s[0:1], 0x28
	s_cbranch_execnz .LBB563_194
	s_branch .LBB563_203
.LBB563_189:
	s_and_saveexec_b64 s[30:31], s[16:17]
	s_cbranch_execz .LBB563_191
; %bb.190:
	s_add_i32 s2, s2, 64
	s_mov_b32 s3, 0
	s_lshl_b64 s[2:3], s[2:3], 3
	s_add_u32 s2, s22, s2
	v_add_u32_e32 v24, v23, v22
	v_mov_b32_e32 v25, 2
	s_addc_u32 s3, s23, s3
	v_mov_b32_e32 v26, 0
	global_store_dwordx2 v26, v[24:25], s[2:3] sc1
	ds_write_b64 v26, v[22:23] offset:28672
.LBB563_191:
	s_or_b64 exec, exec, s[30:31]
	v_cmp_eq_u32_e32 vcc, 0, v0
	s_and_b64 exec, exec, vcc
; %bb.192:
	v_mov_b32_e32 v22, 0
	ds_write_b32 v22, v23 offset:28
.LBB563_193:
	s_or_b64 exec, exec, s[20:21]
	v_mov_b32_e32 v22, 0
	s_waitcnt lgkmcnt(0)
	s_barrier
	ds_read_b32 v23, v22 offset:28
	v_cndmask_b32_e64 v24, v34, v32, s[16:17]
	v_cmp_ne_u32_e32 vcc, 0, v0
	s_waitcnt lgkmcnt(0)
	s_barrier
	v_cndmask_b32_e32 v24, 0, v24, vcc
	v_add_u32_e32 v38, v23, v24
	v_add_u32_e32 v36, v38, v1
	ds_read_b64 v[22:23], v22 offset:28672
	v_add_u32_e32 v34, v36, v21
	v_add_u32_e32 v32, v34, v33
	v_add_u32_e32 v30, v32, v35
	v_add_u32_e32 v28, v30, v37
	v_add_u32_e32 v26, v28, v39
	s_waitcnt lgkmcnt(0)
	v_mov_b32_e32 v24, v23
	s_load_dwordx2 s[2:3], s[0:1], 0x28
	s_branch .LBB563_203
.LBB563_194:
	v_mov_b32_dpp v22, v45 row_shr:1 row_mask:0xf bank_mask:0xf
	v_cndmask_b32_e64 v22, v22, 0, s[14:15]
	v_add_u32_e32 v22, v22, v45
	s_nop 1
	v_mov_b32_dpp v23, v22 row_shr:2 row_mask:0xf bank_mask:0xf
	v_cndmask_b32_e64 v23, 0, v23, s[12:13]
	v_add_u32_e32 v22, v22, v23
	s_nop 1
	v_mov_b32_dpp v23, v22 row_shr:4 row_mask:0xf bank_mask:0xf
	v_cndmask_b32_e64 v23, 0, v23, s[10:11]
	v_add_u32_e32 v22, v22, v23
	s_nop 1
	v_mov_b32_dpp v23, v22 row_shr:8 row_mask:0xf bank_mask:0xf
	v_cndmask_b32_e64 v23, 0, v23, s[8:9]
	v_add_u32_e32 v22, v22, v23
	s_nop 1
	v_mov_b32_dpp v23, v22 row_bcast:15 row_mask:0xf bank_mask:0xf
	v_cndmask_b32_e64 v23, v23, 0, s[6:7]
	v_add_u32_e32 v22, v22, v23
	s_nop 1
	v_mov_b32_dpp v23, v22 row_bcast:31 row_mask:0xf bank_mask:0xf
	v_cndmask_b32_e64 v23, 0, v23, s[18:19]
	v_add_u32_e32 v22, v22, v23
	s_and_saveexec_b64 s[0:1], s[4:5]
; %bb.195:
	v_lshlrev_b32_e32 v23, 2, v44
	ds_write_b32 v23, v22
; %bb.196:
	s_or_b64 exec, exec, s[0:1]
	v_cmp_gt_u32_e32 vcc, 8, v0
	s_waitcnt lgkmcnt(0)
	s_barrier
	s_and_saveexec_b64 s[0:1], vcc
	s_cbranch_execz .LBB563_198
; %bb.197:
	v_lshlrev_b32_e32 v23, 2, v0
	ds_read_b32 v24, v23
	v_and_b32_e32 v25, 7, v43
	v_cmp_ne_u32_e32 vcc, 0, v25
	s_waitcnt lgkmcnt(0)
	v_mov_b32_dpp v26, v24 row_shr:1 row_mask:0xf bank_mask:0xf
	v_cndmask_b32_e32 v26, 0, v26, vcc
	v_add_u32_e32 v24, v26, v24
	v_cmp_lt_u32_e32 vcc, 1, v25
	s_nop 0
	v_mov_b32_dpp v26, v24 row_shr:2 row_mask:0xf bank_mask:0xf
	v_cndmask_b32_e32 v26, 0, v26, vcc
	v_add_u32_e32 v24, v24, v26
	v_cmp_lt_u32_e32 vcc, 3, v25
	s_nop 0
	v_mov_b32_dpp v26, v24 row_shr:4 row_mask:0xf bank_mask:0xf
	v_cndmask_b32_e32 v25, 0, v26, vcc
	v_add_u32_e32 v24, v24, v25
	ds_write_b32 v23, v24
.LBB563_198:
	s_or_b64 exec, exec, s[0:1]
	v_cmp_lt_u32_e32 vcc, 63, v0
	v_mov_b32_e32 v23, 0
	v_mov_b32_e32 v24, 0
	s_waitcnt lgkmcnt(0)
	s_barrier
	s_and_saveexec_b64 s[0:1], vcc
; %bb.199:
	v_lshl_add_u32 v24, v44, 2, -4
	ds_read_b32 v24, v24
; %bb.200:
	s_or_b64 exec, exec, s[0:1]
	v_subrev_co_u32_e32 v25, vcc, 1, v43
	v_and_b32_e32 v26, 64, v43
	v_cmp_lt_i32_e64 s[0:1], v25, v26
	s_waitcnt lgkmcnt(0)
	v_add_u32_e32 v22, v24, v22
	v_cndmask_b32_e64 v25, v25, v43, s[0:1]
	v_lshlrev_b32_e32 v25, 2, v25
	ds_bpermute_b32 v25, v25, v22
	ds_read_b32 v22, v23 offset:28
	v_cmp_eq_u32_e64 s[0:1], 0, v0
	s_and_saveexec_b64 s[4:5], s[0:1]
	s_cbranch_execz .LBB563_202
; %bb.201:
	v_mov_b32_e32 v26, 0
	v_mov_b32_e32 v23, 2
	s_waitcnt lgkmcnt(0)
	global_store_dwordx2 v26, v[22:23], s[22:23] offset:512 sc1
.LBB563_202:
	s_or_b64 exec, exec, s[4:5]
	s_waitcnt lgkmcnt(1)
	v_cndmask_b32_e32 v23, v25, v24, vcc
	v_cndmask_b32_e64 v38, v23, 0, s[0:1]
	v_add_u32_e32 v36, v38, v1
	v_add_u32_e32 v34, v36, v21
	;; [unrolled: 1-line block ×6, first 2 shown]
	s_waitcnt lgkmcnt(0)
	s_barrier
	v_mov_b32_e32 v24, 0
.LBB563_203:
	s_movk_i32 s0, 0x201
	v_cmp_gt_u32_e32 vcc, s0, v22
	v_and_b32_e32 v1, 1, v16
	s_mov_b64 s[4:5], -1
	v_cmp_eq_u32_e64 s[0:1], 1, v1
	s_cbranch_vccnz .LBB563_207
; %bb.204:
	s_and_b64 vcc, exec, s[4:5]
	s_cbranch_vccnz .LBB563_222
.LBB563_205:
	v_cmp_eq_u32_e32 vcc, 0, v0
	s_and_b64 s[0:1], vcc, s[28:29]
	s_waitcnt lgkmcnt(0)
	s_and_saveexec_b64 s[2:3], s[0:1]
	s_cbranch_execnz .LBB563_239
.LBB563_206:
	s_endpgm
.LBB563_207:
	v_add_u32_e32 v16, v24, v22
	v_cmp_lt_u32_e32 vcc, v38, v16
	s_or_b64 s[4:5], s[34:35], vcc
	s_and_b64 s[4:5], s[4:5], s[0:1]
	s_and_saveexec_b64 s[0:1], s[4:5]
	s_cbranch_execz .LBB563_209
; %bb.208:
	s_lshl_b64 s[4:5], s[26:27], 3
	s_waitcnt lgkmcnt(0)
	s_add_u32 s4, s2, s4
	s_addc_u32 s5, s3, s5
	v_mov_b32_e32 v39, 0
	v_lshl_add_u64 v[44:45], v[38:39], 3, s[4:5]
	global_store_dwordx2 v[44:45], v[10:11], off
.LBB563_209:
	s_or_b64 exec, exec, s[0:1]
	v_cmp_lt_u32_e32 vcc, v36, v16
	v_and_b32_e32 v21, 1, v42
	s_or_b64 s[0:1], s[34:35], vcc
	v_cmp_eq_u32_e32 vcc, 1, v21
	s_and_b64 s[4:5], s[0:1], vcc
	s_and_saveexec_b64 s[0:1], s[4:5]
	s_cbranch_execz .LBB563_211
; %bb.210:
	s_lshl_b64 s[4:5], s[26:27], 3
	s_waitcnt lgkmcnt(0)
	s_add_u32 s4, s2, s4
	s_addc_u32 s5, s3, s5
	v_mov_b32_e32 v37, 0
	v_lshl_add_u64 v[44:45], v[36:37], 3, s[4:5]
	global_store_dwordx2 v[44:45], v[12:13], off
.LBB563_211:
	s_or_b64 exec, exec, s[0:1]
	v_cmp_lt_u32_e32 vcc, v34, v16
	v_and_b32_e32 v21, 1, v41
	s_or_b64 s[0:1], s[34:35], vcc
	v_cmp_eq_u32_e32 vcc, 1, v21
	s_and_b64 s[4:5], s[0:1], vcc
	;; [unrolled: 17-line block ×6, first 2 shown]
	s_and_saveexec_b64 s[0:1], s[4:5]
	s_cbranch_execz .LBB563_221
; %bb.220:
	s_lshl_b64 s[4:5], s[26:27], 3
	s_waitcnt lgkmcnt(0)
	s_add_u32 s4, s2, s4
	s_addc_u32 s5, s3, s5
	v_mov_b32_e32 v27, 0
	v_lshl_add_u64 v[44:45], v[26:27], 3, s[4:5]
	global_store_dwordx2 v[44:45], v[14:15], off
.LBB563_221:
	s_or_b64 exec, exec, s[0:1]
	s_branch .LBB563_205
.LBB563_222:
	v_cmp_eq_u32_e32 vcc, 1, v1
	s_and_saveexec_b64 s[0:1], vcc
; %bb.223:
	v_sub_u32_e32 v1, v38, v24
	v_lshlrev_b32_e32 v1, 3, v1
	ds_write_b64 v1, v[10:11]
; %bb.224:
	s_or_b64 exec, exec, s[0:1]
	v_and_b32_e32 v1, 1, v42
	v_cmp_eq_u32_e32 vcc, 1, v1
	s_and_saveexec_b64 s[0:1], vcc
; %bb.225:
	v_sub_u32_e32 v1, v36, v24
	v_lshlrev_b32_e32 v1, 3, v1
	ds_write_b64 v1, v[12:13]
; %bb.226:
	s_or_b64 exec, exec, s[0:1]
	v_and_b32_e32 v1, 1, v41
	;; [unrolled: 9-line block ×6, first 2 shown]
	v_cmp_eq_u32_e32 vcc, 1, v1
	s_and_saveexec_b64 s[0:1], vcc
; %bb.235:
	v_sub_u32_e32 v1, v26, v24
	v_lshlrev_b32_e32 v1, 3, v1
	ds_write_b64 v1, v[14:15]
; %bb.236:
	s_or_b64 exec, exec, s[0:1]
	v_mov_b32_e32 v25, 0
	s_lshl_b64 s[0:1], s[26:27], 3
	v_lshlrev_b64 v[2:3], 3, v[24:25]
	v_lshl_add_u64 v[2:3], s[0:1], 0, v[2:3]
	v_mov_b32_e32 v19, v25
	s_waitcnt lgkmcnt(0)
	v_lshl_add_u64 v[2:3], s[2:3], 0, v[2:3]
	v_lshl_add_u64 v[2:3], v[2:3], 0, v[18:19]
	s_mov_b64 s[0:1], 0
	s_mov_b64 s[2:3], 0x1000
	v_mov_b32_e32 v1, v0
	s_barrier
.LBB563_237:                            ; =>This Inner Loop Header: Depth=1
	ds_read_b64 v[4:5], v18
	v_add_u32_e32 v1, 0x200, v1
	v_cmp_ge_u32_e32 vcc, v1, v22
	v_add_u32_e32 v18, 0x1000, v18
	s_or_b64 s[0:1], vcc, s[0:1]
	s_waitcnt lgkmcnt(0)
	global_store_dwordx2 v[2:3], v[4:5], off
	v_lshl_add_u64 v[2:3], v[2:3], 0, s[2:3]
	s_andn2_b64 exec, exec, s[0:1]
	s_cbranch_execnz .LBB563_237
; %bb.238:
	s_or_b64 exec, exec, s[0:1]
	v_cmp_eq_u32_e32 vcc, 0, v0
	s_and_b64 s[0:1], vcc, s[28:29]
	s_and_saveexec_b64 s[2:3], s[0:1]
	s_cbranch_execz .LBB563_206
.LBB563_239:
	v_mov_b32_e32 v23, 0
	v_lshl_add_u64 v[0:1], s[26:27], 0, v[22:23]
	v_mov_b32_e32 v25, v23
	v_lshl_add_u64 v[0:1], v[0:1], 0, v[24:25]
	global_store_dwordx2 v23, v[0:1], s[24:25]
	s_endpgm
	.section	.rodata,"a",@progbits
	.p2align	6, 0x0
	.amdhsa_kernel _ZN7rocprim17ROCPRIM_400000_NS6detail17trampoline_kernelINS0_14default_configENS1_25partition_config_selectorILNS1_17partition_subalgoE8ElNS0_10empty_typeEbEEZZNS1_14partition_implILS5_8ELb0ES3_jPlPS6_PKS6_NS0_5tupleIJS9_S6_EEENSD_IJSA_SA_EEENS0_18inequality_wrapperIZN2at6native12_GLOBAL__N_124unique_dim_cuda_templateIlEESt5tupleIJNSH_6TensorESM_SM_EERKSM_lbbbEUlllE0_EEPmJS6_EEE10hipError_tPvRmT3_T4_T5_T6_T7_T9_mT8_P12ihipStream_tbDpT10_ENKUlT_T0_E_clISt17integral_constantIbLb0EES1C_EEDaS17_S18_EUlS17_E_NS1_11comp_targetILNS1_3genE0ELNS1_11target_archE4294967295ELNS1_3gpuE0ELNS1_3repE0EEENS1_30default_config_static_selectorELNS0_4arch9wavefront6targetE1EEEvT1_
		.amdhsa_group_segment_fixed_size 28680
		.amdhsa_private_segment_fixed_size 0
		.amdhsa_kernarg_size 120
		.amdhsa_user_sgpr_count 2
		.amdhsa_user_sgpr_dispatch_ptr 0
		.amdhsa_user_sgpr_queue_ptr 0
		.amdhsa_user_sgpr_kernarg_segment_ptr 1
		.amdhsa_user_sgpr_dispatch_id 0
		.amdhsa_user_sgpr_kernarg_preload_length 0
		.amdhsa_user_sgpr_kernarg_preload_offset 0
		.amdhsa_user_sgpr_private_segment_size 0
		.amdhsa_uses_dynamic_stack 0
		.amdhsa_enable_private_segment 0
		.amdhsa_system_sgpr_workgroup_id_x 1
		.amdhsa_system_sgpr_workgroup_id_y 0
		.amdhsa_system_sgpr_workgroup_id_z 0
		.amdhsa_system_sgpr_workgroup_info 0
		.amdhsa_system_vgpr_workitem_id 0
		.amdhsa_next_free_vgpr 58
		.amdhsa_next_free_sgpr 50
		.amdhsa_accum_offset 60
		.amdhsa_reserve_vcc 1
		.amdhsa_float_round_mode_32 0
		.amdhsa_float_round_mode_16_64 0
		.amdhsa_float_denorm_mode_32 3
		.amdhsa_float_denorm_mode_16_64 3
		.amdhsa_dx10_clamp 1
		.amdhsa_ieee_mode 1
		.amdhsa_fp16_overflow 0
		.amdhsa_tg_split 0
		.amdhsa_exception_fp_ieee_invalid_op 0
		.amdhsa_exception_fp_denorm_src 0
		.amdhsa_exception_fp_ieee_div_zero 0
		.amdhsa_exception_fp_ieee_overflow 0
		.amdhsa_exception_fp_ieee_underflow 0
		.amdhsa_exception_fp_ieee_inexact 0
		.amdhsa_exception_int_div_zero 0
	.end_amdhsa_kernel
	.section	.text._ZN7rocprim17ROCPRIM_400000_NS6detail17trampoline_kernelINS0_14default_configENS1_25partition_config_selectorILNS1_17partition_subalgoE8ElNS0_10empty_typeEbEEZZNS1_14partition_implILS5_8ELb0ES3_jPlPS6_PKS6_NS0_5tupleIJS9_S6_EEENSD_IJSA_SA_EEENS0_18inequality_wrapperIZN2at6native12_GLOBAL__N_124unique_dim_cuda_templateIlEESt5tupleIJNSH_6TensorESM_SM_EERKSM_lbbbEUlllE0_EEPmJS6_EEE10hipError_tPvRmT3_T4_T5_T6_T7_T9_mT8_P12ihipStream_tbDpT10_ENKUlT_T0_E_clISt17integral_constantIbLb0EES1C_EEDaS17_S18_EUlS17_E_NS1_11comp_targetILNS1_3genE0ELNS1_11target_archE4294967295ELNS1_3gpuE0ELNS1_3repE0EEENS1_30default_config_static_selectorELNS0_4arch9wavefront6targetE1EEEvT1_,"axG",@progbits,_ZN7rocprim17ROCPRIM_400000_NS6detail17trampoline_kernelINS0_14default_configENS1_25partition_config_selectorILNS1_17partition_subalgoE8ElNS0_10empty_typeEbEEZZNS1_14partition_implILS5_8ELb0ES3_jPlPS6_PKS6_NS0_5tupleIJS9_S6_EEENSD_IJSA_SA_EEENS0_18inequality_wrapperIZN2at6native12_GLOBAL__N_124unique_dim_cuda_templateIlEESt5tupleIJNSH_6TensorESM_SM_EERKSM_lbbbEUlllE0_EEPmJS6_EEE10hipError_tPvRmT3_T4_T5_T6_T7_T9_mT8_P12ihipStream_tbDpT10_ENKUlT_T0_E_clISt17integral_constantIbLb0EES1C_EEDaS17_S18_EUlS17_E_NS1_11comp_targetILNS1_3genE0ELNS1_11target_archE4294967295ELNS1_3gpuE0ELNS1_3repE0EEENS1_30default_config_static_selectorELNS0_4arch9wavefront6targetE1EEEvT1_,comdat
.Lfunc_end563:
	.size	_ZN7rocprim17ROCPRIM_400000_NS6detail17trampoline_kernelINS0_14default_configENS1_25partition_config_selectorILNS1_17partition_subalgoE8ElNS0_10empty_typeEbEEZZNS1_14partition_implILS5_8ELb0ES3_jPlPS6_PKS6_NS0_5tupleIJS9_S6_EEENSD_IJSA_SA_EEENS0_18inequality_wrapperIZN2at6native12_GLOBAL__N_124unique_dim_cuda_templateIlEESt5tupleIJNSH_6TensorESM_SM_EERKSM_lbbbEUlllE0_EEPmJS6_EEE10hipError_tPvRmT3_T4_T5_T6_T7_T9_mT8_P12ihipStream_tbDpT10_ENKUlT_T0_E_clISt17integral_constantIbLb0EES1C_EEDaS17_S18_EUlS17_E_NS1_11comp_targetILNS1_3genE0ELNS1_11target_archE4294967295ELNS1_3gpuE0ELNS1_3repE0EEENS1_30default_config_static_selectorELNS0_4arch9wavefront6targetE1EEEvT1_, .Lfunc_end563-_ZN7rocprim17ROCPRIM_400000_NS6detail17trampoline_kernelINS0_14default_configENS1_25partition_config_selectorILNS1_17partition_subalgoE8ElNS0_10empty_typeEbEEZZNS1_14partition_implILS5_8ELb0ES3_jPlPS6_PKS6_NS0_5tupleIJS9_S6_EEENSD_IJSA_SA_EEENS0_18inequality_wrapperIZN2at6native12_GLOBAL__N_124unique_dim_cuda_templateIlEESt5tupleIJNSH_6TensorESM_SM_EERKSM_lbbbEUlllE0_EEPmJS6_EEE10hipError_tPvRmT3_T4_T5_T6_T7_T9_mT8_P12ihipStream_tbDpT10_ENKUlT_T0_E_clISt17integral_constantIbLb0EES1C_EEDaS17_S18_EUlS17_E_NS1_11comp_targetILNS1_3genE0ELNS1_11target_archE4294967295ELNS1_3gpuE0ELNS1_3repE0EEENS1_30default_config_static_selectorELNS0_4arch9wavefront6targetE1EEEvT1_
                                        ; -- End function
	.set _ZN7rocprim17ROCPRIM_400000_NS6detail17trampoline_kernelINS0_14default_configENS1_25partition_config_selectorILNS1_17partition_subalgoE8ElNS0_10empty_typeEbEEZZNS1_14partition_implILS5_8ELb0ES3_jPlPS6_PKS6_NS0_5tupleIJS9_S6_EEENSD_IJSA_SA_EEENS0_18inequality_wrapperIZN2at6native12_GLOBAL__N_124unique_dim_cuda_templateIlEESt5tupleIJNSH_6TensorESM_SM_EERKSM_lbbbEUlllE0_EEPmJS6_EEE10hipError_tPvRmT3_T4_T5_T6_T7_T9_mT8_P12ihipStream_tbDpT10_ENKUlT_T0_E_clISt17integral_constantIbLb0EES1C_EEDaS17_S18_EUlS17_E_NS1_11comp_targetILNS1_3genE0ELNS1_11target_archE4294967295ELNS1_3gpuE0ELNS1_3repE0EEENS1_30default_config_static_selectorELNS0_4arch9wavefront6targetE1EEEvT1_.num_vgpr, 58
	.set _ZN7rocprim17ROCPRIM_400000_NS6detail17trampoline_kernelINS0_14default_configENS1_25partition_config_selectorILNS1_17partition_subalgoE8ElNS0_10empty_typeEbEEZZNS1_14partition_implILS5_8ELb0ES3_jPlPS6_PKS6_NS0_5tupleIJS9_S6_EEENSD_IJSA_SA_EEENS0_18inequality_wrapperIZN2at6native12_GLOBAL__N_124unique_dim_cuda_templateIlEESt5tupleIJNSH_6TensorESM_SM_EERKSM_lbbbEUlllE0_EEPmJS6_EEE10hipError_tPvRmT3_T4_T5_T6_T7_T9_mT8_P12ihipStream_tbDpT10_ENKUlT_T0_E_clISt17integral_constantIbLb0EES1C_EEDaS17_S18_EUlS17_E_NS1_11comp_targetILNS1_3genE0ELNS1_11target_archE4294967295ELNS1_3gpuE0ELNS1_3repE0EEENS1_30default_config_static_selectorELNS0_4arch9wavefront6targetE1EEEvT1_.num_agpr, 0
	.set _ZN7rocprim17ROCPRIM_400000_NS6detail17trampoline_kernelINS0_14default_configENS1_25partition_config_selectorILNS1_17partition_subalgoE8ElNS0_10empty_typeEbEEZZNS1_14partition_implILS5_8ELb0ES3_jPlPS6_PKS6_NS0_5tupleIJS9_S6_EEENSD_IJSA_SA_EEENS0_18inequality_wrapperIZN2at6native12_GLOBAL__N_124unique_dim_cuda_templateIlEESt5tupleIJNSH_6TensorESM_SM_EERKSM_lbbbEUlllE0_EEPmJS6_EEE10hipError_tPvRmT3_T4_T5_T6_T7_T9_mT8_P12ihipStream_tbDpT10_ENKUlT_T0_E_clISt17integral_constantIbLb0EES1C_EEDaS17_S18_EUlS17_E_NS1_11comp_targetILNS1_3genE0ELNS1_11target_archE4294967295ELNS1_3gpuE0ELNS1_3repE0EEENS1_30default_config_static_selectorELNS0_4arch9wavefront6targetE1EEEvT1_.numbered_sgpr, 50
	.set _ZN7rocprim17ROCPRIM_400000_NS6detail17trampoline_kernelINS0_14default_configENS1_25partition_config_selectorILNS1_17partition_subalgoE8ElNS0_10empty_typeEbEEZZNS1_14partition_implILS5_8ELb0ES3_jPlPS6_PKS6_NS0_5tupleIJS9_S6_EEENSD_IJSA_SA_EEENS0_18inequality_wrapperIZN2at6native12_GLOBAL__N_124unique_dim_cuda_templateIlEESt5tupleIJNSH_6TensorESM_SM_EERKSM_lbbbEUlllE0_EEPmJS6_EEE10hipError_tPvRmT3_T4_T5_T6_T7_T9_mT8_P12ihipStream_tbDpT10_ENKUlT_T0_E_clISt17integral_constantIbLb0EES1C_EEDaS17_S18_EUlS17_E_NS1_11comp_targetILNS1_3genE0ELNS1_11target_archE4294967295ELNS1_3gpuE0ELNS1_3repE0EEENS1_30default_config_static_selectorELNS0_4arch9wavefront6targetE1EEEvT1_.num_named_barrier, 0
	.set _ZN7rocprim17ROCPRIM_400000_NS6detail17trampoline_kernelINS0_14default_configENS1_25partition_config_selectorILNS1_17partition_subalgoE8ElNS0_10empty_typeEbEEZZNS1_14partition_implILS5_8ELb0ES3_jPlPS6_PKS6_NS0_5tupleIJS9_S6_EEENSD_IJSA_SA_EEENS0_18inequality_wrapperIZN2at6native12_GLOBAL__N_124unique_dim_cuda_templateIlEESt5tupleIJNSH_6TensorESM_SM_EERKSM_lbbbEUlllE0_EEPmJS6_EEE10hipError_tPvRmT3_T4_T5_T6_T7_T9_mT8_P12ihipStream_tbDpT10_ENKUlT_T0_E_clISt17integral_constantIbLb0EES1C_EEDaS17_S18_EUlS17_E_NS1_11comp_targetILNS1_3genE0ELNS1_11target_archE4294967295ELNS1_3gpuE0ELNS1_3repE0EEENS1_30default_config_static_selectorELNS0_4arch9wavefront6targetE1EEEvT1_.private_seg_size, 0
	.set _ZN7rocprim17ROCPRIM_400000_NS6detail17trampoline_kernelINS0_14default_configENS1_25partition_config_selectorILNS1_17partition_subalgoE8ElNS0_10empty_typeEbEEZZNS1_14partition_implILS5_8ELb0ES3_jPlPS6_PKS6_NS0_5tupleIJS9_S6_EEENSD_IJSA_SA_EEENS0_18inequality_wrapperIZN2at6native12_GLOBAL__N_124unique_dim_cuda_templateIlEESt5tupleIJNSH_6TensorESM_SM_EERKSM_lbbbEUlllE0_EEPmJS6_EEE10hipError_tPvRmT3_T4_T5_T6_T7_T9_mT8_P12ihipStream_tbDpT10_ENKUlT_T0_E_clISt17integral_constantIbLb0EES1C_EEDaS17_S18_EUlS17_E_NS1_11comp_targetILNS1_3genE0ELNS1_11target_archE4294967295ELNS1_3gpuE0ELNS1_3repE0EEENS1_30default_config_static_selectorELNS0_4arch9wavefront6targetE1EEEvT1_.uses_vcc, 1
	.set _ZN7rocprim17ROCPRIM_400000_NS6detail17trampoline_kernelINS0_14default_configENS1_25partition_config_selectorILNS1_17partition_subalgoE8ElNS0_10empty_typeEbEEZZNS1_14partition_implILS5_8ELb0ES3_jPlPS6_PKS6_NS0_5tupleIJS9_S6_EEENSD_IJSA_SA_EEENS0_18inequality_wrapperIZN2at6native12_GLOBAL__N_124unique_dim_cuda_templateIlEESt5tupleIJNSH_6TensorESM_SM_EERKSM_lbbbEUlllE0_EEPmJS6_EEE10hipError_tPvRmT3_T4_T5_T6_T7_T9_mT8_P12ihipStream_tbDpT10_ENKUlT_T0_E_clISt17integral_constantIbLb0EES1C_EEDaS17_S18_EUlS17_E_NS1_11comp_targetILNS1_3genE0ELNS1_11target_archE4294967295ELNS1_3gpuE0ELNS1_3repE0EEENS1_30default_config_static_selectorELNS0_4arch9wavefront6targetE1EEEvT1_.uses_flat_scratch, 0
	.set _ZN7rocprim17ROCPRIM_400000_NS6detail17trampoline_kernelINS0_14default_configENS1_25partition_config_selectorILNS1_17partition_subalgoE8ElNS0_10empty_typeEbEEZZNS1_14partition_implILS5_8ELb0ES3_jPlPS6_PKS6_NS0_5tupleIJS9_S6_EEENSD_IJSA_SA_EEENS0_18inequality_wrapperIZN2at6native12_GLOBAL__N_124unique_dim_cuda_templateIlEESt5tupleIJNSH_6TensorESM_SM_EERKSM_lbbbEUlllE0_EEPmJS6_EEE10hipError_tPvRmT3_T4_T5_T6_T7_T9_mT8_P12ihipStream_tbDpT10_ENKUlT_T0_E_clISt17integral_constantIbLb0EES1C_EEDaS17_S18_EUlS17_E_NS1_11comp_targetILNS1_3genE0ELNS1_11target_archE4294967295ELNS1_3gpuE0ELNS1_3repE0EEENS1_30default_config_static_selectorELNS0_4arch9wavefront6targetE1EEEvT1_.has_dyn_sized_stack, 0
	.set _ZN7rocprim17ROCPRIM_400000_NS6detail17trampoline_kernelINS0_14default_configENS1_25partition_config_selectorILNS1_17partition_subalgoE8ElNS0_10empty_typeEbEEZZNS1_14partition_implILS5_8ELb0ES3_jPlPS6_PKS6_NS0_5tupleIJS9_S6_EEENSD_IJSA_SA_EEENS0_18inequality_wrapperIZN2at6native12_GLOBAL__N_124unique_dim_cuda_templateIlEESt5tupleIJNSH_6TensorESM_SM_EERKSM_lbbbEUlllE0_EEPmJS6_EEE10hipError_tPvRmT3_T4_T5_T6_T7_T9_mT8_P12ihipStream_tbDpT10_ENKUlT_T0_E_clISt17integral_constantIbLb0EES1C_EEDaS17_S18_EUlS17_E_NS1_11comp_targetILNS1_3genE0ELNS1_11target_archE4294967295ELNS1_3gpuE0ELNS1_3repE0EEENS1_30default_config_static_selectorELNS0_4arch9wavefront6targetE1EEEvT1_.has_recursion, 0
	.set _ZN7rocprim17ROCPRIM_400000_NS6detail17trampoline_kernelINS0_14default_configENS1_25partition_config_selectorILNS1_17partition_subalgoE8ElNS0_10empty_typeEbEEZZNS1_14partition_implILS5_8ELb0ES3_jPlPS6_PKS6_NS0_5tupleIJS9_S6_EEENSD_IJSA_SA_EEENS0_18inequality_wrapperIZN2at6native12_GLOBAL__N_124unique_dim_cuda_templateIlEESt5tupleIJNSH_6TensorESM_SM_EERKSM_lbbbEUlllE0_EEPmJS6_EEE10hipError_tPvRmT3_T4_T5_T6_T7_T9_mT8_P12ihipStream_tbDpT10_ENKUlT_T0_E_clISt17integral_constantIbLb0EES1C_EEDaS17_S18_EUlS17_E_NS1_11comp_targetILNS1_3genE0ELNS1_11target_archE4294967295ELNS1_3gpuE0ELNS1_3repE0EEENS1_30default_config_static_selectorELNS0_4arch9wavefront6targetE1EEEvT1_.has_indirect_call, 0
	.section	.AMDGPU.csdata,"",@progbits
; Kernel info:
; codeLenInByte = 10796
; TotalNumSgprs: 56
; NumVgprs: 58
; NumAgprs: 0
; TotalNumVgprs: 58
; ScratchSize: 0
; MemoryBound: 0
; FloatMode: 240
; IeeeMode: 1
; LDSByteSize: 28680 bytes/workgroup (compile time only)
; SGPRBlocks: 6
; VGPRBlocks: 7
; NumSGPRsForWavesPerEU: 56
; NumVGPRsForWavesPerEU: 58
; AccumOffset: 60
; Occupancy: 8
; WaveLimiterHint : 1
; COMPUTE_PGM_RSRC2:SCRATCH_EN: 0
; COMPUTE_PGM_RSRC2:USER_SGPR: 2
; COMPUTE_PGM_RSRC2:TRAP_HANDLER: 0
; COMPUTE_PGM_RSRC2:TGID_X_EN: 1
; COMPUTE_PGM_RSRC2:TGID_Y_EN: 0
; COMPUTE_PGM_RSRC2:TGID_Z_EN: 0
; COMPUTE_PGM_RSRC2:TIDIG_COMP_CNT: 0
; COMPUTE_PGM_RSRC3_GFX90A:ACCUM_OFFSET: 14
; COMPUTE_PGM_RSRC3_GFX90A:TG_SPLIT: 0
	.section	.text._ZN7rocprim17ROCPRIM_400000_NS6detail17trampoline_kernelINS0_14default_configENS1_25partition_config_selectorILNS1_17partition_subalgoE8ElNS0_10empty_typeEbEEZZNS1_14partition_implILS5_8ELb0ES3_jPlPS6_PKS6_NS0_5tupleIJS9_S6_EEENSD_IJSA_SA_EEENS0_18inequality_wrapperIZN2at6native12_GLOBAL__N_124unique_dim_cuda_templateIlEESt5tupleIJNSH_6TensorESM_SM_EERKSM_lbbbEUlllE0_EEPmJS6_EEE10hipError_tPvRmT3_T4_T5_T6_T7_T9_mT8_P12ihipStream_tbDpT10_ENKUlT_T0_E_clISt17integral_constantIbLb0EES1C_EEDaS17_S18_EUlS17_E_NS1_11comp_targetILNS1_3genE5ELNS1_11target_archE942ELNS1_3gpuE9ELNS1_3repE0EEENS1_30default_config_static_selectorELNS0_4arch9wavefront6targetE1EEEvT1_,"axG",@progbits,_ZN7rocprim17ROCPRIM_400000_NS6detail17trampoline_kernelINS0_14default_configENS1_25partition_config_selectorILNS1_17partition_subalgoE8ElNS0_10empty_typeEbEEZZNS1_14partition_implILS5_8ELb0ES3_jPlPS6_PKS6_NS0_5tupleIJS9_S6_EEENSD_IJSA_SA_EEENS0_18inequality_wrapperIZN2at6native12_GLOBAL__N_124unique_dim_cuda_templateIlEESt5tupleIJNSH_6TensorESM_SM_EERKSM_lbbbEUlllE0_EEPmJS6_EEE10hipError_tPvRmT3_T4_T5_T6_T7_T9_mT8_P12ihipStream_tbDpT10_ENKUlT_T0_E_clISt17integral_constantIbLb0EES1C_EEDaS17_S18_EUlS17_E_NS1_11comp_targetILNS1_3genE5ELNS1_11target_archE942ELNS1_3gpuE9ELNS1_3repE0EEENS1_30default_config_static_selectorELNS0_4arch9wavefront6targetE1EEEvT1_,comdat
	.globl	_ZN7rocprim17ROCPRIM_400000_NS6detail17trampoline_kernelINS0_14default_configENS1_25partition_config_selectorILNS1_17partition_subalgoE8ElNS0_10empty_typeEbEEZZNS1_14partition_implILS5_8ELb0ES3_jPlPS6_PKS6_NS0_5tupleIJS9_S6_EEENSD_IJSA_SA_EEENS0_18inequality_wrapperIZN2at6native12_GLOBAL__N_124unique_dim_cuda_templateIlEESt5tupleIJNSH_6TensorESM_SM_EERKSM_lbbbEUlllE0_EEPmJS6_EEE10hipError_tPvRmT3_T4_T5_T6_T7_T9_mT8_P12ihipStream_tbDpT10_ENKUlT_T0_E_clISt17integral_constantIbLb0EES1C_EEDaS17_S18_EUlS17_E_NS1_11comp_targetILNS1_3genE5ELNS1_11target_archE942ELNS1_3gpuE9ELNS1_3repE0EEENS1_30default_config_static_selectorELNS0_4arch9wavefront6targetE1EEEvT1_ ; -- Begin function _ZN7rocprim17ROCPRIM_400000_NS6detail17trampoline_kernelINS0_14default_configENS1_25partition_config_selectorILNS1_17partition_subalgoE8ElNS0_10empty_typeEbEEZZNS1_14partition_implILS5_8ELb0ES3_jPlPS6_PKS6_NS0_5tupleIJS9_S6_EEENSD_IJSA_SA_EEENS0_18inequality_wrapperIZN2at6native12_GLOBAL__N_124unique_dim_cuda_templateIlEESt5tupleIJNSH_6TensorESM_SM_EERKSM_lbbbEUlllE0_EEPmJS6_EEE10hipError_tPvRmT3_T4_T5_T6_T7_T9_mT8_P12ihipStream_tbDpT10_ENKUlT_T0_E_clISt17integral_constantIbLb0EES1C_EEDaS17_S18_EUlS17_E_NS1_11comp_targetILNS1_3genE5ELNS1_11target_archE942ELNS1_3gpuE9ELNS1_3repE0EEENS1_30default_config_static_selectorELNS0_4arch9wavefront6targetE1EEEvT1_
	.p2align	8
	.type	_ZN7rocprim17ROCPRIM_400000_NS6detail17trampoline_kernelINS0_14default_configENS1_25partition_config_selectorILNS1_17partition_subalgoE8ElNS0_10empty_typeEbEEZZNS1_14partition_implILS5_8ELb0ES3_jPlPS6_PKS6_NS0_5tupleIJS9_S6_EEENSD_IJSA_SA_EEENS0_18inequality_wrapperIZN2at6native12_GLOBAL__N_124unique_dim_cuda_templateIlEESt5tupleIJNSH_6TensorESM_SM_EERKSM_lbbbEUlllE0_EEPmJS6_EEE10hipError_tPvRmT3_T4_T5_T6_T7_T9_mT8_P12ihipStream_tbDpT10_ENKUlT_T0_E_clISt17integral_constantIbLb0EES1C_EEDaS17_S18_EUlS17_E_NS1_11comp_targetILNS1_3genE5ELNS1_11target_archE942ELNS1_3gpuE9ELNS1_3repE0EEENS1_30default_config_static_selectorELNS0_4arch9wavefront6targetE1EEEvT1_,@function
_ZN7rocprim17ROCPRIM_400000_NS6detail17trampoline_kernelINS0_14default_configENS1_25partition_config_selectorILNS1_17partition_subalgoE8ElNS0_10empty_typeEbEEZZNS1_14partition_implILS5_8ELb0ES3_jPlPS6_PKS6_NS0_5tupleIJS9_S6_EEENSD_IJSA_SA_EEENS0_18inequality_wrapperIZN2at6native12_GLOBAL__N_124unique_dim_cuda_templateIlEESt5tupleIJNSH_6TensorESM_SM_EERKSM_lbbbEUlllE0_EEPmJS6_EEE10hipError_tPvRmT3_T4_T5_T6_T7_T9_mT8_P12ihipStream_tbDpT10_ENKUlT_T0_E_clISt17integral_constantIbLb0EES1C_EEDaS17_S18_EUlS17_E_NS1_11comp_targetILNS1_3genE5ELNS1_11target_archE942ELNS1_3gpuE9ELNS1_3repE0EEENS1_30default_config_static_selectorELNS0_4arch9wavefront6targetE1EEEvT1_: ; @_ZN7rocprim17ROCPRIM_400000_NS6detail17trampoline_kernelINS0_14default_configENS1_25partition_config_selectorILNS1_17partition_subalgoE8ElNS0_10empty_typeEbEEZZNS1_14partition_implILS5_8ELb0ES3_jPlPS6_PKS6_NS0_5tupleIJS9_S6_EEENSD_IJSA_SA_EEENS0_18inequality_wrapperIZN2at6native12_GLOBAL__N_124unique_dim_cuda_templateIlEESt5tupleIJNSH_6TensorESM_SM_EERKSM_lbbbEUlllE0_EEPmJS6_EEE10hipError_tPvRmT3_T4_T5_T6_T7_T9_mT8_P12ihipStream_tbDpT10_ENKUlT_T0_E_clISt17integral_constantIbLb0EES1C_EEDaS17_S18_EUlS17_E_NS1_11comp_targetILNS1_3genE5ELNS1_11target_archE942ELNS1_3gpuE9ELNS1_3repE0EEENS1_30default_config_static_selectorELNS0_4arch9wavefront6targetE1EEEvT1_
; %bb.0:
	.section	.rodata,"a",@progbits
	.p2align	6, 0x0
	.amdhsa_kernel _ZN7rocprim17ROCPRIM_400000_NS6detail17trampoline_kernelINS0_14default_configENS1_25partition_config_selectorILNS1_17partition_subalgoE8ElNS0_10empty_typeEbEEZZNS1_14partition_implILS5_8ELb0ES3_jPlPS6_PKS6_NS0_5tupleIJS9_S6_EEENSD_IJSA_SA_EEENS0_18inequality_wrapperIZN2at6native12_GLOBAL__N_124unique_dim_cuda_templateIlEESt5tupleIJNSH_6TensorESM_SM_EERKSM_lbbbEUlllE0_EEPmJS6_EEE10hipError_tPvRmT3_T4_T5_T6_T7_T9_mT8_P12ihipStream_tbDpT10_ENKUlT_T0_E_clISt17integral_constantIbLb0EES1C_EEDaS17_S18_EUlS17_E_NS1_11comp_targetILNS1_3genE5ELNS1_11target_archE942ELNS1_3gpuE9ELNS1_3repE0EEENS1_30default_config_static_selectorELNS0_4arch9wavefront6targetE1EEEvT1_
		.amdhsa_group_segment_fixed_size 0
		.amdhsa_private_segment_fixed_size 0
		.amdhsa_kernarg_size 120
		.amdhsa_user_sgpr_count 2
		.amdhsa_user_sgpr_dispatch_ptr 0
		.amdhsa_user_sgpr_queue_ptr 0
		.amdhsa_user_sgpr_kernarg_segment_ptr 1
		.amdhsa_user_sgpr_dispatch_id 0
		.amdhsa_user_sgpr_kernarg_preload_length 0
		.amdhsa_user_sgpr_kernarg_preload_offset 0
		.amdhsa_user_sgpr_private_segment_size 0
		.amdhsa_uses_dynamic_stack 0
		.amdhsa_enable_private_segment 0
		.amdhsa_system_sgpr_workgroup_id_x 1
		.amdhsa_system_sgpr_workgroup_id_y 0
		.amdhsa_system_sgpr_workgroup_id_z 0
		.amdhsa_system_sgpr_workgroup_info 0
		.amdhsa_system_vgpr_workitem_id 0
		.amdhsa_next_free_vgpr 1
		.amdhsa_next_free_sgpr 0
		.amdhsa_accum_offset 4
		.amdhsa_reserve_vcc 0
		.amdhsa_float_round_mode_32 0
		.amdhsa_float_round_mode_16_64 0
		.amdhsa_float_denorm_mode_32 3
		.amdhsa_float_denorm_mode_16_64 3
		.amdhsa_dx10_clamp 1
		.amdhsa_ieee_mode 1
		.amdhsa_fp16_overflow 0
		.amdhsa_tg_split 0
		.amdhsa_exception_fp_ieee_invalid_op 0
		.amdhsa_exception_fp_denorm_src 0
		.amdhsa_exception_fp_ieee_div_zero 0
		.amdhsa_exception_fp_ieee_overflow 0
		.amdhsa_exception_fp_ieee_underflow 0
		.amdhsa_exception_fp_ieee_inexact 0
		.amdhsa_exception_int_div_zero 0
	.end_amdhsa_kernel
	.section	.text._ZN7rocprim17ROCPRIM_400000_NS6detail17trampoline_kernelINS0_14default_configENS1_25partition_config_selectorILNS1_17partition_subalgoE8ElNS0_10empty_typeEbEEZZNS1_14partition_implILS5_8ELb0ES3_jPlPS6_PKS6_NS0_5tupleIJS9_S6_EEENSD_IJSA_SA_EEENS0_18inequality_wrapperIZN2at6native12_GLOBAL__N_124unique_dim_cuda_templateIlEESt5tupleIJNSH_6TensorESM_SM_EERKSM_lbbbEUlllE0_EEPmJS6_EEE10hipError_tPvRmT3_T4_T5_T6_T7_T9_mT8_P12ihipStream_tbDpT10_ENKUlT_T0_E_clISt17integral_constantIbLb0EES1C_EEDaS17_S18_EUlS17_E_NS1_11comp_targetILNS1_3genE5ELNS1_11target_archE942ELNS1_3gpuE9ELNS1_3repE0EEENS1_30default_config_static_selectorELNS0_4arch9wavefront6targetE1EEEvT1_,"axG",@progbits,_ZN7rocprim17ROCPRIM_400000_NS6detail17trampoline_kernelINS0_14default_configENS1_25partition_config_selectorILNS1_17partition_subalgoE8ElNS0_10empty_typeEbEEZZNS1_14partition_implILS5_8ELb0ES3_jPlPS6_PKS6_NS0_5tupleIJS9_S6_EEENSD_IJSA_SA_EEENS0_18inequality_wrapperIZN2at6native12_GLOBAL__N_124unique_dim_cuda_templateIlEESt5tupleIJNSH_6TensorESM_SM_EERKSM_lbbbEUlllE0_EEPmJS6_EEE10hipError_tPvRmT3_T4_T5_T6_T7_T9_mT8_P12ihipStream_tbDpT10_ENKUlT_T0_E_clISt17integral_constantIbLb0EES1C_EEDaS17_S18_EUlS17_E_NS1_11comp_targetILNS1_3genE5ELNS1_11target_archE942ELNS1_3gpuE9ELNS1_3repE0EEENS1_30default_config_static_selectorELNS0_4arch9wavefront6targetE1EEEvT1_,comdat
.Lfunc_end564:
	.size	_ZN7rocprim17ROCPRIM_400000_NS6detail17trampoline_kernelINS0_14default_configENS1_25partition_config_selectorILNS1_17partition_subalgoE8ElNS0_10empty_typeEbEEZZNS1_14partition_implILS5_8ELb0ES3_jPlPS6_PKS6_NS0_5tupleIJS9_S6_EEENSD_IJSA_SA_EEENS0_18inequality_wrapperIZN2at6native12_GLOBAL__N_124unique_dim_cuda_templateIlEESt5tupleIJNSH_6TensorESM_SM_EERKSM_lbbbEUlllE0_EEPmJS6_EEE10hipError_tPvRmT3_T4_T5_T6_T7_T9_mT8_P12ihipStream_tbDpT10_ENKUlT_T0_E_clISt17integral_constantIbLb0EES1C_EEDaS17_S18_EUlS17_E_NS1_11comp_targetILNS1_3genE5ELNS1_11target_archE942ELNS1_3gpuE9ELNS1_3repE0EEENS1_30default_config_static_selectorELNS0_4arch9wavefront6targetE1EEEvT1_, .Lfunc_end564-_ZN7rocprim17ROCPRIM_400000_NS6detail17trampoline_kernelINS0_14default_configENS1_25partition_config_selectorILNS1_17partition_subalgoE8ElNS0_10empty_typeEbEEZZNS1_14partition_implILS5_8ELb0ES3_jPlPS6_PKS6_NS0_5tupleIJS9_S6_EEENSD_IJSA_SA_EEENS0_18inequality_wrapperIZN2at6native12_GLOBAL__N_124unique_dim_cuda_templateIlEESt5tupleIJNSH_6TensorESM_SM_EERKSM_lbbbEUlllE0_EEPmJS6_EEE10hipError_tPvRmT3_T4_T5_T6_T7_T9_mT8_P12ihipStream_tbDpT10_ENKUlT_T0_E_clISt17integral_constantIbLb0EES1C_EEDaS17_S18_EUlS17_E_NS1_11comp_targetILNS1_3genE5ELNS1_11target_archE942ELNS1_3gpuE9ELNS1_3repE0EEENS1_30default_config_static_selectorELNS0_4arch9wavefront6targetE1EEEvT1_
                                        ; -- End function
	.set _ZN7rocprim17ROCPRIM_400000_NS6detail17trampoline_kernelINS0_14default_configENS1_25partition_config_selectorILNS1_17partition_subalgoE8ElNS0_10empty_typeEbEEZZNS1_14partition_implILS5_8ELb0ES3_jPlPS6_PKS6_NS0_5tupleIJS9_S6_EEENSD_IJSA_SA_EEENS0_18inequality_wrapperIZN2at6native12_GLOBAL__N_124unique_dim_cuda_templateIlEESt5tupleIJNSH_6TensorESM_SM_EERKSM_lbbbEUlllE0_EEPmJS6_EEE10hipError_tPvRmT3_T4_T5_T6_T7_T9_mT8_P12ihipStream_tbDpT10_ENKUlT_T0_E_clISt17integral_constantIbLb0EES1C_EEDaS17_S18_EUlS17_E_NS1_11comp_targetILNS1_3genE5ELNS1_11target_archE942ELNS1_3gpuE9ELNS1_3repE0EEENS1_30default_config_static_selectorELNS0_4arch9wavefront6targetE1EEEvT1_.num_vgpr, 0
	.set _ZN7rocprim17ROCPRIM_400000_NS6detail17trampoline_kernelINS0_14default_configENS1_25partition_config_selectorILNS1_17partition_subalgoE8ElNS0_10empty_typeEbEEZZNS1_14partition_implILS5_8ELb0ES3_jPlPS6_PKS6_NS0_5tupleIJS9_S6_EEENSD_IJSA_SA_EEENS0_18inequality_wrapperIZN2at6native12_GLOBAL__N_124unique_dim_cuda_templateIlEESt5tupleIJNSH_6TensorESM_SM_EERKSM_lbbbEUlllE0_EEPmJS6_EEE10hipError_tPvRmT3_T4_T5_T6_T7_T9_mT8_P12ihipStream_tbDpT10_ENKUlT_T0_E_clISt17integral_constantIbLb0EES1C_EEDaS17_S18_EUlS17_E_NS1_11comp_targetILNS1_3genE5ELNS1_11target_archE942ELNS1_3gpuE9ELNS1_3repE0EEENS1_30default_config_static_selectorELNS0_4arch9wavefront6targetE1EEEvT1_.num_agpr, 0
	.set _ZN7rocprim17ROCPRIM_400000_NS6detail17trampoline_kernelINS0_14default_configENS1_25partition_config_selectorILNS1_17partition_subalgoE8ElNS0_10empty_typeEbEEZZNS1_14partition_implILS5_8ELb0ES3_jPlPS6_PKS6_NS0_5tupleIJS9_S6_EEENSD_IJSA_SA_EEENS0_18inequality_wrapperIZN2at6native12_GLOBAL__N_124unique_dim_cuda_templateIlEESt5tupleIJNSH_6TensorESM_SM_EERKSM_lbbbEUlllE0_EEPmJS6_EEE10hipError_tPvRmT3_T4_T5_T6_T7_T9_mT8_P12ihipStream_tbDpT10_ENKUlT_T0_E_clISt17integral_constantIbLb0EES1C_EEDaS17_S18_EUlS17_E_NS1_11comp_targetILNS1_3genE5ELNS1_11target_archE942ELNS1_3gpuE9ELNS1_3repE0EEENS1_30default_config_static_selectorELNS0_4arch9wavefront6targetE1EEEvT1_.numbered_sgpr, 0
	.set _ZN7rocprim17ROCPRIM_400000_NS6detail17trampoline_kernelINS0_14default_configENS1_25partition_config_selectorILNS1_17partition_subalgoE8ElNS0_10empty_typeEbEEZZNS1_14partition_implILS5_8ELb0ES3_jPlPS6_PKS6_NS0_5tupleIJS9_S6_EEENSD_IJSA_SA_EEENS0_18inequality_wrapperIZN2at6native12_GLOBAL__N_124unique_dim_cuda_templateIlEESt5tupleIJNSH_6TensorESM_SM_EERKSM_lbbbEUlllE0_EEPmJS6_EEE10hipError_tPvRmT3_T4_T5_T6_T7_T9_mT8_P12ihipStream_tbDpT10_ENKUlT_T0_E_clISt17integral_constantIbLb0EES1C_EEDaS17_S18_EUlS17_E_NS1_11comp_targetILNS1_3genE5ELNS1_11target_archE942ELNS1_3gpuE9ELNS1_3repE0EEENS1_30default_config_static_selectorELNS0_4arch9wavefront6targetE1EEEvT1_.num_named_barrier, 0
	.set _ZN7rocprim17ROCPRIM_400000_NS6detail17trampoline_kernelINS0_14default_configENS1_25partition_config_selectorILNS1_17partition_subalgoE8ElNS0_10empty_typeEbEEZZNS1_14partition_implILS5_8ELb0ES3_jPlPS6_PKS6_NS0_5tupleIJS9_S6_EEENSD_IJSA_SA_EEENS0_18inequality_wrapperIZN2at6native12_GLOBAL__N_124unique_dim_cuda_templateIlEESt5tupleIJNSH_6TensorESM_SM_EERKSM_lbbbEUlllE0_EEPmJS6_EEE10hipError_tPvRmT3_T4_T5_T6_T7_T9_mT8_P12ihipStream_tbDpT10_ENKUlT_T0_E_clISt17integral_constantIbLb0EES1C_EEDaS17_S18_EUlS17_E_NS1_11comp_targetILNS1_3genE5ELNS1_11target_archE942ELNS1_3gpuE9ELNS1_3repE0EEENS1_30default_config_static_selectorELNS0_4arch9wavefront6targetE1EEEvT1_.private_seg_size, 0
	.set _ZN7rocprim17ROCPRIM_400000_NS6detail17trampoline_kernelINS0_14default_configENS1_25partition_config_selectorILNS1_17partition_subalgoE8ElNS0_10empty_typeEbEEZZNS1_14partition_implILS5_8ELb0ES3_jPlPS6_PKS6_NS0_5tupleIJS9_S6_EEENSD_IJSA_SA_EEENS0_18inequality_wrapperIZN2at6native12_GLOBAL__N_124unique_dim_cuda_templateIlEESt5tupleIJNSH_6TensorESM_SM_EERKSM_lbbbEUlllE0_EEPmJS6_EEE10hipError_tPvRmT3_T4_T5_T6_T7_T9_mT8_P12ihipStream_tbDpT10_ENKUlT_T0_E_clISt17integral_constantIbLb0EES1C_EEDaS17_S18_EUlS17_E_NS1_11comp_targetILNS1_3genE5ELNS1_11target_archE942ELNS1_3gpuE9ELNS1_3repE0EEENS1_30default_config_static_selectorELNS0_4arch9wavefront6targetE1EEEvT1_.uses_vcc, 0
	.set _ZN7rocprim17ROCPRIM_400000_NS6detail17trampoline_kernelINS0_14default_configENS1_25partition_config_selectorILNS1_17partition_subalgoE8ElNS0_10empty_typeEbEEZZNS1_14partition_implILS5_8ELb0ES3_jPlPS6_PKS6_NS0_5tupleIJS9_S6_EEENSD_IJSA_SA_EEENS0_18inequality_wrapperIZN2at6native12_GLOBAL__N_124unique_dim_cuda_templateIlEESt5tupleIJNSH_6TensorESM_SM_EERKSM_lbbbEUlllE0_EEPmJS6_EEE10hipError_tPvRmT3_T4_T5_T6_T7_T9_mT8_P12ihipStream_tbDpT10_ENKUlT_T0_E_clISt17integral_constantIbLb0EES1C_EEDaS17_S18_EUlS17_E_NS1_11comp_targetILNS1_3genE5ELNS1_11target_archE942ELNS1_3gpuE9ELNS1_3repE0EEENS1_30default_config_static_selectorELNS0_4arch9wavefront6targetE1EEEvT1_.uses_flat_scratch, 0
	.set _ZN7rocprim17ROCPRIM_400000_NS6detail17trampoline_kernelINS0_14default_configENS1_25partition_config_selectorILNS1_17partition_subalgoE8ElNS0_10empty_typeEbEEZZNS1_14partition_implILS5_8ELb0ES3_jPlPS6_PKS6_NS0_5tupleIJS9_S6_EEENSD_IJSA_SA_EEENS0_18inequality_wrapperIZN2at6native12_GLOBAL__N_124unique_dim_cuda_templateIlEESt5tupleIJNSH_6TensorESM_SM_EERKSM_lbbbEUlllE0_EEPmJS6_EEE10hipError_tPvRmT3_T4_T5_T6_T7_T9_mT8_P12ihipStream_tbDpT10_ENKUlT_T0_E_clISt17integral_constantIbLb0EES1C_EEDaS17_S18_EUlS17_E_NS1_11comp_targetILNS1_3genE5ELNS1_11target_archE942ELNS1_3gpuE9ELNS1_3repE0EEENS1_30default_config_static_selectorELNS0_4arch9wavefront6targetE1EEEvT1_.has_dyn_sized_stack, 0
	.set _ZN7rocprim17ROCPRIM_400000_NS6detail17trampoline_kernelINS0_14default_configENS1_25partition_config_selectorILNS1_17partition_subalgoE8ElNS0_10empty_typeEbEEZZNS1_14partition_implILS5_8ELb0ES3_jPlPS6_PKS6_NS0_5tupleIJS9_S6_EEENSD_IJSA_SA_EEENS0_18inequality_wrapperIZN2at6native12_GLOBAL__N_124unique_dim_cuda_templateIlEESt5tupleIJNSH_6TensorESM_SM_EERKSM_lbbbEUlllE0_EEPmJS6_EEE10hipError_tPvRmT3_T4_T5_T6_T7_T9_mT8_P12ihipStream_tbDpT10_ENKUlT_T0_E_clISt17integral_constantIbLb0EES1C_EEDaS17_S18_EUlS17_E_NS1_11comp_targetILNS1_3genE5ELNS1_11target_archE942ELNS1_3gpuE9ELNS1_3repE0EEENS1_30default_config_static_selectorELNS0_4arch9wavefront6targetE1EEEvT1_.has_recursion, 0
	.set _ZN7rocprim17ROCPRIM_400000_NS6detail17trampoline_kernelINS0_14default_configENS1_25partition_config_selectorILNS1_17partition_subalgoE8ElNS0_10empty_typeEbEEZZNS1_14partition_implILS5_8ELb0ES3_jPlPS6_PKS6_NS0_5tupleIJS9_S6_EEENSD_IJSA_SA_EEENS0_18inequality_wrapperIZN2at6native12_GLOBAL__N_124unique_dim_cuda_templateIlEESt5tupleIJNSH_6TensorESM_SM_EERKSM_lbbbEUlllE0_EEPmJS6_EEE10hipError_tPvRmT3_T4_T5_T6_T7_T9_mT8_P12ihipStream_tbDpT10_ENKUlT_T0_E_clISt17integral_constantIbLb0EES1C_EEDaS17_S18_EUlS17_E_NS1_11comp_targetILNS1_3genE5ELNS1_11target_archE942ELNS1_3gpuE9ELNS1_3repE0EEENS1_30default_config_static_selectorELNS0_4arch9wavefront6targetE1EEEvT1_.has_indirect_call, 0
	.section	.AMDGPU.csdata,"",@progbits
; Kernel info:
; codeLenInByte = 0
; TotalNumSgprs: 6
; NumVgprs: 0
; NumAgprs: 0
; TotalNumVgprs: 0
; ScratchSize: 0
; MemoryBound: 0
; FloatMode: 240
; IeeeMode: 1
; LDSByteSize: 0 bytes/workgroup (compile time only)
; SGPRBlocks: 0
; VGPRBlocks: 0
; NumSGPRsForWavesPerEU: 6
; NumVGPRsForWavesPerEU: 1
; AccumOffset: 4
; Occupancy: 8
; WaveLimiterHint : 0
; COMPUTE_PGM_RSRC2:SCRATCH_EN: 0
; COMPUTE_PGM_RSRC2:USER_SGPR: 2
; COMPUTE_PGM_RSRC2:TRAP_HANDLER: 0
; COMPUTE_PGM_RSRC2:TGID_X_EN: 1
; COMPUTE_PGM_RSRC2:TGID_Y_EN: 0
; COMPUTE_PGM_RSRC2:TGID_Z_EN: 0
; COMPUTE_PGM_RSRC2:TIDIG_COMP_CNT: 0
; COMPUTE_PGM_RSRC3_GFX90A:ACCUM_OFFSET: 0
; COMPUTE_PGM_RSRC3_GFX90A:TG_SPLIT: 0
	.section	.text._ZN7rocprim17ROCPRIM_400000_NS6detail17trampoline_kernelINS0_14default_configENS1_25partition_config_selectorILNS1_17partition_subalgoE8ElNS0_10empty_typeEbEEZZNS1_14partition_implILS5_8ELb0ES3_jPlPS6_PKS6_NS0_5tupleIJS9_S6_EEENSD_IJSA_SA_EEENS0_18inequality_wrapperIZN2at6native12_GLOBAL__N_124unique_dim_cuda_templateIlEESt5tupleIJNSH_6TensorESM_SM_EERKSM_lbbbEUlllE0_EEPmJS6_EEE10hipError_tPvRmT3_T4_T5_T6_T7_T9_mT8_P12ihipStream_tbDpT10_ENKUlT_T0_E_clISt17integral_constantIbLb0EES1C_EEDaS17_S18_EUlS17_E_NS1_11comp_targetILNS1_3genE4ELNS1_11target_archE910ELNS1_3gpuE8ELNS1_3repE0EEENS1_30default_config_static_selectorELNS0_4arch9wavefront6targetE1EEEvT1_,"axG",@progbits,_ZN7rocprim17ROCPRIM_400000_NS6detail17trampoline_kernelINS0_14default_configENS1_25partition_config_selectorILNS1_17partition_subalgoE8ElNS0_10empty_typeEbEEZZNS1_14partition_implILS5_8ELb0ES3_jPlPS6_PKS6_NS0_5tupleIJS9_S6_EEENSD_IJSA_SA_EEENS0_18inequality_wrapperIZN2at6native12_GLOBAL__N_124unique_dim_cuda_templateIlEESt5tupleIJNSH_6TensorESM_SM_EERKSM_lbbbEUlllE0_EEPmJS6_EEE10hipError_tPvRmT3_T4_T5_T6_T7_T9_mT8_P12ihipStream_tbDpT10_ENKUlT_T0_E_clISt17integral_constantIbLb0EES1C_EEDaS17_S18_EUlS17_E_NS1_11comp_targetILNS1_3genE4ELNS1_11target_archE910ELNS1_3gpuE8ELNS1_3repE0EEENS1_30default_config_static_selectorELNS0_4arch9wavefront6targetE1EEEvT1_,comdat
	.globl	_ZN7rocprim17ROCPRIM_400000_NS6detail17trampoline_kernelINS0_14default_configENS1_25partition_config_selectorILNS1_17partition_subalgoE8ElNS0_10empty_typeEbEEZZNS1_14partition_implILS5_8ELb0ES3_jPlPS6_PKS6_NS0_5tupleIJS9_S6_EEENSD_IJSA_SA_EEENS0_18inequality_wrapperIZN2at6native12_GLOBAL__N_124unique_dim_cuda_templateIlEESt5tupleIJNSH_6TensorESM_SM_EERKSM_lbbbEUlllE0_EEPmJS6_EEE10hipError_tPvRmT3_T4_T5_T6_T7_T9_mT8_P12ihipStream_tbDpT10_ENKUlT_T0_E_clISt17integral_constantIbLb0EES1C_EEDaS17_S18_EUlS17_E_NS1_11comp_targetILNS1_3genE4ELNS1_11target_archE910ELNS1_3gpuE8ELNS1_3repE0EEENS1_30default_config_static_selectorELNS0_4arch9wavefront6targetE1EEEvT1_ ; -- Begin function _ZN7rocprim17ROCPRIM_400000_NS6detail17trampoline_kernelINS0_14default_configENS1_25partition_config_selectorILNS1_17partition_subalgoE8ElNS0_10empty_typeEbEEZZNS1_14partition_implILS5_8ELb0ES3_jPlPS6_PKS6_NS0_5tupleIJS9_S6_EEENSD_IJSA_SA_EEENS0_18inequality_wrapperIZN2at6native12_GLOBAL__N_124unique_dim_cuda_templateIlEESt5tupleIJNSH_6TensorESM_SM_EERKSM_lbbbEUlllE0_EEPmJS6_EEE10hipError_tPvRmT3_T4_T5_T6_T7_T9_mT8_P12ihipStream_tbDpT10_ENKUlT_T0_E_clISt17integral_constantIbLb0EES1C_EEDaS17_S18_EUlS17_E_NS1_11comp_targetILNS1_3genE4ELNS1_11target_archE910ELNS1_3gpuE8ELNS1_3repE0EEENS1_30default_config_static_selectorELNS0_4arch9wavefront6targetE1EEEvT1_
	.p2align	8
	.type	_ZN7rocprim17ROCPRIM_400000_NS6detail17trampoline_kernelINS0_14default_configENS1_25partition_config_selectorILNS1_17partition_subalgoE8ElNS0_10empty_typeEbEEZZNS1_14partition_implILS5_8ELb0ES3_jPlPS6_PKS6_NS0_5tupleIJS9_S6_EEENSD_IJSA_SA_EEENS0_18inequality_wrapperIZN2at6native12_GLOBAL__N_124unique_dim_cuda_templateIlEESt5tupleIJNSH_6TensorESM_SM_EERKSM_lbbbEUlllE0_EEPmJS6_EEE10hipError_tPvRmT3_T4_T5_T6_T7_T9_mT8_P12ihipStream_tbDpT10_ENKUlT_T0_E_clISt17integral_constantIbLb0EES1C_EEDaS17_S18_EUlS17_E_NS1_11comp_targetILNS1_3genE4ELNS1_11target_archE910ELNS1_3gpuE8ELNS1_3repE0EEENS1_30default_config_static_selectorELNS0_4arch9wavefront6targetE1EEEvT1_,@function
_ZN7rocprim17ROCPRIM_400000_NS6detail17trampoline_kernelINS0_14default_configENS1_25partition_config_selectorILNS1_17partition_subalgoE8ElNS0_10empty_typeEbEEZZNS1_14partition_implILS5_8ELb0ES3_jPlPS6_PKS6_NS0_5tupleIJS9_S6_EEENSD_IJSA_SA_EEENS0_18inequality_wrapperIZN2at6native12_GLOBAL__N_124unique_dim_cuda_templateIlEESt5tupleIJNSH_6TensorESM_SM_EERKSM_lbbbEUlllE0_EEPmJS6_EEE10hipError_tPvRmT3_T4_T5_T6_T7_T9_mT8_P12ihipStream_tbDpT10_ENKUlT_T0_E_clISt17integral_constantIbLb0EES1C_EEDaS17_S18_EUlS17_E_NS1_11comp_targetILNS1_3genE4ELNS1_11target_archE910ELNS1_3gpuE8ELNS1_3repE0EEENS1_30default_config_static_selectorELNS0_4arch9wavefront6targetE1EEEvT1_: ; @_ZN7rocprim17ROCPRIM_400000_NS6detail17trampoline_kernelINS0_14default_configENS1_25partition_config_selectorILNS1_17partition_subalgoE8ElNS0_10empty_typeEbEEZZNS1_14partition_implILS5_8ELb0ES3_jPlPS6_PKS6_NS0_5tupleIJS9_S6_EEENSD_IJSA_SA_EEENS0_18inequality_wrapperIZN2at6native12_GLOBAL__N_124unique_dim_cuda_templateIlEESt5tupleIJNSH_6TensorESM_SM_EERKSM_lbbbEUlllE0_EEPmJS6_EEE10hipError_tPvRmT3_T4_T5_T6_T7_T9_mT8_P12ihipStream_tbDpT10_ENKUlT_T0_E_clISt17integral_constantIbLb0EES1C_EEDaS17_S18_EUlS17_E_NS1_11comp_targetILNS1_3genE4ELNS1_11target_archE910ELNS1_3gpuE8ELNS1_3repE0EEENS1_30default_config_static_selectorELNS0_4arch9wavefront6targetE1EEEvT1_
; %bb.0:
	.section	.rodata,"a",@progbits
	.p2align	6, 0x0
	.amdhsa_kernel _ZN7rocprim17ROCPRIM_400000_NS6detail17trampoline_kernelINS0_14default_configENS1_25partition_config_selectorILNS1_17partition_subalgoE8ElNS0_10empty_typeEbEEZZNS1_14partition_implILS5_8ELb0ES3_jPlPS6_PKS6_NS0_5tupleIJS9_S6_EEENSD_IJSA_SA_EEENS0_18inequality_wrapperIZN2at6native12_GLOBAL__N_124unique_dim_cuda_templateIlEESt5tupleIJNSH_6TensorESM_SM_EERKSM_lbbbEUlllE0_EEPmJS6_EEE10hipError_tPvRmT3_T4_T5_T6_T7_T9_mT8_P12ihipStream_tbDpT10_ENKUlT_T0_E_clISt17integral_constantIbLb0EES1C_EEDaS17_S18_EUlS17_E_NS1_11comp_targetILNS1_3genE4ELNS1_11target_archE910ELNS1_3gpuE8ELNS1_3repE0EEENS1_30default_config_static_selectorELNS0_4arch9wavefront6targetE1EEEvT1_
		.amdhsa_group_segment_fixed_size 0
		.amdhsa_private_segment_fixed_size 0
		.amdhsa_kernarg_size 120
		.amdhsa_user_sgpr_count 2
		.amdhsa_user_sgpr_dispatch_ptr 0
		.amdhsa_user_sgpr_queue_ptr 0
		.amdhsa_user_sgpr_kernarg_segment_ptr 1
		.amdhsa_user_sgpr_dispatch_id 0
		.amdhsa_user_sgpr_kernarg_preload_length 0
		.amdhsa_user_sgpr_kernarg_preload_offset 0
		.amdhsa_user_sgpr_private_segment_size 0
		.amdhsa_uses_dynamic_stack 0
		.amdhsa_enable_private_segment 0
		.amdhsa_system_sgpr_workgroup_id_x 1
		.amdhsa_system_sgpr_workgroup_id_y 0
		.amdhsa_system_sgpr_workgroup_id_z 0
		.amdhsa_system_sgpr_workgroup_info 0
		.amdhsa_system_vgpr_workitem_id 0
		.amdhsa_next_free_vgpr 1
		.amdhsa_next_free_sgpr 0
		.amdhsa_accum_offset 4
		.amdhsa_reserve_vcc 0
		.amdhsa_float_round_mode_32 0
		.amdhsa_float_round_mode_16_64 0
		.amdhsa_float_denorm_mode_32 3
		.amdhsa_float_denorm_mode_16_64 3
		.amdhsa_dx10_clamp 1
		.amdhsa_ieee_mode 1
		.amdhsa_fp16_overflow 0
		.amdhsa_tg_split 0
		.amdhsa_exception_fp_ieee_invalid_op 0
		.amdhsa_exception_fp_denorm_src 0
		.amdhsa_exception_fp_ieee_div_zero 0
		.amdhsa_exception_fp_ieee_overflow 0
		.amdhsa_exception_fp_ieee_underflow 0
		.amdhsa_exception_fp_ieee_inexact 0
		.amdhsa_exception_int_div_zero 0
	.end_amdhsa_kernel
	.section	.text._ZN7rocprim17ROCPRIM_400000_NS6detail17trampoline_kernelINS0_14default_configENS1_25partition_config_selectorILNS1_17partition_subalgoE8ElNS0_10empty_typeEbEEZZNS1_14partition_implILS5_8ELb0ES3_jPlPS6_PKS6_NS0_5tupleIJS9_S6_EEENSD_IJSA_SA_EEENS0_18inequality_wrapperIZN2at6native12_GLOBAL__N_124unique_dim_cuda_templateIlEESt5tupleIJNSH_6TensorESM_SM_EERKSM_lbbbEUlllE0_EEPmJS6_EEE10hipError_tPvRmT3_T4_T5_T6_T7_T9_mT8_P12ihipStream_tbDpT10_ENKUlT_T0_E_clISt17integral_constantIbLb0EES1C_EEDaS17_S18_EUlS17_E_NS1_11comp_targetILNS1_3genE4ELNS1_11target_archE910ELNS1_3gpuE8ELNS1_3repE0EEENS1_30default_config_static_selectorELNS0_4arch9wavefront6targetE1EEEvT1_,"axG",@progbits,_ZN7rocprim17ROCPRIM_400000_NS6detail17trampoline_kernelINS0_14default_configENS1_25partition_config_selectorILNS1_17partition_subalgoE8ElNS0_10empty_typeEbEEZZNS1_14partition_implILS5_8ELb0ES3_jPlPS6_PKS6_NS0_5tupleIJS9_S6_EEENSD_IJSA_SA_EEENS0_18inequality_wrapperIZN2at6native12_GLOBAL__N_124unique_dim_cuda_templateIlEESt5tupleIJNSH_6TensorESM_SM_EERKSM_lbbbEUlllE0_EEPmJS6_EEE10hipError_tPvRmT3_T4_T5_T6_T7_T9_mT8_P12ihipStream_tbDpT10_ENKUlT_T0_E_clISt17integral_constantIbLb0EES1C_EEDaS17_S18_EUlS17_E_NS1_11comp_targetILNS1_3genE4ELNS1_11target_archE910ELNS1_3gpuE8ELNS1_3repE0EEENS1_30default_config_static_selectorELNS0_4arch9wavefront6targetE1EEEvT1_,comdat
.Lfunc_end565:
	.size	_ZN7rocprim17ROCPRIM_400000_NS6detail17trampoline_kernelINS0_14default_configENS1_25partition_config_selectorILNS1_17partition_subalgoE8ElNS0_10empty_typeEbEEZZNS1_14partition_implILS5_8ELb0ES3_jPlPS6_PKS6_NS0_5tupleIJS9_S6_EEENSD_IJSA_SA_EEENS0_18inequality_wrapperIZN2at6native12_GLOBAL__N_124unique_dim_cuda_templateIlEESt5tupleIJNSH_6TensorESM_SM_EERKSM_lbbbEUlllE0_EEPmJS6_EEE10hipError_tPvRmT3_T4_T5_T6_T7_T9_mT8_P12ihipStream_tbDpT10_ENKUlT_T0_E_clISt17integral_constantIbLb0EES1C_EEDaS17_S18_EUlS17_E_NS1_11comp_targetILNS1_3genE4ELNS1_11target_archE910ELNS1_3gpuE8ELNS1_3repE0EEENS1_30default_config_static_selectorELNS0_4arch9wavefront6targetE1EEEvT1_, .Lfunc_end565-_ZN7rocprim17ROCPRIM_400000_NS6detail17trampoline_kernelINS0_14default_configENS1_25partition_config_selectorILNS1_17partition_subalgoE8ElNS0_10empty_typeEbEEZZNS1_14partition_implILS5_8ELb0ES3_jPlPS6_PKS6_NS0_5tupleIJS9_S6_EEENSD_IJSA_SA_EEENS0_18inequality_wrapperIZN2at6native12_GLOBAL__N_124unique_dim_cuda_templateIlEESt5tupleIJNSH_6TensorESM_SM_EERKSM_lbbbEUlllE0_EEPmJS6_EEE10hipError_tPvRmT3_T4_T5_T6_T7_T9_mT8_P12ihipStream_tbDpT10_ENKUlT_T0_E_clISt17integral_constantIbLb0EES1C_EEDaS17_S18_EUlS17_E_NS1_11comp_targetILNS1_3genE4ELNS1_11target_archE910ELNS1_3gpuE8ELNS1_3repE0EEENS1_30default_config_static_selectorELNS0_4arch9wavefront6targetE1EEEvT1_
                                        ; -- End function
	.set _ZN7rocprim17ROCPRIM_400000_NS6detail17trampoline_kernelINS0_14default_configENS1_25partition_config_selectorILNS1_17partition_subalgoE8ElNS0_10empty_typeEbEEZZNS1_14partition_implILS5_8ELb0ES3_jPlPS6_PKS6_NS0_5tupleIJS9_S6_EEENSD_IJSA_SA_EEENS0_18inequality_wrapperIZN2at6native12_GLOBAL__N_124unique_dim_cuda_templateIlEESt5tupleIJNSH_6TensorESM_SM_EERKSM_lbbbEUlllE0_EEPmJS6_EEE10hipError_tPvRmT3_T4_T5_T6_T7_T9_mT8_P12ihipStream_tbDpT10_ENKUlT_T0_E_clISt17integral_constantIbLb0EES1C_EEDaS17_S18_EUlS17_E_NS1_11comp_targetILNS1_3genE4ELNS1_11target_archE910ELNS1_3gpuE8ELNS1_3repE0EEENS1_30default_config_static_selectorELNS0_4arch9wavefront6targetE1EEEvT1_.num_vgpr, 0
	.set _ZN7rocprim17ROCPRIM_400000_NS6detail17trampoline_kernelINS0_14default_configENS1_25partition_config_selectorILNS1_17partition_subalgoE8ElNS0_10empty_typeEbEEZZNS1_14partition_implILS5_8ELb0ES3_jPlPS6_PKS6_NS0_5tupleIJS9_S6_EEENSD_IJSA_SA_EEENS0_18inequality_wrapperIZN2at6native12_GLOBAL__N_124unique_dim_cuda_templateIlEESt5tupleIJNSH_6TensorESM_SM_EERKSM_lbbbEUlllE0_EEPmJS6_EEE10hipError_tPvRmT3_T4_T5_T6_T7_T9_mT8_P12ihipStream_tbDpT10_ENKUlT_T0_E_clISt17integral_constantIbLb0EES1C_EEDaS17_S18_EUlS17_E_NS1_11comp_targetILNS1_3genE4ELNS1_11target_archE910ELNS1_3gpuE8ELNS1_3repE0EEENS1_30default_config_static_selectorELNS0_4arch9wavefront6targetE1EEEvT1_.num_agpr, 0
	.set _ZN7rocprim17ROCPRIM_400000_NS6detail17trampoline_kernelINS0_14default_configENS1_25partition_config_selectorILNS1_17partition_subalgoE8ElNS0_10empty_typeEbEEZZNS1_14partition_implILS5_8ELb0ES3_jPlPS6_PKS6_NS0_5tupleIJS9_S6_EEENSD_IJSA_SA_EEENS0_18inequality_wrapperIZN2at6native12_GLOBAL__N_124unique_dim_cuda_templateIlEESt5tupleIJNSH_6TensorESM_SM_EERKSM_lbbbEUlllE0_EEPmJS6_EEE10hipError_tPvRmT3_T4_T5_T6_T7_T9_mT8_P12ihipStream_tbDpT10_ENKUlT_T0_E_clISt17integral_constantIbLb0EES1C_EEDaS17_S18_EUlS17_E_NS1_11comp_targetILNS1_3genE4ELNS1_11target_archE910ELNS1_3gpuE8ELNS1_3repE0EEENS1_30default_config_static_selectorELNS0_4arch9wavefront6targetE1EEEvT1_.numbered_sgpr, 0
	.set _ZN7rocprim17ROCPRIM_400000_NS6detail17trampoline_kernelINS0_14default_configENS1_25partition_config_selectorILNS1_17partition_subalgoE8ElNS0_10empty_typeEbEEZZNS1_14partition_implILS5_8ELb0ES3_jPlPS6_PKS6_NS0_5tupleIJS9_S6_EEENSD_IJSA_SA_EEENS0_18inequality_wrapperIZN2at6native12_GLOBAL__N_124unique_dim_cuda_templateIlEESt5tupleIJNSH_6TensorESM_SM_EERKSM_lbbbEUlllE0_EEPmJS6_EEE10hipError_tPvRmT3_T4_T5_T6_T7_T9_mT8_P12ihipStream_tbDpT10_ENKUlT_T0_E_clISt17integral_constantIbLb0EES1C_EEDaS17_S18_EUlS17_E_NS1_11comp_targetILNS1_3genE4ELNS1_11target_archE910ELNS1_3gpuE8ELNS1_3repE0EEENS1_30default_config_static_selectorELNS0_4arch9wavefront6targetE1EEEvT1_.num_named_barrier, 0
	.set _ZN7rocprim17ROCPRIM_400000_NS6detail17trampoline_kernelINS0_14default_configENS1_25partition_config_selectorILNS1_17partition_subalgoE8ElNS0_10empty_typeEbEEZZNS1_14partition_implILS5_8ELb0ES3_jPlPS6_PKS6_NS0_5tupleIJS9_S6_EEENSD_IJSA_SA_EEENS0_18inequality_wrapperIZN2at6native12_GLOBAL__N_124unique_dim_cuda_templateIlEESt5tupleIJNSH_6TensorESM_SM_EERKSM_lbbbEUlllE0_EEPmJS6_EEE10hipError_tPvRmT3_T4_T5_T6_T7_T9_mT8_P12ihipStream_tbDpT10_ENKUlT_T0_E_clISt17integral_constantIbLb0EES1C_EEDaS17_S18_EUlS17_E_NS1_11comp_targetILNS1_3genE4ELNS1_11target_archE910ELNS1_3gpuE8ELNS1_3repE0EEENS1_30default_config_static_selectorELNS0_4arch9wavefront6targetE1EEEvT1_.private_seg_size, 0
	.set _ZN7rocprim17ROCPRIM_400000_NS6detail17trampoline_kernelINS0_14default_configENS1_25partition_config_selectorILNS1_17partition_subalgoE8ElNS0_10empty_typeEbEEZZNS1_14partition_implILS5_8ELb0ES3_jPlPS6_PKS6_NS0_5tupleIJS9_S6_EEENSD_IJSA_SA_EEENS0_18inequality_wrapperIZN2at6native12_GLOBAL__N_124unique_dim_cuda_templateIlEESt5tupleIJNSH_6TensorESM_SM_EERKSM_lbbbEUlllE0_EEPmJS6_EEE10hipError_tPvRmT3_T4_T5_T6_T7_T9_mT8_P12ihipStream_tbDpT10_ENKUlT_T0_E_clISt17integral_constantIbLb0EES1C_EEDaS17_S18_EUlS17_E_NS1_11comp_targetILNS1_3genE4ELNS1_11target_archE910ELNS1_3gpuE8ELNS1_3repE0EEENS1_30default_config_static_selectorELNS0_4arch9wavefront6targetE1EEEvT1_.uses_vcc, 0
	.set _ZN7rocprim17ROCPRIM_400000_NS6detail17trampoline_kernelINS0_14default_configENS1_25partition_config_selectorILNS1_17partition_subalgoE8ElNS0_10empty_typeEbEEZZNS1_14partition_implILS5_8ELb0ES3_jPlPS6_PKS6_NS0_5tupleIJS9_S6_EEENSD_IJSA_SA_EEENS0_18inequality_wrapperIZN2at6native12_GLOBAL__N_124unique_dim_cuda_templateIlEESt5tupleIJNSH_6TensorESM_SM_EERKSM_lbbbEUlllE0_EEPmJS6_EEE10hipError_tPvRmT3_T4_T5_T6_T7_T9_mT8_P12ihipStream_tbDpT10_ENKUlT_T0_E_clISt17integral_constantIbLb0EES1C_EEDaS17_S18_EUlS17_E_NS1_11comp_targetILNS1_3genE4ELNS1_11target_archE910ELNS1_3gpuE8ELNS1_3repE0EEENS1_30default_config_static_selectorELNS0_4arch9wavefront6targetE1EEEvT1_.uses_flat_scratch, 0
	.set _ZN7rocprim17ROCPRIM_400000_NS6detail17trampoline_kernelINS0_14default_configENS1_25partition_config_selectorILNS1_17partition_subalgoE8ElNS0_10empty_typeEbEEZZNS1_14partition_implILS5_8ELb0ES3_jPlPS6_PKS6_NS0_5tupleIJS9_S6_EEENSD_IJSA_SA_EEENS0_18inequality_wrapperIZN2at6native12_GLOBAL__N_124unique_dim_cuda_templateIlEESt5tupleIJNSH_6TensorESM_SM_EERKSM_lbbbEUlllE0_EEPmJS6_EEE10hipError_tPvRmT3_T4_T5_T6_T7_T9_mT8_P12ihipStream_tbDpT10_ENKUlT_T0_E_clISt17integral_constantIbLb0EES1C_EEDaS17_S18_EUlS17_E_NS1_11comp_targetILNS1_3genE4ELNS1_11target_archE910ELNS1_3gpuE8ELNS1_3repE0EEENS1_30default_config_static_selectorELNS0_4arch9wavefront6targetE1EEEvT1_.has_dyn_sized_stack, 0
	.set _ZN7rocprim17ROCPRIM_400000_NS6detail17trampoline_kernelINS0_14default_configENS1_25partition_config_selectorILNS1_17partition_subalgoE8ElNS0_10empty_typeEbEEZZNS1_14partition_implILS5_8ELb0ES3_jPlPS6_PKS6_NS0_5tupleIJS9_S6_EEENSD_IJSA_SA_EEENS0_18inequality_wrapperIZN2at6native12_GLOBAL__N_124unique_dim_cuda_templateIlEESt5tupleIJNSH_6TensorESM_SM_EERKSM_lbbbEUlllE0_EEPmJS6_EEE10hipError_tPvRmT3_T4_T5_T6_T7_T9_mT8_P12ihipStream_tbDpT10_ENKUlT_T0_E_clISt17integral_constantIbLb0EES1C_EEDaS17_S18_EUlS17_E_NS1_11comp_targetILNS1_3genE4ELNS1_11target_archE910ELNS1_3gpuE8ELNS1_3repE0EEENS1_30default_config_static_selectorELNS0_4arch9wavefront6targetE1EEEvT1_.has_recursion, 0
	.set _ZN7rocprim17ROCPRIM_400000_NS6detail17trampoline_kernelINS0_14default_configENS1_25partition_config_selectorILNS1_17partition_subalgoE8ElNS0_10empty_typeEbEEZZNS1_14partition_implILS5_8ELb0ES3_jPlPS6_PKS6_NS0_5tupleIJS9_S6_EEENSD_IJSA_SA_EEENS0_18inequality_wrapperIZN2at6native12_GLOBAL__N_124unique_dim_cuda_templateIlEESt5tupleIJNSH_6TensorESM_SM_EERKSM_lbbbEUlllE0_EEPmJS6_EEE10hipError_tPvRmT3_T4_T5_T6_T7_T9_mT8_P12ihipStream_tbDpT10_ENKUlT_T0_E_clISt17integral_constantIbLb0EES1C_EEDaS17_S18_EUlS17_E_NS1_11comp_targetILNS1_3genE4ELNS1_11target_archE910ELNS1_3gpuE8ELNS1_3repE0EEENS1_30default_config_static_selectorELNS0_4arch9wavefront6targetE1EEEvT1_.has_indirect_call, 0
	.section	.AMDGPU.csdata,"",@progbits
; Kernel info:
; codeLenInByte = 0
; TotalNumSgprs: 6
; NumVgprs: 0
; NumAgprs: 0
; TotalNumVgprs: 0
; ScratchSize: 0
; MemoryBound: 0
; FloatMode: 240
; IeeeMode: 1
; LDSByteSize: 0 bytes/workgroup (compile time only)
; SGPRBlocks: 0
; VGPRBlocks: 0
; NumSGPRsForWavesPerEU: 6
; NumVGPRsForWavesPerEU: 1
; AccumOffset: 4
; Occupancy: 8
; WaveLimiterHint : 0
; COMPUTE_PGM_RSRC2:SCRATCH_EN: 0
; COMPUTE_PGM_RSRC2:USER_SGPR: 2
; COMPUTE_PGM_RSRC2:TRAP_HANDLER: 0
; COMPUTE_PGM_RSRC2:TGID_X_EN: 1
; COMPUTE_PGM_RSRC2:TGID_Y_EN: 0
; COMPUTE_PGM_RSRC2:TGID_Z_EN: 0
; COMPUTE_PGM_RSRC2:TIDIG_COMP_CNT: 0
; COMPUTE_PGM_RSRC3_GFX90A:ACCUM_OFFSET: 0
; COMPUTE_PGM_RSRC3_GFX90A:TG_SPLIT: 0
	.section	.text._ZN7rocprim17ROCPRIM_400000_NS6detail17trampoline_kernelINS0_14default_configENS1_25partition_config_selectorILNS1_17partition_subalgoE8ElNS0_10empty_typeEbEEZZNS1_14partition_implILS5_8ELb0ES3_jPlPS6_PKS6_NS0_5tupleIJS9_S6_EEENSD_IJSA_SA_EEENS0_18inequality_wrapperIZN2at6native12_GLOBAL__N_124unique_dim_cuda_templateIlEESt5tupleIJNSH_6TensorESM_SM_EERKSM_lbbbEUlllE0_EEPmJS6_EEE10hipError_tPvRmT3_T4_T5_T6_T7_T9_mT8_P12ihipStream_tbDpT10_ENKUlT_T0_E_clISt17integral_constantIbLb0EES1C_EEDaS17_S18_EUlS17_E_NS1_11comp_targetILNS1_3genE3ELNS1_11target_archE908ELNS1_3gpuE7ELNS1_3repE0EEENS1_30default_config_static_selectorELNS0_4arch9wavefront6targetE1EEEvT1_,"axG",@progbits,_ZN7rocprim17ROCPRIM_400000_NS6detail17trampoline_kernelINS0_14default_configENS1_25partition_config_selectorILNS1_17partition_subalgoE8ElNS0_10empty_typeEbEEZZNS1_14partition_implILS5_8ELb0ES3_jPlPS6_PKS6_NS0_5tupleIJS9_S6_EEENSD_IJSA_SA_EEENS0_18inequality_wrapperIZN2at6native12_GLOBAL__N_124unique_dim_cuda_templateIlEESt5tupleIJNSH_6TensorESM_SM_EERKSM_lbbbEUlllE0_EEPmJS6_EEE10hipError_tPvRmT3_T4_T5_T6_T7_T9_mT8_P12ihipStream_tbDpT10_ENKUlT_T0_E_clISt17integral_constantIbLb0EES1C_EEDaS17_S18_EUlS17_E_NS1_11comp_targetILNS1_3genE3ELNS1_11target_archE908ELNS1_3gpuE7ELNS1_3repE0EEENS1_30default_config_static_selectorELNS0_4arch9wavefront6targetE1EEEvT1_,comdat
	.globl	_ZN7rocprim17ROCPRIM_400000_NS6detail17trampoline_kernelINS0_14default_configENS1_25partition_config_selectorILNS1_17partition_subalgoE8ElNS0_10empty_typeEbEEZZNS1_14partition_implILS5_8ELb0ES3_jPlPS6_PKS6_NS0_5tupleIJS9_S6_EEENSD_IJSA_SA_EEENS0_18inequality_wrapperIZN2at6native12_GLOBAL__N_124unique_dim_cuda_templateIlEESt5tupleIJNSH_6TensorESM_SM_EERKSM_lbbbEUlllE0_EEPmJS6_EEE10hipError_tPvRmT3_T4_T5_T6_T7_T9_mT8_P12ihipStream_tbDpT10_ENKUlT_T0_E_clISt17integral_constantIbLb0EES1C_EEDaS17_S18_EUlS17_E_NS1_11comp_targetILNS1_3genE3ELNS1_11target_archE908ELNS1_3gpuE7ELNS1_3repE0EEENS1_30default_config_static_selectorELNS0_4arch9wavefront6targetE1EEEvT1_ ; -- Begin function _ZN7rocprim17ROCPRIM_400000_NS6detail17trampoline_kernelINS0_14default_configENS1_25partition_config_selectorILNS1_17partition_subalgoE8ElNS0_10empty_typeEbEEZZNS1_14partition_implILS5_8ELb0ES3_jPlPS6_PKS6_NS0_5tupleIJS9_S6_EEENSD_IJSA_SA_EEENS0_18inequality_wrapperIZN2at6native12_GLOBAL__N_124unique_dim_cuda_templateIlEESt5tupleIJNSH_6TensorESM_SM_EERKSM_lbbbEUlllE0_EEPmJS6_EEE10hipError_tPvRmT3_T4_T5_T6_T7_T9_mT8_P12ihipStream_tbDpT10_ENKUlT_T0_E_clISt17integral_constantIbLb0EES1C_EEDaS17_S18_EUlS17_E_NS1_11comp_targetILNS1_3genE3ELNS1_11target_archE908ELNS1_3gpuE7ELNS1_3repE0EEENS1_30default_config_static_selectorELNS0_4arch9wavefront6targetE1EEEvT1_
	.p2align	8
	.type	_ZN7rocprim17ROCPRIM_400000_NS6detail17trampoline_kernelINS0_14default_configENS1_25partition_config_selectorILNS1_17partition_subalgoE8ElNS0_10empty_typeEbEEZZNS1_14partition_implILS5_8ELb0ES3_jPlPS6_PKS6_NS0_5tupleIJS9_S6_EEENSD_IJSA_SA_EEENS0_18inequality_wrapperIZN2at6native12_GLOBAL__N_124unique_dim_cuda_templateIlEESt5tupleIJNSH_6TensorESM_SM_EERKSM_lbbbEUlllE0_EEPmJS6_EEE10hipError_tPvRmT3_T4_T5_T6_T7_T9_mT8_P12ihipStream_tbDpT10_ENKUlT_T0_E_clISt17integral_constantIbLb0EES1C_EEDaS17_S18_EUlS17_E_NS1_11comp_targetILNS1_3genE3ELNS1_11target_archE908ELNS1_3gpuE7ELNS1_3repE0EEENS1_30default_config_static_selectorELNS0_4arch9wavefront6targetE1EEEvT1_,@function
_ZN7rocprim17ROCPRIM_400000_NS6detail17trampoline_kernelINS0_14default_configENS1_25partition_config_selectorILNS1_17partition_subalgoE8ElNS0_10empty_typeEbEEZZNS1_14partition_implILS5_8ELb0ES3_jPlPS6_PKS6_NS0_5tupleIJS9_S6_EEENSD_IJSA_SA_EEENS0_18inequality_wrapperIZN2at6native12_GLOBAL__N_124unique_dim_cuda_templateIlEESt5tupleIJNSH_6TensorESM_SM_EERKSM_lbbbEUlllE0_EEPmJS6_EEE10hipError_tPvRmT3_T4_T5_T6_T7_T9_mT8_P12ihipStream_tbDpT10_ENKUlT_T0_E_clISt17integral_constantIbLb0EES1C_EEDaS17_S18_EUlS17_E_NS1_11comp_targetILNS1_3genE3ELNS1_11target_archE908ELNS1_3gpuE7ELNS1_3repE0EEENS1_30default_config_static_selectorELNS0_4arch9wavefront6targetE1EEEvT1_: ; @_ZN7rocprim17ROCPRIM_400000_NS6detail17trampoline_kernelINS0_14default_configENS1_25partition_config_selectorILNS1_17partition_subalgoE8ElNS0_10empty_typeEbEEZZNS1_14partition_implILS5_8ELb0ES3_jPlPS6_PKS6_NS0_5tupleIJS9_S6_EEENSD_IJSA_SA_EEENS0_18inequality_wrapperIZN2at6native12_GLOBAL__N_124unique_dim_cuda_templateIlEESt5tupleIJNSH_6TensorESM_SM_EERKSM_lbbbEUlllE0_EEPmJS6_EEE10hipError_tPvRmT3_T4_T5_T6_T7_T9_mT8_P12ihipStream_tbDpT10_ENKUlT_T0_E_clISt17integral_constantIbLb0EES1C_EEDaS17_S18_EUlS17_E_NS1_11comp_targetILNS1_3genE3ELNS1_11target_archE908ELNS1_3gpuE7ELNS1_3repE0EEENS1_30default_config_static_selectorELNS0_4arch9wavefront6targetE1EEEvT1_
; %bb.0:
	.section	.rodata,"a",@progbits
	.p2align	6, 0x0
	.amdhsa_kernel _ZN7rocprim17ROCPRIM_400000_NS6detail17trampoline_kernelINS0_14default_configENS1_25partition_config_selectorILNS1_17partition_subalgoE8ElNS0_10empty_typeEbEEZZNS1_14partition_implILS5_8ELb0ES3_jPlPS6_PKS6_NS0_5tupleIJS9_S6_EEENSD_IJSA_SA_EEENS0_18inequality_wrapperIZN2at6native12_GLOBAL__N_124unique_dim_cuda_templateIlEESt5tupleIJNSH_6TensorESM_SM_EERKSM_lbbbEUlllE0_EEPmJS6_EEE10hipError_tPvRmT3_T4_T5_T6_T7_T9_mT8_P12ihipStream_tbDpT10_ENKUlT_T0_E_clISt17integral_constantIbLb0EES1C_EEDaS17_S18_EUlS17_E_NS1_11comp_targetILNS1_3genE3ELNS1_11target_archE908ELNS1_3gpuE7ELNS1_3repE0EEENS1_30default_config_static_selectorELNS0_4arch9wavefront6targetE1EEEvT1_
		.amdhsa_group_segment_fixed_size 0
		.amdhsa_private_segment_fixed_size 0
		.amdhsa_kernarg_size 120
		.amdhsa_user_sgpr_count 2
		.amdhsa_user_sgpr_dispatch_ptr 0
		.amdhsa_user_sgpr_queue_ptr 0
		.amdhsa_user_sgpr_kernarg_segment_ptr 1
		.amdhsa_user_sgpr_dispatch_id 0
		.amdhsa_user_sgpr_kernarg_preload_length 0
		.amdhsa_user_sgpr_kernarg_preload_offset 0
		.amdhsa_user_sgpr_private_segment_size 0
		.amdhsa_uses_dynamic_stack 0
		.amdhsa_enable_private_segment 0
		.amdhsa_system_sgpr_workgroup_id_x 1
		.amdhsa_system_sgpr_workgroup_id_y 0
		.amdhsa_system_sgpr_workgroup_id_z 0
		.amdhsa_system_sgpr_workgroup_info 0
		.amdhsa_system_vgpr_workitem_id 0
		.amdhsa_next_free_vgpr 1
		.amdhsa_next_free_sgpr 0
		.amdhsa_accum_offset 4
		.amdhsa_reserve_vcc 0
		.amdhsa_float_round_mode_32 0
		.amdhsa_float_round_mode_16_64 0
		.amdhsa_float_denorm_mode_32 3
		.amdhsa_float_denorm_mode_16_64 3
		.amdhsa_dx10_clamp 1
		.amdhsa_ieee_mode 1
		.amdhsa_fp16_overflow 0
		.amdhsa_tg_split 0
		.amdhsa_exception_fp_ieee_invalid_op 0
		.amdhsa_exception_fp_denorm_src 0
		.amdhsa_exception_fp_ieee_div_zero 0
		.amdhsa_exception_fp_ieee_overflow 0
		.amdhsa_exception_fp_ieee_underflow 0
		.amdhsa_exception_fp_ieee_inexact 0
		.amdhsa_exception_int_div_zero 0
	.end_amdhsa_kernel
	.section	.text._ZN7rocprim17ROCPRIM_400000_NS6detail17trampoline_kernelINS0_14default_configENS1_25partition_config_selectorILNS1_17partition_subalgoE8ElNS0_10empty_typeEbEEZZNS1_14partition_implILS5_8ELb0ES3_jPlPS6_PKS6_NS0_5tupleIJS9_S6_EEENSD_IJSA_SA_EEENS0_18inequality_wrapperIZN2at6native12_GLOBAL__N_124unique_dim_cuda_templateIlEESt5tupleIJNSH_6TensorESM_SM_EERKSM_lbbbEUlllE0_EEPmJS6_EEE10hipError_tPvRmT3_T4_T5_T6_T7_T9_mT8_P12ihipStream_tbDpT10_ENKUlT_T0_E_clISt17integral_constantIbLb0EES1C_EEDaS17_S18_EUlS17_E_NS1_11comp_targetILNS1_3genE3ELNS1_11target_archE908ELNS1_3gpuE7ELNS1_3repE0EEENS1_30default_config_static_selectorELNS0_4arch9wavefront6targetE1EEEvT1_,"axG",@progbits,_ZN7rocprim17ROCPRIM_400000_NS6detail17trampoline_kernelINS0_14default_configENS1_25partition_config_selectorILNS1_17partition_subalgoE8ElNS0_10empty_typeEbEEZZNS1_14partition_implILS5_8ELb0ES3_jPlPS6_PKS6_NS0_5tupleIJS9_S6_EEENSD_IJSA_SA_EEENS0_18inequality_wrapperIZN2at6native12_GLOBAL__N_124unique_dim_cuda_templateIlEESt5tupleIJNSH_6TensorESM_SM_EERKSM_lbbbEUlllE0_EEPmJS6_EEE10hipError_tPvRmT3_T4_T5_T6_T7_T9_mT8_P12ihipStream_tbDpT10_ENKUlT_T0_E_clISt17integral_constantIbLb0EES1C_EEDaS17_S18_EUlS17_E_NS1_11comp_targetILNS1_3genE3ELNS1_11target_archE908ELNS1_3gpuE7ELNS1_3repE0EEENS1_30default_config_static_selectorELNS0_4arch9wavefront6targetE1EEEvT1_,comdat
.Lfunc_end566:
	.size	_ZN7rocprim17ROCPRIM_400000_NS6detail17trampoline_kernelINS0_14default_configENS1_25partition_config_selectorILNS1_17partition_subalgoE8ElNS0_10empty_typeEbEEZZNS1_14partition_implILS5_8ELb0ES3_jPlPS6_PKS6_NS0_5tupleIJS9_S6_EEENSD_IJSA_SA_EEENS0_18inequality_wrapperIZN2at6native12_GLOBAL__N_124unique_dim_cuda_templateIlEESt5tupleIJNSH_6TensorESM_SM_EERKSM_lbbbEUlllE0_EEPmJS6_EEE10hipError_tPvRmT3_T4_T5_T6_T7_T9_mT8_P12ihipStream_tbDpT10_ENKUlT_T0_E_clISt17integral_constantIbLb0EES1C_EEDaS17_S18_EUlS17_E_NS1_11comp_targetILNS1_3genE3ELNS1_11target_archE908ELNS1_3gpuE7ELNS1_3repE0EEENS1_30default_config_static_selectorELNS0_4arch9wavefront6targetE1EEEvT1_, .Lfunc_end566-_ZN7rocprim17ROCPRIM_400000_NS6detail17trampoline_kernelINS0_14default_configENS1_25partition_config_selectorILNS1_17partition_subalgoE8ElNS0_10empty_typeEbEEZZNS1_14partition_implILS5_8ELb0ES3_jPlPS6_PKS6_NS0_5tupleIJS9_S6_EEENSD_IJSA_SA_EEENS0_18inequality_wrapperIZN2at6native12_GLOBAL__N_124unique_dim_cuda_templateIlEESt5tupleIJNSH_6TensorESM_SM_EERKSM_lbbbEUlllE0_EEPmJS6_EEE10hipError_tPvRmT3_T4_T5_T6_T7_T9_mT8_P12ihipStream_tbDpT10_ENKUlT_T0_E_clISt17integral_constantIbLb0EES1C_EEDaS17_S18_EUlS17_E_NS1_11comp_targetILNS1_3genE3ELNS1_11target_archE908ELNS1_3gpuE7ELNS1_3repE0EEENS1_30default_config_static_selectorELNS0_4arch9wavefront6targetE1EEEvT1_
                                        ; -- End function
	.set _ZN7rocprim17ROCPRIM_400000_NS6detail17trampoline_kernelINS0_14default_configENS1_25partition_config_selectorILNS1_17partition_subalgoE8ElNS0_10empty_typeEbEEZZNS1_14partition_implILS5_8ELb0ES3_jPlPS6_PKS6_NS0_5tupleIJS9_S6_EEENSD_IJSA_SA_EEENS0_18inequality_wrapperIZN2at6native12_GLOBAL__N_124unique_dim_cuda_templateIlEESt5tupleIJNSH_6TensorESM_SM_EERKSM_lbbbEUlllE0_EEPmJS6_EEE10hipError_tPvRmT3_T4_T5_T6_T7_T9_mT8_P12ihipStream_tbDpT10_ENKUlT_T0_E_clISt17integral_constantIbLb0EES1C_EEDaS17_S18_EUlS17_E_NS1_11comp_targetILNS1_3genE3ELNS1_11target_archE908ELNS1_3gpuE7ELNS1_3repE0EEENS1_30default_config_static_selectorELNS0_4arch9wavefront6targetE1EEEvT1_.num_vgpr, 0
	.set _ZN7rocprim17ROCPRIM_400000_NS6detail17trampoline_kernelINS0_14default_configENS1_25partition_config_selectorILNS1_17partition_subalgoE8ElNS0_10empty_typeEbEEZZNS1_14partition_implILS5_8ELb0ES3_jPlPS6_PKS6_NS0_5tupleIJS9_S6_EEENSD_IJSA_SA_EEENS0_18inequality_wrapperIZN2at6native12_GLOBAL__N_124unique_dim_cuda_templateIlEESt5tupleIJNSH_6TensorESM_SM_EERKSM_lbbbEUlllE0_EEPmJS6_EEE10hipError_tPvRmT3_T4_T5_T6_T7_T9_mT8_P12ihipStream_tbDpT10_ENKUlT_T0_E_clISt17integral_constantIbLb0EES1C_EEDaS17_S18_EUlS17_E_NS1_11comp_targetILNS1_3genE3ELNS1_11target_archE908ELNS1_3gpuE7ELNS1_3repE0EEENS1_30default_config_static_selectorELNS0_4arch9wavefront6targetE1EEEvT1_.num_agpr, 0
	.set _ZN7rocprim17ROCPRIM_400000_NS6detail17trampoline_kernelINS0_14default_configENS1_25partition_config_selectorILNS1_17partition_subalgoE8ElNS0_10empty_typeEbEEZZNS1_14partition_implILS5_8ELb0ES3_jPlPS6_PKS6_NS0_5tupleIJS9_S6_EEENSD_IJSA_SA_EEENS0_18inequality_wrapperIZN2at6native12_GLOBAL__N_124unique_dim_cuda_templateIlEESt5tupleIJNSH_6TensorESM_SM_EERKSM_lbbbEUlllE0_EEPmJS6_EEE10hipError_tPvRmT3_T4_T5_T6_T7_T9_mT8_P12ihipStream_tbDpT10_ENKUlT_T0_E_clISt17integral_constantIbLb0EES1C_EEDaS17_S18_EUlS17_E_NS1_11comp_targetILNS1_3genE3ELNS1_11target_archE908ELNS1_3gpuE7ELNS1_3repE0EEENS1_30default_config_static_selectorELNS0_4arch9wavefront6targetE1EEEvT1_.numbered_sgpr, 0
	.set _ZN7rocprim17ROCPRIM_400000_NS6detail17trampoline_kernelINS0_14default_configENS1_25partition_config_selectorILNS1_17partition_subalgoE8ElNS0_10empty_typeEbEEZZNS1_14partition_implILS5_8ELb0ES3_jPlPS6_PKS6_NS0_5tupleIJS9_S6_EEENSD_IJSA_SA_EEENS0_18inequality_wrapperIZN2at6native12_GLOBAL__N_124unique_dim_cuda_templateIlEESt5tupleIJNSH_6TensorESM_SM_EERKSM_lbbbEUlllE0_EEPmJS6_EEE10hipError_tPvRmT3_T4_T5_T6_T7_T9_mT8_P12ihipStream_tbDpT10_ENKUlT_T0_E_clISt17integral_constantIbLb0EES1C_EEDaS17_S18_EUlS17_E_NS1_11comp_targetILNS1_3genE3ELNS1_11target_archE908ELNS1_3gpuE7ELNS1_3repE0EEENS1_30default_config_static_selectorELNS0_4arch9wavefront6targetE1EEEvT1_.num_named_barrier, 0
	.set _ZN7rocprim17ROCPRIM_400000_NS6detail17trampoline_kernelINS0_14default_configENS1_25partition_config_selectorILNS1_17partition_subalgoE8ElNS0_10empty_typeEbEEZZNS1_14partition_implILS5_8ELb0ES3_jPlPS6_PKS6_NS0_5tupleIJS9_S6_EEENSD_IJSA_SA_EEENS0_18inequality_wrapperIZN2at6native12_GLOBAL__N_124unique_dim_cuda_templateIlEESt5tupleIJNSH_6TensorESM_SM_EERKSM_lbbbEUlllE0_EEPmJS6_EEE10hipError_tPvRmT3_T4_T5_T6_T7_T9_mT8_P12ihipStream_tbDpT10_ENKUlT_T0_E_clISt17integral_constantIbLb0EES1C_EEDaS17_S18_EUlS17_E_NS1_11comp_targetILNS1_3genE3ELNS1_11target_archE908ELNS1_3gpuE7ELNS1_3repE0EEENS1_30default_config_static_selectorELNS0_4arch9wavefront6targetE1EEEvT1_.private_seg_size, 0
	.set _ZN7rocprim17ROCPRIM_400000_NS6detail17trampoline_kernelINS0_14default_configENS1_25partition_config_selectorILNS1_17partition_subalgoE8ElNS0_10empty_typeEbEEZZNS1_14partition_implILS5_8ELb0ES3_jPlPS6_PKS6_NS0_5tupleIJS9_S6_EEENSD_IJSA_SA_EEENS0_18inequality_wrapperIZN2at6native12_GLOBAL__N_124unique_dim_cuda_templateIlEESt5tupleIJNSH_6TensorESM_SM_EERKSM_lbbbEUlllE0_EEPmJS6_EEE10hipError_tPvRmT3_T4_T5_T6_T7_T9_mT8_P12ihipStream_tbDpT10_ENKUlT_T0_E_clISt17integral_constantIbLb0EES1C_EEDaS17_S18_EUlS17_E_NS1_11comp_targetILNS1_3genE3ELNS1_11target_archE908ELNS1_3gpuE7ELNS1_3repE0EEENS1_30default_config_static_selectorELNS0_4arch9wavefront6targetE1EEEvT1_.uses_vcc, 0
	.set _ZN7rocprim17ROCPRIM_400000_NS6detail17trampoline_kernelINS0_14default_configENS1_25partition_config_selectorILNS1_17partition_subalgoE8ElNS0_10empty_typeEbEEZZNS1_14partition_implILS5_8ELb0ES3_jPlPS6_PKS6_NS0_5tupleIJS9_S6_EEENSD_IJSA_SA_EEENS0_18inequality_wrapperIZN2at6native12_GLOBAL__N_124unique_dim_cuda_templateIlEESt5tupleIJNSH_6TensorESM_SM_EERKSM_lbbbEUlllE0_EEPmJS6_EEE10hipError_tPvRmT3_T4_T5_T6_T7_T9_mT8_P12ihipStream_tbDpT10_ENKUlT_T0_E_clISt17integral_constantIbLb0EES1C_EEDaS17_S18_EUlS17_E_NS1_11comp_targetILNS1_3genE3ELNS1_11target_archE908ELNS1_3gpuE7ELNS1_3repE0EEENS1_30default_config_static_selectorELNS0_4arch9wavefront6targetE1EEEvT1_.uses_flat_scratch, 0
	.set _ZN7rocprim17ROCPRIM_400000_NS6detail17trampoline_kernelINS0_14default_configENS1_25partition_config_selectorILNS1_17partition_subalgoE8ElNS0_10empty_typeEbEEZZNS1_14partition_implILS5_8ELb0ES3_jPlPS6_PKS6_NS0_5tupleIJS9_S6_EEENSD_IJSA_SA_EEENS0_18inequality_wrapperIZN2at6native12_GLOBAL__N_124unique_dim_cuda_templateIlEESt5tupleIJNSH_6TensorESM_SM_EERKSM_lbbbEUlllE0_EEPmJS6_EEE10hipError_tPvRmT3_T4_T5_T6_T7_T9_mT8_P12ihipStream_tbDpT10_ENKUlT_T0_E_clISt17integral_constantIbLb0EES1C_EEDaS17_S18_EUlS17_E_NS1_11comp_targetILNS1_3genE3ELNS1_11target_archE908ELNS1_3gpuE7ELNS1_3repE0EEENS1_30default_config_static_selectorELNS0_4arch9wavefront6targetE1EEEvT1_.has_dyn_sized_stack, 0
	.set _ZN7rocprim17ROCPRIM_400000_NS6detail17trampoline_kernelINS0_14default_configENS1_25partition_config_selectorILNS1_17partition_subalgoE8ElNS0_10empty_typeEbEEZZNS1_14partition_implILS5_8ELb0ES3_jPlPS6_PKS6_NS0_5tupleIJS9_S6_EEENSD_IJSA_SA_EEENS0_18inequality_wrapperIZN2at6native12_GLOBAL__N_124unique_dim_cuda_templateIlEESt5tupleIJNSH_6TensorESM_SM_EERKSM_lbbbEUlllE0_EEPmJS6_EEE10hipError_tPvRmT3_T4_T5_T6_T7_T9_mT8_P12ihipStream_tbDpT10_ENKUlT_T0_E_clISt17integral_constantIbLb0EES1C_EEDaS17_S18_EUlS17_E_NS1_11comp_targetILNS1_3genE3ELNS1_11target_archE908ELNS1_3gpuE7ELNS1_3repE0EEENS1_30default_config_static_selectorELNS0_4arch9wavefront6targetE1EEEvT1_.has_recursion, 0
	.set _ZN7rocprim17ROCPRIM_400000_NS6detail17trampoline_kernelINS0_14default_configENS1_25partition_config_selectorILNS1_17partition_subalgoE8ElNS0_10empty_typeEbEEZZNS1_14partition_implILS5_8ELb0ES3_jPlPS6_PKS6_NS0_5tupleIJS9_S6_EEENSD_IJSA_SA_EEENS0_18inequality_wrapperIZN2at6native12_GLOBAL__N_124unique_dim_cuda_templateIlEESt5tupleIJNSH_6TensorESM_SM_EERKSM_lbbbEUlllE0_EEPmJS6_EEE10hipError_tPvRmT3_T4_T5_T6_T7_T9_mT8_P12ihipStream_tbDpT10_ENKUlT_T0_E_clISt17integral_constantIbLb0EES1C_EEDaS17_S18_EUlS17_E_NS1_11comp_targetILNS1_3genE3ELNS1_11target_archE908ELNS1_3gpuE7ELNS1_3repE0EEENS1_30default_config_static_selectorELNS0_4arch9wavefront6targetE1EEEvT1_.has_indirect_call, 0
	.section	.AMDGPU.csdata,"",@progbits
; Kernel info:
; codeLenInByte = 0
; TotalNumSgprs: 6
; NumVgprs: 0
; NumAgprs: 0
; TotalNumVgprs: 0
; ScratchSize: 0
; MemoryBound: 0
; FloatMode: 240
; IeeeMode: 1
; LDSByteSize: 0 bytes/workgroup (compile time only)
; SGPRBlocks: 0
; VGPRBlocks: 0
; NumSGPRsForWavesPerEU: 6
; NumVGPRsForWavesPerEU: 1
; AccumOffset: 4
; Occupancy: 8
; WaveLimiterHint : 0
; COMPUTE_PGM_RSRC2:SCRATCH_EN: 0
; COMPUTE_PGM_RSRC2:USER_SGPR: 2
; COMPUTE_PGM_RSRC2:TRAP_HANDLER: 0
; COMPUTE_PGM_RSRC2:TGID_X_EN: 1
; COMPUTE_PGM_RSRC2:TGID_Y_EN: 0
; COMPUTE_PGM_RSRC2:TGID_Z_EN: 0
; COMPUTE_PGM_RSRC2:TIDIG_COMP_CNT: 0
; COMPUTE_PGM_RSRC3_GFX90A:ACCUM_OFFSET: 0
; COMPUTE_PGM_RSRC3_GFX90A:TG_SPLIT: 0
	.section	.text._ZN7rocprim17ROCPRIM_400000_NS6detail17trampoline_kernelINS0_14default_configENS1_25partition_config_selectorILNS1_17partition_subalgoE8ElNS0_10empty_typeEbEEZZNS1_14partition_implILS5_8ELb0ES3_jPlPS6_PKS6_NS0_5tupleIJS9_S6_EEENSD_IJSA_SA_EEENS0_18inequality_wrapperIZN2at6native12_GLOBAL__N_124unique_dim_cuda_templateIlEESt5tupleIJNSH_6TensorESM_SM_EERKSM_lbbbEUlllE0_EEPmJS6_EEE10hipError_tPvRmT3_T4_T5_T6_T7_T9_mT8_P12ihipStream_tbDpT10_ENKUlT_T0_E_clISt17integral_constantIbLb0EES1C_EEDaS17_S18_EUlS17_E_NS1_11comp_targetILNS1_3genE2ELNS1_11target_archE906ELNS1_3gpuE6ELNS1_3repE0EEENS1_30default_config_static_selectorELNS0_4arch9wavefront6targetE1EEEvT1_,"axG",@progbits,_ZN7rocprim17ROCPRIM_400000_NS6detail17trampoline_kernelINS0_14default_configENS1_25partition_config_selectorILNS1_17partition_subalgoE8ElNS0_10empty_typeEbEEZZNS1_14partition_implILS5_8ELb0ES3_jPlPS6_PKS6_NS0_5tupleIJS9_S6_EEENSD_IJSA_SA_EEENS0_18inequality_wrapperIZN2at6native12_GLOBAL__N_124unique_dim_cuda_templateIlEESt5tupleIJNSH_6TensorESM_SM_EERKSM_lbbbEUlllE0_EEPmJS6_EEE10hipError_tPvRmT3_T4_T5_T6_T7_T9_mT8_P12ihipStream_tbDpT10_ENKUlT_T0_E_clISt17integral_constantIbLb0EES1C_EEDaS17_S18_EUlS17_E_NS1_11comp_targetILNS1_3genE2ELNS1_11target_archE906ELNS1_3gpuE6ELNS1_3repE0EEENS1_30default_config_static_selectorELNS0_4arch9wavefront6targetE1EEEvT1_,comdat
	.globl	_ZN7rocprim17ROCPRIM_400000_NS6detail17trampoline_kernelINS0_14default_configENS1_25partition_config_selectorILNS1_17partition_subalgoE8ElNS0_10empty_typeEbEEZZNS1_14partition_implILS5_8ELb0ES3_jPlPS6_PKS6_NS0_5tupleIJS9_S6_EEENSD_IJSA_SA_EEENS0_18inequality_wrapperIZN2at6native12_GLOBAL__N_124unique_dim_cuda_templateIlEESt5tupleIJNSH_6TensorESM_SM_EERKSM_lbbbEUlllE0_EEPmJS6_EEE10hipError_tPvRmT3_T4_T5_T6_T7_T9_mT8_P12ihipStream_tbDpT10_ENKUlT_T0_E_clISt17integral_constantIbLb0EES1C_EEDaS17_S18_EUlS17_E_NS1_11comp_targetILNS1_3genE2ELNS1_11target_archE906ELNS1_3gpuE6ELNS1_3repE0EEENS1_30default_config_static_selectorELNS0_4arch9wavefront6targetE1EEEvT1_ ; -- Begin function _ZN7rocprim17ROCPRIM_400000_NS6detail17trampoline_kernelINS0_14default_configENS1_25partition_config_selectorILNS1_17partition_subalgoE8ElNS0_10empty_typeEbEEZZNS1_14partition_implILS5_8ELb0ES3_jPlPS6_PKS6_NS0_5tupleIJS9_S6_EEENSD_IJSA_SA_EEENS0_18inequality_wrapperIZN2at6native12_GLOBAL__N_124unique_dim_cuda_templateIlEESt5tupleIJNSH_6TensorESM_SM_EERKSM_lbbbEUlllE0_EEPmJS6_EEE10hipError_tPvRmT3_T4_T5_T6_T7_T9_mT8_P12ihipStream_tbDpT10_ENKUlT_T0_E_clISt17integral_constantIbLb0EES1C_EEDaS17_S18_EUlS17_E_NS1_11comp_targetILNS1_3genE2ELNS1_11target_archE906ELNS1_3gpuE6ELNS1_3repE0EEENS1_30default_config_static_selectorELNS0_4arch9wavefront6targetE1EEEvT1_
	.p2align	8
	.type	_ZN7rocprim17ROCPRIM_400000_NS6detail17trampoline_kernelINS0_14default_configENS1_25partition_config_selectorILNS1_17partition_subalgoE8ElNS0_10empty_typeEbEEZZNS1_14partition_implILS5_8ELb0ES3_jPlPS6_PKS6_NS0_5tupleIJS9_S6_EEENSD_IJSA_SA_EEENS0_18inequality_wrapperIZN2at6native12_GLOBAL__N_124unique_dim_cuda_templateIlEESt5tupleIJNSH_6TensorESM_SM_EERKSM_lbbbEUlllE0_EEPmJS6_EEE10hipError_tPvRmT3_T4_T5_T6_T7_T9_mT8_P12ihipStream_tbDpT10_ENKUlT_T0_E_clISt17integral_constantIbLb0EES1C_EEDaS17_S18_EUlS17_E_NS1_11comp_targetILNS1_3genE2ELNS1_11target_archE906ELNS1_3gpuE6ELNS1_3repE0EEENS1_30default_config_static_selectorELNS0_4arch9wavefront6targetE1EEEvT1_,@function
_ZN7rocprim17ROCPRIM_400000_NS6detail17trampoline_kernelINS0_14default_configENS1_25partition_config_selectorILNS1_17partition_subalgoE8ElNS0_10empty_typeEbEEZZNS1_14partition_implILS5_8ELb0ES3_jPlPS6_PKS6_NS0_5tupleIJS9_S6_EEENSD_IJSA_SA_EEENS0_18inequality_wrapperIZN2at6native12_GLOBAL__N_124unique_dim_cuda_templateIlEESt5tupleIJNSH_6TensorESM_SM_EERKSM_lbbbEUlllE0_EEPmJS6_EEE10hipError_tPvRmT3_T4_T5_T6_T7_T9_mT8_P12ihipStream_tbDpT10_ENKUlT_T0_E_clISt17integral_constantIbLb0EES1C_EEDaS17_S18_EUlS17_E_NS1_11comp_targetILNS1_3genE2ELNS1_11target_archE906ELNS1_3gpuE6ELNS1_3repE0EEENS1_30default_config_static_selectorELNS0_4arch9wavefront6targetE1EEEvT1_: ; @_ZN7rocprim17ROCPRIM_400000_NS6detail17trampoline_kernelINS0_14default_configENS1_25partition_config_selectorILNS1_17partition_subalgoE8ElNS0_10empty_typeEbEEZZNS1_14partition_implILS5_8ELb0ES3_jPlPS6_PKS6_NS0_5tupleIJS9_S6_EEENSD_IJSA_SA_EEENS0_18inequality_wrapperIZN2at6native12_GLOBAL__N_124unique_dim_cuda_templateIlEESt5tupleIJNSH_6TensorESM_SM_EERKSM_lbbbEUlllE0_EEPmJS6_EEE10hipError_tPvRmT3_T4_T5_T6_T7_T9_mT8_P12ihipStream_tbDpT10_ENKUlT_T0_E_clISt17integral_constantIbLb0EES1C_EEDaS17_S18_EUlS17_E_NS1_11comp_targetILNS1_3genE2ELNS1_11target_archE906ELNS1_3gpuE6ELNS1_3repE0EEENS1_30default_config_static_selectorELNS0_4arch9wavefront6targetE1EEEvT1_
; %bb.0:
	.section	.rodata,"a",@progbits
	.p2align	6, 0x0
	.amdhsa_kernel _ZN7rocprim17ROCPRIM_400000_NS6detail17trampoline_kernelINS0_14default_configENS1_25partition_config_selectorILNS1_17partition_subalgoE8ElNS0_10empty_typeEbEEZZNS1_14partition_implILS5_8ELb0ES3_jPlPS6_PKS6_NS0_5tupleIJS9_S6_EEENSD_IJSA_SA_EEENS0_18inequality_wrapperIZN2at6native12_GLOBAL__N_124unique_dim_cuda_templateIlEESt5tupleIJNSH_6TensorESM_SM_EERKSM_lbbbEUlllE0_EEPmJS6_EEE10hipError_tPvRmT3_T4_T5_T6_T7_T9_mT8_P12ihipStream_tbDpT10_ENKUlT_T0_E_clISt17integral_constantIbLb0EES1C_EEDaS17_S18_EUlS17_E_NS1_11comp_targetILNS1_3genE2ELNS1_11target_archE906ELNS1_3gpuE6ELNS1_3repE0EEENS1_30default_config_static_selectorELNS0_4arch9wavefront6targetE1EEEvT1_
		.amdhsa_group_segment_fixed_size 0
		.amdhsa_private_segment_fixed_size 0
		.amdhsa_kernarg_size 120
		.amdhsa_user_sgpr_count 2
		.amdhsa_user_sgpr_dispatch_ptr 0
		.amdhsa_user_sgpr_queue_ptr 0
		.amdhsa_user_sgpr_kernarg_segment_ptr 1
		.amdhsa_user_sgpr_dispatch_id 0
		.amdhsa_user_sgpr_kernarg_preload_length 0
		.amdhsa_user_sgpr_kernarg_preload_offset 0
		.amdhsa_user_sgpr_private_segment_size 0
		.amdhsa_uses_dynamic_stack 0
		.amdhsa_enable_private_segment 0
		.amdhsa_system_sgpr_workgroup_id_x 1
		.amdhsa_system_sgpr_workgroup_id_y 0
		.amdhsa_system_sgpr_workgroup_id_z 0
		.amdhsa_system_sgpr_workgroup_info 0
		.amdhsa_system_vgpr_workitem_id 0
		.amdhsa_next_free_vgpr 1
		.amdhsa_next_free_sgpr 0
		.amdhsa_accum_offset 4
		.amdhsa_reserve_vcc 0
		.amdhsa_float_round_mode_32 0
		.amdhsa_float_round_mode_16_64 0
		.amdhsa_float_denorm_mode_32 3
		.amdhsa_float_denorm_mode_16_64 3
		.amdhsa_dx10_clamp 1
		.amdhsa_ieee_mode 1
		.amdhsa_fp16_overflow 0
		.amdhsa_tg_split 0
		.amdhsa_exception_fp_ieee_invalid_op 0
		.amdhsa_exception_fp_denorm_src 0
		.amdhsa_exception_fp_ieee_div_zero 0
		.amdhsa_exception_fp_ieee_overflow 0
		.amdhsa_exception_fp_ieee_underflow 0
		.amdhsa_exception_fp_ieee_inexact 0
		.amdhsa_exception_int_div_zero 0
	.end_amdhsa_kernel
	.section	.text._ZN7rocprim17ROCPRIM_400000_NS6detail17trampoline_kernelINS0_14default_configENS1_25partition_config_selectorILNS1_17partition_subalgoE8ElNS0_10empty_typeEbEEZZNS1_14partition_implILS5_8ELb0ES3_jPlPS6_PKS6_NS0_5tupleIJS9_S6_EEENSD_IJSA_SA_EEENS0_18inequality_wrapperIZN2at6native12_GLOBAL__N_124unique_dim_cuda_templateIlEESt5tupleIJNSH_6TensorESM_SM_EERKSM_lbbbEUlllE0_EEPmJS6_EEE10hipError_tPvRmT3_T4_T5_T6_T7_T9_mT8_P12ihipStream_tbDpT10_ENKUlT_T0_E_clISt17integral_constantIbLb0EES1C_EEDaS17_S18_EUlS17_E_NS1_11comp_targetILNS1_3genE2ELNS1_11target_archE906ELNS1_3gpuE6ELNS1_3repE0EEENS1_30default_config_static_selectorELNS0_4arch9wavefront6targetE1EEEvT1_,"axG",@progbits,_ZN7rocprim17ROCPRIM_400000_NS6detail17trampoline_kernelINS0_14default_configENS1_25partition_config_selectorILNS1_17partition_subalgoE8ElNS0_10empty_typeEbEEZZNS1_14partition_implILS5_8ELb0ES3_jPlPS6_PKS6_NS0_5tupleIJS9_S6_EEENSD_IJSA_SA_EEENS0_18inequality_wrapperIZN2at6native12_GLOBAL__N_124unique_dim_cuda_templateIlEESt5tupleIJNSH_6TensorESM_SM_EERKSM_lbbbEUlllE0_EEPmJS6_EEE10hipError_tPvRmT3_T4_T5_T6_T7_T9_mT8_P12ihipStream_tbDpT10_ENKUlT_T0_E_clISt17integral_constantIbLb0EES1C_EEDaS17_S18_EUlS17_E_NS1_11comp_targetILNS1_3genE2ELNS1_11target_archE906ELNS1_3gpuE6ELNS1_3repE0EEENS1_30default_config_static_selectorELNS0_4arch9wavefront6targetE1EEEvT1_,comdat
.Lfunc_end567:
	.size	_ZN7rocprim17ROCPRIM_400000_NS6detail17trampoline_kernelINS0_14default_configENS1_25partition_config_selectorILNS1_17partition_subalgoE8ElNS0_10empty_typeEbEEZZNS1_14partition_implILS5_8ELb0ES3_jPlPS6_PKS6_NS0_5tupleIJS9_S6_EEENSD_IJSA_SA_EEENS0_18inequality_wrapperIZN2at6native12_GLOBAL__N_124unique_dim_cuda_templateIlEESt5tupleIJNSH_6TensorESM_SM_EERKSM_lbbbEUlllE0_EEPmJS6_EEE10hipError_tPvRmT3_T4_T5_T6_T7_T9_mT8_P12ihipStream_tbDpT10_ENKUlT_T0_E_clISt17integral_constantIbLb0EES1C_EEDaS17_S18_EUlS17_E_NS1_11comp_targetILNS1_3genE2ELNS1_11target_archE906ELNS1_3gpuE6ELNS1_3repE0EEENS1_30default_config_static_selectorELNS0_4arch9wavefront6targetE1EEEvT1_, .Lfunc_end567-_ZN7rocprim17ROCPRIM_400000_NS6detail17trampoline_kernelINS0_14default_configENS1_25partition_config_selectorILNS1_17partition_subalgoE8ElNS0_10empty_typeEbEEZZNS1_14partition_implILS5_8ELb0ES3_jPlPS6_PKS6_NS0_5tupleIJS9_S6_EEENSD_IJSA_SA_EEENS0_18inequality_wrapperIZN2at6native12_GLOBAL__N_124unique_dim_cuda_templateIlEESt5tupleIJNSH_6TensorESM_SM_EERKSM_lbbbEUlllE0_EEPmJS6_EEE10hipError_tPvRmT3_T4_T5_T6_T7_T9_mT8_P12ihipStream_tbDpT10_ENKUlT_T0_E_clISt17integral_constantIbLb0EES1C_EEDaS17_S18_EUlS17_E_NS1_11comp_targetILNS1_3genE2ELNS1_11target_archE906ELNS1_3gpuE6ELNS1_3repE0EEENS1_30default_config_static_selectorELNS0_4arch9wavefront6targetE1EEEvT1_
                                        ; -- End function
	.set _ZN7rocprim17ROCPRIM_400000_NS6detail17trampoline_kernelINS0_14default_configENS1_25partition_config_selectorILNS1_17partition_subalgoE8ElNS0_10empty_typeEbEEZZNS1_14partition_implILS5_8ELb0ES3_jPlPS6_PKS6_NS0_5tupleIJS9_S6_EEENSD_IJSA_SA_EEENS0_18inequality_wrapperIZN2at6native12_GLOBAL__N_124unique_dim_cuda_templateIlEESt5tupleIJNSH_6TensorESM_SM_EERKSM_lbbbEUlllE0_EEPmJS6_EEE10hipError_tPvRmT3_T4_T5_T6_T7_T9_mT8_P12ihipStream_tbDpT10_ENKUlT_T0_E_clISt17integral_constantIbLb0EES1C_EEDaS17_S18_EUlS17_E_NS1_11comp_targetILNS1_3genE2ELNS1_11target_archE906ELNS1_3gpuE6ELNS1_3repE0EEENS1_30default_config_static_selectorELNS0_4arch9wavefront6targetE1EEEvT1_.num_vgpr, 0
	.set _ZN7rocprim17ROCPRIM_400000_NS6detail17trampoline_kernelINS0_14default_configENS1_25partition_config_selectorILNS1_17partition_subalgoE8ElNS0_10empty_typeEbEEZZNS1_14partition_implILS5_8ELb0ES3_jPlPS6_PKS6_NS0_5tupleIJS9_S6_EEENSD_IJSA_SA_EEENS0_18inequality_wrapperIZN2at6native12_GLOBAL__N_124unique_dim_cuda_templateIlEESt5tupleIJNSH_6TensorESM_SM_EERKSM_lbbbEUlllE0_EEPmJS6_EEE10hipError_tPvRmT3_T4_T5_T6_T7_T9_mT8_P12ihipStream_tbDpT10_ENKUlT_T0_E_clISt17integral_constantIbLb0EES1C_EEDaS17_S18_EUlS17_E_NS1_11comp_targetILNS1_3genE2ELNS1_11target_archE906ELNS1_3gpuE6ELNS1_3repE0EEENS1_30default_config_static_selectorELNS0_4arch9wavefront6targetE1EEEvT1_.num_agpr, 0
	.set _ZN7rocprim17ROCPRIM_400000_NS6detail17trampoline_kernelINS0_14default_configENS1_25partition_config_selectorILNS1_17partition_subalgoE8ElNS0_10empty_typeEbEEZZNS1_14partition_implILS5_8ELb0ES3_jPlPS6_PKS6_NS0_5tupleIJS9_S6_EEENSD_IJSA_SA_EEENS0_18inequality_wrapperIZN2at6native12_GLOBAL__N_124unique_dim_cuda_templateIlEESt5tupleIJNSH_6TensorESM_SM_EERKSM_lbbbEUlllE0_EEPmJS6_EEE10hipError_tPvRmT3_T4_T5_T6_T7_T9_mT8_P12ihipStream_tbDpT10_ENKUlT_T0_E_clISt17integral_constantIbLb0EES1C_EEDaS17_S18_EUlS17_E_NS1_11comp_targetILNS1_3genE2ELNS1_11target_archE906ELNS1_3gpuE6ELNS1_3repE0EEENS1_30default_config_static_selectorELNS0_4arch9wavefront6targetE1EEEvT1_.numbered_sgpr, 0
	.set _ZN7rocprim17ROCPRIM_400000_NS6detail17trampoline_kernelINS0_14default_configENS1_25partition_config_selectorILNS1_17partition_subalgoE8ElNS0_10empty_typeEbEEZZNS1_14partition_implILS5_8ELb0ES3_jPlPS6_PKS6_NS0_5tupleIJS9_S6_EEENSD_IJSA_SA_EEENS0_18inequality_wrapperIZN2at6native12_GLOBAL__N_124unique_dim_cuda_templateIlEESt5tupleIJNSH_6TensorESM_SM_EERKSM_lbbbEUlllE0_EEPmJS6_EEE10hipError_tPvRmT3_T4_T5_T6_T7_T9_mT8_P12ihipStream_tbDpT10_ENKUlT_T0_E_clISt17integral_constantIbLb0EES1C_EEDaS17_S18_EUlS17_E_NS1_11comp_targetILNS1_3genE2ELNS1_11target_archE906ELNS1_3gpuE6ELNS1_3repE0EEENS1_30default_config_static_selectorELNS0_4arch9wavefront6targetE1EEEvT1_.num_named_barrier, 0
	.set _ZN7rocprim17ROCPRIM_400000_NS6detail17trampoline_kernelINS0_14default_configENS1_25partition_config_selectorILNS1_17partition_subalgoE8ElNS0_10empty_typeEbEEZZNS1_14partition_implILS5_8ELb0ES3_jPlPS6_PKS6_NS0_5tupleIJS9_S6_EEENSD_IJSA_SA_EEENS0_18inequality_wrapperIZN2at6native12_GLOBAL__N_124unique_dim_cuda_templateIlEESt5tupleIJNSH_6TensorESM_SM_EERKSM_lbbbEUlllE0_EEPmJS6_EEE10hipError_tPvRmT3_T4_T5_T6_T7_T9_mT8_P12ihipStream_tbDpT10_ENKUlT_T0_E_clISt17integral_constantIbLb0EES1C_EEDaS17_S18_EUlS17_E_NS1_11comp_targetILNS1_3genE2ELNS1_11target_archE906ELNS1_3gpuE6ELNS1_3repE0EEENS1_30default_config_static_selectorELNS0_4arch9wavefront6targetE1EEEvT1_.private_seg_size, 0
	.set _ZN7rocprim17ROCPRIM_400000_NS6detail17trampoline_kernelINS0_14default_configENS1_25partition_config_selectorILNS1_17partition_subalgoE8ElNS0_10empty_typeEbEEZZNS1_14partition_implILS5_8ELb0ES3_jPlPS6_PKS6_NS0_5tupleIJS9_S6_EEENSD_IJSA_SA_EEENS0_18inequality_wrapperIZN2at6native12_GLOBAL__N_124unique_dim_cuda_templateIlEESt5tupleIJNSH_6TensorESM_SM_EERKSM_lbbbEUlllE0_EEPmJS6_EEE10hipError_tPvRmT3_T4_T5_T6_T7_T9_mT8_P12ihipStream_tbDpT10_ENKUlT_T0_E_clISt17integral_constantIbLb0EES1C_EEDaS17_S18_EUlS17_E_NS1_11comp_targetILNS1_3genE2ELNS1_11target_archE906ELNS1_3gpuE6ELNS1_3repE0EEENS1_30default_config_static_selectorELNS0_4arch9wavefront6targetE1EEEvT1_.uses_vcc, 0
	.set _ZN7rocprim17ROCPRIM_400000_NS6detail17trampoline_kernelINS0_14default_configENS1_25partition_config_selectorILNS1_17partition_subalgoE8ElNS0_10empty_typeEbEEZZNS1_14partition_implILS5_8ELb0ES3_jPlPS6_PKS6_NS0_5tupleIJS9_S6_EEENSD_IJSA_SA_EEENS0_18inequality_wrapperIZN2at6native12_GLOBAL__N_124unique_dim_cuda_templateIlEESt5tupleIJNSH_6TensorESM_SM_EERKSM_lbbbEUlllE0_EEPmJS6_EEE10hipError_tPvRmT3_T4_T5_T6_T7_T9_mT8_P12ihipStream_tbDpT10_ENKUlT_T0_E_clISt17integral_constantIbLb0EES1C_EEDaS17_S18_EUlS17_E_NS1_11comp_targetILNS1_3genE2ELNS1_11target_archE906ELNS1_3gpuE6ELNS1_3repE0EEENS1_30default_config_static_selectorELNS0_4arch9wavefront6targetE1EEEvT1_.uses_flat_scratch, 0
	.set _ZN7rocprim17ROCPRIM_400000_NS6detail17trampoline_kernelINS0_14default_configENS1_25partition_config_selectorILNS1_17partition_subalgoE8ElNS0_10empty_typeEbEEZZNS1_14partition_implILS5_8ELb0ES3_jPlPS6_PKS6_NS0_5tupleIJS9_S6_EEENSD_IJSA_SA_EEENS0_18inequality_wrapperIZN2at6native12_GLOBAL__N_124unique_dim_cuda_templateIlEESt5tupleIJNSH_6TensorESM_SM_EERKSM_lbbbEUlllE0_EEPmJS6_EEE10hipError_tPvRmT3_T4_T5_T6_T7_T9_mT8_P12ihipStream_tbDpT10_ENKUlT_T0_E_clISt17integral_constantIbLb0EES1C_EEDaS17_S18_EUlS17_E_NS1_11comp_targetILNS1_3genE2ELNS1_11target_archE906ELNS1_3gpuE6ELNS1_3repE0EEENS1_30default_config_static_selectorELNS0_4arch9wavefront6targetE1EEEvT1_.has_dyn_sized_stack, 0
	.set _ZN7rocprim17ROCPRIM_400000_NS6detail17trampoline_kernelINS0_14default_configENS1_25partition_config_selectorILNS1_17partition_subalgoE8ElNS0_10empty_typeEbEEZZNS1_14partition_implILS5_8ELb0ES3_jPlPS6_PKS6_NS0_5tupleIJS9_S6_EEENSD_IJSA_SA_EEENS0_18inequality_wrapperIZN2at6native12_GLOBAL__N_124unique_dim_cuda_templateIlEESt5tupleIJNSH_6TensorESM_SM_EERKSM_lbbbEUlllE0_EEPmJS6_EEE10hipError_tPvRmT3_T4_T5_T6_T7_T9_mT8_P12ihipStream_tbDpT10_ENKUlT_T0_E_clISt17integral_constantIbLb0EES1C_EEDaS17_S18_EUlS17_E_NS1_11comp_targetILNS1_3genE2ELNS1_11target_archE906ELNS1_3gpuE6ELNS1_3repE0EEENS1_30default_config_static_selectorELNS0_4arch9wavefront6targetE1EEEvT1_.has_recursion, 0
	.set _ZN7rocprim17ROCPRIM_400000_NS6detail17trampoline_kernelINS0_14default_configENS1_25partition_config_selectorILNS1_17partition_subalgoE8ElNS0_10empty_typeEbEEZZNS1_14partition_implILS5_8ELb0ES3_jPlPS6_PKS6_NS0_5tupleIJS9_S6_EEENSD_IJSA_SA_EEENS0_18inequality_wrapperIZN2at6native12_GLOBAL__N_124unique_dim_cuda_templateIlEESt5tupleIJNSH_6TensorESM_SM_EERKSM_lbbbEUlllE0_EEPmJS6_EEE10hipError_tPvRmT3_T4_T5_T6_T7_T9_mT8_P12ihipStream_tbDpT10_ENKUlT_T0_E_clISt17integral_constantIbLb0EES1C_EEDaS17_S18_EUlS17_E_NS1_11comp_targetILNS1_3genE2ELNS1_11target_archE906ELNS1_3gpuE6ELNS1_3repE0EEENS1_30default_config_static_selectorELNS0_4arch9wavefront6targetE1EEEvT1_.has_indirect_call, 0
	.section	.AMDGPU.csdata,"",@progbits
; Kernel info:
; codeLenInByte = 0
; TotalNumSgprs: 6
; NumVgprs: 0
; NumAgprs: 0
; TotalNumVgprs: 0
; ScratchSize: 0
; MemoryBound: 0
; FloatMode: 240
; IeeeMode: 1
; LDSByteSize: 0 bytes/workgroup (compile time only)
; SGPRBlocks: 0
; VGPRBlocks: 0
; NumSGPRsForWavesPerEU: 6
; NumVGPRsForWavesPerEU: 1
; AccumOffset: 4
; Occupancy: 8
; WaveLimiterHint : 0
; COMPUTE_PGM_RSRC2:SCRATCH_EN: 0
; COMPUTE_PGM_RSRC2:USER_SGPR: 2
; COMPUTE_PGM_RSRC2:TRAP_HANDLER: 0
; COMPUTE_PGM_RSRC2:TGID_X_EN: 1
; COMPUTE_PGM_RSRC2:TGID_Y_EN: 0
; COMPUTE_PGM_RSRC2:TGID_Z_EN: 0
; COMPUTE_PGM_RSRC2:TIDIG_COMP_CNT: 0
; COMPUTE_PGM_RSRC3_GFX90A:ACCUM_OFFSET: 0
; COMPUTE_PGM_RSRC3_GFX90A:TG_SPLIT: 0
	.section	.text._ZN7rocprim17ROCPRIM_400000_NS6detail17trampoline_kernelINS0_14default_configENS1_25partition_config_selectorILNS1_17partition_subalgoE8ElNS0_10empty_typeEbEEZZNS1_14partition_implILS5_8ELb0ES3_jPlPS6_PKS6_NS0_5tupleIJS9_S6_EEENSD_IJSA_SA_EEENS0_18inequality_wrapperIZN2at6native12_GLOBAL__N_124unique_dim_cuda_templateIlEESt5tupleIJNSH_6TensorESM_SM_EERKSM_lbbbEUlllE0_EEPmJS6_EEE10hipError_tPvRmT3_T4_T5_T6_T7_T9_mT8_P12ihipStream_tbDpT10_ENKUlT_T0_E_clISt17integral_constantIbLb0EES1C_EEDaS17_S18_EUlS17_E_NS1_11comp_targetILNS1_3genE10ELNS1_11target_archE1200ELNS1_3gpuE4ELNS1_3repE0EEENS1_30default_config_static_selectorELNS0_4arch9wavefront6targetE1EEEvT1_,"axG",@progbits,_ZN7rocprim17ROCPRIM_400000_NS6detail17trampoline_kernelINS0_14default_configENS1_25partition_config_selectorILNS1_17partition_subalgoE8ElNS0_10empty_typeEbEEZZNS1_14partition_implILS5_8ELb0ES3_jPlPS6_PKS6_NS0_5tupleIJS9_S6_EEENSD_IJSA_SA_EEENS0_18inequality_wrapperIZN2at6native12_GLOBAL__N_124unique_dim_cuda_templateIlEESt5tupleIJNSH_6TensorESM_SM_EERKSM_lbbbEUlllE0_EEPmJS6_EEE10hipError_tPvRmT3_T4_T5_T6_T7_T9_mT8_P12ihipStream_tbDpT10_ENKUlT_T0_E_clISt17integral_constantIbLb0EES1C_EEDaS17_S18_EUlS17_E_NS1_11comp_targetILNS1_3genE10ELNS1_11target_archE1200ELNS1_3gpuE4ELNS1_3repE0EEENS1_30default_config_static_selectorELNS0_4arch9wavefront6targetE1EEEvT1_,comdat
	.globl	_ZN7rocprim17ROCPRIM_400000_NS6detail17trampoline_kernelINS0_14default_configENS1_25partition_config_selectorILNS1_17partition_subalgoE8ElNS0_10empty_typeEbEEZZNS1_14partition_implILS5_8ELb0ES3_jPlPS6_PKS6_NS0_5tupleIJS9_S6_EEENSD_IJSA_SA_EEENS0_18inequality_wrapperIZN2at6native12_GLOBAL__N_124unique_dim_cuda_templateIlEESt5tupleIJNSH_6TensorESM_SM_EERKSM_lbbbEUlllE0_EEPmJS6_EEE10hipError_tPvRmT3_T4_T5_T6_T7_T9_mT8_P12ihipStream_tbDpT10_ENKUlT_T0_E_clISt17integral_constantIbLb0EES1C_EEDaS17_S18_EUlS17_E_NS1_11comp_targetILNS1_3genE10ELNS1_11target_archE1200ELNS1_3gpuE4ELNS1_3repE0EEENS1_30default_config_static_selectorELNS0_4arch9wavefront6targetE1EEEvT1_ ; -- Begin function _ZN7rocprim17ROCPRIM_400000_NS6detail17trampoline_kernelINS0_14default_configENS1_25partition_config_selectorILNS1_17partition_subalgoE8ElNS0_10empty_typeEbEEZZNS1_14partition_implILS5_8ELb0ES3_jPlPS6_PKS6_NS0_5tupleIJS9_S6_EEENSD_IJSA_SA_EEENS0_18inequality_wrapperIZN2at6native12_GLOBAL__N_124unique_dim_cuda_templateIlEESt5tupleIJNSH_6TensorESM_SM_EERKSM_lbbbEUlllE0_EEPmJS6_EEE10hipError_tPvRmT3_T4_T5_T6_T7_T9_mT8_P12ihipStream_tbDpT10_ENKUlT_T0_E_clISt17integral_constantIbLb0EES1C_EEDaS17_S18_EUlS17_E_NS1_11comp_targetILNS1_3genE10ELNS1_11target_archE1200ELNS1_3gpuE4ELNS1_3repE0EEENS1_30default_config_static_selectorELNS0_4arch9wavefront6targetE1EEEvT1_
	.p2align	8
	.type	_ZN7rocprim17ROCPRIM_400000_NS6detail17trampoline_kernelINS0_14default_configENS1_25partition_config_selectorILNS1_17partition_subalgoE8ElNS0_10empty_typeEbEEZZNS1_14partition_implILS5_8ELb0ES3_jPlPS6_PKS6_NS0_5tupleIJS9_S6_EEENSD_IJSA_SA_EEENS0_18inequality_wrapperIZN2at6native12_GLOBAL__N_124unique_dim_cuda_templateIlEESt5tupleIJNSH_6TensorESM_SM_EERKSM_lbbbEUlllE0_EEPmJS6_EEE10hipError_tPvRmT3_T4_T5_T6_T7_T9_mT8_P12ihipStream_tbDpT10_ENKUlT_T0_E_clISt17integral_constantIbLb0EES1C_EEDaS17_S18_EUlS17_E_NS1_11comp_targetILNS1_3genE10ELNS1_11target_archE1200ELNS1_3gpuE4ELNS1_3repE0EEENS1_30default_config_static_selectorELNS0_4arch9wavefront6targetE1EEEvT1_,@function
_ZN7rocprim17ROCPRIM_400000_NS6detail17trampoline_kernelINS0_14default_configENS1_25partition_config_selectorILNS1_17partition_subalgoE8ElNS0_10empty_typeEbEEZZNS1_14partition_implILS5_8ELb0ES3_jPlPS6_PKS6_NS0_5tupleIJS9_S6_EEENSD_IJSA_SA_EEENS0_18inequality_wrapperIZN2at6native12_GLOBAL__N_124unique_dim_cuda_templateIlEESt5tupleIJNSH_6TensorESM_SM_EERKSM_lbbbEUlllE0_EEPmJS6_EEE10hipError_tPvRmT3_T4_T5_T6_T7_T9_mT8_P12ihipStream_tbDpT10_ENKUlT_T0_E_clISt17integral_constantIbLb0EES1C_EEDaS17_S18_EUlS17_E_NS1_11comp_targetILNS1_3genE10ELNS1_11target_archE1200ELNS1_3gpuE4ELNS1_3repE0EEENS1_30default_config_static_selectorELNS0_4arch9wavefront6targetE1EEEvT1_: ; @_ZN7rocprim17ROCPRIM_400000_NS6detail17trampoline_kernelINS0_14default_configENS1_25partition_config_selectorILNS1_17partition_subalgoE8ElNS0_10empty_typeEbEEZZNS1_14partition_implILS5_8ELb0ES3_jPlPS6_PKS6_NS0_5tupleIJS9_S6_EEENSD_IJSA_SA_EEENS0_18inequality_wrapperIZN2at6native12_GLOBAL__N_124unique_dim_cuda_templateIlEESt5tupleIJNSH_6TensorESM_SM_EERKSM_lbbbEUlllE0_EEPmJS6_EEE10hipError_tPvRmT3_T4_T5_T6_T7_T9_mT8_P12ihipStream_tbDpT10_ENKUlT_T0_E_clISt17integral_constantIbLb0EES1C_EEDaS17_S18_EUlS17_E_NS1_11comp_targetILNS1_3genE10ELNS1_11target_archE1200ELNS1_3gpuE4ELNS1_3repE0EEENS1_30default_config_static_selectorELNS0_4arch9wavefront6targetE1EEEvT1_
; %bb.0:
	.section	.rodata,"a",@progbits
	.p2align	6, 0x0
	.amdhsa_kernel _ZN7rocprim17ROCPRIM_400000_NS6detail17trampoline_kernelINS0_14default_configENS1_25partition_config_selectorILNS1_17partition_subalgoE8ElNS0_10empty_typeEbEEZZNS1_14partition_implILS5_8ELb0ES3_jPlPS6_PKS6_NS0_5tupleIJS9_S6_EEENSD_IJSA_SA_EEENS0_18inequality_wrapperIZN2at6native12_GLOBAL__N_124unique_dim_cuda_templateIlEESt5tupleIJNSH_6TensorESM_SM_EERKSM_lbbbEUlllE0_EEPmJS6_EEE10hipError_tPvRmT3_T4_T5_T6_T7_T9_mT8_P12ihipStream_tbDpT10_ENKUlT_T0_E_clISt17integral_constantIbLb0EES1C_EEDaS17_S18_EUlS17_E_NS1_11comp_targetILNS1_3genE10ELNS1_11target_archE1200ELNS1_3gpuE4ELNS1_3repE0EEENS1_30default_config_static_selectorELNS0_4arch9wavefront6targetE1EEEvT1_
		.amdhsa_group_segment_fixed_size 0
		.amdhsa_private_segment_fixed_size 0
		.amdhsa_kernarg_size 120
		.amdhsa_user_sgpr_count 2
		.amdhsa_user_sgpr_dispatch_ptr 0
		.amdhsa_user_sgpr_queue_ptr 0
		.amdhsa_user_sgpr_kernarg_segment_ptr 1
		.amdhsa_user_sgpr_dispatch_id 0
		.amdhsa_user_sgpr_kernarg_preload_length 0
		.amdhsa_user_sgpr_kernarg_preload_offset 0
		.amdhsa_user_sgpr_private_segment_size 0
		.amdhsa_uses_dynamic_stack 0
		.amdhsa_enable_private_segment 0
		.amdhsa_system_sgpr_workgroup_id_x 1
		.amdhsa_system_sgpr_workgroup_id_y 0
		.amdhsa_system_sgpr_workgroup_id_z 0
		.amdhsa_system_sgpr_workgroup_info 0
		.amdhsa_system_vgpr_workitem_id 0
		.amdhsa_next_free_vgpr 1
		.amdhsa_next_free_sgpr 0
		.amdhsa_accum_offset 4
		.amdhsa_reserve_vcc 0
		.amdhsa_float_round_mode_32 0
		.amdhsa_float_round_mode_16_64 0
		.amdhsa_float_denorm_mode_32 3
		.amdhsa_float_denorm_mode_16_64 3
		.amdhsa_dx10_clamp 1
		.amdhsa_ieee_mode 1
		.amdhsa_fp16_overflow 0
		.amdhsa_tg_split 0
		.amdhsa_exception_fp_ieee_invalid_op 0
		.amdhsa_exception_fp_denorm_src 0
		.amdhsa_exception_fp_ieee_div_zero 0
		.amdhsa_exception_fp_ieee_overflow 0
		.amdhsa_exception_fp_ieee_underflow 0
		.amdhsa_exception_fp_ieee_inexact 0
		.amdhsa_exception_int_div_zero 0
	.end_amdhsa_kernel
	.section	.text._ZN7rocprim17ROCPRIM_400000_NS6detail17trampoline_kernelINS0_14default_configENS1_25partition_config_selectorILNS1_17partition_subalgoE8ElNS0_10empty_typeEbEEZZNS1_14partition_implILS5_8ELb0ES3_jPlPS6_PKS6_NS0_5tupleIJS9_S6_EEENSD_IJSA_SA_EEENS0_18inequality_wrapperIZN2at6native12_GLOBAL__N_124unique_dim_cuda_templateIlEESt5tupleIJNSH_6TensorESM_SM_EERKSM_lbbbEUlllE0_EEPmJS6_EEE10hipError_tPvRmT3_T4_T5_T6_T7_T9_mT8_P12ihipStream_tbDpT10_ENKUlT_T0_E_clISt17integral_constantIbLb0EES1C_EEDaS17_S18_EUlS17_E_NS1_11comp_targetILNS1_3genE10ELNS1_11target_archE1200ELNS1_3gpuE4ELNS1_3repE0EEENS1_30default_config_static_selectorELNS0_4arch9wavefront6targetE1EEEvT1_,"axG",@progbits,_ZN7rocprim17ROCPRIM_400000_NS6detail17trampoline_kernelINS0_14default_configENS1_25partition_config_selectorILNS1_17partition_subalgoE8ElNS0_10empty_typeEbEEZZNS1_14partition_implILS5_8ELb0ES3_jPlPS6_PKS6_NS0_5tupleIJS9_S6_EEENSD_IJSA_SA_EEENS0_18inequality_wrapperIZN2at6native12_GLOBAL__N_124unique_dim_cuda_templateIlEESt5tupleIJNSH_6TensorESM_SM_EERKSM_lbbbEUlllE0_EEPmJS6_EEE10hipError_tPvRmT3_T4_T5_T6_T7_T9_mT8_P12ihipStream_tbDpT10_ENKUlT_T0_E_clISt17integral_constantIbLb0EES1C_EEDaS17_S18_EUlS17_E_NS1_11comp_targetILNS1_3genE10ELNS1_11target_archE1200ELNS1_3gpuE4ELNS1_3repE0EEENS1_30default_config_static_selectorELNS0_4arch9wavefront6targetE1EEEvT1_,comdat
.Lfunc_end568:
	.size	_ZN7rocprim17ROCPRIM_400000_NS6detail17trampoline_kernelINS0_14default_configENS1_25partition_config_selectorILNS1_17partition_subalgoE8ElNS0_10empty_typeEbEEZZNS1_14partition_implILS5_8ELb0ES3_jPlPS6_PKS6_NS0_5tupleIJS9_S6_EEENSD_IJSA_SA_EEENS0_18inequality_wrapperIZN2at6native12_GLOBAL__N_124unique_dim_cuda_templateIlEESt5tupleIJNSH_6TensorESM_SM_EERKSM_lbbbEUlllE0_EEPmJS6_EEE10hipError_tPvRmT3_T4_T5_T6_T7_T9_mT8_P12ihipStream_tbDpT10_ENKUlT_T0_E_clISt17integral_constantIbLb0EES1C_EEDaS17_S18_EUlS17_E_NS1_11comp_targetILNS1_3genE10ELNS1_11target_archE1200ELNS1_3gpuE4ELNS1_3repE0EEENS1_30default_config_static_selectorELNS0_4arch9wavefront6targetE1EEEvT1_, .Lfunc_end568-_ZN7rocprim17ROCPRIM_400000_NS6detail17trampoline_kernelINS0_14default_configENS1_25partition_config_selectorILNS1_17partition_subalgoE8ElNS0_10empty_typeEbEEZZNS1_14partition_implILS5_8ELb0ES3_jPlPS6_PKS6_NS0_5tupleIJS9_S6_EEENSD_IJSA_SA_EEENS0_18inequality_wrapperIZN2at6native12_GLOBAL__N_124unique_dim_cuda_templateIlEESt5tupleIJNSH_6TensorESM_SM_EERKSM_lbbbEUlllE0_EEPmJS6_EEE10hipError_tPvRmT3_T4_T5_T6_T7_T9_mT8_P12ihipStream_tbDpT10_ENKUlT_T0_E_clISt17integral_constantIbLb0EES1C_EEDaS17_S18_EUlS17_E_NS1_11comp_targetILNS1_3genE10ELNS1_11target_archE1200ELNS1_3gpuE4ELNS1_3repE0EEENS1_30default_config_static_selectorELNS0_4arch9wavefront6targetE1EEEvT1_
                                        ; -- End function
	.set _ZN7rocprim17ROCPRIM_400000_NS6detail17trampoline_kernelINS0_14default_configENS1_25partition_config_selectorILNS1_17partition_subalgoE8ElNS0_10empty_typeEbEEZZNS1_14partition_implILS5_8ELb0ES3_jPlPS6_PKS6_NS0_5tupleIJS9_S6_EEENSD_IJSA_SA_EEENS0_18inequality_wrapperIZN2at6native12_GLOBAL__N_124unique_dim_cuda_templateIlEESt5tupleIJNSH_6TensorESM_SM_EERKSM_lbbbEUlllE0_EEPmJS6_EEE10hipError_tPvRmT3_T4_T5_T6_T7_T9_mT8_P12ihipStream_tbDpT10_ENKUlT_T0_E_clISt17integral_constantIbLb0EES1C_EEDaS17_S18_EUlS17_E_NS1_11comp_targetILNS1_3genE10ELNS1_11target_archE1200ELNS1_3gpuE4ELNS1_3repE0EEENS1_30default_config_static_selectorELNS0_4arch9wavefront6targetE1EEEvT1_.num_vgpr, 0
	.set _ZN7rocprim17ROCPRIM_400000_NS6detail17trampoline_kernelINS0_14default_configENS1_25partition_config_selectorILNS1_17partition_subalgoE8ElNS0_10empty_typeEbEEZZNS1_14partition_implILS5_8ELb0ES3_jPlPS6_PKS6_NS0_5tupleIJS9_S6_EEENSD_IJSA_SA_EEENS0_18inequality_wrapperIZN2at6native12_GLOBAL__N_124unique_dim_cuda_templateIlEESt5tupleIJNSH_6TensorESM_SM_EERKSM_lbbbEUlllE0_EEPmJS6_EEE10hipError_tPvRmT3_T4_T5_T6_T7_T9_mT8_P12ihipStream_tbDpT10_ENKUlT_T0_E_clISt17integral_constantIbLb0EES1C_EEDaS17_S18_EUlS17_E_NS1_11comp_targetILNS1_3genE10ELNS1_11target_archE1200ELNS1_3gpuE4ELNS1_3repE0EEENS1_30default_config_static_selectorELNS0_4arch9wavefront6targetE1EEEvT1_.num_agpr, 0
	.set _ZN7rocprim17ROCPRIM_400000_NS6detail17trampoline_kernelINS0_14default_configENS1_25partition_config_selectorILNS1_17partition_subalgoE8ElNS0_10empty_typeEbEEZZNS1_14partition_implILS5_8ELb0ES3_jPlPS6_PKS6_NS0_5tupleIJS9_S6_EEENSD_IJSA_SA_EEENS0_18inequality_wrapperIZN2at6native12_GLOBAL__N_124unique_dim_cuda_templateIlEESt5tupleIJNSH_6TensorESM_SM_EERKSM_lbbbEUlllE0_EEPmJS6_EEE10hipError_tPvRmT3_T4_T5_T6_T7_T9_mT8_P12ihipStream_tbDpT10_ENKUlT_T0_E_clISt17integral_constantIbLb0EES1C_EEDaS17_S18_EUlS17_E_NS1_11comp_targetILNS1_3genE10ELNS1_11target_archE1200ELNS1_3gpuE4ELNS1_3repE0EEENS1_30default_config_static_selectorELNS0_4arch9wavefront6targetE1EEEvT1_.numbered_sgpr, 0
	.set _ZN7rocprim17ROCPRIM_400000_NS6detail17trampoline_kernelINS0_14default_configENS1_25partition_config_selectorILNS1_17partition_subalgoE8ElNS0_10empty_typeEbEEZZNS1_14partition_implILS5_8ELb0ES3_jPlPS6_PKS6_NS0_5tupleIJS9_S6_EEENSD_IJSA_SA_EEENS0_18inequality_wrapperIZN2at6native12_GLOBAL__N_124unique_dim_cuda_templateIlEESt5tupleIJNSH_6TensorESM_SM_EERKSM_lbbbEUlllE0_EEPmJS6_EEE10hipError_tPvRmT3_T4_T5_T6_T7_T9_mT8_P12ihipStream_tbDpT10_ENKUlT_T0_E_clISt17integral_constantIbLb0EES1C_EEDaS17_S18_EUlS17_E_NS1_11comp_targetILNS1_3genE10ELNS1_11target_archE1200ELNS1_3gpuE4ELNS1_3repE0EEENS1_30default_config_static_selectorELNS0_4arch9wavefront6targetE1EEEvT1_.num_named_barrier, 0
	.set _ZN7rocprim17ROCPRIM_400000_NS6detail17trampoline_kernelINS0_14default_configENS1_25partition_config_selectorILNS1_17partition_subalgoE8ElNS0_10empty_typeEbEEZZNS1_14partition_implILS5_8ELb0ES3_jPlPS6_PKS6_NS0_5tupleIJS9_S6_EEENSD_IJSA_SA_EEENS0_18inequality_wrapperIZN2at6native12_GLOBAL__N_124unique_dim_cuda_templateIlEESt5tupleIJNSH_6TensorESM_SM_EERKSM_lbbbEUlllE0_EEPmJS6_EEE10hipError_tPvRmT3_T4_T5_T6_T7_T9_mT8_P12ihipStream_tbDpT10_ENKUlT_T0_E_clISt17integral_constantIbLb0EES1C_EEDaS17_S18_EUlS17_E_NS1_11comp_targetILNS1_3genE10ELNS1_11target_archE1200ELNS1_3gpuE4ELNS1_3repE0EEENS1_30default_config_static_selectorELNS0_4arch9wavefront6targetE1EEEvT1_.private_seg_size, 0
	.set _ZN7rocprim17ROCPRIM_400000_NS6detail17trampoline_kernelINS0_14default_configENS1_25partition_config_selectorILNS1_17partition_subalgoE8ElNS0_10empty_typeEbEEZZNS1_14partition_implILS5_8ELb0ES3_jPlPS6_PKS6_NS0_5tupleIJS9_S6_EEENSD_IJSA_SA_EEENS0_18inequality_wrapperIZN2at6native12_GLOBAL__N_124unique_dim_cuda_templateIlEESt5tupleIJNSH_6TensorESM_SM_EERKSM_lbbbEUlllE0_EEPmJS6_EEE10hipError_tPvRmT3_T4_T5_T6_T7_T9_mT8_P12ihipStream_tbDpT10_ENKUlT_T0_E_clISt17integral_constantIbLb0EES1C_EEDaS17_S18_EUlS17_E_NS1_11comp_targetILNS1_3genE10ELNS1_11target_archE1200ELNS1_3gpuE4ELNS1_3repE0EEENS1_30default_config_static_selectorELNS0_4arch9wavefront6targetE1EEEvT1_.uses_vcc, 0
	.set _ZN7rocprim17ROCPRIM_400000_NS6detail17trampoline_kernelINS0_14default_configENS1_25partition_config_selectorILNS1_17partition_subalgoE8ElNS0_10empty_typeEbEEZZNS1_14partition_implILS5_8ELb0ES3_jPlPS6_PKS6_NS0_5tupleIJS9_S6_EEENSD_IJSA_SA_EEENS0_18inequality_wrapperIZN2at6native12_GLOBAL__N_124unique_dim_cuda_templateIlEESt5tupleIJNSH_6TensorESM_SM_EERKSM_lbbbEUlllE0_EEPmJS6_EEE10hipError_tPvRmT3_T4_T5_T6_T7_T9_mT8_P12ihipStream_tbDpT10_ENKUlT_T0_E_clISt17integral_constantIbLb0EES1C_EEDaS17_S18_EUlS17_E_NS1_11comp_targetILNS1_3genE10ELNS1_11target_archE1200ELNS1_3gpuE4ELNS1_3repE0EEENS1_30default_config_static_selectorELNS0_4arch9wavefront6targetE1EEEvT1_.uses_flat_scratch, 0
	.set _ZN7rocprim17ROCPRIM_400000_NS6detail17trampoline_kernelINS0_14default_configENS1_25partition_config_selectorILNS1_17partition_subalgoE8ElNS0_10empty_typeEbEEZZNS1_14partition_implILS5_8ELb0ES3_jPlPS6_PKS6_NS0_5tupleIJS9_S6_EEENSD_IJSA_SA_EEENS0_18inequality_wrapperIZN2at6native12_GLOBAL__N_124unique_dim_cuda_templateIlEESt5tupleIJNSH_6TensorESM_SM_EERKSM_lbbbEUlllE0_EEPmJS6_EEE10hipError_tPvRmT3_T4_T5_T6_T7_T9_mT8_P12ihipStream_tbDpT10_ENKUlT_T0_E_clISt17integral_constantIbLb0EES1C_EEDaS17_S18_EUlS17_E_NS1_11comp_targetILNS1_3genE10ELNS1_11target_archE1200ELNS1_3gpuE4ELNS1_3repE0EEENS1_30default_config_static_selectorELNS0_4arch9wavefront6targetE1EEEvT1_.has_dyn_sized_stack, 0
	.set _ZN7rocprim17ROCPRIM_400000_NS6detail17trampoline_kernelINS0_14default_configENS1_25partition_config_selectorILNS1_17partition_subalgoE8ElNS0_10empty_typeEbEEZZNS1_14partition_implILS5_8ELb0ES3_jPlPS6_PKS6_NS0_5tupleIJS9_S6_EEENSD_IJSA_SA_EEENS0_18inequality_wrapperIZN2at6native12_GLOBAL__N_124unique_dim_cuda_templateIlEESt5tupleIJNSH_6TensorESM_SM_EERKSM_lbbbEUlllE0_EEPmJS6_EEE10hipError_tPvRmT3_T4_T5_T6_T7_T9_mT8_P12ihipStream_tbDpT10_ENKUlT_T0_E_clISt17integral_constantIbLb0EES1C_EEDaS17_S18_EUlS17_E_NS1_11comp_targetILNS1_3genE10ELNS1_11target_archE1200ELNS1_3gpuE4ELNS1_3repE0EEENS1_30default_config_static_selectorELNS0_4arch9wavefront6targetE1EEEvT1_.has_recursion, 0
	.set _ZN7rocprim17ROCPRIM_400000_NS6detail17trampoline_kernelINS0_14default_configENS1_25partition_config_selectorILNS1_17partition_subalgoE8ElNS0_10empty_typeEbEEZZNS1_14partition_implILS5_8ELb0ES3_jPlPS6_PKS6_NS0_5tupleIJS9_S6_EEENSD_IJSA_SA_EEENS0_18inequality_wrapperIZN2at6native12_GLOBAL__N_124unique_dim_cuda_templateIlEESt5tupleIJNSH_6TensorESM_SM_EERKSM_lbbbEUlllE0_EEPmJS6_EEE10hipError_tPvRmT3_T4_T5_T6_T7_T9_mT8_P12ihipStream_tbDpT10_ENKUlT_T0_E_clISt17integral_constantIbLb0EES1C_EEDaS17_S18_EUlS17_E_NS1_11comp_targetILNS1_3genE10ELNS1_11target_archE1200ELNS1_3gpuE4ELNS1_3repE0EEENS1_30default_config_static_selectorELNS0_4arch9wavefront6targetE1EEEvT1_.has_indirect_call, 0
	.section	.AMDGPU.csdata,"",@progbits
; Kernel info:
; codeLenInByte = 0
; TotalNumSgprs: 6
; NumVgprs: 0
; NumAgprs: 0
; TotalNumVgprs: 0
; ScratchSize: 0
; MemoryBound: 0
; FloatMode: 240
; IeeeMode: 1
; LDSByteSize: 0 bytes/workgroup (compile time only)
; SGPRBlocks: 0
; VGPRBlocks: 0
; NumSGPRsForWavesPerEU: 6
; NumVGPRsForWavesPerEU: 1
; AccumOffset: 4
; Occupancy: 8
; WaveLimiterHint : 0
; COMPUTE_PGM_RSRC2:SCRATCH_EN: 0
; COMPUTE_PGM_RSRC2:USER_SGPR: 2
; COMPUTE_PGM_RSRC2:TRAP_HANDLER: 0
; COMPUTE_PGM_RSRC2:TGID_X_EN: 1
; COMPUTE_PGM_RSRC2:TGID_Y_EN: 0
; COMPUTE_PGM_RSRC2:TGID_Z_EN: 0
; COMPUTE_PGM_RSRC2:TIDIG_COMP_CNT: 0
; COMPUTE_PGM_RSRC3_GFX90A:ACCUM_OFFSET: 0
; COMPUTE_PGM_RSRC3_GFX90A:TG_SPLIT: 0
	.section	.text._ZN7rocprim17ROCPRIM_400000_NS6detail17trampoline_kernelINS0_14default_configENS1_25partition_config_selectorILNS1_17partition_subalgoE8ElNS0_10empty_typeEbEEZZNS1_14partition_implILS5_8ELb0ES3_jPlPS6_PKS6_NS0_5tupleIJS9_S6_EEENSD_IJSA_SA_EEENS0_18inequality_wrapperIZN2at6native12_GLOBAL__N_124unique_dim_cuda_templateIlEESt5tupleIJNSH_6TensorESM_SM_EERKSM_lbbbEUlllE0_EEPmJS6_EEE10hipError_tPvRmT3_T4_T5_T6_T7_T9_mT8_P12ihipStream_tbDpT10_ENKUlT_T0_E_clISt17integral_constantIbLb0EES1C_EEDaS17_S18_EUlS17_E_NS1_11comp_targetILNS1_3genE9ELNS1_11target_archE1100ELNS1_3gpuE3ELNS1_3repE0EEENS1_30default_config_static_selectorELNS0_4arch9wavefront6targetE1EEEvT1_,"axG",@progbits,_ZN7rocprim17ROCPRIM_400000_NS6detail17trampoline_kernelINS0_14default_configENS1_25partition_config_selectorILNS1_17partition_subalgoE8ElNS0_10empty_typeEbEEZZNS1_14partition_implILS5_8ELb0ES3_jPlPS6_PKS6_NS0_5tupleIJS9_S6_EEENSD_IJSA_SA_EEENS0_18inequality_wrapperIZN2at6native12_GLOBAL__N_124unique_dim_cuda_templateIlEESt5tupleIJNSH_6TensorESM_SM_EERKSM_lbbbEUlllE0_EEPmJS6_EEE10hipError_tPvRmT3_T4_T5_T6_T7_T9_mT8_P12ihipStream_tbDpT10_ENKUlT_T0_E_clISt17integral_constantIbLb0EES1C_EEDaS17_S18_EUlS17_E_NS1_11comp_targetILNS1_3genE9ELNS1_11target_archE1100ELNS1_3gpuE3ELNS1_3repE0EEENS1_30default_config_static_selectorELNS0_4arch9wavefront6targetE1EEEvT1_,comdat
	.globl	_ZN7rocprim17ROCPRIM_400000_NS6detail17trampoline_kernelINS0_14default_configENS1_25partition_config_selectorILNS1_17partition_subalgoE8ElNS0_10empty_typeEbEEZZNS1_14partition_implILS5_8ELb0ES3_jPlPS6_PKS6_NS0_5tupleIJS9_S6_EEENSD_IJSA_SA_EEENS0_18inequality_wrapperIZN2at6native12_GLOBAL__N_124unique_dim_cuda_templateIlEESt5tupleIJNSH_6TensorESM_SM_EERKSM_lbbbEUlllE0_EEPmJS6_EEE10hipError_tPvRmT3_T4_T5_T6_T7_T9_mT8_P12ihipStream_tbDpT10_ENKUlT_T0_E_clISt17integral_constantIbLb0EES1C_EEDaS17_S18_EUlS17_E_NS1_11comp_targetILNS1_3genE9ELNS1_11target_archE1100ELNS1_3gpuE3ELNS1_3repE0EEENS1_30default_config_static_selectorELNS0_4arch9wavefront6targetE1EEEvT1_ ; -- Begin function _ZN7rocprim17ROCPRIM_400000_NS6detail17trampoline_kernelINS0_14default_configENS1_25partition_config_selectorILNS1_17partition_subalgoE8ElNS0_10empty_typeEbEEZZNS1_14partition_implILS5_8ELb0ES3_jPlPS6_PKS6_NS0_5tupleIJS9_S6_EEENSD_IJSA_SA_EEENS0_18inequality_wrapperIZN2at6native12_GLOBAL__N_124unique_dim_cuda_templateIlEESt5tupleIJNSH_6TensorESM_SM_EERKSM_lbbbEUlllE0_EEPmJS6_EEE10hipError_tPvRmT3_T4_T5_T6_T7_T9_mT8_P12ihipStream_tbDpT10_ENKUlT_T0_E_clISt17integral_constantIbLb0EES1C_EEDaS17_S18_EUlS17_E_NS1_11comp_targetILNS1_3genE9ELNS1_11target_archE1100ELNS1_3gpuE3ELNS1_3repE0EEENS1_30default_config_static_selectorELNS0_4arch9wavefront6targetE1EEEvT1_
	.p2align	8
	.type	_ZN7rocprim17ROCPRIM_400000_NS6detail17trampoline_kernelINS0_14default_configENS1_25partition_config_selectorILNS1_17partition_subalgoE8ElNS0_10empty_typeEbEEZZNS1_14partition_implILS5_8ELb0ES3_jPlPS6_PKS6_NS0_5tupleIJS9_S6_EEENSD_IJSA_SA_EEENS0_18inequality_wrapperIZN2at6native12_GLOBAL__N_124unique_dim_cuda_templateIlEESt5tupleIJNSH_6TensorESM_SM_EERKSM_lbbbEUlllE0_EEPmJS6_EEE10hipError_tPvRmT3_T4_T5_T6_T7_T9_mT8_P12ihipStream_tbDpT10_ENKUlT_T0_E_clISt17integral_constantIbLb0EES1C_EEDaS17_S18_EUlS17_E_NS1_11comp_targetILNS1_3genE9ELNS1_11target_archE1100ELNS1_3gpuE3ELNS1_3repE0EEENS1_30default_config_static_selectorELNS0_4arch9wavefront6targetE1EEEvT1_,@function
_ZN7rocprim17ROCPRIM_400000_NS6detail17trampoline_kernelINS0_14default_configENS1_25partition_config_selectorILNS1_17partition_subalgoE8ElNS0_10empty_typeEbEEZZNS1_14partition_implILS5_8ELb0ES3_jPlPS6_PKS6_NS0_5tupleIJS9_S6_EEENSD_IJSA_SA_EEENS0_18inequality_wrapperIZN2at6native12_GLOBAL__N_124unique_dim_cuda_templateIlEESt5tupleIJNSH_6TensorESM_SM_EERKSM_lbbbEUlllE0_EEPmJS6_EEE10hipError_tPvRmT3_T4_T5_T6_T7_T9_mT8_P12ihipStream_tbDpT10_ENKUlT_T0_E_clISt17integral_constantIbLb0EES1C_EEDaS17_S18_EUlS17_E_NS1_11comp_targetILNS1_3genE9ELNS1_11target_archE1100ELNS1_3gpuE3ELNS1_3repE0EEENS1_30default_config_static_selectorELNS0_4arch9wavefront6targetE1EEEvT1_: ; @_ZN7rocprim17ROCPRIM_400000_NS6detail17trampoline_kernelINS0_14default_configENS1_25partition_config_selectorILNS1_17partition_subalgoE8ElNS0_10empty_typeEbEEZZNS1_14partition_implILS5_8ELb0ES3_jPlPS6_PKS6_NS0_5tupleIJS9_S6_EEENSD_IJSA_SA_EEENS0_18inequality_wrapperIZN2at6native12_GLOBAL__N_124unique_dim_cuda_templateIlEESt5tupleIJNSH_6TensorESM_SM_EERKSM_lbbbEUlllE0_EEPmJS6_EEE10hipError_tPvRmT3_T4_T5_T6_T7_T9_mT8_P12ihipStream_tbDpT10_ENKUlT_T0_E_clISt17integral_constantIbLb0EES1C_EEDaS17_S18_EUlS17_E_NS1_11comp_targetILNS1_3genE9ELNS1_11target_archE1100ELNS1_3gpuE3ELNS1_3repE0EEENS1_30default_config_static_selectorELNS0_4arch9wavefront6targetE1EEEvT1_
; %bb.0:
	.section	.rodata,"a",@progbits
	.p2align	6, 0x0
	.amdhsa_kernel _ZN7rocprim17ROCPRIM_400000_NS6detail17trampoline_kernelINS0_14default_configENS1_25partition_config_selectorILNS1_17partition_subalgoE8ElNS0_10empty_typeEbEEZZNS1_14partition_implILS5_8ELb0ES3_jPlPS6_PKS6_NS0_5tupleIJS9_S6_EEENSD_IJSA_SA_EEENS0_18inequality_wrapperIZN2at6native12_GLOBAL__N_124unique_dim_cuda_templateIlEESt5tupleIJNSH_6TensorESM_SM_EERKSM_lbbbEUlllE0_EEPmJS6_EEE10hipError_tPvRmT3_T4_T5_T6_T7_T9_mT8_P12ihipStream_tbDpT10_ENKUlT_T0_E_clISt17integral_constantIbLb0EES1C_EEDaS17_S18_EUlS17_E_NS1_11comp_targetILNS1_3genE9ELNS1_11target_archE1100ELNS1_3gpuE3ELNS1_3repE0EEENS1_30default_config_static_selectorELNS0_4arch9wavefront6targetE1EEEvT1_
		.amdhsa_group_segment_fixed_size 0
		.amdhsa_private_segment_fixed_size 0
		.amdhsa_kernarg_size 120
		.amdhsa_user_sgpr_count 2
		.amdhsa_user_sgpr_dispatch_ptr 0
		.amdhsa_user_sgpr_queue_ptr 0
		.amdhsa_user_sgpr_kernarg_segment_ptr 1
		.amdhsa_user_sgpr_dispatch_id 0
		.amdhsa_user_sgpr_kernarg_preload_length 0
		.amdhsa_user_sgpr_kernarg_preload_offset 0
		.amdhsa_user_sgpr_private_segment_size 0
		.amdhsa_uses_dynamic_stack 0
		.amdhsa_enable_private_segment 0
		.amdhsa_system_sgpr_workgroup_id_x 1
		.amdhsa_system_sgpr_workgroup_id_y 0
		.amdhsa_system_sgpr_workgroup_id_z 0
		.amdhsa_system_sgpr_workgroup_info 0
		.amdhsa_system_vgpr_workitem_id 0
		.amdhsa_next_free_vgpr 1
		.amdhsa_next_free_sgpr 0
		.amdhsa_accum_offset 4
		.amdhsa_reserve_vcc 0
		.amdhsa_float_round_mode_32 0
		.amdhsa_float_round_mode_16_64 0
		.amdhsa_float_denorm_mode_32 3
		.amdhsa_float_denorm_mode_16_64 3
		.amdhsa_dx10_clamp 1
		.amdhsa_ieee_mode 1
		.amdhsa_fp16_overflow 0
		.amdhsa_tg_split 0
		.amdhsa_exception_fp_ieee_invalid_op 0
		.amdhsa_exception_fp_denorm_src 0
		.amdhsa_exception_fp_ieee_div_zero 0
		.amdhsa_exception_fp_ieee_overflow 0
		.amdhsa_exception_fp_ieee_underflow 0
		.amdhsa_exception_fp_ieee_inexact 0
		.amdhsa_exception_int_div_zero 0
	.end_amdhsa_kernel
	.section	.text._ZN7rocprim17ROCPRIM_400000_NS6detail17trampoline_kernelINS0_14default_configENS1_25partition_config_selectorILNS1_17partition_subalgoE8ElNS0_10empty_typeEbEEZZNS1_14partition_implILS5_8ELb0ES3_jPlPS6_PKS6_NS0_5tupleIJS9_S6_EEENSD_IJSA_SA_EEENS0_18inequality_wrapperIZN2at6native12_GLOBAL__N_124unique_dim_cuda_templateIlEESt5tupleIJNSH_6TensorESM_SM_EERKSM_lbbbEUlllE0_EEPmJS6_EEE10hipError_tPvRmT3_T4_T5_T6_T7_T9_mT8_P12ihipStream_tbDpT10_ENKUlT_T0_E_clISt17integral_constantIbLb0EES1C_EEDaS17_S18_EUlS17_E_NS1_11comp_targetILNS1_3genE9ELNS1_11target_archE1100ELNS1_3gpuE3ELNS1_3repE0EEENS1_30default_config_static_selectorELNS0_4arch9wavefront6targetE1EEEvT1_,"axG",@progbits,_ZN7rocprim17ROCPRIM_400000_NS6detail17trampoline_kernelINS0_14default_configENS1_25partition_config_selectorILNS1_17partition_subalgoE8ElNS0_10empty_typeEbEEZZNS1_14partition_implILS5_8ELb0ES3_jPlPS6_PKS6_NS0_5tupleIJS9_S6_EEENSD_IJSA_SA_EEENS0_18inequality_wrapperIZN2at6native12_GLOBAL__N_124unique_dim_cuda_templateIlEESt5tupleIJNSH_6TensorESM_SM_EERKSM_lbbbEUlllE0_EEPmJS6_EEE10hipError_tPvRmT3_T4_T5_T6_T7_T9_mT8_P12ihipStream_tbDpT10_ENKUlT_T0_E_clISt17integral_constantIbLb0EES1C_EEDaS17_S18_EUlS17_E_NS1_11comp_targetILNS1_3genE9ELNS1_11target_archE1100ELNS1_3gpuE3ELNS1_3repE0EEENS1_30default_config_static_selectorELNS0_4arch9wavefront6targetE1EEEvT1_,comdat
.Lfunc_end569:
	.size	_ZN7rocprim17ROCPRIM_400000_NS6detail17trampoline_kernelINS0_14default_configENS1_25partition_config_selectorILNS1_17partition_subalgoE8ElNS0_10empty_typeEbEEZZNS1_14partition_implILS5_8ELb0ES3_jPlPS6_PKS6_NS0_5tupleIJS9_S6_EEENSD_IJSA_SA_EEENS0_18inequality_wrapperIZN2at6native12_GLOBAL__N_124unique_dim_cuda_templateIlEESt5tupleIJNSH_6TensorESM_SM_EERKSM_lbbbEUlllE0_EEPmJS6_EEE10hipError_tPvRmT3_T4_T5_T6_T7_T9_mT8_P12ihipStream_tbDpT10_ENKUlT_T0_E_clISt17integral_constantIbLb0EES1C_EEDaS17_S18_EUlS17_E_NS1_11comp_targetILNS1_3genE9ELNS1_11target_archE1100ELNS1_3gpuE3ELNS1_3repE0EEENS1_30default_config_static_selectorELNS0_4arch9wavefront6targetE1EEEvT1_, .Lfunc_end569-_ZN7rocprim17ROCPRIM_400000_NS6detail17trampoline_kernelINS0_14default_configENS1_25partition_config_selectorILNS1_17partition_subalgoE8ElNS0_10empty_typeEbEEZZNS1_14partition_implILS5_8ELb0ES3_jPlPS6_PKS6_NS0_5tupleIJS9_S6_EEENSD_IJSA_SA_EEENS0_18inequality_wrapperIZN2at6native12_GLOBAL__N_124unique_dim_cuda_templateIlEESt5tupleIJNSH_6TensorESM_SM_EERKSM_lbbbEUlllE0_EEPmJS6_EEE10hipError_tPvRmT3_T4_T5_T6_T7_T9_mT8_P12ihipStream_tbDpT10_ENKUlT_T0_E_clISt17integral_constantIbLb0EES1C_EEDaS17_S18_EUlS17_E_NS1_11comp_targetILNS1_3genE9ELNS1_11target_archE1100ELNS1_3gpuE3ELNS1_3repE0EEENS1_30default_config_static_selectorELNS0_4arch9wavefront6targetE1EEEvT1_
                                        ; -- End function
	.set _ZN7rocprim17ROCPRIM_400000_NS6detail17trampoline_kernelINS0_14default_configENS1_25partition_config_selectorILNS1_17partition_subalgoE8ElNS0_10empty_typeEbEEZZNS1_14partition_implILS5_8ELb0ES3_jPlPS6_PKS6_NS0_5tupleIJS9_S6_EEENSD_IJSA_SA_EEENS0_18inequality_wrapperIZN2at6native12_GLOBAL__N_124unique_dim_cuda_templateIlEESt5tupleIJNSH_6TensorESM_SM_EERKSM_lbbbEUlllE0_EEPmJS6_EEE10hipError_tPvRmT3_T4_T5_T6_T7_T9_mT8_P12ihipStream_tbDpT10_ENKUlT_T0_E_clISt17integral_constantIbLb0EES1C_EEDaS17_S18_EUlS17_E_NS1_11comp_targetILNS1_3genE9ELNS1_11target_archE1100ELNS1_3gpuE3ELNS1_3repE0EEENS1_30default_config_static_selectorELNS0_4arch9wavefront6targetE1EEEvT1_.num_vgpr, 0
	.set _ZN7rocprim17ROCPRIM_400000_NS6detail17trampoline_kernelINS0_14default_configENS1_25partition_config_selectorILNS1_17partition_subalgoE8ElNS0_10empty_typeEbEEZZNS1_14partition_implILS5_8ELb0ES3_jPlPS6_PKS6_NS0_5tupleIJS9_S6_EEENSD_IJSA_SA_EEENS0_18inequality_wrapperIZN2at6native12_GLOBAL__N_124unique_dim_cuda_templateIlEESt5tupleIJNSH_6TensorESM_SM_EERKSM_lbbbEUlllE0_EEPmJS6_EEE10hipError_tPvRmT3_T4_T5_T6_T7_T9_mT8_P12ihipStream_tbDpT10_ENKUlT_T0_E_clISt17integral_constantIbLb0EES1C_EEDaS17_S18_EUlS17_E_NS1_11comp_targetILNS1_3genE9ELNS1_11target_archE1100ELNS1_3gpuE3ELNS1_3repE0EEENS1_30default_config_static_selectorELNS0_4arch9wavefront6targetE1EEEvT1_.num_agpr, 0
	.set _ZN7rocprim17ROCPRIM_400000_NS6detail17trampoline_kernelINS0_14default_configENS1_25partition_config_selectorILNS1_17partition_subalgoE8ElNS0_10empty_typeEbEEZZNS1_14partition_implILS5_8ELb0ES3_jPlPS6_PKS6_NS0_5tupleIJS9_S6_EEENSD_IJSA_SA_EEENS0_18inequality_wrapperIZN2at6native12_GLOBAL__N_124unique_dim_cuda_templateIlEESt5tupleIJNSH_6TensorESM_SM_EERKSM_lbbbEUlllE0_EEPmJS6_EEE10hipError_tPvRmT3_T4_T5_T6_T7_T9_mT8_P12ihipStream_tbDpT10_ENKUlT_T0_E_clISt17integral_constantIbLb0EES1C_EEDaS17_S18_EUlS17_E_NS1_11comp_targetILNS1_3genE9ELNS1_11target_archE1100ELNS1_3gpuE3ELNS1_3repE0EEENS1_30default_config_static_selectorELNS0_4arch9wavefront6targetE1EEEvT1_.numbered_sgpr, 0
	.set _ZN7rocprim17ROCPRIM_400000_NS6detail17trampoline_kernelINS0_14default_configENS1_25partition_config_selectorILNS1_17partition_subalgoE8ElNS0_10empty_typeEbEEZZNS1_14partition_implILS5_8ELb0ES3_jPlPS6_PKS6_NS0_5tupleIJS9_S6_EEENSD_IJSA_SA_EEENS0_18inequality_wrapperIZN2at6native12_GLOBAL__N_124unique_dim_cuda_templateIlEESt5tupleIJNSH_6TensorESM_SM_EERKSM_lbbbEUlllE0_EEPmJS6_EEE10hipError_tPvRmT3_T4_T5_T6_T7_T9_mT8_P12ihipStream_tbDpT10_ENKUlT_T0_E_clISt17integral_constantIbLb0EES1C_EEDaS17_S18_EUlS17_E_NS1_11comp_targetILNS1_3genE9ELNS1_11target_archE1100ELNS1_3gpuE3ELNS1_3repE0EEENS1_30default_config_static_selectorELNS0_4arch9wavefront6targetE1EEEvT1_.num_named_barrier, 0
	.set _ZN7rocprim17ROCPRIM_400000_NS6detail17trampoline_kernelINS0_14default_configENS1_25partition_config_selectorILNS1_17partition_subalgoE8ElNS0_10empty_typeEbEEZZNS1_14partition_implILS5_8ELb0ES3_jPlPS6_PKS6_NS0_5tupleIJS9_S6_EEENSD_IJSA_SA_EEENS0_18inequality_wrapperIZN2at6native12_GLOBAL__N_124unique_dim_cuda_templateIlEESt5tupleIJNSH_6TensorESM_SM_EERKSM_lbbbEUlllE0_EEPmJS6_EEE10hipError_tPvRmT3_T4_T5_T6_T7_T9_mT8_P12ihipStream_tbDpT10_ENKUlT_T0_E_clISt17integral_constantIbLb0EES1C_EEDaS17_S18_EUlS17_E_NS1_11comp_targetILNS1_3genE9ELNS1_11target_archE1100ELNS1_3gpuE3ELNS1_3repE0EEENS1_30default_config_static_selectorELNS0_4arch9wavefront6targetE1EEEvT1_.private_seg_size, 0
	.set _ZN7rocprim17ROCPRIM_400000_NS6detail17trampoline_kernelINS0_14default_configENS1_25partition_config_selectorILNS1_17partition_subalgoE8ElNS0_10empty_typeEbEEZZNS1_14partition_implILS5_8ELb0ES3_jPlPS6_PKS6_NS0_5tupleIJS9_S6_EEENSD_IJSA_SA_EEENS0_18inequality_wrapperIZN2at6native12_GLOBAL__N_124unique_dim_cuda_templateIlEESt5tupleIJNSH_6TensorESM_SM_EERKSM_lbbbEUlllE0_EEPmJS6_EEE10hipError_tPvRmT3_T4_T5_T6_T7_T9_mT8_P12ihipStream_tbDpT10_ENKUlT_T0_E_clISt17integral_constantIbLb0EES1C_EEDaS17_S18_EUlS17_E_NS1_11comp_targetILNS1_3genE9ELNS1_11target_archE1100ELNS1_3gpuE3ELNS1_3repE0EEENS1_30default_config_static_selectorELNS0_4arch9wavefront6targetE1EEEvT1_.uses_vcc, 0
	.set _ZN7rocprim17ROCPRIM_400000_NS6detail17trampoline_kernelINS0_14default_configENS1_25partition_config_selectorILNS1_17partition_subalgoE8ElNS0_10empty_typeEbEEZZNS1_14partition_implILS5_8ELb0ES3_jPlPS6_PKS6_NS0_5tupleIJS9_S6_EEENSD_IJSA_SA_EEENS0_18inequality_wrapperIZN2at6native12_GLOBAL__N_124unique_dim_cuda_templateIlEESt5tupleIJNSH_6TensorESM_SM_EERKSM_lbbbEUlllE0_EEPmJS6_EEE10hipError_tPvRmT3_T4_T5_T6_T7_T9_mT8_P12ihipStream_tbDpT10_ENKUlT_T0_E_clISt17integral_constantIbLb0EES1C_EEDaS17_S18_EUlS17_E_NS1_11comp_targetILNS1_3genE9ELNS1_11target_archE1100ELNS1_3gpuE3ELNS1_3repE0EEENS1_30default_config_static_selectorELNS0_4arch9wavefront6targetE1EEEvT1_.uses_flat_scratch, 0
	.set _ZN7rocprim17ROCPRIM_400000_NS6detail17trampoline_kernelINS0_14default_configENS1_25partition_config_selectorILNS1_17partition_subalgoE8ElNS0_10empty_typeEbEEZZNS1_14partition_implILS5_8ELb0ES3_jPlPS6_PKS6_NS0_5tupleIJS9_S6_EEENSD_IJSA_SA_EEENS0_18inequality_wrapperIZN2at6native12_GLOBAL__N_124unique_dim_cuda_templateIlEESt5tupleIJNSH_6TensorESM_SM_EERKSM_lbbbEUlllE0_EEPmJS6_EEE10hipError_tPvRmT3_T4_T5_T6_T7_T9_mT8_P12ihipStream_tbDpT10_ENKUlT_T0_E_clISt17integral_constantIbLb0EES1C_EEDaS17_S18_EUlS17_E_NS1_11comp_targetILNS1_3genE9ELNS1_11target_archE1100ELNS1_3gpuE3ELNS1_3repE0EEENS1_30default_config_static_selectorELNS0_4arch9wavefront6targetE1EEEvT1_.has_dyn_sized_stack, 0
	.set _ZN7rocprim17ROCPRIM_400000_NS6detail17trampoline_kernelINS0_14default_configENS1_25partition_config_selectorILNS1_17partition_subalgoE8ElNS0_10empty_typeEbEEZZNS1_14partition_implILS5_8ELb0ES3_jPlPS6_PKS6_NS0_5tupleIJS9_S6_EEENSD_IJSA_SA_EEENS0_18inequality_wrapperIZN2at6native12_GLOBAL__N_124unique_dim_cuda_templateIlEESt5tupleIJNSH_6TensorESM_SM_EERKSM_lbbbEUlllE0_EEPmJS6_EEE10hipError_tPvRmT3_T4_T5_T6_T7_T9_mT8_P12ihipStream_tbDpT10_ENKUlT_T0_E_clISt17integral_constantIbLb0EES1C_EEDaS17_S18_EUlS17_E_NS1_11comp_targetILNS1_3genE9ELNS1_11target_archE1100ELNS1_3gpuE3ELNS1_3repE0EEENS1_30default_config_static_selectorELNS0_4arch9wavefront6targetE1EEEvT1_.has_recursion, 0
	.set _ZN7rocprim17ROCPRIM_400000_NS6detail17trampoline_kernelINS0_14default_configENS1_25partition_config_selectorILNS1_17partition_subalgoE8ElNS0_10empty_typeEbEEZZNS1_14partition_implILS5_8ELb0ES3_jPlPS6_PKS6_NS0_5tupleIJS9_S6_EEENSD_IJSA_SA_EEENS0_18inequality_wrapperIZN2at6native12_GLOBAL__N_124unique_dim_cuda_templateIlEESt5tupleIJNSH_6TensorESM_SM_EERKSM_lbbbEUlllE0_EEPmJS6_EEE10hipError_tPvRmT3_T4_T5_T6_T7_T9_mT8_P12ihipStream_tbDpT10_ENKUlT_T0_E_clISt17integral_constantIbLb0EES1C_EEDaS17_S18_EUlS17_E_NS1_11comp_targetILNS1_3genE9ELNS1_11target_archE1100ELNS1_3gpuE3ELNS1_3repE0EEENS1_30default_config_static_selectorELNS0_4arch9wavefront6targetE1EEEvT1_.has_indirect_call, 0
	.section	.AMDGPU.csdata,"",@progbits
; Kernel info:
; codeLenInByte = 0
; TotalNumSgprs: 6
; NumVgprs: 0
; NumAgprs: 0
; TotalNumVgprs: 0
; ScratchSize: 0
; MemoryBound: 0
; FloatMode: 240
; IeeeMode: 1
; LDSByteSize: 0 bytes/workgroup (compile time only)
; SGPRBlocks: 0
; VGPRBlocks: 0
; NumSGPRsForWavesPerEU: 6
; NumVGPRsForWavesPerEU: 1
; AccumOffset: 4
; Occupancy: 8
; WaveLimiterHint : 0
; COMPUTE_PGM_RSRC2:SCRATCH_EN: 0
; COMPUTE_PGM_RSRC2:USER_SGPR: 2
; COMPUTE_PGM_RSRC2:TRAP_HANDLER: 0
; COMPUTE_PGM_RSRC2:TGID_X_EN: 1
; COMPUTE_PGM_RSRC2:TGID_Y_EN: 0
; COMPUTE_PGM_RSRC2:TGID_Z_EN: 0
; COMPUTE_PGM_RSRC2:TIDIG_COMP_CNT: 0
; COMPUTE_PGM_RSRC3_GFX90A:ACCUM_OFFSET: 0
; COMPUTE_PGM_RSRC3_GFX90A:TG_SPLIT: 0
	.section	.text._ZN7rocprim17ROCPRIM_400000_NS6detail17trampoline_kernelINS0_14default_configENS1_25partition_config_selectorILNS1_17partition_subalgoE8ElNS0_10empty_typeEbEEZZNS1_14partition_implILS5_8ELb0ES3_jPlPS6_PKS6_NS0_5tupleIJS9_S6_EEENSD_IJSA_SA_EEENS0_18inequality_wrapperIZN2at6native12_GLOBAL__N_124unique_dim_cuda_templateIlEESt5tupleIJNSH_6TensorESM_SM_EERKSM_lbbbEUlllE0_EEPmJS6_EEE10hipError_tPvRmT3_T4_T5_T6_T7_T9_mT8_P12ihipStream_tbDpT10_ENKUlT_T0_E_clISt17integral_constantIbLb0EES1C_EEDaS17_S18_EUlS17_E_NS1_11comp_targetILNS1_3genE8ELNS1_11target_archE1030ELNS1_3gpuE2ELNS1_3repE0EEENS1_30default_config_static_selectorELNS0_4arch9wavefront6targetE1EEEvT1_,"axG",@progbits,_ZN7rocprim17ROCPRIM_400000_NS6detail17trampoline_kernelINS0_14default_configENS1_25partition_config_selectorILNS1_17partition_subalgoE8ElNS0_10empty_typeEbEEZZNS1_14partition_implILS5_8ELb0ES3_jPlPS6_PKS6_NS0_5tupleIJS9_S6_EEENSD_IJSA_SA_EEENS0_18inequality_wrapperIZN2at6native12_GLOBAL__N_124unique_dim_cuda_templateIlEESt5tupleIJNSH_6TensorESM_SM_EERKSM_lbbbEUlllE0_EEPmJS6_EEE10hipError_tPvRmT3_T4_T5_T6_T7_T9_mT8_P12ihipStream_tbDpT10_ENKUlT_T0_E_clISt17integral_constantIbLb0EES1C_EEDaS17_S18_EUlS17_E_NS1_11comp_targetILNS1_3genE8ELNS1_11target_archE1030ELNS1_3gpuE2ELNS1_3repE0EEENS1_30default_config_static_selectorELNS0_4arch9wavefront6targetE1EEEvT1_,comdat
	.globl	_ZN7rocprim17ROCPRIM_400000_NS6detail17trampoline_kernelINS0_14default_configENS1_25partition_config_selectorILNS1_17partition_subalgoE8ElNS0_10empty_typeEbEEZZNS1_14partition_implILS5_8ELb0ES3_jPlPS6_PKS6_NS0_5tupleIJS9_S6_EEENSD_IJSA_SA_EEENS0_18inequality_wrapperIZN2at6native12_GLOBAL__N_124unique_dim_cuda_templateIlEESt5tupleIJNSH_6TensorESM_SM_EERKSM_lbbbEUlllE0_EEPmJS6_EEE10hipError_tPvRmT3_T4_T5_T6_T7_T9_mT8_P12ihipStream_tbDpT10_ENKUlT_T0_E_clISt17integral_constantIbLb0EES1C_EEDaS17_S18_EUlS17_E_NS1_11comp_targetILNS1_3genE8ELNS1_11target_archE1030ELNS1_3gpuE2ELNS1_3repE0EEENS1_30default_config_static_selectorELNS0_4arch9wavefront6targetE1EEEvT1_ ; -- Begin function _ZN7rocprim17ROCPRIM_400000_NS6detail17trampoline_kernelINS0_14default_configENS1_25partition_config_selectorILNS1_17partition_subalgoE8ElNS0_10empty_typeEbEEZZNS1_14partition_implILS5_8ELb0ES3_jPlPS6_PKS6_NS0_5tupleIJS9_S6_EEENSD_IJSA_SA_EEENS0_18inequality_wrapperIZN2at6native12_GLOBAL__N_124unique_dim_cuda_templateIlEESt5tupleIJNSH_6TensorESM_SM_EERKSM_lbbbEUlllE0_EEPmJS6_EEE10hipError_tPvRmT3_T4_T5_T6_T7_T9_mT8_P12ihipStream_tbDpT10_ENKUlT_T0_E_clISt17integral_constantIbLb0EES1C_EEDaS17_S18_EUlS17_E_NS1_11comp_targetILNS1_3genE8ELNS1_11target_archE1030ELNS1_3gpuE2ELNS1_3repE0EEENS1_30default_config_static_selectorELNS0_4arch9wavefront6targetE1EEEvT1_
	.p2align	8
	.type	_ZN7rocprim17ROCPRIM_400000_NS6detail17trampoline_kernelINS0_14default_configENS1_25partition_config_selectorILNS1_17partition_subalgoE8ElNS0_10empty_typeEbEEZZNS1_14partition_implILS5_8ELb0ES3_jPlPS6_PKS6_NS0_5tupleIJS9_S6_EEENSD_IJSA_SA_EEENS0_18inequality_wrapperIZN2at6native12_GLOBAL__N_124unique_dim_cuda_templateIlEESt5tupleIJNSH_6TensorESM_SM_EERKSM_lbbbEUlllE0_EEPmJS6_EEE10hipError_tPvRmT3_T4_T5_T6_T7_T9_mT8_P12ihipStream_tbDpT10_ENKUlT_T0_E_clISt17integral_constantIbLb0EES1C_EEDaS17_S18_EUlS17_E_NS1_11comp_targetILNS1_3genE8ELNS1_11target_archE1030ELNS1_3gpuE2ELNS1_3repE0EEENS1_30default_config_static_selectorELNS0_4arch9wavefront6targetE1EEEvT1_,@function
_ZN7rocprim17ROCPRIM_400000_NS6detail17trampoline_kernelINS0_14default_configENS1_25partition_config_selectorILNS1_17partition_subalgoE8ElNS0_10empty_typeEbEEZZNS1_14partition_implILS5_8ELb0ES3_jPlPS6_PKS6_NS0_5tupleIJS9_S6_EEENSD_IJSA_SA_EEENS0_18inequality_wrapperIZN2at6native12_GLOBAL__N_124unique_dim_cuda_templateIlEESt5tupleIJNSH_6TensorESM_SM_EERKSM_lbbbEUlllE0_EEPmJS6_EEE10hipError_tPvRmT3_T4_T5_T6_T7_T9_mT8_P12ihipStream_tbDpT10_ENKUlT_T0_E_clISt17integral_constantIbLb0EES1C_EEDaS17_S18_EUlS17_E_NS1_11comp_targetILNS1_3genE8ELNS1_11target_archE1030ELNS1_3gpuE2ELNS1_3repE0EEENS1_30default_config_static_selectorELNS0_4arch9wavefront6targetE1EEEvT1_: ; @_ZN7rocprim17ROCPRIM_400000_NS6detail17trampoline_kernelINS0_14default_configENS1_25partition_config_selectorILNS1_17partition_subalgoE8ElNS0_10empty_typeEbEEZZNS1_14partition_implILS5_8ELb0ES3_jPlPS6_PKS6_NS0_5tupleIJS9_S6_EEENSD_IJSA_SA_EEENS0_18inequality_wrapperIZN2at6native12_GLOBAL__N_124unique_dim_cuda_templateIlEESt5tupleIJNSH_6TensorESM_SM_EERKSM_lbbbEUlllE0_EEPmJS6_EEE10hipError_tPvRmT3_T4_T5_T6_T7_T9_mT8_P12ihipStream_tbDpT10_ENKUlT_T0_E_clISt17integral_constantIbLb0EES1C_EEDaS17_S18_EUlS17_E_NS1_11comp_targetILNS1_3genE8ELNS1_11target_archE1030ELNS1_3gpuE2ELNS1_3repE0EEENS1_30default_config_static_selectorELNS0_4arch9wavefront6targetE1EEEvT1_
; %bb.0:
	.section	.rodata,"a",@progbits
	.p2align	6, 0x0
	.amdhsa_kernel _ZN7rocprim17ROCPRIM_400000_NS6detail17trampoline_kernelINS0_14default_configENS1_25partition_config_selectorILNS1_17partition_subalgoE8ElNS0_10empty_typeEbEEZZNS1_14partition_implILS5_8ELb0ES3_jPlPS6_PKS6_NS0_5tupleIJS9_S6_EEENSD_IJSA_SA_EEENS0_18inequality_wrapperIZN2at6native12_GLOBAL__N_124unique_dim_cuda_templateIlEESt5tupleIJNSH_6TensorESM_SM_EERKSM_lbbbEUlllE0_EEPmJS6_EEE10hipError_tPvRmT3_T4_T5_T6_T7_T9_mT8_P12ihipStream_tbDpT10_ENKUlT_T0_E_clISt17integral_constantIbLb0EES1C_EEDaS17_S18_EUlS17_E_NS1_11comp_targetILNS1_3genE8ELNS1_11target_archE1030ELNS1_3gpuE2ELNS1_3repE0EEENS1_30default_config_static_selectorELNS0_4arch9wavefront6targetE1EEEvT1_
		.amdhsa_group_segment_fixed_size 0
		.amdhsa_private_segment_fixed_size 0
		.amdhsa_kernarg_size 120
		.amdhsa_user_sgpr_count 2
		.amdhsa_user_sgpr_dispatch_ptr 0
		.amdhsa_user_sgpr_queue_ptr 0
		.amdhsa_user_sgpr_kernarg_segment_ptr 1
		.amdhsa_user_sgpr_dispatch_id 0
		.amdhsa_user_sgpr_kernarg_preload_length 0
		.amdhsa_user_sgpr_kernarg_preload_offset 0
		.amdhsa_user_sgpr_private_segment_size 0
		.amdhsa_uses_dynamic_stack 0
		.amdhsa_enable_private_segment 0
		.amdhsa_system_sgpr_workgroup_id_x 1
		.amdhsa_system_sgpr_workgroup_id_y 0
		.amdhsa_system_sgpr_workgroup_id_z 0
		.amdhsa_system_sgpr_workgroup_info 0
		.amdhsa_system_vgpr_workitem_id 0
		.amdhsa_next_free_vgpr 1
		.amdhsa_next_free_sgpr 0
		.amdhsa_accum_offset 4
		.amdhsa_reserve_vcc 0
		.amdhsa_float_round_mode_32 0
		.amdhsa_float_round_mode_16_64 0
		.amdhsa_float_denorm_mode_32 3
		.amdhsa_float_denorm_mode_16_64 3
		.amdhsa_dx10_clamp 1
		.amdhsa_ieee_mode 1
		.amdhsa_fp16_overflow 0
		.amdhsa_tg_split 0
		.amdhsa_exception_fp_ieee_invalid_op 0
		.amdhsa_exception_fp_denorm_src 0
		.amdhsa_exception_fp_ieee_div_zero 0
		.amdhsa_exception_fp_ieee_overflow 0
		.amdhsa_exception_fp_ieee_underflow 0
		.amdhsa_exception_fp_ieee_inexact 0
		.amdhsa_exception_int_div_zero 0
	.end_amdhsa_kernel
	.section	.text._ZN7rocprim17ROCPRIM_400000_NS6detail17trampoline_kernelINS0_14default_configENS1_25partition_config_selectorILNS1_17partition_subalgoE8ElNS0_10empty_typeEbEEZZNS1_14partition_implILS5_8ELb0ES3_jPlPS6_PKS6_NS0_5tupleIJS9_S6_EEENSD_IJSA_SA_EEENS0_18inequality_wrapperIZN2at6native12_GLOBAL__N_124unique_dim_cuda_templateIlEESt5tupleIJNSH_6TensorESM_SM_EERKSM_lbbbEUlllE0_EEPmJS6_EEE10hipError_tPvRmT3_T4_T5_T6_T7_T9_mT8_P12ihipStream_tbDpT10_ENKUlT_T0_E_clISt17integral_constantIbLb0EES1C_EEDaS17_S18_EUlS17_E_NS1_11comp_targetILNS1_3genE8ELNS1_11target_archE1030ELNS1_3gpuE2ELNS1_3repE0EEENS1_30default_config_static_selectorELNS0_4arch9wavefront6targetE1EEEvT1_,"axG",@progbits,_ZN7rocprim17ROCPRIM_400000_NS6detail17trampoline_kernelINS0_14default_configENS1_25partition_config_selectorILNS1_17partition_subalgoE8ElNS0_10empty_typeEbEEZZNS1_14partition_implILS5_8ELb0ES3_jPlPS6_PKS6_NS0_5tupleIJS9_S6_EEENSD_IJSA_SA_EEENS0_18inequality_wrapperIZN2at6native12_GLOBAL__N_124unique_dim_cuda_templateIlEESt5tupleIJNSH_6TensorESM_SM_EERKSM_lbbbEUlllE0_EEPmJS6_EEE10hipError_tPvRmT3_T4_T5_T6_T7_T9_mT8_P12ihipStream_tbDpT10_ENKUlT_T0_E_clISt17integral_constantIbLb0EES1C_EEDaS17_S18_EUlS17_E_NS1_11comp_targetILNS1_3genE8ELNS1_11target_archE1030ELNS1_3gpuE2ELNS1_3repE0EEENS1_30default_config_static_selectorELNS0_4arch9wavefront6targetE1EEEvT1_,comdat
.Lfunc_end570:
	.size	_ZN7rocprim17ROCPRIM_400000_NS6detail17trampoline_kernelINS0_14default_configENS1_25partition_config_selectorILNS1_17partition_subalgoE8ElNS0_10empty_typeEbEEZZNS1_14partition_implILS5_8ELb0ES3_jPlPS6_PKS6_NS0_5tupleIJS9_S6_EEENSD_IJSA_SA_EEENS0_18inequality_wrapperIZN2at6native12_GLOBAL__N_124unique_dim_cuda_templateIlEESt5tupleIJNSH_6TensorESM_SM_EERKSM_lbbbEUlllE0_EEPmJS6_EEE10hipError_tPvRmT3_T4_T5_T6_T7_T9_mT8_P12ihipStream_tbDpT10_ENKUlT_T0_E_clISt17integral_constantIbLb0EES1C_EEDaS17_S18_EUlS17_E_NS1_11comp_targetILNS1_3genE8ELNS1_11target_archE1030ELNS1_3gpuE2ELNS1_3repE0EEENS1_30default_config_static_selectorELNS0_4arch9wavefront6targetE1EEEvT1_, .Lfunc_end570-_ZN7rocprim17ROCPRIM_400000_NS6detail17trampoline_kernelINS0_14default_configENS1_25partition_config_selectorILNS1_17partition_subalgoE8ElNS0_10empty_typeEbEEZZNS1_14partition_implILS5_8ELb0ES3_jPlPS6_PKS6_NS0_5tupleIJS9_S6_EEENSD_IJSA_SA_EEENS0_18inequality_wrapperIZN2at6native12_GLOBAL__N_124unique_dim_cuda_templateIlEESt5tupleIJNSH_6TensorESM_SM_EERKSM_lbbbEUlllE0_EEPmJS6_EEE10hipError_tPvRmT3_T4_T5_T6_T7_T9_mT8_P12ihipStream_tbDpT10_ENKUlT_T0_E_clISt17integral_constantIbLb0EES1C_EEDaS17_S18_EUlS17_E_NS1_11comp_targetILNS1_3genE8ELNS1_11target_archE1030ELNS1_3gpuE2ELNS1_3repE0EEENS1_30default_config_static_selectorELNS0_4arch9wavefront6targetE1EEEvT1_
                                        ; -- End function
	.set _ZN7rocprim17ROCPRIM_400000_NS6detail17trampoline_kernelINS0_14default_configENS1_25partition_config_selectorILNS1_17partition_subalgoE8ElNS0_10empty_typeEbEEZZNS1_14partition_implILS5_8ELb0ES3_jPlPS6_PKS6_NS0_5tupleIJS9_S6_EEENSD_IJSA_SA_EEENS0_18inequality_wrapperIZN2at6native12_GLOBAL__N_124unique_dim_cuda_templateIlEESt5tupleIJNSH_6TensorESM_SM_EERKSM_lbbbEUlllE0_EEPmJS6_EEE10hipError_tPvRmT3_T4_T5_T6_T7_T9_mT8_P12ihipStream_tbDpT10_ENKUlT_T0_E_clISt17integral_constantIbLb0EES1C_EEDaS17_S18_EUlS17_E_NS1_11comp_targetILNS1_3genE8ELNS1_11target_archE1030ELNS1_3gpuE2ELNS1_3repE0EEENS1_30default_config_static_selectorELNS0_4arch9wavefront6targetE1EEEvT1_.num_vgpr, 0
	.set _ZN7rocprim17ROCPRIM_400000_NS6detail17trampoline_kernelINS0_14default_configENS1_25partition_config_selectorILNS1_17partition_subalgoE8ElNS0_10empty_typeEbEEZZNS1_14partition_implILS5_8ELb0ES3_jPlPS6_PKS6_NS0_5tupleIJS9_S6_EEENSD_IJSA_SA_EEENS0_18inequality_wrapperIZN2at6native12_GLOBAL__N_124unique_dim_cuda_templateIlEESt5tupleIJNSH_6TensorESM_SM_EERKSM_lbbbEUlllE0_EEPmJS6_EEE10hipError_tPvRmT3_T4_T5_T6_T7_T9_mT8_P12ihipStream_tbDpT10_ENKUlT_T0_E_clISt17integral_constantIbLb0EES1C_EEDaS17_S18_EUlS17_E_NS1_11comp_targetILNS1_3genE8ELNS1_11target_archE1030ELNS1_3gpuE2ELNS1_3repE0EEENS1_30default_config_static_selectorELNS0_4arch9wavefront6targetE1EEEvT1_.num_agpr, 0
	.set _ZN7rocprim17ROCPRIM_400000_NS6detail17trampoline_kernelINS0_14default_configENS1_25partition_config_selectorILNS1_17partition_subalgoE8ElNS0_10empty_typeEbEEZZNS1_14partition_implILS5_8ELb0ES3_jPlPS6_PKS6_NS0_5tupleIJS9_S6_EEENSD_IJSA_SA_EEENS0_18inequality_wrapperIZN2at6native12_GLOBAL__N_124unique_dim_cuda_templateIlEESt5tupleIJNSH_6TensorESM_SM_EERKSM_lbbbEUlllE0_EEPmJS6_EEE10hipError_tPvRmT3_T4_T5_T6_T7_T9_mT8_P12ihipStream_tbDpT10_ENKUlT_T0_E_clISt17integral_constantIbLb0EES1C_EEDaS17_S18_EUlS17_E_NS1_11comp_targetILNS1_3genE8ELNS1_11target_archE1030ELNS1_3gpuE2ELNS1_3repE0EEENS1_30default_config_static_selectorELNS0_4arch9wavefront6targetE1EEEvT1_.numbered_sgpr, 0
	.set _ZN7rocprim17ROCPRIM_400000_NS6detail17trampoline_kernelINS0_14default_configENS1_25partition_config_selectorILNS1_17partition_subalgoE8ElNS0_10empty_typeEbEEZZNS1_14partition_implILS5_8ELb0ES3_jPlPS6_PKS6_NS0_5tupleIJS9_S6_EEENSD_IJSA_SA_EEENS0_18inequality_wrapperIZN2at6native12_GLOBAL__N_124unique_dim_cuda_templateIlEESt5tupleIJNSH_6TensorESM_SM_EERKSM_lbbbEUlllE0_EEPmJS6_EEE10hipError_tPvRmT3_T4_T5_T6_T7_T9_mT8_P12ihipStream_tbDpT10_ENKUlT_T0_E_clISt17integral_constantIbLb0EES1C_EEDaS17_S18_EUlS17_E_NS1_11comp_targetILNS1_3genE8ELNS1_11target_archE1030ELNS1_3gpuE2ELNS1_3repE0EEENS1_30default_config_static_selectorELNS0_4arch9wavefront6targetE1EEEvT1_.num_named_barrier, 0
	.set _ZN7rocprim17ROCPRIM_400000_NS6detail17trampoline_kernelINS0_14default_configENS1_25partition_config_selectorILNS1_17partition_subalgoE8ElNS0_10empty_typeEbEEZZNS1_14partition_implILS5_8ELb0ES3_jPlPS6_PKS6_NS0_5tupleIJS9_S6_EEENSD_IJSA_SA_EEENS0_18inequality_wrapperIZN2at6native12_GLOBAL__N_124unique_dim_cuda_templateIlEESt5tupleIJNSH_6TensorESM_SM_EERKSM_lbbbEUlllE0_EEPmJS6_EEE10hipError_tPvRmT3_T4_T5_T6_T7_T9_mT8_P12ihipStream_tbDpT10_ENKUlT_T0_E_clISt17integral_constantIbLb0EES1C_EEDaS17_S18_EUlS17_E_NS1_11comp_targetILNS1_3genE8ELNS1_11target_archE1030ELNS1_3gpuE2ELNS1_3repE0EEENS1_30default_config_static_selectorELNS0_4arch9wavefront6targetE1EEEvT1_.private_seg_size, 0
	.set _ZN7rocprim17ROCPRIM_400000_NS6detail17trampoline_kernelINS0_14default_configENS1_25partition_config_selectorILNS1_17partition_subalgoE8ElNS0_10empty_typeEbEEZZNS1_14partition_implILS5_8ELb0ES3_jPlPS6_PKS6_NS0_5tupleIJS9_S6_EEENSD_IJSA_SA_EEENS0_18inequality_wrapperIZN2at6native12_GLOBAL__N_124unique_dim_cuda_templateIlEESt5tupleIJNSH_6TensorESM_SM_EERKSM_lbbbEUlllE0_EEPmJS6_EEE10hipError_tPvRmT3_T4_T5_T6_T7_T9_mT8_P12ihipStream_tbDpT10_ENKUlT_T0_E_clISt17integral_constantIbLb0EES1C_EEDaS17_S18_EUlS17_E_NS1_11comp_targetILNS1_3genE8ELNS1_11target_archE1030ELNS1_3gpuE2ELNS1_3repE0EEENS1_30default_config_static_selectorELNS0_4arch9wavefront6targetE1EEEvT1_.uses_vcc, 0
	.set _ZN7rocprim17ROCPRIM_400000_NS6detail17trampoline_kernelINS0_14default_configENS1_25partition_config_selectorILNS1_17partition_subalgoE8ElNS0_10empty_typeEbEEZZNS1_14partition_implILS5_8ELb0ES3_jPlPS6_PKS6_NS0_5tupleIJS9_S6_EEENSD_IJSA_SA_EEENS0_18inequality_wrapperIZN2at6native12_GLOBAL__N_124unique_dim_cuda_templateIlEESt5tupleIJNSH_6TensorESM_SM_EERKSM_lbbbEUlllE0_EEPmJS6_EEE10hipError_tPvRmT3_T4_T5_T6_T7_T9_mT8_P12ihipStream_tbDpT10_ENKUlT_T0_E_clISt17integral_constantIbLb0EES1C_EEDaS17_S18_EUlS17_E_NS1_11comp_targetILNS1_3genE8ELNS1_11target_archE1030ELNS1_3gpuE2ELNS1_3repE0EEENS1_30default_config_static_selectorELNS0_4arch9wavefront6targetE1EEEvT1_.uses_flat_scratch, 0
	.set _ZN7rocprim17ROCPRIM_400000_NS6detail17trampoline_kernelINS0_14default_configENS1_25partition_config_selectorILNS1_17partition_subalgoE8ElNS0_10empty_typeEbEEZZNS1_14partition_implILS5_8ELb0ES3_jPlPS6_PKS6_NS0_5tupleIJS9_S6_EEENSD_IJSA_SA_EEENS0_18inequality_wrapperIZN2at6native12_GLOBAL__N_124unique_dim_cuda_templateIlEESt5tupleIJNSH_6TensorESM_SM_EERKSM_lbbbEUlllE0_EEPmJS6_EEE10hipError_tPvRmT3_T4_T5_T6_T7_T9_mT8_P12ihipStream_tbDpT10_ENKUlT_T0_E_clISt17integral_constantIbLb0EES1C_EEDaS17_S18_EUlS17_E_NS1_11comp_targetILNS1_3genE8ELNS1_11target_archE1030ELNS1_3gpuE2ELNS1_3repE0EEENS1_30default_config_static_selectorELNS0_4arch9wavefront6targetE1EEEvT1_.has_dyn_sized_stack, 0
	.set _ZN7rocprim17ROCPRIM_400000_NS6detail17trampoline_kernelINS0_14default_configENS1_25partition_config_selectorILNS1_17partition_subalgoE8ElNS0_10empty_typeEbEEZZNS1_14partition_implILS5_8ELb0ES3_jPlPS6_PKS6_NS0_5tupleIJS9_S6_EEENSD_IJSA_SA_EEENS0_18inequality_wrapperIZN2at6native12_GLOBAL__N_124unique_dim_cuda_templateIlEESt5tupleIJNSH_6TensorESM_SM_EERKSM_lbbbEUlllE0_EEPmJS6_EEE10hipError_tPvRmT3_T4_T5_T6_T7_T9_mT8_P12ihipStream_tbDpT10_ENKUlT_T0_E_clISt17integral_constantIbLb0EES1C_EEDaS17_S18_EUlS17_E_NS1_11comp_targetILNS1_3genE8ELNS1_11target_archE1030ELNS1_3gpuE2ELNS1_3repE0EEENS1_30default_config_static_selectorELNS0_4arch9wavefront6targetE1EEEvT1_.has_recursion, 0
	.set _ZN7rocprim17ROCPRIM_400000_NS6detail17trampoline_kernelINS0_14default_configENS1_25partition_config_selectorILNS1_17partition_subalgoE8ElNS0_10empty_typeEbEEZZNS1_14partition_implILS5_8ELb0ES3_jPlPS6_PKS6_NS0_5tupleIJS9_S6_EEENSD_IJSA_SA_EEENS0_18inequality_wrapperIZN2at6native12_GLOBAL__N_124unique_dim_cuda_templateIlEESt5tupleIJNSH_6TensorESM_SM_EERKSM_lbbbEUlllE0_EEPmJS6_EEE10hipError_tPvRmT3_T4_T5_T6_T7_T9_mT8_P12ihipStream_tbDpT10_ENKUlT_T0_E_clISt17integral_constantIbLb0EES1C_EEDaS17_S18_EUlS17_E_NS1_11comp_targetILNS1_3genE8ELNS1_11target_archE1030ELNS1_3gpuE2ELNS1_3repE0EEENS1_30default_config_static_selectorELNS0_4arch9wavefront6targetE1EEEvT1_.has_indirect_call, 0
	.section	.AMDGPU.csdata,"",@progbits
; Kernel info:
; codeLenInByte = 0
; TotalNumSgprs: 6
; NumVgprs: 0
; NumAgprs: 0
; TotalNumVgprs: 0
; ScratchSize: 0
; MemoryBound: 0
; FloatMode: 240
; IeeeMode: 1
; LDSByteSize: 0 bytes/workgroup (compile time only)
; SGPRBlocks: 0
; VGPRBlocks: 0
; NumSGPRsForWavesPerEU: 6
; NumVGPRsForWavesPerEU: 1
; AccumOffset: 4
; Occupancy: 8
; WaveLimiterHint : 0
; COMPUTE_PGM_RSRC2:SCRATCH_EN: 0
; COMPUTE_PGM_RSRC2:USER_SGPR: 2
; COMPUTE_PGM_RSRC2:TRAP_HANDLER: 0
; COMPUTE_PGM_RSRC2:TGID_X_EN: 1
; COMPUTE_PGM_RSRC2:TGID_Y_EN: 0
; COMPUTE_PGM_RSRC2:TGID_Z_EN: 0
; COMPUTE_PGM_RSRC2:TIDIG_COMP_CNT: 0
; COMPUTE_PGM_RSRC3_GFX90A:ACCUM_OFFSET: 0
; COMPUTE_PGM_RSRC3_GFX90A:TG_SPLIT: 0
	.section	.text._ZN7rocprim17ROCPRIM_400000_NS6detail17trampoline_kernelINS0_14default_configENS1_25partition_config_selectorILNS1_17partition_subalgoE8ElNS0_10empty_typeEbEEZZNS1_14partition_implILS5_8ELb0ES3_jPlPS6_PKS6_NS0_5tupleIJS9_S6_EEENSD_IJSA_SA_EEENS0_18inequality_wrapperIZN2at6native12_GLOBAL__N_124unique_dim_cuda_templateIlEESt5tupleIJNSH_6TensorESM_SM_EERKSM_lbbbEUlllE0_EEPmJS6_EEE10hipError_tPvRmT3_T4_T5_T6_T7_T9_mT8_P12ihipStream_tbDpT10_ENKUlT_T0_E_clISt17integral_constantIbLb1EES1C_EEDaS17_S18_EUlS17_E_NS1_11comp_targetILNS1_3genE0ELNS1_11target_archE4294967295ELNS1_3gpuE0ELNS1_3repE0EEENS1_30default_config_static_selectorELNS0_4arch9wavefront6targetE1EEEvT1_,"axG",@progbits,_ZN7rocprim17ROCPRIM_400000_NS6detail17trampoline_kernelINS0_14default_configENS1_25partition_config_selectorILNS1_17partition_subalgoE8ElNS0_10empty_typeEbEEZZNS1_14partition_implILS5_8ELb0ES3_jPlPS6_PKS6_NS0_5tupleIJS9_S6_EEENSD_IJSA_SA_EEENS0_18inequality_wrapperIZN2at6native12_GLOBAL__N_124unique_dim_cuda_templateIlEESt5tupleIJNSH_6TensorESM_SM_EERKSM_lbbbEUlllE0_EEPmJS6_EEE10hipError_tPvRmT3_T4_T5_T6_T7_T9_mT8_P12ihipStream_tbDpT10_ENKUlT_T0_E_clISt17integral_constantIbLb1EES1C_EEDaS17_S18_EUlS17_E_NS1_11comp_targetILNS1_3genE0ELNS1_11target_archE4294967295ELNS1_3gpuE0ELNS1_3repE0EEENS1_30default_config_static_selectorELNS0_4arch9wavefront6targetE1EEEvT1_,comdat
	.globl	_ZN7rocprim17ROCPRIM_400000_NS6detail17trampoline_kernelINS0_14default_configENS1_25partition_config_selectorILNS1_17partition_subalgoE8ElNS0_10empty_typeEbEEZZNS1_14partition_implILS5_8ELb0ES3_jPlPS6_PKS6_NS0_5tupleIJS9_S6_EEENSD_IJSA_SA_EEENS0_18inequality_wrapperIZN2at6native12_GLOBAL__N_124unique_dim_cuda_templateIlEESt5tupleIJNSH_6TensorESM_SM_EERKSM_lbbbEUlllE0_EEPmJS6_EEE10hipError_tPvRmT3_T4_T5_T6_T7_T9_mT8_P12ihipStream_tbDpT10_ENKUlT_T0_E_clISt17integral_constantIbLb1EES1C_EEDaS17_S18_EUlS17_E_NS1_11comp_targetILNS1_3genE0ELNS1_11target_archE4294967295ELNS1_3gpuE0ELNS1_3repE0EEENS1_30default_config_static_selectorELNS0_4arch9wavefront6targetE1EEEvT1_ ; -- Begin function _ZN7rocprim17ROCPRIM_400000_NS6detail17trampoline_kernelINS0_14default_configENS1_25partition_config_selectorILNS1_17partition_subalgoE8ElNS0_10empty_typeEbEEZZNS1_14partition_implILS5_8ELb0ES3_jPlPS6_PKS6_NS0_5tupleIJS9_S6_EEENSD_IJSA_SA_EEENS0_18inequality_wrapperIZN2at6native12_GLOBAL__N_124unique_dim_cuda_templateIlEESt5tupleIJNSH_6TensorESM_SM_EERKSM_lbbbEUlllE0_EEPmJS6_EEE10hipError_tPvRmT3_T4_T5_T6_T7_T9_mT8_P12ihipStream_tbDpT10_ENKUlT_T0_E_clISt17integral_constantIbLb1EES1C_EEDaS17_S18_EUlS17_E_NS1_11comp_targetILNS1_3genE0ELNS1_11target_archE4294967295ELNS1_3gpuE0ELNS1_3repE0EEENS1_30default_config_static_selectorELNS0_4arch9wavefront6targetE1EEEvT1_
	.p2align	8
	.type	_ZN7rocprim17ROCPRIM_400000_NS6detail17trampoline_kernelINS0_14default_configENS1_25partition_config_selectorILNS1_17partition_subalgoE8ElNS0_10empty_typeEbEEZZNS1_14partition_implILS5_8ELb0ES3_jPlPS6_PKS6_NS0_5tupleIJS9_S6_EEENSD_IJSA_SA_EEENS0_18inequality_wrapperIZN2at6native12_GLOBAL__N_124unique_dim_cuda_templateIlEESt5tupleIJNSH_6TensorESM_SM_EERKSM_lbbbEUlllE0_EEPmJS6_EEE10hipError_tPvRmT3_T4_T5_T6_T7_T9_mT8_P12ihipStream_tbDpT10_ENKUlT_T0_E_clISt17integral_constantIbLb1EES1C_EEDaS17_S18_EUlS17_E_NS1_11comp_targetILNS1_3genE0ELNS1_11target_archE4294967295ELNS1_3gpuE0ELNS1_3repE0EEENS1_30default_config_static_selectorELNS0_4arch9wavefront6targetE1EEEvT1_,@function
_ZN7rocprim17ROCPRIM_400000_NS6detail17trampoline_kernelINS0_14default_configENS1_25partition_config_selectorILNS1_17partition_subalgoE8ElNS0_10empty_typeEbEEZZNS1_14partition_implILS5_8ELb0ES3_jPlPS6_PKS6_NS0_5tupleIJS9_S6_EEENSD_IJSA_SA_EEENS0_18inequality_wrapperIZN2at6native12_GLOBAL__N_124unique_dim_cuda_templateIlEESt5tupleIJNSH_6TensorESM_SM_EERKSM_lbbbEUlllE0_EEPmJS6_EEE10hipError_tPvRmT3_T4_T5_T6_T7_T9_mT8_P12ihipStream_tbDpT10_ENKUlT_T0_E_clISt17integral_constantIbLb1EES1C_EEDaS17_S18_EUlS17_E_NS1_11comp_targetILNS1_3genE0ELNS1_11target_archE4294967295ELNS1_3gpuE0ELNS1_3repE0EEENS1_30default_config_static_selectorELNS0_4arch9wavefront6targetE1EEEvT1_: ; @_ZN7rocprim17ROCPRIM_400000_NS6detail17trampoline_kernelINS0_14default_configENS1_25partition_config_selectorILNS1_17partition_subalgoE8ElNS0_10empty_typeEbEEZZNS1_14partition_implILS5_8ELb0ES3_jPlPS6_PKS6_NS0_5tupleIJS9_S6_EEENSD_IJSA_SA_EEENS0_18inequality_wrapperIZN2at6native12_GLOBAL__N_124unique_dim_cuda_templateIlEESt5tupleIJNSH_6TensorESM_SM_EERKSM_lbbbEUlllE0_EEPmJS6_EEE10hipError_tPvRmT3_T4_T5_T6_T7_T9_mT8_P12ihipStream_tbDpT10_ENKUlT_T0_E_clISt17integral_constantIbLb1EES1C_EEDaS17_S18_EUlS17_E_NS1_11comp_targetILNS1_3genE0ELNS1_11target_archE4294967295ELNS1_3gpuE0ELNS1_3repE0EEENS1_30default_config_static_selectorELNS0_4arch9wavefront6targetE1EEEvT1_
; %bb.0:
	s_endpgm
	.section	.rodata,"a",@progbits
	.p2align	6, 0x0
	.amdhsa_kernel _ZN7rocprim17ROCPRIM_400000_NS6detail17trampoline_kernelINS0_14default_configENS1_25partition_config_selectorILNS1_17partition_subalgoE8ElNS0_10empty_typeEbEEZZNS1_14partition_implILS5_8ELb0ES3_jPlPS6_PKS6_NS0_5tupleIJS9_S6_EEENSD_IJSA_SA_EEENS0_18inequality_wrapperIZN2at6native12_GLOBAL__N_124unique_dim_cuda_templateIlEESt5tupleIJNSH_6TensorESM_SM_EERKSM_lbbbEUlllE0_EEPmJS6_EEE10hipError_tPvRmT3_T4_T5_T6_T7_T9_mT8_P12ihipStream_tbDpT10_ENKUlT_T0_E_clISt17integral_constantIbLb1EES1C_EEDaS17_S18_EUlS17_E_NS1_11comp_targetILNS1_3genE0ELNS1_11target_archE4294967295ELNS1_3gpuE0ELNS1_3repE0EEENS1_30default_config_static_selectorELNS0_4arch9wavefront6targetE1EEEvT1_
		.amdhsa_group_segment_fixed_size 0
		.amdhsa_private_segment_fixed_size 0
		.amdhsa_kernarg_size 136
		.amdhsa_user_sgpr_count 2
		.amdhsa_user_sgpr_dispatch_ptr 0
		.amdhsa_user_sgpr_queue_ptr 0
		.amdhsa_user_sgpr_kernarg_segment_ptr 1
		.amdhsa_user_sgpr_dispatch_id 0
		.amdhsa_user_sgpr_kernarg_preload_length 0
		.amdhsa_user_sgpr_kernarg_preload_offset 0
		.amdhsa_user_sgpr_private_segment_size 0
		.amdhsa_uses_dynamic_stack 0
		.amdhsa_enable_private_segment 0
		.amdhsa_system_sgpr_workgroup_id_x 1
		.amdhsa_system_sgpr_workgroup_id_y 0
		.amdhsa_system_sgpr_workgroup_id_z 0
		.amdhsa_system_sgpr_workgroup_info 0
		.amdhsa_system_vgpr_workitem_id 0
		.amdhsa_next_free_vgpr 1
		.amdhsa_next_free_sgpr 0
		.amdhsa_accum_offset 4
		.amdhsa_reserve_vcc 0
		.amdhsa_float_round_mode_32 0
		.amdhsa_float_round_mode_16_64 0
		.amdhsa_float_denorm_mode_32 3
		.amdhsa_float_denorm_mode_16_64 3
		.amdhsa_dx10_clamp 1
		.amdhsa_ieee_mode 1
		.amdhsa_fp16_overflow 0
		.amdhsa_tg_split 0
		.amdhsa_exception_fp_ieee_invalid_op 0
		.amdhsa_exception_fp_denorm_src 0
		.amdhsa_exception_fp_ieee_div_zero 0
		.amdhsa_exception_fp_ieee_overflow 0
		.amdhsa_exception_fp_ieee_underflow 0
		.amdhsa_exception_fp_ieee_inexact 0
		.amdhsa_exception_int_div_zero 0
	.end_amdhsa_kernel
	.section	.text._ZN7rocprim17ROCPRIM_400000_NS6detail17trampoline_kernelINS0_14default_configENS1_25partition_config_selectorILNS1_17partition_subalgoE8ElNS0_10empty_typeEbEEZZNS1_14partition_implILS5_8ELb0ES3_jPlPS6_PKS6_NS0_5tupleIJS9_S6_EEENSD_IJSA_SA_EEENS0_18inequality_wrapperIZN2at6native12_GLOBAL__N_124unique_dim_cuda_templateIlEESt5tupleIJNSH_6TensorESM_SM_EERKSM_lbbbEUlllE0_EEPmJS6_EEE10hipError_tPvRmT3_T4_T5_T6_T7_T9_mT8_P12ihipStream_tbDpT10_ENKUlT_T0_E_clISt17integral_constantIbLb1EES1C_EEDaS17_S18_EUlS17_E_NS1_11comp_targetILNS1_3genE0ELNS1_11target_archE4294967295ELNS1_3gpuE0ELNS1_3repE0EEENS1_30default_config_static_selectorELNS0_4arch9wavefront6targetE1EEEvT1_,"axG",@progbits,_ZN7rocprim17ROCPRIM_400000_NS6detail17trampoline_kernelINS0_14default_configENS1_25partition_config_selectorILNS1_17partition_subalgoE8ElNS0_10empty_typeEbEEZZNS1_14partition_implILS5_8ELb0ES3_jPlPS6_PKS6_NS0_5tupleIJS9_S6_EEENSD_IJSA_SA_EEENS0_18inequality_wrapperIZN2at6native12_GLOBAL__N_124unique_dim_cuda_templateIlEESt5tupleIJNSH_6TensorESM_SM_EERKSM_lbbbEUlllE0_EEPmJS6_EEE10hipError_tPvRmT3_T4_T5_T6_T7_T9_mT8_P12ihipStream_tbDpT10_ENKUlT_T0_E_clISt17integral_constantIbLb1EES1C_EEDaS17_S18_EUlS17_E_NS1_11comp_targetILNS1_3genE0ELNS1_11target_archE4294967295ELNS1_3gpuE0ELNS1_3repE0EEENS1_30default_config_static_selectorELNS0_4arch9wavefront6targetE1EEEvT1_,comdat
.Lfunc_end571:
	.size	_ZN7rocprim17ROCPRIM_400000_NS6detail17trampoline_kernelINS0_14default_configENS1_25partition_config_selectorILNS1_17partition_subalgoE8ElNS0_10empty_typeEbEEZZNS1_14partition_implILS5_8ELb0ES3_jPlPS6_PKS6_NS0_5tupleIJS9_S6_EEENSD_IJSA_SA_EEENS0_18inequality_wrapperIZN2at6native12_GLOBAL__N_124unique_dim_cuda_templateIlEESt5tupleIJNSH_6TensorESM_SM_EERKSM_lbbbEUlllE0_EEPmJS6_EEE10hipError_tPvRmT3_T4_T5_T6_T7_T9_mT8_P12ihipStream_tbDpT10_ENKUlT_T0_E_clISt17integral_constantIbLb1EES1C_EEDaS17_S18_EUlS17_E_NS1_11comp_targetILNS1_3genE0ELNS1_11target_archE4294967295ELNS1_3gpuE0ELNS1_3repE0EEENS1_30default_config_static_selectorELNS0_4arch9wavefront6targetE1EEEvT1_, .Lfunc_end571-_ZN7rocprim17ROCPRIM_400000_NS6detail17trampoline_kernelINS0_14default_configENS1_25partition_config_selectorILNS1_17partition_subalgoE8ElNS0_10empty_typeEbEEZZNS1_14partition_implILS5_8ELb0ES3_jPlPS6_PKS6_NS0_5tupleIJS9_S6_EEENSD_IJSA_SA_EEENS0_18inequality_wrapperIZN2at6native12_GLOBAL__N_124unique_dim_cuda_templateIlEESt5tupleIJNSH_6TensorESM_SM_EERKSM_lbbbEUlllE0_EEPmJS6_EEE10hipError_tPvRmT3_T4_T5_T6_T7_T9_mT8_P12ihipStream_tbDpT10_ENKUlT_T0_E_clISt17integral_constantIbLb1EES1C_EEDaS17_S18_EUlS17_E_NS1_11comp_targetILNS1_3genE0ELNS1_11target_archE4294967295ELNS1_3gpuE0ELNS1_3repE0EEENS1_30default_config_static_selectorELNS0_4arch9wavefront6targetE1EEEvT1_
                                        ; -- End function
	.set _ZN7rocprim17ROCPRIM_400000_NS6detail17trampoline_kernelINS0_14default_configENS1_25partition_config_selectorILNS1_17partition_subalgoE8ElNS0_10empty_typeEbEEZZNS1_14partition_implILS5_8ELb0ES3_jPlPS6_PKS6_NS0_5tupleIJS9_S6_EEENSD_IJSA_SA_EEENS0_18inequality_wrapperIZN2at6native12_GLOBAL__N_124unique_dim_cuda_templateIlEESt5tupleIJNSH_6TensorESM_SM_EERKSM_lbbbEUlllE0_EEPmJS6_EEE10hipError_tPvRmT3_T4_T5_T6_T7_T9_mT8_P12ihipStream_tbDpT10_ENKUlT_T0_E_clISt17integral_constantIbLb1EES1C_EEDaS17_S18_EUlS17_E_NS1_11comp_targetILNS1_3genE0ELNS1_11target_archE4294967295ELNS1_3gpuE0ELNS1_3repE0EEENS1_30default_config_static_selectorELNS0_4arch9wavefront6targetE1EEEvT1_.num_vgpr, 0
	.set _ZN7rocprim17ROCPRIM_400000_NS6detail17trampoline_kernelINS0_14default_configENS1_25partition_config_selectorILNS1_17partition_subalgoE8ElNS0_10empty_typeEbEEZZNS1_14partition_implILS5_8ELb0ES3_jPlPS6_PKS6_NS0_5tupleIJS9_S6_EEENSD_IJSA_SA_EEENS0_18inequality_wrapperIZN2at6native12_GLOBAL__N_124unique_dim_cuda_templateIlEESt5tupleIJNSH_6TensorESM_SM_EERKSM_lbbbEUlllE0_EEPmJS6_EEE10hipError_tPvRmT3_T4_T5_T6_T7_T9_mT8_P12ihipStream_tbDpT10_ENKUlT_T0_E_clISt17integral_constantIbLb1EES1C_EEDaS17_S18_EUlS17_E_NS1_11comp_targetILNS1_3genE0ELNS1_11target_archE4294967295ELNS1_3gpuE0ELNS1_3repE0EEENS1_30default_config_static_selectorELNS0_4arch9wavefront6targetE1EEEvT1_.num_agpr, 0
	.set _ZN7rocprim17ROCPRIM_400000_NS6detail17trampoline_kernelINS0_14default_configENS1_25partition_config_selectorILNS1_17partition_subalgoE8ElNS0_10empty_typeEbEEZZNS1_14partition_implILS5_8ELb0ES3_jPlPS6_PKS6_NS0_5tupleIJS9_S6_EEENSD_IJSA_SA_EEENS0_18inequality_wrapperIZN2at6native12_GLOBAL__N_124unique_dim_cuda_templateIlEESt5tupleIJNSH_6TensorESM_SM_EERKSM_lbbbEUlllE0_EEPmJS6_EEE10hipError_tPvRmT3_T4_T5_T6_T7_T9_mT8_P12ihipStream_tbDpT10_ENKUlT_T0_E_clISt17integral_constantIbLb1EES1C_EEDaS17_S18_EUlS17_E_NS1_11comp_targetILNS1_3genE0ELNS1_11target_archE4294967295ELNS1_3gpuE0ELNS1_3repE0EEENS1_30default_config_static_selectorELNS0_4arch9wavefront6targetE1EEEvT1_.numbered_sgpr, 0
	.set _ZN7rocprim17ROCPRIM_400000_NS6detail17trampoline_kernelINS0_14default_configENS1_25partition_config_selectorILNS1_17partition_subalgoE8ElNS0_10empty_typeEbEEZZNS1_14partition_implILS5_8ELb0ES3_jPlPS6_PKS6_NS0_5tupleIJS9_S6_EEENSD_IJSA_SA_EEENS0_18inequality_wrapperIZN2at6native12_GLOBAL__N_124unique_dim_cuda_templateIlEESt5tupleIJNSH_6TensorESM_SM_EERKSM_lbbbEUlllE0_EEPmJS6_EEE10hipError_tPvRmT3_T4_T5_T6_T7_T9_mT8_P12ihipStream_tbDpT10_ENKUlT_T0_E_clISt17integral_constantIbLb1EES1C_EEDaS17_S18_EUlS17_E_NS1_11comp_targetILNS1_3genE0ELNS1_11target_archE4294967295ELNS1_3gpuE0ELNS1_3repE0EEENS1_30default_config_static_selectorELNS0_4arch9wavefront6targetE1EEEvT1_.num_named_barrier, 0
	.set _ZN7rocprim17ROCPRIM_400000_NS6detail17trampoline_kernelINS0_14default_configENS1_25partition_config_selectorILNS1_17partition_subalgoE8ElNS0_10empty_typeEbEEZZNS1_14partition_implILS5_8ELb0ES3_jPlPS6_PKS6_NS0_5tupleIJS9_S6_EEENSD_IJSA_SA_EEENS0_18inequality_wrapperIZN2at6native12_GLOBAL__N_124unique_dim_cuda_templateIlEESt5tupleIJNSH_6TensorESM_SM_EERKSM_lbbbEUlllE0_EEPmJS6_EEE10hipError_tPvRmT3_T4_T5_T6_T7_T9_mT8_P12ihipStream_tbDpT10_ENKUlT_T0_E_clISt17integral_constantIbLb1EES1C_EEDaS17_S18_EUlS17_E_NS1_11comp_targetILNS1_3genE0ELNS1_11target_archE4294967295ELNS1_3gpuE0ELNS1_3repE0EEENS1_30default_config_static_selectorELNS0_4arch9wavefront6targetE1EEEvT1_.private_seg_size, 0
	.set _ZN7rocprim17ROCPRIM_400000_NS6detail17trampoline_kernelINS0_14default_configENS1_25partition_config_selectorILNS1_17partition_subalgoE8ElNS0_10empty_typeEbEEZZNS1_14partition_implILS5_8ELb0ES3_jPlPS6_PKS6_NS0_5tupleIJS9_S6_EEENSD_IJSA_SA_EEENS0_18inequality_wrapperIZN2at6native12_GLOBAL__N_124unique_dim_cuda_templateIlEESt5tupleIJNSH_6TensorESM_SM_EERKSM_lbbbEUlllE0_EEPmJS6_EEE10hipError_tPvRmT3_T4_T5_T6_T7_T9_mT8_P12ihipStream_tbDpT10_ENKUlT_T0_E_clISt17integral_constantIbLb1EES1C_EEDaS17_S18_EUlS17_E_NS1_11comp_targetILNS1_3genE0ELNS1_11target_archE4294967295ELNS1_3gpuE0ELNS1_3repE0EEENS1_30default_config_static_selectorELNS0_4arch9wavefront6targetE1EEEvT1_.uses_vcc, 0
	.set _ZN7rocprim17ROCPRIM_400000_NS6detail17trampoline_kernelINS0_14default_configENS1_25partition_config_selectorILNS1_17partition_subalgoE8ElNS0_10empty_typeEbEEZZNS1_14partition_implILS5_8ELb0ES3_jPlPS6_PKS6_NS0_5tupleIJS9_S6_EEENSD_IJSA_SA_EEENS0_18inequality_wrapperIZN2at6native12_GLOBAL__N_124unique_dim_cuda_templateIlEESt5tupleIJNSH_6TensorESM_SM_EERKSM_lbbbEUlllE0_EEPmJS6_EEE10hipError_tPvRmT3_T4_T5_T6_T7_T9_mT8_P12ihipStream_tbDpT10_ENKUlT_T0_E_clISt17integral_constantIbLb1EES1C_EEDaS17_S18_EUlS17_E_NS1_11comp_targetILNS1_3genE0ELNS1_11target_archE4294967295ELNS1_3gpuE0ELNS1_3repE0EEENS1_30default_config_static_selectorELNS0_4arch9wavefront6targetE1EEEvT1_.uses_flat_scratch, 0
	.set _ZN7rocprim17ROCPRIM_400000_NS6detail17trampoline_kernelINS0_14default_configENS1_25partition_config_selectorILNS1_17partition_subalgoE8ElNS0_10empty_typeEbEEZZNS1_14partition_implILS5_8ELb0ES3_jPlPS6_PKS6_NS0_5tupleIJS9_S6_EEENSD_IJSA_SA_EEENS0_18inequality_wrapperIZN2at6native12_GLOBAL__N_124unique_dim_cuda_templateIlEESt5tupleIJNSH_6TensorESM_SM_EERKSM_lbbbEUlllE0_EEPmJS6_EEE10hipError_tPvRmT3_T4_T5_T6_T7_T9_mT8_P12ihipStream_tbDpT10_ENKUlT_T0_E_clISt17integral_constantIbLb1EES1C_EEDaS17_S18_EUlS17_E_NS1_11comp_targetILNS1_3genE0ELNS1_11target_archE4294967295ELNS1_3gpuE0ELNS1_3repE0EEENS1_30default_config_static_selectorELNS0_4arch9wavefront6targetE1EEEvT1_.has_dyn_sized_stack, 0
	.set _ZN7rocprim17ROCPRIM_400000_NS6detail17trampoline_kernelINS0_14default_configENS1_25partition_config_selectorILNS1_17partition_subalgoE8ElNS0_10empty_typeEbEEZZNS1_14partition_implILS5_8ELb0ES3_jPlPS6_PKS6_NS0_5tupleIJS9_S6_EEENSD_IJSA_SA_EEENS0_18inequality_wrapperIZN2at6native12_GLOBAL__N_124unique_dim_cuda_templateIlEESt5tupleIJNSH_6TensorESM_SM_EERKSM_lbbbEUlllE0_EEPmJS6_EEE10hipError_tPvRmT3_T4_T5_T6_T7_T9_mT8_P12ihipStream_tbDpT10_ENKUlT_T0_E_clISt17integral_constantIbLb1EES1C_EEDaS17_S18_EUlS17_E_NS1_11comp_targetILNS1_3genE0ELNS1_11target_archE4294967295ELNS1_3gpuE0ELNS1_3repE0EEENS1_30default_config_static_selectorELNS0_4arch9wavefront6targetE1EEEvT1_.has_recursion, 0
	.set _ZN7rocprim17ROCPRIM_400000_NS6detail17trampoline_kernelINS0_14default_configENS1_25partition_config_selectorILNS1_17partition_subalgoE8ElNS0_10empty_typeEbEEZZNS1_14partition_implILS5_8ELb0ES3_jPlPS6_PKS6_NS0_5tupleIJS9_S6_EEENSD_IJSA_SA_EEENS0_18inequality_wrapperIZN2at6native12_GLOBAL__N_124unique_dim_cuda_templateIlEESt5tupleIJNSH_6TensorESM_SM_EERKSM_lbbbEUlllE0_EEPmJS6_EEE10hipError_tPvRmT3_T4_T5_T6_T7_T9_mT8_P12ihipStream_tbDpT10_ENKUlT_T0_E_clISt17integral_constantIbLb1EES1C_EEDaS17_S18_EUlS17_E_NS1_11comp_targetILNS1_3genE0ELNS1_11target_archE4294967295ELNS1_3gpuE0ELNS1_3repE0EEENS1_30default_config_static_selectorELNS0_4arch9wavefront6targetE1EEEvT1_.has_indirect_call, 0
	.section	.AMDGPU.csdata,"",@progbits
; Kernel info:
; codeLenInByte = 4
; TotalNumSgprs: 6
; NumVgprs: 0
; NumAgprs: 0
; TotalNumVgprs: 0
; ScratchSize: 0
; MemoryBound: 0
; FloatMode: 240
; IeeeMode: 1
; LDSByteSize: 0 bytes/workgroup (compile time only)
; SGPRBlocks: 0
; VGPRBlocks: 0
; NumSGPRsForWavesPerEU: 6
; NumVGPRsForWavesPerEU: 1
; AccumOffset: 4
; Occupancy: 8
; WaveLimiterHint : 0
; COMPUTE_PGM_RSRC2:SCRATCH_EN: 0
; COMPUTE_PGM_RSRC2:USER_SGPR: 2
; COMPUTE_PGM_RSRC2:TRAP_HANDLER: 0
; COMPUTE_PGM_RSRC2:TGID_X_EN: 1
; COMPUTE_PGM_RSRC2:TGID_Y_EN: 0
; COMPUTE_PGM_RSRC2:TGID_Z_EN: 0
; COMPUTE_PGM_RSRC2:TIDIG_COMP_CNT: 0
; COMPUTE_PGM_RSRC3_GFX90A:ACCUM_OFFSET: 0
; COMPUTE_PGM_RSRC3_GFX90A:TG_SPLIT: 0
	.section	.text._ZN7rocprim17ROCPRIM_400000_NS6detail17trampoline_kernelINS0_14default_configENS1_25partition_config_selectorILNS1_17partition_subalgoE8ElNS0_10empty_typeEbEEZZNS1_14partition_implILS5_8ELb0ES3_jPlPS6_PKS6_NS0_5tupleIJS9_S6_EEENSD_IJSA_SA_EEENS0_18inequality_wrapperIZN2at6native12_GLOBAL__N_124unique_dim_cuda_templateIlEESt5tupleIJNSH_6TensorESM_SM_EERKSM_lbbbEUlllE0_EEPmJS6_EEE10hipError_tPvRmT3_T4_T5_T6_T7_T9_mT8_P12ihipStream_tbDpT10_ENKUlT_T0_E_clISt17integral_constantIbLb1EES1C_EEDaS17_S18_EUlS17_E_NS1_11comp_targetILNS1_3genE5ELNS1_11target_archE942ELNS1_3gpuE9ELNS1_3repE0EEENS1_30default_config_static_selectorELNS0_4arch9wavefront6targetE1EEEvT1_,"axG",@progbits,_ZN7rocprim17ROCPRIM_400000_NS6detail17trampoline_kernelINS0_14default_configENS1_25partition_config_selectorILNS1_17partition_subalgoE8ElNS0_10empty_typeEbEEZZNS1_14partition_implILS5_8ELb0ES3_jPlPS6_PKS6_NS0_5tupleIJS9_S6_EEENSD_IJSA_SA_EEENS0_18inequality_wrapperIZN2at6native12_GLOBAL__N_124unique_dim_cuda_templateIlEESt5tupleIJNSH_6TensorESM_SM_EERKSM_lbbbEUlllE0_EEPmJS6_EEE10hipError_tPvRmT3_T4_T5_T6_T7_T9_mT8_P12ihipStream_tbDpT10_ENKUlT_T0_E_clISt17integral_constantIbLb1EES1C_EEDaS17_S18_EUlS17_E_NS1_11comp_targetILNS1_3genE5ELNS1_11target_archE942ELNS1_3gpuE9ELNS1_3repE0EEENS1_30default_config_static_selectorELNS0_4arch9wavefront6targetE1EEEvT1_,comdat
	.globl	_ZN7rocprim17ROCPRIM_400000_NS6detail17trampoline_kernelINS0_14default_configENS1_25partition_config_selectorILNS1_17partition_subalgoE8ElNS0_10empty_typeEbEEZZNS1_14partition_implILS5_8ELb0ES3_jPlPS6_PKS6_NS0_5tupleIJS9_S6_EEENSD_IJSA_SA_EEENS0_18inequality_wrapperIZN2at6native12_GLOBAL__N_124unique_dim_cuda_templateIlEESt5tupleIJNSH_6TensorESM_SM_EERKSM_lbbbEUlllE0_EEPmJS6_EEE10hipError_tPvRmT3_T4_T5_T6_T7_T9_mT8_P12ihipStream_tbDpT10_ENKUlT_T0_E_clISt17integral_constantIbLb1EES1C_EEDaS17_S18_EUlS17_E_NS1_11comp_targetILNS1_3genE5ELNS1_11target_archE942ELNS1_3gpuE9ELNS1_3repE0EEENS1_30default_config_static_selectorELNS0_4arch9wavefront6targetE1EEEvT1_ ; -- Begin function _ZN7rocprim17ROCPRIM_400000_NS6detail17trampoline_kernelINS0_14default_configENS1_25partition_config_selectorILNS1_17partition_subalgoE8ElNS0_10empty_typeEbEEZZNS1_14partition_implILS5_8ELb0ES3_jPlPS6_PKS6_NS0_5tupleIJS9_S6_EEENSD_IJSA_SA_EEENS0_18inequality_wrapperIZN2at6native12_GLOBAL__N_124unique_dim_cuda_templateIlEESt5tupleIJNSH_6TensorESM_SM_EERKSM_lbbbEUlllE0_EEPmJS6_EEE10hipError_tPvRmT3_T4_T5_T6_T7_T9_mT8_P12ihipStream_tbDpT10_ENKUlT_T0_E_clISt17integral_constantIbLb1EES1C_EEDaS17_S18_EUlS17_E_NS1_11comp_targetILNS1_3genE5ELNS1_11target_archE942ELNS1_3gpuE9ELNS1_3repE0EEENS1_30default_config_static_selectorELNS0_4arch9wavefront6targetE1EEEvT1_
	.p2align	8
	.type	_ZN7rocprim17ROCPRIM_400000_NS6detail17trampoline_kernelINS0_14default_configENS1_25partition_config_selectorILNS1_17partition_subalgoE8ElNS0_10empty_typeEbEEZZNS1_14partition_implILS5_8ELb0ES3_jPlPS6_PKS6_NS0_5tupleIJS9_S6_EEENSD_IJSA_SA_EEENS0_18inequality_wrapperIZN2at6native12_GLOBAL__N_124unique_dim_cuda_templateIlEESt5tupleIJNSH_6TensorESM_SM_EERKSM_lbbbEUlllE0_EEPmJS6_EEE10hipError_tPvRmT3_T4_T5_T6_T7_T9_mT8_P12ihipStream_tbDpT10_ENKUlT_T0_E_clISt17integral_constantIbLb1EES1C_EEDaS17_S18_EUlS17_E_NS1_11comp_targetILNS1_3genE5ELNS1_11target_archE942ELNS1_3gpuE9ELNS1_3repE0EEENS1_30default_config_static_selectorELNS0_4arch9wavefront6targetE1EEEvT1_,@function
_ZN7rocprim17ROCPRIM_400000_NS6detail17trampoline_kernelINS0_14default_configENS1_25partition_config_selectorILNS1_17partition_subalgoE8ElNS0_10empty_typeEbEEZZNS1_14partition_implILS5_8ELb0ES3_jPlPS6_PKS6_NS0_5tupleIJS9_S6_EEENSD_IJSA_SA_EEENS0_18inequality_wrapperIZN2at6native12_GLOBAL__N_124unique_dim_cuda_templateIlEESt5tupleIJNSH_6TensorESM_SM_EERKSM_lbbbEUlllE0_EEPmJS6_EEE10hipError_tPvRmT3_T4_T5_T6_T7_T9_mT8_P12ihipStream_tbDpT10_ENKUlT_T0_E_clISt17integral_constantIbLb1EES1C_EEDaS17_S18_EUlS17_E_NS1_11comp_targetILNS1_3genE5ELNS1_11target_archE942ELNS1_3gpuE9ELNS1_3repE0EEENS1_30default_config_static_selectorELNS0_4arch9wavefront6targetE1EEEvT1_: ; @_ZN7rocprim17ROCPRIM_400000_NS6detail17trampoline_kernelINS0_14default_configENS1_25partition_config_selectorILNS1_17partition_subalgoE8ElNS0_10empty_typeEbEEZZNS1_14partition_implILS5_8ELb0ES3_jPlPS6_PKS6_NS0_5tupleIJS9_S6_EEENSD_IJSA_SA_EEENS0_18inequality_wrapperIZN2at6native12_GLOBAL__N_124unique_dim_cuda_templateIlEESt5tupleIJNSH_6TensorESM_SM_EERKSM_lbbbEUlllE0_EEPmJS6_EEE10hipError_tPvRmT3_T4_T5_T6_T7_T9_mT8_P12ihipStream_tbDpT10_ENKUlT_T0_E_clISt17integral_constantIbLb1EES1C_EEDaS17_S18_EUlS17_E_NS1_11comp_targetILNS1_3genE5ELNS1_11target_archE942ELNS1_3gpuE9ELNS1_3repE0EEENS1_30default_config_static_selectorELNS0_4arch9wavefront6targetE1EEEvT1_
; %bb.0:
	.section	.rodata,"a",@progbits
	.p2align	6, 0x0
	.amdhsa_kernel _ZN7rocprim17ROCPRIM_400000_NS6detail17trampoline_kernelINS0_14default_configENS1_25partition_config_selectorILNS1_17partition_subalgoE8ElNS0_10empty_typeEbEEZZNS1_14partition_implILS5_8ELb0ES3_jPlPS6_PKS6_NS0_5tupleIJS9_S6_EEENSD_IJSA_SA_EEENS0_18inequality_wrapperIZN2at6native12_GLOBAL__N_124unique_dim_cuda_templateIlEESt5tupleIJNSH_6TensorESM_SM_EERKSM_lbbbEUlllE0_EEPmJS6_EEE10hipError_tPvRmT3_T4_T5_T6_T7_T9_mT8_P12ihipStream_tbDpT10_ENKUlT_T0_E_clISt17integral_constantIbLb1EES1C_EEDaS17_S18_EUlS17_E_NS1_11comp_targetILNS1_3genE5ELNS1_11target_archE942ELNS1_3gpuE9ELNS1_3repE0EEENS1_30default_config_static_selectorELNS0_4arch9wavefront6targetE1EEEvT1_
		.amdhsa_group_segment_fixed_size 0
		.amdhsa_private_segment_fixed_size 0
		.amdhsa_kernarg_size 136
		.amdhsa_user_sgpr_count 2
		.amdhsa_user_sgpr_dispatch_ptr 0
		.amdhsa_user_sgpr_queue_ptr 0
		.amdhsa_user_sgpr_kernarg_segment_ptr 1
		.amdhsa_user_sgpr_dispatch_id 0
		.amdhsa_user_sgpr_kernarg_preload_length 0
		.amdhsa_user_sgpr_kernarg_preload_offset 0
		.amdhsa_user_sgpr_private_segment_size 0
		.amdhsa_uses_dynamic_stack 0
		.amdhsa_enable_private_segment 0
		.amdhsa_system_sgpr_workgroup_id_x 1
		.amdhsa_system_sgpr_workgroup_id_y 0
		.amdhsa_system_sgpr_workgroup_id_z 0
		.amdhsa_system_sgpr_workgroup_info 0
		.amdhsa_system_vgpr_workitem_id 0
		.amdhsa_next_free_vgpr 1
		.amdhsa_next_free_sgpr 0
		.amdhsa_accum_offset 4
		.amdhsa_reserve_vcc 0
		.amdhsa_float_round_mode_32 0
		.amdhsa_float_round_mode_16_64 0
		.amdhsa_float_denorm_mode_32 3
		.amdhsa_float_denorm_mode_16_64 3
		.amdhsa_dx10_clamp 1
		.amdhsa_ieee_mode 1
		.amdhsa_fp16_overflow 0
		.amdhsa_tg_split 0
		.amdhsa_exception_fp_ieee_invalid_op 0
		.amdhsa_exception_fp_denorm_src 0
		.amdhsa_exception_fp_ieee_div_zero 0
		.amdhsa_exception_fp_ieee_overflow 0
		.amdhsa_exception_fp_ieee_underflow 0
		.amdhsa_exception_fp_ieee_inexact 0
		.amdhsa_exception_int_div_zero 0
	.end_amdhsa_kernel
	.section	.text._ZN7rocprim17ROCPRIM_400000_NS6detail17trampoline_kernelINS0_14default_configENS1_25partition_config_selectorILNS1_17partition_subalgoE8ElNS0_10empty_typeEbEEZZNS1_14partition_implILS5_8ELb0ES3_jPlPS6_PKS6_NS0_5tupleIJS9_S6_EEENSD_IJSA_SA_EEENS0_18inequality_wrapperIZN2at6native12_GLOBAL__N_124unique_dim_cuda_templateIlEESt5tupleIJNSH_6TensorESM_SM_EERKSM_lbbbEUlllE0_EEPmJS6_EEE10hipError_tPvRmT3_T4_T5_T6_T7_T9_mT8_P12ihipStream_tbDpT10_ENKUlT_T0_E_clISt17integral_constantIbLb1EES1C_EEDaS17_S18_EUlS17_E_NS1_11comp_targetILNS1_3genE5ELNS1_11target_archE942ELNS1_3gpuE9ELNS1_3repE0EEENS1_30default_config_static_selectorELNS0_4arch9wavefront6targetE1EEEvT1_,"axG",@progbits,_ZN7rocprim17ROCPRIM_400000_NS6detail17trampoline_kernelINS0_14default_configENS1_25partition_config_selectorILNS1_17partition_subalgoE8ElNS0_10empty_typeEbEEZZNS1_14partition_implILS5_8ELb0ES3_jPlPS6_PKS6_NS0_5tupleIJS9_S6_EEENSD_IJSA_SA_EEENS0_18inequality_wrapperIZN2at6native12_GLOBAL__N_124unique_dim_cuda_templateIlEESt5tupleIJNSH_6TensorESM_SM_EERKSM_lbbbEUlllE0_EEPmJS6_EEE10hipError_tPvRmT3_T4_T5_T6_T7_T9_mT8_P12ihipStream_tbDpT10_ENKUlT_T0_E_clISt17integral_constantIbLb1EES1C_EEDaS17_S18_EUlS17_E_NS1_11comp_targetILNS1_3genE5ELNS1_11target_archE942ELNS1_3gpuE9ELNS1_3repE0EEENS1_30default_config_static_selectorELNS0_4arch9wavefront6targetE1EEEvT1_,comdat
.Lfunc_end572:
	.size	_ZN7rocprim17ROCPRIM_400000_NS6detail17trampoline_kernelINS0_14default_configENS1_25partition_config_selectorILNS1_17partition_subalgoE8ElNS0_10empty_typeEbEEZZNS1_14partition_implILS5_8ELb0ES3_jPlPS6_PKS6_NS0_5tupleIJS9_S6_EEENSD_IJSA_SA_EEENS0_18inequality_wrapperIZN2at6native12_GLOBAL__N_124unique_dim_cuda_templateIlEESt5tupleIJNSH_6TensorESM_SM_EERKSM_lbbbEUlllE0_EEPmJS6_EEE10hipError_tPvRmT3_T4_T5_T6_T7_T9_mT8_P12ihipStream_tbDpT10_ENKUlT_T0_E_clISt17integral_constantIbLb1EES1C_EEDaS17_S18_EUlS17_E_NS1_11comp_targetILNS1_3genE5ELNS1_11target_archE942ELNS1_3gpuE9ELNS1_3repE0EEENS1_30default_config_static_selectorELNS0_4arch9wavefront6targetE1EEEvT1_, .Lfunc_end572-_ZN7rocprim17ROCPRIM_400000_NS6detail17trampoline_kernelINS0_14default_configENS1_25partition_config_selectorILNS1_17partition_subalgoE8ElNS0_10empty_typeEbEEZZNS1_14partition_implILS5_8ELb0ES3_jPlPS6_PKS6_NS0_5tupleIJS9_S6_EEENSD_IJSA_SA_EEENS0_18inequality_wrapperIZN2at6native12_GLOBAL__N_124unique_dim_cuda_templateIlEESt5tupleIJNSH_6TensorESM_SM_EERKSM_lbbbEUlllE0_EEPmJS6_EEE10hipError_tPvRmT3_T4_T5_T6_T7_T9_mT8_P12ihipStream_tbDpT10_ENKUlT_T0_E_clISt17integral_constantIbLb1EES1C_EEDaS17_S18_EUlS17_E_NS1_11comp_targetILNS1_3genE5ELNS1_11target_archE942ELNS1_3gpuE9ELNS1_3repE0EEENS1_30default_config_static_selectorELNS0_4arch9wavefront6targetE1EEEvT1_
                                        ; -- End function
	.set _ZN7rocprim17ROCPRIM_400000_NS6detail17trampoline_kernelINS0_14default_configENS1_25partition_config_selectorILNS1_17partition_subalgoE8ElNS0_10empty_typeEbEEZZNS1_14partition_implILS5_8ELb0ES3_jPlPS6_PKS6_NS0_5tupleIJS9_S6_EEENSD_IJSA_SA_EEENS0_18inequality_wrapperIZN2at6native12_GLOBAL__N_124unique_dim_cuda_templateIlEESt5tupleIJNSH_6TensorESM_SM_EERKSM_lbbbEUlllE0_EEPmJS6_EEE10hipError_tPvRmT3_T4_T5_T6_T7_T9_mT8_P12ihipStream_tbDpT10_ENKUlT_T0_E_clISt17integral_constantIbLb1EES1C_EEDaS17_S18_EUlS17_E_NS1_11comp_targetILNS1_3genE5ELNS1_11target_archE942ELNS1_3gpuE9ELNS1_3repE0EEENS1_30default_config_static_selectorELNS0_4arch9wavefront6targetE1EEEvT1_.num_vgpr, 0
	.set _ZN7rocprim17ROCPRIM_400000_NS6detail17trampoline_kernelINS0_14default_configENS1_25partition_config_selectorILNS1_17partition_subalgoE8ElNS0_10empty_typeEbEEZZNS1_14partition_implILS5_8ELb0ES3_jPlPS6_PKS6_NS0_5tupleIJS9_S6_EEENSD_IJSA_SA_EEENS0_18inequality_wrapperIZN2at6native12_GLOBAL__N_124unique_dim_cuda_templateIlEESt5tupleIJNSH_6TensorESM_SM_EERKSM_lbbbEUlllE0_EEPmJS6_EEE10hipError_tPvRmT3_T4_T5_T6_T7_T9_mT8_P12ihipStream_tbDpT10_ENKUlT_T0_E_clISt17integral_constantIbLb1EES1C_EEDaS17_S18_EUlS17_E_NS1_11comp_targetILNS1_3genE5ELNS1_11target_archE942ELNS1_3gpuE9ELNS1_3repE0EEENS1_30default_config_static_selectorELNS0_4arch9wavefront6targetE1EEEvT1_.num_agpr, 0
	.set _ZN7rocprim17ROCPRIM_400000_NS6detail17trampoline_kernelINS0_14default_configENS1_25partition_config_selectorILNS1_17partition_subalgoE8ElNS0_10empty_typeEbEEZZNS1_14partition_implILS5_8ELb0ES3_jPlPS6_PKS6_NS0_5tupleIJS9_S6_EEENSD_IJSA_SA_EEENS0_18inequality_wrapperIZN2at6native12_GLOBAL__N_124unique_dim_cuda_templateIlEESt5tupleIJNSH_6TensorESM_SM_EERKSM_lbbbEUlllE0_EEPmJS6_EEE10hipError_tPvRmT3_T4_T5_T6_T7_T9_mT8_P12ihipStream_tbDpT10_ENKUlT_T0_E_clISt17integral_constantIbLb1EES1C_EEDaS17_S18_EUlS17_E_NS1_11comp_targetILNS1_3genE5ELNS1_11target_archE942ELNS1_3gpuE9ELNS1_3repE0EEENS1_30default_config_static_selectorELNS0_4arch9wavefront6targetE1EEEvT1_.numbered_sgpr, 0
	.set _ZN7rocprim17ROCPRIM_400000_NS6detail17trampoline_kernelINS0_14default_configENS1_25partition_config_selectorILNS1_17partition_subalgoE8ElNS0_10empty_typeEbEEZZNS1_14partition_implILS5_8ELb0ES3_jPlPS6_PKS6_NS0_5tupleIJS9_S6_EEENSD_IJSA_SA_EEENS0_18inequality_wrapperIZN2at6native12_GLOBAL__N_124unique_dim_cuda_templateIlEESt5tupleIJNSH_6TensorESM_SM_EERKSM_lbbbEUlllE0_EEPmJS6_EEE10hipError_tPvRmT3_T4_T5_T6_T7_T9_mT8_P12ihipStream_tbDpT10_ENKUlT_T0_E_clISt17integral_constantIbLb1EES1C_EEDaS17_S18_EUlS17_E_NS1_11comp_targetILNS1_3genE5ELNS1_11target_archE942ELNS1_3gpuE9ELNS1_3repE0EEENS1_30default_config_static_selectorELNS0_4arch9wavefront6targetE1EEEvT1_.num_named_barrier, 0
	.set _ZN7rocprim17ROCPRIM_400000_NS6detail17trampoline_kernelINS0_14default_configENS1_25partition_config_selectorILNS1_17partition_subalgoE8ElNS0_10empty_typeEbEEZZNS1_14partition_implILS5_8ELb0ES3_jPlPS6_PKS6_NS0_5tupleIJS9_S6_EEENSD_IJSA_SA_EEENS0_18inequality_wrapperIZN2at6native12_GLOBAL__N_124unique_dim_cuda_templateIlEESt5tupleIJNSH_6TensorESM_SM_EERKSM_lbbbEUlllE0_EEPmJS6_EEE10hipError_tPvRmT3_T4_T5_T6_T7_T9_mT8_P12ihipStream_tbDpT10_ENKUlT_T0_E_clISt17integral_constantIbLb1EES1C_EEDaS17_S18_EUlS17_E_NS1_11comp_targetILNS1_3genE5ELNS1_11target_archE942ELNS1_3gpuE9ELNS1_3repE0EEENS1_30default_config_static_selectorELNS0_4arch9wavefront6targetE1EEEvT1_.private_seg_size, 0
	.set _ZN7rocprim17ROCPRIM_400000_NS6detail17trampoline_kernelINS0_14default_configENS1_25partition_config_selectorILNS1_17partition_subalgoE8ElNS0_10empty_typeEbEEZZNS1_14partition_implILS5_8ELb0ES3_jPlPS6_PKS6_NS0_5tupleIJS9_S6_EEENSD_IJSA_SA_EEENS0_18inequality_wrapperIZN2at6native12_GLOBAL__N_124unique_dim_cuda_templateIlEESt5tupleIJNSH_6TensorESM_SM_EERKSM_lbbbEUlllE0_EEPmJS6_EEE10hipError_tPvRmT3_T4_T5_T6_T7_T9_mT8_P12ihipStream_tbDpT10_ENKUlT_T0_E_clISt17integral_constantIbLb1EES1C_EEDaS17_S18_EUlS17_E_NS1_11comp_targetILNS1_3genE5ELNS1_11target_archE942ELNS1_3gpuE9ELNS1_3repE0EEENS1_30default_config_static_selectorELNS0_4arch9wavefront6targetE1EEEvT1_.uses_vcc, 0
	.set _ZN7rocprim17ROCPRIM_400000_NS6detail17trampoline_kernelINS0_14default_configENS1_25partition_config_selectorILNS1_17partition_subalgoE8ElNS0_10empty_typeEbEEZZNS1_14partition_implILS5_8ELb0ES3_jPlPS6_PKS6_NS0_5tupleIJS9_S6_EEENSD_IJSA_SA_EEENS0_18inequality_wrapperIZN2at6native12_GLOBAL__N_124unique_dim_cuda_templateIlEESt5tupleIJNSH_6TensorESM_SM_EERKSM_lbbbEUlllE0_EEPmJS6_EEE10hipError_tPvRmT3_T4_T5_T6_T7_T9_mT8_P12ihipStream_tbDpT10_ENKUlT_T0_E_clISt17integral_constantIbLb1EES1C_EEDaS17_S18_EUlS17_E_NS1_11comp_targetILNS1_3genE5ELNS1_11target_archE942ELNS1_3gpuE9ELNS1_3repE0EEENS1_30default_config_static_selectorELNS0_4arch9wavefront6targetE1EEEvT1_.uses_flat_scratch, 0
	.set _ZN7rocprim17ROCPRIM_400000_NS6detail17trampoline_kernelINS0_14default_configENS1_25partition_config_selectorILNS1_17partition_subalgoE8ElNS0_10empty_typeEbEEZZNS1_14partition_implILS5_8ELb0ES3_jPlPS6_PKS6_NS0_5tupleIJS9_S6_EEENSD_IJSA_SA_EEENS0_18inequality_wrapperIZN2at6native12_GLOBAL__N_124unique_dim_cuda_templateIlEESt5tupleIJNSH_6TensorESM_SM_EERKSM_lbbbEUlllE0_EEPmJS6_EEE10hipError_tPvRmT3_T4_T5_T6_T7_T9_mT8_P12ihipStream_tbDpT10_ENKUlT_T0_E_clISt17integral_constantIbLb1EES1C_EEDaS17_S18_EUlS17_E_NS1_11comp_targetILNS1_3genE5ELNS1_11target_archE942ELNS1_3gpuE9ELNS1_3repE0EEENS1_30default_config_static_selectorELNS0_4arch9wavefront6targetE1EEEvT1_.has_dyn_sized_stack, 0
	.set _ZN7rocprim17ROCPRIM_400000_NS6detail17trampoline_kernelINS0_14default_configENS1_25partition_config_selectorILNS1_17partition_subalgoE8ElNS0_10empty_typeEbEEZZNS1_14partition_implILS5_8ELb0ES3_jPlPS6_PKS6_NS0_5tupleIJS9_S6_EEENSD_IJSA_SA_EEENS0_18inequality_wrapperIZN2at6native12_GLOBAL__N_124unique_dim_cuda_templateIlEESt5tupleIJNSH_6TensorESM_SM_EERKSM_lbbbEUlllE0_EEPmJS6_EEE10hipError_tPvRmT3_T4_T5_T6_T7_T9_mT8_P12ihipStream_tbDpT10_ENKUlT_T0_E_clISt17integral_constantIbLb1EES1C_EEDaS17_S18_EUlS17_E_NS1_11comp_targetILNS1_3genE5ELNS1_11target_archE942ELNS1_3gpuE9ELNS1_3repE0EEENS1_30default_config_static_selectorELNS0_4arch9wavefront6targetE1EEEvT1_.has_recursion, 0
	.set _ZN7rocprim17ROCPRIM_400000_NS6detail17trampoline_kernelINS0_14default_configENS1_25partition_config_selectorILNS1_17partition_subalgoE8ElNS0_10empty_typeEbEEZZNS1_14partition_implILS5_8ELb0ES3_jPlPS6_PKS6_NS0_5tupleIJS9_S6_EEENSD_IJSA_SA_EEENS0_18inequality_wrapperIZN2at6native12_GLOBAL__N_124unique_dim_cuda_templateIlEESt5tupleIJNSH_6TensorESM_SM_EERKSM_lbbbEUlllE0_EEPmJS6_EEE10hipError_tPvRmT3_T4_T5_T6_T7_T9_mT8_P12ihipStream_tbDpT10_ENKUlT_T0_E_clISt17integral_constantIbLb1EES1C_EEDaS17_S18_EUlS17_E_NS1_11comp_targetILNS1_3genE5ELNS1_11target_archE942ELNS1_3gpuE9ELNS1_3repE0EEENS1_30default_config_static_selectorELNS0_4arch9wavefront6targetE1EEEvT1_.has_indirect_call, 0
	.section	.AMDGPU.csdata,"",@progbits
; Kernel info:
; codeLenInByte = 0
; TotalNumSgprs: 6
; NumVgprs: 0
; NumAgprs: 0
; TotalNumVgprs: 0
; ScratchSize: 0
; MemoryBound: 0
; FloatMode: 240
; IeeeMode: 1
; LDSByteSize: 0 bytes/workgroup (compile time only)
; SGPRBlocks: 0
; VGPRBlocks: 0
; NumSGPRsForWavesPerEU: 6
; NumVGPRsForWavesPerEU: 1
; AccumOffset: 4
; Occupancy: 8
; WaveLimiterHint : 0
; COMPUTE_PGM_RSRC2:SCRATCH_EN: 0
; COMPUTE_PGM_RSRC2:USER_SGPR: 2
; COMPUTE_PGM_RSRC2:TRAP_HANDLER: 0
; COMPUTE_PGM_RSRC2:TGID_X_EN: 1
; COMPUTE_PGM_RSRC2:TGID_Y_EN: 0
; COMPUTE_PGM_RSRC2:TGID_Z_EN: 0
; COMPUTE_PGM_RSRC2:TIDIG_COMP_CNT: 0
; COMPUTE_PGM_RSRC3_GFX90A:ACCUM_OFFSET: 0
; COMPUTE_PGM_RSRC3_GFX90A:TG_SPLIT: 0
	.section	.text._ZN7rocprim17ROCPRIM_400000_NS6detail17trampoline_kernelINS0_14default_configENS1_25partition_config_selectorILNS1_17partition_subalgoE8ElNS0_10empty_typeEbEEZZNS1_14partition_implILS5_8ELb0ES3_jPlPS6_PKS6_NS0_5tupleIJS9_S6_EEENSD_IJSA_SA_EEENS0_18inequality_wrapperIZN2at6native12_GLOBAL__N_124unique_dim_cuda_templateIlEESt5tupleIJNSH_6TensorESM_SM_EERKSM_lbbbEUlllE0_EEPmJS6_EEE10hipError_tPvRmT3_T4_T5_T6_T7_T9_mT8_P12ihipStream_tbDpT10_ENKUlT_T0_E_clISt17integral_constantIbLb1EES1C_EEDaS17_S18_EUlS17_E_NS1_11comp_targetILNS1_3genE4ELNS1_11target_archE910ELNS1_3gpuE8ELNS1_3repE0EEENS1_30default_config_static_selectorELNS0_4arch9wavefront6targetE1EEEvT1_,"axG",@progbits,_ZN7rocprim17ROCPRIM_400000_NS6detail17trampoline_kernelINS0_14default_configENS1_25partition_config_selectorILNS1_17partition_subalgoE8ElNS0_10empty_typeEbEEZZNS1_14partition_implILS5_8ELb0ES3_jPlPS6_PKS6_NS0_5tupleIJS9_S6_EEENSD_IJSA_SA_EEENS0_18inequality_wrapperIZN2at6native12_GLOBAL__N_124unique_dim_cuda_templateIlEESt5tupleIJNSH_6TensorESM_SM_EERKSM_lbbbEUlllE0_EEPmJS6_EEE10hipError_tPvRmT3_T4_T5_T6_T7_T9_mT8_P12ihipStream_tbDpT10_ENKUlT_T0_E_clISt17integral_constantIbLb1EES1C_EEDaS17_S18_EUlS17_E_NS1_11comp_targetILNS1_3genE4ELNS1_11target_archE910ELNS1_3gpuE8ELNS1_3repE0EEENS1_30default_config_static_selectorELNS0_4arch9wavefront6targetE1EEEvT1_,comdat
	.globl	_ZN7rocprim17ROCPRIM_400000_NS6detail17trampoline_kernelINS0_14default_configENS1_25partition_config_selectorILNS1_17partition_subalgoE8ElNS0_10empty_typeEbEEZZNS1_14partition_implILS5_8ELb0ES3_jPlPS6_PKS6_NS0_5tupleIJS9_S6_EEENSD_IJSA_SA_EEENS0_18inequality_wrapperIZN2at6native12_GLOBAL__N_124unique_dim_cuda_templateIlEESt5tupleIJNSH_6TensorESM_SM_EERKSM_lbbbEUlllE0_EEPmJS6_EEE10hipError_tPvRmT3_T4_T5_T6_T7_T9_mT8_P12ihipStream_tbDpT10_ENKUlT_T0_E_clISt17integral_constantIbLb1EES1C_EEDaS17_S18_EUlS17_E_NS1_11comp_targetILNS1_3genE4ELNS1_11target_archE910ELNS1_3gpuE8ELNS1_3repE0EEENS1_30default_config_static_selectorELNS0_4arch9wavefront6targetE1EEEvT1_ ; -- Begin function _ZN7rocprim17ROCPRIM_400000_NS6detail17trampoline_kernelINS0_14default_configENS1_25partition_config_selectorILNS1_17partition_subalgoE8ElNS0_10empty_typeEbEEZZNS1_14partition_implILS5_8ELb0ES3_jPlPS6_PKS6_NS0_5tupleIJS9_S6_EEENSD_IJSA_SA_EEENS0_18inequality_wrapperIZN2at6native12_GLOBAL__N_124unique_dim_cuda_templateIlEESt5tupleIJNSH_6TensorESM_SM_EERKSM_lbbbEUlllE0_EEPmJS6_EEE10hipError_tPvRmT3_T4_T5_T6_T7_T9_mT8_P12ihipStream_tbDpT10_ENKUlT_T0_E_clISt17integral_constantIbLb1EES1C_EEDaS17_S18_EUlS17_E_NS1_11comp_targetILNS1_3genE4ELNS1_11target_archE910ELNS1_3gpuE8ELNS1_3repE0EEENS1_30default_config_static_selectorELNS0_4arch9wavefront6targetE1EEEvT1_
	.p2align	8
	.type	_ZN7rocprim17ROCPRIM_400000_NS6detail17trampoline_kernelINS0_14default_configENS1_25partition_config_selectorILNS1_17partition_subalgoE8ElNS0_10empty_typeEbEEZZNS1_14partition_implILS5_8ELb0ES3_jPlPS6_PKS6_NS0_5tupleIJS9_S6_EEENSD_IJSA_SA_EEENS0_18inequality_wrapperIZN2at6native12_GLOBAL__N_124unique_dim_cuda_templateIlEESt5tupleIJNSH_6TensorESM_SM_EERKSM_lbbbEUlllE0_EEPmJS6_EEE10hipError_tPvRmT3_T4_T5_T6_T7_T9_mT8_P12ihipStream_tbDpT10_ENKUlT_T0_E_clISt17integral_constantIbLb1EES1C_EEDaS17_S18_EUlS17_E_NS1_11comp_targetILNS1_3genE4ELNS1_11target_archE910ELNS1_3gpuE8ELNS1_3repE0EEENS1_30default_config_static_selectorELNS0_4arch9wavefront6targetE1EEEvT1_,@function
_ZN7rocprim17ROCPRIM_400000_NS6detail17trampoline_kernelINS0_14default_configENS1_25partition_config_selectorILNS1_17partition_subalgoE8ElNS0_10empty_typeEbEEZZNS1_14partition_implILS5_8ELb0ES3_jPlPS6_PKS6_NS0_5tupleIJS9_S6_EEENSD_IJSA_SA_EEENS0_18inequality_wrapperIZN2at6native12_GLOBAL__N_124unique_dim_cuda_templateIlEESt5tupleIJNSH_6TensorESM_SM_EERKSM_lbbbEUlllE0_EEPmJS6_EEE10hipError_tPvRmT3_T4_T5_T6_T7_T9_mT8_P12ihipStream_tbDpT10_ENKUlT_T0_E_clISt17integral_constantIbLb1EES1C_EEDaS17_S18_EUlS17_E_NS1_11comp_targetILNS1_3genE4ELNS1_11target_archE910ELNS1_3gpuE8ELNS1_3repE0EEENS1_30default_config_static_selectorELNS0_4arch9wavefront6targetE1EEEvT1_: ; @_ZN7rocprim17ROCPRIM_400000_NS6detail17trampoline_kernelINS0_14default_configENS1_25partition_config_selectorILNS1_17partition_subalgoE8ElNS0_10empty_typeEbEEZZNS1_14partition_implILS5_8ELb0ES3_jPlPS6_PKS6_NS0_5tupleIJS9_S6_EEENSD_IJSA_SA_EEENS0_18inequality_wrapperIZN2at6native12_GLOBAL__N_124unique_dim_cuda_templateIlEESt5tupleIJNSH_6TensorESM_SM_EERKSM_lbbbEUlllE0_EEPmJS6_EEE10hipError_tPvRmT3_T4_T5_T6_T7_T9_mT8_P12ihipStream_tbDpT10_ENKUlT_T0_E_clISt17integral_constantIbLb1EES1C_EEDaS17_S18_EUlS17_E_NS1_11comp_targetILNS1_3genE4ELNS1_11target_archE910ELNS1_3gpuE8ELNS1_3repE0EEENS1_30default_config_static_selectorELNS0_4arch9wavefront6targetE1EEEvT1_
; %bb.0:
	.section	.rodata,"a",@progbits
	.p2align	6, 0x0
	.amdhsa_kernel _ZN7rocprim17ROCPRIM_400000_NS6detail17trampoline_kernelINS0_14default_configENS1_25partition_config_selectorILNS1_17partition_subalgoE8ElNS0_10empty_typeEbEEZZNS1_14partition_implILS5_8ELb0ES3_jPlPS6_PKS6_NS0_5tupleIJS9_S6_EEENSD_IJSA_SA_EEENS0_18inequality_wrapperIZN2at6native12_GLOBAL__N_124unique_dim_cuda_templateIlEESt5tupleIJNSH_6TensorESM_SM_EERKSM_lbbbEUlllE0_EEPmJS6_EEE10hipError_tPvRmT3_T4_T5_T6_T7_T9_mT8_P12ihipStream_tbDpT10_ENKUlT_T0_E_clISt17integral_constantIbLb1EES1C_EEDaS17_S18_EUlS17_E_NS1_11comp_targetILNS1_3genE4ELNS1_11target_archE910ELNS1_3gpuE8ELNS1_3repE0EEENS1_30default_config_static_selectorELNS0_4arch9wavefront6targetE1EEEvT1_
		.amdhsa_group_segment_fixed_size 0
		.amdhsa_private_segment_fixed_size 0
		.amdhsa_kernarg_size 136
		.amdhsa_user_sgpr_count 2
		.amdhsa_user_sgpr_dispatch_ptr 0
		.amdhsa_user_sgpr_queue_ptr 0
		.amdhsa_user_sgpr_kernarg_segment_ptr 1
		.amdhsa_user_sgpr_dispatch_id 0
		.amdhsa_user_sgpr_kernarg_preload_length 0
		.amdhsa_user_sgpr_kernarg_preload_offset 0
		.amdhsa_user_sgpr_private_segment_size 0
		.amdhsa_uses_dynamic_stack 0
		.amdhsa_enable_private_segment 0
		.amdhsa_system_sgpr_workgroup_id_x 1
		.amdhsa_system_sgpr_workgroup_id_y 0
		.amdhsa_system_sgpr_workgroup_id_z 0
		.amdhsa_system_sgpr_workgroup_info 0
		.amdhsa_system_vgpr_workitem_id 0
		.amdhsa_next_free_vgpr 1
		.amdhsa_next_free_sgpr 0
		.amdhsa_accum_offset 4
		.amdhsa_reserve_vcc 0
		.amdhsa_float_round_mode_32 0
		.amdhsa_float_round_mode_16_64 0
		.amdhsa_float_denorm_mode_32 3
		.amdhsa_float_denorm_mode_16_64 3
		.amdhsa_dx10_clamp 1
		.amdhsa_ieee_mode 1
		.amdhsa_fp16_overflow 0
		.amdhsa_tg_split 0
		.amdhsa_exception_fp_ieee_invalid_op 0
		.amdhsa_exception_fp_denorm_src 0
		.amdhsa_exception_fp_ieee_div_zero 0
		.amdhsa_exception_fp_ieee_overflow 0
		.amdhsa_exception_fp_ieee_underflow 0
		.amdhsa_exception_fp_ieee_inexact 0
		.amdhsa_exception_int_div_zero 0
	.end_amdhsa_kernel
	.section	.text._ZN7rocprim17ROCPRIM_400000_NS6detail17trampoline_kernelINS0_14default_configENS1_25partition_config_selectorILNS1_17partition_subalgoE8ElNS0_10empty_typeEbEEZZNS1_14partition_implILS5_8ELb0ES3_jPlPS6_PKS6_NS0_5tupleIJS9_S6_EEENSD_IJSA_SA_EEENS0_18inequality_wrapperIZN2at6native12_GLOBAL__N_124unique_dim_cuda_templateIlEESt5tupleIJNSH_6TensorESM_SM_EERKSM_lbbbEUlllE0_EEPmJS6_EEE10hipError_tPvRmT3_T4_T5_T6_T7_T9_mT8_P12ihipStream_tbDpT10_ENKUlT_T0_E_clISt17integral_constantIbLb1EES1C_EEDaS17_S18_EUlS17_E_NS1_11comp_targetILNS1_3genE4ELNS1_11target_archE910ELNS1_3gpuE8ELNS1_3repE0EEENS1_30default_config_static_selectorELNS0_4arch9wavefront6targetE1EEEvT1_,"axG",@progbits,_ZN7rocprim17ROCPRIM_400000_NS6detail17trampoline_kernelINS0_14default_configENS1_25partition_config_selectorILNS1_17partition_subalgoE8ElNS0_10empty_typeEbEEZZNS1_14partition_implILS5_8ELb0ES3_jPlPS6_PKS6_NS0_5tupleIJS9_S6_EEENSD_IJSA_SA_EEENS0_18inequality_wrapperIZN2at6native12_GLOBAL__N_124unique_dim_cuda_templateIlEESt5tupleIJNSH_6TensorESM_SM_EERKSM_lbbbEUlllE0_EEPmJS6_EEE10hipError_tPvRmT3_T4_T5_T6_T7_T9_mT8_P12ihipStream_tbDpT10_ENKUlT_T0_E_clISt17integral_constantIbLb1EES1C_EEDaS17_S18_EUlS17_E_NS1_11comp_targetILNS1_3genE4ELNS1_11target_archE910ELNS1_3gpuE8ELNS1_3repE0EEENS1_30default_config_static_selectorELNS0_4arch9wavefront6targetE1EEEvT1_,comdat
.Lfunc_end573:
	.size	_ZN7rocprim17ROCPRIM_400000_NS6detail17trampoline_kernelINS0_14default_configENS1_25partition_config_selectorILNS1_17partition_subalgoE8ElNS0_10empty_typeEbEEZZNS1_14partition_implILS5_8ELb0ES3_jPlPS6_PKS6_NS0_5tupleIJS9_S6_EEENSD_IJSA_SA_EEENS0_18inequality_wrapperIZN2at6native12_GLOBAL__N_124unique_dim_cuda_templateIlEESt5tupleIJNSH_6TensorESM_SM_EERKSM_lbbbEUlllE0_EEPmJS6_EEE10hipError_tPvRmT3_T4_T5_T6_T7_T9_mT8_P12ihipStream_tbDpT10_ENKUlT_T0_E_clISt17integral_constantIbLb1EES1C_EEDaS17_S18_EUlS17_E_NS1_11comp_targetILNS1_3genE4ELNS1_11target_archE910ELNS1_3gpuE8ELNS1_3repE0EEENS1_30default_config_static_selectorELNS0_4arch9wavefront6targetE1EEEvT1_, .Lfunc_end573-_ZN7rocprim17ROCPRIM_400000_NS6detail17trampoline_kernelINS0_14default_configENS1_25partition_config_selectorILNS1_17partition_subalgoE8ElNS0_10empty_typeEbEEZZNS1_14partition_implILS5_8ELb0ES3_jPlPS6_PKS6_NS0_5tupleIJS9_S6_EEENSD_IJSA_SA_EEENS0_18inequality_wrapperIZN2at6native12_GLOBAL__N_124unique_dim_cuda_templateIlEESt5tupleIJNSH_6TensorESM_SM_EERKSM_lbbbEUlllE0_EEPmJS6_EEE10hipError_tPvRmT3_T4_T5_T6_T7_T9_mT8_P12ihipStream_tbDpT10_ENKUlT_T0_E_clISt17integral_constantIbLb1EES1C_EEDaS17_S18_EUlS17_E_NS1_11comp_targetILNS1_3genE4ELNS1_11target_archE910ELNS1_3gpuE8ELNS1_3repE0EEENS1_30default_config_static_selectorELNS0_4arch9wavefront6targetE1EEEvT1_
                                        ; -- End function
	.set _ZN7rocprim17ROCPRIM_400000_NS6detail17trampoline_kernelINS0_14default_configENS1_25partition_config_selectorILNS1_17partition_subalgoE8ElNS0_10empty_typeEbEEZZNS1_14partition_implILS5_8ELb0ES3_jPlPS6_PKS6_NS0_5tupleIJS9_S6_EEENSD_IJSA_SA_EEENS0_18inequality_wrapperIZN2at6native12_GLOBAL__N_124unique_dim_cuda_templateIlEESt5tupleIJNSH_6TensorESM_SM_EERKSM_lbbbEUlllE0_EEPmJS6_EEE10hipError_tPvRmT3_T4_T5_T6_T7_T9_mT8_P12ihipStream_tbDpT10_ENKUlT_T0_E_clISt17integral_constantIbLb1EES1C_EEDaS17_S18_EUlS17_E_NS1_11comp_targetILNS1_3genE4ELNS1_11target_archE910ELNS1_3gpuE8ELNS1_3repE0EEENS1_30default_config_static_selectorELNS0_4arch9wavefront6targetE1EEEvT1_.num_vgpr, 0
	.set _ZN7rocprim17ROCPRIM_400000_NS6detail17trampoline_kernelINS0_14default_configENS1_25partition_config_selectorILNS1_17partition_subalgoE8ElNS0_10empty_typeEbEEZZNS1_14partition_implILS5_8ELb0ES3_jPlPS6_PKS6_NS0_5tupleIJS9_S6_EEENSD_IJSA_SA_EEENS0_18inequality_wrapperIZN2at6native12_GLOBAL__N_124unique_dim_cuda_templateIlEESt5tupleIJNSH_6TensorESM_SM_EERKSM_lbbbEUlllE0_EEPmJS6_EEE10hipError_tPvRmT3_T4_T5_T6_T7_T9_mT8_P12ihipStream_tbDpT10_ENKUlT_T0_E_clISt17integral_constantIbLb1EES1C_EEDaS17_S18_EUlS17_E_NS1_11comp_targetILNS1_3genE4ELNS1_11target_archE910ELNS1_3gpuE8ELNS1_3repE0EEENS1_30default_config_static_selectorELNS0_4arch9wavefront6targetE1EEEvT1_.num_agpr, 0
	.set _ZN7rocprim17ROCPRIM_400000_NS6detail17trampoline_kernelINS0_14default_configENS1_25partition_config_selectorILNS1_17partition_subalgoE8ElNS0_10empty_typeEbEEZZNS1_14partition_implILS5_8ELb0ES3_jPlPS6_PKS6_NS0_5tupleIJS9_S6_EEENSD_IJSA_SA_EEENS0_18inequality_wrapperIZN2at6native12_GLOBAL__N_124unique_dim_cuda_templateIlEESt5tupleIJNSH_6TensorESM_SM_EERKSM_lbbbEUlllE0_EEPmJS6_EEE10hipError_tPvRmT3_T4_T5_T6_T7_T9_mT8_P12ihipStream_tbDpT10_ENKUlT_T0_E_clISt17integral_constantIbLb1EES1C_EEDaS17_S18_EUlS17_E_NS1_11comp_targetILNS1_3genE4ELNS1_11target_archE910ELNS1_3gpuE8ELNS1_3repE0EEENS1_30default_config_static_selectorELNS0_4arch9wavefront6targetE1EEEvT1_.numbered_sgpr, 0
	.set _ZN7rocprim17ROCPRIM_400000_NS6detail17trampoline_kernelINS0_14default_configENS1_25partition_config_selectorILNS1_17partition_subalgoE8ElNS0_10empty_typeEbEEZZNS1_14partition_implILS5_8ELb0ES3_jPlPS6_PKS6_NS0_5tupleIJS9_S6_EEENSD_IJSA_SA_EEENS0_18inequality_wrapperIZN2at6native12_GLOBAL__N_124unique_dim_cuda_templateIlEESt5tupleIJNSH_6TensorESM_SM_EERKSM_lbbbEUlllE0_EEPmJS6_EEE10hipError_tPvRmT3_T4_T5_T6_T7_T9_mT8_P12ihipStream_tbDpT10_ENKUlT_T0_E_clISt17integral_constantIbLb1EES1C_EEDaS17_S18_EUlS17_E_NS1_11comp_targetILNS1_3genE4ELNS1_11target_archE910ELNS1_3gpuE8ELNS1_3repE0EEENS1_30default_config_static_selectorELNS0_4arch9wavefront6targetE1EEEvT1_.num_named_barrier, 0
	.set _ZN7rocprim17ROCPRIM_400000_NS6detail17trampoline_kernelINS0_14default_configENS1_25partition_config_selectorILNS1_17partition_subalgoE8ElNS0_10empty_typeEbEEZZNS1_14partition_implILS5_8ELb0ES3_jPlPS6_PKS6_NS0_5tupleIJS9_S6_EEENSD_IJSA_SA_EEENS0_18inequality_wrapperIZN2at6native12_GLOBAL__N_124unique_dim_cuda_templateIlEESt5tupleIJNSH_6TensorESM_SM_EERKSM_lbbbEUlllE0_EEPmJS6_EEE10hipError_tPvRmT3_T4_T5_T6_T7_T9_mT8_P12ihipStream_tbDpT10_ENKUlT_T0_E_clISt17integral_constantIbLb1EES1C_EEDaS17_S18_EUlS17_E_NS1_11comp_targetILNS1_3genE4ELNS1_11target_archE910ELNS1_3gpuE8ELNS1_3repE0EEENS1_30default_config_static_selectorELNS0_4arch9wavefront6targetE1EEEvT1_.private_seg_size, 0
	.set _ZN7rocprim17ROCPRIM_400000_NS6detail17trampoline_kernelINS0_14default_configENS1_25partition_config_selectorILNS1_17partition_subalgoE8ElNS0_10empty_typeEbEEZZNS1_14partition_implILS5_8ELb0ES3_jPlPS6_PKS6_NS0_5tupleIJS9_S6_EEENSD_IJSA_SA_EEENS0_18inequality_wrapperIZN2at6native12_GLOBAL__N_124unique_dim_cuda_templateIlEESt5tupleIJNSH_6TensorESM_SM_EERKSM_lbbbEUlllE0_EEPmJS6_EEE10hipError_tPvRmT3_T4_T5_T6_T7_T9_mT8_P12ihipStream_tbDpT10_ENKUlT_T0_E_clISt17integral_constantIbLb1EES1C_EEDaS17_S18_EUlS17_E_NS1_11comp_targetILNS1_3genE4ELNS1_11target_archE910ELNS1_3gpuE8ELNS1_3repE0EEENS1_30default_config_static_selectorELNS0_4arch9wavefront6targetE1EEEvT1_.uses_vcc, 0
	.set _ZN7rocprim17ROCPRIM_400000_NS6detail17trampoline_kernelINS0_14default_configENS1_25partition_config_selectorILNS1_17partition_subalgoE8ElNS0_10empty_typeEbEEZZNS1_14partition_implILS5_8ELb0ES3_jPlPS6_PKS6_NS0_5tupleIJS9_S6_EEENSD_IJSA_SA_EEENS0_18inequality_wrapperIZN2at6native12_GLOBAL__N_124unique_dim_cuda_templateIlEESt5tupleIJNSH_6TensorESM_SM_EERKSM_lbbbEUlllE0_EEPmJS6_EEE10hipError_tPvRmT3_T4_T5_T6_T7_T9_mT8_P12ihipStream_tbDpT10_ENKUlT_T0_E_clISt17integral_constantIbLb1EES1C_EEDaS17_S18_EUlS17_E_NS1_11comp_targetILNS1_3genE4ELNS1_11target_archE910ELNS1_3gpuE8ELNS1_3repE0EEENS1_30default_config_static_selectorELNS0_4arch9wavefront6targetE1EEEvT1_.uses_flat_scratch, 0
	.set _ZN7rocprim17ROCPRIM_400000_NS6detail17trampoline_kernelINS0_14default_configENS1_25partition_config_selectorILNS1_17partition_subalgoE8ElNS0_10empty_typeEbEEZZNS1_14partition_implILS5_8ELb0ES3_jPlPS6_PKS6_NS0_5tupleIJS9_S6_EEENSD_IJSA_SA_EEENS0_18inequality_wrapperIZN2at6native12_GLOBAL__N_124unique_dim_cuda_templateIlEESt5tupleIJNSH_6TensorESM_SM_EERKSM_lbbbEUlllE0_EEPmJS6_EEE10hipError_tPvRmT3_T4_T5_T6_T7_T9_mT8_P12ihipStream_tbDpT10_ENKUlT_T0_E_clISt17integral_constantIbLb1EES1C_EEDaS17_S18_EUlS17_E_NS1_11comp_targetILNS1_3genE4ELNS1_11target_archE910ELNS1_3gpuE8ELNS1_3repE0EEENS1_30default_config_static_selectorELNS0_4arch9wavefront6targetE1EEEvT1_.has_dyn_sized_stack, 0
	.set _ZN7rocprim17ROCPRIM_400000_NS6detail17trampoline_kernelINS0_14default_configENS1_25partition_config_selectorILNS1_17partition_subalgoE8ElNS0_10empty_typeEbEEZZNS1_14partition_implILS5_8ELb0ES3_jPlPS6_PKS6_NS0_5tupleIJS9_S6_EEENSD_IJSA_SA_EEENS0_18inequality_wrapperIZN2at6native12_GLOBAL__N_124unique_dim_cuda_templateIlEESt5tupleIJNSH_6TensorESM_SM_EERKSM_lbbbEUlllE0_EEPmJS6_EEE10hipError_tPvRmT3_T4_T5_T6_T7_T9_mT8_P12ihipStream_tbDpT10_ENKUlT_T0_E_clISt17integral_constantIbLb1EES1C_EEDaS17_S18_EUlS17_E_NS1_11comp_targetILNS1_3genE4ELNS1_11target_archE910ELNS1_3gpuE8ELNS1_3repE0EEENS1_30default_config_static_selectorELNS0_4arch9wavefront6targetE1EEEvT1_.has_recursion, 0
	.set _ZN7rocprim17ROCPRIM_400000_NS6detail17trampoline_kernelINS0_14default_configENS1_25partition_config_selectorILNS1_17partition_subalgoE8ElNS0_10empty_typeEbEEZZNS1_14partition_implILS5_8ELb0ES3_jPlPS6_PKS6_NS0_5tupleIJS9_S6_EEENSD_IJSA_SA_EEENS0_18inequality_wrapperIZN2at6native12_GLOBAL__N_124unique_dim_cuda_templateIlEESt5tupleIJNSH_6TensorESM_SM_EERKSM_lbbbEUlllE0_EEPmJS6_EEE10hipError_tPvRmT3_T4_T5_T6_T7_T9_mT8_P12ihipStream_tbDpT10_ENKUlT_T0_E_clISt17integral_constantIbLb1EES1C_EEDaS17_S18_EUlS17_E_NS1_11comp_targetILNS1_3genE4ELNS1_11target_archE910ELNS1_3gpuE8ELNS1_3repE0EEENS1_30default_config_static_selectorELNS0_4arch9wavefront6targetE1EEEvT1_.has_indirect_call, 0
	.section	.AMDGPU.csdata,"",@progbits
; Kernel info:
; codeLenInByte = 0
; TotalNumSgprs: 6
; NumVgprs: 0
; NumAgprs: 0
; TotalNumVgprs: 0
; ScratchSize: 0
; MemoryBound: 0
; FloatMode: 240
; IeeeMode: 1
; LDSByteSize: 0 bytes/workgroup (compile time only)
; SGPRBlocks: 0
; VGPRBlocks: 0
; NumSGPRsForWavesPerEU: 6
; NumVGPRsForWavesPerEU: 1
; AccumOffset: 4
; Occupancy: 8
; WaveLimiterHint : 0
; COMPUTE_PGM_RSRC2:SCRATCH_EN: 0
; COMPUTE_PGM_RSRC2:USER_SGPR: 2
; COMPUTE_PGM_RSRC2:TRAP_HANDLER: 0
; COMPUTE_PGM_RSRC2:TGID_X_EN: 1
; COMPUTE_PGM_RSRC2:TGID_Y_EN: 0
; COMPUTE_PGM_RSRC2:TGID_Z_EN: 0
; COMPUTE_PGM_RSRC2:TIDIG_COMP_CNT: 0
; COMPUTE_PGM_RSRC3_GFX90A:ACCUM_OFFSET: 0
; COMPUTE_PGM_RSRC3_GFX90A:TG_SPLIT: 0
	.section	.text._ZN7rocprim17ROCPRIM_400000_NS6detail17trampoline_kernelINS0_14default_configENS1_25partition_config_selectorILNS1_17partition_subalgoE8ElNS0_10empty_typeEbEEZZNS1_14partition_implILS5_8ELb0ES3_jPlPS6_PKS6_NS0_5tupleIJS9_S6_EEENSD_IJSA_SA_EEENS0_18inequality_wrapperIZN2at6native12_GLOBAL__N_124unique_dim_cuda_templateIlEESt5tupleIJNSH_6TensorESM_SM_EERKSM_lbbbEUlllE0_EEPmJS6_EEE10hipError_tPvRmT3_T4_T5_T6_T7_T9_mT8_P12ihipStream_tbDpT10_ENKUlT_T0_E_clISt17integral_constantIbLb1EES1C_EEDaS17_S18_EUlS17_E_NS1_11comp_targetILNS1_3genE3ELNS1_11target_archE908ELNS1_3gpuE7ELNS1_3repE0EEENS1_30default_config_static_selectorELNS0_4arch9wavefront6targetE1EEEvT1_,"axG",@progbits,_ZN7rocprim17ROCPRIM_400000_NS6detail17trampoline_kernelINS0_14default_configENS1_25partition_config_selectorILNS1_17partition_subalgoE8ElNS0_10empty_typeEbEEZZNS1_14partition_implILS5_8ELb0ES3_jPlPS6_PKS6_NS0_5tupleIJS9_S6_EEENSD_IJSA_SA_EEENS0_18inequality_wrapperIZN2at6native12_GLOBAL__N_124unique_dim_cuda_templateIlEESt5tupleIJNSH_6TensorESM_SM_EERKSM_lbbbEUlllE0_EEPmJS6_EEE10hipError_tPvRmT3_T4_T5_T6_T7_T9_mT8_P12ihipStream_tbDpT10_ENKUlT_T0_E_clISt17integral_constantIbLb1EES1C_EEDaS17_S18_EUlS17_E_NS1_11comp_targetILNS1_3genE3ELNS1_11target_archE908ELNS1_3gpuE7ELNS1_3repE0EEENS1_30default_config_static_selectorELNS0_4arch9wavefront6targetE1EEEvT1_,comdat
	.globl	_ZN7rocprim17ROCPRIM_400000_NS6detail17trampoline_kernelINS0_14default_configENS1_25partition_config_selectorILNS1_17partition_subalgoE8ElNS0_10empty_typeEbEEZZNS1_14partition_implILS5_8ELb0ES3_jPlPS6_PKS6_NS0_5tupleIJS9_S6_EEENSD_IJSA_SA_EEENS0_18inequality_wrapperIZN2at6native12_GLOBAL__N_124unique_dim_cuda_templateIlEESt5tupleIJNSH_6TensorESM_SM_EERKSM_lbbbEUlllE0_EEPmJS6_EEE10hipError_tPvRmT3_T4_T5_T6_T7_T9_mT8_P12ihipStream_tbDpT10_ENKUlT_T0_E_clISt17integral_constantIbLb1EES1C_EEDaS17_S18_EUlS17_E_NS1_11comp_targetILNS1_3genE3ELNS1_11target_archE908ELNS1_3gpuE7ELNS1_3repE0EEENS1_30default_config_static_selectorELNS0_4arch9wavefront6targetE1EEEvT1_ ; -- Begin function _ZN7rocprim17ROCPRIM_400000_NS6detail17trampoline_kernelINS0_14default_configENS1_25partition_config_selectorILNS1_17partition_subalgoE8ElNS0_10empty_typeEbEEZZNS1_14partition_implILS5_8ELb0ES3_jPlPS6_PKS6_NS0_5tupleIJS9_S6_EEENSD_IJSA_SA_EEENS0_18inequality_wrapperIZN2at6native12_GLOBAL__N_124unique_dim_cuda_templateIlEESt5tupleIJNSH_6TensorESM_SM_EERKSM_lbbbEUlllE0_EEPmJS6_EEE10hipError_tPvRmT3_T4_T5_T6_T7_T9_mT8_P12ihipStream_tbDpT10_ENKUlT_T0_E_clISt17integral_constantIbLb1EES1C_EEDaS17_S18_EUlS17_E_NS1_11comp_targetILNS1_3genE3ELNS1_11target_archE908ELNS1_3gpuE7ELNS1_3repE0EEENS1_30default_config_static_selectorELNS0_4arch9wavefront6targetE1EEEvT1_
	.p2align	8
	.type	_ZN7rocprim17ROCPRIM_400000_NS6detail17trampoline_kernelINS0_14default_configENS1_25partition_config_selectorILNS1_17partition_subalgoE8ElNS0_10empty_typeEbEEZZNS1_14partition_implILS5_8ELb0ES3_jPlPS6_PKS6_NS0_5tupleIJS9_S6_EEENSD_IJSA_SA_EEENS0_18inequality_wrapperIZN2at6native12_GLOBAL__N_124unique_dim_cuda_templateIlEESt5tupleIJNSH_6TensorESM_SM_EERKSM_lbbbEUlllE0_EEPmJS6_EEE10hipError_tPvRmT3_T4_T5_T6_T7_T9_mT8_P12ihipStream_tbDpT10_ENKUlT_T0_E_clISt17integral_constantIbLb1EES1C_EEDaS17_S18_EUlS17_E_NS1_11comp_targetILNS1_3genE3ELNS1_11target_archE908ELNS1_3gpuE7ELNS1_3repE0EEENS1_30default_config_static_selectorELNS0_4arch9wavefront6targetE1EEEvT1_,@function
_ZN7rocprim17ROCPRIM_400000_NS6detail17trampoline_kernelINS0_14default_configENS1_25partition_config_selectorILNS1_17partition_subalgoE8ElNS0_10empty_typeEbEEZZNS1_14partition_implILS5_8ELb0ES3_jPlPS6_PKS6_NS0_5tupleIJS9_S6_EEENSD_IJSA_SA_EEENS0_18inequality_wrapperIZN2at6native12_GLOBAL__N_124unique_dim_cuda_templateIlEESt5tupleIJNSH_6TensorESM_SM_EERKSM_lbbbEUlllE0_EEPmJS6_EEE10hipError_tPvRmT3_T4_T5_T6_T7_T9_mT8_P12ihipStream_tbDpT10_ENKUlT_T0_E_clISt17integral_constantIbLb1EES1C_EEDaS17_S18_EUlS17_E_NS1_11comp_targetILNS1_3genE3ELNS1_11target_archE908ELNS1_3gpuE7ELNS1_3repE0EEENS1_30default_config_static_selectorELNS0_4arch9wavefront6targetE1EEEvT1_: ; @_ZN7rocprim17ROCPRIM_400000_NS6detail17trampoline_kernelINS0_14default_configENS1_25partition_config_selectorILNS1_17partition_subalgoE8ElNS0_10empty_typeEbEEZZNS1_14partition_implILS5_8ELb0ES3_jPlPS6_PKS6_NS0_5tupleIJS9_S6_EEENSD_IJSA_SA_EEENS0_18inequality_wrapperIZN2at6native12_GLOBAL__N_124unique_dim_cuda_templateIlEESt5tupleIJNSH_6TensorESM_SM_EERKSM_lbbbEUlllE0_EEPmJS6_EEE10hipError_tPvRmT3_T4_T5_T6_T7_T9_mT8_P12ihipStream_tbDpT10_ENKUlT_T0_E_clISt17integral_constantIbLb1EES1C_EEDaS17_S18_EUlS17_E_NS1_11comp_targetILNS1_3genE3ELNS1_11target_archE908ELNS1_3gpuE7ELNS1_3repE0EEENS1_30default_config_static_selectorELNS0_4arch9wavefront6targetE1EEEvT1_
; %bb.0:
	.section	.rodata,"a",@progbits
	.p2align	6, 0x0
	.amdhsa_kernel _ZN7rocprim17ROCPRIM_400000_NS6detail17trampoline_kernelINS0_14default_configENS1_25partition_config_selectorILNS1_17partition_subalgoE8ElNS0_10empty_typeEbEEZZNS1_14partition_implILS5_8ELb0ES3_jPlPS6_PKS6_NS0_5tupleIJS9_S6_EEENSD_IJSA_SA_EEENS0_18inequality_wrapperIZN2at6native12_GLOBAL__N_124unique_dim_cuda_templateIlEESt5tupleIJNSH_6TensorESM_SM_EERKSM_lbbbEUlllE0_EEPmJS6_EEE10hipError_tPvRmT3_T4_T5_T6_T7_T9_mT8_P12ihipStream_tbDpT10_ENKUlT_T0_E_clISt17integral_constantIbLb1EES1C_EEDaS17_S18_EUlS17_E_NS1_11comp_targetILNS1_3genE3ELNS1_11target_archE908ELNS1_3gpuE7ELNS1_3repE0EEENS1_30default_config_static_selectorELNS0_4arch9wavefront6targetE1EEEvT1_
		.amdhsa_group_segment_fixed_size 0
		.amdhsa_private_segment_fixed_size 0
		.amdhsa_kernarg_size 136
		.amdhsa_user_sgpr_count 2
		.amdhsa_user_sgpr_dispatch_ptr 0
		.amdhsa_user_sgpr_queue_ptr 0
		.amdhsa_user_sgpr_kernarg_segment_ptr 1
		.amdhsa_user_sgpr_dispatch_id 0
		.amdhsa_user_sgpr_kernarg_preload_length 0
		.amdhsa_user_sgpr_kernarg_preload_offset 0
		.amdhsa_user_sgpr_private_segment_size 0
		.amdhsa_uses_dynamic_stack 0
		.amdhsa_enable_private_segment 0
		.amdhsa_system_sgpr_workgroup_id_x 1
		.amdhsa_system_sgpr_workgroup_id_y 0
		.amdhsa_system_sgpr_workgroup_id_z 0
		.amdhsa_system_sgpr_workgroup_info 0
		.amdhsa_system_vgpr_workitem_id 0
		.amdhsa_next_free_vgpr 1
		.amdhsa_next_free_sgpr 0
		.amdhsa_accum_offset 4
		.amdhsa_reserve_vcc 0
		.amdhsa_float_round_mode_32 0
		.amdhsa_float_round_mode_16_64 0
		.amdhsa_float_denorm_mode_32 3
		.amdhsa_float_denorm_mode_16_64 3
		.amdhsa_dx10_clamp 1
		.amdhsa_ieee_mode 1
		.amdhsa_fp16_overflow 0
		.amdhsa_tg_split 0
		.amdhsa_exception_fp_ieee_invalid_op 0
		.amdhsa_exception_fp_denorm_src 0
		.amdhsa_exception_fp_ieee_div_zero 0
		.amdhsa_exception_fp_ieee_overflow 0
		.amdhsa_exception_fp_ieee_underflow 0
		.amdhsa_exception_fp_ieee_inexact 0
		.amdhsa_exception_int_div_zero 0
	.end_amdhsa_kernel
	.section	.text._ZN7rocprim17ROCPRIM_400000_NS6detail17trampoline_kernelINS0_14default_configENS1_25partition_config_selectorILNS1_17partition_subalgoE8ElNS0_10empty_typeEbEEZZNS1_14partition_implILS5_8ELb0ES3_jPlPS6_PKS6_NS0_5tupleIJS9_S6_EEENSD_IJSA_SA_EEENS0_18inequality_wrapperIZN2at6native12_GLOBAL__N_124unique_dim_cuda_templateIlEESt5tupleIJNSH_6TensorESM_SM_EERKSM_lbbbEUlllE0_EEPmJS6_EEE10hipError_tPvRmT3_T4_T5_T6_T7_T9_mT8_P12ihipStream_tbDpT10_ENKUlT_T0_E_clISt17integral_constantIbLb1EES1C_EEDaS17_S18_EUlS17_E_NS1_11comp_targetILNS1_3genE3ELNS1_11target_archE908ELNS1_3gpuE7ELNS1_3repE0EEENS1_30default_config_static_selectorELNS0_4arch9wavefront6targetE1EEEvT1_,"axG",@progbits,_ZN7rocprim17ROCPRIM_400000_NS6detail17trampoline_kernelINS0_14default_configENS1_25partition_config_selectorILNS1_17partition_subalgoE8ElNS0_10empty_typeEbEEZZNS1_14partition_implILS5_8ELb0ES3_jPlPS6_PKS6_NS0_5tupleIJS9_S6_EEENSD_IJSA_SA_EEENS0_18inequality_wrapperIZN2at6native12_GLOBAL__N_124unique_dim_cuda_templateIlEESt5tupleIJNSH_6TensorESM_SM_EERKSM_lbbbEUlllE0_EEPmJS6_EEE10hipError_tPvRmT3_T4_T5_T6_T7_T9_mT8_P12ihipStream_tbDpT10_ENKUlT_T0_E_clISt17integral_constantIbLb1EES1C_EEDaS17_S18_EUlS17_E_NS1_11comp_targetILNS1_3genE3ELNS1_11target_archE908ELNS1_3gpuE7ELNS1_3repE0EEENS1_30default_config_static_selectorELNS0_4arch9wavefront6targetE1EEEvT1_,comdat
.Lfunc_end574:
	.size	_ZN7rocprim17ROCPRIM_400000_NS6detail17trampoline_kernelINS0_14default_configENS1_25partition_config_selectorILNS1_17partition_subalgoE8ElNS0_10empty_typeEbEEZZNS1_14partition_implILS5_8ELb0ES3_jPlPS6_PKS6_NS0_5tupleIJS9_S6_EEENSD_IJSA_SA_EEENS0_18inequality_wrapperIZN2at6native12_GLOBAL__N_124unique_dim_cuda_templateIlEESt5tupleIJNSH_6TensorESM_SM_EERKSM_lbbbEUlllE0_EEPmJS6_EEE10hipError_tPvRmT3_T4_T5_T6_T7_T9_mT8_P12ihipStream_tbDpT10_ENKUlT_T0_E_clISt17integral_constantIbLb1EES1C_EEDaS17_S18_EUlS17_E_NS1_11comp_targetILNS1_3genE3ELNS1_11target_archE908ELNS1_3gpuE7ELNS1_3repE0EEENS1_30default_config_static_selectorELNS0_4arch9wavefront6targetE1EEEvT1_, .Lfunc_end574-_ZN7rocprim17ROCPRIM_400000_NS6detail17trampoline_kernelINS0_14default_configENS1_25partition_config_selectorILNS1_17partition_subalgoE8ElNS0_10empty_typeEbEEZZNS1_14partition_implILS5_8ELb0ES3_jPlPS6_PKS6_NS0_5tupleIJS9_S6_EEENSD_IJSA_SA_EEENS0_18inequality_wrapperIZN2at6native12_GLOBAL__N_124unique_dim_cuda_templateIlEESt5tupleIJNSH_6TensorESM_SM_EERKSM_lbbbEUlllE0_EEPmJS6_EEE10hipError_tPvRmT3_T4_T5_T6_T7_T9_mT8_P12ihipStream_tbDpT10_ENKUlT_T0_E_clISt17integral_constantIbLb1EES1C_EEDaS17_S18_EUlS17_E_NS1_11comp_targetILNS1_3genE3ELNS1_11target_archE908ELNS1_3gpuE7ELNS1_3repE0EEENS1_30default_config_static_selectorELNS0_4arch9wavefront6targetE1EEEvT1_
                                        ; -- End function
	.set _ZN7rocprim17ROCPRIM_400000_NS6detail17trampoline_kernelINS0_14default_configENS1_25partition_config_selectorILNS1_17partition_subalgoE8ElNS0_10empty_typeEbEEZZNS1_14partition_implILS5_8ELb0ES3_jPlPS6_PKS6_NS0_5tupleIJS9_S6_EEENSD_IJSA_SA_EEENS0_18inequality_wrapperIZN2at6native12_GLOBAL__N_124unique_dim_cuda_templateIlEESt5tupleIJNSH_6TensorESM_SM_EERKSM_lbbbEUlllE0_EEPmJS6_EEE10hipError_tPvRmT3_T4_T5_T6_T7_T9_mT8_P12ihipStream_tbDpT10_ENKUlT_T0_E_clISt17integral_constantIbLb1EES1C_EEDaS17_S18_EUlS17_E_NS1_11comp_targetILNS1_3genE3ELNS1_11target_archE908ELNS1_3gpuE7ELNS1_3repE0EEENS1_30default_config_static_selectorELNS0_4arch9wavefront6targetE1EEEvT1_.num_vgpr, 0
	.set _ZN7rocprim17ROCPRIM_400000_NS6detail17trampoline_kernelINS0_14default_configENS1_25partition_config_selectorILNS1_17partition_subalgoE8ElNS0_10empty_typeEbEEZZNS1_14partition_implILS5_8ELb0ES3_jPlPS6_PKS6_NS0_5tupleIJS9_S6_EEENSD_IJSA_SA_EEENS0_18inequality_wrapperIZN2at6native12_GLOBAL__N_124unique_dim_cuda_templateIlEESt5tupleIJNSH_6TensorESM_SM_EERKSM_lbbbEUlllE0_EEPmJS6_EEE10hipError_tPvRmT3_T4_T5_T6_T7_T9_mT8_P12ihipStream_tbDpT10_ENKUlT_T0_E_clISt17integral_constantIbLb1EES1C_EEDaS17_S18_EUlS17_E_NS1_11comp_targetILNS1_3genE3ELNS1_11target_archE908ELNS1_3gpuE7ELNS1_3repE0EEENS1_30default_config_static_selectorELNS0_4arch9wavefront6targetE1EEEvT1_.num_agpr, 0
	.set _ZN7rocprim17ROCPRIM_400000_NS6detail17trampoline_kernelINS0_14default_configENS1_25partition_config_selectorILNS1_17partition_subalgoE8ElNS0_10empty_typeEbEEZZNS1_14partition_implILS5_8ELb0ES3_jPlPS6_PKS6_NS0_5tupleIJS9_S6_EEENSD_IJSA_SA_EEENS0_18inequality_wrapperIZN2at6native12_GLOBAL__N_124unique_dim_cuda_templateIlEESt5tupleIJNSH_6TensorESM_SM_EERKSM_lbbbEUlllE0_EEPmJS6_EEE10hipError_tPvRmT3_T4_T5_T6_T7_T9_mT8_P12ihipStream_tbDpT10_ENKUlT_T0_E_clISt17integral_constantIbLb1EES1C_EEDaS17_S18_EUlS17_E_NS1_11comp_targetILNS1_3genE3ELNS1_11target_archE908ELNS1_3gpuE7ELNS1_3repE0EEENS1_30default_config_static_selectorELNS0_4arch9wavefront6targetE1EEEvT1_.numbered_sgpr, 0
	.set _ZN7rocprim17ROCPRIM_400000_NS6detail17trampoline_kernelINS0_14default_configENS1_25partition_config_selectorILNS1_17partition_subalgoE8ElNS0_10empty_typeEbEEZZNS1_14partition_implILS5_8ELb0ES3_jPlPS6_PKS6_NS0_5tupleIJS9_S6_EEENSD_IJSA_SA_EEENS0_18inequality_wrapperIZN2at6native12_GLOBAL__N_124unique_dim_cuda_templateIlEESt5tupleIJNSH_6TensorESM_SM_EERKSM_lbbbEUlllE0_EEPmJS6_EEE10hipError_tPvRmT3_T4_T5_T6_T7_T9_mT8_P12ihipStream_tbDpT10_ENKUlT_T0_E_clISt17integral_constantIbLb1EES1C_EEDaS17_S18_EUlS17_E_NS1_11comp_targetILNS1_3genE3ELNS1_11target_archE908ELNS1_3gpuE7ELNS1_3repE0EEENS1_30default_config_static_selectorELNS0_4arch9wavefront6targetE1EEEvT1_.num_named_barrier, 0
	.set _ZN7rocprim17ROCPRIM_400000_NS6detail17trampoline_kernelINS0_14default_configENS1_25partition_config_selectorILNS1_17partition_subalgoE8ElNS0_10empty_typeEbEEZZNS1_14partition_implILS5_8ELb0ES3_jPlPS6_PKS6_NS0_5tupleIJS9_S6_EEENSD_IJSA_SA_EEENS0_18inequality_wrapperIZN2at6native12_GLOBAL__N_124unique_dim_cuda_templateIlEESt5tupleIJNSH_6TensorESM_SM_EERKSM_lbbbEUlllE0_EEPmJS6_EEE10hipError_tPvRmT3_T4_T5_T6_T7_T9_mT8_P12ihipStream_tbDpT10_ENKUlT_T0_E_clISt17integral_constantIbLb1EES1C_EEDaS17_S18_EUlS17_E_NS1_11comp_targetILNS1_3genE3ELNS1_11target_archE908ELNS1_3gpuE7ELNS1_3repE0EEENS1_30default_config_static_selectorELNS0_4arch9wavefront6targetE1EEEvT1_.private_seg_size, 0
	.set _ZN7rocprim17ROCPRIM_400000_NS6detail17trampoline_kernelINS0_14default_configENS1_25partition_config_selectorILNS1_17partition_subalgoE8ElNS0_10empty_typeEbEEZZNS1_14partition_implILS5_8ELb0ES3_jPlPS6_PKS6_NS0_5tupleIJS9_S6_EEENSD_IJSA_SA_EEENS0_18inequality_wrapperIZN2at6native12_GLOBAL__N_124unique_dim_cuda_templateIlEESt5tupleIJNSH_6TensorESM_SM_EERKSM_lbbbEUlllE0_EEPmJS6_EEE10hipError_tPvRmT3_T4_T5_T6_T7_T9_mT8_P12ihipStream_tbDpT10_ENKUlT_T0_E_clISt17integral_constantIbLb1EES1C_EEDaS17_S18_EUlS17_E_NS1_11comp_targetILNS1_3genE3ELNS1_11target_archE908ELNS1_3gpuE7ELNS1_3repE0EEENS1_30default_config_static_selectorELNS0_4arch9wavefront6targetE1EEEvT1_.uses_vcc, 0
	.set _ZN7rocprim17ROCPRIM_400000_NS6detail17trampoline_kernelINS0_14default_configENS1_25partition_config_selectorILNS1_17partition_subalgoE8ElNS0_10empty_typeEbEEZZNS1_14partition_implILS5_8ELb0ES3_jPlPS6_PKS6_NS0_5tupleIJS9_S6_EEENSD_IJSA_SA_EEENS0_18inequality_wrapperIZN2at6native12_GLOBAL__N_124unique_dim_cuda_templateIlEESt5tupleIJNSH_6TensorESM_SM_EERKSM_lbbbEUlllE0_EEPmJS6_EEE10hipError_tPvRmT3_T4_T5_T6_T7_T9_mT8_P12ihipStream_tbDpT10_ENKUlT_T0_E_clISt17integral_constantIbLb1EES1C_EEDaS17_S18_EUlS17_E_NS1_11comp_targetILNS1_3genE3ELNS1_11target_archE908ELNS1_3gpuE7ELNS1_3repE0EEENS1_30default_config_static_selectorELNS0_4arch9wavefront6targetE1EEEvT1_.uses_flat_scratch, 0
	.set _ZN7rocprim17ROCPRIM_400000_NS6detail17trampoline_kernelINS0_14default_configENS1_25partition_config_selectorILNS1_17partition_subalgoE8ElNS0_10empty_typeEbEEZZNS1_14partition_implILS5_8ELb0ES3_jPlPS6_PKS6_NS0_5tupleIJS9_S6_EEENSD_IJSA_SA_EEENS0_18inequality_wrapperIZN2at6native12_GLOBAL__N_124unique_dim_cuda_templateIlEESt5tupleIJNSH_6TensorESM_SM_EERKSM_lbbbEUlllE0_EEPmJS6_EEE10hipError_tPvRmT3_T4_T5_T6_T7_T9_mT8_P12ihipStream_tbDpT10_ENKUlT_T0_E_clISt17integral_constantIbLb1EES1C_EEDaS17_S18_EUlS17_E_NS1_11comp_targetILNS1_3genE3ELNS1_11target_archE908ELNS1_3gpuE7ELNS1_3repE0EEENS1_30default_config_static_selectorELNS0_4arch9wavefront6targetE1EEEvT1_.has_dyn_sized_stack, 0
	.set _ZN7rocprim17ROCPRIM_400000_NS6detail17trampoline_kernelINS0_14default_configENS1_25partition_config_selectorILNS1_17partition_subalgoE8ElNS0_10empty_typeEbEEZZNS1_14partition_implILS5_8ELb0ES3_jPlPS6_PKS6_NS0_5tupleIJS9_S6_EEENSD_IJSA_SA_EEENS0_18inequality_wrapperIZN2at6native12_GLOBAL__N_124unique_dim_cuda_templateIlEESt5tupleIJNSH_6TensorESM_SM_EERKSM_lbbbEUlllE0_EEPmJS6_EEE10hipError_tPvRmT3_T4_T5_T6_T7_T9_mT8_P12ihipStream_tbDpT10_ENKUlT_T0_E_clISt17integral_constantIbLb1EES1C_EEDaS17_S18_EUlS17_E_NS1_11comp_targetILNS1_3genE3ELNS1_11target_archE908ELNS1_3gpuE7ELNS1_3repE0EEENS1_30default_config_static_selectorELNS0_4arch9wavefront6targetE1EEEvT1_.has_recursion, 0
	.set _ZN7rocprim17ROCPRIM_400000_NS6detail17trampoline_kernelINS0_14default_configENS1_25partition_config_selectorILNS1_17partition_subalgoE8ElNS0_10empty_typeEbEEZZNS1_14partition_implILS5_8ELb0ES3_jPlPS6_PKS6_NS0_5tupleIJS9_S6_EEENSD_IJSA_SA_EEENS0_18inequality_wrapperIZN2at6native12_GLOBAL__N_124unique_dim_cuda_templateIlEESt5tupleIJNSH_6TensorESM_SM_EERKSM_lbbbEUlllE0_EEPmJS6_EEE10hipError_tPvRmT3_T4_T5_T6_T7_T9_mT8_P12ihipStream_tbDpT10_ENKUlT_T0_E_clISt17integral_constantIbLb1EES1C_EEDaS17_S18_EUlS17_E_NS1_11comp_targetILNS1_3genE3ELNS1_11target_archE908ELNS1_3gpuE7ELNS1_3repE0EEENS1_30default_config_static_selectorELNS0_4arch9wavefront6targetE1EEEvT1_.has_indirect_call, 0
	.section	.AMDGPU.csdata,"",@progbits
; Kernel info:
; codeLenInByte = 0
; TotalNumSgprs: 6
; NumVgprs: 0
; NumAgprs: 0
; TotalNumVgprs: 0
; ScratchSize: 0
; MemoryBound: 0
; FloatMode: 240
; IeeeMode: 1
; LDSByteSize: 0 bytes/workgroup (compile time only)
; SGPRBlocks: 0
; VGPRBlocks: 0
; NumSGPRsForWavesPerEU: 6
; NumVGPRsForWavesPerEU: 1
; AccumOffset: 4
; Occupancy: 8
; WaveLimiterHint : 0
; COMPUTE_PGM_RSRC2:SCRATCH_EN: 0
; COMPUTE_PGM_RSRC2:USER_SGPR: 2
; COMPUTE_PGM_RSRC2:TRAP_HANDLER: 0
; COMPUTE_PGM_RSRC2:TGID_X_EN: 1
; COMPUTE_PGM_RSRC2:TGID_Y_EN: 0
; COMPUTE_PGM_RSRC2:TGID_Z_EN: 0
; COMPUTE_PGM_RSRC2:TIDIG_COMP_CNT: 0
; COMPUTE_PGM_RSRC3_GFX90A:ACCUM_OFFSET: 0
; COMPUTE_PGM_RSRC3_GFX90A:TG_SPLIT: 0
	.section	.text._ZN7rocprim17ROCPRIM_400000_NS6detail17trampoline_kernelINS0_14default_configENS1_25partition_config_selectorILNS1_17partition_subalgoE8ElNS0_10empty_typeEbEEZZNS1_14partition_implILS5_8ELb0ES3_jPlPS6_PKS6_NS0_5tupleIJS9_S6_EEENSD_IJSA_SA_EEENS0_18inequality_wrapperIZN2at6native12_GLOBAL__N_124unique_dim_cuda_templateIlEESt5tupleIJNSH_6TensorESM_SM_EERKSM_lbbbEUlllE0_EEPmJS6_EEE10hipError_tPvRmT3_T4_T5_T6_T7_T9_mT8_P12ihipStream_tbDpT10_ENKUlT_T0_E_clISt17integral_constantIbLb1EES1C_EEDaS17_S18_EUlS17_E_NS1_11comp_targetILNS1_3genE2ELNS1_11target_archE906ELNS1_3gpuE6ELNS1_3repE0EEENS1_30default_config_static_selectorELNS0_4arch9wavefront6targetE1EEEvT1_,"axG",@progbits,_ZN7rocprim17ROCPRIM_400000_NS6detail17trampoline_kernelINS0_14default_configENS1_25partition_config_selectorILNS1_17partition_subalgoE8ElNS0_10empty_typeEbEEZZNS1_14partition_implILS5_8ELb0ES3_jPlPS6_PKS6_NS0_5tupleIJS9_S6_EEENSD_IJSA_SA_EEENS0_18inequality_wrapperIZN2at6native12_GLOBAL__N_124unique_dim_cuda_templateIlEESt5tupleIJNSH_6TensorESM_SM_EERKSM_lbbbEUlllE0_EEPmJS6_EEE10hipError_tPvRmT3_T4_T5_T6_T7_T9_mT8_P12ihipStream_tbDpT10_ENKUlT_T0_E_clISt17integral_constantIbLb1EES1C_EEDaS17_S18_EUlS17_E_NS1_11comp_targetILNS1_3genE2ELNS1_11target_archE906ELNS1_3gpuE6ELNS1_3repE0EEENS1_30default_config_static_selectorELNS0_4arch9wavefront6targetE1EEEvT1_,comdat
	.globl	_ZN7rocprim17ROCPRIM_400000_NS6detail17trampoline_kernelINS0_14default_configENS1_25partition_config_selectorILNS1_17partition_subalgoE8ElNS0_10empty_typeEbEEZZNS1_14partition_implILS5_8ELb0ES3_jPlPS6_PKS6_NS0_5tupleIJS9_S6_EEENSD_IJSA_SA_EEENS0_18inequality_wrapperIZN2at6native12_GLOBAL__N_124unique_dim_cuda_templateIlEESt5tupleIJNSH_6TensorESM_SM_EERKSM_lbbbEUlllE0_EEPmJS6_EEE10hipError_tPvRmT3_T4_T5_T6_T7_T9_mT8_P12ihipStream_tbDpT10_ENKUlT_T0_E_clISt17integral_constantIbLb1EES1C_EEDaS17_S18_EUlS17_E_NS1_11comp_targetILNS1_3genE2ELNS1_11target_archE906ELNS1_3gpuE6ELNS1_3repE0EEENS1_30default_config_static_selectorELNS0_4arch9wavefront6targetE1EEEvT1_ ; -- Begin function _ZN7rocprim17ROCPRIM_400000_NS6detail17trampoline_kernelINS0_14default_configENS1_25partition_config_selectorILNS1_17partition_subalgoE8ElNS0_10empty_typeEbEEZZNS1_14partition_implILS5_8ELb0ES3_jPlPS6_PKS6_NS0_5tupleIJS9_S6_EEENSD_IJSA_SA_EEENS0_18inequality_wrapperIZN2at6native12_GLOBAL__N_124unique_dim_cuda_templateIlEESt5tupleIJNSH_6TensorESM_SM_EERKSM_lbbbEUlllE0_EEPmJS6_EEE10hipError_tPvRmT3_T4_T5_T6_T7_T9_mT8_P12ihipStream_tbDpT10_ENKUlT_T0_E_clISt17integral_constantIbLb1EES1C_EEDaS17_S18_EUlS17_E_NS1_11comp_targetILNS1_3genE2ELNS1_11target_archE906ELNS1_3gpuE6ELNS1_3repE0EEENS1_30default_config_static_selectorELNS0_4arch9wavefront6targetE1EEEvT1_
	.p2align	8
	.type	_ZN7rocprim17ROCPRIM_400000_NS6detail17trampoline_kernelINS0_14default_configENS1_25partition_config_selectorILNS1_17partition_subalgoE8ElNS0_10empty_typeEbEEZZNS1_14partition_implILS5_8ELb0ES3_jPlPS6_PKS6_NS0_5tupleIJS9_S6_EEENSD_IJSA_SA_EEENS0_18inequality_wrapperIZN2at6native12_GLOBAL__N_124unique_dim_cuda_templateIlEESt5tupleIJNSH_6TensorESM_SM_EERKSM_lbbbEUlllE0_EEPmJS6_EEE10hipError_tPvRmT3_T4_T5_T6_T7_T9_mT8_P12ihipStream_tbDpT10_ENKUlT_T0_E_clISt17integral_constantIbLb1EES1C_EEDaS17_S18_EUlS17_E_NS1_11comp_targetILNS1_3genE2ELNS1_11target_archE906ELNS1_3gpuE6ELNS1_3repE0EEENS1_30default_config_static_selectorELNS0_4arch9wavefront6targetE1EEEvT1_,@function
_ZN7rocprim17ROCPRIM_400000_NS6detail17trampoline_kernelINS0_14default_configENS1_25partition_config_selectorILNS1_17partition_subalgoE8ElNS0_10empty_typeEbEEZZNS1_14partition_implILS5_8ELb0ES3_jPlPS6_PKS6_NS0_5tupleIJS9_S6_EEENSD_IJSA_SA_EEENS0_18inequality_wrapperIZN2at6native12_GLOBAL__N_124unique_dim_cuda_templateIlEESt5tupleIJNSH_6TensorESM_SM_EERKSM_lbbbEUlllE0_EEPmJS6_EEE10hipError_tPvRmT3_T4_T5_T6_T7_T9_mT8_P12ihipStream_tbDpT10_ENKUlT_T0_E_clISt17integral_constantIbLb1EES1C_EEDaS17_S18_EUlS17_E_NS1_11comp_targetILNS1_3genE2ELNS1_11target_archE906ELNS1_3gpuE6ELNS1_3repE0EEENS1_30default_config_static_selectorELNS0_4arch9wavefront6targetE1EEEvT1_: ; @_ZN7rocprim17ROCPRIM_400000_NS6detail17trampoline_kernelINS0_14default_configENS1_25partition_config_selectorILNS1_17partition_subalgoE8ElNS0_10empty_typeEbEEZZNS1_14partition_implILS5_8ELb0ES3_jPlPS6_PKS6_NS0_5tupleIJS9_S6_EEENSD_IJSA_SA_EEENS0_18inequality_wrapperIZN2at6native12_GLOBAL__N_124unique_dim_cuda_templateIlEESt5tupleIJNSH_6TensorESM_SM_EERKSM_lbbbEUlllE0_EEPmJS6_EEE10hipError_tPvRmT3_T4_T5_T6_T7_T9_mT8_P12ihipStream_tbDpT10_ENKUlT_T0_E_clISt17integral_constantIbLb1EES1C_EEDaS17_S18_EUlS17_E_NS1_11comp_targetILNS1_3genE2ELNS1_11target_archE906ELNS1_3gpuE6ELNS1_3repE0EEENS1_30default_config_static_selectorELNS0_4arch9wavefront6targetE1EEEvT1_
; %bb.0:
	.section	.rodata,"a",@progbits
	.p2align	6, 0x0
	.amdhsa_kernel _ZN7rocprim17ROCPRIM_400000_NS6detail17trampoline_kernelINS0_14default_configENS1_25partition_config_selectorILNS1_17partition_subalgoE8ElNS0_10empty_typeEbEEZZNS1_14partition_implILS5_8ELb0ES3_jPlPS6_PKS6_NS0_5tupleIJS9_S6_EEENSD_IJSA_SA_EEENS0_18inequality_wrapperIZN2at6native12_GLOBAL__N_124unique_dim_cuda_templateIlEESt5tupleIJNSH_6TensorESM_SM_EERKSM_lbbbEUlllE0_EEPmJS6_EEE10hipError_tPvRmT3_T4_T5_T6_T7_T9_mT8_P12ihipStream_tbDpT10_ENKUlT_T0_E_clISt17integral_constantIbLb1EES1C_EEDaS17_S18_EUlS17_E_NS1_11comp_targetILNS1_3genE2ELNS1_11target_archE906ELNS1_3gpuE6ELNS1_3repE0EEENS1_30default_config_static_selectorELNS0_4arch9wavefront6targetE1EEEvT1_
		.amdhsa_group_segment_fixed_size 0
		.amdhsa_private_segment_fixed_size 0
		.amdhsa_kernarg_size 136
		.amdhsa_user_sgpr_count 2
		.amdhsa_user_sgpr_dispatch_ptr 0
		.amdhsa_user_sgpr_queue_ptr 0
		.amdhsa_user_sgpr_kernarg_segment_ptr 1
		.amdhsa_user_sgpr_dispatch_id 0
		.amdhsa_user_sgpr_kernarg_preload_length 0
		.amdhsa_user_sgpr_kernarg_preload_offset 0
		.amdhsa_user_sgpr_private_segment_size 0
		.amdhsa_uses_dynamic_stack 0
		.amdhsa_enable_private_segment 0
		.amdhsa_system_sgpr_workgroup_id_x 1
		.amdhsa_system_sgpr_workgroup_id_y 0
		.amdhsa_system_sgpr_workgroup_id_z 0
		.amdhsa_system_sgpr_workgroup_info 0
		.amdhsa_system_vgpr_workitem_id 0
		.amdhsa_next_free_vgpr 1
		.amdhsa_next_free_sgpr 0
		.amdhsa_accum_offset 4
		.amdhsa_reserve_vcc 0
		.amdhsa_float_round_mode_32 0
		.amdhsa_float_round_mode_16_64 0
		.amdhsa_float_denorm_mode_32 3
		.amdhsa_float_denorm_mode_16_64 3
		.amdhsa_dx10_clamp 1
		.amdhsa_ieee_mode 1
		.amdhsa_fp16_overflow 0
		.amdhsa_tg_split 0
		.amdhsa_exception_fp_ieee_invalid_op 0
		.amdhsa_exception_fp_denorm_src 0
		.amdhsa_exception_fp_ieee_div_zero 0
		.amdhsa_exception_fp_ieee_overflow 0
		.amdhsa_exception_fp_ieee_underflow 0
		.amdhsa_exception_fp_ieee_inexact 0
		.amdhsa_exception_int_div_zero 0
	.end_amdhsa_kernel
	.section	.text._ZN7rocprim17ROCPRIM_400000_NS6detail17trampoline_kernelINS0_14default_configENS1_25partition_config_selectorILNS1_17partition_subalgoE8ElNS0_10empty_typeEbEEZZNS1_14partition_implILS5_8ELb0ES3_jPlPS6_PKS6_NS0_5tupleIJS9_S6_EEENSD_IJSA_SA_EEENS0_18inequality_wrapperIZN2at6native12_GLOBAL__N_124unique_dim_cuda_templateIlEESt5tupleIJNSH_6TensorESM_SM_EERKSM_lbbbEUlllE0_EEPmJS6_EEE10hipError_tPvRmT3_T4_T5_T6_T7_T9_mT8_P12ihipStream_tbDpT10_ENKUlT_T0_E_clISt17integral_constantIbLb1EES1C_EEDaS17_S18_EUlS17_E_NS1_11comp_targetILNS1_3genE2ELNS1_11target_archE906ELNS1_3gpuE6ELNS1_3repE0EEENS1_30default_config_static_selectorELNS0_4arch9wavefront6targetE1EEEvT1_,"axG",@progbits,_ZN7rocprim17ROCPRIM_400000_NS6detail17trampoline_kernelINS0_14default_configENS1_25partition_config_selectorILNS1_17partition_subalgoE8ElNS0_10empty_typeEbEEZZNS1_14partition_implILS5_8ELb0ES3_jPlPS6_PKS6_NS0_5tupleIJS9_S6_EEENSD_IJSA_SA_EEENS0_18inequality_wrapperIZN2at6native12_GLOBAL__N_124unique_dim_cuda_templateIlEESt5tupleIJNSH_6TensorESM_SM_EERKSM_lbbbEUlllE0_EEPmJS6_EEE10hipError_tPvRmT3_T4_T5_T6_T7_T9_mT8_P12ihipStream_tbDpT10_ENKUlT_T0_E_clISt17integral_constantIbLb1EES1C_EEDaS17_S18_EUlS17_E_NS1_11comp_targetILNS1_3genE2ELNS1_11target_archE906ELNS1_3gpuE6ELNS1_3repE0EEENS1_30default_config_static_selectorELNS0_4arch9wavefront6targetE1EEEvT1_,comdat
.Lfunc_end575:
	.size	_ZN7rocprim17ROCPRIM_400000_NS6detail17trampoline_kernelINS0_14default_configENS1_25partition_config_selectorILNS1_17partition_subalgoE8ElNS0_10empty_typeEbEEZZNS1_14partition_implILS5_8ELb0ES3_jPlPS6_PKS6_NS0_5tupleIJS9_S6_EEENSD_IJSA_SA_EEENS0_18inequality_wrapperIZN2at6native12_GLOBAL__N_124unique_dim_cuda_templateIlEESt5tupleIJNSH_6TensorESM_SM_EERKSM_lbbbEUlllE0_EEPmJS6_EEE10hipError_tPvRmT3_T4_T5_T6_T7_T9_mT8_P12ihipStream_tbDpT10_ENKUlT_T0_E_clISt17integral_constantIbLb1EES1C_EEDaS17_S18_EUlS17_E_NS1_11comp_targetILNS1_3genE2ELNS1_11target_archE906ELNS1_3gpuE6ELNS1_3repE0EEENS1_30default_config_static_selectorELNS0_4arch9wavefront6targetE1EEEvT1_, .Lfunc_end575-_ZN7rocprim17ROCPRIM_400000_NS6detail17trampoline_kernelINS0_14default_configENS1_25partition_config_selectorILNS1_17partition_subalgoE8ElNS0_10empty_typeEbEEZZNS1_14partition_implILS5_8ELb0ES3_jPlPS6_PKS6_NS0_5tupleIJS9_S6_EEENSD_IJSA_SA_EEENS0_18inequality_wrapperIZN2at6native12_GLOBAL__N_124unique_dim_cuda_templateIlEESt5tupleIJNSH_6TensorESM_SM_EERKSM_lbbbEUlllE0_EEPmJS6_EEE10hipError_tPvRmT3_T4_T5_T6_T7_T9_mT8_P12ihipStream_tbDpT10_ENKUlT_T0_E_clISt17integral_constantIbLb1EES1C_EEDaS17_S18_EUlS17_E_NS1_11comp_targetILNS1_3genE2ELNS1_11target_archE906ELNS1_3gpuE6ELNS1_3repE0EEENS1_30default_config_static_selectorELNS0_4arch9wavefront6targetE1EEEvT1_
                                        ; -- End function
	.set _ZN7rocprim17ROCPRIM_400000_NS6detail17trampoline_kernelINS0_14default_configENS1_25partition_config_selectorILNS1_17partition_subalgoE8ElNS0_10empty_typeEbEEZZNS1_14partition_implILS5_8ELb0ES3_jPlPS6_PKS6_NS0_5tupleIJS9_S6_EEENSD_IJSA_SA_EEENS0_18inequality_wrapperIZN2at6native12_GLOBAL__N_124unique_dim_cuda_templateIlEESt5tupleIJNSH_6TensorESM_SM_EERKSM_lbbbEUlllE0_EEPmJS6_EEE10hipError_tPvRmT3_T4_T5_T6_T7_T9_mT8_P12ihipStream_tbDpT10_ENKUlT_T0_E_clISt17integral_constantIbLb1EES1C_EEDaS17_S18_EUlS17_E_NS1_11comp_targetILNS1_3genE2ELNS1_11target_archE906ELNS1_3gpuE6ELNS1_3repE0EEENS1_30default_config_static_selectorELNS0_4arch9wavefront6targetE1EEEvT1_.num_vgpr, 0
	.set _ZN7rocprim17ROCPRIM_400000_NS6detail17trampoline_kernelINS0_14default_configENS1_25partition_config_selectorILNS1_17partition_subalgoE8ElNS0_10empty_typeEbEEZZNS1_14partition_implILS5_8ELb0ES3_jPlPS6_PKS6_NS0_5tupleIJS9_S6_EEENSD_IJSA_SA_EEENS0_18inequality_wrapperIZN2at6native12_GLOBAL__N_124unique_dim_cuda_templateIlEESt5tupleIJNSH_6TensorESM_SM_EERKSM_lbbbEUlllE0_EEPmJS6_EEE10hipError_tPvRmT3_T4_T5_T6_T7_T9_mT8_P12ihipStream_tbDpT10_ENKUlT_T0_E_clISt17integral_constantIbLb1EES1C_EEDaS17_S18_EUlS17_E_NS1_11comp_targetILNS1_3genE2ELNS1_11target_archE906ELNS1_3gpuE6ELNS1_3repE0EEENS1_30default_config_static_selectorELNS0_4arch9wavefront6targetE1EEEvT1_.num_agpr, 0
	.set _ZN7rocprim17ROCPRIM_400000_NS6detail17trampoline_kernelINS0_14default_configENS1_25partition_config_selectorILNS1_17partition_subalgoE8ElNS0_10empty_typeEbEEZZNS1_14partition_implILS5_8ELb0ES3_jPlPS6_PKS6_NS0_5tupleIJS9_S6_EEENSD_IJSA_SA_EEENS0_18inequality_wrapperIZN2at6native12_GLOBAL__N_124unique_dim_cuda_templateIlEESt5tupleIJNSH_6TensorESM_SM_EERKSM_lbbbEUlllE0_EEPmJS6_EEE10hipError_tPvRmT3_T4_T5_T6_T7_T9_mT8_P12ihipStream_tbDpT10_ENKUlT_T0_E_clISt17integral_constantIbLb1EES1C_EEDaS17_S18_EUlS17_E_NS1_11comp_targetILNS1_3genE2ELNS1_11target_archE906ELNS1_3gpuE6ELNS1_3repE0EEENS1_30default_config_static_selectorELNS0_4arch9wavefront6targetE1EEEvT1_.numbered_sgpr, 0
	.set _ZN7rocprim17ROCPRIM_400000_NS6detail17trampoline_kernelINS0_14default_configENS1_25partition_config_selectorILNS1_17partition_subalgoE8ElNS0_10empty_typeEbEEZZNS1_14partition_implILS5_8ELb0ES3_jPlPS6_PKS6_NS0_5tupleIJS9_S6_EEENSD_IJSA_SA_EEENS0_18inequality_wrapperIZN2at6native12_GLOBAL__N_124unique_dim_cuda_templateIlEESt5tupleIJNSH_6TensorESM_SM_EERKSM_lbbbEUlllE0_EEPmJS6_EEE10hipError_tPvRmT3_T4_T5_T6_T7_T9_mT8_P12ihipStream_tbDpT10_ENKUlT_T0_E_clISt17integral_constantIbLb1EES1C_EEDaS17_S18_EUlS17_E_NS1_11comp_targetILNS1_3genE2ELNS1_11target_archE906ELNS1_3gpuE6ELNS1_3repE0EEENS1_30default_config_static_selectorELNS0_4arch9wavefront6targetE1EEEvT1_.num_named_barrier, 0
	.set _ZN7rocprim17ROCPRIM_400000_NS6detail17trampoline_kernelINS0_14default_configENS1_25partition_config_selectorILNS1_17partition_subalgoE8ElNS0_10empty_typeEbEEZZNS1_14partition_implILS5_8ELb0ES3_jPlPS6_PKS6_NS0_5tupleIJS9_S6_EEENSD_IJSA_SA_EEENS0_18inequality_wrapperIZN2at6native12_GLOBAL__N_124unique_dim_cuda_templateIlEESt5tupleIJNSH_6TensorESM_SM_EERKSM_lbbbEUlllE0_EEPmJS6_EEE10hipError_tPvRmT3_T4_T5_T6_T7_T9_mT8_P12ihipStream_tbDpT10_ENKUlT_T0_E_clISt17integral_constantIbLb1EES1C_EEDaS17_S18_EUlS17_E_NS1_11comp_targetILNS1_3genE2ELNS1_11target_archE906ELNS1_3gpuE6ELNS1_3repE0EEENS1_30default_config_static_selectorELNS0_4arch9wavefront6targetE1EEEvT1_.private_seg_size, 0
	.set _ZN7rocprim17ROCPRIM_400000_NS6detail17trampoline_kernelINS0_14default_configENS1_25partition_config_selectorILNS1_17partition_subalgoE8ElNS0_10empty_typeEbEEZZNS1_14partition_implILS5_8ELb0ES3_jPlPS6_PKS6_NS0_5tupleIJS9_S6_EEENSD_IJSA_SA_EEENS0_18inequality_wrapperIZN2at6native12_GLOBAL__N_124unique_dim_cuda_templateIlEESt5tupleIJNSH_6TensorESM_SM_EERKSM_lbbbEUlllE0_EEPmJS6_EEE10hipError_tPvRmT3_T4_T5_T6_T7_T9_mT8_P12ihipStream_tbDpT10_ENKUlT_T0_E_clISt17integral_constantIbLb1EES1C_EEDaS17_S18_EUlS17_E_NS1_11comp_targetILNS1_3genE2ELNS1_11target_archE906ELNS1_3gpuE6ELNS1_3repE0EEENS1_30default_config_static_selectorELNS0_4arch9wavefront6targetE1EEEvT1_.uses_vcc, 0
	.set _ZN7rocprim17ROCPRIM_400000_NS6detail17trampoline_kernelINS0_14default_configENS1_25partition_config_selectorILNS1_17partition_subalgoE8ElNS0_10empty_typeEbEEZZNS1_14partition_implILS5_8ELb0ES3_jPlPS6_PKS6_NS0_5tupleIJS9_S6_EEENSD_IJSA_SA_EEENS0_18inequality_wrapperIZN2at6native12_GLOBAL__N_124unique_dim_cuda_templateIlEESt5tupleIJNSH_6TensorESM_SM_EERKSM_lbbbEUlllE0_EEPmJS6_EEE10hipError_tPvRmT3_T4_T5_T6_T7_T9_mT8_P12ihipStream_tbDpT10_ENKUlT_T0_E_clISt17integral_constantIbLb1EES1C_EEDaS17_S18_EUlS17_E_NS1_11comp_targetILNS1_3genE2ELNS1_11target_archE906ELNS1_3gpuE6ELNS1_3repE0EEENS1_30default_config_static_selectorELNS0_4arch9wavefront6targetE1EEEvT1_.uses_flat_scratch, 0
	.set _ZN7rocprim17ROCPRIM_400000_NS6detail17trampoline_kernelINS0_14default_configENS1_25partition_config_selectorILNS1_17partition_subalgoE8ElNS0_10empty_typeEbEEZZNS1_14partition_implILS5_8ELb0ES3_jPlPS6_PKS6_NS0_5tupleIJS9_S6_EEENSD_IJSA_SA_EEENS0_18inequality_wrapperIZN2at6native12_GLOBAL__N_124unique_dim_cuda_templateIlEESt5tupleIJNSH_6TensorESM_SM_EERKSM_lbbbEUlllE0_EEPmJS6_EEE10hipError_tPvRmT3_T4_T5_T6_T7_T9_mT8_P12ihipStream_tbDpT10_ENKUlT_T0_E_clISt17integral_constantIbLb1EES1C_EEDaS17_S18_EUlS17_E_NS1_11comp_targetILNS1_3genE2ELNS1_11target_archE906ELNS1_3gpuE6ELNS1_3repE0EEENS1_30default_config_static_selectorELNS0_4arch9wavefront6targetE1EEEvT1_.has_dyn_sized_stack, 0
	.set _ZN7rocprim17ROCPRIM_400000_NS6detail17trampoline_kernelINS0_14default_configENS1_25partition_config_selectorILNS1_17partition_subalgoE8ElNS0_10empty_typeEbEEZZNS1_14partition_implILS5_8ELb0ES3_jPlPS6_PKS6_NS0_5tupleIJS9_S6_EEENSD_IJSA_SA_EEENS0_18inequality_wrapperIZN2at6native12_GLOBAL__N_124unique_dim_cuda_templateIlEESt5tupleIJNSH_6TensorESM_SM_EERKSM_lbbbEUlllE0_EEPmJS6_EEE10hipError_tPvRmT3_T4_T5_T6_T7_T9_mT8_P12ihipStream_tbDpT10_ENKUlT_T0_E_clISt17integral_constantIbLb1EES1C_EEDaS17_S18_EUlS17_E_NS1_11comp_targetILNS1_3genE2ELNS1_11target_archE906ELNS1_3gpuE6ELNS1_3repE0EEENS1_30default_config_static_selectorELNS0_4arch9wavefront6targetE1EEEvT1_.has_recursion, 0
	.set _ZN7rocprim17ROCPRIM_400000_NS6detail17trampoline_kernelINS0_14default_configENS1_25partition_config_selectorILNS1_17partition_subalgoE8ElNS0_10empty_typeEbEEZZNS1_14partition_implILS5_8ELb0ES3_jPlPS6_PKS6_NS0_5tupleIJS9_S6_EEENSD_IJSA_SA_EEENS0_18inequality_wrapperIZN2at6native12_GLOBAL__N_124unique_dim_cuda_templateIlEESt5tupleIJNSH_6TensorESM_SM_EERKSM_lbbbEUlllE0_EEPmJS6_EEE10hipError_tPvRmT3_T4_T5_T6_T7_T9_mT8_P12ihipStream_tbDpT10_ENKUlT_T0_E_clISt17integral_constantIbLb1EES1C_EEDaS17_S18_EUlS17_E_NS1_11comp_targetILNS1_3genE2ELNS1_11target_archE906ELNS1_3gpuE6ELNS1_3repE0EEENS1_30default_config_static_selectorELNS0_4arch9wavefront6targetE1EEEvT1_.has_indirect_call, 0
	.section	.AMDGPU.csdata,"",@progbits
; Kernel info:
; codeLenInByte = 0
; TotalNumSgprs: 6
; NumVgprs: 0
; NumAgprs: 0
; TotalNumVgprs: 0
; ScratchSize: 0
; MemoryBound: 0
; FloatMode: 240
; IeeeMode: 1
; LDSByteSize: 0 bytes/workgroup (compile time only)
; SGPRBlocks: 0
; VGPRBlocks: 0
; NumSGPRsForWavesPerEU: 6
; NumVGPRsForWavesPerEU: 1
; AccumOffset: 4
; Occupancy: 8
; WaveLimiterHint : 0
; COMPUTE_PGM_RSRC2:SCRATCH_EN: 0
; COMPUTE_PGM_RSRC2:USER_SGPR: 2
; COMPUTE_PGM_RSRC2:TRAP_HANDLER: 0
; COMPUTE_PGM_RSRC2:TGID_X_EN: 1
; COMPUTE_PGM_RSRC2:TGID_Y_EN: 0
; COMPUTE_PGM_RSRC2:TGID_Z_EN: 0
; COMPUTE_PGM_RSRC2:TIDIG_COMP_CNT: 0
; COMPUTE_PGM_RSRC3_GFX90A:ACCUM_OFFSET: 0
; COMPUTE_PGM_RSRC3_GFX90A:TG_SPLIT: 0
	.section	.text._ZN7rocprim17ROCPRIM_400000_NS6detail17trampoline_kernelINS0_14default_configENS1_25partition_config_selectorILNS1_17partition_subalgoE8ElNS0_10empty_typeEbEEZZNS1_14partition_implILS5_8ELb0ES3_jPlPS6_PKS6_NS0_5tupleIJS9_S6_EEENSD_IJSA_SA_EEENS0_18inequality_wrapperIZN2at6native12_GLOBAL__N_124unique_dim_cuda_templateIlEESt5tupleIJNSH_6TensorESM_SM_EERKSM_lbbbEUlllE0_EEPmJS6_EEE10hipError_tPvRmT3_T4_T5_T6_T7_T9_mT8_P12ihipStream_tbDpT10_ENKUlT_T0_E_clISt17integral_constantIbLb1EES1C_EEDaS17_S18_EUlS17_E_NS1_11comp_targetILNS1_3genE10ELNS1_11target_archE1200ELNS1_3gpuE4ELNS1_3repE0EEENS1_30default_config_static_selectorELNS0_4arch9wavefront6targetE1EEEvT1_,"axG",@progbits,_ZN7rocprim17ROCPRIM_400000_NS6detail17trampoline_kernelINS0_14default_configENS1_25partition_config_selectorILNS1_17partition_subalgoE8ElNS0_10empty_typeEbEEZZNS1_14partition_implILS5_8ELb0ES3_jPlPS6_PKS6_NS0_5tupleIJS9_S6_EEENSD_IJSA_SA_EEENS0_18inequality_wrapperIZN2at6native12_GLOBAL__N_124unique_dim_cuda_templateIlEESt5tupleIJNSH_6TensorESM_SM_EERKSM_lbbbEUlllE0_EEPmJS6_EEE10hipError_tPvRmT3_T4_T5_T6_T7_T9_mT8_P12ihipStream_tbDpT10_ENKUlT_T0_E_clISt17integral_constantIbLb1EES1C_EEDaS17_S18_EUlS17_E_NS1_11comp_targetILNS1_3genE10ELNS1_11target_archE1200ELNS1_3gpuE4ELNS1_3repE0EEENS1_30default_config_static_selectorELNS0_4arch9wavefront6targetE1EEEvT1_,comdat
	.globl	_ZN7rocprim17ROCPRIM_400000_NS6detail17trampoline_kernelINS0_14default_configENS1_25partition_config_selectorILNS1_17partition_subalgoE8ElNS0_10empty_typeEbEEZZNS1_14partition_implILS5_8ELb0ES3_jPlPS6_PKS6_NS0_5tupleIJS9_S6_EEENSD_IJSA_SA_EEENS0_18inequality_wrapperIZN2at6native12_GLOBAL__N_124unique_dim_cuda_templateIlEESt5tupleIJNSH_6TensorESM_SM_EERKSM_lbbbEUlllE0_EEPmJS6_EEE10hipError_tPvRmT3_T4_T5_T6_T7_T9_mT8_P12ihipStream_tbDpT10_ENKUlT_T0_E_clISt17integral_constantIbLb1EES1C_EEDaS17_S18_EUlS17_E_NS1_11comp_targetILNS1_3genE10ELNS1_11target_archE1200ELNS1_3gpuE4ELNS1_3repE0EEENS1_30default_config_static_selectorELNS0_4arch9wavefront6targetE1EEEvT1_ ; -- Begin function _ZN7rocprim17ROCPRIM_400000_NS6detail17trampoline_kernelINS0_14default_configENS1_25partition_config_selectorILNS1_17partition_subalgoE8ElNS0_10empty_typeEbEEZZNS1_14partition_implILS5_8ELb0ES3_jPlPS6_PKS6_NS0_5tupleIJS9_S6_EEENSD_IJSA_SA_EEENS0_18inequality_wrapperIZN2at6native12_GLOBAL__N_124unique_dim_cuda_templateIlEESt5tupleIJNSH_6TensorESM_SM_EERKSM_lbbbEUlllE0_EEPmJS6_EEE10hipError_tPvRmT3_T4_T5_T6_T7_T9_mT8_P12ihipStream_tbDpT10_ENKUlT_T0_E_clISt17integral_constantIbLb1EES1C_EEDaS17_S18_EUlS17_E_NS1_11comp_targetILNS1_3genE10ELNS1_11target_archE1200ELNS1_3gpuE4ELNS1_3repE0EEENS1_30default_config_static_selectorELNS0_4arch9wavefront6targetE1EEEvT1_
	.p2align	8
	.type	_ZN7rocprim17ROCPRIM_400000_NS6detail17trampoline_kernelINS0_14default_configENS1_25partition_config_selectorILNS1_17partition_subalgoE8ElNS0_10empty_typeEbEEZZNS1_14partition_implILS5_8ELb0ES3_jPlPS6_PKS6_NS0_5tupleIJS9_S6_EEENSD_IJSA_SA_EEENS0_18inequality_wrapperIZN2at6native12_GLOBAL__N_124unique_dim_cuda_templateIlEESt5tupleIJNSH_6TensorESM_SM_EERKSM_lbbbEUlllE0_EEPmJS6_EEE10hipError_tPvRmT3_T4_T5_T6_T7_T9_mT8_P12ihipStream_tbDpT10_ENKUlT_T0_E_clISt17integral_constantIbLb1EES1C_EEDaS17_S18_EUlS17_E_NS1_11comp_targetILNS1_3genE10ELNS1_11target_archE1200ELNS1_3gpuE4ELNS1_3repE0EEENS1_30default_config_static_selectorELNS0_4arch9wavefront6targetE1EEEvT1_,@function
_ZN7rocprim17ROCPRIM_400000_NS6detail17trampoline_kernelINS0_14default_configENS1_25partition_config_selectorILNS1_17partition_subalgoE8ElNS0_10empty_typeEbEEZZNS1_14partition_implILS5_8ELb0ES3_jPlPS6_PKS6_NS0_5tupleIJS9_S6_EEENSD_IJSA_SA_EEENS0_18inequality_wrapperIZN2at6native12_GLOBAL__N_124unique_dim_cuda_templateIlEESt5tupleIJNSH_6TensorESM_SM_EERKSM_lbbbEUlllE0_EEPmJS6_EEE10hipError_tPvRmT3_T4_T5_T6_T7_T9_mT8_P12ihipStream_tbDpT10_ENKUlT_T0_E_clISt17integral_constantIbLb1EES1C_EEDaS17_S18_EUlS17_E_NS1_11comp_targetILNS1_3genE10ELNS1_11target_archE1200ELNS1_3gpuE4ELNS1_3repE0EEENS1_30default_config_static_selectorELNS0_4arch9wavefront6targetE1EEEvT1_: ; @_ZN7rocprim17ROCPRIM_400000_NS6detail17trampoline_kernelINS0_14default_configENS1_25partition_config_selectorILNS1_17partition_subalgoE8ElNS0_10empty_typeEbEEZZNS1_14partition_implILS5_8ELb0ES3_jPlPS6_PKS6_NS0_5tupleIJS9_S6_EEENSD_IJSA_SA_EEENS0_18inequality_wrapperIZN2at6native12_GLOBAL__N_124unique_dim_cuda_templateIlEESt5tupleIJNSH_6TensorESM_SM_EERKSM_lbbbEUlllE0_EEPmJS6_EEE10hipError_tPvRmT3_T4_T5_T6_T7_T9_mT8_P12ihipStream_tbDpT10_ENKUlT_T0_E_clISt17integral_constantIbLb1EES1C_EEDaS17_S18_EUlS17_E_NS1_11comp_targetILNS1_3genE10ELNS1_11target_archE1200ELNS1_3gpuE4ELNS1_3repE0EEENS1_30default_config_static_selectorELNS0_4arch9wavefront6targetE1EEEvT1_
; %bb.0:
	.section	.rodata,"a",@progbits
	.p2align	6, 0x0
	.amdhsa_kernel _ZN7rocprim17ROCPRIM_400000_NS6detail17trampoline_kernelINS0_14default_configENS1_25partition_config_selectorILNS1_17partition_subalgoE8ElNS0_10empty_typeEbEEZZNS1_14partition_implILS5_8ELb0ES3_jPlPS6_PKS6_NS0_5tupleIJS9_S6_EEENSD_IJSA_SA_EEENS0_18inequality_wrapperIZN2at6native12_GLOBAL__N_124unique_dim_cuda_templateIlEESt5tupleIJNSH_6TensorESM_SM_EERKSM_lbbbEUlllE0_EEPmJS6_EEE10hipError_tPvRmT3_T4_T5_T6_T7_T9_mT8_P12ihipStream_tbDpT10_ENKUlT_T0_E_clISt17integral_constantIbLb1EES1C_EEDaS17_S18_EUlS17_E_NS1_11comp_targetILNS1_3genE10ELNS1_11target_archE1200ELNS1_3gpuE4ELNS1_3repE0EEENS1_30default_config_static_selectorELNS0_4arch9wavefront6targetE1EEEvT1_
		.amdhsa_group_segment_fixed_size 0
		.amdhsa_private_segment_fixed_size 0
		.amdhsa_kernarg_size 136
		.amdhsa_user_sgpr_count 2
		.amdhsa_user_sgpr_dispatch_ptr 0
		.amdhsa_user_sgpr_queue_ptr 0
		.amdhsa_user_sgpr_kernarg_segment_ptr 1
		.amdhsa_user_sgpr_dispatch_id 0
		.amdhsa_user_sgpr_kernarg_preload_length 0
		.amdhsa_user_sgpr_kernarg_preload_offset 0
		.amdhsa_user_sgpr_private_segment_size 0
		.amdhsa_uses_dynamic_stack 0
		.amdhsa_enable_private_segment 0
		.amdhsa_system_sgpr_workgroup_id_x 1
		.amdhsa_system_sgpr_workgroup_id_y 0
		.amdhsa_system_sgpr_workgroup_id_z 0
		.amdhsa_system_sgpr_workgroup_info 0
		.amdhsa_system_vgpr_workitem_id 0
		.amdhsa_next_free_vgpr 1
		.amdhsa_next_free_sgpr 0
		.amdhsa_accum_offset 4
		.amdhsa_reserve_vcc 0
		.amdhsa_float_round_mode_32 0
		.amdhsa_float_round_mode_16_64 0
		.amdhsa_float_denorm_mode_32 3
		.amdhsa_float_denorm_mode_16_64 3
		.amdhsa_dx10_clamp 1
		.amdhsa_ieee_mode 1
		.amdhsa_fp16_overflow 0
		.amdhsa_tg_split 0
		.amdhsa_exception_fp_ieee_invalid_op 0
		.amdhsa_exception_fp_denorm_src 0
		.amdhsa_exception_fp_ieee_div_zero 0
		.amdhsa_exception_fp_ieee_overflow 0
		.amdhsa_exception_fp_ieee_underflow 0
		.amdhsa_exception_fp_ieee_inexact 0
		.amdhsa_exception_int_div_zero 0
	.end_amdhsa_kernel
	.section	.text._ZN7rocprim17ROCPRIM_400000_NS6detail17trampoline_kernelINS0_14default_configENS1_25partition_config_selectorILNS1_17partition_subalgoE8ElNS0_10empty_typeEbEEZZNS1_14partition_implILS5_8ELb0ES3_jPlPS6_PKS6_NS0_5tupleIJS9_S6_EEENSD_IJSA_SA_EEENS0_18inequality_wrapperIZN2at6native12_GLOBAL__N_124unique_dim_cuda_templateIlEESt5tupleIJNSH_6TensorESM_SM_EERKSM_lbbbEUlllE0_EEPmJS6_EEE10hipError_tPvRmT3_T4_T5_T6_T7_T9_mT8_P12ihipStream_tbDpT10_ENKUlT_T0_E_clISt17integral_constantIbLb1EES1C_EEDaS17_S18_EUlS17_E_NS1_11comp_targetILNS1_3genE10ELNS1_11target_archE1200ELNS1_3gpuE4ELNS1_3repE0EEENS1_30default_config_static_selectorELNS0_4arch9wavefront6targetE1EEEvT1_,"axG",@progbits,_ZN7rocprim17ROCPRIM_400000_NS6detail17trampoline_kernelINS0_14default_configENS1_25partition_config_selectorILNS1_17partition_subalgoE8ElNS0_10empty_typeEbEEZZNS1_14partition_implILS5_8ELb0ES3_jPlPS6_PKS6_NS0_5tupleIJS9_S6_EEENSD_IJSA_SA_EEENS0_18inequality_wrapperIZN2at6native12_GLOBAL__N_124unique_dim_cuda_templateIlEESt5tupleIJNSH_6TensorESM_SM_EERKSM_lbbbEUlllE0_EEPmJS6_EEE10hipError_tPvRmT3_T4_T5_T6_T7_T9_mT8_P12ihipStream_tbDpT10_ENKUlT_T0_E_clISt17integral_constantIbLb1EES1C_EEDaS17_S18_EUlS17_E_NS1_11comp_targetILNS1_3genE10ELNS1_11target_archE1200ELNS1_3gpuE4ELNS1_3repE0EEENS1_30default_config_static_selectorELNS0_4arch9wavefront6targetE1EEEvT1_,comdat
.Lfunc_end576:
	.size	_ZN7rocprim17ROCPRIM_400000_NS6detail17trampoline_kernelINS0_14default_configENS1_25partition_config_selectorILNS1_17partition_subalgoE8ElNS0_10empty_typeEbEEZZNS1_14partition_implILS5_8ELb0ES3_jPlPS6_PKS6_NS0_5tupleIJS9_S6_EEENSD_IJSA_SA_EEENS0_18inequality_wrapperIZN2at6native12_GLOBAL__N_124unique_dim_cuda_templateIlEESt5tupleIJNSH_6TensorESM_SM_EERKSM_lbbbEUlllE0_EEPmJS6_EEE10hipError_tPvRmT3_T4_T5_T6_T7_T9_mT8_P12ihipStream_tbDpT10_ENKUlT_T0_E_clISt17integral_constantIbLb1EES1C_EEDaS17_S18_EUlS17_E_NS1_11comp_targetILNS1_3genE10ELNS1_11target_archE1200ELNS1_3gpuE4ELNS1_3repE0EEENS1_30default_config_static_selectorELNS0_4arch9wavefront6targetE1EEEvT1_, .Lfunc_end576-_ZN7rocprim17ROCPRIM_400000_NS6detail17trampoline_kernelINS0_14default_configENS1_25partition_config_selectorILNS1_17partition_subalgoE8ElNS0_10empty_typeEbEEZZNS1_14partition_implILS5_8ELb0ES3_jPlPS6_PKS6_NS0_5tupleIJS9_S6_EEENSD_IJSA_SA_EEENS0_18inequality_wrapperIZN2at6native12_GLOBAL__N_124unique_dim_cuda_templateIlEESt5tupleIJNSH_6TensorESM_SM_EERKSM_lbbbEUlllE0_EEPmJS6_EEE10hipError_tPvRmT3_T4_T5_T6_T7_T9_mT8_P12ihipStream_tbDpT10_ENKUlT_T0_E_clISt17integral_constantIbLb1EES1C_EEDaS17_S18_EUlS17_E_NS1_11comp_targetILNS1_3genE10ELNS1_11target_archE1200ELNS1_3gpuE4ELNS1_3repE0EEENS1_30default_config_static_selectorELNS0_4arch9wavefront6targetE1EEEvT1_
                                        ; -- End function
	.set _ZN7rocprim17ROCPRIM_400000_NS6detail17trampoline_kernelINS0_14default_configENS1_25partition_config_selectorILNS1_17partition_subalgoE8ElNS0_10empty_typeEbEEZZNS1_14partition_implILS5_8ELb0ES3_jPlPS6_PKS6_NS0_5tupleIJS9_S6_EEENSD_IJSA_SA_EEENS0_18inequality_wrapperIZN2at6native12_GLOBAL__N_124unique_dim_cuda_templateIlEESt5tupleIJNSH_6TensorESM_SM_EERKSM_lbbbEUlllE0_EEPmJS6_EEE10hipError_tPvRmT3_T4_T5_T6_T7_T9_mT8_P12ihipStream_tbDpT10_ENKUlT_T0_E_clISt17integral_constantIbLb1EES1C_EEDaS17_S18_EUlS17_E_NS1_11comp_targetILNS1_3genE10ELNS1_11target_archE1200ELNS1_3gpuE4ELNS1_3repE0EEENS1_30default_config_static_selectorELNS0_4arch9wavefront6targetE1EEEvT1_.num_vgpr, 0
	.set _ZN7rocprim17ROCPRIM_400000_NS6detail17trampoline_kernelINS0_14default_configENS1_25partition_config_selectorILNS1_17partition_subalgoE8ElNS0_10empty_typeEbEEZZNS1_14partition_implILS5_8ELb0ES3_jPlPS6_PKS6_NS0_5tupleIJS9_S6_EEENSD_IJSA_SA_EEENS0_18inequality_wrapperIZN2at6native12_GLOBAL__N_124unique_dim_cuda_templateIlEESt5tupleIJNSH_6TensorESM_SM_EERKSM_lbbbEUlllE0_EEPmJS6_EEE10hipError_tPvRmT3_T4_T5_T6_T7_T9_mT8_P12ihipStream_tbDpT10_ENKUlT_T0_E_clISt17integral_constantIbLb1EES1C_EEDaS17_S18_EUlS17_E_NS1_11comp_targetILNS1_3genE10ELNS1_11target_archE1200ELNS1_3gpuE4ELNS1_3repE0EEENS1_30default_config_static_selectorELNS0_4arch9wavefront6targetE1EEEvT1_.num_agpr, 0
	.set _ZN7rocprim17ROCPRIM_400000_NS6detail17trampoline_kernelINS0_14default_configENS1_25partition_config_selectorILNS1_17partition_subalgoE8ElNS0_10empty_typeEbEEZZNS1_14partition_implILS5_8ELb0ES3_jPlPS6_PKS6_NS0_5tupleIJS9_S6_EEENSD_IJSA_SA_EEENS0_18inequality_wrapperIZN2at6native12_GLOBAL__N_124unique_dim_cuda_templateIlEESt5tupleIJNSH_6TensorESM_SM_EERKSM_lbbbEUlllE0_EEPmJS6_EEE10hipError_tPvRmT3_T4_T5_T6_T7_T9_mT8_P12ihipStream_tbDpT10_ENKUlT_T0_E_clISt17integral_constantIbLb1EES1C_EEDaS17_S18_EUlS17_E_NS1_11comp_targetILNS1_3genE10ELNS1_11target_archE1200ELNS1_3gpuE4ELNS1_3repE0EEENS1_30default_config_static_selectorELNS0_4arch9wavefront6targetE1EEEvT1_.numbered_sgpr, 0
	.set _ZN7rocprim17ROCPRIM_400000_NS6detail17trampoline_kernelINS0_14default_configENS1_25partition_config_selectorILNS1_17partition_subalgoE8ElNS0_10empty_typeEbEEZZNS1_14partition_implILS5_8ELb0ES3_jPlPS6_PKS6_NS0_5tupleIJS9_S6_EEENSD_IJSA_SA_EEENS0_18inequality_wrapperIZN2at6native12_GLOBAL__N_124unique_dim_cuda_templateIlEESt5tupleIJNSH_6TensorESM_SM_EERKSM_lbbbEUlllE0_EEPmJS6_EEE10hipError_tPvRmT3_T4_T5_T6_T7_T9_mT8_P12ihipStream_tbDpT10_ENKUlT_T0_E_clISt17integral_constantIbLb1EES1C_EEDaS17_S18_EUlS17_E_NS1_11comp_targetILNS1_3genE10ELNS1_11target_archE1200ELNS1_3gpuE4ELNS1_3repE0EEENS1_30default_config_static_selectorELNS0_4arch9wavefront6targetE1EEEvT1_.num_named_barrier, 0
	.set _ZN7rocprim17ROCPRIM_400000_NS6detail17trampoline_kernelINS0_14default_configENS1_25partition_config_selectorILNS1_17partition_subalgoE8ElNS0_10empty_typeEbEEZZNS1_14partition_implILS5_8ELb0ES3_jPlPS6_PKS6_NS0_5tupleIJS9_S6_EEENSD_IJSA_SA_EEENS0_18inequality_wrapperIZN2at6native12_GLOBAL__N_124unique_dim_cuda_templateIlEESt5tupleIJNSH_6TensorESM_SM_EERKSM_lbbbEUlllE0_EEPmJS6_EEE10hipError_tPvRmT3_T4_T5_T6_T7_T9_mT8_P12ihipStream_tbDpT10_ENKUlT_T0_E_clISt17integral_constantIbLb1EES1C_EEDaS17_S18_EUlS17_E_NS1_11comp_targetILNS1_3genE10ELNS1_11target_archE1200ELNS1_3gpuE4ELNS1_3repE0EEENS1_30default_config_static_selectorELNS0_4arch9wavefront6targetE1EEEvT1_.private_seg_size, 0
	.set _ZN7rocprim17ROCPRIM_400000_NS6detail17trampoline_kernelINS0_14default_configENS1_25partition_config_selectorILNS1_17partition_subalgoE8ElNS0_10empty_typeEbEEZZNS1_14partition_implILS5_8ELb0ES3_jPlPS6_PKS6_NS0_5tupleIJS9_S6_EEENSD_IJSA_SA_EEENS0_18inequality_wrapperIZN2at6native12_GLOBAL__N_124unique_dim_cuda_templateIlEESt5tupleIJNSH_6TensorESM_SM_EERKSM_lbbbEUlllE0_EEPmJS6_EEE10hipError_tPvRmT3_T4_T5_T6_T7_T9_mT8_P12ihipStream_tbDpT10_ENKUlT_T0_E_clISt17integral_constantIbLb1EES1C_EEDaS17_S18_EUlS17_E_NS1_11comp_targetILNS1_3genE10ELNS1_11target_archE1200ELNS1_3gpuE4ELNS1_3repE0EEENS1_30default_config_static_selectorELNS0_4arch9wavefront6targetE1EEEvT1_.uses_vcc, 0
	.set _ZN7rocprim17ROCPRIM_400000_NS6detail17trampoline_kernelINS0_14default_configENS1_25partition_config_selectorILNS1_17partition_subalgoE8ElNS0_10empty_typeEbEEZZNS1_14partition_implILS5_8ELb0ES3_jPlPS6_PKS6_NS0_5tupleIJS9_S6_EEENSD_IJSA_SA_EEENS0_18inequality_wrapperIZN2at6native12_GLOBAL__N_124unique_dim_cuda_templateIlEESt5tupleIJNSH_6TensorESM_SM_EERKSM_lbbbEUlllE0_EEPmJS6_EEE10hipError_tPvRmT3_T4_T5_T6_T7_T9_mT8_P12ihipStream_tbDpT10_ENKUlT_T0_E_clISt17integral_constantIbLb1EES1C_EEDaS17_S18_EUlS17_E_NS1_11comp_targetILNS1_3genE10ELNS1_11target_archE1200ELNS1_3gpuE4ELNS1_3repE0EEENS1_30default_config_static_selectorELNS0_4arch9wavefront6targetE1EEEvT1_.uses_flat_scratch, 0
	.set _ZN7rocprim17ROCPRIM_400000_NS6detail17trampoline_kernelINS0_14default_configENS1_25partition_config_selectorILNS1_17partition_subalgoE8ElNS0_10empty_typeEbEEZZNS1_14partition_implILS5_8ELb0ES3_jPlPS6_PKS6_NS0_5tupleIJS9_S6_EEENSD_IJSA_SA_EEENS0_18inequality_wrapperIZN2at6native12_GLOBAL__N_124unique_dim_cuda_templateIlEESt5tupleIJNSH_6TensorESM_SM_EERKSM_lbbbEUlllE0_EEPmJS6_EEE10hipError_tPvRmT3_T4_T5_T6_T7_T9_mT8_P12ihipStream_tbDpT10_ENKUlT_T0_E_clISt17integral_constantIbLb1EES1C_EEDaS17_S18_EUlS17_E_NS1_11comp_targetILNS1_3genE10ELNS1_11target_archE1200ELNS1_3gpuE4ELNS1_3repE0EEENS1_30default_config_static_selectorELNS0_4arch9wavefront6targetE1EEEvT1_.has_dyn_sized_stack, 0
	.set _ZN7rocprim17ROCPRIM_400000_NS6detail17trampoline_kernelINS0_14default_configENS1_25partition_config_selectorILNS1_17partition_subalgoE8ElNS0_10empty_typeEbEEZZNS1_14partition_implILS5_8ELb0ES3_jPlPS6_PKS6_NS0_5tupleIJS9_S6_EEENSD_IJSA_SA_EEENS0_18inequality_wrapperIZN2at6native12_GLOBAL__N_124unique_dim_cuda_templateIlEESt5tupleIJNSH_6TensorESM_SM_EERKSM_lbbbEUlllE0_EEPmJS6_EEE10hipError_tPvRmT3_T4_T5_T6_T7_T9_mT8_P12ihipStream_tbDpT10_ENKUlT_T0_E_clISt17integral_constantIbLb1EES1C_EEDaS17_S18_EUlS17_E_NS1_11comp_targetILNS1_3genE10ELNS1_11target_archE1200ELNS1_3gpuE4ELNS1_3repE0EEENS1_30default_config_static_selectorELNS0_4arch9wavefront6targetE1EEEvT1_.has_recursion, 0
	.set _ZN7rocprim17ROCPRIM_400000_NS6detail17trampoline_kernelINS0_14default_configENS1_25partition_config_selectorILNS1_17partition_subalgoE8ElNS0_10empty_typeEbEEZZNS1_14partition_implILS5_8ELb0ES3_jPlPS6_PKS6_NS0_5tupleIJS9_S6_EEENSD_IJSA_SA_EEENS0_18inequality_wrapperIZN2at6native12_GLOBAL__N_124unique_dim_cuda_templateIlEESt5tupleIJNSH_6TensorESM_SM_EERKSM_lbbbEUlllE0_EEPmJS6_EEE10hipError_tPvRmT3_T4_T5_T6_T7_T9_mT8_P12ihipStream_tbDpT10_ENKUlT_T0_E_clISt17integral_constantIbLb1EES1C_EEDaS17_S18_EUlS17_E_NS1_11comp_targetILNS1_3genE10ELNS1_11target_archE1200ELNS1_3gpuE4ELNS1_3repE0EEENS1_30default_config_static_selectorELNS0_4arch9wavefront6targetE1EEEvT1_.has_indirect_call, 0
	.section	.AMDGPU.csdata,"",@progbits
; Kernel info:
; codeLenInByte = 0
; TotalNumSgprs: 6
; NumVgprs: 0
; NumAgprs: 0
; TotalNumVgprs: 0
; ScratchSize: 0
; MemoryBound: 0
; FloatMode: 240
; IeeeMode: 1
; LDSByteSize: 0 bytes/workgroup (compile time only)
; SGPRBlocks: 0
; VGPRBlocks: 0
; NumSGPRsForWavesPerEU: 6
; NumVGPRsForWavesPerEU: 1
; AccumOffset: 4
; Occupancy: 8
; WaveLimiterHint : 0
; COMPUTE_PGM_RSRC2:SCRATCH_EN: 0
; COMPUTE_PGM_RSRC2:USER_SGPR: 2
; COMPUTE_PGM_RSRC2:TRAP_HANDLER: 0
; COMPUTE_PGM_RSRC2:TGID_X_EN: 1
; COMPUTE_PGM_RSRC2:TGID_Y_EN: 0
; COMPUTE_PGM_RSRC2:TGID_Z_EN: 0
; COMPUTE_PGM_RSRC2:TIDIG_COMP_CNT: 0
; COMPUTE_PGM_RSRC3_GFX90A:ACCUM_OFFSET: 0
; COMPUTE_PGM_RSRC3_GFX90A:TG_SPLIT: 0
	.section	.text._ZN7rocprim17ROCPRIM_400000_NS6detail17trampoline_kernelINS0_14default_configENS1_25partition_config_selectorILNS1_17partition_subalgoE8ElNS0_10empty_typeEbEEZZNS1_14partition_implILS5_8ELb0ES3_jPlPS6_PKS6_NS0_5tupleIJS9_S6_EEENSD_IJSA_SA_EEENS0_18inequality_wrapperIZN2at6native12_GLOBAL__N_124unique_dim_cuda_templateIlEESt5tupleIJNSH_6TensorESM_SM_EERKSM_lbbbEUlllE0_EEPmJS6_EEE10hipError_tPvRmT3_T4_T5_T6_T7_T9_mT8_P12ihipStream_tbDpT10_ENKUlT_T0_E_clISt17integral_constantIbLb1EES1C_EEDaS17_S18_EUlS17_E_NS1_11comp_targetILNS1_3genE9ELNS1_11target_archE1100ELNS1_3gpuE3ELNS1_3repE0EEENS1_30default_config_static_selectorELNS0_4arch9wavefront6targetE1EEEvT1_,"axG",@progbits,_ZN7rocprim17ROCPRIM_400000_NS6detail17trampoline_kernelINS0_14default_configENS1_25partition_config_selectorILNS1_17partition_subalgoE8ElNS0_10empty_typeEbEEZZNS1_14partition_implILS5_8ELb0ES3_jPlPS6_PKS6_NS0_5tupleIJS9_S6_EEENSD_IJSA_SA_EEENS0_18inequality_wrapperIZN2at6native12_GLOBAL__N_124unique_dim_cuda_templateIlEESt5tupleIJNSH_6TensorESM_SM_EERKSM_lbbbEUlllE0_EEPmJS6_EEE10hipError_tPvRmT3_T4_T5_T6_T7_T9_mT8_P12ihipStream_tbDpT10_ENKUlT_T0_E_clISt17integral_constantIbLb1EES1C_EEDaS17_S18_EUlS17_E_NS1_11comp_targetILNS1_3genE9ELNS1_11target_archE1100ELNS1_3gpuE3ELNS1_3repE0EEENS1_30default_config_static_selectorELNS0_4arch9wavefront6targetE1EEEvT1_,comdat
	.globl	_ZN7rocprim17ROCPRIM_400000_NS6detail17trampoline_kernelINS0_14default_configENS1_25partition_config_selectorILNS1_17partition_subalgoE8ElNS0_10empty_typeEbEEZZNS1_14partition_implILS5_8ELb0ES3_jPlPS6_PKS6_NS0_5tupleIJS9_S6_EEENSD_IJSA_SA_EEENS0_18inequality_wrapperIZN2at6native12_GLOBAL__N_124unique_dim_cuda_templateIlEESt5tupleIJNSH_6TensorESM_SM_EERKSM_lbbbEUlllE0_EEPmJS6_EEE10hipError_tPvRmT3_T4_T5_T6_T7_T9_mT8_P12ihipStream_tbDpT10_ENKUlT_T0_E_clISt17integral_constantIbLb1EES1C_EEDaS17_S18_EUlS17_E_NS1_11comp_targetILNS1_3genE9ELNS1_11target_archE1100ELNS1_3gpuE3ELNS1_3repE0EEENS1_30default_config_static_selectorELNS0_4arch9wavefront6targetE1EEEvT1_ ; -- Begin function _ZN7rocprim17ROCPRIM_400000_NS6detail17trampoline_kernelINS0_14default_configENS1_25partition_config_selectorILNS1_17partition_subalgoE8ElNS0_10empty_typeEbEEZZNS1_14partition_implILS5_8ELb0ES3_jPlPS6_PKS6_NS0_5tupleIJS9_S6_EEENSD_IJSA_SA_EEENS0_18inequality_wrapperIZN2at6native12_GLOBAL__N_124unique_dim_cuda_templateIlEESt5tupleIJNSH_6TensorESM_SM_EERKSM_lbbbEUlllE0_EEPmJS6_EEE10hipError_tPvRmT3_T4_T5_T6_T7_T9_mT8_P12ihipStream_tbDpT10_ENKUlT_T0_E_clISt17integral_constantIbLb1EES1C_EEDaS17_S18_EUlS17_E_NS1_11comp_targetILNS1_3genE9ELNS1_11target_archE1100ELNS1_3gpuE3ELNS1_3repE0EEENS1_30default_config_static_selectorELNS0_4arch9wavefront6targetE1EEEvT1_
	.p2align	8
	.type	_ZN7rocprim17ROCPRIM_400000_NS6detail17trampoline_kernelINS0_14default_configENS1_25partition_config_selectorILNS1_17partition_subalgoE8ElNS0_10empty_typeEbEEZZNS1_14partition_implILS5_8ELb0ES3_jPlPS6_PKS6_NS0_5tupleIJS9_S6_EEENSD_IJSA_SA_EEENS0_18inequality_wrapperIZN2at6native12_GLOBAL__N_124unique_dim_cuda_templateIlEESt5tupleIJNSH_6TensorESM_SM_EERKSM_lbbbEUlllE0_EEPmJS6_EEE10hipError_tPvRmT3_T4_T5_T6_T7_T9_mT8_P12ihipStream_tbDpT10_ENKUlT_T0_E_clISt17integral_constantIbLb1EES1C_EEDaS17_S18_EUlS17_E_NS1_11comp_targetILNS1_3genE9ELNS1_11target_archE1100ELNS1_3gpuE3ELNS1_3repE0EEENS1_30default_config_static_selectorELNS0_4arch9wavefront6targetE1EEEvT1_,@function
_ZN7rocprim17ROCPRIM_400000_NS6detail17trampoline_kernelINS0_14default_configENS1_25partition_config_selectorILNS1_17partition_subalgoE8ElNS0_10empty_typeEbEEZZNS1_14partition_implILS5_8ELb0ES3_jPlPS6_PKS6_NS0_5tupleIJS9_S6_EEENSD_IJSA_SA_EEENS0_18inequality_wrapperIZN2at6native12_GLOBAL__N_124unique_dim_cuda_templateIlEESt5tupleIJNSH_6TensorESM_SM_EERKSM_lbbbEUlllE0_EEPmJS6_EEE10hipError_tPvRmT3_T4_T5_T6_T7_T9_mT8_P12ihipStream_tbDpT10_ENKUlT_T0_E_clISt17integral_constantIbLb1EES1C_EEDaS17_S18_EUlS17_E_NS1_11comp_targetILNS1_3genE9ELNS1_11target_archE1100ELNS1_3gpuE3ELNS1_3repE0EEENS1_30default_config_static_selectorELNS0_4arch9wavefront6targetE1EEEvT1_: ; @_ZN7rocprim17ROCPRIM_400000_NS6detail17trampoline_kernelINS0_14default_configENS1_25partition_config_selectorILNS1_17partition_subalgoE8ElNS0_10empty_typeEbEEZZNS1_14partition_implILS5_8ELb0ES3_jPlPS6_PKS6_NS0_5tupleIJS9_S6_EEENSD_IJSA_SA_EEENS0_18inequality_wrapperIZN2at6native12_GLOBAL__N_124unique_dim_cuda_templateIlEESt5tupleIJNSH_6TensorESM_SM_EERKSM_lbbbEUlllE0_EEPmJS6_EEE10hipError_tPvRmT3_T4_T5_T6_T7_T9_mT8_P12ihipStream_tbDpT10_ENKUlT_T0_E_clISt17integral_constantIbLb1EES1C_EEDaS17_S18_EUlS17_E_NS1_11comp_targetILNS1_3genE9ELNS1_11target_archE1100ELNS1_3gpuE3ELNS1_3repE0EEENS1_30default_config_static_selectorELNS0_4arch9wavefront6targetE1EEEvT1_
; %bb.0:
	.section	.rodata,"a",@progbits
	.p2align	6, 0x0
	.amdhsa_kernel _ZN7rocprim17ROCPRIM_400000_NS6detail17trampoline_kernelINS0_14default_configENS1_25partition_config_selectorILNS1_17partition_subalgoE8ElNS0_10empty_typeEbEEZZNS1_14partition_implILS5_8ELb0ES3_jPlPS6_PKS6_NS0_5tupleIJS9_S6_EEENSD_IJSA_SA_EEENS0_18inequality_wrapperIZN2at6native12_GLOBAL__N_124unique_dim_cuda_templateIlEESt5tupleIJNSH_6TensorESM_SM_EERKSM_lbbbEUlllE0_EEPmJS6_EEE10hipError_tPvRmT3_T4_T5_T6_T7_T9_mT8_P12ihipStream_tbDpT10_ENKUlT_T0_E_clISt17integral_constantIbLb1EES1C_EEDaS17_S18_EUlS17_E_NS1_11comp_targetILNS1_3genE9ELNS1_11target_archE1100ELNS1_3gpuE3ELNS1_3repE0EEENS1_30default_config_static_selectorELNS0_4arch9wavefront6targetE1EEEvT1_
		.amdhsa_group_segment_fixed_size 0
		.amdhsa_private_segment_fixed_size 0
		.amdhsa_kernarg_size 136
		.amdhsa_user_sgpr_count 2
		.amdhsa_user_sgpr_dispatch_ptr 0
		.amdhsa_user_sgpr_queue_ptr 0
		.amdhsa_user_sgpr_kernarg_segment_ptr 1
		.amdhsa_user_sgpr_dispatch_id 0
		.amdhsa_user_sgpr_kernarg_preload_length 0
		.amdhsa_user_sgpr_kernarg_preload_offset 0
		.amdhsa_user_sgpr_private_segment_size 0
		.amdhsa_uses_dynamic_stack 0
		.amdhsa_enable_private_segment 0
		.amdhsa_system_sgpr_workgroup_id_x 1
		.amdhsa_system_sgpr_workgroup_id_y 0
		.amdhsa_system_sgpr_workgroup_id_z 0
		.amdhsa_system_sgpr_workgroup_info 0
		.amdhsa_system_vgpr_workitem_id 0
		.amdhsa_next_free_vgpr 1
		.amdhsa_next_free_sgpr 0
		.amdhsa_accum_offset 4
		.amdhsa_reserve_vcc 0
		.amdhsa_float_round_mode_32 0
		.amdhsa_float_round_mode_16_64 0
		.amdhsa_float_denorm_mode_32 3
		.amdhsa_float_denorm_mode_16_64 3
		.amdhsa_dx10_clamp 1
		.amdhsa_ieee_mode 1
		.amdhsa_fp16_overflow 0
		.amdhsa_tg_split 0
		.amdhsa_exception_fp_ieee_invalid_op 0
		.amdhsa_exception_fp_denorm_src 0
		.amdhsa_exception_fp_ieee_div_zero 0
		.amdhsa_exception_fp_ieee_overflow 0
		.amdhsa_exception_fp_ieee_underflow 0
		.amdhsa_exception_fp_ieee_inexact 0
		.amdhsa_exception_int_div_zero 0
	.end_amdhsa_kernel
	.section	.text._ZN7rocprim17ROCPRIM_400000_NS6detail17trampoline_kernelINS0_14default_configENS1_25partition_config_selectorILNS1_17partition_subalgoE8ElNS0_10empty_typeEbEEZZNS1_14partition_implILS5_8ELb0ES3_jPlPS6_PKS6_NS0_5tupleIJS9_S6_EEENSD_IJSA_SA_EEENS0_18inequality_wrapperIZN2at6native12_GLOBAL__N_124unique_dim_cuda_templateIlEESt5tupleIJNSH_6TensorESM_SM_EERKSM_lbbbEUlllE0_EEPmJS6_EEE10hipError_tPvRmT3_T4_T5_T6_T7_T9_mT8_P12ihipStream_tbDpT10_ENKUlT_T0_E_clISt17integral_constantIbLb1EES1C_EEDaS17_S18_EUlS17_E_NS1_11comp_targetILNS1_3genE9ELNS1_11target_archE1100ELNS1_3gpuE3ELNS1_3repE0EEENS1_30default_config_static_selectorELNS0_4arch9wavefront6targetE1EEEvT1_,"axG",@progbits,_ZN7rocprim17ROCPRIM_400000_NS6detail17trampoline_kernelINS0_14default_configENS1_25partition_config_selectorILNS1_17partition_subalgoE8ElNS0_10empty_typeEbEEZZNS1_14partition_implILS5_8ELb0ES3_jPlPS6_PKS6_NS0_5tupleIJS9_S6_EEENSD_IJSA_SA_EEENS0_18inequality_wrapperIZN2at6native12_GLOBAL__N_124unique_dim_cuda_templateIlEESt5tupleIJNSH_6TensorESM_SM_EERKSM_lbbbEUlllE0_EEPmJS6_EEE10hipError_tPvRmT3_T4_T5_T6_T7_T9_mT8_P12ihipStream_tbDpT10_ENKUlT_T0_E_clISt17integral_constantIbLb1EES1C_EEDaS17_S18_EUlS17_E_NS1_11comp_targetILNS1_3genE9ELNS1_11target_archE1100ELNS1_3gpuE3ELNS1_3repE0EEENS1_30default_config_static_selectorELNS0_4arch9wavefront6targetE1EEEvT1_,comdat
.Lfunc_end577:
	.size	_ZN7rocprim17ROCPRIM_400000_NS6detail17trampoline_kernelINS0_14default_configENS1_25partition_config_selectorILNS1_17partition_subalgoE8ElNS0_10empty_typeEbEEZZNS1_14partition_implILS5_8ELb0ES3_jPlPS6_PKS6_NS0_5tupleIJS9_S6_EEENSD_IJSA_SA_EEENS0_18inequality_wrapperIZN2at6native12_GLOBAL__N_124unique_dim_cuda_templateIlEESt5tupleIJNSH_6TensorESM_SM_EERKSM_lbbbEUlllE0_EEPmJS6_EEE10hipError_tPvRmT3_T4_T5_T6_T7_T9_mT8_P12ihipStream_tbDpT10_ENKUlT_T0_E_clISt17integral_constantIbLb1EES1C_EEDaS17_S18_EUlS17_E_NS1_11comp_targetILNS1_3genE9ELNS1_11target_archE1100ELNS1_3gpuE3ELNS1_3repE0EEENS1_30default_config_static_selectorELNS0_4arch9wavefront6targetE1EEEvT1_, .Lfunc_end577-_ZN7rocprim17ROCPRIM_400000_NS6detail17trampoline_kernelINS0_14default_configENS1_25partition_config_selectorILNS1_17partition_subalgoE8ElNS0_10empty_typeEbEEZZNS1_14partition_implILS5_8ELb0ES3_jPlPS6_PKS6_NS0_5tupleIJS9_S6_EEENSD_IJSA_SA_EEENS0_18inequality_wrapperIZN2at6native12_GLOBAL__N_124unique_dim_cuda_templateIlEESt5tupleIJNSH_6TensorESM_SM_EERKSM_lbbbEUlllE0_EEPmJS6_EEE10hipError_tPvRmT3_T4_T5_T6_T7_T9_mT8_P12ihipStream_tbDpT10_ENKUlT_T0_E_clISt17integral_constantIbLb1EES1C_EEDaS17_S18_EUlS17_E_NS1_11comp_targetILNS1_3genE9ELNS1_11target_archE1100ELNS1_3gpuE3ELNS1_3repE0EEENS1_30default_config_static_selectorELNS0_4arch9wavefront6targetE1EEEvT1_
                                        ; -- End function
	.set _ZN7rocprim17ROCPRIM_400000_NS6detail17trampoline_kernelINS0_14default_configENS1_25partition_config_selectorILNS1_17partition_subalgoE8ElNS0_10empty_typeEbEEZZNS1_14partition_implILS5_8ELb0ES3_jPlPS6_PKS6_NS0_5tupleIJS9_S6_EEENSD_IJSA_SA_EEENS0_18inequality_wrapperIZN2at6native12_GLOBAL__N_124unique_dim_cuda_templateIlEESt5tupleIJNSH_6TensorESM_SM_EERKSM_lbbbEUlllE0_EEPmJS6_EEE10hipError_tPvRmT3_T4_T5_T6_T7_T9_mT8_P12ihipStream_tbDpT10_ENKUlT_T0_E_clISt17integral_constantIbLb1EES1C_EEDaS17_S18_EUlS17_E_NS1_11comp_targetILNS1_3genE9ELNS1_11target_archE1100ELNS1_3gpuE3ELNS1_3repE0EEENS1_30default_config_static_selectorELNS0_4arch9wavefront6targetE1EEEvT1_.num_vgpr, 0
	.set _ZN7rocprim17ROCPRIM_400000_NS6detail17trampoline_kernelINS0_14default_configENS1_25partition_config_selectorILNS1_17partition_subalgoE8ElNS0_10empty_typeEbEEZZNS1_14partition_implILS5_8ELb0ES3_jPlPS6_PKS6_NS0_5tupleIJS9_S6_EEENSD_IJSA_SA_EEENS0_18inequality_wrapperIZN2at6native12_GLOBAL__N_124unique_dim_cuda_templateIlEESt5tupleIJNSH_6TensorESM_SM_EERKSM_lbbbEUlllE0_EEPmJS6_EEE10hipError_tPvRmT3_T4_T5_T6_T7_T9_mT8_P12ihipStream_tbDpT10_ENKUlT_T0_E_clISt17integral_constantIbLb1EES1C_EEDaS17_S18_EUlS17_E_NS1_11comp_targetILNS1_3genE9ELNS1_11target_archE1100ELNS1_3gpuE3ELNS1_3repE0EEENS1_30default_config_static_selectorELNS0_4arch9wavefront6targetE1EEEvT1_.num_agpr, 0
	.set _ZN7rocprim17ROCPRIM_400000_NS6detail17trampoline_kernelINS0_14default_configENS1_25partition_config_selectorILNS1_17partition_subalgoE8ElNS0_10empty_typeEbEEZZNS1_14partition_implILS5_8ELb0ES3_jPlPS6_PKS6_NS0_5tupleIJS9_S6_EEENSD_IJSA_SA_EEENS0_18inequality_wrapperIZN2at6native12_GLOBAL__N_124unique_dim_cuda_templateIlEESt5tupleIJNSH_6TensorESM_SM_EERKSM_lbbbEUlllE0_EEPmJS6_EEE10hipError_tPvRmT3_T4_T5_T6_T7_T9_mT8_P12ihipStream_tbDpT10_ENKUlT_T0_E_clISt17integral_constantIbLb1EES1C_EEDaS17_S18_EUlS17_E_NS1_11comp_targetILNS1_3genE9ELNS1_11target_archE1100ELNS1_3gpuE3ELNS1_3repE0EEENS1_30default_config_static_selectorELNS0_4arch9wavefront6targetE1EEEvT1_.numbered_sgpr, 0
	.set _ZN7rocprim17ROCPRIM_400000_NS6detail17trampoline_kernelINS0_14default_configENS1_25partition_config_selectorILNS1_17partition_subalgoE8ElNS0_10empty_typeEbEEZZNS1_14partition_implILS5_8ELb0ES3_jPlPS6_PKS6_NS0_5tupleIJS9_S6_EEENSD_IJSA_SA_EEENS0_18inequality_wrapperIZN2at6native12_GLOBAL__N_124unique_dim_cuda_templateIlEESt5tupleIJNSH_6TensorESM_SM_EERKSM_lbbbEUlllE0_EEPmJS6_EEE10hipError_tPvRmT3_T4_T5_T6_T7_T9_mT8_P12ihipStream_tbDpT10_ENKUlT_T0_E_clISt17integral_constantIbLb1EES1C_EEDaS17_S18_EUlS17_E_NS1_11comp_targetILNS1_3genE9ELNS1_11target_archE1100ELNS1_3gpuE3ELNS1_3repE0EEENS1_30default_config_static_selectorELNS0_4arch9wavefront6targetE1EEEvT1_.num_named_barrier, 0
	.set _ZN7rocprim17ROCPRIM_400000_NS6detail17trampoline_kernelINS0_14default_configENS1_25partition_config_selectorILNS1_17partition_subalgoE8ElNS0_10empty_typeEbEEZZNS1_14partition_implILS5_8ELb0ES3_jPlPS6_PKS6_NS0_5tupleIJS9_S6_EEENSD_IJSA_SA_EEENS0_18inequality_wrapperIZN2at6native12_GLOBAL__N_124unique_dim_cuda_templateIlEESt5tupleIJNSH_6TensorESM_SM_EERKSM_lbbbEUlllE0_EEPmJS6_EEE10hipError_tPvRmT3_T4_T5_T6_T7_T9_mT8_P12ihipStream_tbDpT10_ENKUlT_T0_E_clISt17integral_constantIbLb1EES1C_EEDaS17_S18_EUlS17_E_NS1_11comp_targetILNS1_3genE9ELNS1_11target_archE1100ELNS1_3gpuE3ELNS1_3repE0EEENS1_30default_config_static_selectorELNS0_4arch9wavefront6targetE1EEEvT1_.private_seg_size, 0
	.set _ZN7rocprim17ROCPRIM_400000_NS6detail17trampoline_kernelINS0_14default_configENS1_25partition_config_selectorILNS1_17partition_subalgoE8ElNS0_10empty_typeEbEEZZNS1_14partition_implILS5_8ELb0ES3_jPlPS6_PKS6_NS0_5tupleIJS9_S6_EEENSD_IJSA_SA_EEENS0_18inequality_wrapperIZN2at6native12_GLOBAL__N_124unique_dim_cuda_templateIlEESt5tupleIJNSH_6TensorESM_SM_EERKSM_lbbbEUlllE0_EEPmJS6_EEE10hipError_tPvRmT3_T4_T5_T6_T7_T9_mT8_P12ihipStream_tbDpT10_ENKUlT_T0_E_clISt17integral_constantIbLb1EES1C_EEDaS17_S18_EUlS17_E_NS1_11comp_targetILNS1_3genE9ELNS1_11target_archE1100ELNS1_3gpuE3ELNS1_3repE0EEENS1_30default_config_static_selectorELNS0_4arch9wavefront6targetE1EEEvT1_.uses_vcc, 0
	.set _ZN7rocprim17ROCPRIM_400000_NS6detail17trampoline_kernelINS0_14default_configENS1_25partition_config_selectorILNS1_17partition_subalgoE8ElNS0_10empty_typeEbEEZZNS1_14partition_implILS5_8ELb0ES3_jPlPS6_PKS6_NS0_5tupleIJS9_S6_EEENSD_IJSA_SA_EEENS0_18inequality_wrapperIZN2at6native12_GLOBAL__N_124unique_dim_cuda_templateIlEESt5tupleIJNSH_6TensorESM_SM_EERKSM_lbbbEUlllE0_EEPmJS6_EEE10hipError_tPvRmT3_T4_T5_T6_T7_T9_mT8_P12ihipStream_tbDpT10_ENKUlT_T0_E_clISt17integral_constantIbLb1EES1C_EEDaS17_S18_EUlS17_E_NS1_11comp_targetILNS1_3genE9ELNS1_11target_archE1100ELNS1_3gpuE3ELNS1_3repE0EEENS1_30default_config_static_selectorELNS0_4arch9wavefront6targetE1EEEvT1_.uses_flat_scratch, 0
	.set _ZN7rocprim17ROCPRIM_400000_NS6detail17trampoline_kernelINS0_14default_configENS1_25partition_config_selectorILNS1_17partition_subalgoE8ElNS0_10empty_typeEbEEZZNS1_14partition_implILS5_8ELb0ES3_jPlPS6_PKS6_NS0_5tupleIJS9_S6_EEENSD_IJSA_SA_EEENS0_18inequality_wrapperIZN2at6native12_GLOBAL__N_124unique_dim_cuda_templateIlEESt5tupleIJNSH_6TensorESM_SM_EERKSM_lbbbEUlllE0_EEPmJS6_EEE10hipError_tPvRmT3_T4_T5_T6_T7_T9_mT8_P12ihipStream_tbDpT10_ENKUlT_T0_E_clISt17integral_constantIbLb1EES1C_EEDaS17_S18_EUlS17_E_NS1_11comp_targetILNS1_3genE9ELNS1_11target_archE1100ELNS1_3gpuE3ELNS1_3repE0EEENS1_30default_config_static_selectorELNS0_4arch9wavefront6targetE1EEEvT1_.has_dyn_sized_stack, 0
	.set _ZN7rocprim17ROCPRIM_400000_NS6detail17trampoline_kernelINS0_14default_configENS1_25partition_config_selectorILNS1_17partition_subalgoE8ElNS0_10empty_typeEbEEZZNS1_14partition_implILS5_8ELb0ES3_jPlPS6_PKS6_NS0_5tupleIJS9_S6_EEENSD_IJSA_SA_EEENS0_18inequality_wrapperIZN2at6native12_GLOBAL__N_124unique_dim_cuda_templateIlEESt5tupleIJNSH_6TensorESM_SM_EERKSM_lbbbEUlllE0_EEPmJS6_EEE10hipError_tPvRmT3_T4_T5_T6_T7_T9_mT8_P12ihipStream_tbDpT10_ENKUlT_T0_E_clISt17integral_constantIbLb1EES1C_EEDaS17_S18_EUlS17_E_NS1_11comp_targetILNS1_3genE9ELNS1_11target_archE1100ELNS1_3gpuE3ELNS1_3repE0EEENS1_30default_config_static_selectorELNS0_4arch9wavefront6targetE1EEEvT1_.has_recursion, 0
	.set _ZN7rocprim17ROCPRIM_400000_NS6detail17trampoline_kernelINS0_14default_configENS1_25partition_config_selectorILNS1_17partition_subalgoE8ElNS0_10empty_typeEbEEZZNS1_14partition_implILS5_8ELb0ES3_jPlPS6_PKS6_NS0_5tupleIJS9_S6_EEENSD_IJSA_SA_EEENS0_18inequality_wrapperIZN2at6native12_GLOBAL__N_124unique_dim_cuda_templateIlEESt5tupleIJNSH_6TensorESM_SM_EERKSM_lbbbEUlllE0_EEPmJS6_EEE10hipError_tPvRmT3_T4_T5_T6_T7_T9_mT8_P12ihipStream_tbDpT10_ENKUlT_T0_E_clISt17integral_constantIbLb1EES1C_EEDaS17_S18_EUlS17_E_NS1_11comp_targetILNS1_3genE9ELNS1_11target_archE1100ELNS1_3gpuE3ELNS1_3repE0EEENS1_30default_config_static_selectorELNS0_4arch9wavefront6targetE1EEEvT1_.has_indirect_call, 0
	.section	.AMDGPU.csdata,"",@progbits
; Kernel info:
; codeLenInByte = 0
; TotalNumSgprs: 6
; NumVgprs: 0
; NumAgprs: 0
; TotalNumVgprs: 0
; ScratchSize: 0
; MemoryBound: 0
; FloatMode: 240
; IeeeMode: 1
; LDSByteSize: 0 bytes/workgroup (compile time only)
; SGPRBlocks: 0
; VGPRBlocks: 0
; NumSGPRsForWavesPerEU: 6
; NumVGPRsForWavesPerEU: 1
; AccumOffset: 4
; Occupancy: 8
; WaveLimiterHint : 0
; COMPUTE_PGM_RSRC2:SCRATCH_EN: 0
; COMPUTE_PGM_RSRC2:USER_SGPR: 2
; COMPUTE_PGM_RSRC2:TRAP_HANDLER: 0
; COMPUTE_PGM_RSRC2:TGID_X_EN: 1
; COMPUTE_PGM_RSRC2:TGID_Y_EN: 0
; COMPUTE_PGM_RSRC2:TGID_Z_EN: 0
; COMPUTE_PGM_RSRC2:TIDIG_COMP_CNT: 0
; COMPUTE_PGM_RSRC3_GFX90A:ACCUM_OFFSET: 0
; COMPUTE_PGM_RSRC3_GFX90A:TG_SPLIT: 0
	.section	.text._ZN7rocprim17ROCPRIM_400000_NS6detail17trampoline_kernelINS0_14default_configENS1_25partition_config_selectorILNS1_17partition_subalgoE8ElNS0_10empty_typeEbEEZZNS1_14partition_implILS5_8ELb0ES3_jPlPS6_PKS6_NS0_5tupleIJS9_S6_EEENSD_IJSA_SA_EEENS0_18inequality_wrapperIZN2at6native12_GLOBAL__N_124unique_dim_cuda_templateIlEESt5tupleIJNSH_6TensorESM_SM_EERKSM_lbbbEUlllE0_EEPmJS6_EEE10hipError_tPvRmT3_T4_T5_T6_T7_T9_mT8_P12ihipStream_tbDpT10_ENKUlT_T0_E_clISt17integral_constantIbLb1EES1C_EEDaS17_S18_EUlS17_E_NS1_11comp_targetILNS1_3genE8ELNS1_11target_archE1030ELNS1_3gpuE2ELNS1_3repE0EEENS1_30default_config_static_selectorELNS0_4arch9wavefront6targetE1EEEvT1_,"axG",@progbits,_ZN7rocprim17ROCPRIM_400000_NS6detail17trampoline_kernelINS0_14default_configENS1_25partition_config_selectorILNS1_17partition_subalgoE8ElNS0_10empty_typeEbEEZZNS1_14partition_implILS5_8ELb0ES3_jPlPS6_PKS6_NS0_5tupleIJS9_S6_EEENSD_IJSA_SA_EEENS0_18inequality_wrapperIZN2at6native12_GLOBAL__N_124unique_dim_cuda_templateIlEESt5tupleIJNSH_6TensorESM_SM_EERKSM_lbbbEUlllE0_EEPmJS6_EEE10hipError_tPvRmT3_T4_T5_T6_T7_T9_mT8_P12ihipStream_tbDpT10_ENKUlT_T0_E_clISt17integral_constantIbLb1EES1C_EEDaS17_S18_EUlS17_E_NS1_11comp_targetILNS1_3genE8ELNS1_11target_archE1030ELNS1_3gpuE2ELNS1_3repE0EEENS1_30default_config_static_selectorELNS0_4arch9wavefront6targetE1EEEvT1_,comdat
	.globl	_ZN7rocprim17ROCPRIM_400000_NS6detail17trampoline_kernelINS0_14default_configENS1_25partition_config_selectorILNS1_17partition_subalgoE8ElNS0_10empty_typeEbEEZZNS1_14partition_implILS5_8ELb0ES3_jPlPS6_PKS6_NS0_5tupleIJS9_S6_EEENSD_IJSA_SA_EEENS0_18inequality_wrapperIZN2at6native12_GLOBAL__N_124unique_dim_cuda_templateIlEESt5tupleIJNSH_6TensorESM_SM_EERKSM_lbbbEUlllE0_EEPmJS6_EEE10hipError_tPvRmT3_T4_T5_T6_T7_T9_mT8_P12ihipStream_tbDpT10_ENKUlT_T0_E_clISt17integral_constantIbLb1EES1C_EEDaS17_S18_EUlS17_E_NS1_11comp_targetILNS1_3genE8ELNS1_11target_archE1030ELNS1_3gpuE2ELNS1_3repE0EEENS1_30default_config_static_selectorELNS0_4arch9wavefront6targetE1EEEvT1_ ; -- Begin function _ZN7rocprim17ROCPRIM_400000_NS6detail17trampoline_kernelINS0_14default_configENS1_25partition_config_selectorILNS1_17partition_subalgoE8ElNS0_10empty_typeEbEEZZNS1_14partition_implILS5_8ELb0ES3_jPlPS6_PKS6_NS0_5tupleIJS9_S6_EEENSD_IJSA_SA_EEENS0_18inequality_wrapperIZN2at6native12_GLOBAL__N_124unique_dim_cuda_templateIlEESt5tupleIJNSH_6TensorESM_SM_EERKSM_lbbbEUlllE0_EEPmJS6_EEE10hipError_tPvRmT3_T4_T5_T6_T7_T9_mT8_P12ihipStream_tbDpT10_ENKUlT_T0_E_clISt17integral_constantIbLb1EES1C_EEDaS17_S18_EUlS17_E_NS1_11comp_targetILNS1_3genE8ELNS1_11target_archE1030ELNS1_3gpuE2ELNS1_3repE0EEENS1_30default_config_static_selectorELNS0_4arch9wavefront6targetE1EEEvT1_
	.p2align	8
	.type	_ZN7rocprim17ROCPRIM_400000_NS6detail17trampoline_kernelINS0_14default_configENS1_25partition_config_selectorILNS1_17partition_subalgoE8ElNS0_10empty_typeEbEEZZNS1_14partition_implILS5_8ELb0ES3_jPlPS6_PKS6_NS0_5tupleIJS9_S6_EEENSD_IJSA_SA_EEENS0_18inequality_wrapperIZN2at6native12_GLOBAL__N_124unique_dim_cuda_templateIlEESt5tupleIJNSH_6TensorESM_SM_EERKSM_lbbbEUlllE0_EEPmJS6_EEE10hipError_tPvRmT3_T4_T5_T6_T7_T9_mT8_P12ihipStream_tbDpT10_ENKUlT_T0_E_clISt17integral_constantIbLb1EES1C_EEDaS17_S18_EUlS17_E_NS1_11comp_targetILNS1_3genE8ELNS1_11target_archE1030ELNS1_3gpuE2ELNS1_3repE0EEENS1_30default_config_static_selectorELNS0_4arch9wavefront6targetE1EEEvT1_,@function
_ZN7rocprim17ROCPRIM_400000_NS6detail17trampoline_kernelINS0_14default_configENS1_25partition_config_selectorILNS1_17partition_subalgoE8ElNS0_10empty_typeEbEEZZNS1_14partition_implILS5_8ELb0ES3_jPlPS6_PKS6_NS0_5tupleIJS9_S6_EEENSD_IJSA_SA_EEENS0_18inequality_wrapperIZN2at6native12_GLOBAL__N_124unique_dim_cuda_templateIlEESt5tupleIJNSH_6TensorESM_SM_EERKSM_lbbbEUlllE0_EEPmJS6_EEE10hipError_tPvRmT3_T4_T5_T6_T7_T9_mT8_P12ihipStream_tbDpT10_ENKUlT_T0_E_clISt17integral_constantIbLb1EES1C_EEDaS17_S18_EUlS17_E_NS1_11comp_targetILNS1_3genE8ELNS1_11target_archE1030ELNS1_3gpuE2ELNS1_3repE0EEENS1_30default_config_static_selectorELNS0_4arch9wavefront6targetE1EEEvT1_: ; @_ZN7rocprim17ROCPRIM_400000_NS6detail17trampoline_kernelINS0_14default_configENS1_25partition_config_selectorILNS1_17partition_subalgoE8ElNS0_10empty_typeEbEEZZNS1_14partition_implILS5_8ELb0ES3_jPlPS6_PKS6_NS0_5tupleIJS9_S6_EEENSD_IJSA_SA_EEENS0_18inequality_wrapperIZN2at6native12_GLOBAL__N_124unique_dim_cuda_templateIlEESt5tupleIJNSH_6TensorESM_SM_EERKSM_lbbbEUlllE0_EEPmJS6_EEE10hipError_tPvRmT3_T4_T5_T6_T7_T9_mT8_P12ihipStream_tbDpT10_ENKUlT_T0_E_clISt17integral_constantIbLb1EES1C_EEDaS17_S18_EUlS17_E_NS1_11comp_targetILNS1_3genE8ELNS1_11target_archE1030ELNS1_3gpuE2ELNS1_3repE0EEENS1_30default_config_static_selectorELNS0_4arch9wavefront6targetE1EEEvT1_
; %bb.0:
	.section	.rodata,"a",@progbits
	.p2align	6, 0x0
	.amdhsa_kernel _ZN7rocprim17ROCPRIM_400000_NS6detail17trampoline_kernelINS0_14default_configENS1_25partition_config_selectorILNS1_17partition_subalgoE8ElNS0_10empty_typeEbEEZZNS1_14partition_implILS5_8ELb0ES3_jPlPS6_PKS6_NS0_5tupleIJS9_S6_EEENSD_IJSA_SA_EEENS0_18inequality_wrapperIZN2at6native12_GLOBAL__N_124unique_dim_cuda_templateIlEESt5tupleIJNSH_6TensorESM_SM_EERKSM_lbbbEUlllE0_EEPmJS6_EEE10hipError_tPvRmT3_T4_T5_T6_T7_T9_mT8_P12ihipStream_tbDpT10_ENKUlT_T0_E_clISt17integral_constantIbLb1EES1C_EEDaS17_S18_EUlS17_E_NS1_11comp_targetILNS1_3genE8ELNS1_11target_archE1030ELNS1_3gpuE2ELNS1_3repE0EEENS1_30default_config_static_selectorELNS0_4arch9wavefront6targetE1EEEvT1_
		.amdhsa_group_segment_fixed_size 0
		.amdhsa_private_segment_fixed_size 0
		.amdhsa_kernarg_size 136
		.amdhsa_user_sgpr_count 2
		.amdhsa_user_sgpr_dispatch_ptr 0
		.amdhsa_user_sgpr_queue_ptr 0
		.amdhsa_user_sgpr_kernarg_segment_ptr 1
		.amdhsa_user_sgpr_dispatch_id 0
		.amdhsa_user_sgpr_kernarg_preload_length 0
		.amdhsa_user_sgpr_kernarg_preload_offset 0
		.amdhsa_user_sgpr_private_segment_size 0
		.amdhsa_uses_dynamic_stack 0
		.amdhsa_enable_private_segment 0
		.amdhsa_system_sgpr_workgroup_id_x 1
		.amdhsa_system_sgpr_workgroup_id_y 0
		.amdhsa_system_sgpr_workgroup_id_z 0
		.amdhsa_system_sgpr_workgroup_info 0
		.amdhsa_system_vgpr_workitem_id 0
		.amdhsa_next_free_vgpr 1
		.amdhsa_next_free_sgpr 0
		.amdhsa_accum_offset 4
		.amdhsa_reserve_vcc 0
		.amdhsa_float_round_mode_32 0
		.amdhsa_float_round_mode_16_64 0
		.amdhsa_float_denorm_mode_32 3
		.amdhsa_float_denorm_mode_16_64 3
		.amdhsa_dx10_clamp 1
		.amdhsa_ieee_mode 1
		.amdhsa_fp16_overflow 0
		.amdhsa_tg_split 0
		.amdhsa_exception_fp_ieee_invalid_op 0
		.amdhsa_exception_fp_denorm_src 0
		.amdhsa_exception_fp_ieee_div_zero 0
		.amdhsa_exception_fp_ieee_overflow 0
		.amdhsa_exception_fp_ieee_underflow 0
		.amdhsa_exception_fp_ieee_inexact 0
		.amdhsa_exception_int_div_zero 0
	.end_amdhsa_kernel
	.section	.text._ZN7rocprim17ROCPRIM_400000_NS6detail17trampoline_kernelINS0_14default_configENS1_25partition_config_selectorILNS1_17partition_subalgoE8ElNS0_10empty_typeEbEEZZNS1_14partition_implILS5_8ELb0ES3_jPlPS6_PKS6_NS0_5tupleIJS9_S6_EEENSD_IJSA_SA_EEENS0_18inequality_wrapperIZN2at6native12_GLOBAL__N_124unique_dim_cuda_templateIlEESt5tupleIJNSH_6TensorESM_SM_EERKSM_lbbbEUlllE0_EEPmJS6_EEE10hipError_tPvRmT3_T4_T5_T6_T7_T9_mT8_P12ihipStream_tbDpT10_ENKUlT_T0_E_clISt17integral_constantIbLb1EES1C_EEDaS17_S18_EUlS17_E_NS1_11comp_targetILNS1_3genE8ELNS1_11target_archE1030ELNS1_3gpuE2ELNS1_3repE0EEENS1_30default_config_static_selectorELNS0_4arch9wavefront6targetE1EEEvT1_,"axG",@progbits,_ZN7rocprim17ROCPRIM_400000_NS6detail17trampoline_kernelINS0_14default_configENS1_25partition_config_selectorILNS1_17partition_subalgoE8ElNS0_10empty_typeEbEEZZNS1_14partition_implILS5_8ELb0ES3_jPlPS6_PKS6_NS0_5tupleIJS9_S6_EEENSD_IJSA_SA_EEENS0_18inequality_wrapperIZN2at6native12_GLOBAL__N_124unique_dim_cuda_templateIlEESt5tupleIJNSH_6TensorESM_SM_EERKSM_lbbbEUlllE0_EEPmJS6_EEE10hipError_tPvRmT3_T4_T5_T6_T7_T9_mT8_P12ihipStream_tbDpT10_ENKUlT_T0_E_clISt17integral_constantIbLb1EES1C_EEDaS17_S18_EUlS17_E_NS1_11comp_targetILNS1_3genE8ELNS1_11target_archE1030ELNS1_3gpuE2ELNS1_3repE0EEENS1_30default_config_static_selectorELNS0_4arch9wavefront6targetE1EEEvT1_,comdat
.Lfunc_end578:
	.size	_ZN7rocprim17ROCPRIM_400000_NS6detail17trampoline_kernelINS0_14default_configENS1_25partition_config_selectorILNS1_17partition_subalgoE8ElNS0_10empty_typeEbEEZZNS1_14partition_implILS5_8ELb0ES3_jPlPS6_PKS6_NS0_5tupleIJS9_S6_EEENSD_IJSA_SA_EEENS0_18inequality_wrapperIZN2at6native12_GLOBAL__N_124unique_dim_cuda_templateIlEESt5tupleIJNSH_6TensorESM_SM_EERKSM_lbbbEUlllE0_EEPmJS6_EEE10hipError_tPvRmT3_T4_T5_T6_T7_T9_mT8_P12ihipStream_tbDpT10_ENKUlT_T0_E_clISt17integral_constantIbLb1EES1C_EEDaS17_S18_EUlS17_E_NS1_11comp_targetILNS1_3genE8ELNS1_11target_archE1030ELNS1_3gpuE2ELNS1_3repE0EEENS1_30default_config_static_selectorELNS0_4arch9wavefront6targetE1EEEvT1_, .Lfunc_end578-_ZN7rocprim17ROCPRIM_400000_NS6detail17trampoline_kernelINS0_14default_configENS1_25partition_config_selectorILNS1_17partition_subalgoE8ElNS0_10empty_typeEbEEZZNS1_14partition_implILS5_8ELb0ES3_jPlPS6_PKS6_NS0_5tupleIJS9_S6_EEENSD_IJSA_SA_EEENS0_18inequality_wrapperIZN2at6native12_GLOBAL__N_124unique_dim_cuda_templateIlEESt5tupleIJNSH_6TensorESM_SM_EERKSM_lbbbEUlllE0_EEPmJS6_EEE10hipError_tPvRmT3_T4_T5_T6_T7_T9_mT8_P12ihipStream_tbDpT10_ENKUlT_T0_E_clISt17integral_constantIbLb1EES1C_EEDaS17_S18_EUlS17_E_NS1_11comp_targetILNS1_3genE8ELNS1_11target_archE1030ELNS1_3gpuE2ELNS1_3repE0EEENS1_30default_config_static_selectorELNS0_4arch9wavefront6targetE1EEEvT1_
                                        ; -- End function
	.set _ZN7rocprim17ROCPRIM_400000_NS6detail17trampoline_kernelINS0_14default_configENS1_25partition_config_selectorILNS1_17partition_subalgoE8ElNS0_10empty_typeEbEEZZNS1_14partition_implILS5_8ELb0ES3_jPlPS6_PKS6_NS0_5tupleIJS9_S6_EEENSD_IJSA_SA_EEENS0_18inequality_wrapperIZN2at6native12_GLOBAL__N_124unique_dim_cuda_templateIlEESt5tupleIJNSH_6TensorESM_SM_EERKSM_lbbbEUlllE0_EEPmJS6_EEE10hipError_tPvRmT3_T4_T5_T6_T7_T9_mT8_P12ihipStream_tbDpT10_ENKUlT_T0_E_clISt17integral_constantIbLb1EES1C_EEDaS17_S18_EUlS17_E_NS1_11comp_targetILNS1_3genE8ELNS1_11target_archE1030ELNS1_3gpuE2ELNS1_3repE0EEENS1_30default_config_static_selectorELNS0_4arch9wavefront6targetE1EEEvT1_.num_vgpr, 0
	.set _ZN7rocprim17ROCPRIM_400000_NS6detail17trampoline_kernelINS0_14default_configENS1_25partition_config_selectorILNS1_17partition_subalgoE8ElNS0_10empty_typeEbEEZZNS1_14partition_implILS5_8ELb0ES3_jPlPS6_PKS6_NS0_5tupleIJS9_S6_EEENSD_IJSA_SA_EEENS0_18inequality_wrapperIZN2at6native12_GLOBAL__N_124unique_dim_cuda_templateIlEESt5tupleIJNSH_6TensorESM_SM_EERKSM_lbbbEUlllE0_EEPmJS6_EEE10hipError_tPvRmT3_T4_T5_T6_T7_T9_mT8_P12ihipStream_tbDpT10_ENKUlT_T0_E_clISt17integral_constantIbLb1EES1C_EEDaS17_S18_EUlS17_E_NS1_11comp_targetILNS1_3genE8ELNS1_11target_archE1030ELNS1_3gpuE2ELNS1_3repE0EEENS1_30default_config_static_selectorELNS0_4arch9wavefront6targetE1EEEvT1_.num_agpr, 0
	.set _ZN7rocprim17ROCPRIM_400000_NS6detail17trampoline_kernelINS0_14default_configENS1_25partition_config_selectorILNS1_17partition_subalgoE8ElNS0_10empty_typeEbEEZZNS1_14partition_implILS5_8ELb0ES3_jPlPS6_PKS6_NS0_5tupleIJS9_S6_EEENSD_IJSA_SA_EEENS0_18inequality_wrapperIZN2at6native12_GLOBAL__N_124unique_dim_cuda_templateIlEESt5tupleIJNSH_6TensorESM_SM_EERKSM_lbbbEUlllE0_EEPmJS6_EEE10hipError_tPvRmT3_T4_T5_T6_T7_T9_mT8_P12ihipStream_tbDpT10_ENKUlT_T0_E_clISt17integral_constantIbLb1EES1C_EEDaS17_S18_EUlS17_E_NS1_11comp_targetILNS1_3genE8ELNS1_11target_archE1030ELNS1_3gpuE2ELNS1_3repE0EEENS1_30default_config_static_selectorELNS0_4arch9wavefront6targetE1EEEvT1_.numbered_sgpr, 0
	.set _ZN7rocprim17ROCPRIM_400000_NS6detail17trampoline_kernelINS0_14default_configENS1_25partition_config_selectorILNS1_17partition_subalgoE8ElNS0_10empty_typeEbEEZZNS1_14partition_implILS5_8ELb0ES3_jPlPS6_PKS6_NS0_5tupleIJS9_S6_EEENSD_IJSA_SA_EEENS0_18inequality_wrapperIZN2at6native12_GLOBAL__N_124unique_dim_cuda_templateIlEESt5tupleIJNSH_6TensorESM_SM_EERKSM_lbbbEUlllE0_EEPmJS6_EEE10hipError_tPvRmT3_T4_T5_T6_T7_T9_mT8_P12ihipStream_tbDpT10_ENKUlT_T0_E_clISt17integral_constantIbLb1EES1C_EEDaS17_S18_EUlS17_E_NS1_11comp_targetILNS1_3genE8ELNS1_11target_archE1030ELNS1_3gpuE2ELNS1_3repE0EEENS1_30default_config_static_selectorELNS0_4arch9wavefront6targetE1EEEvT1_.num_named_barrier, 0
	.set _ZN7rocprim17ROCPRIM_400000_NS6detail17trampoline_kernelINS0_14default_configENS1_25partition_config_selectorILNS1_17partition_subalgoE8ElNS0_10empty_typeEbEEZZNS1_14partition_implILS5_8ELb0ES3_jPlPS6_PKS6_NS0_5tupleIJS9_S6_EEENSD_IJSA_SA_EEENS0_18inequality_wrapperIZN2at6native12_GLOBAL__N_124unique_dim_cuda_templateIlEESt5tupleIJNSH_6TensorESM_SM_EERKSM_lbbbEUlllE0_EEPmJS6_EEE10hipError_tPvRmT3_T4_T5_T6_T7_T9_mT8_P12ihipStream_tbDpT10_ENKUlT_T0_E_clISt17integral_constantIbLb1EES1C_EEDaS17_S18_EUlS17_E_NS1_11comp_targetILNS1_3genE8ELNS1_11target_archE1030ELNS1_3gpuE2ELNS1_3repE0EEENS1_30default_config_static_selectorELNS0_4arch9wavefront6targetE1EEEvT1_.private_seg_size, 0
	.set _ZN7rocprim17ROCPRIM_400000_NS6detail17trampoline_kernelINS0_14default_configENS1_25partition_config_selectorILNS1_17partition_subalgoE8ElNS0_10empty_typeEbEEZZNS1_14partition_implILS5_8ELb0ES3_jPlPS6_PKS6_NS0_5tupleIJS9_S6_EEENSD_IJSA_SA_EEENS0_18inequality_wrapperIZN2at6native12_GLOBAL__N_124unique_dim_cuda_templateIlEESt5tupleIJNSH_6TensorESM_SM_EERKSM_lbbbEUlllE0_EEPmJS6_EEE10hipError_tPvRmT3_T4_T5_T6_T7_T9_mT8_P12ihipStream_tbDpT10_ENKUlT_T0_E_clISt17integral_constantIbLb1EES1C_EEDaS17_S18_EUlS17_E_NS1_11comp_targetILNS1_3genE8ELNS1_11target_archE1030ELNS1_3gpuE2ELNS1_3repE0EEENS1_30default_config_static_selectorELNS0_4arch9wavefront6targetE1EEEvT1_.uses_vcc, 0
	.set _ZN7rocprim17ROCPRIM_400000_NS6detail17trampoline_kernelINS0_14default_configENS1_25partition_config_selectorILNS1_17partition_subalgoE8ElNS0_10empty_typeEbEEZZNS1_14partition_implILS5_8ELb0ES3_jPlPS6_PKS6_NS0_5tupleIJS9_S6_EEENSD_IJSA_SA_EEENS0_18inequality_wrapperIZN2at6native12_GLOBAL__N_124unique_dim_cuda_templateIlEESt5tupleIJNSH_6TensorESM_SM_EERKSM_lbbbEUlllE0_EEPmJS6_EEE10hipError_tPvRmT3_T4_T5_T6_T7_T9_mT8_P12ihipStream_tbDpT10_ENKUlT_T0_E_clISt17integral_constantIbLb1EES1C_EEDaS17_S18_EUlS17_E_NS1_11comp_targetILNS1_3genE8ELNS1_11target_archE1030ELNS1_3gpuE2ELNS1_3repE0EEENS1_30default_config_static_selectorELNS0_4arch9wavefront6targetE1EEEvT1_.uses_flat_scratch, 0
	.set _ZN7rocprim17ROCPRIM_400000_NS6detail17trampoline_kernelINS0_14default_configENS1_25partition_config_selectorILNS1_17partition_subalgoE8ElNS0_10empty_typeEbEEZZNS1_14partition_implILS5_8ELb0ES3_jPlPS6_PKS6_NS0_5tupleIJS9_S6_EEENSD_IJSA_SA_EEENS0_18inequality_wrapperIZN2at6native12_GLOBAL__N_124unique_dim_cuda_templateIlEESt5tupleIJNSH_6TensorESM_SM_EERKSM_lbbbEUlllE0_EEPmJS6_EEE10hipError_tPvRmT3_T4_T5_T6_T7_T9_mT8_P12ihipStream_tbDpT10_ENKUlT_T0_E_clISt17integral_constantIbLb1EES1C_EEDaS17_S18_EUlS17_E_NS1_11comp_targetILNS1_3genE8ELNS1_11target_archE1030ELNS1_3gpuE2ELNS1_3repE0EEENS1_30default_config_static_selectorELNS0_4arch9wavefront6targetE1EEEvT1_.has_dyn_sized_stack, 0
	.set _ZN7rocprim17ROCPRIM_400000_NS6detail17trampoline_kernelINS0_14default_configENS1_25partition_config_selectorILNS1_17partition_subalgoE8ElNS0_10empty_typeEbEEZZNS1_14partition_implILS5_8ELb0ES3_jPlPS6_PKS6_NS0_5tupleIJS9_S6_EEENSD_IJSA_SA_EEENS0_18inequality_wrapperIZN2at6native12_GLOBAL__N_124unique_dim_cuda_templateIlEESt5tupleIJNSH_6TensorESM_SM_EERKSM_lbbbEUlllE0_EEPmJS6_EEE10hipError_tPvRmT3_T4_T5_T6_T7_T9_mT8_P12ihipStream_tbDpT10_ENKUlT_T0_E_clISt17integral_constantIbLb1EES1C_EEDaS17_S18_EUlS17_E_NS1_11comp_targetILNS1_3genE8ELNS1_11target_archE1030ELNS1_3gpuE2ELNS1_3repE0EEENS1_30default_config_static_selectorELNS0_4arch9wavefront6targetE1EEEvT1_.has_recursion, 0
	.set _ZN7rocprim17ROCPRIM_400000_NS6detail17trampoline_kernelINS0_14default_configENS1_25partition_config_selectorILNS1_17partition_subalgoE8ElNS0_10empty_typeEbEEZZNS1_14partition_implILS5_8ELb0ES3_jPlPS6_PKS6_NS0_5tupleIJS9_S6_EEENSD_IJSA_SA_EEENS0_18inequality_wrapperIZN2at6native12_GLOBAL__N_124unique_dim_cuda_templateIlEESt5tupleIJNSH_6TensorESM_SM_EERKSM_lbbbEUlllE0_EEPmJS6_EEE10hipError_tPvRmT3_T4_T5_T6_T7_T9_mT8_P12ihipStream_tbDpT10_ENKUlT_T0_E_clISt17integral_constantIbLb1EES1C_EEDaS17_S18_EUlS17_E_NS1_11comp_targetILNS1_3genE8ELNS1_11target_archE1030ELNS1_3gpuE2ELNS1_3repE0EEENS1_30default_config_static_selectorELNS0_4arch9wavefront6targetE1EEEvT1_.has_indirect_call, 0
	.section	.AMDGPU.csdata,"",@progbits
; Kernel info:
; codeLenInByte = 0
; TotalNumSgprs: 6
; NumVgprs: 0
; NumAgprs: 0
; TotalNumVgprs: 0
; ScratchSize: 0
; MemoryBound: 0
; FloatMode: 240
; IeeeMode: 1
; LDSByteSize: 0 bytes/workgroup (compile time only)
; SGPRBlocks: 0
; VGPRBlocks: 0
; NumSGPRsForWavesPerEU: 6
; NumVGPRsForWavesPerEU: 1
; AccumOffset: 4
; Occupancy: 8
; WaveLimiterHint : 0
; COMPUTE_PGM_RSRC2:SCRATCH_EN: 0
; COMPUTE_PGM_RSRC2:USER_SGPR: 2
; COMPUTE_PGM_RSRC2:TRAP_HANDLER: 0
; COMPUTE_PGM_RSRC2:TGID_X_EN: 1
; COMPUTE_PGM_RSRC2:TGID_Y_EN: 0
; COMPUTE_PGM_RSRC2:TGID_Z_EN: 0
; COMPUTE_PGM_RSRC2:TIDIG_COMP_CNT: 0
; COMPUTE_PGM_RSRC3_GFX90A:ACCUM_OFFSET: 0
; COMPUTE_PGM_RSRC3_GFX90A:TG_SPLIT: 0
	.section	.text._ZN7rocprim17ROCPRIM_400000_NS6detail17trampoline_kernelINS0_14default_configENS1_25partition_config_selectorILNS1_17partition_subalgoE8ElNS0_10empty_typeEbEEZZNS1_14partition_implILS5_8ELb0ES3_jPlPS6_PKS6_NS0_5tupleIJS9_S6_EEENSD_IJSA_SA_EEENS0_18inequality_wrapperIZN2at6native12_GLOBAL__N_124unique_dim_cuda_templateIlEESt5tupleIJNSH_6TensorESM_SM_EERKSM_lbbbEUlllE0_EEPmJS6_EEE10hipError_tPvRmT3_T4_T5_T6_T7_T9_mT8_P12ihipStream_tbDpT10_ENKUlT_T0_E_clISt17integral_constantIbLb1EES1B_IbLb0EEEEDaS17_S18_EUlS17_E_NS1_11comp_targetILNS1_3genE0ELNS1_11target_archE4294967295ELNS1_3gpuE0ELNS1_3repE0EEENS1_30default_config_static_selectorELNS0_4arch9wavefront6targetE1EEEvT1_,"axG",@progbits,_ZN7rocprim17ROCPRIM_400000_NS6detail17trampoline_kernelINS0_14default_configENS1_25partition_config_selectorILNS1_17partition_subalgoE8ElNS0_10empty_typeEbEEZZNS1_14partition_implILS5_8ELb0ES3_jPlPS6_PKS6_NS0_5tupleIJS9_S6_EEENSD_IJSA_SA_EEENS0_18inequality_wrapperIZN2at6native12_GLOBAL__N_124unique_dim_cuda_templateIlEESt5tupleIJNSH_6TensorESM_SM_EERKSM_lbbbEUlllE0_EEPmJS6_EEE10hipError_tPvRmT3_T4_T5_T6_T7_T9_mT8_P12ihipStream_tbDpT10_ENKUlT_T0_E_clISt17integral_constantIbLb1EES1B_IbLb0EEEEDaS17_S18_EUlS17_E_NS1_11comp_targetILNS1_3genE0ELNS1_11target_archE4294967295ELNS1_3gpuE0ELNS1_3repE0EEENS1_30default_config_static_selectorELNS0_4arch9wavefront6targetE1EEEvT1_,comdat
	.globl	_ZN7rocprim17ROCPRIM_400000_NS6detail17trampoline_kernelINS0_14default_configENS1_25partition_config_selectorILNS1_17partition_subalgoE8ElNS0_10empty_typeEbEEZZNS1_14partition_implILS5_8ELb0ES3_jPlPS6_PKS6_NS0_5tupleIJS9_S6_EEENSD_IJSA_SA_EEENS0_18inequality_wrapperIZN2at6native12_GLOBAL__N_124unique_dim_cuda_templateIlEESt5tupleIJNSH_6TensorESM_SM_EERKSM_lbbbEUlllE0_EEPmJS6_EEE10hipError_tPvRmT3_T4_T5_T6_T7_T9_mT8_P12ihipStream_tbDpT10_ENKUlT_T0_E_clISt17integral_constantIbLb1EES1B_IbLb0EEEEDaS17_S18_EUlS17_E_NS1_11comp_targetILNS1_3genE0ELNS1_11target_archE4294967295ELNS1_3gpuE0ELNS1_3repE0EEENS1_30default_config_static_selectorELNS0_4arch9wavefront6targetE1EEEvT1_ ; -- Begin function _ZN7rocprim17ROCPRIM_400000_NS6detail17trampoline_kernelINS0_14default_configENS1_25partition_config_selectorILNS1_17partition_subalgoE8ElNS0_10empty_typeEbEEZZNS1_14partition_implILS5_8ELb0ES3_jPlPS6_PKS6_NS0_5tupleIJS9_S6_EEENSD_IJSA_SA_EEENS0_18inequality_wrapperIZN2at6native12_GLOBAL__N_124unique_dim_cuda_templateIlEESt5tupleIJNSH_6TensorESM_SM_EERKSM_lbbbEUlllE0_EEPmJS6_EEE10hipError_tPvRmT3_T4_T5_T6_T7_T9_mT8_P12ihipStream_tbDpT10_ENKUlT_T0_E_clISt17integral_constantIbLb1EES1B_IbLb0EEEEDaS17_S18_EUlS17_E_NS1_11comp_targetILNS1_3genE0ELNS1_11target_archE4294967295ELNS1_3gpuE0ELNS1_3repE0EEENS1_30default_config_static_selectorELNS0_4arch9wavefront6targetE1EEEvT1_
	.p2align	8
	.type	_ZN7rocprim17ROCPRIM_400000_NS6detail17trampoline_kernelINS0_14default_configENS1_25partition_config_selectorILNS1_17partition_subalgoE8ElNS0_10empty_typeEbEEZZNS1_14partition_implILS5_8ELb0ES3_jPlPS6_PKS6_NS0_5tupleIJS9_S6_EEENSD_IJSA_SA_EEENS0_18inequality_wrapperIZN2at6native12_GLOBAL__N_124unique_dim_cuda_templateIlEESt5tupleIJNSH_6TensorESM_SM_EERKSM_lbbbEUlllE0_EEPmJS6_EEE10hipError_tPvRmT3_T4_T5_T6_T7_T9_mT8_P12ihipStream_tbDpT10_ENKUlT_T0_E_clISt17integral_constantIbLb1EES1B_IbLb0EEEEDaS17_S18_EUlS17_E_NS1_11comp_targetILNS1_3genE0ELNS1_11target_archE4294967295ELNS1_3gpuE0ELNS1_3repE0EEENS1_30default_config_static_selectorELNS0_4arch9wavefront6targetE1EEEvT1_,@function
_ZN7rocprim17ROCPRIM_400000_NS6detail17trampoline_kernelINS0_14default_configENS1_25partition_config_selectorILNS1_17partition_subalgoE8ElNS0_10empty_typeEbEEZZNS1_14partition_implILS5_8ELb0ES3_jPlPS6_PKS6_NS0_5tupleIJS9_S6_EEENSD_IJSA_SA_EEENS0_18inequality_wrapperIZN2at6native12_GLOBAL__N_124unique_dim_cuda_templateIlEESt5tupleIJNSH_6TensorESM_SM_EERKSM_lbbbEUlllE0_EEPmJS6_EEE10hipError_tPvRmT3_T4_T5_T6_T7_T9_mT8_P12ihipStream_tbDpT10_ENKUlT_T0_E_clISt17integral_constantIbLb1EES1B_IbLb0EEEEDaS17_S18_EUlS17_E_NS1_11comp_targetILNS1_3genE0ELNS1_11target_archE4294967295ELNS1_3gpuE0ELNS1_3repE0EEENS1_30default_config_static_selectorELNS0_4arch9wavefront6targetE1EEEvT1_: ; @_ZN7rocprim17ROCPRIM_400000_NS6detail17trampoline_kernelINS0_14default_configENS1_25partition_config_selectorILNS1_17partition_subalgoE8ElNS0_10empty_typeEbEEZZNS1_14partition_implILS5_8ELb0ES3_jPlPS6_PKS6_NS0_5tupleIJS9_S6_EEENSD_IJSA_SA_EEENS0_18inequality_wrapperIZN2at6native12_GLOBAL__N_124unique_dim_cuda_templateIlEESt5tupleIJNSH_6TensorESM_SM_EERKSM_lbbbEUlllE0_EEPmJS6_EEE10hipError_tPvRmT3_T4_T5_T6_T7_T9_mT8_P12ihipStream_tbDpT10_ENKUlT_T0_E_clISt17integral_constantIbLb1EES1B_IbLb0EEEEDaS17_S18_EUlS17_E_NS1_11comp_targetILNS1_3genE0ELNS1_11target_archE4294967295ELNS1_3gpuE0ELNS1_3repE0EEENS1_30default_config_static_selectorELNS0_4arch9wavefront6targetE1EEEvT1_
; %bb.0:
	s_endpgm
	.section	.rodata,"a",@progbits
	.p2align	6, 0x0
	.amdhsa_kernel _ZN7rocprim17ROCPRIM_400000_NS6detail17trampoline_kernelINS0_14default_configENS1_25partition_config_selectorILNS1_17partition_subalgoE8ElNS0_10empty_typeEbEEZZNS1_14partition_implILS5_8ELb0ES3_jPlPS6_PKS6_NS0_5tupleIJS9_S6_EEENSD_IJSA_SA_EEENS0_18inequality_wrapperIZN2at6native12_GLOBAL__N_124unique_dim_cuda_templateIlEESt5tupleIJNSH_6TensorESM_SM_EERKSM_lbbbEUlllE0_EEPmJS6_EEE10hipError_tPvRmT3_T4_T5_T6_T7_T9_mT8_P12ihipStream_tbDpT10_ENKUlT_T0_E_clISt17integral_constantIbLb1EES1B_IbLb0EEEEDaS17_S18_EUlS17_E_NS1_11comp_targetILNS1_3genE0ELNS1_11target_archE4294967295ELNS1_3gpuE0ELNS1_3repE0EEENS1_30default_config_static_selectorELNS0_4arch9wavefront6targetE1EEEvT1_
		.amdhsa_group_segment_fixed_size 0
		.amdhsa_private_segment_fixed_size 0
		.amdhsa_kernarg_size 120
		.amdhsa_user_sgpr_count 2
		.amdhsa_user_sgpr_dispatch_ptr 0
		.amdhsa_user_sgpr_queue_ptr 0
		.amdhsa_user_sgpr_kernarg_segment_ptr 1
		.amdhsa_user_sgpr_dispatch_id 0
		.amdhsa_user_sgpr_kernarg_preload_length 0
		.amdhsa_user_sgpr_kernarg_preload_offset 0
		.amdhsa_user_sgpr_private_segment_size 0
		.amdhsa_uses_dynamic_stack 0
		.amdhsa_enable_private_segment 0
		.amdhsa_system_sgpr_workgroup_id_x 1
		.amdhsa_system_sgpr_workgroup_id_y 0
		.amdhsa_system_sgpr_workgroup_id_z 0
		.amdhsa_system_sgpr_workgroup_info 0
		.amdhsa_system_vgpr_workitem_id 0
		.amdhsa_next_free_vgpr 1
		.amdhsa_next_free_sgpr 0
		.amdhsa_accum_offset 4
		.amdhsa_reserve_vcc 0
		.amdhsa_float_round_mode_32 0
		.amdhsa_float_round_mode_16_64 0
		.amdhsa_float_denorm_mode_32 3
		.amdhsa_float_denorm_mode_16_64 3
		.amdhsa_dx10_clamp 1
		.amdhsa_ieee_mode 1
		.amdhsa_fp16_overflow 0
		.amdhsa_tg_split 0
		.amdhsa_exception_fp_ieee_invalid_op 0
		.amdhsa_exception_fp_denorm_src 0
		.amdhsa_exception_fp_ieee_div_zero 0
		.amdhsa_exception_fp_ieee_overflow 0
		.amdhsa_exception_fp_ieee_underflow 0
		.amdhsa_exception_fp_ieee_inexact 0
		.amdhsa_exception_int_div_zero 0
	.end_amdhsa_kernel
	.section	.text._ZN7rocprim17ROCPRIM_400000_NS6detail17trampoline_kernelINS0_14default_configENS1_25partition_config_selectorILNS1_17partition_subalgoE8ElNS0_10empty_typeEbEEZZNS1_14partition_implILS5_8ELb0ES3_jPlPS6_PKS6_NS0_5tupleIJS9_S6_EEENSD_IJSA_SA_EEENS0_18inequality_wrapperIZN2at6native12_GLOBAL__N_124unique_dim_cuda_templateIlEESt5tupleIJNSH_6TensorESM_SM_EERKSM_lbbbEUlllE0_EEPmJS6_EEE10hipError_tPvRmT3_T4_T5_T6_T7_T9_mT8_P12ihipStream_tbDpT10_ENKUlT_T0_E_clISt17integral_constantIbLb1EES1B_IbLb0EEEEDaS17_S18_EUlS17_E_NS1_11comp_targetILNS1_3genE0ELNS1_11target_archE4294967295ELNS1_3gpuE0ELNS1_3repE0EEENS1_30default_config_static_selectorELNS0_4arch9wavefront6targetE1EEEvT1_,"axG",@progbits,_ZN7rocprim17ROCPRIM_400000_NS6detail17trampoline_kernelINS0_14default_configENS1_25partition_config_selectorILNS1_17partition_subalgoE8ElNS0_10empty_typeEbEEZZNS1_14partition_implILS5_8ELb0ES3_jPlPS6_PKS6_NS0_5tupleIJS9_S6_EEENSD_IJSA_SA_EEENS0_18inequality_wrapperIZN2at6native12_GLOBAL__N_124unique_dim_cuda_templateIlEESt5tupleIJNSH_6TensorESM_SM_EERKSM_lbbbEUlllE0_EEPmJS6_EEE10hipError_tPvRmT3_T4_T5_T6_T7_T9_mT8_P12ihipStream_tbDpT10_ENKUlT_T0_E_clISt17integral_constantIbLb1EES1B_IbLb0EEEEDaS17_S18_EUlS17_E_NS1_11comp_targetILNS1_3genE0ELNS1_11target_archE4294967295ELNS1_3gpuE0ELNS1_3repE0EEENS1_30default_config_static_selectorELNS0_4arch9wavefront6targetE1EEEvT1_,comdat
.Lfunc_end579:
	.size	_ZN7rocprim17ROCPRIM_400000_NS6detail17trampoline_kernelINS0_14default_configENS1_25partition_config_selectorILNS1_17partition_subalgoE8ElNS0_10empty_typeEbEEZZNS1_14partition_implILS5_8ELb0ES3_jPlPS6_PKS6_NS0_5tupleIJS9_S6_EEENSD_IJSA_SA_EEENS0_18inequality_wrapperIZN2at6native12_GLOBAL__N_124unique_dim_cuda_templateIlEESt5tupleIJNSH_6TensorESM_SM_EERKSM_lbbbEUlllE0_EEPmJS6_EEE10hipError_tPvRmT3_T4_T5_T6_T7_T9_mT8_P12ihipStream_tbDpT10_ENKUlT_T0_E_clISt17integral_constantIbLb1EES1B_IbLb0EEEEDaS17_S18_EUlS17_E_NS1_11comp_targetILNS1_3genE0ELNS1_11target_archE4294967295ELNS1_3gpuE0ELNS1_3repE0EEENS1_30default_config_static_selectorELNS0_4arch9wavefront6targetE1EEEvT1_, .Lfunc_end579-_ZN7rocprim17ROCPRIM_400000_NS6detail17trampoline_kernelINS0_14default_configENS1_25partition_config_selectorILNS1_17partition_subalgoE8ElNS0_10empty_typeEbEEZZNS1_14partition_implILS5_8ELb0ES3_jPlPS6_PKS6_NS0_5tupleIJS9_S6_EEENSD_IJSA_SA_EEENS0_18inequality_wrapperIZN2at6native12_GLOBAL__N_124unique_dim_cuda_templateIlEESt5tupleIJNSH_6TensorESM_SM_EERKSM_lbbbEUlllE0_EEPmJS6_EEE10hipError_tPvRmT3_T4_T5_T6_T7_T9_mT8_P12ihipStream_tbDpT10_ENKUlT_T0_E_clISt17integral_constantIbLb1EES1B_IbLb0EEEEDaS17_S18_EUlS17_E_NS1_11comp_targetILNS1_3genE0ELNS1_11target_archE4294967295ELNS1_3gpuE0ELNS1_3repE0EEENS1_30default_config_static_selectorELNS0_4arch9wavefront6targetE1EEEvT1_
                                        ; -- End function
	.set _ZN7rocprim17ROCPRIM_400000_NS6detail17trampoline_kernelINS0_14default_configENS1_25partition_config_selectorILNS1_17partition_subalgoE8ElNS0_10empty_typeEbEEZZNS1_14partition_implILS5_8ELb0ES3_jPlPS6_PKS6_NS0_5tupleIJS9_S6_EEENSD_IJSA_SA_EEENS0_18inequality_wrapperIZN2at6native12_GLOBAL__N_124unique_dim_cuda_templateIlEESt5tupleIJNSH_6TensorESM_SM_EERKSM_lbbbEUlllE0_EEPmJS6_EEE10hipError_tPvRmT3_T4_T5_T6_T7_T9_mT8_P12ihipStream_tbDpT10_ENKUlT_T0_E_clISt17integral_constantIbLb1EES1B_IbLb0EEEEDaS17_S18_EUlS17_E_NS1_11comp_targetILNS1_3genE0ELNS1_11target_archE4294967295ELNS1_3gpuE0ELNS1_3repE0EEENS1_30default_config_static_selectorELNS0_4arch9wavefront6targetE1EEEvT1_.num_vgpr, 0
	.set _ZN7rocprim17ROCPRIM_400000_NS6detail17trampoline_kernelINS0_14default_configENS1_25partition_config_selectorILNS1_17partition_subalgoE8ElNS0_10empty_typeEbEEZZNS1_14partition_implILS5_8ELb0ES3_jPlPS6_PKS6_NS0_5tupleIJS9_S6_EEENSD_IJSA_SA_EEENS0_18inequality_wrapperIZN2at6native12_GLOBAL__N_124unique_dim_cuda_templateIlEESt5tupleIJNSH_6TensorESM_SM_EERKSM_lbbbEUlllE0_EEPmJS6_EEE10hipError_tPvRmT3_T4_T5_T6_T7_T9_mT8_P12ihipStream_tbDpT10_ENKUlT_T0_E_clISt17integral_constantIbLb1EES1B_IbLb0EEEEDaS17_S18_EUlS17_E_NS1_11comp_targetILNS1_3genE0ELNS1_11target_archE4294967295ELNS1_3gpuE0ELNS1_3repE0EEENS1_30default_config_static_selectorELNS0_4arch9wavefront6targetE1EEEvT1_.num_agpr, 0
	.set _ZN7rocprim17ROCPRIM_400000_NS6detail17trampoline_kernelINS0_14default_configENS1_25partition_config_selectorILNS1_17partition_subalgoE8ElNS0_10empty_typeEbEEZZNS1_14partition_implILS5_8ELb0ES3_jPlPS6_PKS6_NS0_5tupleIJS9_S6_EEENSD_IJSA_SA_EEENS0_18inequality_wrapperIZN2at6native12_GLOBAL__N_124unique_dim_cuda_templateIlEESt5tupleIJNSH_6TensorESM_SM_EERKSM_lbbbEUlllE0_EEPmJS6_EEE10hipError_tPvRmT3_T4_T5_T6_T7_T9_mT8_P12ihipStream_tbDpT10_ENKUlT_T0_E_clISt17integral_constantIbLb1EES1B_IbLb0EEEEDaS17_S18_EUlS17_E_NS1_11comp_targetILNS1_3genE0ELNS1_11target_archE4294967295ELNS1_3gpuE0ELNS1_3repE0EEENS1_30default_config_static_selectorELNS0_4arch9wavefront6targetE1EEEvT1_.numbered_sgpr, 0
	.set _ZN7rocprim17ROCPRIM_400000_NS6detail17trampoline_kernelINS0_14default_configENS1_25partition_config_selectorILNS1_17partition_subalgoE8ElNS0_10empty_typeEbEEZZNS1_14partition_implILS5_8ELb0ES3_jPlPS6_PKS6_NS0_5tupleIJS9_S6_EEENSD_IJSA_SA_EEENS0_18inequality_wrapperIZN2at6native12_GLOBAL__N_124unique_dim_cuda_templateIlEESt5tupleIJNSH_6TensorESM_SM_EERKSM_lbbbEUlllE0_EEPmJS6_EEE10hipError_tPvRmT3_T4_T5_T6_T7_T9_mT8_P12ihipStream_tbDpT10_ENKUlT_T0_E_clISt17integral_constantIbLb1EES1B_IbLb0EEEEDaS17_S18_EUlS17_E_NS1_11comp_targetILNS1_3genE0ELNS1_11target_archE4294967295ELNS1_3gpuE0ELNS1_3repE0EEENS1_30default_config_static_selectorELNS0_4arch9wavefront6targetE1EEEvT1_.num_named_barrier, 0
	.set _ZN7rocprim17ROCPRIM_400000_NS6detail17trampoline_kernelINS0_14default_configENS1_25partition_config_selectorILNS1_17partition_subalgoE8ElNS0_10empty_typeEbEEZZNS1_14partition_implILS5_8ELb0ES3_jPlPS6_PKS6_NS0_5tupleIJS9_S6_EEENSD_IJSA_SA_EEENS0_18inequality_wrapperIZN2at6native12_GLOBAL__N_124unique_dim_cuda_templateIlEESt5tupleIJNSH_6TensorESM_SM_EERKSM_lbbbEUlllE0_EEPmJS6_EEE10hipError_tPvRmT3_T4_T5_T6_T7_T9_mT8_P12ihipStream_tbDpT10_ENKUlT_T0_E_clISt17integral_constantIbLb1EES1B_IbLb0EEEEDaS17_S18_EUlS17_E_NS1_11comp_targetILNS1_3genE0ELNS1_11target_archE4294967295ELNS1_3gpuE0ELNS1_3repE0EEENS1_30default_config_static_selectorELNS0_4arch9wavefront6targetE1EEEvT1_.private_seg_size, 0
	.set _ZN7rocprim17ROCPRIM_400000_NS6detail17trampoline_kernelINS0_14default_configENS1_25partition_config_selectorILNS1_17partition_subalgoE8ElNS0_10empty_typeEbEEZZNS1_14partition_implILS5_8ELb0ES3_jPlPS6_PKS6_NS0_5tupleIJS9_S6_EEENSD_IJSA_SA_EEENS0_18inequality_wrapperIZN2at6native12_GLOBAL__N_124unique_dim_cuda_templateIlEESt5tupleIJNSH_6TensorESM_SM_EERKSM_lbbbEUlllE0_EEPmJS6_EEE10hipError_tPvRmT3_T4_T5_T6_T7_T9_mT8_P12ihipStream_tbDpT10_ENKUlT_T0_E_clISt17integral_constantIbLb1EES1B_IbLb0EEEEDaS17_S18_EUlS17_E_NS1_11comp_targetILNS1_3genE0ELNS1_11target_archE4294967295ELNS1_3gpuE0ELNS1_3repE0EEENS1_30default_config_static_selectorELNS0_4arch9wavefront6targetE1EEEvT1_.uses_vcc, 0
	.set _ZN7rocprim17ROCPRIM_400000_NS6detail17trampoline_kernelINS0_14default_configENS1_25partition_config_selectorILNS1_17partition_subalgoE8ElNS0_10empty_typeEbEEZZNS1_14partition_implILS5_8ELb0ES3_jPlPS6_PKS6_NS0_5tupleIJS9_S6_EEENSD_IJSA_SA_EEENS0_18inequality_wrapperIZN2at6native12_GLOBAL__N_124unique_dim_cuda_templateIlEESt5tupleIJNSH_6TensorESM_SM_EERKSM_lbbbEUlllE0_EEPmJS6_EEE10hipError_tPvRmT3_T4_T5_T6_T7_T9_mT8_P12ihipStream_tbDpT10_ENKUlT_T0_E_clISt17integral_constantIbLb1EES1B_IbLb0EEEEDaS17_S18_EUlS17_E_NS1_11comp_targetILNS1_3genE0ELNS1_11target_archE4294967295ELNS1_3gpuE0ELNS1_3repE0EEENS1_30default_config_static_selectorELNS0_4arch9wavefront6targetE1EEEvT1_.uses_flat_scratch, 0
	.set _ZN7rocprim17ROCPRIM_400000_NS6detail17trampoline_kernelINS0_14default_configENS1_25partition_config_selectorILNS1_17partition_subalgoE8ElNS0_10empty_typeEbEEZZNS1_14partition_implILS5_8ELb0ES3_jPlPS6_PKS6_NS0_5tupleIJS9_S6_EEENSD_IJSA_SA_EEENS0_18inequality_wrapperIZN2at6native12_GLOBAL__N_124unique_dim_cuda_templateIlEESt5tupleIJNSH_6TensorESM_SM_EERKSM_lbbbEUlllE0_EEPmJS6_EEE10hipError_tPvRmT3_T4_T5_T6_T7_T9_mT8_P12ihipStream_tbDpT10_ENKUlT_T0_E_clISt17integral_constantIbLb1EES1B_IbLb0EEEEDaS17_S18_EUlS17_E_NS1_11comp_targetILNS1_3genE0ELNS1_11target_archE4294967295ELNS1_3gpuE0ELNS1_3repE0EEENS1_30default_config_static_selectorELNS0_4arch9wavefront6targetE1EEEvT1_.has_dyn_sized_stack, 0
	.set _ZN7rocprim17ROCPRIM_400000_NS6detail17trampoline_kernelINS0_14default_configENS1_25partition_config_selectorILNS1_17partition_subalgoE8ElNS0_10empty_typeEbEEZZNS1_14partition_implILS5_8ELb0ES3_jPlPS6_PKS6_NS0_5tupleIJS9_S6_EEENSD_IJSA_SA_EEENS0_18inequality_wrapperIZN2at6native12_GLOBAL__N_124unique_dim_cuda_templateIlEESt5tupleIJNSH_6TensorESM_SM_EERKSM_lbbbEUlllE0_EEPmJS6_EEE10hipError_tPvRmT3_T4_T5_T6_T7_T9_mT8_P12ihipStream_tbDpT10_ENKUlT_T0_E_clISt17integral_constantIbLb1EES1B_IbLb0EEEEDaS17_S18_EUlS17_E_NS1_11comp_targetILNS1_3genE0ELNS1_11target_archE4294967295ELNS1_3gpuE0ELNS1_3repE0EEENS1_30default_config_static_selectorELNS0_4arch9wavefront6targetE1EEEvT1_.has_recursion, 0
	.set _ZN7rocprim17ROCPRIM_400000_NS6detail17trampoline_kernelINS0_14default_configENS1_25partition_config_selectorILNS1_17partition_subalgoE8ElNS0_10empty_typeEbEEZZNS1_14partition_implILS5_8ELb0ES3_jPlPS6_PKS6_NS0_5tupleIJS9_S6_EEENSD_IJSA_SA_EEENS0_18inequality_wrapperIZN2at6native12_GLOBAL__N_124unique_dim_cuda_templateIlEESt5tupleIJNSH_6TensorESM_SM_EERKSM_lbbbEUlllE0_EEPmJS6_EEE10hipError_tPvRmT3_T4_T5_T6_T7_T9_mT8_P12ihipStream_tbDpT10_ENKUlT_T0_E_clISt17integral_constantIbLb1EES1B_IbLb0EEEEDaS17_S18_EUlS17_E_NS1_11comp_targetILNS1_3genE0ELNS1_11target_archE4294967295ELNS1_3gpuE0ELNS1_3repE0EEENS1_30default_config_static_selectorELNS0_4arch9wavefront6targetE1EEEvT1_.has_indirect_call, 0
	.section	.AMDGPU.csdata,"",@progbits
; Kernel info:
; codeLenInByte = 4
; TotalNumSgprs: 6
; NumVgprs: 0
; NumAgprs: 0
; TotalNumVgprs: 0
; ScratchSize: 0
; MemoryBound: 0
; FloatMode: 240
; IeeeMode: 1
; LDSByteSize: 0 bytes/workgroup (compile time only)
; SGPRBlocks: 0
; VGPRBlocks: 0
; NumSGPRsForWavesPerEU: 6
; NumVGPRsForWavesPerEU: 1
; AccumOffset: 4
; Occupancy: 8
; WaveLimiterHint : 0
; COMPUTE_PGM_RSRC2:SCRATCH_EN: 0
; COMPUTE_PGM_RSRC2:USER_SGPR: 2
; COMPUTE_PGM_RSRC2:TRAP_HANDLER: 0
; COMPUTE_PGM_RSRC2:TGID_X_EN: 1
; COMPUTE_PGM_RSRC2:TGID_Y_EN: 0
; COMPUTE_PGM_RSRC2:TGID_Z_EN: 0
; COMPUTE_PGM_RSRC2:TIDIG_COMP_CNT: 0
; COMPUTE_PGM_RSRC3_GFX90A:ACCUM_OFFSET: 0
; COMPUTE_PGM_RSRC3_GFX90A:TG_SPLIT: 0
	.section	.text._ZN7rocprim17ROCPRIM_400000_NS6detail17trampoline_kernelINS0_14default_configENS1_25partition_config_selectorILNS1_17partition_subalgoE8ElNS0_10empty_typeEbEEZZNS1_14partition_implILS5_8ELb0ES3_jPlPS6_PKS6_NS0_5tupleIJS9_S6_EEENSD_IJSA_SA_EEENS0_18inequality_wrapperIZN2at6native12_GLOBAL__N_124unique_dim_cuda_templateIlEESt5tupleIJNSH_6TensorESM_SM_EERKSM_lbbbEUlllE0_EEPmJS6_EEE10hipError_tPvRmT3_T4_T5_T6_T7_T9_mT8_P12ihipStream_tbDpT10_ENKUlT_T0_E_clISt17integral_constantIbLb1EES1B_IbLb0EEEEDaS17_S18_EUlS17_E_NS1_11comp_targetILNS1_3genE5ELNS1_11target_archE942ELNS1_3gpuE9ELNS1_3repE0EEENS1_30default_config_static_selectorELNS0_4arch9wavefront6targetE1EEEvT1_,"axG",@progbits,_ZN7rocprim17ROCPRIM_400000_NS6detail17trampoline_kernelINS0_14default_configENS1_25partition_config_selectorILNS1_17partition_subalgoE8ElNS0_10empty_typeEbEEZZNS1_14partition_implILS5_8ELb0ES3_jPlPS6_PKS6_NS0_5tupleIJS9_S6_EEENSD_IJSA_SA_EEENS0_18inequality_wrapperIZN2at6native12_GLOBAL__N_124unique_dim_cuda_templateIlEESt5tupleIJNSH_6TensorESM_SM_EERKSM_lbbbEUlllE0_EEPmJS6_EEE10hipError_tPvRmT3_T4_T5_T6_T7_T9_mT8_P12ihipStream_tbDpT10_ENKUlT_T0_E_clISt17integral_constantIbLb1EES1B_IbLb0EEEEDaS17_S18_EUlS17_E_NS1_11comp_targetILNS1_3genE5ELNS1_11target_archE942ELNS1_3gpuE9ELNS1_3repE0EEENS1_30default_config_static_selectorELNS0_4arch9wavefront6targetE1EEEvT1_,comdat
	.globl	_ZN7rocprim17ROCPRIM_400000_NS6detail17trampoline_kernelINS0_14default_configENS1_25partition_config_selectorILNS1_17partition_subalgoE8ElNS0_10empty_typeEbEEZZNS1_14partition_implILS5_8ELb0ES3_jPlPS6_PKS6_NS0_5tupleIJS9_S6_EEENSD_IJSA_SA_EEENS0_18inequality_wrapperIZN2at6native12_GLOBAL__N_124unique_dim_cuda_templateIlEESt5tupleIJNSH_6TensorESM_SM_EERKSM_lbbbEUlllE0_EEPmJS6_EEE10hipError_tPvRmT3_T4_T5_T6_T7_T9_mT8_P12ihipStream_tbDpT10_ENKUlT_T0_E_clISt17integral_constantIbLb1EES1B_IbLb0EEEEDaS17_S18_EUlS17_E_NS1_11comp_targetILNS1_3genE5ELNS1_11target_archE942ELNS1_3gpuE9ELNS1_3repE0EEENS1_30default_config_static_selectorELNS0_4arch9wavefront6targetE1EEEvT1_ ; -- Begin function _ZN7rocprim17ROCPRIM_400000_NS6detail17trampoline_kernelINS0_14default_configENS1_25partition_config_selectorILNS1_17partition_subalgoE8ElNS0_10empty_typeEbEEZZNS1_14partition_implILS5_8ELb0ES3_jPlPS6_PKS6_NS0_5tupleIJS9_S6_EEENSD_IJSA_SA_EEENS0_18inequality_wrapperIZN2at6native12_GLOBAL__N_124unique_dim_cuda_templateIlEESt5tupleIJNSH_6TensorESM_SM_EERKSM_lbbbEUlllE0_EEPmJS6_EEE10hipError_tPvRmT3_T4_T5_T6_T7_T9_mT8_P12ihipStream_tbDpT10_ENKUlT_T0_E_clISt17integral_constantIbLb1EES1B_IbLb0EEEEDaS17_S18_EUlS17_E_NS1_11comp_targetILNS1_3genE5ELNS1_11target_archE942ELNS1_3gpuE9ELNS1_3repE0EEENS1_30default_config_static_selectorELNS0_4arch9wavefront6targetE1EEEvT1_
	.p2align	8
	.type	_ZN7rocprim17ROCPRIM_400000_NS6detail17trampoline_kernelINS0_14default_configENS1_25partition_config_selectorILNS1_17partition_subalgoE8ElNS0_10empty_typeEbEEZZNS1_14partition_implILS5_8ELb0ES3_jPlPS6_PKS6_NS0_5tupleIJS9_S6_EEENSD_IJSA_SA_EEENS0_18inequality_wrapperIZN2at6native12_GLOBAL__N_124unique_dim_cuda_templateIlEESt5tupleIJNSH_6TensorESM_SM_EERKSM_lbbbEUlllE0_EEPmJS6_EEE10hipError_tPvRmT3_T4_T5_T6_T7_T9_mT8_P12ihipStream_tbDpT10_ENKUlT_T0_E_clISt17integral_constantIbLb1EES1B_IbLb0EEEEDaS17_S18_EUlS17_E_NS1_11comp_targetILNS1_3genE5ELNS1_11target_archE942ELNS1_3gpuE9ELNS1_3repE0EEENS1_30default_config_static_selectorELNS0_4arch9wavefront6targetE1EEEvT1_,@function
_ZN7rocprim17ROCPRIM_400000_NS6detail17trampoline_kernelINS0_14default_configENS1_25partition_config_selectorILNS1_17partition_subalgoE8ElNS0_10empty_typeEbEEZZNS1_14partition_implILS5_8ELb0ES3_jPlPS6_PKS6_NS0_5tupleIJS9_S6_EEENSD_IJSA_SA_EEENS0_18inequality_wrapperIZN2at6native12_GLOBAL__N_124unique_dim_cuda_templateIlEESt5tupleIJNSH_6TensorESM_SM_EERKSM_lbbbEUlllE0_EEPmJS6_EEE10hipError_tPvRmT3_T4_T5_T6_T7_T9_mT8_P12ihipStream_tbDpT10_ENKUlT_T0_E_clISt17integral_constantIbLb1EES1B_IbLb0EEEEDaS17_S18_EUlS17_E_NS1_11comp_targetILNS1_3genE5ELNS1_11target_archE942ELNS1_3gpuE9ELNS1_3repE0EEENS1_30default_config_static_selectorELNS0_4arch9wavefront6targetE1EEEvT1_: ; @_ZN7rocprim17ROCPRIM_400000_NS6detail17trampoline_kernelINS0_14default_configENS1_25partition_config_selectorILNS1_17partition_subalgoE8ElNS0_10empty_typeEbEEZZNS1_14partition_implILS5_8ELb0ES3_jPlPS6_PKS6_NS0_5tupleIJS9_S6_EEENSD_IJSA_SA_EEENS0_18inequality_wrapperIZN2at6native12_GLOBAL__N_124unique_dim_cuda_templateIlEESt5tupleIJNSH_6TensorESM_SM_EERKSM_lbbbEUlllE0_EEPmJS6_EEE10hipError_tPvRmT3_T4_T5_T6_T7_T9_mT8_P12ihipStream_tbDpT10_ENKUlT_T0_E_clISt17integral_constantIbLb1EES1B_IbLb0EEEEDaS17_S18_EUlS17_E_NS1_11comp_targetILNS1_3genE5ELNS1_11target_archE942ELNS1_3gpuE9ELNS1_3repE0EEENS1_30default_config_static_selectorELNS0_4arch9wavefront6targetE1EEEvT1_
; %bb.0:
	.section	.rodata,"a",@progbits
	.p2align	6, 0x0
	.amdhsa_kernel _ZN7rocprim17ROCPRIM_400000_NS6detail17trampoline_kernelINS0_14default_configENS1_25partition_config_selectorILNS1_17partition_subalgoE8ElNS0_10empty_typeEbEEZZNS1_14partition_implILS5_8ELb0ES3_jPlPS6_PKS6_NS0_5tupleIJS9_S6_EEENSD_IJSA_SA_EEENS0_18inequality_wrapperIZN2at6native12_GLOBAL__N_124unique_dim_cuda_templateIlEESt5tupleIJNSH_6TensorESM_SM_EERKSM_lbbbEUlllE0_EEPmJS6_EEE10hipError_tPvRmT3_T4_T5_T6_T7_T9_mT8_P12ihipStream_tbDpT10_ENKUlT_T0_E_clISt17integral_constantIbLb1EES1B_IbLb0EEEEDaS17_S18_EUlS17_E_NS1_11comp_targetILNS1_3genE5ELNS1_11target_archE942ELNS1_3gpuE9ELNS1_3repE0EEENS1_30default_config_static_selectorELNS0_4arch9wavefront6targetE1EEEvT1_
		.amdhsa_group_segment_fixed_size 0
		.amdhsa_private_segment_fixed_size 0
		.amdhsa_kernarg_size 120
		.amdhsa_user_sgpr_count 2
		.amdhsa_user_sgpr_dispatch_ptr 0
		.amdhsa_user_sgpr_queue_ptr 0
		.amdhsa_user_sgpr_kernarg_segment_ptr 1
		.amdhsa_user_sgpr_dispatch_id 0
		.amdhsa_user_sgpr_kernarg_preload_length 0
		.amdhsa_user_sgpr_kernarg_preload_offset 0
		.amdhsa_user_sgpr_private_segment_size 0
		.amdhsa_uses_dynamic_stack 0
		.amdhsa_enable_private_segment 0
		.amdhsa_system_sgpr_workgroup_id_x 1
		.amdhsa_system_sgpr_workgroup_id_y 0
		.amdhsa_system_sgpr_workgroup_id_z 0
		.amdhsa_system_sgpr_workgroup_info 0
		.amdhsa_system_vgpr_workitem_id 0
		.amdhsa_next_free_vgpr 1
		.amdhsa_next_free_sgpr 0
		.amdhsa_accum_offset 4
		.amdhsa_reserve_vcc 0
		.amdhsa_float_round_mode_32 0
		.amdhsa_float_round_mode_16_64 0
		.amdhsa_float_denorm_mode_32 3
		.amdhsa_float_denorm_mode_16_64 3
		.amdhsa_dx10_clamp 1
		.amdhsa_ieee_mode 1
		.amdhsa_fp16_overflow 0
		.amdhsa_tg_split 0
		.amdhsa_exception_fp_ieee_invalid_op 0
		.amdhsa_exception_fp_denorm_src 0
		.amdhsa_exception_fp_ieee_div_zero 0
		.amdhsa_exception_fp_ieee_overflow 0
		.amdhsa_exception_fp_ieee_underflow 0
		.amdhsa_exception_fp_ieee_inexact 0
		.amdhsa_exception_int_div_zero 0
	.end_amdhsa_kernel
	.section	.text._ZN7rocprim17ROCPRIM_400000_NS6detail17trampoline_kernelINS0_14default_configENS1_25partition_config_selectorILNS1_17partition_subalgoE8ElNS0_10empty_typeEbEEZZNS1_14partition_implILS5_8ELb0ES3_jPlPS6_PKS6_NS0_5tupleIJS9_S6_EEENSD_IJSA_SA_EEENS0_18inequality_wrapperIZN2at6native12_GLOBAL__N_124unique_dim_cuda_templateIlEESt5tupleIJNSH_6TensorESM_SM_EERKSM_lbbbEUlllE0_EEPmJS6_EEE10hipError_tPvRmT3_T4_T5_T6_T7_T9_mT8_P12ihipStream_tbDpT10_ENKUlT_T0_E_clISt17integral_constantIbLb1EES1B_IbLb0EEEEDaS17_S18_EUlS17_E_NS1_11comp_targetILNS1_3genE5ELNS1_11target_archE942ELNS1_3gpuE9ELNS1_3repE0EEENS1_30default_config_static_selectorELNS0_4arch9wavefront6targetE1EEEvT1_,"axG",@progbits,_ZN7rocprim17ROCPRIM_400000_NS6detail17trampoline_kernelINS0_14default_configENS1_25partition_config_selectorILNS1_17partition_subalgoE8ElNS0_10empty_typeEbEEZZNS1_14partition_implILS5_8ELb0ES3_jPlPS6_PKS6_NS0_5tupleIJS9_S6_EEENSD_IJSA_SA_EEENS0_18inequality_wrapperIZN2at6native12_GLOBAL__N_124unique_dim_cuda_templateIlEESt5tupleIJNSH_6TensorESM_SM_EERKSM_lbbbEUlllE0_EEPmJS6_EEE10hipError_tPvRmT3_T4_T5_T6_T7_T9_mT8_P12ihipStream_tbDpT10_ENKUlT_T0_E_clISt17integral_constantIbLb1EES1B_IbLb0EEEEDaS17_S18_EUlS17_E_NS1_11comp_targetILNS1_3genE5ELNS1_11target_archE942ELNS1_3gpuE9ELNS1_3repE0EEENS1_30default_config_static_selectorELNS0_4arch9wavefront6targetE1EEEvT1_,comdat
.Lfunc_end580:
	.size	_ZN7rocprim17ROCPRIM_400000_NS6detail17trampoline_kernelINS0_14default_configENS1_25partition_config_selectorILNS1_17partition_subalgoE8ElNS0_10empty_typeEbEEZZNS1_14partition_implILS5_8ELb0ES3_jPlPS6_PKS6_NS0_5tupleIJS9_S6_EEENSD_IJSA_SA_EEENS0_18inequality_wrapperIZN2at6native12_GLOBAL__N_124unique_dim_cuda_templateIlEESt5tupleIJNSH_6TensorESM_SM_EERKSM_lbbbEUlllE0_EEPmJS6_EEE10hipError_tPvRmT3_T4_T5_T6_T7_T9_mT8_P12ihipStream_tbDpT10_ENKUlT_T0_E_clISt17integral_constantIbLb1EES1B_IbLb0EEEEDaS17_S18_EUlS17_E_NS1_11comp_targetILNS1_3genE5ELNS1_11target_archE942ELNS1_3gpuE9ELNS1_3repE0EEENS1_30default_config_static_selectorELNS0_4arch9wavefront6targetE1EEEvT1_, .Lfunc_end580-_ZN7rocprim17ROCPRIM_400000_NS6detail17trampoline_kernelINS0_14default_configENS1_25partition_config_selectorILNS1_17partition_subalgoE8ElNS0_10empty_typeEbEEZZNS1_14partition_implILS5_8ELb0ES3_jPlPS6_PKS6_NS0_5tupleIJS9_S6_EEENSD_IJSA_SA_EEENS0_18inequality_wrapperIZN2at6native12_GLOBAL__N_124unique_dim_cuda_templateIlEESt5tupleIJNSH_6TensorESM_SM_EERKSM_lbbbEUlllE0_EEPmJS6_EEE10hipError_tPvRmT3_T4_T5_T6_T7_T9_mT8_P12ihipStream_tbDpT10_ENKUlT_T0_E_clISt17integral_constantIbLb1EES1B_IbLb0EEEEDaS17_S18_EUlS17_E_NS1_11comp_targetILNS1_3genE5ELNS1_11target_archE942ELNS1_3gpuE9ELNS1_3repE0EEENS1_30default_config_static_selectorELNS0_4arch9wavefront6targetE1EEEvT1_
                                        ; -- End function
	.set _ZN7rocprim17ROCPRIM_400000_NS6detail17trampoline_kernelINS0_14default_configENS1_25partition_config_selectorILNS1_17partition_subalgoE8ElNS0_10empty_typeEbEEZZNS1_14partition_implILS5_8ELb0ES3_jPlPS6_PKS6_NS0_5tupleIJS9_S6_EEENSD_IJSA_SA_EEENS0_18inequality_wrapperIZN2at6native12_GLOBAL__N_124unique_dim_cuda_templateIlEESt5tupleIJNSH_6TensorESM_SM_EERKSM_lbbbEUlllE0_EEPmJS6_EEE10hipError_tPvRmT3_T4_T5_T6_T7_T9_mT8_P12ihipStream_tbDpT10_ENKUlT_T0_E_clISt17integral_constantIbLb1EES1B_IbLb0EEEEDaS17_S18_EUlS17_E_NS1_11comp_targetILNS1_3genE5ELNS1_11target_archE942ELNS1_3gpuE9ELNS1_3repE0EEENS1_30default_config_static_selectorELNS0_4arch9wavefront6targetE1EEEvT1_.num_vgpr, 0
	.set _ZN7rocprim17ROCPRIM_400000_NS6detail17trampoline_kernelINS0_14default_configENS1_25partition_config_selectorILNS1_17partition_subalgoE8ElNS0_10empty_typeEbEEZZNS1_14partition_implILS5_8ELb0ES3_jPlPS6_PKS6_NS0_5tupleIJS9_S6_EEENSD_IJSA_SA_EEENS0_18inequality_wrapperIZN2at6native12_GLOBAL__N_124unique_dim_cuda_templateIlEESt5tupleIJNSH_6TensorESM_SM_EERKSM_lbbbEUlllE0_EEPmJS6_EEE10hipError_tPvRmT3_T4_T5_T6_T7_T9_mT8_P12ihipStream_tbDpT10_ENKUlT_T0_E_clISt17integral_constantIbLb1EES1B_IbLb0EEEEDaS17_S18_EUlS17_E_NS1_11comp_targetILNS1_3genE5ELNS1_11target_archE942ELNS1_3gpuE9ELNS1_3repE0EEENS1_30default_config_static_selectorELNS0_4arch9wavefront6targetE1EEEvT1_.num_agpr, 0
	.set _ZN7rocprim17ROCPRIM_400000_NS6detail17trampoline_kernelINS0_14default_configENS1_25partition_config_selectorILNS1_17partition_subalgoE8ElNS0_10empty_typeEbEEZZNS1_14partition_implILS5_8ELb0ES3_jPlPS6_PKS6_NS0_5tupleIJS9_S6_EEENSD_IJSA_SA_EEENS0_18inequality_wrapperIZN2at6native12_GLOBAL__N_124unique_dim_cuda_templateIlEESt5tupleIJNSH_6TensorESM_SM_EERKSM_lbbbEUlllE0_EEPmJS6_EEE10hipError_tPvRmT3_T4_T5_T6_T7_T9_mT8_P12ihipStream_tbDpT10_ENKUlT_T0_E_clISt17integral_constantIbLb1EES1B_IbLb0EEEEDaS17_S18_EUlS17_E_NS1_11comp_targetILNS1_3genE5ELNS1_11target_archE942ELNS1_3gpuE9ELNS1_3repE0EEENS1_30default_config_static_selectorELNS0_4arch9wavefront6targetE1EEEvT1_.numbered_sgpr, 0
	.set _ZN7rocprim17ROCPRIM_400000_NS6detail17trampoline_kernelINS0_14default_configENS1_25partition_config_selectorILNS1_17partition_subalgoE8ElNS0_10empty_typeEbEEZZNS1_14partition_implILS5_8ELb0ES3_jPlPS6_PKS6_NS0_5tupleIJS9_S6_EEENSD_IJSA_SA_EEENS0_18inequality_wrapperIZN2at6native12_GLOBAL__N_124unique_dim_cuda_templateIlEESt5tupleIJNSH_6TensorESM_SM_EERKSM_lbbbEUlllE0_EEPmJS6_EEE10hipError_tPvRmT3_T4_T5_T6_T7_T9_mT8_P12ihipStream_tbDpT10_ENKUlT_T0_E_clISt17integral_constantIbLb1EES1B_IbLb0EEEEDaS17_S18_EUlS17_E_NS1_11comp_targetILNS1_3genE5ELNS1_11target_archE942ELNS1_3gpuE9ELNS1_3repE0EEENS1_30default_config_static_selectorELNS0_4arch9wavefront6targetE1EEEvT1_.num_named_barrier, 0
	.set _ZN7rocprim17ROCPRIM_400000_NS6detail17trampoline_kernelINS0_14default_configENS1_25partition_config_selectorILNS1_17partition_subalgoE8ElNS0_10empty_typeEbEEZZNS1_14partition_implILS5_8ELb0ES3_jPlPS6_PKS6_NS0_5tupleIJS9_S6_EEENSD_IJSA_SA_EEENS0_18inequality_wrapperIZN2at6native12_GLOBAL__N_124unique_dim_cuda_templateIlEESt5tupleIJNSH_6TensorESM_SM_EERKSM_lbbbEUlllE0_EEPmJS6_EEE10hipError_tPvRmT3_T4_T5_T6_T7_T9_mT8_P12ihipStream_tbDpT10_ENKUlT_T0_E_clISt17integral_constantIbLb1EES1B_IbLb0EEEEDaS17_S18_EUlS17_E_NS1_11comp_targetILNS1_3genE5ELNS1_11target_archE942ELNS1_3gpuE9ELNS1_3repE0EEENS1_30default_config_static_selectorELNS0_4arch9wavefront6targetE1EEEvT1_.private_seg_size, 0
	.set _ZN7rocprim17ROCPRIM_400000_NS6detail17trampoline_kernelINS0_14default_configENS1_25partition_config_selectorILNS1_17partition_subalgoE8ElNS0_10empty_typeEbEEZZNS1_14partition_implILS5_8ELb0ES3_jPlPS6_PKS6_NS0_5tupleIJS9_S6_EEENSD_IJSA_SA_EEENS0_18inequality_wrapperIZN2at6native12_GLOBAL__N_124unique_dim_cuda_templateIlEESt5tupleIJNSH_6TensorESM_SM_EERKSM_lbbbEUlllE0_EEPmJS6_EEE10hipError_tPvRmT3_T4_T5_T6_T7_T9_mT8_P12ihipStream_tbDpT10_ENKUlT_T0_E_clISt17integral_constantIbLb1EES1B_IbLb0EEEEDaS17_S18_EUlS17_E_NS1_11comp_targetILNS1_3genE5ELNS1_11target_archE942ELNS1_3gpuE9ELNS1_3repE0EEENS1_30default_config_static_selectorELNS0_4arch9wavefront6targetE1EEEvT1_.uses_vcc, 0
	.set _ZN7rocprim17ROCPRIM_400000_NS6detail17trampoline_kernelINS0_14default_configENS1_25partition_config_selectorILNS1_17partition_subalgoE8ElNS0_10empty_typeEbEEZZNS1_14partition_implILS5_8ELb0ES3_jPlPS6_PKS6_NS0_5tupleIJS9_S6_EEENSD_IJSA_SA_EEENS0_18inequality_wrapperIZN2at6native12_GLOBAL__N_124unique_dim_cuda_templateIlEESt5tupleIJNSH_6TensorESM_SM_EERKSM_lbbbEUlllE0_EEPmJS6_EEE10hipError_tPvRmT3_T4_T5_T6_T7_T9_mT8_P12ihipStream_tbDpT10_ENKUlT_T0_E_clISt17integral_constantIbLb1EES1B_IbLb0EEEEDaS17_S18_EUlS17_E_NS1_11comp_targetILNS1_3genE5ELNS1_11target_archE942ELNS1_3gpuE9ELNS1_3repE0EEENS1_30default_config_static_selectorELNS0_4arch9wavefront6targetE1EEEvT1_.uses_flat_scratch, 0
	.set _ZN7rocprim17ROCPRIM_400000_NS6detail17trampoline_kernelINS0_14default_configENS1_25partition_config_selectorILNS1_17partition_subalgoE8ElNS0_10empty_typeEbEEZZNS1_14partition_implILS5_8ELb0ES3_jPlPS6_PKS6_NS0_5tupleIJS9_S6_EEENSD_IJSA_SA_EEENS0_18inequality_wrapperIZN2at6native12_GLOBAL__N_124unique_dim_cuda_templateIlEESt5tupleIJNSH_6TensorESM_SM_EERKSM_lbbbEUlllE0_EEPmJS6_EEE10hipError_tPvRmT3_T4_T5_T6_T7_T9_mT8_P12ihipStream_tbDpT10_ENKUlT_T0_E_clISt17integral_constantIbLb1EES1B_IbLb0EEEEDaS17_S18_EUlS17_E_NS1_11comp_targetILNS1_3genE5ELNS1_11target_archE942ELNS1_3gpuE9ELNS1_3repE0EEENS1_30default_config_static_selectorELNS0_4arch9wavefront6targetE1EEEvT1_.has_dyn_sized_stack, 0
	.set _ZN7rocprim17ROCPRIM_400000_NS6detail17trampoline_kernelINS0_14default_configENS1_25partition_config_selectorILNS1_17partition_subalgoE8ElNS0_10empty_typeEbEEZZNS1_14partition_implILS5_8ELb0ES3_jPlPS6_PKS6_NS0_5tupleIJS9_S6_EEENSD_IJSA_SA_EEENS0_18inequality_wrapperIZN2at6native12_GLOBAL__N_124unique_dim_cuda_templateIlEESt5tupleIJNSH_6TensorESM_SM_EERKSM_lbbbEUlllE0_EEPmJS6_EEE10hipError_tPvRmT3_T4_T5_T6_T7_T9_mT8_P12ihipStream_tbDpT10_ENKUlT_T0_E_clISt17integral_constantIbLb1EES1B_IbLb0EEEEDaS17_S18_EUlS17_E_NS1_11comp_targetILNS1_3genE5ELNS1_11target_archE942ELNS1_3gpuE9ELNS1_3repE0EEENS1_30default_config_static_selectorELNS0_4arch9wavefront6targetE1EEEvT1_.has_recursion, 0
	.set _ZN7rocprim17ROCPRIM_400000_NS6detail17trampoline_kernelINS0_14default_configENS1_25partition_config_selectorILNS1_17partition_subalgoE8ElNS0_10empty_typeEbEEZZNS1_14partition_implILS5_8ELb0ES3_jPlPS6_PKS6_NS0_5tupleIJS9_S6_EEENSD_IJSA_SA_EEENS0_18inequality_wrapperIZN2at6native12_GLOBAL__N_124unique_dim_cuda_templateIlEESt5tupleIJNSH_6TensorESM_SM_EERKSM_lbbbEUlllE0_EEPmJS6_EEE10hipError_tPvRmT3_T4_T5_T6_T7_T9_mT8_P12ihipStream_tbDpT10_ENKUlT_T0_E_clISt17integral_constantIbLb1EES1B_IbLb0EEEEDaS17_S18_EUlS17_E_NS1_11comp_targetILNS1_3genE5ELNS1_11target_archE942ELNS1_3gpuE9ELNS1_3repE0EEENS1_30default_config_static_selectorELNS0_4arch9wavefront6targetE1EEEvT1_.has_indirect_call, 0
	.section	.AMDGPU.csdata,"",@progbits
; Kernel info:
; codeLenInByte = 0
; TotalNumSgprs: 6
; NumVgprs: 0
; NumAgprs: 0
; TotalNumVgprs: 0
; ScratchSize: 0
; MemoryBound: 0
; FloatMode: 240
; IeeeMode: 1
; LDSByteSize: 0 bytes/workgroup (compile time only)
; SGPRBlocks: 0
; VGPRBlocks: 0
; NumSGPRsForWavesPerEU: 6
; NumVGPRsForWavesPerEU: 1
; AccumOffset: 4
; Occupancy: 8
; WaveLimiterHint : 0
; COMPUTE_PGM_RSRC2:SCRATCH_EN: 0
; COMPUTE_PGM_RSRC2:USER_SGPR: 2
; COMPUTE_PGM_RSRC2:TRAP_HANDLER: 0
; COMPUTE_PGM_RSRC2:TGID_X_EN: 1
; COMPUTE_PGM_RSRC2:TGID_Y_EN: 0
; COMPUTE_PGM_RSRC2:TGID_Z_EN: 0
; COMPUTE_PGM_RSRC2:TIDIG_COMP_CNT: 0
; COMPUTE_PGM_RSRC3_GFX90A:ACCUM_OFFSET: 0
; COMPUTE_PGM_RSRC3_GFX90A:TG_SPLIT: 0
	.section	.text._ZN7rocprim17ROCPRIM_400000_NS6detail17trampoline_kernelINS0_14default_configENS1_25partition_config_selectorILNS1_17partition_subalgoE8ElNS0_10empty_typeEbEEZZNS1_14partition_implILS5_8ELb0ES3_jPlPS6_PKS6_NS0_5tupleIJS9_S6_EEENSD_IJSA_SA_EEENS0_18inequality_wrapperIZN2at6native12_GLOBAL__N_124unique_dim_cuda_templateIlEESt5tupleIJNSH_6TensorESM_SM_EERKSM_lbbbEUlllE0_EEPmJS6_EEE10hipError_tPvRmT3_T4_T5_T6_T7_T9_mT8_P12ihipStream_tbDpT10_ENKUlT_T0_E_clISt17integral_constantIbLb1EES1B_IbLb0EEEEDaS17_S18_EUlS17_E_NS1_11comp_targetILNS1_3genE4ELNS1_11target_archE910ELNS1_3gpuE8ELNS1_3repE0EEENS1_30default_config_static_selectorELNS0_4arch9wavefront6targetE1EEEvT1_,"axG",@progbits,_ZN7rocprim17ROCPRIM_400000_NS6detail17trampoline_kernelINS0_14default_configENS1_25partition_config_selectorILNS1_17partition_subalgoE8ElNS0_10empty_typeEbEEZZNS1_14partition_implILS5_8ELb0ES3_jPlPS6_PKS6_NS0_5tupleIJS9_S6_EEENSD_IJSA_SA_EEENS0_18inequality_wrapperIZN2at6native12_GLOBAL__N_124unique_dim_cuda_templateIlEESt5tupleIJNSH_6TensorESM_SM_EERKSM_lbbbEUlllE0_EEPmJS6_EEE10hipError_tPvRmT3_T4_T5_T6_T7_T9_mT8_P12ihipStream_tbDpT10_ENKUlT_T0_E_clISt17integral_constantIbLb1EES1B_IbLb0EEEEDaS17_S18_EUlS17_E_NS1_11comp_targetILNS1_3genE4ELNS1_11target_archE910ELNS1_3gpuE8ELNS1_3repE0EEENS1_30default_config_static_selectorELNS0_4arch9wavefront6targetE1EEEvT1_,comdat
	.globl	_ZN7rocprim17ROCPRIM_400000_NS6detail17trampoline_kernelINS0_14default_configENS1_25partition_config_selectorILNS1_17partition_subalgoE8ElNS0_10empty_typeEbEEZZNS1_14partition_implILS5_8ELb0ES3_jPlPS6_PKS6_NS0_5tupleIJS9_S6_EEENSD_IJSA_SA_EEENS0_18inequality_wrapperIZN2at6native12_GLOBAL__N_124unique_dim_cuda_templateIlEESt5tupleIJNSH_6TensorESM_SM_EERKSM_lbbbEUlllE0_EEPmJS6_EEE10hipError_tPvRmT3_T4_T5_T6_T7_T9_mT8_P12ihipStream_tbDpT10_ENKUlT_T0_E_clISt17integral_constantIbLb1EES1B_IbLb0EEEEDaS17_S18_EUlS17_E_NS1_11comp_targetILNS1_3genE4ELNS1_11target_archE910ELNS1_3gpuE8ELNS1_3repE0EEENS1_30default_config_static_selectorELNS0_4arch9wavefront6targetE1EEEvT1_ ; -- Begin function _ZN7rocprim17ROCPRIM_400000_NS6detail17trampoline_kernelINS0_14default_configENS1_25partition_config_selectorILNS1_17partition_subalgoE8ElNS0_10empty_typeEbEEZZNS1_14partition_implILS5_8ELb0ES3_jPlPS6_PKS6_NS0_5tupleIJS9_S6_EEENSD_IJSA_SA_EEENS0_18inequality_wrapperIZN2at6native12_GLOBAL__N_124unique_dim_cuda_templateIlEESt5tupleIJNSH_6TensorESM_SM_EERKSM_lbbbEUlllE0_EEPmJS6_EEE10hipError_tPvRmT3_T4_T5_T6_T7_T9_mT8_P12ihipStream_tbDpT10_ENKUlT_T0_E_clISt17integral_constantIbLb1EES1B_IbLb0EEEEDaS17_S18_EUlS17_E_NS1_11comp_targetILNS1_3genE4ELNS1_11target_archE910ELNS1_3gpuE8ELNS1_3repE0EEENS1_30default_config_static_selectorELNS0_4arch9wavefront6targetE1EEEvT1_
	.p2align	8
	.type	_ZN7rocprim17ROCPRIM_400000_NS6detail17trampoline_kernelINS0_14default_configENS1_25partition_config_selectorILNS1_17partition_subalgoE8ElNS0_10empty_typeEbEEZZNS1_14partition_implILS5_8ELb0ES3_jPlPS6_PKS6_NS0_5tupleIJS9_S6_EEENSD_IJSA_SA_EEENS0_18inequality_wrapperIZN2at6native12_GLOBAL__N_124unique_dim_cuda_templateIlEESt5tupleIJNSH_6TensorESM_SM_EERKSM_lbbbEUlllE0_EEPmJS6_EEE10hipError_tPvRmT3_T4_T5_T6_T7_T9_mT8_P12ihipStream_tbDpT10_ENKUlT_T0_E_clISt17integral_constantIbLb1EES1B_IbLb0EEEEDaS17_S18_EUlS17_E_NS1_11comp_targetILNS1_3genE4ELNS1_11target_archE910ELNS1_3gpuE8ELNS1_3repE0EEENS1_30default_config_static_selectorELNS0_4arch9wavefront6targetE1EEEvT1_,@function
_ZN7rocprim17ROCPRIM_400000_NS6detail17trampoline_kernelINS0_14default_configENS1_25partition_config_selectorILNS1_17partition_subalgoE8ElNS0_10empty_typeEbEEZZNS1_14partition_implILS5_8ELb0ES3_jPlPS6_PKS6_NS0_5tupleIJS9_S6_EEENSD_IJSA_SA_EEENS0_18inequality_wrapperIZN2at6native12_GLOBAL__N_124unique_dim_cuda_templateIlEESt5tupleIJNSH_6TensorESM_SM_EERKSM_lbbbEUlllE0_EEPmJS6_EEE10hipError_tPvRmT3_T4_T5_T6_T7_T9_mT8_P12ihipStream_tbDpT10_ENKUlT_T0_E_clISt17integral_constantIbLb1EES1B_IbLb0EEEEDaS17_S18_EUlS17_E_NS1_11comp_targetILNS1_3genE4ELNS1_11target_archE910ELNS1_3gpuE8ELNS1_3repE0EEENS1_30default_config_static_selectorELNS0_4arch9wavefront6targetE1EEEvT1_: ; @_ZN7rocprim17ROCPRIM_400000_NS6detail17trampoline_kernelINS0_14default_configENS1_25partition_config_selectorILNS1_17partition_subalgoE8ElNS0_10empty_typeEbEEZZNS1_14partition_implILS5_8ELb0ES3_jPlPS6_PKS6_NS0_5tupleIJS9_S6_EEENSD_IJSA_SA_EEENS0_18inequality_wrapperIZN2at6native12_GLOBAL__N_124unique_dim_cuda_templateIlEESt5tupleIJNSH_6TensorESM_SM_EERKSM_lbbbEUlllE0_EEPmJS6_EEE10hipError_tPvRmT3_T4_T5_T6_T7_T9_mT8_P12ihipStream_tbDpT10_ENKUlT_T0_E_clISt17integral_constantIbLb1EES1B_IbLb0EEEEDaS17_S18_EUlS17_E_NS1_11comp_targetILNS1_3genE4ELNS1_11target_archE910ELNS1_3gpuE8ELNS1_3repE0EEENS1_30default_config_static_selectorELNS0_4arch9wavefront6targetE1EEEvT1_
; %bb.0:
	.section	.rodata,"a",@progbits
	.p2align	6, 0x0
	.amdhsa_kernel _ZN7rocprim17ROCPRIM_400000_NS6detail17trampoline_kernelINS0_14default_configENS1_25partition_config_selectorILNS1_17partition_subalgoE8ElNS0_10empty_typeEbEEZZNS1_14partition_implILS5_8ELb0ES3_jPlPS6_PKS6_NS0_5tupleIJS9_S6_EEENSD_IJSA_SA_EEENS0_18inequality_wrapperIZN2at6native12_GLOBAL__N_124unique_dim_cuda_templateIlEESt5tupleIJNSH_6TensorESM_SM_EERKSM_lbbbEUlllE0_EEPmJS6_EEE10hipError_tPvRmT3_T4_T5_T6_T7_T9_mT8_P12ihipStream_tbDpT10_ENKUlT_T0_E_clISt17integral_constantIbLb1EES1B_IbLb0EEEEDaS17_S18_EUlS17_E_NS1_11comp_targetILNS1_3genE4ELNS1_11target_archE910ELNS1_3gpuE8ELNS1_3repE0EEENS1_30default_config_static_selectorELNS0_4arch9wavefront6targetE1EEEvT1_
		.amdhsa_group_segment_fixed_size 0
		.amdhsa_private_segment_fixed_size 0
		.amdhsa_kernarg_size 120
		.amdhsa_user_sgpr_count 2
		.amdhsa_user_sgpr_dispatch_ptr 0
		.amdhsa_user_sgpr_queue_ptr 0
		.amdhsa_user_sgpr_kernarg_segment_ptr 1
		.amdhsa_user_sgpr_dispatch_id 0
		.amdhsa_user_sgpr_kernarg_preload_length 0
		.amdhsa_user_sgpr_kernarg_preload_offset 0
		.amdhsa_user_sgpr_private_segment_size 0
		.amdhsa_uses_dynamic_stack 0
		.amdhsa_enable_private_segment 0
		.amdhsa_system_sgpr_workgroup_id_x 1
		.amdhsa_system_sgpr_workgroup_id_y 0
		.amdhsa_system_sgpr_workgroup_id_z 0
		.amdhsa_system_sgpr_workgroup_info 0
		.amdhsa_system_vgpr_workitem_id 0
		.amdhsa_next_free_vgpr 1
		.amdhsa_next_free_sgpr 0
		.amdhsa_accum_offset 4
		.amdhsa_reserve_vcc 0
		.amdhsa_float_round_mode_32 0
		.amdhsa_float_round_mode_16_64 0
		.amdhsa_float_denorm_mode_32 3
		.amdhsa_float_denorm_mode_16_64 3
		.amdhsa_dx10_clamp 1
		.amdhsa_ieee_mode 1
		.amdhsa_fp16_overflow 0
		.amdhsa_tg_split 0
		.amdhsa_exception_fp_ieee_invalid_op 0
		.amdhsa_exception_fp_denorm_src 0
		.amdhsa_exception_fp_ieee_div_zero 0
		.amdhsa_exception_fp_ieee_overflow 0
		.amdhsa_exception_fp_ieee_underflow 0
		.amdhsa_exception_fp_ieee_inexact 0
		.amdhsa_exception_int_div_zero 0
	.end_amdhsa_kernel
	.section	.text._ZN7rocprim17ROCPRIM_400000_NS6detail17trampoline_kernelINS0_14default_configENS1_25partition_config_selectorILNS1_17partition_subalgoE8ElNS0_10empty_typeEbEEZZNS1_14partition_implILS5_8ELb0ES3_jPlPS6_PKS6_NS0_5tupleIJS9_S6_EEENSD_IJSA_SA_EEENS0_18inequality_wrapperIZN2at6native12_GLOBAL__N_124unique_dim_cuda_templateIlEESt5tupleIJNSH_6TensorESM_SM_EERKSM_lbbbEUlllE0_EEPmJS6_EEE10hipError_tPvRmT3_T4_T5_T6_T7_T9_mT8_P12ihipStream_tbDpT10_ENKUlT_T0_E_clISt17integral_constantIbLb1EES1B_IbLb0EEEEDaS17_S18_EUlS17_E_NS1_11comp_targetILNS1_3genE4ELNS1_11target_archE910ELNS1_3gpuE8ELNS1_3repE0EEENS1_30default_config_static_selectorELNS0_4arch9wavefront6targetE1EEEvT1_,"axG",@progbits,_ZN7rocprim17ROCPRIM_400000_NS6detail17trampoline_kernelINS0_14default_configENS1_25partition_config_selectorILNS1_17partition_subalgoE8ElNS0_10empty_typeEbEEZZNS1_14partition_implILS5_8ELb0ES3_jPlPS6_PKS6_NS0_5tupleIJS9_S6_EEENSD_IJSA_SA_EEENS0_18inequality_wrapperIZN2at6native12_GLOBAL__N_124unique_dim_cuda_templateIlEESt5tupleIJNSH_6TensorESM_SM_EERKSM_lbbbEUlllE0_EEPmJS6_EEE10hipError_tPvRmT3_T4_T5_T6_T7_T9_mT8_P12ihipStream_tbDpT10_ENKUlT_T0_E_clISt17integral_constantIbLb1EES1B_IbLb0EEEEDaS17_S18_EUlS17_E_NS1_11comp_targetILNS1_3genE4ELNS1_11target_archE910ELNS1_3gpuE8ELNS1_3repE0EEENS1_30default_config_static_selectorELNS0_4arch9wavefront6targetE1EEEvT1_,comdat
.Lfunc_end581:
	.size	_ZN7rocprim17ROCPRIM_400000_NS6detail17trampoline_kernelINS0_14default_configENS1_25partition_config_selectorILNS1_17partition_subalgoE8ElNS0_10empty_typeEbEEZZNS1_14partition_implILS5_8ELb0ES3_jPlPS6_PKS6_NS0_5tupleIJS9_S6_EEENSD_IJSA_SA_EEENS0_18inequality_wrapperIZN2at6native12_GLOBAL__N_124unique_dim_cuda_templateIlEESt5tupleIJNSH_6TensorESM_SM_EERKSM_lbbbEUlllE0_EEPmJS6_EEE10hipError_tPvRmT3_T4_T5_T6_T7_T9_mT8_P12ihipStream_tbDpT10_ENKUlT_T0_E_clISt17integral_constantIbLb1EES1B_IbLb0EEEEDaS17_S18_EUlS17_E_NS1_11comp_targetILNS1_3genE4ELNS1_11target_archE910ELNS1_3gpuE8ELNS1_3repE0EEENS1_30default_config_static_selectorELNS0_4arch9wavefront6targetE1EEEvT1_, .Lfunc_end581-_ZN7rocprim17ROCPRIM_400000_NS6detail17trampoline_kernelINS0_14default_configENS1_25partition_config_selectorILNS1_17partition_subalgoE8ElNS0_10empty_typeEbEEZZNS1_14partition_implILS5_8ELb0ES3_jPlPS6_PKS6_NS0_5tupleIJS9_S6_EEENSD_IJSA_SA_EEENS0_18inequality_wrapperIZN2at6native12_GLOBAL__N_124unique_dim_cuda_templateIlEESt5tupleIJNSH_6TensorESM_SM_EERKSM_lbbbEUlllE0_EEPmJS6_EEE10hipError_tPvRmT3_T4_T5_T6_T7_T9_mT8_P12ihipStream_tbDpT10_ENKUlT_T0_E_clISt17integral_constantIbLb1EES1B_IbLb0EEEEDaS17_S18_EUlS17_E_NS1_11comp_targetILNS1_3genE4ELNS1_11target_archE910ELNS1_3gpuE8ELNS1_3repE0EEENS1_30default_config_static_selectorELNS0_4arch9wavefront6targetE1EEEvT1_
                                        ; -- End function
	.set _ZN7rocprim17ROCPRIM_400000_NS6detail17trampoline_kernelINS0_14default_configENS1_25partition_config_selectorILNS1_17partition_subalgoE8ElNS0_10empty_typeEbEEZZNS1_14partition_implILS5_8ELb0ES3_jPlPS6_PKS6_NS0_5tupleIJS9_S6_EEENSD_IJSA_SA_EEENS0_18inequality_wrapperIZN2at6native12_GLOBAL__N_124unique_dim_cuda_templateIlEESt5tupleIJNSH_6TensorESM_SM_EERKSM_lbbbEUlllE0_EEPmJS6_EEE10hipError_tPvRmT3_T4_T5_T6_T7_T9_mT8_P12ihipStream_tbDpT10_ENKUlT_T0_E_clISt17integral_constantIbLb1EES1B_IbLb0EEEEDaS17_S18_EUlS17_E_NS1_11comp_targetILNS1_3genE4ELNS1_11target_archE910ELNS1_3gpuE8ELNS1_3repE0EEENS1_30default_config_static_selectorELNS0_4arch9wavefront6targetE1EEEvT1_.num_vgpr, 0
	.set _ZN7rocprim17ROCPRIM_400000_NS6detail17trampoline_kernelINS0_14default_configENS1_25partition_config_selectorILNS1_17partition_subalgoE8ElNS0_10empty_typeEbEEZZNS1_14partition_implILS5_8ELb0ES3_jPlPS6_PKS6_NS0_5tupleIJS9_S6_EEENSD_IJSA_SA_EEENS0_18inequality_wrapperIZN2at6native12_GLOBAL__N_124unique_dim_cuda_templateIlEESt5tupleIJNSH_6TensorESM_SM_EERKSM_lbbbEUlllE0_EEPmJS6_EEE10hipError_tPvRmT3_T4_T5_T6_T7_T9_mT8_P12ihipStream_tbDpT10_ENKUlT_T0_E_clISt17integral_constantIbLb1EES1B_IbLb0EEEEDaS17_S18_EUlS17_E_NS1_11comp_targetILNS1_3genE4ELNS1_11target_archE910ELNS1_3gpuE8ELNS1_3repE0EEENS1_30default_config_static_selectorELNS0_4arch9wavefront6targetE1EEEvT1_.num_agpr, 0
	.set _ZN7rocprim17ROCPRIM_400000_NS6detail17trampoline_kernelINS0_14default_configENS1_25partition_config_selectorILNS1_17partition_subalgoE8ElNS0_10empty_typeEbEEZZNS1_14partition_implILS5_8ELb0ES3_jPlPS6_PKS6_NS0_5tupleIJS9_S6_EEENSD_IJSA_SA_EEENS0_18inequality_wrapperIZN2at6native12_GLOBAL__N_124unique_dim_cuda_templateIlEESt5tupleIJNSH_6TensorESM_SM_EERKSM_lbbbEUlllE0_EEPmJS6_EEE10hipError_tPvRmT3_T4_T5_T6_T7_T9_mT8_P12ihipStream_tbDpT10_ENKUlT_T0_E_clISt17integral_constantIbLb1EES1B_IbLb0EEEEDaS17_S18_EUlS17_E_NS1_11comp_targetILNS1_3genE4ELNS1_11target_archE910ELNS1_3gpuE8ELNS1_3repE0EEENS1_30default_config_static_selectorELNS0_4arch9wavefront6targetE1EEEvT1_.numbered_sgpr, 0
	.set _ZN7rocprim17ROCPRIM_400000_NS6detail17trampoline_kernelINS0_14default_configENS1_25partition_config_selectorILNS1_17partition_subalgoE8ElNS0_10empty_typeEbEEZZNS1_14partition_implILS5_8ELb0ES3_jPlPS6_PKS6_NS0_5tupleIJS9_S6_EEENSD_IJSA_SA_EEENS0_18inequality_wrapperIZN2at6native12_GLOBAL__N_124unique_dim_cuda_templateIlEESt5tupleIJNSH_6TensorESM_SM_EERKSM_lbbbEUlllE0_EEPmJS6_EEE10hipError_tPvRmT3_T4_T5_T6_T7_T9_mT8_P12ihipStream_tbDpT10_ENKUlT_T0_E_clISt17integral_constantIbLb1EES1B_IbLb0EEEEDaS17_S18_EUlS17_E_NS1_11comp_targetILNS1_3genE4ELNS1_11target_archE910ELNS1_3gpuE8ELNS1_3repE0EEENS1_30default_config_static_selectorELNS0_4arch9wavefront6targetE1EEEvT1_.num_named_barrier, 0
	.set _ZN7rocprim17ROCPRIM_400000_NS6detail17trampoline_kernelINS0_14default_configENS1_25partition_config_selectorILNS1_17partition_subalgoE8ElNS0_10empty_typeEbEEZZNS1_14partition_implILS5_8ELb0ES3_jPlPS6_PKS6_NS0_5tupleIJS9_S6_EEENSD_IJSA_SA_EEENS0_18inequality_wrapperIZN2at6native12_GLOBAL__N_124unique_dim_cuda_templateIlEESt5tupleIJNSH_6TensorESM_SM_EERKSM_lbbbEUlllE0_EEPmJS6_EEE10hipError_tPvRmT3_T4_T5_T6_T7_T9_mT8_P12ihipStream_tbDpT10_ENKUlT_T0_E_clISt17integral_constantIbLb1EES1B_IbLb0EEEEDaS17_S18_EUlS17_E_NS1_11comp_targetILNS1_3genE4ELNS1_11target_archE910ELNS1_3gpuE8ELNS1_3repE0EEENS1_30default_config_static_selectorELNS0_4arch9wavefront6targetE1EEEvT1_.private_seg_size, 0
	.set _ZN7rocprim17ROCPRIM_400000_NS6detail17trampoline_kernelINS0_14default_configENS1_25partition_config_selectorILNS1_17partition_subalgoE8ElNS0_10empty_typeEbEEZZNS1_14partition_implILS5_8ELb0ES3_jPlPS6_PKS6_NS0_5tupleIJS9_S6_EEENSD_IJSA_SA_EEENS0_18inequality_wrapperIZN2at6native12_GLOBAL__N_124unique_dim_cuda_templateIlEESt5tupleIJNSH_6TensorESM_SM_EERKSM_lbbbEUlllE0_EEPmJS6_EEE10hipError_tPvRmT3_T4_T5_T6_T7_T9_mT8_P12ihipStream_tbDpT10_ENKUlT_T0_E_clISt17integral_constantIbLb1EES1B_IbLb0EEEEDaS17_S18_EUlS17_E_NS1_11comp_targetILNS1_3genE4ELNS1_11target_archE910ELNS1_3gpuE8ELNS1_3repE0EEENS1_30default_config_static_selectorELNS0_4arch9wavefront6targetE1EEEvT1_.uses_vcc, 0
	.set _ZN7rocprim17ROCPRIM_400000_NS6detail17trampoline_kernelINS0_14default_configENS1_25partition_config_selectorILNS1_17partition_subalgoE8ElNS0_10empty_typeEbEEZZNS1_14partition_implILS5_8ELb0ES3_jPlPS6_PKS6_NS0_5tupleIJS9_S6_EEENSD_IJSA_SA_EEENS0_18inequality_wrapperIZN2at6native12_GLOBAL__N_124unique_dim_cuda_templateIlEESt5tupleIJNSH_6TensorESM_SM_EERKSM_lbbbEUlllE0_EEPmJS6_EEE10hipError_tPvRmT3_T4_T5_T6_T7_T9_mT8_P12ihipStream_tbDpT10_ENKUlT_T0_E_clISt17integral_constantIbLb1EES1B_IbLb0EEEEDaS17_S18_EUlS17_E_NS1_11comp_targetILNS1_3genE4ELNS1_11target_archE910ELNS1_3gpuE8ELNS1_3repE0EEENS1_30default_config_static_selectorELNS0_4arch9wavefront6targetE1EEEvT1_.uses_flat_scratch, 0
	.set _ZN7rocprim17ROCPRIM_400000_NS6detail17trampoline_kernelINS0_14default_configENS1_25partition_config_selectorILNS1_17partition_subalgoE8ElNS0_10empty_typeEbEEZZNS1_14partition_implILS5_8ELb0ES3_jPlPS6_PKS6_NS0_5tupleIJS9_S6_EEENSD_IJSA_SA_EEENS0_18inequality_wrapperIZN2at6native12_GLOBAL__N_124unique_dim_cuda_templateIlEESt5tupleIJNSH_6TensorESM_SM_EERKSM_lbbbEUlllE0_EEPmJS6_EEE10hipError_tPvRmT3_T4_T5_T6_T7_T9_mT8_P12ihipStream_tbDpT10_ENKUlT_T0_E_clISt17integral_constantIbLb1EES1B_IbLb0EEEEDaS17_S18_EUlS17_E_NS1_11comp_targetILNS1_3genE4ELNS1_11target_archE910ELNS1_3gpuE8ELNS1_3repE0EEENS1_30default_config_static_selectorELNS0_4arch9wavefront6targetE1EEEvT1_.has_dyn_sized_stack, 0
	.set _ZN7rocprim17ROCPRIM_400000_NS6detail17trampoline_kernelINS0_14default_configENS1_25partition_config_selectorILNS1_17partition_subalgoE8ElNS0_10empty_typeEbEEZZNS1_14partition_implILS5_8ELb0ES3_jPlPS6_PKS6_NS0_5tupleIJS9_S6_EEENSD_IJSA_SA_EEENS0_18inequality_wrapperIZN2at6native12_GLOBAL__N_124unique_dim_cuda_templateIlEESt5tupleIJNSH_6TensorESM_SM_EERKSM_lbbbEUlllE0_EEPmJS6_EEE10hipError_tPvRmT3_T4_T5_T6_T7_T9_mT8_P12ihipStream_tbDpT10_ENKUlT_T0_E_clISt17integral_constantIbLb1EES1B_IbLb0EEEEDaS17_S18_EUlS17_E_NS1_11comp_targetILNS1_3genE4ELNS1_11target_archE910ELNS1_3gpuE8ELNS1_3repE0EEENS1_30default_config_static_selectorELNS0_4arch9wavefront6targetE1EEEvT1_.has_recursion, 0
	.set _ZN7rocprim17ROCPRIM_400000_NS6detail17trampoline_kernelINS0_14default_configENS1_25partition_config_selectorILNS1_17partition_subalgoE8ElNS0_10empty_typeEbEEZZNS1_14partition_implILS5_8ELb0ES3_jPlPS6_PKS6_NS0_5tupleIJS9_S6_EEENSD_IJSA_SA_EEENS0_18inequality_wrapperIZN2at6native12_GLOBAL__N_124unique_dim_cuda_templateIlEESt5tupleIJNSH_6TensorESM_SM_EERKSM_lbbbEUlllE0_EEPmJS6_EEE10hipError_tPvRmT3_T4_T5_T6_T7_T9_mT8_P12ihipStream_tbDpT10_ENKUlT_T0_E_clISt17integral_constantIbLb1EES1B_IbLb0EEEEDaS17_S18_EUlS17_E_NS1_11comp_targetILNS1_3genE4ELNS1_11target_archE910ELNS1_3gpuE8ELNS1_3repE0EEENS1_30default_config_static_selectorELNS0_4arch9wavefront6targetE1EEEvT1_.has_indirect_call, 0
	.section	.AMDGPU.csdata,"",@progbits
; Kernel info:
; codeLenInByte = 0
; TotalNumSgprs: 6
; NumVgprs: 0
; NumAgprs: 0
; TotalNumVgprs: 0
; ScratchSize: 0
; MemoryBound: 0
; FloatMode: 240
; IeeeMode: 1
; LDSByteSize: 0 bytes/workgroup (compile time only)
; SGPRBlocks: 0
; VGPRBlocks: 0
; NumSGPRsForWavesPerEU: 6
; NumVGPRsForWavesPerEU: 1
; AccumOffset: 4
; Occupancy: 8
; WaveLimiterHint : 0
; COMPUTE_PGM_RSRC2:SCRATCH_EN: 0
; COMPUTE_PGM_RSRC2:USER_SGPR: 2
; COMPUTE_PGM_RSRC2:TRAP_HANDLER: 0
; COMPUTE_PGM_RSRC2:TGID_X_EN: 1
; COMPUTE_PGM_RSRC2:TGID_Y_EN: 0
; COMPUTE_PGM_RSRC2:TGID_Z_EN: 0
; COMPUTE_PGM_RSRC2:TIDIG_COMP_CNT: 0
; COMPUTE_PGM_RSRC3_GFX90A:ACCUM_OFFSET: 0
; COMPUTE_PGM_RSRC3_GFX90A:TG_SPLIT: 0
	.section	.text._ZN7rocprim17ROCPRIM_400000_NS6detail17trampoline_kernelINS0_14default_configENS1_25partition_config_selectorILNS1_17partition_subalgoE8ElNS0_10empty_typeEbEEZZNS1_14partition_implILS5_8ELb0ES3_jPlPS6_PKS6_NS0_5tupleIJS9_S6_EEENSD_IJSA_SA_EEENS0_18inequality_wrapperIZN2at6native12_GLOBAL__N_124unique_dim_cuda_templateIlEESt5tupleIJNSH_6TensorESM_SM_EERKSM_lbbbEUlllE0_EEPmJS6_EEE10hipError_tPvRmT3_T4_T5_T6_T7_T9_mT8_P12ihipStream_tbDpT10_ENKUlT_T0_E_clISt17integral_constantIbLb1EES1B_IbLb0EEEEDaS17_S18_EUlS17_E_NS1_11comp_targetILNS1_3genE3ELNS1_11target_archE908ELNS1_3gpuE7ELNS1_3repE0EEENS1_30default_config_static_selectorELNS0_4arch9wavefront6targetE1EEEvT1_,"axG",@progbits,_ZN7rocprim17ROCPRIM_400000_NS6detail17trampoline_kernelINS0_14default_configENS1_25partition_config_selectorILNS1_17partition_subalgoE8ElNS0_10empty_typeEbEEZZNS1_14partition_implILS5_8ELb0ES3_jPlPS6_PKS6_NS0_5tupleIJS9_S6_EEENSD_IJSA_SA_EEENS0_18inequality_wrapperIZN2at6native12_GLOBAL__N_124unique_dim_cuda_templateIlEESt5tupleIJNSH_6TensorESM_SM_EERKSM_lbbbEUlllE0_EEPmJS6_EEE10hipError_tPvRmT3_T4_T5_T6_T7_T9_mT8_P12ihipStream_tbDpT10_ENKUlT_T0_E_clISt17integral_constantIbLb1EES1B_IbLb0EEEEDaS17_S18_EUlS17_E_NS1_11comp_targetILNS1_3genE3ELNS1_11target_archE908ELNS1_3gpuE7ELNS1_3repE0EEENS1_30default_config_static_selectorELNS0_4arch9wavefront6targetE1EEEvT1_,comdat
	.globl	_ZN7rocprim17ROCPRIM_400000_NS6detail17trampoline_kernelINS0_14default_configENS1_25partition_config_selectorILNS1_17partition_subalgoE8ElNS0_10empty_typeEbEEZZNS1_14partition_implILS5_8ELb0ES3_jPlPS6_PKS6_NS0_5tupleIJS9_S6_EEENSD_IJSA_SA_EEENS0_18inequality_wrapperIZN2at6native12_GLOBAL__N_124unique_dim_cuda_templateIlEESt5tupleIJNSH_6TensorESM_SM_EERKSM_lbbbEUlllE0_EEPmJS6_EEE10hipError_tPvRmT3_T4_T5_T6_T7_T9_mT8_P12ihipStream_tbDpT10_ENKUlT_T0_E_clISt17integral_constantIbLb1EES1B_IbLb0EEEEDaS17_S18_EUlS17_E_NS1_11comp_targetILNS1_3genE3ELNS1_11target_archE908ELNS1_3gpuE7ELNS1_3repE0EEENS1_30default_config_static_selectorELNS0_4arch9wavefront6targetE1EEEvT1_ ; -- Begin function _ZN7rocprim17ROCPRIM_400000_NS6detail17trampoline_kernelINS0_14default_configENS1_25partition_config_selectorILNS1_17partition_subalgoE8ElNS0_10empty_typeEbEEZZNS1_14partition_implILS5_8ELb0ES3_jPlPS6_PKS6_NS0_5tupleIJS9_S6_EEENSD_IJSA_SA_EEENS0_18inequality_wrapperIZN2at6native12_GLOBAL__N_124unique_dim_cuda_templateIlEESt5tupleIJNSH_6TensorESM_SM_EERKSM_lbbbEUlllE0_EEPmJS6_EEE10hipError_tPvRmT3_T4_T5_T6_T7_T9_mT8_P12ihipStream_tbDpT10_ENKUlT_T0_E_clISt17integral_constantIbLb1EES1B_IbLb0EEEEDaS17_S18_EUlS17_E_NS1_11comp_targetILNS1_3genE3ELNS1_11target_archE908ELNS1_3gpuE7ELNS1_3repE0EEENS1_30default_config_static_selectorELNS0_4arch9wavefront6targetE1EEEvT1_
	.p2align	8
	.type	_ZN7rocprim17ROCPRIM_400000_NS6detail17trampoline_kernelINS0_14default_configENS1_25partition_config_selectorILNS1_17partition_subalgoE8ElNS0_10empty_typeEbEEZZNS1_14partition_implILS5_8ELb0ES3_jPlPS6_PKS6_NS0_5tupleIJS9_S6_EEENSD_IJSA_SA_EEENS0_18inequality_wrapperIZN2at6native12_GLOBAL__N_124unique_dim_cuda_templateIlEESt5tupleIJNSH_6TensorESM_SM_EERKSM_lbbbEUlllE0_EEPmJS6_EEE10hipError_tPvRmT3_T4_T5_T6_T7_T9_mT8_P12ihipStream_tbDpT10_ENKUlT_T0_E_clISt17integral_constantIbLb1EES1B_IbLb0EEEEDaS17_S18_EUlS17_E_NS1_11comp_targetILNS1_3genE3ELNS1_11target_archE908ELNS1_3gpuE7ELNS1_3repE0EEENS1_30default_config_static_selectorELNS0_4arch9wavefront6targetE1EEEvT1_,@function
_ZN7rocprim17ROCPRIM_400000_NS6detail17trampoline_kernelINS0_14default_configENS1_25partition_config_selectorILNS1_17partition_subalgoE8ElNS0_10empty_typeEbEEZZNS1_14partition_implILS5_8ELb0ES3_jPlPS6_PKS6_NS0_5tupleIJS9_S6_EEENSD_IJSA_SA_EEENS0_18inequality_wrapperIZN2at6native12_GLOBAL__N_124unique_dim_cuda_templateIlEESt5tupleIJNSH_6TensorESM_SM_EERKSM_lbbbEUlllE0_EEPmJS6_EEE10hipError_tPvRmT3_T4_T5_T6_T7_T9_mT8_P12ihipStream_tbDpT10_ENKUlT_T0_E_clISt17integral_constantIbLb1EES1B_IbLb0EEEEDaS17_S18_EUlS17_E_NS1_11comp_targetILNS1_3genE3ELNS1_11target_archE908ELNS1_3gpuE7ELNS1_3repE0EEENS1_30default_config_static_selectorELNS0_4arch9wavefront6targetE1EEEvT1_: ; @_ZN7rocprim17ROCPRIM_400000_NS6detail17trampoline_kernelINS0_14default_configENS1_25partition_config_selectorILNS1_17partition_subalgoE8ElNS0_10empty_typeEbEEZZNS1_14partition_implILS5_8ELb0ES3_jPlPS6_PKS6_NS0_5tupleIJS9_S6_EEENSD_IJSA_SA_EEENS0_18inequality_wrapperIZN2at6native12_GLOBAL__N_124unique_dim_cuda_templateIlEESt5tupleIJNSH_6TensorESM_SM_EERKSM_lbbbEUlllE0_EEPmJS6_EEE10hipError_tPvRmT3_T4_T5_T6_T7_T9_mT8_P12ihipStream_tbDpT10_ENKUlT_T0_E_clISt17integral_constantIbLb1EES1B_IbLb0EEEEDaS17_S18_EUlS17_E_NS1_11comp_targetILNS1_3genE3ELNS1_11target_archE908ELNS1_3gpuE7ELNS1_3repE0EEENS1_30default_config_static_selectorELNS0_4arch9wavefront6targetE1EEEvT1_
; %bb.0:
	.section	.rodata,"a",@progbits
	.p2align	6, 0x0
	.amdhsa_kernel _ZN7rocprim17ROCPRIM_400000_NS6detail17trampoline_kernelINS0_14default_configENS1_25partition_config_selectorILNS1_17partition_subalgoE8ElNS0_10empty_typeEbEEZZNS1_14partition_implILS5_8ELb0ES3_jPlPS6_PKS6_NS0_5tupleIJS9_S6_EEENSD_IJSA_SA_EEENS0_18inequality_wrapperIZN2at6native12_GLOBAL__N_124unique_dim_cuda_templateIlEESt5tupleIJNSH_6TensorESM_SM_EERKSM_lbbbEUlllE0_EEPmJS6_EEE10hipError_tPvRmT3_T4_T5_T6_T7_T9_mT8_P12ihipStream_tbDpT10_ENKUlT_T0_E_clISt17integral_constantIbLb1EES1B_IbLb0EEEEDaS17_S18_EUlS17_E_NS1_11comp_targetILNS1_3genE3ELNS1_11target_archE908ELNS1_3gpuE7ELNS1_3repE0EEENS1_30default_config_static_selectorELNS0_4arch9wavefront6targetE1EEEvT1_
		.amdhsa_group_segment_fixed_size 0
		.amdhsa_private_segment_fixed_size 0
		.amdhsa_kernarg_size 120
		.amdhsa_user_sgpr_count 2
		.amdhsa_user_sgpr_dispatch_ptr 0
		.amdhsa_user_sgpr_queue_ptr 0
		.amdhsa_user_sgpr_kernarg_segment_ptr 1
		.amdhsa_user_sgpr_dispatch_id 0
		.amdhsa_user_sgpr_kernarg_preload_length 0
		.amdhsa_user_sgpr_kernarg_preload_offset 0
		.amdhsa_user_sgpr_private_segment_size 0
		.amdhsa_uses_dynamic_stack 0
		.amdhsa_enable_private_segment 0
		.amdhsa_system_sgpr_workgroup_id_x 1
		.amdhsa_system_sgpr_workgroup_id_y 0
		.amdhsa_system_sgpr_workgroup_id_z 0
		.amdhsa_system_sgpr_workgroup_info 0
		.amdhsa_system_vgpr_workitem_id 0
		.amdhsa_next_free_vgpr 1
		.amdhsa_next_free_sgpr 0
		.amdhsa_accum_offset 4
		.amdhsa_reserve_vcc 0
		.amdhsa_float_round_mode_32 0
		.amdhsa_float_round_mode_16_64 0
		.amdhsa_float_denorm_mode_32 3
		.amdhsa_float_denorm_mode_16_64 3
		.amdhsa_dx10_clamp 1
		.amdhsa_ieee_mode 1
		.amdhsa_fp16_overflow 0
		.amdhsa_tg_split 0
		.amdhsa_exception_fp_ieee_invalid_op 0
		.amdhsa_exception_fp_denorm_src 0
		.amdhsa_exception_fp_ieee_div_zero 0
		.amdhsa_exception_fp_ieee_overflow 0
		.amdhsa_exception_fp_ieee_underflow 0
		.amdhsa_exception_fp_ieee_inexact 0
		.amdhsa_exception_int_div_zero 0
	.end_amdhsa_kernel
	.section	.text._ZN7rocprim17ROCPRIM_400000_NS6detail17trampoline_kernelINS0_14default_configENS1_25partition_config_selectorILNS1_17partition_subalgoE8ElNS0_10empty_typeEbEEZZNS1_14partition_implILS5_8ELb0ES3_jPlPS6_PKS6_NS0_5tupleIJS9_S6_EEENSD_IJSA_SA_EEENS0_18inequality_wrapperIZN2at6native12_GLOBAL__N_124unique_dim_cuda_templateIlEESt5tupleIJNSH_6TensorESM_SM_EERKSM_lbbbEUlllE0_EEPmJS6_EEE10hipError_tPvRmT3_T4_T5_T6_T7_T9_mT8_P12ihipStream_tbDpT10_ENKUlT_T0_E_clISt17integral_constantIbLb1EES1B_IbLb0EEEEDaS17_S18_EUlS17_E_NS1_11comp_targetILNS1_3genE3ELNS1_11target_archE908ELNS1_3gpuE7ELNS1_3repE0EEENS1_30default_config_static_selectorELNS0_4arch9wavefront6targetE1EEEvT1_,"axG",@progbits,_ZN7rocprim17ROCPRIM_400000_NS6detail17trampoline_kernelINS0_14default_configENS1_25partition_config_selectorILNS1_17partition_subalgoE8ElNS0_10empty_typeEbEEZZNS1_14partition_implILS5_8ELb0ES3_jPlPS6_PKS6_NS0_5tupleIJS9_S6_EEENSD_IJSA_SA_EEENS0_18inequality_wrapperIZN2at6native12_GLOBAL__N_124unique_dim_cuda_templateIlEESt5tupleIJNSH_6TensorESM_SM_EERKSM_lbbbEUlllE0_EEPmJS6_EEE10hipError_tPvRmT3_T4_T5_T6_T7_T9_mT8_P12ihipStream_tbDpT10_ENKUlT_T0_E_clISt17integral_constantIbLb1EES1B_IbLb0EEEEDaS17_S18_EUlS17_E_NS1_11comp_targetILNS1_3genE3ELNS1_11target_archE908ELNS1_3gpuE7ELNS1_3repE0EEENS1_30default_config_static_selectorELNS0_4arch9wavefront6targetE1EEEvT1_,comdat
.Lfunc_end582:
	.size	_ZN7rocprim17ROCPRIM_400000_NS6detail17trampoline_kernelINS0_14default_configENS1_25partition_config_selectorILNS1_17partition_subalgoE8ElNS0_10empty_typeEbEEZZNS1_14partition_implILS5_8ELb0ES3_jPlPS6_PKS6_NS0_5tupleIJS9_S6_EEENSD_IJSA_SA_EEENS0_18inequality_wrapperIZN2at6native12_GLOBAL__N_124unique_dim_cuda_templateIlEESt5tupleIJNSH_6TensorESM_SM_EERKSM_lbbbEUlllE0_EEPmJS6_EEE10hipError_tPvRmT3_T4_T5_T6_T7_T9_mT8_P12ihipStream_tbDpT10_ENKUlT_T0_E_clISt17integral_constantIbLb1EES1B_IbLb0EEEEDaS17_S18_EUlS17_E_NS1_11comp_targetILNS1_3genE3ELNS1_11target_archE908ELNS1_3gpuE7ELNS1_3repE0EEENS1_30default_config_static_selectorELNS0_4arch9wavefront6targetE1EEEvT1_, .Lfunc_end582-_ZN7rocprim17ROCPRIM_400000_NS6detail17trampoline_kernelINS0_14default_configENS1_25partition_config_selectorILNS1_17partition_subalgoE8ElNS0_10empty_typeEbEEZZNS1_14partition_implILS5_8ELb0ES3_jPlPS6_PKS6_NS0_5tupleIJS9_S6_EEENSD_IJSA_SA_EEENS0_18inequality_wrapperIZN2at6native12_GLOBAL__N_124unique_dim_cuda_templateIlEESt5tupleIJNSH_6TensorESM_SM_EERKSM_lbbbEUlllE0_EEPmJS6_EEE10hipError_tPvRmT3_T4_T5_T6_T7_T9_mT8_P12ihipStream_tbDpT10_ENKUlT_T0_E_clISt17integral_constantIbLb1EES1B_IbLb0EEEEDaS17_S18_EUlS17_E_NS1_11comp_targetILNS1_3genE3ELNS1_11target_archE908ELNS1_3gpuE7ELNS1_3repE0EEENS1_30default_config_static_selectorELNS0_4arch9wavefront6targetE1EEEvT1_
                                        ; -- End function
	.set _ZN7rocprim17ROCPRIM_400000_NS6detail17trampoline_kernelINS0_14default_configENS1_25partition_config_selectorILNS1_17partition_subalgoE8ElNS0_10empty_typeEbEEZZNS1_14partition_implILS5_8ELb0ES3_jPlPS6_PKS6_NS0_5tupleIJS9_S6_EEENSD_IJSA_SA_EEENS0_18inequality_wrapperIZN2at6native12_GLOBAL__N_124unique_dim_cuda_templateIlEESt5tupleIJNSH_6TensorESM_SM_EERKSM_lbbbEUlllE0_EEPmJS6_EEE10hipError_tPvRmT3_T4_T5_T6_T7_T9_mT8_P12ihipStream_tbDpT10_ENKUlT_T0_E_clISt17integral_constantIbLb1EES1B_IbLb0EEEEDaS17_S18_EUlS17_E_NS1_11comp_targetILNS1_3genE3ELNS1_11target_archE908ELNS1_3gpuE7ELNS1_3repE0EEENS1_30default_config_static_selectorELNS0_4arch9wavefront6targetE1EEEvT1_.num_vgpr, 0
	.set _ZN7rocprim17ROCPRIM_400000_NS6detail17trampoline_kernelINS0_14default_configENS1_25partition_config_selectorILNS1_17partition_subalgoE8ElNS0_10empty_typeEbEEZZNS1_14partition_implILS5_8ELb0ES3_jPlPS6_PKS6_NS0_5tupleIJS9_S6_EEENSD_IJSA_SA_EEENS0_18inequality_wrapperIZN2at6native12_GLOBAL__N_124unique_dim_cuda_templateIlEESt5tupleIJNSH_6TensorESM_SM_EERKSM_lbbbEUlllE0_EEPmJS6_EEE10hipError_tPvRmT3_T4_T5_T6_T7_T9_mT8_P12ihipStream_tbDpT10_ENKUlT_T0_E_clISt17integral_constantIbLb1EES1B_IbLb0EEEEDaS17_S18_EUlS17_E_NS1_11comp_targetILNS1_3genE3ELNS1_11target_archE908ELNS1_3gpuE7ELNS1_3repE0EEENS1_30default_config_static_selectorELNS0_4arch9wavefront6targetE1EEEvT1_.num_agpr, 0
	.set _ZN7rocprim17ROCPRIM_400000_NS6detail17trampoline_kernelINS0_14default_configENS1_25partition_config_selectorILNS1_17partition_subalgoE8ElNS0_10empty_typeEbEEZZNS1_14partition_implILS5_8ELb0ES3_jPlPS6_PKS6_NS0_5tupleIJS9_S6_EEENSD_IJSA_SA_EEENS0_18inequality_wrapperIZN2at6native12_GLOBAL__N_124unique_dim_cuda_templateIlEESt5tupleIJNSH_6TensorESM_SM_EERKSM_lbbbEUlllE0_EEPmJS6_EEE10hipError_tPvRmT3_T4_T5_T6_T7_T9_mT8_P12ihipStream_tbDpT10_ENKUlT_T0_E_clISt17integral_constantIbLb1EES1B_IbLb0EEEEDaS17_S18_EUlS17_E_NS1_11comp_targetILNS1_3genE3ELNS1_11target_archE908ELNS1_3gpuE7ELNS1_3repE0EEENS1_30default_config_static_selectorELNS0_4arch9wavefront6targetE1EEEvT1_.numbered_sgpr, 0
	.set _ZN7rocprim17ROCPRIM_400000_NS6detail17trampoline_kernelINS0_14default_configENS1_25partition_config_selectorILNS1_17partition_subalgoE8ElNS0_10empty_typeEbEEZZNS1_14partition_implILS5_8ELb0ES3_jPlPS6_PKS6_NS0_5tupleIJS9_S6_EEENSD_IJSA_SA_EEENS0_18inequality_wrapperIZN2at6native12_GLOBAL__N_124unique_dim_cuda_templateIlEESt5tupleIJNSH_6TensorESM_SM_EERKSM_lbbbEUlllE0_EEPmJS6_EEE10hipError_tPvRmT3_T4_T5_T6_T7_T9_mT8_P12ihipStream_tbDpT10_ENKUlT_T0_E_clISt17integral_constantIbLb1EES1B_IbLb0EEEEDaS17_S18_EUlS17_E_NS1_11comp_targetILNS1_3genE3ELNS1_11target_archE908ELNS1_3gpuE7ELNS1_3repE0EEENS1_30default_config_static_selectorELNS0_4arch9wavefront6targetE1EEEvT1_.num_named_barrier, 0
	.set _ZN7rocprim17ROCPRIM_400000_NS6detail17trampoline_kernelINS0_14default_configENS1_25partition_config_selectorILNS1_17partition_subalgoE8ElNS0_10empty_typeEbEEZZNS1_14partition_implILS5_8ELb0ES3_jPlPS6_PKS6_NS0_5tupleIJS9_S6_EEENSD_IJSA_SA_EEENS0_18inequality_wrapperIZN2at6native12_GLOBAL__N_124unique_dim_cuda_templateIlEESt5tupleIJNSH_6TensorESM_SM_EERKSM_lbbbEUlllE0_EEPmJS6_EEE10hipError_tPvRmT3_T4_T5_T6_T7_T9_mT8_P12ihipStream_tbDpT10_ENKUlT_T0_E_clISt17integral_constantIbLb1EES1B_IbLb0EEEEDaS17_S18_EUlS17_E_NS1_11comp_targetILNS1_3genE3ELNS1_11target_archE908ELNS1_3gpuE7ELNS1_3repE0EEENS1_30default_config_static_selectorELNS0_4arch9wavefront6targetE1EEEvT1_.private_seg_size, 0
	.set _ZN7rocprim17ROCPRIM_400000_NS6detail17trampoline_kernelINS0_14default_configENS1_25partition_config_selectorILNS1_17partition_subalgoE8ElNS0_10empty_typeEbEEZZNS1_14partition_implILS5_8ELb0ES3_jPlPS6_PKS6_NS0_5tupleIJS9_S6_EEENSD_IJSA_SA_EEENS0_18inequality_wrapperIZN2at6native12_GLOBAL__N_124unique_dim_cuda_templateIlEESt5tupleIJNSH_6TensorESM_SM_EERKSM_lbbbEUlllE0_EEPmJS6_EEE10hipError_tPvRmT3_T4_T5_T6_T7_T9_mT8_P12ihipStream_tbDpT10_ENKUlT_T0_E_clISt17integral_constantIbLb1EES1B_IbLb0EEEEDaS17_S18_EUlS17_E_NS1_11comp_targetILNS1_3genE3ELNS1_11target_archE908ELNS1_3gpuE7ELNS1_3repE0EEENS1_30default_config_static_selectorELNS0_4arch9wavefront6targetE1EEEvT1_.uses_vcc, 0
	.set _ZN7rocprim17ROCPRIM_400000_NS6detail17trampoline_kernelINS0_14default_configENS1_25partition_config_selectorILNS1_17partition_subalgoE8ElNS0_10empty_typeEbEEZZNS1_14partition_implILS5_8ELb0ES3_jPlPS6_PKS6_NS0_5tupleIJS9_S6_EEENSD_IJSA_SA_EEENS0_18inequality_wrapperIZN2at6native12_GLOBAL__N_124unique_dim_cuda_templateIlEESt5tupleIJNSH_6TensorESM_SM_EERKSM_lbbbEUlllE0_EEPmJS6_EEE10hipError_tPvRmT3_T4_T5_T6_T7_T9_mT8_P12ihipStream_tbDpT10_ENKUlT_T0_E_clISt17integral_constantIbLb1EES1B_IbLb0EEEEDaS17_S18_EUlS17_E_NS1_11comp_targetILNS1_3genE3ELNS1_11target_archE908ELNS1_3gpuE7ELNS1_3repE0EEENS1_30default_config_static_selectorELNS0_4arch9wavefront6targetE1EEEvT1_.uses_flat_scratch, 0
	.set _ZN7rocprim17ROCPRIM_400000_NS6detail17trampoline_kernelINS0_14default_configENS1_25partition_config_selectorILNS1_17partition_subalgoE8ElNS0_10empty_typeEbEEZZNS1_14partition_implILS5_8ELb0ES3_jPlPS6_PKS6_NS0_5tupleIJS9_S6_EEENSD_IJSA_SA_EEENS0_18inequality_wrapperIZN2at6native12_GLOBAL__N_124unique_dim_cuda_templateIlEESt5tupleIJNSH_6TensorESM_SM_EERKSM_lbbbEUlllE0_EEPmJS6_EEE10hipError_tPvRmT3_T4_T5_T6_T7_T9_mT8_P12ihipStream_tbDpT10_ENKUlT_T0_E_clISt17integral_constantIbLb1EES1B_IbLb0EEEEDaS17_S18_EUlS17_E_NS1_11comp_targetILNS1_3genE3ELNS1_11target_archE908ELNS1_3gpuE7ELNS1_3repE0EEENS1_30default_config_static_selectorELNS0_4arch9wavefront6targetE1EEEvT1_.has_dyn_sized_stack, 0
	.set _ZN7rocprim17ROCPRIM_400000_NS6detail17trampoline_kernelINS0_14default_configENS1_25partition_config_selectorILNS1_17partition_subalgoE8ElNS0_10empty_typeEbEEZZNS1_14partition_implILS5_8ELb0ES3_jPlPS6_PKS6_NS0_5tupleIJS9_S6_EEENSD_IJSA_SA_EEENS0_18inequality_wrapperIZN2at6native12_GLOBAL__N_124unique_dim_cuda_templateIlEESt5tupleIJNSH_6TensorESM_SM_EERKSM_lbbbEUlllE0_EEPmJS6_EEE10hipError_tPvRmT3_T4_T5_T6_T7_T9_mT8_P12ihipStream_tbDpT10_ENKUlT_T0_E_clISt17integral_constantIbLb1EES1B_IbLb0EEEEDaS17_S18_EUlS17_E_NS1_11comp_targetILNS1_3genE3ELNS1_11target_archE908ELNS1_3gpuE7ELNS1_3repE0EEENS1_30default_config_static_selectorELNS0_4arch9wavefront6targetE1EEEvT1_.has_recursion, 0
	.set _ZN7rocprim17ROCPRIM_400000_NS6detail17trampoline_kernelINS0_14default_configENS1_25partition_config_selectorILNS1_17partition_subalgoE8ElNS0_10empty_typeEbEEZZNS1_14partition_implILS5_8ELb0ES3_jPlPS6_PKS6_NS0_5tupleIJS9_S6_EEENSD_IJSA_SA_EEENS0_18inequality_wrapperIZN2at6native12_GLOBAL__N_124unique_dim_cuda_templateIlEESt5tupleIJNSH_6TensorESM_SM_EERKSM_lbbbEUlllE0_EEPmJS6_EEE10hipError_tPvRmT3_T4_T5_T6_T7_T9_mT8_P12ihipStream_tbDpT10_ENKUlT_T0_E_clISt17integral_constantIbLb1EES1B_IbLb0EEEEDaS17_S18_EUlS17_E_NS1_11comp_targetILNS1_3genE3ELNS1_11target_archE908ELNS1_3gpuE7ELNS1_3repE0EEENS1_30default_config_static_selectorELNS0_4arch9wavefront6targetE1EEEvT1_.has_indirect_call, 0
	.section	.AMDGPU.csdata,"",@progbits
; Kernel info:
; codeLenInByte = 0
; TotalNumSgprs: 6
; NumVgprs: 0
; NumAgprs: 0
; TotalNumVgprs: 0
; ScratchSize: 0
; MemoryBound: 0
; FloatMode: 240
; IeeeMode: 1
; LDSByteSize: 0 bytes/workgroup (compile time only)
; SGPRBlocks: 0
; VGPRBlocks: 0
; NumSGPRsForWavesPerEU: 6
; NumVGPRsForWavesPerEU: 1
; AccumOffset: 4
; Occupancy: 8
; WaveLimiterHint : 0
; COMPUTE_PGM_RSRC2:SCRATCH_EN: 0
; COMPUTE_PGM_RSRC2:USER_SGPR: 2
; COMPUTE_PGM_RSRC2:TRAP_HANDLER: 0
; COMPUTE_PGM_RSRC2:TGID_X_EN: 1
; COMPUTE_PGM_RSRC2:TGID_Y_EN: 0
; COMPUTE_PGM_RSRC2:TGID_Z_EN: 0
; COMPUTE_PGM_RSRC2:TIDIG_COMP_CNT: 0
; COMPUTE_PGM_RSRC3_GFX90A:ACCUM_OFFSET: 0
; COMPUTE_PGM_RSRC3_GFX90A:TG_SPLIT: 0
	.section	.text._ZN7rocprim17ROCPRIM_400000_NS6detail17trampoline_kernelINS0_14default_configENS1_25partition_config_selectorILNS1_17partition_subalgoE8ElNS0_10empty_typeEbEEZZNS1_14partition_implILS5_8ELb0ES3_jPlPS6_PKS6_NS0_5tupleIJS9_S6_EEENSD_IJSA_SA_EEENS0_18inequality_wrapperIZN2at6native12_GLOBAL__N_124unique_dim_cuda_templateIlEESt5tupleIJNSH_6TensorESM_SM_EERKSM_lbbbEUlllE0_EEPmJS6_EEE10hipError_tPvRmT3_T4_T5_T6_T7_T9_mT8_P12ihipStream_tbDpT10_ENKUlT_T0_E_clISt17integral_constantIbLb1EES1B_IbLb0EEEEDaS17_S18_EUlS17_E_NS1_11comp_targetILNS1_3genE2ELNS1_11target_archE906ELNS1_3gpuE6ELNS1_3repE0EEENS1_30default_config_static_selectorELNS0_4arch9wavefront6targetE1EEEvT1_,"axG",@progbits,_ZN7rocprim17ROCPRIM_400000_NS6detail17trampoline_kernelINS0_14default_configENS1_25partition_config_selectorILNS1_17partition_subalgoE8ElNS0_10empty_typeEbEEZZNS1_14partition_implILS5_8ELb0ES3_jPlPS6_PKS6_NS0_5tupleIJS9_S6_EEENSD_IJSA_SA_EEENS0_18inequality_wrapperIZN2at6native12_GLOBAL__N_124unique_dim_cuda_templateIlEESt5tupleIJNSH_6TensorESM_SM_EERKSM_lbbbEUlllE0_EEPmJS6_EEE10hipError_tPvRmT3_T4_T5_T6_T7_T9_mT8_P12ihipStream_tbDpT10_ENKUlT_T0_E_clISt17integral_constantIbLb1EES1B_IbLb0EEEEDaS17_S18_EUlS17_E_NS1_11comp_targetILNS1_3genE2ELNS1_11target_archE906ELNS1_3gpuE6ELNS1_3repE0EEENS1_30default_config_static_selectorELNS0_4arch9wavefront6targetE1EEEvT1_,comdat
	.globl	_ZN7rocprim17ROCPRIM_400000_NS6detail17trampoline_kernelINS0_14default_configENS1_25partition_config_selectorILNS1_17partition_subalgoE8ElNS0_10empty_typeEbEEZZNS1_14partition_implILS5_8ELb0ES3_jPlPS6_PKS6_NS0_5tupleIJS9_S6_EEENSD_IJSA_SA_EEENS0_18inequality_wrapperIZN2at6native12_GLOBAL__N_124unique_dim_cuda_templateIlEESt5tupleIJNSH_6TensorESM_SM_EERKSM_lbbbEUlllE0_EEPmJS6_EEE10hipError_tPvRmT3_T4_T5_T6_T7_T9_mT8_P12ihipStream_tbDpT10_ENKUlT_T0_E_clISt17integral_constantIbLb1EES1B_IbLb0EEEEDaS17_S18_EUlS17_E_NS1_11comp_targetILNS1_3genE2ELNS1_11target_archE906ELNS1_3gpuE6ELNS1_3repE0EEENS1_30default_config_static_selectorELNS0_4arch9wavefront6targetE1EEEvT1_ ; -- Begin function _ZN7rocprim17ROCPRIM_400000_NS6detail17trampoline_kernelINS0_14default_configENS1_25partition_config_selectorILNS1_17partition_subalgoE8ElNS0_10empty_typeEbEEZZNS1_14partition_implILS5_8ELb0ES3_jPlPS6_PKS6_NS0_5tupleIJS9_S6_EEENSD_IJSA_SA_EEENS0_18inequality_wrapperIZN2at6native12_GLOBAL__N_124unique_dim_cuda_templateIlEESt5tupleIJNSH_6TensorESM_SM_EERKSM_lbbbEUlllE0_EEPmJS6_EEE10hipError_tPvRmT3_T4_T5_T6_T7_T9_mT8_P12ihipStream_tbDpT10_ENKUlT_T0_E_clISt17integral_constantIbLb1EES1B_IbLb0EEEEDaS17_S18_EUlS17_E_NS1_11comp_targetILNS1_3genE2ELNS1_11target_archE906ELNS1_3gpuE6ELNS1_3repE0EEENS1_30default_config_static_selectorELNS0_4arch9wavefront6targetE1EEEvT1_
	.p2align	8
	.type	_ZN7rocprim17ROCPRIM_400000_NS6detail17trampoline_kernelINS0_14default_configENS1_25partition_config_selectorILNS1_17partition_subalgoE8ElNS0_10empty_typeEbEEZZNS1_14partition_implILS5_8ELb0ES3_jPlPS6_PKS6_NS0_5tupleIJS9_S6_EEENSD_IJSA_SA_EEENS0_18inequality_wrapperIZN2at6native12_GLOBAL__N_124unique_dim_cuda_templateIlEESt5tupleIJNSH_6TensorESM_SM_EERKSM_lbbbEUlllE0_EEPmJS6_EEE10hipError_tPvRmT3_T4_T5_T6_T7_T9_mT8_P12ihipStream_tbDpT10_ENKUlT_T0_E_clISt17integral_constantIbLb1EES1B_IbLb0EEEEDaS17_S18_EUlS17_E_NS1_11comp_targetILNS1_3genE2ELNS1_11target_archE906ELNS1_3gpuE6ELNS1_3repE0EEENS1_30default_config_static_selectorELNS0_4arch9wavefront6targetE1EEEvT1_,@function
_ZN7rocprim17ROCPRIM_400000_NS6detail17trampoline_kernelINS0_14default_configENS1_25partition_config_selectorILNS1_17partition_subalgoE8ElNS0_10empty_typeEbEEZZNS1_14partition_implILS5_8ELb0ES3_jPlPS6_PKS6_NS0_5tupleIJS9_S6_EEENSD_IJSA_SA_EEENS0_18inequality_wrapperIZN2at6native12_GLOBAL__N_124unique_dim_cuda_templateIlEESt5tupleIJNSH_6TensorESM_SM_EERKSM_lbbbEUlllE0_EEPmJS6_EEE10hipError_tPvRmT3_T4_T5_T6_T7_T9_mT8_P12ihipStream_tbDpT10_ENKUlT_T0_E_clISt17integral_constantIbLb1EES1B_IbLb0EEEEDaS17_S18_EUlS17_E_NS1_11comp_targetILNS1_3genE2ELNS1_11target_archE906ELNS1_3gpuE6ELNS1_3repE0EEENS1_30default_config_static_selectorELNS0_4arch9wavefront6targetE1EEEvT1_: ; @_ZN7rocprim17ROCPRIM_400000_NS6detail17trampoline_kernelINS0_14default_configENS1_25partition_config_selectorILNS1_17partition_subalgoE8ElNS0_10empty_typeEbEEZZNS1_14partition_implILS5_8ELb0ES3_jPlPS6_PKS6_NS0_5tupleIJS9_S6_EEENSD_IJSA_SA_EEENS0_18inequality_wrapperIZN2at6native12_GLOBAL__N_124unique_dim_cuda_templateIlEESt5tupleIJNSH_6TensorESM_SM_EERKSM_lbbbEUlllE0_EEPmJS6_EEE10hipError_tPvRmT3_T4_T5_T6_T7_T9_mT8_P12ihipStream_tbDpT10_ENKUlT_T0_E_clISt17integral_constantIbLb1EES1B_IbLb0EEEEDaS17_S18_EUlS17_E_NS1_11comp_targetILNS1_3genE2ELNS1_11target_archE906ELNS1_3gpuE6ELNS1_3repE0EEENS1_30default_config_static_selectorELNS0_4arch9wavefront6targetE1EEEvT1_
; %bb.0:
	.section	.rodata,"a",@progbits
	.p2align	6, 0x0
	.amdhsa_kernel _ZN7rocprim17ROCPRIM_400000_NS6detail17trampoline_kernelINS0_14default_configENS1_25partition_config_selectorILNS1_17partition_subalgoE8ElNS0_10empty_typeEbEEZZNS1_14partition_implILS5_8ELb0ES3_jPlPS6_PKS6_NS0_5tupleIJS9_S6_EEENSD_IJSA_SA_EEENS0_18inequality_wrapperIZN2at6native12_GLOBAL__N_124unique_dim_cuda_templateIlEESt5tupleIJNSH_6TensorESM_SM_EERKSM_lbbbEUlllE0_EEPmJS6_EEE10hipError_tPvRmT3_T4_T5_T6_T7_T9_mT8_P12ihipStream_tbDpT10_ENKUlT_T0_E_clISt17integral_constantIbLb1EES1B_IbLb0EEEEDaS17_S18_EUlS17_E_NS1_11comp_targetILNS1_3genE2ELNS1_11target_archE906ELNS1_3gpuE6ELNS1_3repE0EEENS1_30default_config_static_selectorELNS0_4arch9wavefront6targetE1EEEvT1_
		.amdhsa_group_segment_fixed_size 0
		.amdhsa_private_segment_fixed_size 0
		.amdhsa_kernarg_size 120
		.amdhsa_user_sgpr_count 2
		.amdhsa_user_sgpr_dispatch_ptr 0
		.amdhsa_user_sgpr_queue_ptr 0
		.amdhsa_user_sgpr_kernarg_segment_ptr 1
		.amdhsa_user_sgpr_dispatch_id 0
		.amdhsa_user_sgpr_kernarg_preload_length 0
		.amdhsa_user_sgpr_kernarg_preload_offset 0
		.amdhsa_user_sgpr_private_segment_size 0
		.amdhsa_uses_dynamic_stack 0
		.amdhsa_enable_private_segment 0
		.amdhsa_system_sgpr_workgroup_id_x 1
		.amdhsa_system_sgpr_workgroup_id_y 0
		.amdhsa_system_sgpr_workgroup_id_z 0
		.amdhsa_system_sgpr_workgroup_info 0
		.amdhsa_system_vgpr_workitem_id 0
		.amdhsa_next_free_vgpr 1
		.amdhsa_next_free_sgpr 0
		.amdhsa_accum_offset 4
		.amdhsa_reserve_vcc 0
		.amdhsa_float_round_mode_32 0
		.amdhsa_float_round_mode_16_64 0
		.amdhsa_float_denorm_mode_32 3
		.amdhsa_float_denorm_mode_16_64 3
		.amdhsa_dx10_clamp 1
		.amdhsa_ieee_mode 1
		.amdhsa_fp16_overflow 0
		.amdhsa_tg_split 0
		.amdhsa_exception_fp_ieee_invalid_op 0
		.amdhsa_exception_fp_denorm_src 0
		.amdhsa_exception_fp_ieee_div_zero 0
		.amdhsa_exception_fp_ieee_overflow 0
		.amdhsa_exception_fp_ieee_underflow 0
		.amdhsa_exception_fp_ieee_inexact 0
		.amdhsa_exception_int_div_zero 0
	.end_amdhsa_kernel
	.section	.text._ZN7rocprim17ROCPRIM_400000_NS6detail17trampoline_kernelINS0_14default_configENS1_25partition_config_selectorILNS1_17partition_subalgoE8ElNS0_10empty_typeEbEEZZNS1_14partition_implILS5_8ELb0ES3_jPlPS6_PKS6_NS0_5tupleIJS9_S6_EEENSD_IJSA_SA_EEENS0_18inequality_wrapperIZN2at6native12_GLOBAL__N_124unique_dim_cuda_templateIlEESt5tupleIJNSH_6TensorESM_SM_EERKSM_lbbbEUlllE0_EEPmJS6_EEE10hipError_tPvRmT3_T4_T5_T6_T7_T9_mT8_P12ihipStream_tbDpT10_ENKUlT_T0_E_clISt17integral_constantIbLb1EES1B_IbLb0EEEEDaS17_S18_EUlS17_E_NS1_11comp_targetILNS1_3genE2ELNS1_11target_archE906ELNS1_3gpuE6ELNS1_3repE0EEENS1_30default_config_static_selectorELNS0_4arch9wavefront6targetE1EEEvT1_,"axG",@progbits,_ZN7rocprim17ROCPRIM_400000_NS6detail17trampoline_kernelINS0_14default_configENS1_25partition_config_selectorILNS1_17partition_subalgoE8ElNS0_10empty_typeEbEEZZNS1_14partition_implILS5_8ELb0ES3_jPlPS6_PKS6_NS0_5tupleIJS9_S6_EEENSD_IJSA_SA_EEENS0_18inequality_wrapperIZN2at6native12_GLOBAL__N_124unique_dim_cuda_templateIlEESt5tupleIJNSH_6TensorESM_SM_EERKSM_lbbbEUlllE0_EEPmJS6_EEE10hipError_tPvRmT3_T4_T5_T6_T7_T9_mT8_P12ihipStream_tbDpT10_ENKUlT_T0_E_clISt17integral_constantIbLb1EES1B_IbLb0EEEEDaS17_S18_EUlS17_E_NS1_11comp_targetILNS1_3genE2ELNS1_11target_archE906ELNS1_3gpuE6ELNS1_3repE0EEENS1_30default_config_static_selectorELNS0_4arch9wavefront6targetE1EEEvT1_,comdat
.Lfunc_end583:
	.size	_ZN7rocprim17ROCPRIM_400000_NS6detail17trampoline_kernelINS0_14default_configENS1_25partition_config_selectorILNS1_17partition_subalgoE8ElNS0_10empty_typeEbEEZZNS1_14partition_implILS5_8ELb0ES3_jPlPS6_PKS6_NS0_5tupleIJS9_S6_EEENSD_IJSA_SA_EEENS0_18inequality_wrapperIZN2at6native12_GLOBAL__N_124unique_dim_cuda_templateIlEESt5tupleIJNSH_6TensorESM_SM_EERKSM_lbbbEUlllE0_EEPmJS6_EEE10hipError_tPvRmT3_T4_T5_T6_T7_T9_mT8_P12ihipStream_tbDpT10_ENKUlT_T0_E_clISt17integral_constantIbLb1EES1B_IbLb0EEEEDaS17_S18_EUlS17_E_NS1_11comp_targetILNS1_3genE2ELNS1_11target_archE906ELNS1_3gpuE6ELNS1_3repE0EEENS1_30default_config_static_selectorELNS0_4arch9wavefront6targetE1EEEvT1_, .Lfunc_end583-_ZN7rocprim17ROCPRIM_400000_NS6detail17trampoline_kernelINS0_14default_configENS1_25partition_config_selectorILNS1_17partition_subalgoE8ElNS0_10empty_typeEbEEZZNS1_14partition_implILS5_8ELb0ES3_jPlPS6_PKS6_NS0_5tupleIJS9_S6_EEENSD_IJSA_SA_EEENS0_18inequality_wrapperIZN2at6native12_GLOBAL__N_124unique_dim_cuda_templateIlEESt5tupleIJNSH_6TensorESM_SM_EERKSM_lbbbEUlllE0_EEPmJS6_EEE10hipError_tPvRmT3_T4_T5_T6_T7_T9_mT8_P12ihipStream_tbDpT10_ENKUlT_T0_E_clISt17integral_constantIbLb1EES1B_IbLb0EEEEDaS17_S18_EUlS17_E_NS1_11comp_targetILNS1_3genE2ELNS1_11target_archE906ELNS1_3gpuE6ELNS1_3repE0EEENS1_30default_config_static_selectorELNS0_4arch9wavefront6targetE1EEEvT1_
                                        ; -- End function
	.set _ZN7rocprim17ROCPRIM_400000_NS6detail17trampoline_kernelINS0_14default_configENS1_25partition_config_selectorILNS1_17partition_subalgoE8ElNS0_10empty_typeEbEEZZNS1_14partition_implILS5_8ELb0ES3_jPlPS6_PKS6_NS0_5tupleIJS9_S6_EEENSD_IJSA_SA_EEENS0_18inequality_wrapperIZN2at6native12_GLOBAL__N_124unique_dim_cuda_templateIlEESt5tupleIJNSH_6TensorESM_SM_EERKSM_lbbbEUlllE0_EEPmJS6_EEE10hipError_tPvRmT3_T4_T5_T6_T7_T9_mT8_P12ihipStream_tbDpT10_ENKUlT_T0_E_clISt17integral_constantIbLb1EES1B_IbLb0EEEEDaS17_S18_EUlS17_E_NS1_11comp_targetILNS1_3genE2ELNS1_11target_archE906ELNS1_3gpuE6ELNS1_3repE0EEENS1_30default_config_static_selectorELNS0_4arch9wavefront6targetE1EEEvT1_.num_vgpr, 0
	.set _ZN7rocprim17ROCPRIM_400000_NS6detail17trampoline_kernelINS0_14default_configENS1_25partition_config_selectorILNS1_17partition_subalgoE8ElNS0_10empty_typeEbEEZZNS1_14partition_implILS5_8ELb0ES3_jPlPS6_PKS6_NS0_5tupleIJS9_S6_EEENSD_IJSA_SA_EEENS0_18inequality_wrapperIZN2at6native12_GLOBAL__N_124unique_dim_cuda_templateIlEESt5tupleIJNSH_6TensorESM_SM_EERKSM_lbbbEUlllE0_EEPmJS6_EEE10hipError_tPvRmT3_T4_T5_T6_T7_T9_mT8_P12ihipStream_tbDpT10_ENKUlT_T0_E_clISt17integral_constantIbLb1EES1B_IbLb0EEEEDaS17_S18_EUlS17_E_NS1_11comp_targetILNS1_3genE2ELNS1_11target_archE906ELNS1_3gpuE6ELNS1_3repE0EEENS1_30default_config_static_selectorELNS0_4arch9wavefront6targetE1EEEvT1_.num_agpr, 0
	.set _ZN7rocprim17ROCPRIM_400000_NS6detail17trampoline_kernelINS0_14default_configENS1_25partition_config_selectorILNS1_17partition_subalgoE8ElNS0_10empty_typeEbEEZZNS1_14partition_implILS5_8ELb0ES3_jPlPS6_PKS6_NS0_5tupleIJS9_S6_EEENSD_IJSA_SA_EEENS0_18inequality_wrapperIZN2at6native12_GLOBAL__N_124unique_dim_cuda_templateIlEESt5tupleIJNSH_6TensorESM_SM_EERKSM_lbbbEUlllE0_EEPmJS6_EEE10hipError_tPvRmT3_T4_T5_T6_T7_T9_mT8_P12ihipStream_tbDpT10_ENKUlT_T0_E_clISt17integral_constantIbLb1EES1B_IbLb0EEEEDaS17_S18_EUlS17_E_NS1_11comp_targetILNS1_3genE2ELNS1_11target_archE906ELNS1_3gpuE6ELNS1_3repE0EEENS1_30default_config_static_selectorELNS0_4arch9wavefront6targetE1EEEvT1_.numbered_sgpr, 0
	.set _ZN7rocprim17ROCPRIM_400000_NS6detail17trampoline_kernelINS0_14default_configENS1_25partition_config_selectorILNS1_17partition_subalgoE8ElNS0_10empty_typeEbEEZZNS1_14partition_implILS5_8ELb0ES3_jPlPS6_PKS6_NS0_5tupleIJS9_S6_EEENSD_IJSA_SA_EEENS0_18inequality_wrapperIZN2at6native12_GLOBAL__N_124unique_dim_cuda_templateIlEESt5tupleIJNSH_6TensorESM_SM_EERKSM_lbbbEUlllE0_EEPmJS6_EEE10hipError_tPvRmT3_T4_T5_T6_T7_T9_mT8_P12ihipStream_tbDpT10_ENKUlT_T0_E_clISt17integral_constantIbLb1EES1B_IbLb0EEEEDaS17_S18_EUlS17_E_NS1_11comp_targetILNS1_3genE2ELNS1_11target_archE906ELNS1_3gpuE6ELNS1_3repE0EEENS1_30default_config_static_selectorELNS0_4arch9wavefront6targetE1EEEvT1_.num_named_barrier, 0
	.set _ZN7rocprim17ROCPRIM_400000_NS6detail17trampoline_kernelINS0_14default_configENS1_25partition_config_selectorILNS1_17partition_subalgoE8ElNS0_10empty_typeEbEEZZNS1_14partition_implILS5_8ELb0ES3_jPlPS6_PKS6_NS0_5tupleIJS9_S6_EEENSD_IJSA_SA_EEENS0_18inequality_wrapperIZN2at6native12_GLOBAL__N_124unique_dim_cuda_templateIlEESt5tupleIJNSH_6TensorESM_SM_EERKSM_lbbbEUlllE0_EEPmJS6_EEE10hipError_tPvRmT3_T4_T5_T6_T7_T9_mT8_P12ihipStream_tbDpT10_ENKUlT_T0_E_clISt17integral_constantIbLb1EES1B_IbLb0EEEEDaS17_S18_EUlS17_E_NS1_11comp_targetILNS1_3genE2ELNS1_11target_archE906ELNS1_3gpuE6ELNS1_3repE0EEENS1_30default_config_static_selectorELNS0_4arch9wavefront6targetE1EEEvT1_.private_seg_size, 0
	.set _ZN7rocprim17ROCPRIM_400000_NS6detail17trampoline_kernelINS0_14default_configENS1_25partition_config_selectorILNS1_17partition_subalgoE8ElNS0_10empty_typeEbEEZZNS1_14partition_implILS5_8ELb0ES3_jPlPS6_PKS6_NS0_5tupleIJS9_S6_EEENSD_IJSA_SA_EEENS0_18inequality_wrapperIZN2at6native12_GLOBAL__N_124unique_dim_cuda_templateIlEESt5tupleIJNSH_6TensorESM_SM_EERKSM_lbbbEUlllE0_EEPmJS6_EEE10hipError_tPvRmT3_T4_T5_T6_T7_T9_mT8_P12ihipStream_tbDpT10_ENKUlT_T0_E_clISt17integral_constantIbLb1EES1B_IbLb0EEEEDaS17_S18_EUlS17_E_NS1_11comp_targetILNS1_3genE2ELNS1_11target_archE906ELNS1_3gpuE6ELNS1_3repE0EEENS1_30default_config_static_selectorELNS0_4arch9wavefront6targetE1EEEvT1_.uses_vcc, 0
	.set _ZN7rocprim17ROCPRIM_400000_NS6detail17trampoline_kernelINS0_14default_configENS1_25partition_config_selectorILNS1_17partition_subalgoE8ElNS0_10empty_typeEbEEZZNS1_14partition_implILS5_8ELb0ES3_jPlPS6_PKS6_NS0_5tupleIJS9_S6_EEENSD_IJSA_SA_EEENS0_18inequality_wrapperIZN2at6native12_GLOBAL__N_124unique_dim_cuda_templateIlEESt5tupleIJNSH_6TensorESM_SM_EERKSM_lbbbEUlllE0_EEPmJS6_EEE10hipError_tPvRmT3_T4_T5_T6_T7_T9_mT8_P12ihipStream_tbDpT10_ENKUlT_T0_E_clISt17integral_constantIbLb1EES1B_IbLb0EEEEDaS17_S18_EUlS17_E_NS1_11comp_targetILNS1_3genE2ELNS1_11target_archE906ELNS1_3gpuE6ELNS1_3repE0EEENS1_30default_config_static_selectorELNS0_4arch9wavefront6targetE1EEEvT1_.uses_flat_scratch, 0
	.set _ZN7rocprim17ROCPRIM_400000_NS6detail17trampoline_kernelINS0_14default_configENS1_25partition_config_selectorILNS1_17partition_subalgoE8ElNS0_10empty_typeEbEEZZNS1_14partition_implILS5_8ELb0ES3_jPlPS6_PKS6_NS0_5tupleIJS9_S6_EEENSD_IJSA_SA_EEENS0_18inequality_wrapperIZN2at6native12_GLOBAL__N_124unique_dim_cuda_templateIlEESt5tupleIJNSH_6TensorESM_SM_EERKSM_lbbbEUlllE0_EEPmJS6_EEE10hipError_tPvRmT3_T4_T5_T6_T7_T9_mT8_P12ihipStream_tbDpT10_ENKUlT_T0_E_clISt17integral_constantIbLb1EES1B_IbLb0EEEEDaS17_S18_EUlS17_E_NS1_11comp_targetILNS1_3genE2ELNS1_11target_archE906ELNS1_3gpuE6ELNS1_3repE0EEENS1_30default_config_static_selectorELNS0_4arch9wavefront6targetE1EEEvT1_.has_dyn_sized_stack, 0
	.set _ZN7rocprim17ROCPRIM_400000_NS6detail17trampoline_kernelINS0_14default_configENS1_25partition_config_selectorILNS1_17partition_subalgoE8ElNS0_10empty_typeEbEEZZNS1_14partition_implILS5_8ELb0ES3_jPlPS6_PKS6_NS0_5tupleIJS9_S6_EEENSD_IJSA_SA_EEENS0_18inequality_wrapperIZN2at6native12_GLOBAL__N_124unique_dim_cuda_templateIlEESt5tupleIJNSH_6TensorESM_SM_EERKSM_lbbbEUlllE0_EEPmJS6_EEE10hipError_tPvRmT3_T4_T5_T6_T7_T9_mT8_P12ihipStream_tbDpT10_ENKUlT_T0_E_clISt17integral_constantIbLb1EES1B_IbLb0EEEEDaS17_S18_EUlS17_E_NS1_11comp_targetILNS1_3genE2ELNS1_11target_archE906ELNS1_3gpuE6ELNS1_3repE0EEENS1_30default_config_static_selectorELNS0_4arch9wavefront6targetE1EEEvT1_.has_recursion, 0
	.set _ZN7rocprim17ROCPRIM_400000_NS6detail17trampoline_kernelINS0_14default_configENS1_25partition_config_selectorILNS1_17partition_subalgoE8ElNS0_10empty_typeEbEEZZNS1_14partition_implILS5_8ELb0ES3_jPlPS6_PKS6_NS0_5tupleIJS9_S6_EEENSD_IJSA_SA_EEENS0_18inequality_wrapperIZN2at6native12_GLOBAL__N_124unique_dim_cuda_templateIlEESt5tupleIJNSH_6TensorESM_SM_EERKSM_lbbbEUlllE0_EEPmJS6_EEE10hipError_tPvRmT3_T4_T5_T6_T7_T9_mT8_P12ihipStream_tbDpT10_ENKUlT_T0_E_clISt17integral_constantIbLb1EES1B_IbLb0EEEEDaS17_S18_EUlS17_E_NS1_11comp_targetILNS1_3genE2ELNS1_11target_archE906ELNS1_3gpuE6ELNS1_3repE0EEENS1_30default_config_static_selectorELNS0_4arch9wavefront6targetE1EEEvT1_.has_indirect_call, 0
	.section	.AMDGPU.csdata,"",@progbits
; Kernel info:
; codeLenInByte = 0
; TotalNumSgprs: 6
; NumVgprs: 0
; NumAgprs: 0
; TotalNumVgprs: 0
; ScratchSize: 0
; MemoryBound: 0
; FloatMode: 240
; IeeeMode: 1
; LDSByteSize: 0 bytes/workgroup (compile time only)
; SGPRBlocks: 0
; VGPRBlocks: 0
; NumSGPRsForWavesPerEU: 6
; NumVGPRsForWavesPerEU: 1
; AccumOffset: 4
; Occupancy: 8
; WaveLimiterHint : 0
; COMPUTE_PGM_RSRC2:SCRATCH_EN: 0
; COMPUTE_PGM_RSRC2:USER_SGPR: 2
; COMPUTE_PGM_RSRC2:TRAP_HANDLER: 0
; COMPUTE_PGM_RSRC2:TGID_X_EN: 1
; COMPUTE_PGM_RSRC2:TGID_Y_EN: 0
; COMPUTE_PGM_RSRC2:TGID_Z_EN: 0
; COMPUTE_PGM_RSRC2:TIDIG_COMP_CNT: 0
; COMPUTE_PGM_RSRC3_GFX90A:ACCUM_OFFSET: 0
; COMPUTE_PGM_RSRC3_GFX90A:TG_SPLIT: 0
	.section	.text._ZN7rocprim17ROCPRIM_400000_NS6detail17trampoline_kernelINS0_14default_configENS1_25partition_config_selectorILNS1_17partition_subalgoE8ElNS0_10empty_typeEbEEZZNS1_14partition_implILS5_8ELb0ES3_jPlPS6_PKS6_NS0_5tupleIJS9_S6_EEENSD_IJSA_SA_EEENS0_18inequality_wrapperIZN2at6native12_GLOBAL__N_124unique_dim_cuda_templateIlEESt5tupleIJNSH_6TensorESM_SM_EERKSM_lbbbEUlllE0_EEPmJS6_EEE10hipError_tPvRmT3_T4_T5_T6_T7_T9_mT8_P12ihipStream_tbDpT10_ENKUlT_T0_E_clISt17integral_constantIbLb1EES1B_IbLb0EEEEDaS17_S18_EUlS17_E_NS1_11comp_targetILNS1_3genE10ELNS1_11target_archE1200ELNS1_3gpuE4ELNS1_3repE0EEENS1_30default_config_static_selectorELNS0_4arch9wavefront6targetE1EEEvT1_,"axG",@progbits,_ZN7rocprim17ROCPRIM_400000_NS6detail17trampoline_kernelINS0_14default_configENS1_25partition_config_selectorILNS1_17partition_subalgoE8ElNS0_10empty_typeEbEEZZNS1_14partition_implILS5_8ELb0ES3_jPlPS6_PKS6_NS0_5tupleIJS9_S6_EEENSD_IJSA_SA_EEENS0_18inequality_wrapperIZN2at6native12_GLOBAL__N_124unique_dim_cuda_templateIlEESt5tupleIJNSH_6TensorESM_SM_EERKSM_lbbbEUlllE0_EEPmJS6_EEE10hipError_tPvRmT3_T4_T5_T6_T7_T9_mT8_P12ihipStream_tbDpT10_ENKUlT_T0_E_clISt17integral_constantIbLb1EES1B_IbLb0EEEEDaS17_S18_EUlS17_E_NS1_11comp_targetILNS1_3genE10ELNS1_11target_archE1200ELNS1_3gpuE4ELNS1_3repE0EEENS1_30default_config_static_selectorELNS0_4arch9wavefront6targetE1EEEvT1_,comdat
	.globl	_ZN7rocprim17ROCPRIM_400000_NS6detail17trampoline_kernelINS0_14default_configENS1_25partition_config_selectorILNS1_17partition_subalgoE8ElNS0_10empty_typeEbEEZZNS1_14partition_implILS5_8ELb0ES3_jPlPS6_PKS6_NS0_5tupleIJS9_S6_EEENSD_IJSA_SA_EEENS0_18inequality_wrapperIZN2at6native12_GLOBAL__N_124unique_dim_cuda_templateIlEESt5tupleIJNSH_6TensorESM_SM_EERKSM_lbbbEUlllE0_EEPmJS6_EEE10hipError_tPvRmT3_T4_T5_T6_T7_T9_mT8_P12ihipStream_tbDpT10_ENKUlT_T0_E_clISt17integral_constantIbLb1EES1B_IbLb0EEEEDaS17_S18_EUlS17_E_NS1_11comp_targetILNS1_3genE10ELNS1_11target_archE1200ELNS1_3gpuE4ELNS1_3repE0EEENS1_30default_config_static_selectorELNS0_4arch9wavefront6targetE1EEEvT1_ ; -- Begin function _ZN7rocprim17ROCPRIM_400000_NS6detail17trampoline_kernelINS0_14default_configENS1_25partition_config_selectorILNS1_17partition_subalgoE8ElNS0_10empty_typeEbEEZZNS1_14partition_implILS5_8ELb0ES3_jPlPS6_PKS6_NS0_5tupleIJS9_S6_EEENSD_IJSA_SA_EEENS0_18inequality_wrapperIZN2at6native12_GLOBAL__N_124unique_dim_cuda_templateIlEESt5tupleIJNSH_6TensorESM_SM_EERKSM_lbbbEUlllE0_EEPmJS6_EEE10hipError_tPvRmT3_T4_T5_T6_T7_T9_mT8_P12ihipStream_tbDpT10_ENKUlT_T0_E_clISt17integral_constantIbLb1EES1B_IbLb0EEEEDaS17_S18_EUlS17_E_NS1_11comp_targetILNS1_3genE10ELNS1_11target_archE1200ELNS1_3gpuE4ELNS1_3repE0EEENS1_30default_config_static_selectorELNS0_4arch9wavefront6targetE1EEEvT1_
	.p2align	8
	.type	_ZN7rocprim17ROCPRIM_400000_NS6detail17trampoline_kernelINS0_14default_configENS1_25partition_config_selectorILNS1_17partition_subalgoE8ElNS0_10empty_typeEbEEZZNS1_14partition_implILS5_8ELb0ES3_jPlPS6_PKS6_NS0_5tupleIJS9_S6_EEENSD_IJSA_SA_EEENS0_18inequality_wrapperIZN2at6native12_GLOBAL__N_124unique_dim_cuda_templateIlEESt5tupleIJNSH_6TensorESM_SM_EERKSM_lbbbEUlllE0_EEPmJS6_EEE10hipError_tPvRmT3_T4_T5_T6_T7_T9_mT8_P12ihipStream_tbDpT10_ENKUlT_T0_E_clISt17integral_constantIbLb1EES1B_IbLb0EEEEDaS17_S18_EUlS17_E_NS1_11comp_targetILNS1_3genE10ELNS1_11target_archE1200ELNS1_3gpuE4ELNS1_3repE0EEENS1_30default_config_static_selectorELNS0_4arch9wavefront6targetE1EEEvT1_,@function
_ZN7rocprim17ROCPRIM_400000_NS6detail17trampoline_kernelINS0_14default_configENS1_25partition_config_selectorILNS1_17partition_subalgoE8ElNS0_10empty_typeEbEEZZNS1_14partition_implILS5_8ELb0ES3_jPlPS6_PKS6_NS0_5tupleIJS9_S6_EEENSD_IJSA_SA_EEENS0_18inequality_wrapperIZN2at6native12_GLOBAL__N_124unique_dim_cuda_templateIlEESt5tupleIJNSH_6TensorESM_SM_EERKSM_lbbbEUlllE0_EEPmJS6_EEE10hipError_tPvRmT3_T4_T5_T6_T7_T9_mT8_P12ihipStream_tbDpT10_ENKUlT_T0_E_clISt17integral_constantIbLb1EES1B_IbLb0EEEEDaS17_S18_EUlS17_E_NS1_11comp_targetILNS1_3genE10ELNS1_11target_archE1200ELNS1_3gpuE4ELNS1_3repE0EEENS1_30default_config_static_selectorELNS0_4arch9wavefront6targetE1EEEvT1_: ; @_ZN7rocprim17ROCPRIM_400000_NS6detail17trampoline_kernelINS0_14default_configENS1_25partition_config_selectorILNS1_17partition_subalgoE8ElNS0_10empty_typeEbEEZZNS1_14partition_implILS5_8ELb0ES3_jPlPS6_PKS6_NS0_5tupleIJS9_S6_EEENSD_IJSA_SA_EEENS0_18inequality_wrapperIZN2at6native12_GLOBAL__N_124unique_dim_cuda_templateIlEESt5tupleIJNSH_6TensorESM_SM_EERKSM_lbbbEUlllE0_EEPmJS6_EEE10hipError_tPvRmT3_T4_T5_T6_T7_T9_mT8_P12ihipStream_tbDpT10_ENKUlT_T0_E_clISt17integral_constantIbLb1EES1B_IbLb0EEEEDaS17_S18_EUlS17_E_NS1_11comp_targetILNS1_3genE10ELNS1_11target_archE1200ELNS1_3gpuE4ELNS1_3repE0EEENS1_30default_config_static_selectorELNS0_4arch9wavefront6targetE1EEEvT1_
; %bb.0:
	.section	.rodata,"a",@progbits
	.p2align	6, 0x0
	.amdhsa_kernel _ZN7rocprim17ROCPRIM_400000_NS6detail17trampoline_kernelINS0_14default_configENS1_25partition_config_selectorILNS1_17partition_subalgoE8ElNS0_10empty_typeEbEEZZNS1_14partition_implILS5_8ELb0ES3_jPlPS6_PKS6_NS0_5tupleIJS9_S6_EEENSD_IJSA_SA_EEENS0_18inequality_wrapperIZN2at6native12_GLOBAL__N_124unique_dim_cuda_templateIlEESt5tupleIJNSH_6TensorESM_SM_EERKSM_lbbbEUlllE0_EEPmJS6_EEE10hipError_tPvRmT3_T4_T5_T6_T7_T9_mT8_P12ihipStream_tbDpT10_ENKUlT_T0_E_clISt17integral_constantIbLb1EES1B_IbLb0EEEEDaS17_S18_EUlS17_E_NS1_11comp_targetILNS1_3genE10ELNS1_11target_archE1200ELNS1_3gpuE4ELNS1_3repE0EEENS1_30default_config_static_selectorELNS0_4arch9wavefront6targetE1EEEvT1_
		.amdhsa_group_segment_fixed_size 0
		.amdhsa_private_segment_fixed_size 0
		.amdhsa_kernarg_size 120
		.amdhsa_user_sgpr_count 2
		.amdhsa_user_sgpr_dispatch_ptr 0
		.amdhsa_user_sgpr_queue_ptr 0
		.amdhsa_user_sgpr_kernarg_segment_ptr 1
		.amdhsa_user_sgpr_dispatch_id 0
		.amdhsa_user_sgpr_kernarg_preload_length 0
		.amdhsa_user_sgpr_kernarg_preload_offset 0
		.amdhsa_user_sgpr_private_segment_size 0
		.amdhsa_uses_dynamic_stack 0
		.amdhsa_enable_private_segment 0
		.amdhsa_system_sgpr_workgroup_id_x 1
		.amdhsa_system_sgpr_workgroup_id_y 0
		.amdhsa_system_sgpr_workgroup_id_z 0
		.amdhsa_system_sgpr_workgroup_info 0
		.amdhsa_system_vgpr_workitem_id 0
		.amdhsa_next_free_vgpr 1
		.amdhsa_next_free_sgpr 0
		.amdhsa_accum_offset 4
		.amdhsa_reserve_vcc 0
		.amdhsa_float_round_mode_32 0
		.amdhsa_float_round_mode_16_64 0
		.amdhsa_float_denorm_mode_32 3
		.amdhsa_float_denorm_mode_16_64 3
		.amdhsa_dx10_clamp 1
		.amdhsa_ieee_mode 1
		.amdhsa_fp16_overflow 0
		.amdhsa_tg_split 0
		.amdhsa_exception_fp_ieee_invalid_op 0
		.amdhsa_exception_fp_denorm_src 0
		.amdhsa_exception_fp_ieee_div_zero 0
		.amdhsa_exception_fp_ieee_overflow 0
		.amdhsa_exception_fp_ieee_underflow 0
		.amdhsa_exception_fp_ieee_inexact 0
		.amdhsa_exception_int_div_zero 0
	.end_amdhsa_kernel
	.section	.text._ZN7rocprim17ROCPRIM_400000_NS6detail17trampoline_kernelINS0_14default_configENS1_25partition_config_selectorILNS1_17partition_subalgoE8ElNS0_10empty_typeEbEEZZNS1_14partition_implILS5_8ELb0ES3_jPlPS6_PKS6_NS0_5tupleIJS9_S6_EEENSD_IJSA_SA_EEENS0_18inequality_wrapperIZN2at6native12_GLOBAL__N_124unique_dim_cuda_templateIlEESt5tupleIJNSH_6TensorESM_SM_EERKSM_lbbbEUlllE0_EEPmJS6_EEE10hipError_tPvRmT3_T4_T5_T6_T7_T9_mT8_P12ihipStream_tbDpT10_ENKUlT_T0_E_clISt17integral_constantIbLb1EES1B_IbLb0EEEEDaS17_S18_EUlS17_E_NS1_11comp_targetILNS1_3genE10ELNS1_11target_archE1200ELNS1_3gpuE4ELNS1_3repE0EEENS1_30default_config_static_selectorELNS0_4arch9wavefront6targetE1EEEvT1_,"axG",@progbits,_ZN7rocprim17ROCPRIM_400000_NS6detail17trampoline_kernelINS0_14default_configENS1_25partition_config_selectorILNS1_17partition_subalgoE8ElNS0_10empty_typeEbEEZZNS1_14partition_implILS5_8ELb0ES3_jPlPS6_PKS6_NS0_5tupleIJS9_S6_EEENSD_IJSA_SA_EEENS0_18inequality_wrapperIZN2at6native12_GLOBAL__N_124unique_dim_cuda_templateIlEESt5tupleIJNSH_6TensorESM_SM_EERKSM_lbbbEUlllE0_EEPmJS6_EEE10hipError_tPvRmT3_T4_T5_T6_T7_T9_mT8_P12ihipStream_tbDpT10_ENKUlT_T0_E_clISt17integral_constantIbLb1EES1B_IbLb0EEEEDaS17_S18_EUlS17_E_NS1_11comp_targetILNS1_3genE10ELNS1_11target_archE1200ELNS1_3gpuE4ELNS1_3repE0EEENS1_30default_config_static_selectorELNS0_4arch9wavefront6targetE1EEEvT1_,comdat
.Lfunc_end584:
	.size	_ZN7rocprim17ROCPRIM_400000_NS6detail17trampoline_kernelINS0_14default_configENS1_25partition_config_selectorILNS1_17partition_subalgoE8ElNS0_10empty_typeEbEEZZNS1_14partition_implILS5_8ELb0ES3_jPlPS6_PKS6_NS0_5tupleIJS9_S6_EEENSD_IJSA_SA_EEENS0_18inequality_wrapperIZN2at6native12_GLOBAL__N_124unique_dim_cuda_templateIlEESt5tupleIJNSH_6TensorESM_SM_EERKSM_lbbbEUlllE0_EEPmJS6_EEE10hipError_tPvRmT3_T4_T5_T6_T7_T9_mT8_P12ihipStream_tbDpT10_ENKUlT_T0_E_clISt17integral_constantIbLb1EES1B_IbLb0EEEEDaS17_S18_EUlS17_E_NS1_11comp_targetILNS1_3genE10ELNS1_11target_archE1200ELNS1_3gpuE4ELNS1_3repE0EEENS1_30default_config_static_selectorELNS0_4arch9wavefront6targetE1EEEvT1_, .Lfunc_end584-_ZN7rocprim17ROCPRIM_400000_NS6detail17trampoline_kernelINS0_14default_configENS1_25partition_config_selectorILNS1_17partition_subalgoE8ElNS0_10empty_typeEbEEZZNS1_14partition_implILS5_8ELb0ES3_jPlPS6_PKS6_NS0_5tupleIJS9_S6_EEENSD_IJSA_SA_EEENS0_18inequality_wrapperIZN2at6native12_GLOBAL__N_124unique_dim_cuda_templateIlEESt5tupleIJNSH_6TensorESM_SM_EERKSM_lbbbEUlllE0_EEPmJS6_EEE10hipError_tPvRmT3_T4_T5_T6_T7_T9_mT8_P12ihipStream_tbDpT10_ENKUlT_T0_E_clISt17integral_constantIbLb1EES1B_IbLb0EEEEDaS17_S18_EUlS17_E_NS1_11comp_targetILNS1_3genE10ELNS1_11target_archE1200ELNS1_3gpuE4ELNS1_3repE0EEENS1_30default_config_static_selectorELNS0_4arch9wavefront6targetE1EEEvT1_
                                        ; -- End function
	.set _ZN7rocprim17ROCPRIM_400000_NS6detail17trampoline_kernelINS0_14default_configENS1_25partition_config_selectorILNS1_17partition_subalgoE8ElNS0_10empty_typeEbEEZZNS1_14partition_implILS5_8ELb0ES3_jPlPS6_PKS6_NS0_5tupleIJS9_S6_EEENSD_IJSA_SA_EEENS0_18inequality_wrapperIZN2at6native12_GLOBAL__N_124unique_dim_cuda_templateIlEESt5tupleIJNSH_6TensorESM_SM_EERKSM_lbbbEUlllE0_EEPmJS6_EEE10hipError_tPvRmT3_T4_T5_T6_T7_T9_mT8_P12ihipStream_tbDpT10_ENKUlT_T0_E_clISt17integral_constantIbLb1EES1B_IbLb0EEEEDaS17_S18_EUlS17_E_NS1_11comp_targetILNS1_3genE10ELNS1_11target_archE1200ELNS1_3gpuE4ELNS1_3repE0EEENS1_30default_config_static_selectorELNS0_4arch9wavefront6targetE1EEEvT1_.num_vgpr, 0
	.set _ZN7rocprim17ROCPRIM_400000_NS6detail17trampoline_kernelINS0_14default_configENS1_25partition_config_selectorILNS1_17partition_subalgoE8ElNS0_10empty_typeEbEEZZNS1_14partition_implILS5_8ELb0ES3_jPlPS6_PKS6_NS0_5tupleIJS9_S6_EEENSD_IJSA_SA_EEENS0_18inequality_wrapperIZN2at6native12_GLOBAL__N_124unique_dim_cuda_templateIlEESt5tupleIJNSH_6TensorESM_SM_EERKSM_lbbbEUlllE0_EEPmJS6_EEE10hipError_tPvRmT3_T4_T5_T6_T7_T9_mT8_P12ihipStream_tbDpT10_ENKUlT_T0_E_clISt17integral_constantIbLb1EES1B_IbLb0EEEEDaS17_S18_EUlS17_E_NS1_11comp_targetILNS1_3genE10ELNS1_11target_archE1200ELNS1_3gpuE4ELNS1_3repE0EEENS1_30default_config_static_selectorELNS0_4arch9wavefront6targetE1EEEvT1_.num_agpr, 0
	.set _ZN7rocprim17ROCPRIM_400000_NS6detail17trampoline_kernelINS0_14default_configENS1_25partition_config_selectorILNS1_17partition_subalgoE8ElNS0_10empty_typeEbEEZZNS1_14partition_implILS5_8ELb0ES3_jPlPS6_PKS6_NS0_5tupleIJS9_S6_EEENSD_IJSA_SA_EEENS0_18inequality_wrapperIZN2at6native12_GLOBAL__N_124unique_dim_cuda_templateIlEESt5tupleIJNSH_6TensorESM_SM_EERKSM_lbbbEUlllE0_EEPmJS6_EEE10hipError_tPvRmT3_T4_T5_T6_T7_T9_mT8_P12ihipStream_tbDpT10_ENKUlT_T0_E_clISt17integral_constantIbLb1EES1B_IbLb0EEEEDaS17_S18_EUlS17_E_NS1_11comp_targetILNS1_3genE10ELNS1_11target_archE1200ELNS1_3gpuE4ELNS1_3repE0EEENS1_30default_config_static_selectorELNS0_4arch9wavefront6targetE1EEEvT1_.numbered_sgpr, 0
	.set _ZN7rocprim17ROCPRIM_400000_NS6detail17trampoline_kernelINS0_14default_configENS1_25partition_config_selectorILNS1_17partition_subalgoE8ElNS0_10empty_typeEbEEZZNS1_14partition_implILS5_8ELb0ES3_jPlPS6_PKS6_NS0_5tupleIJS9_S6_EEENSD_IJSA_SA_EEENS0_18inequality_wrapperIZN2at6native12_GLOBAL__N_124unique_dim_cuda_templateIlEESt5tupleIJNSH_6TensorESM_SM_EERKSM_lbbbEUlllE0_EEPmJS6_EEE10hipError_tPvRmT3_T4_T5_T6_T7_T9_mT8_P12ihipStream_tbDpT10_ENKUlT_T0_E_clISt17integral_constantIbLb1EES1B_IbLb0EEEEDaS17_S18_EUlS17_E_NS1_11comp_targetILNS1_3genE10ELNS1_11target_archE1200ELNS1_3gpuE4ELNS1_3repE0EEENS1_30default_config_static_selectorELNS0_4arch9wavefront6targetE1EEEvT1_.num_named_barrier, 0
	.set _ZN7rocprim17ROCPRIM_400000_NS6detail17trampoline_kernelINS0_14default_configENS1_25partition_config_selectorILNS1_17partition_subalgoE8ElNS0_10empty_typeEbEEZZNS1_14partition_implILS5_8ELb0ES3_jPlPS6_PKS6_NS0_5tupleIJS9_S6_EEENSD_IJSA_SA_EEENS0_18inequality_wrapperIZN2at6native12_GLOBAL__N_124unique_dim_cuda_templateIlEESt5tupleIJNSH_6TensorESM_SM_EERKSM_lbbbEUlllE0_EEPmJS6_EEE10hipError_tPvRmT3_T4_T5_T6_T7_T9_mT8_P12ihipStream_tbDpT10_ENKUlT_T0_E_clISt17integral_constantIbLb1EES1B_IbLb0EEEEDaS17_S18_EUlS17_E_NS1_11comp_targetILNS1_3genE10ELNS1_11target_archE1200ELNS1_3gpuE4ELNS1_3repE0EEENS1_30default_config_static_selectorELNS0_4arch9wavefront6targetE1EEEvT1_.private_seg_size, 0
	.set _ZN7rocprim17ROCPRIM_400000_NS6detail17trampoline_kernelINS0_14default_configENS1_25partition_config_selectorILNS1_17partition_subalgoE8ElNS0_10empty_typeEbEEZZNS1_14partition_implILS5_8ELb0ES3_jPlPS6_PKS6_NS0_5tupleIJS9_S6_EEENSD_IJSA_SA_EEENS0_18inequality_wrapperIZN2at6native12_GLOBAL__N_124unique_dim_cuda_templateIlEESt5tupleIJNSH_6TensorESM_SM_EERKSM_lbbbEUlllE0_EEPmJS6_EEE10hipError_tPvRmT3_T4_T5_T6_T7_T9_mT8_P12ihipStream_tbDpT10_ENKUlT_T0_E_clISt17integral_constantIbLb1EES1B_IbLb0EEEEDaS17_S18_EUlS17_E_NS1_11comp_targetILNS1_3genE10ELNS1_11target_archE1200ELNS1_3gpuE4ELNS1_3repE0EEENS1_30default_config_static_selectorELNS0_4arch9wavefront6targetE1EEEvT1_.uses_vcc, 0
	.set _ZN7rocprim17ROCPRIM_400000_NS6detail17trampoline_kernelINS0_14default_configENS1_25partition_config_selectorILNS1_17partition_subalgoE8ElNS0_10empty_typeEbEEZZNS1_14partition_implILS5_8ELb0ES3_jPlPS6_PKS6_NS0_5tupleIJS9_S6_EEENSD_IJSA_SA_EEENS0_18inequality_wrapperIZN2at6native12_GLOBAL__N_124unique_dim_cuda_templateIlEESt5tupleIJNSH_6TensorESM_SM_EERKSM_lbbbEUlllE0_EEPmJS6_EEE10hipError_tPvRmT3_T4_T5_T6_T7_T9_mT8_P12ihipStream_tbDpT10_ENKUlT_T0_E_clISt17integral_constantIbLb1EES1B_IbLb0EEEEDaS17_S18_EUlS17_E_NS1_11comp_targetILNS1_3genE10ELNS1_11target_archE1200ELNS1_3gpuE4ELNS1_3repE0EEENS1_30default_config_static_selectorELNS0_4arch9wavefront6targetE1EEEvT1_.uses_flat_scratch, 0
	.set _ZN7rocprim17ROCPRIM_400000_NS6detail17trampoline_kernelINS0_14default_configENS1_25partition_config_selectorILNS1_17partition_subalgoE8ElNS0_10empty_typeEbEEZZNS1_14partition_implILS5_8ELb0ES3_jPlPS6_PKS6_NS0_5tupleIJS9_S6_EEENSD_IJSA_SA_EEENS0_18inequality_wrapperIZN2at6native12_GLOBAL__N_124unique_dim_cuda_templateIlEESt5tupleIJNSH_6TensorESM_SM_EERKSM_lbbbEUlllE0_EEPmJS6_EEE10hipError_tPvRmT3_T4_T5_T6_T7_T9_mT8_P12ihipStream_tbDpT10_ENKUlT_T0_E_clISt17integral_constantIbLb1EES1B_IbLb0EEEEDaS17_S18_EUlS17_E_NS1_11comp_targetILNS1_3genE10ELNS1_11target_archE1200ELNS1_3gpuE4ELNS1_3repE0EEENS1_30default_config_static_selectorELNS0_4arch9wavefront6targetE1EEEvT1_.has_dyn_sized_stack, 0
	.set _ZN7rocprim17ROCPRIM_400000_NS6detail17trampoline_kernelINS0_14default_configENS1_25partition_config_selectorILNS1_17partition_subalgoE8ElNS0_10empty_typeEbEEZZNS1_14partition_implILS5_8ELb0ES3_jPlPS6_PKS6_NS0_5tupleIJS9_S6_EEENSD_IJSA_SA_EEENS0_18inequality_wrapperIZN2at6native12_GLOBAL__N_124unique_dim_cuda_templateIlEESt5tupleIJNSH_6TensorESM_SM_EERKSM_lbbbEUlllE0_EEPmJS6_EEE10hipError_tPvRmT3_T4_T5_T6_T7_T9_mT8_P12ihipStream_tbDpT10_ENKUlT_T0_E_clISt17integral_constantIbLb1EES1B_IbLb0EEEEDaS17_S18_EUlS17_E_NS1_11comp_targetILNS1_3genE10ELNS1_11target_archE1200ELNS1_3gpuE4ELNS1_3repE0EEENS1_30default_config_static_selectorELNS0_4arch9wavefront6targetE1EEEvT1_.has_recursion, 0
	.set _ZN7rocprim17ROCPRIM_400000_NS6detail17trampoline_kernelINS0_14default_configENS1_25partition_config_selectorILNS1_17partition_subalgoE8ElNS0_10empty_typeEbEEZZNS1_14partition_implILS5_8ELb0ES3_jPlPS6_PKS6_NS0_5tupleIJS9_S6_EEENSD_IJSA_SA_EEENS0_18inequality_wrapperIZN2at6native12_GLOBAL__N_124unique_dim_cuda_templateIlEESt5tupleIJNSH_6TensorESM_SM_EERKSM_lbbbEUlllE0_EEPmJS6_EEE10hipError_tPvRmT3_T4_T5_T6_T7_T9_mT8_P12ihipStream_tbDpT10_ENKUlT_T0_E_clISt17integral_constantIbLb1EES1B_IbLb0EEEEDaS17_S18_EUlS17_E_NS1_11comp_targetILNS1_3genE10ELNS1_11target_archE1200ELNS1_3gpuE4ELNS1_3repE0EEENS1_30default_config_static_selectorELNS0_4arch9wavefront6targetE1EEEvT1_.has_indirect_call, 0
	.section	.AMDGPU.csdata,"",@progbits
; Kernel info:
; codeLenInByte = 0
; TotalNumSgprs: 6
; NumVgprs: 0
; NumAgprs: 0
; TotalNumVgprs: 0
; ScratchSize: 0
; MemoryBound: 0
; FloatMode: 240
; IeeeMode: 1
; LDSByteSize: 0 bytes/workgroup (compile time only)
; SGPRBlocks: 0
; VGPRBlocks: 0
; NumSGPRsForWavesPerEU: 6
; NumVGPRsForWavesPerEU: 1
; AccumOffset: 4
; Occupancy: 8
; WaveLimiterHint : 0
; COMPUTE_PGM_RSRC2:SCRATCH_EN: 0
; COMPUTE_PGM_RSRC2:USER_SGPR: 2
; COMPUTE_PGM_RSRC2:TRAP_HANDLER: 0
; COMPUTE_PGM_RSRC2:TGID_X_EN: 1
; COMPUTE_PGM_RSRC2:TGID_Y_EN: 0
; COMPUTE_PGM_RSRC2:TGID_Z_EN: 0
; COMPUTE_PGM_RSRC2:TIDIG_COMP_CNT: 0
; COMPUTE_PGM_RSRC3_GFX90A:ACCUM_OFFSET: 0
; COMPUTE_PGM_RSRC3_GFX90A:TG_SPLIT: 0
	.section	.text._ZN7rocprim17ROCPRIM_400000_NS6detail17trampoline_kernelINS0_14default_configENS1_25partition_config_selectorILNS1_17partition_subalgoE8ElNS0_10empty_typeEbEEZZNS1_14partition_implILS5_8ELb0ES3_jPlPS6_PKS6_NS0_5tupleIJS9_S6_EEENSD_IJSA_SA_EEENS0_18inequality_wrapperIZN2at6native12_GLOBAL__N_124unique_dim_cuda_templateIlEESt5tupleIJNSH_6TensorESM_SM_EERKSM_lbbbEUlllE0_EEPmJS6_EEE10hipError_tPvRmT3_T4_T5_T6_T7_T9_mT8_P12ihipStream_tbDpT10_ENKUlT_T0_E_clISt17integral_constantIbLb1EES1B_IbLb0EEEEDaS17_S18_EUlS17_E_NS1_11comp_targetILNS1_3genE9ELNS1_11target_archE1100ELNS1_3gpuE3ELNS1_3repE0EEENS1_30default_config_static_selectorELNS0_4arch9wavefront6targetE1EEEvT1_,"axG",@progbits,_ZN7rocprim17ROCPRIM_400000_NS6detail17trampoline_kernelINS0_14default_configENS1_25partition_config_selectorILNS1_17partition_subalgoE8ElNS0_10empty_typeEbEEZZNS1_14partition_implILS5_8ELb0ES3_jPlPS6_PKS6_NS0_5tupleIJS9_S6_EEENSD_IJSA_SA_EEENS0_18inequality_wrapperIZN2at6native12_GLOBAL__N_124unique_dim_cuda_templateIlEESt5tupleIJNSH_6TensorESM_SM_EERKSM_lbbbEUlllE0_EEPmJS6_EEE10hipError_tPvRmT3_T4_T5_T6_T7_T9_mT8_P12ihipStream_tbDpT10_ENKUlT_T0_E_clISt17integral_constantIbLb1EES1B_IbLb0EEEEDaS17_S18_EUlS17_E_NS1_11comp_targetILNS1_3genE9ELNS1_11target_archE1100ELNS1_3gpuE3ELNS1_3repE0EEENS1_30default_config_static_selectorELNS0_4arch9wavefront6targetE1EEEvT1_,comdat
	.globl	_ZN7rocprim17ROCPRIM_400000_NS6detail17trampoline_kernelINS0_14default_configENS1_25partition_config_selectorILNS1_17partition_subalgoE8ElNS0_10empty_typeEbEEZZNS1_14partition_implILS5_8ELb0ES3_jPlPS6_PKS6_NS0_5tupleIJS9_S6_EEENSD_IJSA_SA_EEENS0_18inequality_wrapperIZN2at6native12_GLOBAL__N_124unique_dim_cuda_templateIlEESt5tupleIJNSH_6TensorESM_SM_EERKSM_lbbbEUlllE0_EEPmJS6_EEE10hipError_tPvRmT3_T4_T5_T6_T7_T9_mT8_P12ihipStream_tbDpT10_ENKUlT_T0_E_clISt17integral_constantIbLb1EES1B_IbLb0EEEEDaS17_S18_EUlS17_E_NS1_11comp_targetILNS1_3genE9ELNS1_11target_archE1100ELNS1_3gpuE3ELNS1_3repE0EEENS1_30default_config_static_selectorELNS0_4arch9wavefront6targetE1EEEvT1_ ; -- Begin function _ZN7rocprim17ROCPRIM_400000_NS6detail17trampoline_kernelINS0_14default_configENS1_25partition_config_selectorILNS1_17partition_subalgoE8ElNS0_10empty_typeEbEEZZNS1_14partition_implILS5_8ELb0ES3_jPlPS6_PKS6_NS0_5tupleIJS9_S6_EEENSD_IJSA_SA_EEENS0_18inequality_wrapperIZN2at6native12_GLOBAL__N_124unique_dim_cuda_templateIlEESt5tupleIJNSH_6TensorESM_SM_EERKSM_lbbbEUlllE0_EEPmJS6_EEE10hipError_tPvRmT3_T4_T5_T6_T7_T9_mT8_P12ihipStream_tbDpT10_ENKUlT_T0_E_clISt17integral_constantIbLb1EES1B_IbLb0EEEEDaS17_S18_EUlS17_E_NS1_11comp_targetILNS1_3genE9ELNS1_11target_archE1100ELNS1_3gpuE3ELNS1_3repE0EEENS1_30default_config_static_selectorELNS0_4arch9wavefront6targetE1EEEvT1_
	.p2align	8
	.type	_ZN7rocprim17ROCPRIM_400000_NS6detail17trampoline_kernelINS0_14default_configENS1_25partition_config_selectorILNS1_17partition_subalgoE8ElNS0_10empty_typeEbEEZZNS1_14partition_implILS5_8ELb0ES3_jPlPS6_PKS6_NS0_5tupleIJS9_S6_EEENSD_IJSA_SA_EEENS0_18inequality_wrapperIZN2at6native12_GLOBAL__N_124unique_dim_cuda_templateIlEESt5tupleIJNSH_6TensorESM_SM_EERKSM_lbbbEUlllE0_EEPmJS6_EEE10hipError_tPvRmT3_T4_T5_T6_T7_T9_mT8_P12ihipStream_tbDpT10_ENKUlT_T0_E_clISt17integral_constantIbLb1EES1B_IbLb0EEEEDaS17_S18_EUlS17_E_NS1_11comp_targetILNS1_3genE9ELNS1_11target_archE1100ELNS1_3gpuE3ELNS1_3repE0EEENS1_30default_config_static_selectorELNS0_4arch9wavefront6targetE1EEEvT1_,@function
_ZN7rocprim17ROCPRIM_400000_NS6detail17trampoline_kernelINS0_14default_configENS1_25partition_config_selectorILNS1_17partition_subalgoE8ElNS0_10empty_typeEbEEZZNS1_14partition_implILS5_8ELb0ES3_jPlPS6_PKS6_NS0_5tupleIJS9_S6_EEENSD_IJSA_SA_EEENS0_18inequality_wrapperIZN2at6native12_GLOBAL__N_124unique_dim_cuda_templateIlEESt5tupleIJNSH_6TensorESM_SM_EERKSM_lbbbEUlllE0_EEPmJS6_EEE10hipError_tPvRmT3_T4_T5_T6_T7_T9_mT8_P12ihipStream_tbDpT10_ENKUlT_T0_E_clISt17integral_constantIbLb1EES1B_IbLb0EEEEDaS17_S18_EUlS17_E_NS1_11comp_targetILNS1_3genE9ELNS1_11target_archE1100ELNS1_3gpuE3ELNS1_3repE0EEENS1_30default_config_static_selectorELNS0_4arch9wavefront6targetE1EEEvT1_: ; @_ZN7rocprim17ROCPRIM_400000_NS6detail17trampoline_kernelINS0_14default_configENS1_25partition_config_selectorILNS1_17partition_subalgoE8ElNS0_10empty_typeEbEEZZNS1_14partition_implILS5_8ELb0ES3_jPlPS6_PKS6_NS0_5tupleIJS9_S6_EEENSD_IJSA_SA_EEENS0_18inequality_wrapperIZN2at6native12_GLOBAL__N_124unique_dim_cuda_templateIlEESt5tupleIJNSH_6TensorESM_SM_EERKSM_lbbbEUlllE0_EEPmJS6_EEE10hipError_tPvRmT3_T4_T5_T6_T7_T9_mT8_P12ihipStream_tbDpT10_ENKUlT_T0_E_clISt17integral_constantIbLb1EES1B_IbLb0EEEEDaS17_S18_EUlS17_E_NS1_11comp_targetILNS1_3genE9ELNS1_11target_archE1100ELNS1_3gpuE3ELNS1_3repE0EEENS1_30default_config_static_selectorELNS0_4arch9wavefront6targetE1EEEvT1_
; %bb.0:
	.section	.rodata,"a",@progbits
	.p2align	6, 0x0
	.amdhsa_kernel _ZN7rocprim17ROCPRIM_400000_NS6detail17trampoline_kernelINS0_14default_configENS1_25partition_config_selectorILNS1_17partition_subalgoE8ElNS0_10empty_typeEbEEZZNS1_14partition_implILS5_8ELb0ES3_jPlPS6_PKS6_NS0_5tupleIJS9_S6_EEENSD_IJSA_SA_EEENS0_18inequality_wrapperIZN2at6native12_GLOBAL__N_124unique_dim_cuda_templateIlEESt5tupleIJNSH_6TensorESM_SM_EERKSM_lbbbEUlllE0_EEPmJS6_EEE10hipError_tPvRmT3_T4_T5_T6_T7_T9_mT8_P12ihipStream_tbDpT10_ENKUlT_T0_E_clISt17integral_constantIbLb1EES1B_IbLb0EEEEDaS17_S18_EUlS17_E_NS1_11comp_targetILNS1_3genE9ELNS1_11target_archE1100ELNS1_3gpuE3ELNS1_3repE0EEENS1_30default_config_static_selectorELNS0_4arch9wavefront6targetE1EEEvT1_
		.amdhsa_group_segment_fixed_size 0
		.amdhsa_private_segment_fixed_size 0
		.amdhsa_kernarg_size 120
		.amdhsa_user_sgpr_count 2
		.amdhsa_user_sgpr_dispatch_ptr 0
		.amdhsa_user_sgpr_queue_ptr 0
		.amdhsa_user_sgpr_kernarg_segment_ptr 1
		.amdhsa_user_sgpr_dispatch_id 0
		.amdhsa_user_sgpr_kernarg_preload_length 0
		.amdhsa_user_sgpr_kernarg_preload_offset 0
		.amdhsa_user_sgpr_private_segment_size 0
		.amdhsa_uses_dynamic_stack 0
		.amdhsa_enable_private_segment 0
		.amdhsa_system_sgpr_workgroup_id_x 1
		.amdhsa_system_sgpr_workgroup_id_y 0
		.amdhsa_system_sgpr_workgroup_id_z 0
		.amdhsa_system_sgpr_workgroup_info 0
		.amdhsa_system_vgpr_workitem_id 0
		.amdhsa_next_free_vgpr 1
		.amdhsa_next_free_sgpr 0
		.amdhsa_accum_offset 4
		.amdhsa_reserve_vcc 0
		.amdhsa_float_round_mode_32 0
		.amdhsa_float_round_mode_16_64 0
		.amdhsa_float_denorm_mode_32 3
		.amdhsa_float_denorm_mode_16_64 3
		.amdhsa_dx10_clamp 1
		.amdhsa_ieee_mode 1
		.amdhsa_fp16_overflow 0
		.amdhsa_tg_split 0
		.amdhsa_exception_fp_ieee_invalid_op 0
		.amdhsa_exception_fp_denorm_src 0
		.amdhsa_exception_fp_ieee_div_zero 0
		.amdhsa_exception_fp_ieee_overflow 0
		.amdhsa_exception_fp_ieee_underflow 0
		.amdhsa_exception_fp_ieee_inexact 0
		.amdhsa_exception_int_div_zero 0
	.end_amdhsa_kernel
	.section	.text._ZN7rocprim17ROCPRIM_400000_NS6detail17trampoline_kernelINS0_14default_configENS1_25partition_config_selectorILNS1_17partition_subalgoE8ElNS0_10empty_typeEbEEZZNS1_14partition_implILS5_8ELb0ES3_jPlPS6_PKS6_NS0_5tupleIJS9_S6_EEENSD_IJSA_SA_EEENS0_18inequality_wrapperIZN2at6native12_GLOBAL__N_124unique_dim_cuda_templateIlEESt5tupleIJNSH_6TensorESM_SM_EERKSM_lbbbEUlllE0_EEPmJS6_EEE10hipError_tPvRmT3_T4_T5_T6_T7_T9_mT8_P12ihipStream_tbDpT10_ENKUlT_T0_E_clISt17integral_constantIbLb1EES1B_IbLb0EEEEDaS17_S18_EUlS17_E_NS1_11comp_targetILNS1_3genE9ELNS1_11target_archE1100ELNS1_3gpuE3ELNS1_3repE0EEENS1_30default_config_static_selectorELNS0_4arch9wavefront6targetE1EEEvT1_,"axG",@progbits,_ZN7rocprim17ROCPRIM_400000_NS6detail17trampoline_kernelINS0_14default_configENS1_25partition_config_selectorILNS1_17partition_subalgoE8ElNS0_10empty_typeEbEEZZNS1_14partition_implILS5_8ELb0ES3_jPlPS6_PKS6_NS0_5tupleIJS9_S6_EEENSD_IJSA_SA_EEENS0_18inequality_wrapperIZN2at6native12_GLOBAL__N_124unique_dim_cuda_templateIlEESt5tupleIJNSH_6TensorESM_SM_EERKSM_lbbbEUlllE0_EEPmJS6_EEE10hipError_tPvRmT3_T4_T5_T6_T7_T9_mT8_P12ihipStream_tbDpT10_ENKUlT_T0_E_clISt17integral_constantIbLb1EES1B_IbLb0EEEEDaS17_S18_EUlS17_E_NS1_11comp_targetILNS1_3genE9ELNS1_11target_archE1100ELNS1_3gpuE3ELNS1_3repE0EEENS1_30default_config_static_selectorELNS0_4arch9wavefront6targetE1EEEvT1_,comdat
.Lfunc_end585:
	.size	_ZN7rocprim17ROCPRIM_400000_NS6detail17trampoline_kernelINS0_14default_configENS1_25partition_config_selectorILNS1_17partition_subalgoE8ElNS0_10empty_typeEbEEZZNS1_14partition_implILS5_8ELb0ES3_jPlPS6_PKS6_NS0_5tupleIJS9_S6_EEENSD_IJSA_SA_EEENS0_18inequality_wrapperIZN2at6native12_GLOBAL__N_124unique_dim_cuda_templateIlEESt5tupleIJNSH_6TensorESM_SM_EERKSM_lbbbEUlllE0_EEPmJS6_EEE10hipError_tPvRmT3_T4_T5_T6_T7_T9_mT8_P12ihipStream_tbDpT10_ENKUlT_T0_E_clISt17integral_constantIbLb1EES1B_IbLb0EEEEDaS17_S18_EUlS17_E_NS1_11comp_targetILNS1_3genE9ELNS1_11target_archE1100ELNS1_3gpuE3ELNS1_3repE0EEENS1_30default_config_static_selectorELNS0_4arch9wavefront6targetE1EEEvT1_, .Lfunc_end585-_ZN7rocprim17ROCPRIM_400000_NS6detail17trampoline_kernelINS0_14default_configENS1_25partition_config_selectorILNS1_17partition_subalgoE8ElNS0_10empty_typeEbEEZZNS1_14partition_implILS5_8ELb0ES3_jPlPS6_PKS6_NS0_5tupleIJS9_S6_EEENSD_IJSA_SA_EEENS0_18inequality_wrapperIZN2at6native12_GLOBAL__N_124unique_dim_cuda_templateIlEESt5tupleIJNSH_6TensorESM_SM_EERKSM_lbbbEUlllE0_EEPmJS6_EEE10hipError_tPvRmT3_T4_T5_T6_T7_T9_mT8_P12ihipStream_tbDpT10_ENKUlT_T0_E_clISt17integral_constantIbLb1EES1B_IbLb0EEEEDaS17_S18_EUlS17_E_NS1_11comp_targetILNS1_3genE9ELNS1_11target_archE1100ELNS1_3gpuE3ELNS1_3repE0EEENS1_30default_config_static_selectorELNS0_4arch9wavefront6targetE1EEEvT1_
                                        ; -- End function
	.set _ZN7rocprim17ROCPRIM_400000_NS6detail17trampoline_kernelINS0_14default_configENS1_25partition_config_selectorILNS1_17partition_subalgoE8ElNS0_10empty_typeEbEEZZNS1_14partition_implILS5_8ELb0ES3_jPlPS6_PKS6_NS0_5tupleIJS9_S6_EEENSD_IJSA_SA_EEENS0_18inequality_wrapperIZN2at6native12_GLOBAL__N_124unique_dim_cuda_templateIlEESt5tupleIJNSH_6TensorESM_SM_EERKSM_lbbbEUlllE0_EEPmJS6_EEE10hipError_tPvRmT3_T4_T5_T6_T7_T9_mT8_P12ihipStream_tbDpT10_ENKUlT_T0_E_clISt17integral_constantIbLb1EES1B_IbLb0EEEEDaS17_S18_EUlS17_E_NS1_11comp_targetILNS1_3genE9ELNS1_11target_archE1100ELNS1_3gpuE3ELNS1_3repE0EEENS1_30default_config_static_selectorELNS0_4arch9wavefront6targetE1EEEvT1_.num_vgpr, 0
	.set _ZN7rocprim17ROCPRIM_400000_NS6detail17trampoline_kernelINS0_14default_configENS1_25partition_config_selectorILNS1_17partition_subalgoE8ElNS0_10empty_typeEbEEZZNS1_14partition_implILS5_8ELb0ES3_jPlPS6_PKS6_NS0_5tupleIJS9_S6_EEENSD_IJSA_SA_EEENS0_18inequality_wrapperIZN2at6native12_GLOBAL__N_124unique_dim_cuda_templateIlEESt5tupleIJNSH_6TensorESM_SM_EERKSM_lbbbEUlllE0_EEPmJS6_EEE10hipError_tPvRmT3_T4_T5_T6_T7_T9_mT8_P12ihipStream_tbDpT10_ENKUlT_T0_E_clISt17integral_constantIbLb1EES1B_IbLb0EEEEDaS17_S18_EUlS17_E_NS1_11comp_targetILNS1_3genE9ELNS1_11target_archE1100ELNS1_3gpuE3ELNS1_3repE0EEENS1_30default_config_static_selectorELNS0_4arch9wavefront6targetE1EEEvT1_.num_agpr, 0
	.set _ZN7rocprim17ROCPRIM_400000_NS6detail17trampoline_kernelINS0_14default_configENS1_25partition_config_selectorILNS1_17partition_subalgoE8ElNS0_10empty_typeEbEEZZNS1_14partition_implILS5_8ELb0ES3_jPlPS6_PKS6_NS0_5tupleIJS9_S6_EEENSD_IJSA_SA_EEENS0_18inequality_wrapperIZN2at6native12_GLOBAL__N_124unique_dim_cuda_templateIlEESt5tupleIJNSH_6TensorESM_SM_EERKSM_lbbbEUlllE0_EEPmJS6_EEE10hipError_tPvRmT3_T4_T5_T6_T7_T9_mT8_P12ihipStream_tbDpT10_ENKUlT_T0_E_clISt17integral_constantIbLb1EES1B_IbLb0EEEEDaS17_S18_EUlS17_E_NS1_11comp_targetILNS1_3genE9ELNS1_11target_archE1100ELNS1_3gpuE3ELNS1_3repE0EEENS1_30default_config_static_selectorELNS0_4arch9wavefront6targetE1EEEvT1_.numbered_sgpr, 0
	.set _ZN7rocprim17ROCPRIM_400000_NS6detail17trampoline_kernelINS0_14default_configENS1_25partition_config_selectorILNS1_17partition_subalgoE8ElNS0_10empty_typeEbEEZZNS1_14partition_implILS5_8ELb0ES3_jPlPS6_PKS6_NS0_5tupleIJS9_S6_EEENSD_IJSA_SA_EEENS0_18inequality_wrapperIZN2at6native12_GLOBAL__N_124unique_dim_cuda_templateIlEESt5tupleIJNSH_6TensorESM_SM_EERKSM_lbbbEUlllE0_EEPmJS6_EEE10hipError_tPvRmT3_T4_T5_T6_T7_T9_mT8_P12ihipStream_tbDpT10_ENKUlT_T0_E_clISt17integral_constantIbLb1EES1B_IbLb0EEEEDaS17_S18_EUlS17_E_NS1_11comp_targetILNS1_3genE9ELNS1_11target_archE1100ELNS1_3gpuE3ELNS1_3repE0EEENS1_30default_config_static_selectorELNS0_4arch9wavefront6targetE1EEEvT1_.num_named_barrier, 0
	.set _ZN7rocprim17ROCPRIM_400000_NS6detail17trampoline_kernelINS0_14default_configENS1_25partition_config_selectorILNS1_17partition_subalgoE8ElNS0_10empty_typeEbEEZZNS1_14partition_implILS5_8ELb0ES3_jPlPS6_PKS6_NS0_5tupleIJS9_S6_EEENSD_IJSA_SA_EEENS0_18inequality_wrapperIZN2at6native12_GLOBAL__N_124unique_dim_cuda_templateIlEESt5tupleIJNSH_6TensorESM_SM_EERKSM_lbbbEUlllE0_EEPmJS6_EEE10hipError_tPvRmT3_T4_T5_T6_T7_T9_mT8_P12ihipStream_tbDpT10_ENKUlT_T0_E_clISt17integral_constantIbLb1EES1B_IbLb0EEEEDaS17_S18_EUlS17_E_NS1_11comp_targetILNS1_3genE9ELNS1_11target_archE1100ELNS1_3gpuE3ELNS1_3repE0EEENS1_30default_config_static_selectorELNS0_4arch9wavefront6targetE1EEEvT1_.private_seg_size, 0
	.set _ZN7rocprim17ROCPRIM_400000_NS6detail17trampoline_kernelINS0_14default_configENS1_25partition_config_selectorILNS1_17partition_subalgoE8ElNS0_10empty_typeEbEEZZNS1_14partition_implILS5_8ELb0ES3_jPlPS6_PKS6_NS0_5tupleIJS9_S6_EEENSD_IJSA_SA_EEENS0_18inequality_wrapperIZN2at6native12_GLOBAL__N_124unique_dim_cuda_templateIlEESt5tupleIJNSH_6TensorESM_SM_EERKSM_lbbbEUlllE0_EEPmJS6_EEE10hipError_tPvRmT3_T4_T5_T6_T7_T9_mT8_P12ihipStream_tbDpT10_ENKUlT_T0_E_clISt17integral_constantIbLb1EES1B_IbLb0EEEEDaS17_S18_EUlS17_E_NS1_11comp_targetILNS1_3genE9ELNS1_11target_archE1100ELNS1_3gpuE3ELNS1_3repE0EEENS1_30default_config_static_selectorELNS0_4arch9wavefront6targetE1EEEvT1_.uses_vcc, 0
	.set _ZN7rocprim17ROCPRIM_400000_NS6detail17trampoline_kernelINS0_14default_configENS1_25partition_config_selectorILNS1_17partition_subalgoE8ElNS0_10empty_typeEbEEZZNS1_14partition_implILS5_8ELb0ES3_jPlPS6_PKS6_NS0_5tupleIJS9_S6_EEENSD_IJSA_SA_EEENS0_18inequality_wrapperIZN2at6native12_GLOBAL__N_124unique_dim_cuda_templateIlEESt5tupleIJNSH_6TensorESM_SM_EERKSM_lbbbEUlllE0_EEPmJS6_EEE10hipError_tPvRmT3_T4_T5_T6_T7_T9_mT8_P12ihipStream_tbDpT10_ENKUlT_T0_E_clISt17integral_constantIbLb1EES1B_IbLb0EEEEDaS17_S18_EUlS17_E_NS1_11comp_targetILNS1_3genE9ELNS1_11target_archE1100ELNS1_3gpuE3ELNS1_3repE0EEENS1_30default_config_static_selectorELNS0_4arch9wavefront6targetE1EEEvT1_.uses_flat_scratch, 0
	.set _ZN7rocprim17ROCPRIM_400000_NS6detail17trampoline_kernelINS0_14default_configENS1_25partition_config_selectorILNS1_17partition_subalgoE8ElNS0_10empty_typeEbEEZZNS1_14partition_implILS5_8ELb0ES3_jPlPS6_PKS6_NS0_5tupleIJS9_S6_EEENSD_IJSA_SA_EEENS0_18inequality_wrapperIZN2at6native12_GLOBAL__N_124unique_dim_cuda_templateIlEESt5tupleIJNSH_6TensorESM_SM_EERKSM_lbbbEUlllE0_EEPmJS6_EEE10hipError_tPvRmT3_T4_T5_T6_T7_T9_mT8_P12ihipStream_tbDpT10_ENKUlT_T0_E_clISt17integral_constantIbLb1EES1B_IbLb0EEEEDaS17_S18_EUlS17_E_NS1_11comp_targetILNS1_3genE9ELNS1_11target_archE1100ELNS1_3gpuE3ELNS1_3repE0EEENS1_30default_config_static_selectorELNS0_4arch9wavefront6targetE1EEEvT1_.has_dyn_sized_stack, 0
	.set _ZN7rocprim17ROCPRIM_400000_NS6detail17trampoline_kernelINS0_14default_configENS1_25partition_config_selectorILNS1_17partition_subalgoE8ElNS0_10empty_typeEbEEZZNS1_14partition_implILS5_8ELb0ES3_jPlPS6_PKS6_NS0_5tupleIJS9_S6_EEENSD_IJSA_SA_EEENS0_18inequality_wrapperIZN2at6native12_GLOBAL__N_124unique_dim_cuda_templateIlEESt5tupleIJNSH_6TensorESM_SM_EERKSM_lbbbEUlllE0_EEPmJS6_EEE10hipError_tPvRmT3_T4_T5_T6_T7_T9_mT8_P12ihipStream_tbDpT10_ENKUlT_T0_E_clISt17integral_constantIbLb1EES1B_IbLb0EEEEDaS17_S18_EUlS17_E_NS1_11comp_targetILNS1_3genE9ELNS1_11target_archE1100ELNS1_3gpuE3ELNS1_3repE0EEENS1_30default_config_static_selectorELNS0_4arch9wavefront6targetE1EEEvT1_.has_recursion, 0
	.set _ZN7rocprim17ROCPRIM_400000_NS6detail17trampoline_kernelINS0_14default_configENS1_25partition_config_selectorILNS1_17partition_subalgoE8ElNS0_10empty_typeEbEEZZNS1_14partition_implILS5_8ELb0ES3_jPlPS6_PKS6_NS0_5tupleIJS9_S6_EEENSD_IJSA_SA_EEENS0_18inequality_wrapperIZN2at6native12_GLOBAL__N_124unique_dim_cuda_templateIlEESt5tupleIJNSH_6TensorESM_SM_EERKSM_lbbbEUlllE0_EEPmJS6_EEE10hipError_tPvRmT3_T4_T5_T6_T7_T9_mT8_P12ihipStream_tbDpT10_ENKUlT_T0_E_clISt17integral_constantIbLb1EES1B_IbLb0EEEEDaS17_S18_EUlS17_E_NS1_11comp_targetILNS1_3genE9ELNS1_11target_archE1100ELNS1_3gpuE3ELNS1_3repE0EEENS1_30default_config_static_selectorELNS0_4arch9wavefront6targetE1EEEvT1_.has_indirect_call, 0
	.section	.AMDGPU.csdata,"",@progbits
; Kernel info:
; codeLenInByte = 0
; TotalNumSgprs: 6
; NumVgprs: 0
; NumAgprs: 0
; TotalNumVgprs: 0
; ScratchSize: 0
; MemoryBound: 0
; FloatMode: 240
; IeeeMode: 1
; LDSByteSize: 0 bytes/workgroup (compile time only)
; SGPRBlocks: 0
; VGPRBlocks: 0
; NumSGPRsForWavesPerEU: 6
; NumVGPRsForWavesPerEU: 1
; AccumOffset: 4
; Occupancy: 8
; WaveLimiterHint : 0
; COMPUTE_PGM_RSRC2:SCRATCH_EN: 0
; COMPUTE_PGM_RSRC2:USER_SGPR: 2
; COMPUTE_PGM_RSRC2:TRAP_HANDLER: 0
; COMPUTE_PGM_RSRC2:TGID_X_EN: 1
; COMPUTE_PGM_RSRC2:TGID_Y_EN: 0
; COMPUTE_PGM_RSRC2:TGID_Z_EN: 0
; COMPUTE_PGM_RSRC2:TIDIG_COMP_CNT: 0
; COMPUTE_PGM_RSRC3_GFX90A:ACCUM_OFFSET: 0
; COMPUTE_PGM_RSRC3_GFX90A:TG_SPLIT: 0
	.section	.text._ZN7rocprim17ROCPRIM_400000_NS6detail17trampoline_kernelINS0_14default_configENS1_25partition_config_selectorILNS1_17partition_subalgoE8ElNS0_10empty_typeEbEEZZNS1_14partition_implILS5_8ELb0ES3_jPlPS6_PKS6_NS0_5tupleIJS9_S6_EEENSD_IJSA_SA_EEENS0_18inequality_wrapperIZN2at6native12_GLOBAL__N_124unique_dim_cuda_templateIlEESt5tupleIJNSH_6TensorESM_SM_EERKSM_lbbbEUlllE0_EEPmJS6_EEE10hipError_tPvRmT3_T4_T5_T6_T7_T9_mT8_P12ihipStream_tbDpT10_ENKUlT_T0_E_clISt17integral_constantIbLb1EES1B_IbLb0EEEEDaS17_S18_EUlS17_E_NS1_11comp_targetILNS1_3genE8ELNS1_11target_archE1030ELNS1_3gpuE2ELNS1_3repE0EEENS1_30default_config_static_selectorELNS0_4arch9wavefront6targetE1EEEvT1_,"axG",@progbits,_ZN7rocprim17ROCPRIM_400000_NS6detail17trampoline_kernelINS0_14default_configENS1_25partition_config_selectorILNS1_17partition_subalgoE8ElNS0_10empty_typeEbEEZZNS1_14partition_implILS5_8ELb0ES3_jPlPS6_PKS6_NS0_5tupleIJS9_S6_EEENSD_IJSA_SA_EEENS0_18inequality_wrapperIZN2at6native12_GLOBAL__N_124unique_dim_cuda_templateIlEESt5tupleIJNSH_6TensorESM_SM_EERKSM_lbbbEUlllE0_EEPmJS6_EEE10hipError_tPvRmT3_T4_T5_T6_T7_T9_mT8_P12ihipStream_tbDpT10_ENKUlT_T0_E_clISt17integral_constantIbLb1EES1B_IbLb0EEEEDaS17_S18_EUlS17_E_NS1_11comp_targetILNS1_3genE8ELNS1_11target_archE1030ELNS1_3gpuE2ELNS1_3repE0EEENS1_30default_config_static_selectorELNS0_4arch9wavefront6targetE1EEEvT1_,comdat
	.globl	_ZN7rocprim17ROCPRIM_400000_NS6detail17trampoline_kernelINS0_14default_configENS1_25partition_config_selectorILNS1_17partition_subalgoE8ElNS0_10empty_typeEbEEZZNS1_14partition_implILS5_8ELb0ES3_jPlPS6_PKS6_NS0_5tupleIJS9_S6_EEENSD_IJSA_SA_EEENS0_18inequality_wrapperIZN2at6native12_GLOBAL__N_124unique_dim_cuda_templateIlEESt5tupleIJNSH_6TensorESM_SM_EERKSM_lbbbEUlllE0_EEPmJS6_EEE10hipError_tPvRmT3_T4_T5_T6_T7_T9_mT8_P12ihipStream_tbDpT10_ENKUlT_T0_E_clISt17integral_constantIbLb1EES1B_IbLb0EEEEDaS17_S18_EUlS17_E_NS1_11comp_targetILNS1_3genE8ELNS1_11target_archE1030ELNS1_3gpuE2ELNS1_3repE0EEENS1_30default_config_static_selectorELNS0_4arch9wavefront6targetE1EEEvT1_ ; -- Begin function _ZN7rocprim17ROCPRIM_400000_NS6detail17trampoline_kernelINS0_14default_configENS1_25partition_config_selectorILNS1_17partition_subalgoE8ElNS0_10empty_typeEbEEZZNS1_14partition_implILS5_8ELb0ES3_jPlPS6_PKS6_NS0_5tupleIJS9_S6_EEENSD_IJSA_SA_EEENS0_18inequality_wrapperIZN2at6native12_GLOBAL__N_124unique_dim_cuda_templateIlEESt5tupleIJNSH_6TensorESM_SM_EERKSM_lbbbEUlllE0_EEPmJS6_EEE10hipError_tPvRmT3_T4_T5_T6_T7_T9_mT8_P12ihipStream_tbDpT10_ENKUlT_T0_E_clISt17integral_constantIbLb1EES1B_IbLb0EEEEDaS17_S18_EUlS17_E_NS1_11comp_targetILNS1_3genE8ELNS1_11target_archE1030ELNS1_3gpuE2ELNS1_3repE0EEENS1_30default_config_static_selectorELNS0_4arch9wavefront6targetE1EEEvT1_
	.p2align	8
	.type	_ZN7rocprim17ROCPRIM_400000_NS6detail17trampoline_kernelINS0_14default_configENS1_25partition_config_selectorILNS1_17partition_subalgoE8ElNS0_10empty_typeEbEEZZNS1_14partition_implILS5_8ELb0ES3_jPlPS6_PKS6_NS0_5tupleIJS9_S6_EEENSD_IJSA_SA_EEENS0_18inequality_wrapperIZN2at6native12_GLOBAL__N_124unique_dim_cuda_templateIlEESt5tupleIJNSH_6TensorESM_SM_EERKSM_lbbbEUlllE0_EEPmJS6_EEE10hipError_tPvRmT3_T4_T5_T6_T7_T9_mT8_P12ihipStream_tbDpT10_ENKUlT_T0_E_clISt17integral_constantIbLb1EES1B_IbLb0EEEEDaS17_S18_EUlS17_E_NS1_11comp_targetILNS1_3genE8ELNS1_11target_archE1030ELNS1_3gpuE2ELNS1_3repE0EEENS1_30default_config_static_selectorELNS0_4arch9wavefront6targetE1EEEvT1_,@function
_ZN7rocprim17ROCPRIM_400000_NS6detail17trampoline_kernelINS0_14default_configENS1_25partition_config_selectorILNS1_17partition_subalgoE8ElNS0_10empty_typeEbEEZZNS1_14partition_implILS5_8ELb0ES3_jPlPS6_PKS6_NS0_5tupleIJS9_S6_EEENSD_IJSA_SA_EEENS0_18inequality_wrapperIZN2at6native12_GLOBAL__N_124unique_dim_cuda_templateIlEESt5tupleIJNSH_6TensorESM_SM_EERKSM_lbbbEUlllE0_EEPmJS6_EEE10hipError_tPvRmT3_T4_T5_T6_T7_T9_mT8_P12ihipStream_tbDpT10_ENKUlT_T0_E_clISt17integral_constantIbLb1EES1B_IbLb0EEEEDaS17_S18_EUlS17_E_NS1_11comp_targetILNS1_3genE8ELNS1_11target_archE1030ELNS1_3gpuE2ELNS1_3repE0EEENS1_30default_config_static_selectorELNS0_4arch9wavefront6targetE1EEEvT1_: ; @_ZN7rocprim17ROCPRIM_400000_NS6detail17trampoline_kernelINS0_14default_configENS1_25partition_config_selectorILNS1_17partition_subalgoE8ElNS0_10empty_typeEbEEZZNS1_14partition_implILS5_8ELb0ES3_jPlPS6_PKS6_NS0_5tupleIJS9_S6_EEENSD_IJSA_SA_EEENS0_18inequality_wrapperIZN2at6native12_GLOBAL__N_124unique_dim_cuda_templateIlEESt5tupleIJNSH_6TensorESM_SM_EERKSM_lbbbEUlllE0_EEPmJS6_EEE10hipError_tPvRmT3_T4_T5_T6_T7_T9_mT8_P12ihipStream_tbDpT10_ENKUlT_T0_E_clISt17integral_constantIbLb1EES1B_IbLb0EEEEDaS17_S18_EUlS17_E_NS1_11comp_targetILNS1_3genE8ELNS1_11target_archE1030ELNS1_3gpuE2ELNS1_3repE0EEENS1_30default_config_static_selectorELNS0_4arch9wavefront6targetE1EEEvT1_
; %bb.0:
	.section	.rodata,"a",@progbits
	.p2align	6, 0x0
	.amdhsa_kernel _ZN7rocprim17ROCPRIM_400000_NS6detail17trampoline_kernelINS0_14default_configENS1_25partition_config_selectorILNS1_17partition_subalgoE8ElNS0_10empty_typeEbEEZZNS1_14partition_implILS5_8ELb0ES3_jPlPS6_PKS6_NS0_5tupleIJS9_S6_EEENSD_IJSA_SA_EEENS0_18inequality_wrapperIZN2at6native12_GLOBAL__N_124unique_dim_cuda_templateIlEESt5tupleIJNSH_6TensorESM_SM_EERKSM_lbbbEUlllE0_EEPmJS6_EEE10hipError_tPvRmT3_T4_T5_T6_T7_T9_mT8_P12ihipStream_tbDpT10_ENKUlT_T0_E_clISt17integral_constantIbLb1EES1B_IbLb0EEEEDaS17_S18_EUlS17_E_NS1_11comp_targetILNS1_3genE8ELNS1_11target_archE1030ELNS1_3gpuE2ELNS1_3repE0EEENS1_30default_config_static_selectorELNS0_4arch9wavefront6targetE1EEEvT1_
		.amdhsa_group_segment_fixed_size 0
		.amdhsa_private_segment_fixed_size 0
		.amdhsa_kernarg_size 120
		.amdhsa_user_sgpr_count 2
		.amdhsa_user_sgpr_dispatch_ptr 0
		.amdhsa_user_sgpr_queue_ptr 0
		.amdhsa_user_sgpr_kernarg_segment_ptr 1
		.amdhsa_user_sgpr_dispatch_id 0
		.amdhsa_user_sgpr_kernarg_preload_length 0
		.amdhsa_user_sgpr_kernarg_preload_offset 0
		.amdhsa_user_sgpr_private_segment_size 0
		.amdhsa_uses_dynamic_stack 0
		.amdhsa_enable_private_segment 0
		.amdhsa_system_sgpr_workgroup_id_x 1
		.amdhsa_system_sgpr_workgroup_id_y 0
		.amdhsa_system_sgpr_workgroup_id_z 0
		.amdhsa_system_sgpr_workgroup_info 0
		.amdhsa_system_vgpr_workitem_id 0
		.amdhsa_next_free_vgpr 1
		.amdhsa_next_free_sgpr 0
		.amdhsa_accum_offset 4
		.amdhsa_reserve_vcc 0
		.amdhsa_float_round_mode_32 0
		.amdhsa_float_round_mode_16_64 0
		.amdhsa_float_denorm_mode_32 3
		.amdhsa_float_denorm_mode_16_64 3
		.amdhsa_dx10_clamp 1
		.amdhsa_ieee_mode 1
		.amdhsa_fp16_overflow 0
		.amdhsa_tg_split 0
		.amdhsa_exception_fp_ieee_invalid_op 0
		.amdhsa_exception_fp_denorm_src 0
		.amdhsa_exception_fp_ieee_div_zero 0
		.amdhsa_exception_fp_ieee_overflow 0
		.amdhsa_exception_fp_ieee_underflow 0
		.amdhsa_exception_fp_ieee_inexact 0
		.amdhsa_exception_int_div_zero 0
	.end_amdhsa_kernel
	.section	.text._ZN7rocprim17ROCPRIM_400000_NS6detail17trampoline_kernelINS0_14default_configENS1_25partition_config_selectorILNS1_17partition_subalgoE8ElNS0_10empty_typeEbEEZZNS1_14partition_implILS5_8ELb0ES3_jPlPS6_PKS6_NS0_5tupleIJS9_S6_EEENSD_IJSA_SA_EEENS0_18inequality_wrapperIZN2at6native12_GLOBAL__N_124unique_dim_cuda_templateIlEESt5tupleIJNSH_6TensorESM_SM_EERKSM_lbbbEUlllE0_EEPmJS6_EEE10hipError_tPvRmT3_T4_T5_T6_T7_T9_mT8_P12ihipStream_tbDpT10_ENKUlT_T0_E_clISt17integral_constantIbLb1EES1B_IbLb0EEEEDaS17_S18_EUlS17_E_NS1_11comp_targetILNS1_3genE8ELNS1_11target_archE1030ELNS1_3gpuE2ELNS1_3repE0EEENS1_30default_config_static_selectorELNS0_4arch9wavefront6targetE1EEEvT1_,"axG",@progbits,_ZN7rocprim17ROCPRIM_400000_NS6detail17trampoline_kernelINS0_14default_configENS1_25partition_config_selectorILNS1_17partition_subalgoE8ElNS0_10empty_typeEbEEZZNS1_14partition_implILS5_8ELb0ES3_jPlPS6_PKS6_NS0_5tupleIJS9_S6_EEENSD_IJSA_SA_EEENS0_18inequality_wrapperIZN2at6native12_GLOBAL__N_124unique_dim_cuda_templateIlEESt5tupleIJNSH_6TensorESM_SM_EERKSM_lbbbEUlllE0_EEPmJS6_EEE10hipError_tPvRmT3_T4_T5_T6_T7_T9_mT8_P12ihipStream_tbDpT10_ENKUlT_T0_E_clISt17integral_constantIbLb1EES1B_IbLb0EEEEDaS17_S18_EUlS17_E_NS1_11comp_targetILNS1_3genE8ELNS1_11target_archE1030ELNS1_3gpuE2ELNS1_3repE0EEENS1_30default_config_static_selectorELNS0_4arch9wavefront6targetE1EEEvT1_,comdat
.Lfunc_end586:
	.size	_ZN7rocprim17ROCPRIM_400000_NS6detail17trampoline_kernelINS0_14default_configENS1_25partition_config_selectorILNS1_17partition_subalgoE8ElNS0_10empty_typeEbEEZZNS1_14partition_implILS5_8ELb0ES3_jPlPS6_PKS6_NS0_5tupleIJS9_S6_EEENSD_IJSA_SA_EEENS0_18inequality_wrapperIZN2at6native12_GLOBAL__N_124unique_dim_cuda_templateIlEESt5tupleIJNSH_6TensorESM_SM_EERKSM_lbbbEUlllE0_EEPmJS6_EEE10hipError_tPvRmT3_T4_T5_T6_T7_T9_mT8_P12ihipStream_tbDpT10_ENKUlT_T0_E_clISt17integral_constantIbLb1EES1B_IbLb0EEEEDaS17_S18_EUlS17_E_NS1_11comp_targetILNS1_3genE8ELNS1_11target_archE1030ELNS1_3gpuE2ELNS1_3repE0EEENS1_30default_config_static_selectorELNS0_4arch9wavefront6targetE1EEEvT1_, .Lfunc_end586-_ZN7rocprim17ROCPRIM_400000_NS6detail17trampoline_kernelINS0_14default_configENS1_25partition_config_selectorILNS1_17partition_subalgoE8ElNS0_10empty_typeEbEEZZNS1_14partition_implILS5_8ELb0ES3_jPlPS6_PKS6_NS0_5tupleIJS9_S6_EEENSD_IJSA_SA_EEENS0_18inequality_wrapperIZN2at6native12_GLOBAL__N_124unique_dim_cuda_templateIlEESt5tupleIJNSH_6TensorESM_SM_EERKSM_lbbbEUlllE0_EEPmJS6_EEE10hipError_tPvRmT3_T4_T5_T6_T7_T9_mT8_P12ihipStream_tbDpT10_ENKUlT_T0_E_clISt17integral_constantIbLb1EES1B_IbLb0EEEEDaS17_S18_EUlS17_E_NS1_11comp_targetILNS1_3genE8ELNS1_11target_archE1030ELNS1_3gpuE2ELNS1_3repE0EEENS1_30default_config_static_selectorELNS0_4arch9wavefront6targetE1EEEvT1_
                                        ; -- End function
	.set _ZN7rocprim17ROCPRIM_400000_NS6detail17trampoline_kernelINS0_14default_configENS1_25partition_config_selectorILNS1_17partition_subalgoE8ElNS0_10empty_typeEbEEZZNS1_14partition_implILS5_8ELb0ES3_jPlPS6_PKS6_NS0_5tupleIJS9_S6_EEENSD_IJSA_SA_EEENS0_18inequality_wrapperIZN2at6native12_GLOBAL__N_124unique_dim_cuda_templateIlEESt5tupleIJNSH_6TensorESM_SM_EERKSM_lbbbEUlllE0_EEPmJS6_EEE10hipError_tPvRmT3_T4_T5_T6_T7_T9_mT8_P12ihipStream_tbDpT10_ENKUlT_T0_E_clISt17integral_constantIbLb1EES1B_IbLb0EEEEDaS17_S18_EUlS17_E_NS1_11comp_targetILNS1_3genE8ELNS1_11target_archE1030ELNS1_3gpuE2ELNS1_3repE0EEENS1_30default_config_static_selectorELNS0_4arch9wavefront6targetE1EEEvT1_.num_vgpr, 0
	.set _ZN7rocprim17ROCPRIM_400000_NS6detail17trampoline_kernelINS0_14default_configENS1_25partition_config_selectorILNS1_17partition_subalgoE8ElNS0_10empty_typeEbEEZZNS1_14partition_implILS5_8ELb0ES3_jPlPS6_PKS6_NS0_5tupleIJS9_S6_EEENSD_IJSA_SA_EEENS0_18inequality_wrapperIZN2at6native12_GLOBAL__N_124unique_dim_cuda_templateIlEESt5tupleIJNSH_6TensorESM_SM_EERKSM_lbbbEUlllE0_EEPmJS6_EEE10hipError_tPvRmT3_T4_T5_T6_T7_T9_mT8_P12ihipStream_tbDpT10_ENKUlT_T0_E_clISt17integral_constantIbLb1EES1B_IbLb0EEEEDaS17_S18_EUlS17_E_NS1_11comp_targetILNS1_3genE8ELNS1_11target_archE1030ELNS1_3gpuE2ELNS1_3repE0EEENS1_30default_config_static_selectorELNS0_4arch9wavefront6targetE1EEEvT1_.num_agpr, 0
	.set _ZN7rocprim17ROCPRIM_400000_NS6detail17trampoline_kernelINS0_14default_configENS1_25partition_config_selectorILNS1_17partition_subalgoE8ElNS0_10empty_typeEbEEZZNS1_14partition_implILS5_8ELb0ES3_jPlPS6_PKS6_NS0_5tupleIJS9_S6_EEENSD_IJSA_SA_EEENS0_18inequality_wrapperIZN2at6native12_GLOBAL__N_124unique_dim_cuda_templateIlEESt5tupleIJNSH_6TensorESM_SM_EERKSM_lbbbEUlllE0_EEPmJS6_EEE10hipError_tPvRmT3_T4_T5_T6_T7_T9_mT8_P12ihipStream_tbDpT10_ENKUlT_T0_E_clISt17integral_constantIbLb1EES1B_IbLb0EEEEDaS17_S18_EUlS17_E_NS1_11comp_targetILNS1_3genE8ELNS1_11target_archE1030ELNS1_3gpuE2ELNS1_3repE0EEENS1_30default_config_static_selectorELNS0_4arch9wavefront6targetE1EEEvT1_.numbered_sgpr, 0
	.set _ZN7rocprim17ROCPRIM_400000_NS6detail17trampoline_kernelINS0_14default_configENS1_25partition_config_selectorILNS1_17partition_subalgoE8ElNS0_10empty_typeEbEEZZNS1_14partition_implILS5_8ELb0ES3_jPlPS6_PKS6_NS0_5tupleIJS9_S6_EEENSD_IJSA_SA_EEENS0_18inequality_wrapperIZN2at6native12_GLOBAL__N_124unique_dim_cuda_templateIlEESt5tupleIJNSH_6TensorESM_SM_EERKSM_lbbbEUlllE0_EEPmJS6_EEE10hipError_tPvRmT3_T4_T5_T6_T7_T9_mT8_P12ihipStream_tbDpT10_ENKUlT_T0_E_clISt17integral_constantIbLb1EES1B_IbLb0EEEEDaS17_S18_EUlS17_E_NS1_11comp_targetILNS1_3genE8ELNS1_11target_archE1030ELNS1_3gpuE2ELNS1_3repE0EEENS1_30default_config_static_selectorELNS0_4arch9wavefront6targetE1EEEvT1_.num_named_barrier, 0
	.set _ZN7rocprim17ROCPRIM_400000_NS6detail17trampoline_kernelINS0_14default_configENS1_25partition_config_selectorILNS1_17partition_subalgoE8ElNS0_10empty_typeEbEEZZNS1_14partition_implILS5_8ELb0ES3_jPlPS6_PKS6_NS0_5tupleIJS9_S6_EEENSD_IJSA_SA_EEENS0_18inequality_wrapperIZN2at6native12_GLOBAL__N_124unique_dim_cuda_templateIlEESt5tupleIJNSH_6TensorESM_SM_EERKSM_lbbbEUlllE0_EEPmJS6_EEE10hipError_tPvRmT3_T4_T5_T6_T7_T9_mT8_P12ihipStream_tbDpT10_ENKUlT_T0_E_clISt17integral_constantIbLb1EES1B_IbLb0EEEEDaS17_S18_EUlS17_E_NS1_11comp_targetILNS1_3genE8ELNS1_11target_archE1030ELNS1_3gpuE2ELNS1_3repE0EEENS1_30default_config_static_selectorELNS0_4arch9wavefront6targetE1EEEvT1_.private_seg_size, 0
	.set _ZN7rocprim17ROCPRIM_400000_NS6detail17trampoline_kernelINS0_14default_configENS1_25partition_config_selectorILNS1_17partition_subalgoE8ElNS0_10empty_typeEbEEZZNS1_14partition_implILS5_8ELb0ES3_jPlPS6_PKS6_NS0_5tupleIJS9_S6_EEENSD_IJSA_SA_EEENS0_18inequality_wrapperIZN2at6native12_GLOBAL__N_124unique_dim_cuda_templateIlEESt5tupleIJNSH_6TensorESM_SM_EERKSM_lbbbEUlllE0_EEPmJS6_EEE10hipError_tPvRmT3_T4_T5_T6_T7_T9_mT8_P12ihipStream_tbDpT10_ENKUlT_T0_E_clISt17integral_constantIbLb1EES1B_IbLb0EEEEDaS17_S18_EUlS17_E_NS1_11comp_targetILNS1_3genE8ELNS1_11target_archE1030ELNS1_3gpuE2ELNS1_3repE0EEENS1_30default_config_static_selectorELNS0_4arch9wavefront6targetE1EEEvT1_.uses_vcc, 0
	.set _ZN7rocprim17ROCPRIM_400000_NS6detail17trampoline_kernelINS0_14default_configENS1_25partition_config_selectorILNS1_17partition_subalgoE8ElNS0_10empty_typeEbEEZZNS1_14partition_implILS5_8ELb0ES3_jPlPS6_PKS6_NS0_5tupleIJS9_S6_EEENSD_IJSA_SA_EEENS0_18inequality_wrapperIZN2at6native12_GLOBAL__N_124unique_dim_cuda_templateIlEESt5tupleIJNSH_6TensorESM_SM_EERKSM_lbbbEUlllE0_EEPmJS6_EEE10hipError_tPvRmT3_T4_T5_T6_T7_T9_mT8_P12ihipStream_tbDpT10_ENKUlT_T0_E_clISt17integral_constantIbLb1EES1B_IbLb0EEEEDaS17_S18_EUlS17_E_NS1_11comp_targetILNS1_3genE8ELNS1_11target_archE1030ELNS1_3gpuE2ELNS1_3repE0EEENS1_30default_config_static_selectorELNS0_4arch9wavefront6targetE1EEEvT1_.uses_flat_scratch, 0
	.set _ZN7rocprim17ROCPRIM_400000_NS6detail17trampoline_kernelINS0_14default_configENS1_25partition_config_selectorILNS1_17partition_subalgoE8ElNS0_10empty_typeEbEEZZNS1_14partition_implILS5_8ELb0ES3_jPlPS6_PKS6_NS0_5tupleIJS9_S6_EEENSD_IJSA_SA_EEENS0_18inequality_wrapperIZN2at6native12_GLOBAL__N_124unique_dim_cuda_templateIlEESt5tupleIJNSH_6TensorESM_SM_EERKSM_lbbbEUlllE0_EEPmJS6_EEE10hipError_tPvRmT3_T4_T5_T6_T7_T9_mT8_P12ihipStream_tbDpT10_ENKUlT_T0_E_clISt17integral_constantIbLb1EES1B_IbLb0EEEEDaS17_S18_EUlS17_E_NS1_11comp_targetILNS1_3genE8ELNS1_11target_archE1030ELNS1_3gpuE2ELNS1_3repE0EEENS1_30default_config_static_selectorELNS0_4arch9wavefront6targetE1EEEvT1_.has_dyn_sized_stack, 0
	.set _ZN7rocprim17ROCPRIM_400000_NS6detail17trampoline_kernelINS0_14default_configENS1_25partition_config_selectorILNS1_17partition_subalgoE8ElNS0_10empty_typeEbEEZZNS1_14partition_implILS5_8ELb0ES3_jPlPS6_PKS6_NS0_5tupleIJS9_S6_EEENSD_IJSA_SA_EEENS0_18inequality_wrapperIZN2at6native12_GLOBAL__N_124unique_dim_cuda_templateIlEESt5tupleIJNSH_6TensorESM_SM_EERKSM_lbbbEUlllE0_EEPmJS6_EEE10hipError_tPvRmT3_T4_T5_T6_T7_T9_mT8_P12ihipStream_tbDpT10_ENKUlT_T0_E_clISt17integral_constantIbLb1EES1B_IbLb0EEEEDaS17_S18_EUlS17_E_NS1_11comp_targetILNS1_3genE8ELNS1_11target_archE1030ELNS1_3gpuE2ELNS1_3repE0EEENS1_30default_config_static_selectorELNS0_4arch9wavefront6targetE1EEEvT1_.has_recursion, 0
	.set _ZN7rocprim17ROCPRIM_400000_NS6detail17trampoline_kernelINS0_14default_configENS1_25partition_config_selectorILNS1_17partition_subalgoE8ElNS0_10empty_typeEbEEZZNS1_14partition_implILS5_8ELb0ES3_jPlPS6_PKS6_NS0_5tupleIJS9_S6_EEENSD_IJSA_SA_EEENS0_18inequality_wrapperIZN2at6native12_GLOBAL__N_124unique_dim_cuda_templateIlEESt5tupleIJNSH_6TensorESM_SM_EERKSM_lbbbEUlllE0_EEPmJS6_EEE10hipError_tPvRmT3_T4_T5_T6_T7_T9_mT8_P12ihipStream_tbDpT10_ENKUlT_T0_E_clISt17integral_constantIbLb1EES1B_IbLb0EEEEDaS17_S18_EUlS17_E_NS1_11comp_targetILNS1_3genE8ELNS1_11target_archE1030ELNS1_3gpuE2ELNS1_3repE0EEENS1_30default_config_static_selectorELNS0_4arch9wavefront6targetE1EEEvT1_.has_indirect_call, 0
	.section	.AMDGPU.csdata,"",@progbits
; Kernel info:
; codeLenInByte = 0
; TotalNumSgprs: 6
; NumVgprs: 0
; NumAgprs: 0
; TotalNumVgprs: 0
; ScratchSize: 0
; MemoryBound: 0
; FloatMode: 240
; IeeeMode: 1
; LDSByteSize: 0 bytes/workgroup (compile time only)
; SGPRBlocks: 0
; VGPRBlocks: 0
; NumSGPRsForWavesPerEU: 6
; NumVGPRsForWavesPerEU: 1
; AccumOffset: 4
; Occupancy: 8
; WaveLimiterHint : 0
; COMPUTE_PGM_RSRC2:SCRATCH_EN: 0
; COMPUTE_PGM_RSRC2:USER_SGPR: 2
; COMPUTE_PGM_RSRC2:TRAP_HANDLER: 0
; COMPUTE_PGM_RSRC2:TGID_X_EN: 1
; COMPUTE_PGM_RSRC2:TGID_Y_EN: 0
; COMPUTE_PGM_RSRC2:TGID_Z_EN: 0
; COMPUTE_PGM_RSRC2:TIDIG_COMP_CNT: 0
; COMPUTE_PGM_RSRC3_GFX90A:ACCUM_OFFSET: 0
; COMPUTE_PGM_RSRC3_GFX90A:TG_SPLIT: 0
	.section	.text._ZN7rocprim17ROCPRIM_400000_NS6detail17trampoline_kernelINS0_14default_configENS1_25partition_config_selectorILNS1_17partition_subalgoE8ElNS0_10empty_typeEbEEZZNS1_14partition_implILS5_8ELb0ES3_jPlPS6_PKS6_NS0_5tupleIJS9_S6_EEENSD_IJSA_SA_EEENS0_18inequality_wrapperIZN2at6native12_GLOBAL__N_124unique_dim_cuda_templateIlEESt5tupleIJNSH_6TensorESM_SM_EERKSM_lbbbEUlllE0_EEPmJS6_EEE10hipError_tPvRmT3_T4_T5_T6_T7_T9_mT8_P12ihipStream_tbDpT10_ENKUlT_T0_E_clISt17integral_constantIbLb0EES1B_IbLb1EEEEDaS17_S18_EUlS17_E_NS1_11comp_targetILNS1_3genE0ELNS1_11target_archE4294967295ELNS1_3gpuE0ELNS1_3repE0EEENS1_30default_config_static_selectorELNS0_4arch9wavefront6targetE1EEEvT1_,"axG",@progbits,_ZN7rocprim17ROCPRIM_400000_NS6detail17trampoline_kernelINS0_14default_configENS1_25partition_config_selectorILNS1_17partition_subalgoE8ElNS0_10empty_typeEbEEZZNS1_14partition_implILS5_8ELb0ES3_jPlPS6_PKS6_NS0_5tupleIJS9_S6_EEENSD_IJSA_SA_EEENS0_18inequality_wrapperIZN2at6native12_GLOBAL__N_124unique_dim_cuda_templateIlEESt5tupleIJNSH_6TensorESM_SM_EERKSM_lbbbEUlllE0_EEPmJS6_EEE10hipError_tPvRmT3_T4_T5_T6_T7_T9_mT8_P12ihipStream_tbDpT10_ENKUlT_T0_E_clISt17integral_constantIbLb0EES1B_IbLb1EEEEDaS17_S18_EUlS17_E_NS1_11comp_targetILNS1_3genE0ELNS1_11target_archE4294967295ELNS1_3gpuE0ELNS1_3repE0EEENS1_30default_config_static_selectorELNS0_4arch9wavefront6targetE1EEEvT1_,comdat
	.globl	_ZN7rocprim17ROCPRIM_400000_NS6detail17trampoline_kernelINS0_14default_configENS1_25partition_config_selectorILNS1_17partition_subalgoE8ElNS0_10empty_typeEbEEZZNS1_14partition_implILS5_8ELb0ES3_jPlPS6_PKS6_NS0_5tupleIJS9_S6_EEENSD_IJSA_SA_EEENS0_18inequality_wrapperIZN2at6native12_GLOBAL__N_124unique_dim_cuda_templateIlEESt5tupleIJNSH_6TensorESM_SM_EERKSM_lbbbEUlllE0_EEPmJS6_EEE10hipError_tPvRmT3_T4_T5_T6_T7_T9_mT8_P12ihipStream_tbDpT10_ENKUlT_T0_E_clISt17integral_constantIbLb0EES1B_IbLb1EEEEDaS17_S18_EUlS17_E_NS1_11comp_targetILNS1_3genE0ELNS1_11target_archE4294967295ELNS1_3gpuE0ELNS1_3repE0EEENS1_30default_config_static_selectorELNS0_4arch9wavefront6targetE1EEEvT1_ ; -- Begin function _ZN7rocprim17ROCPRIM_400000_NS6detail17trampoline_kernelINS0_14default_configENS1_25partition_config_selectorILNS1_17partition_subalgoE8ElNS0_10empty_typeEbEEZZNS1_14partition_implILS5_8ELb0ES3_jPlPS6_PKS6_NS0_5tupleIJS9_S6_EEENSD_IJSA_SA_EEENS0_18inequality_wrapperIZN2at6native12_GLOBAL__N_124unique_dim_cuda_templateIlEESt5tupleIJNSH_6TensorESM_SM_EERKSM_lbbbEUlllE0_EEPmJS6_EEE10hipError_tPvRmT3_T4_T5_T6_T7_T9_mT8_P12ihipStream_tbDpT10_ENKUlT_T0_E_clISt17integral_constantIbLb0EES1B_IbLb1EEEEDaS17_S18_EUlS17_E_NS1_11comp_targetILNS1_3genE0ELNS1_11target_archE4294967295ELNS1_3gpuE0ELNS1_3repE0EEENS1_30default_config_static_selectorELNS0_4arch9wavefront6targetE1EEEvT1_
	.p2align	8
	.type	_ZN7rocprim17ROCPRIM_400000_NS6detail17trampoline_kernelINS0_14default_configENS1_25partition_config_selectorILNS1_17partition_subalgoE8ElNS0_10empty_typeEbEEZZNS1_14partition_implILS5_8ELb0ES3_jPlPS6_PKS6_NS0_5tupleIJS9_S6_EEENSD_IJSA_SA_EEENS0_18inequality_wrapperIZN2at6native12_GLOBAL__N_124unique_dim_cuda_templateIlEESt5tupleIJNSH_6TensorESM_SM_EERKSM_lbbbEUlllE0_EEPmJS6_EEE10hipError_tPvRmT3_T4_T5_T6_T7_T9_mT8_P12ihipStream_tbDpT10_ENKUlT_T0_E_clISt17integral_constantIbLb0EES1B_IbLb1EEEEDaS17_S18_EUlS17_E_NS1_11comp_targetILNS1_3genE0ELNS1_11target_archE4294967295ELNS1_3gpuE0ELNS1_3repE0EEENS1_30default_config_static_selectorELNS0_4arch9wavefront6targetE1EEEvT1_,@function
_ZN7rocprim17ROCPRIM_400000_NS6detail17trampoline_kernelINS0_14default_configENS1_25partition_config_selectorILNS1_17partition_subalgoE8ElNS0_10empty_typeEbEEZZNS1_14partition_implILS5_8ELb0ES3_jPlPS6_PKS6_NS0_5tupleIJS9_S6_EEENSD_IJSA_SA_EEENS0_18inequality_wrapperIZN2at6native12_GLOBAL__N_124unique_dim_cuda_templateIlEESt5tupleIJNSH_6TensorESM_SM_EERKSM_lbbbEUlllE0_EEPmJS6_EEE10hipError_tPvRmT3_T4_T5_T6_T7_T9_mT8_P12ihipStream_tbDpT10_ENKUlT_T0_E_clISt17integral_constantIbLb0EES1B_IbLb1EEEEDaS17_S18_EUlS17_E_NS1_11comp_targetILNS1_3genE0ELNS1_11target_archE4294967295ELNS1_3gpuE0ELNS1_3repE0EEENS1_30default_config_static_selectorELNS0_4arch9wavefront6targetE1EEEvT1_: ; @_ZN7rocprim17ROCPRIM_400000_NS6detail17trampoline_kernelINS0_14default_configENS1_25partition_config_selectorILNS1_17partition_subalgoE8ElNS0_10empty_typeEbEEZZNS1_14partition_implILS5_8ELb0ES3_jPlPS6_PKS6_NS0_5tupleIJS9_S6_EEENSD_IJSA_SA_EEENS0_18inequality_wrapperIZN2at6native12_GLOBAL__N_124unique_dim_cuda_templateIlEESt5tupleIJNSH_6TensorESM_SM_EERKSM_lbbbEUlllE0_EEPmJS6_EEE10hipError_tPvRmT3_T4_T5_T6_T7_T9_mT8_P12ihipStream_tbDpT10_ENKUlT_T0_E_clISt17integral_constantIbLb0EES1B_IbLb1EEEEDaS17_S18_EUlS17_E_NS1_11comp_targetILNS1_3genE0ELNS1_11target_archE4294967295ELNS1_3gpuE0ELNS1_3repE0EEENS1_30default_config_static_selectorELNS0_4arch9wavefront6targetE1EEEvT1_
; %bb.0:
	s_load_dwordx2 s[34:35], s[0:1], 0x28
	s_load_dwordx8 s[20:27], s[0:1], 0x40
	s_load_dwordx4 s[28:31], s[0:1], 0x60
	v_cmp_ne_u32_e64 s[2:3], 0, v0
	v_cmp_eq_u32_e64 s[18:19], 0, v0
	s_and_saveexec_b64 s[4:5], s[18:19]
	s_cbranch_execz .LBB587_4
; %bb.1:
	s_mov_b64 s[8:9], exec
	v_mbcnt_lo_u32_b32 v1, s8, 0
	v_mbcnt_hi_u32_b32 v1, s9, v1
	v_cmp_eq_u32_e32 vcc, 0, v1
                                        ; implicit-def: $vgpr2
	s_and_saveexec_b64 s[6:7], vcc
	s_cbranch_execz .LBB587_3
; %bb.2:
	s_load_dwordx2 s[10:11], s[0:1], 0x78
	s_bcnt1_i32_b64 s8, s[8:9]
	v_mov_b32_e32 v2, 0
	v_mov_b32_e32 v3, s8
	s_waitcnt lgkmcnt(0)
	global_atomic_add v2, v2, v3, s[10:11] sc0
.LBB587_3:
	s_or_b64 exec, exec, s[6:7]
	s_waitcnt vmcnt(0)
	v_readfirstlane_b32 s6, v2
	v_mov_b32_e32 v2, 0
	s_nop 0
	v_add_u32_e32 v1, s6, v1
	ds_write_b32 v2, v1
.LBB587_4:
	s_or_b64 exec, exec, s[4:5]
	v_mov_b32_e32 v3, 0
	s_load_dwordx4 s[4:7], s[0:1], 0x8
	s_load_dword s8, s[0:1], 0x70
	s_waitcnt lgkmcnt(0)
	s_barrier
	ds_read_b32 v1, v3
	s_waitcnt lgkmcnt(0)
	s_barrier
	global_load_dwordx2 v[4:5], v3, s[22:23]
	s_lshl_b64 s[10:11], s[6:7], 3
	s_mul_i32 s9, s8, 0xe00
	s_add_u32 s4, s4, s10
	s_addc_u32 s5, s5, s11
	s_add_i32 s10, s8, -1
	s_add_i32 s8, s9, s6
	s_sub_i32 s50, s24, s8
	s_add_u32 s8, s6, s9
	s_addc_u32 s9, s7, 0
	v_readfirstlane_b32 s33, v1
	v_mov_b64_e32 v[6:7], s[8:9]
	s_cmp_eq_u32 s33, s10
	s_movk_i32 s12, 0xe00
	v_cmp_le_u64_e32 vcc, s[24:25], v[6:7]
	s_cselect_b64 s[24:25], -1, 0
	v_mul_lo_u32 v2, v1, s12
	s_and_b64 s[8:9], vcc, s[24:25]
	v_lshlrev_b64 v[6:7], 3, v[2:3]
	s_xor_b64 s[36:37], s[8:9], -1
	s_mov_b64 s[0:1], -1
	v_lshlrev_b32_e32 v18, 3, v0
	v_lshl_add_u64 v[20:21], s[4:5], 0, v[6:7]
	s_and_b64 vcc, exec, s[36:37]
	s_waitcnt vmcnt(0)
	v_readfirstlane_b32 s22, v4
	v_readfirstlane_b32 s23, v5
	s_cbranch_vccz .LBB587_6
; %bb.5:
	v_lshlrev_b32_e32 v2, 3, v0
	v_lshl_add_u64 v[4:5], v[20:21], 0, v[2:3]
	v_add_co_u32_e32 v8, vcc, 0x1000, v4
	v_readfirstlane_b32 s0, v20
	s_nop 0
	v_addc_co_u32_e32 v9, vcc, 0, v5, vcc
	v_add_co_u32_e32 v10, vcc, 0x2000, v4
	v_readfirstlane_b32 s1, v21
	s_nop 0
	v_addc_co_u32_e32 v11, vcc, 0, v5, vcc
	v_add_co_u32_e32 v12, vcc, 0x3000, v4
	s_nop 1
	v_addc_co_u32_e32 v13, vcc, 0, v5, vcc
	v_add_co_u32_e32 v14, vcc, 0x4000, v4
	global_load_dwordx2 v[6:7], v2, s[0:1]
	s_nop 0
	v_addc_co_u32_e32 v15, vcc, 0, v5, vcc
	global_load_dwordx2 v[16:17], v[8:9], off
	global_load_dwordx2 v[22:23], v[10:11], off
	;; [unrolled: 1-line block ×4, first 2 shown]
	v_add_co_u32_e32 v8, vcc, 0x5000, v4
	s_mov_b64 s[0:1], 0
	s_nop 0
	v_addc_co_u32_e32 v9, vcc, 0, v5, vcc
	v_add_co_u32_e32 v4, vcc, 0x6000, v4
	s_nop 1
	v_addc_co_u32_e32 v5, vcc, 0, v5, vcc
	global_load_dwordx2 v[10:11], v[8:9], off
	global_load_dwordx2 v[12:13], v[4:5], off
	s_waitcnt vmcnt(5)
	ds_write2st64_b64 v2, v[6:7], v[16:17] offset1:8
	s_waitcnt vmcnt(3)
	ds_write2st64_b64 v2, v[22:23], v[24:25] offset0:16 offset1:24
	s_waitcnt vmcnt(1)
	ds_write2st64_b64 v2, v[26:27], v[10:11] offset0:32 offset1:40
	s_waitcnt vmcnt(0)
	ds_write_b64 v2, v[12:13] offset:24576
	s_waitcnt lgkmcnt(0)
	s_barrier
.LBB587_6:
	s_andn2_b64 vcc, exec, s[0:1]
	s_addk_i32 s50, 0xe00
	s_cbranch_vccnz .LBB587_22
; %bb.7:
	v_mov_b32_e32 v2, 0
	v_cmp_gt_u32_e32 vcc, s50, v0
	v_mov_b32_e32 v3, v2
	v_mov_b32_e32 v4, v2
	;; [unrolled: 1-line block ×13, first 2 shown]
	s_and_saveexec_b64 s[0:1], vcc
	s_cbranch_execz .LBB587_9
; %bb.8:
	v_lshlrev_b32_e32 v1, 3, v0
	v_readfirstlane_b32 s4, v20
	v_readfirstlane_b32 s5, v21
	v_mov_b32_e32 v6, v2
	v_mov_b32_e32 v7, v2
	;; [unrolled: 1-line block ×5, first 2 shown]
	global_load_dwordx2 v[4:5], v1, s[4:5]
	v_mov_b32_e32 v11, v2
	v_mov_b32_e32 v12, v2
	;; [unrolled: 1-line block ×7, first 2 shown]
	s_waitcnt vmcnt(0)
	v_mov_b64_e32 v[2:3], v[4:5]
	v_mov_b64_e32 v[4:5], v[6:7]
	;; [unrolled: 1-line block ×8, first 2 shown]
.LBB587_9:
	s_or_b64 exec, exec, s[0:1]
	v_or_b32_e32 v1, 0x200, v0
	v_cmp_gt_u32_e32 vcc, s50, v1
	s_and_saveexec_b64 s[0:1], vcc
	s_cbranch_execz .LBB587_11
; %bb.10:
	v_lshlrev_b32_e32 v1, 3, v1
	v_readfirstlane_b32 s4, v20
	v_readfirstlane_b32 s5, v21
	s_nop 4
	global_load_dwordx2 v[4:5], v1, s[4:5]
.LBB587_11:
	s_or_b64 exec, exec, s[0:1]
	v_or_b32_e32 v1, 0x400, v0
	v_cmp_gt_u32_e32 vcc, s50, v1
	s_and_saveexec_b64 s[0:1], vcc
	s_cbranch_execz .LBB587_13
; %bb.12:
	v_lshlrev_b32_e32 v1, 3, v1
	v_readfirstlane_b32 s4, v20
	v_readfirstlane_b32 s5, v21
	s_nop 4
	global_load_dwordx2 v[6:7], v1, s[4:5]
.LBB587_13:
	;; [unrolled: 12-line block ×6, first 2 shown]
	s_or_b64 exec, exec, s[0:1]
	v_lshlrev_b32_e32 v1, 3, v0
	s_waitcnt vmcnt(0)
	ds_write2st64_b64 v1, v[2:3], v[4:5] offset1:8
	ds_write2st64_b64 v1, v[6:7], v[8:9] offset0:16 offset1:24
	ds_write2st64_b64 v1, v[10:11], v[12:13] offset0:32 offset1:40
	ds_write_b64 v1, v[14:15] offset:24576
	s_waitcnt lgkmcnt(0)
	s_barrier
.LBB587_22:
	v_mul_u32_u24_e32 v1, 7, v0
	v_lshlrev_b32_e32 v26, 3, v1
	ds_read2_b64 v[10:13], v26 offset1:1
	ds_read2_b64 v[6:9], v26 offset0:2 offset1:3
	ds_read2_b64 v[2:5], v26 offset0:4 offset1:5
	ds_read_b64 v[14:15], v26 offset:48
	s_cmp_lg_u32 s33, 0
	s_cselect_b64 s[16:17], -1, 0
	s_cmp_lg_u64 s[6:7], 0
	s_cselect_b64 s[0:1], -1, 0
	s_or_b64 s[0:1], s[0:1], s[16:17]
	s_mov_b64 s[10:11], 0
	s_and_b64 vcc, exec, s[0:1]
	v_cmp_gt_i64_e64 s[4:5], s[26:27], 0
	s_waitcnt lgkmcnt(0)
	s_barrier
	s_cbranch_vccz .LBB587_38
; %bb.23:
	global_load_dwordx2 v[20:21], v[20:21], off offset:-8
	v_cndmask_b32_e64 v16, 0, 1, s[4:5]
	v_lshlrev_b32_e32 v27, 3, v0
	s_mov_b64 s[0:1], 0
	s_and_b64 vcc, exec, s[36:37]
	v_cmp_ne_u32_e64 s[4:5], 1, v16
	ds_write_b64 v27, v[14:15]
	s_cbranch_vccz .LBB587_40
; %bb.24:
	s_and_b64 vcc, exec, s[4:5]
	s_cbranch_vccnz .LBB587_41
; %bb.25:
	v_mul_lo_u32 v19, v5, s26
	v_mul_lo_u32 v22, v4, s27
	v_mad_u64_u32 v[16:17], s[0:1], v4, s26, 0
	v_add3_u32 v17, v17, v22, v19
	v_mul_lo_u32 v19, v15, s26
	v_mul_lo_u32 v24, v14, s27
	v_mad_u64_u32 v[22:23], s[0:1], v14, s26, 0
	s_add_u32 s10, s26, -1
	v_lshl_add_u64 v[16:17], v[16:17], 3, s[28:29]
	v_add3_u32 v23, v23, v24, v19
	s_addc_u32 s11, s27, -1
	v_lshl_add_u64 v[22:23], v[22:23], 3, s[28:29]
	s_mov_b64 s[12:13], 0
	s_mov_b64 s[14:15], s[10:11]
	v_mov_b64_e32 v[24:25], v[16:17]
                                        ; implicit-def: $sgpr6_sgpr7
.LBB587_26:                             ; =>This Inner Loop Header: Depth=1
	global_load_dwordx2 v[28:29], v[24:25], off
	global_load_dwordx2 v[30:31], v[22:23], off
	s_add_u32 s0, s14, -1
	s_addc_u32 s1, s15, -1
	s_cmp_eq_u64 s[14:15], 0
	s_mov_b64 s[14:15], s[0:1]
	s_cselect_b64 s[38:39], -1, 0
	v_lshl_add_u64 v[24:25], v[24:25], 0, 8
	v_lshl_add_u64 v[22:23], v[22:23], 0, 8
	s_waitcnt vmcnt(0)
	v_cmp_ne_u64_e64 s[0:1], v[28:29], v[30:31]
	s_or_b64 s[0:1], s[0:1], s[38:39]
	s_and_b64 s[0:1], exec, s[0:1]
	v_cmp_eq_u64_e32 vcc, v[28:29], v[30:31]
	s_or_b64 s[12:13], s[0:1], s[12:13]
	s_andn2_b64 s[0:1], s[6:7], exec
	s_and_b64 s[6:7], vcc, exec
	s_or_b64 s[6:7], s[0:1], s[6:7]
	s_andn2_b64 exec, exec, s[12:13]
	s_cbranch_execnz .LBB587_26
; %bb.27:
	s_or_b64 exec, exec, s[12:13]
	v_mul_lo_u32 v19, v3, s26
	v_mul_lo_u32 v24, v2, s27
	v_mad_u64_u32 v[22:23], s[0:1], v2, s26, 0
	v_add3_u32 v23, v23, v24, v19
	v_lshl_add_u64 v[22:23], v[22:23], 3, s[28:29]
	s_mov_b64 s[14:15], 0
	s_mov_b64 s[38:39], s[10:11]
	v_mov_b64_e32 v[24:25], v[22:23]
                                        ; implicit-def: $sgpr12_sgpr13
.LBB587_28:                             ; =>This Inner Loop Header: Depth=1
	global_load_dwordx2 v[28:29], v[24:25], off
	global_load_dwordx2 v[30:31], v[16:17], off
	s_add_u32 s0, s38, -1
	s_addc_u32 s1, s39, -1
	s_cmp_eq_u64 s[38:39], 0
	s_mov_b64 s[38:39], s[0:1]
	s_cselect_b64 s[40:41], -1, 0
	v_lshl_add_u64 v[24:25], v[24:25], 0, 8
	v_lshl_add_u64 v[16:17], v[16:17], 0, 8
	s_waitcnt vmcnt(0)
	v_cmp_ne_u64_e64 s[0:1], v[28:29], v[30:31]
	s_or_b64 s[0:1], s[0:1], s[40:41]
	s_and_b64 s[0:1], exec, s[0:1]
	v_cmp_eq_u64_e32 vcc, v[28:29], v[30:31]
	s_or_b64 s[14:15], s[0:1], s[14:15]
	s_andn2_b64 s[0:1], s[12:13], exec
	s_and_b64 s[12:13], vcc, exec
	s_or_b64 s[12:13], s[0:1], s[12:13]
	s_andn2_b64 exec, exec, s[14:15]
	s_cbranch_execnz .LBB587_28
; %bb.29:
	s_or_b64 exec, exec, s[14:15]
	v_mul_lo_u32 v19, v9, s26
	v_mul_lo_u32 v24, v8, s27
	v_mad_u64_u32 v[16:17], s[0:1], v8, s26, 0
	v_add3_u32 v17, v17, v24, v19
	v_lshl_add_u64 v[16:17], v[16:17], 3, s[28:29]
	s_mov_b64 s[38:39], 0
	s_mov_b64 s[40:41], s[10:11]
	v_mov_b64_e32 v[24:25], v[16:17]
                                        ; implicit-def: $sgpr14_sgpr15
.LBB587_30:                             ; =>This Inner Loop Header: Depth=1
	global_load_dwordx2 v[28:29], v[24:25], off
	global_load_dwordx2 v[30:31], v[22:23], off
	s_add_u32 s0, s40, -1
	s_addc_u32 s1, s41, -1
	s_cmp_eq_u64 s[40:41], 0
	s_mov_b64 s[40:41], s[0:1]
	s_cselect_b64 s[42:43], -1, 0
	v_lshl_add_u64 v[24:25], v[24:25], 0, 8
	v_lshl_add_u64 v[22:23], v[22:23], 0, 8
	s_waitcnt vmcnt(0)
	v_cmp_ne_u64_e64 s[0:1], v[28:29], v[30:31]
	s_or_b64 s[0:1], s[0:1], s[42:43]
	s_and_b64 s[0:1], exec, s[0:1]
	v_cmp_eq_u64_e32 vcc, v[28:29], v[30:31]
	s_or_b64 s[38:39], s[0:1], s[38:39]
	s_andn2_b64 s[0:1], s[14:15], exec
	s_and_b64 s[14:15], vcc, exec
	s_or_b64 s[14:15], s[0:1], s[14:15]
	s_andn2_b64 exec, exec, s[38:39]
	s_cbranch_execnz .LBB587_30
; %bb.31:
	s_or_b64 exec, exec, s[38:39]
	v_mul_lo_u32 v19, v7, s26
	v_mul_lo_u32 v24, v6, s27
	v_mad_u64_u32 v[22:23], s[0:1], v6, s26, 0
	v_add3_u32 v23, v23, v24, v19
	v_lshl_add_u64 v[22:23], v[22:23], 3, s[28:29]
	s_mov_b64 s[40:41], 0
	s_mov_b64 s[42:43], s[10:11]
	v_mov_b64_e32 v[24:25], v[22:23]
                                        ; implicit-def: $sgpr38_sgpr39
.LBB587_32:                             ; =>This Inner Loop Header: Depth=1
	global_load_dwordx2 v[28:29], v[24:25], off
	global_load_dwordx2 v[30:31], v[16:17], off
	s_add_u32 s0, s42, -1
	s_addc_u32 s1, s43, -1
	s_cmp_eq_u64 s[42:43], 0
	s_mov_b64 s[42:43], s[0:1]
	s_cselect_b64 s[44:45], -1, 0
	v_lshl_add_u64 v[24:25], v[24:25], 0, 8
	v_lshl_add_u64 v[16:17], v[16:17], 0, 8
	s_waitcnt vmcnt(0)
	v_cmp_ne_u64_e64 s[0:1], v[28:29], v[30:31]
	s_or_b64 s[0:1], s[0:1], s[44:45]
	s_and_b64 s[0:1], exec, s[0:1]
	v_cmp_eq_u64_e32 vcc, v[28:29], v[30:31]
	s_or_b64 s[40:41], s[0:1], s[40:41]
	s_andn2_b64 s[0:1], s[38:39], exec
	s_and_b64 s[38:39], vcc, exec
	s_or_b64 s[38:39], s[0:1], s[38:39]
	s_andn2_b64 exec, exec, s[40:41]
	s_cbranch_execnz .LBB587_32
; %bb.33:
	s_or_b64 exec, exec, s[40:41]
	v_mul_lo_u32 v19, v13, s26
	v_mul_lo_u32 v24, v12, s27
	v_mad_u64_u32 v[16:17], s[0:1], v12, s26, 0
	v_add3_u32 v17, v17, v24, v19
	v_lshl_add_u64 v[16:17], v[16:17], 3, s[28:29]
	s_mov_b64 s[42:43], 0
	s_mov_b64 s[44:45], s[10:11]
	v_mov_b64_e32 v[24:25], v[16:17]
                                        ; implicit-def: $sgpr40_sgpr41
.LBB587_34:                             ; =>This Inner Loop Header: Depth=1
	global_load_dwordx2 v[28:29], v[24:25], off
	global_load_dwordx2 v[30:31], v[22:23], off
	s_add_u32 s0, s44, -1
	s_addc_u32 s1, s45, -1
	s_cmp_eq_u64 s[44:45], 0
	s_mov_b64 s[44:45], s[0:1]
	s_cselect_b64 s[46:47], -1, 0
	v_lshl_add_u64 v[24:25], v[24:25], 0, 8
	v_lshl_add_u64 v[22:23], v[22:23], 0, 8
	s_waitcnt vmcnt(0)
	v_cmp_ne_u64_e64 s[0:1], v[28:29], v[30:31]
	s_or_b64 s[0:1], s[0:1], s[46:47]
	s_and_b64 s[0:1], exec, s[0:1]
	v_cmp_eq_u64_e32 vcc, v[28:29], v[30:31]
	s_or_b64 s[42:43], s[0:1], s[42:43]
	s_andn2_b64 s[0:1], s[40:41], exec
	s_and_b64 s[40:41], vcc, exec
	s_or_b64 s[40:41], s[0:1], s[40:41]
	s_andn2_b64 exec, exec, s[42:43]
	s_cbranch_execnz .LBB587_34
; %bb.35:
	s_or_b64 exec, exec, s[42:43]
	v_mul_lo_u32 v19, v11, s26
	v_mul_lo_u32 v24, v10, s27
	v_mad_u64_u32 v[22:23], s[0:1], v10, s26, 0
	v_add3_u32 v23, v23, v24, v19
	v_lshl_add_u64 v[22:23], v[22:23], 3, s[28:29]
	s_mov_b64 s[44:45], 0
                                        ; implicit-def: $sgpr42_sgpr43
.LBB587_36:                             ; =>This Inner Loop Header: Depth=1
	global_load_dwordx2 v[24:25], v[22:23], off
	global_load_dwordx2 v[28:29], v[16:17], off
	s_add_u32 s0, s10, -1
	s_addc_u32 s1, s11, -1
	s_cmp_eq_u64 s[10:11], 0
	s_mov_b64 s[10:11], s[0:1]
	s_cselect_b64 s[46:47], -1, 0
	v_lshl_add_u64 v[22:23], v[22:23], 0, 8
	v_lshl_add_u64 v[16:17], v[16:17], 0, 8
	s_waitcnt vmcnt(0)
	v_cmp_ne_u64_e64 s[0:1], v[24:25], v[28:29]
	s_or_b64 s[0:1], s[0:1], s[46:47]
	s_and_b64 s[0:1], exec, s[0:1]
	v_cmp_eq_u64_e32 vcc, v[24:25], v[28:29]
	s_or_b64 s[44:45], s[0:1], s[44:45]
	s_andn2_b64 s[0:1], s[42:43], exec
	s_and_b64 s[42:43], vcc, exec
	s_or_b64 s[42:43], s[0:1], s[42:43]
	s_andn2_b64 exec, exec, s[44:45]
	s_cbranch_execnz .LBB587_36
; %bb.37:
	s_or_b64 exec, exec, s[44:45]
	s_xor_b64 s[0:1], s[12:13], -1
	v_cndmask_b32_e64 v40, 0, 1, s[0:1]
	s_xor_b64 s[0:1], s[38:39], -1
	v_cndmask_b32_e64 v16, 0, 1, s[0:1]
	v_lshlrev_b16_e32 v16, 8, v16
	s_xor_b64 s[0:1], s[6:7], -1
	v_lshrrev_b32_e32 v16, 8, v16
	v_mov_b32_e32 v22, 1
	s_xor_b64 s[6:7], s[40:41], -1
	v_cndmask_b32_e64 v19, 0, 1, s[0:1]
	s_xor_b64 s[0:1], s[14:15], -1
	v_and_b32_sdwa v16, v16, v22 dst_sel:BYTE_1 dst_unused:UNUSED_PAD src0_sel:DWORD src1_sel:DWORD
	v_cndmask_b32_e64 v22, 0, 1, s[6:7]
	v_cndmask_b32_e64 v17, 0, 1, s[0:1]
	s_xor_b64 s[0:1], s[42:43], -1
	v_or_b32_sdwa v24, v22, v16 dst_sel:WORD_1 dst_unused:UNUSED_PAD src0_sel:DWORD src1_sel:DWORD
	s_branch .LBB587_42
.LBB587_38:
                                        ; implicit-def: $sgpr0_sgpr1
                                        ; implicit-def: $vgpr19
                                        ; implicit-def: $vgpr40
                                        ; implicit-def: $vgpr17
                                        ; implicit-def: $vgpr22
	s_branch .LBB587_95
.LBB587_39:
                                        ; implicit-def: $vgpr42
                                        ; implicit-def: $vgpr41
                                        ; implicit-def: $vgpr20
	s_branch .LBB587_164
.LBB587_40:
                                        ; implicit-def: $sgpr0_sgpr1
                                        ; implicit-def: $vgpr19
                                        ; implicit-def: $vgpr40
                                        ; implicit-def: $vgpr17
                                        ; implicit-def: $vgpr22
	s_cbranch_execnz .LBB587_49
	s_branch .LBB587_94
.LBB587_41:
	v_mov_b32_e32 v24, 0
	v_mov_b32_e32 v19, 0
	;; [unrolled: 1-line block ×4, first 2 shown]
.LBB587_42:
	s_waitcnt vmcnt(0)
	v_mov_b64_e32 v[22:23], v[20:21]
	s_waitcnt lgkmcnt(0)
	s_barrier
	s_and_saveexec_b64 s[6:7], s[2:3]
; %bb.43:
	v_add_u32_e32 v16, -8, v27
	ds_read_b64 v[22:23], v16
; %bb.44:
	s_or_b64 exec, exec, s[6:7]
	v_cndmask_b32_e64 v25, 0, 1, s[0:1]
	v_lshrrev_b32_e32 v16, 16, v24
	s_mov_b32 s0, 0xc0c0304
	v_perm_b32 v16, v16, v24, s0
	v_lshlrev_b16_e32 v25, 8, v25
	s_movk_i32 s0, 0xff
	v_bitop3_b16 v24, v24, v25, s0 bitop3:0xec
	v_and_b32_e32 v28, 0xffff, v24
	s_mov_b64 s[6:7], 0
	s_and_b64 vcc, exec, s[4:5]
	s_mov_b64 s[0:1], 0
	s_cbranch_vccnz .LBB587_48
; %bb.45:
	s_waitcnt lgkmcnt(0)
	v_mul_lo_u32 v24, v23, s26
	v_mul_lo_u32 v25, v22, s27
	v_mad_u64_u32 v[22:23], s[0:1], v22, s26, 0
	v_add3_u32 v23, v23, v25, v24
	v_mul_lo_u32 v29, v11, s26
	v_mul_lo_u32 v30, v10, s27
	v_mad_u64_u32 v[24:25], s[0:1], v10, s26, 0
	v_add3_u32 v25, v25, v30, v29
	s_add_u32 s14, s26, -1
	v_lshl_add_u64 v[22:23], v[22:23], 3, s[28:29]
	v_lshl_add_u64 v[24:25], v[24:25], 3, s[28:29]
	s_addc_u32 s15, s27, -1
	s_mov_b64 s[10:11], 0
                                        ; implicit-def: $sgpr12_sgpr13
.LBB587_46:                             ; =>This Inner Loop Header: Depth=1
	global_load_dwordx2 v[30:31], v[22:23], off
	global_load_dwordx2 v[32:33], v[24:25], off
	s_add_u32 s0, s14, -1
	s_addc_u32 s1, s15, -1
	s_cmp_eq_u64 s[14:15], 0
	s_mov_b64 s[14:15], s[0:1]
	s_cselect_b64 s[38:39], -1, 0
	v_lshl_add_u64 v[22:23], v[22:23], 0, 8
	v_lshl_add_u64 v[24:25], v[24:25], 0, 8
	s_waitcnt vmcnt(0)
	v_cmp_ne_u64_e64 s[0:1], v[30:31], v[32:33]
	s_or_b64 s[0:1], s[0:1], s[38:39]
	s_and_b64 s[0:1], exec, s[0:1]
	v_cmp_eq_u64_e32 vcc, v[30:31], v[32:33]
	s_or_b64 s[10:11], s[0:1], s[10:11]
	s_andn2_b64 s[0:1], s[12:13], exec
	s_and_b64 s[12:13], vcc, exec
	s_or_b64 s[12:13], s[0:1], s[12:13]
	s_andn2_b64 exec, exec, s[10:11]
	s_cbranch_execnz .LBB587_46
; %bb.47:
	s_or_b64 exec, exec, s[10:11]
	s_xor_b64 s[0:1], s[12:13], -1
.LBB587_48:
	s_waitcnt lgkmcnt(0)
	v_lshl_or_b32 v22, v16, 16, v28
	s_and_b64 vcc, exec, s[6:7]
	s_cbranch_vccz .LBB587_94
.LBB587_49:
	v_add_u32_e32 v16, 6, v1
	v_cmp_gt_u32_e32 vcc, s50, v16
	s_mov_b64 s[10:11], 0
	s_mov_b64 s[6:7], 0
	s_and_saveexec_b64 s[12:13], vcc
	s_cbranch_execz .LBB587_55
; %bb.50:
	s_and_b64 vcc, exec, s[4:5]
	s_mov_b64 s[0:1], 0
	s_cbranch_vccnz .LBB587_54
; %bb.51:
	v_mul_lo_u32 v19, v5, s26
	v_mul_lo_u32 v22, v4, s27
	v_mad_u64_u32 v[16:17], s[0:1], v4, s26, 0
	v_add3_u32 v17, v17, v22, v19
	v_mul_lo_u32 v19, v15, s26
	v_mul_lo_u32 v24, v14, s27
	v_mad_u64_u32 v[22:23], s[0:1], v14, s26, 0
	v_add3_u32 v23, v23, v24, v19
	s_add_u32 s38, s26, -1
	v_lshl_add_u64 v[16:17], v[16:17], 3, s[28:29]
	v_lshl_add_u64 v[22:23], v[22:23], 3, s[28:29]
	s_addc_u32 s39, s27, -1
                                        ; implicit-def: $sgpr14_sgpr15
.LBB587_52:                             ; =>This Inner Loop Header: Depth=1
	global_load_dwordx2 v[24:25], v[16:17], off
	global_load_dwordx2 v[28:29], v[22:23], off
	s_add_u32 s0, s38, -1
	s_addc_u32 s1, s39, -1
	s_cmp_eq_u64 s[38:39], 0
	s_mov_b64 s[38:39], s[0:1]
	s_cselect_b64 s[40:41], -1, 0
	v_lshl_add_u64 v[16:17], v[16:17], 0, 8
	v_lshl_add_u64 v[22:23], v[22:23], 0, 8
	s_waitcnt vmcnt(0)
	v_cmp_ne_u64_e64 s[0:1], v[24:25], v[28:29]
	s_or_b64 s[0:1], s[0:1], s[40:41]
	s_and_b64 s[0:1], exec, s[0:1]
	v_cmp_eq_u64_e32 vcc, v[24:25], v[28:29]
	s_or_b64 s[6:7], s[0:1], s[6:7]
	s_andn2_b64 s[0:1], s[14:15], exec
	s_and_b64 s[14:15], vcc, exec
	s_or_b64 s[14:15], s[0:1], s[14:15]
	s_andn2_b64 exec, exec, s[6:7]
	s_cbranch_execnz .LBB587_52
; %bb.53:
	s_or_b64 exec, exec, s[6:7]
	s_xor_b64 s[0:1], s[14:15], -1
.LBB587_54:
	s_and_b64 s[6:7], s[0:1], exec
.LBB587_55:
	s_or_b64 exec, exec, s[12:13]
	v_add_u32_e32 v16, 5, v1
	v_cmp_gt_u32_e32 vcc, s50, v16
	s_and_saveexec_b64 s[12:13], vcc
	s_cbranch_execz .LBB587_61
; %bb.56:
	s_and_b64 vcc, exec, s[4:5]
	s_mov_b64 s[0:1], 0
	s_cbranch_vccnz .LBB587_60
; %bb.57:
	v_mul_lo_u32 v19, v3, s26
	v_mul_lo_u32 v22, v2, s27
	v_mad_u64_u32 v[16:17], s[0:1], v2, s26, 0
	v_add3_u32 v17, v17, v22, v19
	v_mul_lo_u32 v19, v5, s26
	v_mul_lo_u32 v24, v4, s27
	v_mad_u64_u32 v[22:23], s[0:1], v4, s26, 0
	v_add3_u32 v23, v23, v24, v19
	s_add_u32 s38, s26, -1
	v_lshl_add_u64 v[16:17], v[16:17], 3, s[28:29]
	v_lshl_add_u64 v[22:23], v[22:23], 3, s[28:29]
	s_addc_u32 s39, s27, -1
	s_mov_b64 s[10:11], 0
                                        ; implicit-def: $sgpr14_sgpr15
.LBB587_58:                             ; =>This Inner Loop Header: Depth=1
	global_load_dwordx2 v[24:25], v[16:17], off
	global_load_dwordx2 v[28:29], v[22:23], off
	s_add_u32 s0, s38, -1
	s_addc_u32 s1, s39, -1
	s_cmp_eq_u64 s[38:39], 0
	s_mov_b64 s[38:39], s[0:1]
	s_cselect_b64 s[40:41], -1, 0
	v_lshl_add_u64 v[16:17], v[16:17], 0, 8
	v_lshl_add_u64 v[22:23], v[22:23], 0, 8
	s_waitcnt vmcnt(0)
	v_cmp_ne_u64_e64 s[0:1], v[24:25], v[28:29]
	s_or_b64 s[0:1], s[0:1], s[40:41]
	s_and_b64 s[0:1], exec, s[0:1]
	v_cmp_eq_u64_e32 vcc, v[24:25], v[28:29]
	s_or_b64 s[10:11], s[0:1], s[10:11]
	s_andn2_b64 s[0:1], s[14:15], exec
	s_and_b64 s[14:15], vcc, exec
	s_or_b64 s[14:15], s[0:1], s[14:15]
	s_andn2_b64 exec, exec, s[10:11]
	s_cbranch_execnz .LBB587_58
; %bb.59:
	s_or_b64 exec, exec, s[10:11]
	s_xor_b64 s[0:1], s[14:15], -1
.LBB587_60:
	s_and_b64 s[10:11], s[0:1], exec
.LBB587_61:
	s_or_b64 exec, exec, s[12:13]
	v_add_u32_e32 v16, 4, v1
	v_cmp_gt_u32_e32 vcc, s50, v16
	s_mov_b64 s[14:15], 0
	s_mov_b64 s[12:13], 0
	s_and_saveexec_b64 s[38:39], vcc
	s_cbranch_execz .LBB587_67
; %bb.62:
	s_and_b64 vcc, exec, s[4:5]
	s_mov_b64 s[0:1], 0
	s_cbranch_vccnz .LBB587_66
; %bb.63:
	v_mul_lo_u32 v19, v9, s26
	v_mul_lo_u32 v22, v8, s27
	v_mad_u64_u32 v[16:17], s[0:1], v8, s26, 0
	v_add3_u32 v17, v17, v22, v19
	v_mul_lo_u32 v19, v3, s26
	v_mul_lo_u32 v24, v2, s27
	v_mad_u64_u32 v[22:23], s[0:1], v2, s26, 0
	v_add3_u32 v23, v23, v24, v19
	s_add_u32 s42, s26, -1
	v_lshl_add_u64 v[16:17], v[16:17], 3, s[28:29]
	v_lshl_add_u64 v[22:23], v[22:23], 3, s[28:29]
	s_addc_u32 s43, s27, -1
                                        ; implicit-def: $sgpr40_sgpr41
.LBB587_64:                             ; =>This Inner Loop Header: Depth=1
	global_load_dwordx2 v[24:25], v[16:17], off
	global_load_dwordx2 v[28:29], v[22:23], off
	s_add_u32 s0, s42, -1
	s_addc_u32 s1, s43, -1
	s_cmp_eq_u64 s[42:43], 0
	s_mov_b64 s[42:43], s[0:1]
	s_cselect_b64 s[44:45], -1, 0
	v_lshl_add_u64 v[16:17], v[16:17], 0, 8
	v_lshl_add_u64 v[22:23], v[22:23], 0, 8
	s_waitcnt vmcnt(0)
	v_cmp_ne_u64_e64 s[0:1], v[24:25], v[28:29]
	s_or_b64 s[0:1], s[0:1], s[44:45]
	s_and_b64 s[0:1], exec, s[0:1]
	v_cmp_eq_u64_e32 vcc, v[24:25], v[28:29]
	s_or_b64 s[12:13], s[0:1], s[12:13]
	s_andn2_b64 s[0:1], s[40:41], exec
	s_and_b64 s[40:41], vcc, exec
	s_or_b64 s[40:41], s[0:1], s[40:41]
	s_andn2_b64 exec, exec, s[12:13]
	s_cbranch_execnz .LBB587_64
; %bb.65:
	s_or_b64 exec, exec, s[12:13]
	s_xor_b64 s[0:1], s[40:41], -1
.LBB587_66:
	s_and_b64 s[12:13], s[0:1], exec
.LBB587_67:
	s_or_b64 exec, exec, s[38:39]
	v_add_u32_e32 v16, 3, v1
	v_cmp_gt_u32_e32 vcc, s50, v16
	s_and_saveexec_b64 s[38:39], vcc
	s_cbranch_execz .LBB587_73
; %bb.68:
	s_and_b64 vcc, exec, s[4:5]
	s_mov_b64 s[0:1], 0
	s_cbranch_vccnz .LBB587_72
; %bb.69:
	v_mul_lo_u32 v19, v7, s26
	v_mul_lo_u32 v22, v6, s27
	v_mad_u64_u32 v[16:17], s[0:1], v6, s26, 0
	v_add3_u32 v17, v17, v22, v19
	v_mul_lo_u32 v19, v9, s26
	v_mul_lo_u32 v24, v8, s27
	v_mad_u64_u32 v[22:23], s[0:1], v8, s26, 0
	v_add3_u32 v23, v23, v24, v19
	s_add_u32 s42, s26, -1
	v_lshl_add_u64 v[16:17], v[16:17], 3, s[28:29]
	v_lshl_add_u64 v[22:23], v[22:23], 3, s[28:29]
	s_addc_u32 s43, s27, -1
	s_mov_b64 s[14:15], 0
                                        ; implicit-def: $sgpr40_sgpr41
.LBB587_70:                             ; =>This Inner Loop Header: Depth=1
	global_load_dwordx2 v[24:25], v[16:17], off
	global_load_dwordx2 v[28:29], v[22:23], off
	s_add_u32 s0, s42, -1
	s_addc_u32 s1, s43, -1
	s_cmp_eq_u64 s[42:43], 0
	s_mov_b64 s[42:43], s[0:1]
	s_cselect_b64 s[44:45], -1, 0
	v_lshl_add_u64 v[16:17], v[16:17], 0, 8
	v_lshl_add_u64 v[22:23], v[22:23], 0, 8
	s_waitcnt vmcnt(0)
	v_cmp_ne_u64_e64 s[0:1], v[24:25], v[28:29]
	s_or_b64 s[0:1], s[0:1], s[44:45]
	s_and_b64 s[0:1], exec, s[0:1]
	v_cmp_eq_u64_e32 vcc, v[24:25], v[28:29]
	s_or_b64 s[14:15], s[0:1], s[14:15]
	s_andn2_b64 s[0:1], s[40:41], exec
	s_and_b64 s[40:41], vcc, exec
	s_or_b64 s[40:41], s[0:1], s[40:41]
	s_andn2_b64 exec, exec, s[14:15]
	s_cbranch_execnz .LBB587_70
; %bb.71:
	s_or_b64 exec, exec, s[14:15]
	s_xor_b64 s[0:1], s[40:41], -1
.LBB587_72:
	s_and_b64 s[14:15], s[0:1], exec
.LBB587_73:
	s_or_b64 exec, exec, s[38:39]
	v_add_u32_e32 v16, 2, v1
	v_cmp_gt_u32_e32 vcc, s50, v16
	s_mov_b64 s[38:39], 0
	s_mov_b64 s[40:41], 0
	s_and_saveexec_b64 s[42:43], vcc
	s_cbranch_execz .LBB587_79
; %bb.74:
	s_and_b64 vcc, exec, s[4:5]
	s_mov_b64 s[0:1], 0
	s_cbranch_vccnz .LBB587_78
; %bb.75:
	v_mul_lo_u32 v19, v13, s26
	v_mul_lo_u32 v22, v12, s27
	v_mad_u64_u32 v[16:17], s[0:1], v12, s26, 0
	v_add3_u32 v17, v17, v22, v19
	v_mul_lo_u32 v19, v7, s26
	v_mul_lo_u32 v24, v6, s27
	v_mad_u64_u32 v[22:23], s[0:1], v6, s26, 0
	v_add3_u32 v23, v23, v24, v19
	s_add_u32 s46, s26, -1
	v_lshl_add_u64 v[16:17], v[16:17], 3, s[28:29]
	v_lshl_add_u64 v[22:23], v[22:23], 3, s[28:29]
	s_addc_u32 s47, s27, -1
                                        ; implicit-def: $sgpr44_sgpr45
.LBB587_76:                             ; =>This Inner Loop Header: Depth=1
	global_load_dwordx2 v[24:25], v[16:17], off
	global_load_dwordx2 v[28:29], v[22:23], off
	s_add_u32 s0, s46, -1
	s_addc_u32 s1, s47, -1
	s_cmp_eq_u64 s[46:47], 0
	s_mov_b64 s[46:47], s[0:1]
	s_cselect_b64 s[48:49], -1, 0
	v_lshl_add_u64 v[16:17], v[16:17], 0, 8
	v_lshl_add_u64 v[22:23], v[22:23], 0, 8
	s_waitcnt vmcnt(0)
	v_cmp_ne_u64_e64 s[0:1], v[24:25], v[28:29]
	s_or_b64 s[0:1], s[0:1], s[48:49]
	s_and_b64 s[0:1], exec, s[0:1]
	v_cmp_eq_u64_e32 vcc, v[24:25], v[28:29]
	s_or_b64 s[40:41], s[0:1], s[40:41]
	s_andn2_b64 s[0:1], s[44:45], exec
	s_and_b64 s[44:45], vcc, exec
	s_or_b64 s[44:45], s[0:1], s[44:45]
	s_andn2_b64 exec, exec, s[40:41]
	s_cbranch_execnz .LBB587_76
; %bb.77:
	s_or_b64 exec, exec, s[40:41]
	s_xor_b64 s[0:1], s[44:45], -1
.LBB587_78:
	s_and_b64 s[40:41], s[0:1], exec
.LBB587_79:
	s_or_b64 exec, exec, s[42:43]
	v_add_u32_e32 v16, 1, v1
	v_cmp_gt_u32_e32 vcc, s50, v16
	s_and_saveexec_b64 s[42:43], vcc
	s_cbranch_execz .LBB587_85
; %bb.80:
	s_and_b64 vcc, exec, s[4:5]
	s_mov_b64 s[0:1], 0
	s_cbranch_vccnz .LBB587_84
; %bb.81:
	v_mul_lo_u32 v19, v11, s26
	v_mul_lo_u32 v22, v10, s27
	v_mad_u64_u32 v[16:17], s[0:1], v10, s26, 0
	v_add3_u32 v17, v17, v22, v19
	v_mul_lo_u32 v19, v13, s26
	v_mul_lo_u32 v24, v12, s27
	v_mad_u64_u32 v[22:23], s[0:1], v12, s26, 0
	v_add3_u32 v23, v23, v24, v19
	s_add_u32 s46, s26, -1
	v_lshl_add_u64 v[16:17], v[16:17], 3, s[28:29]
	v_lshl_add_u64 v[22:23], v[22:23], 3, s[28:29]
	s_addc_u32 s47, s27, -1
	s_mov_b64 s[38:39], 0
                                        ; implicit-def: $sgpr44_sgpr45
.LBB587_82:                             ; =>This Inner Loop Header: Depth=1
	global_load_dwordx2 v[24:25], v[16:17], off
	global_load_dwordx2 v[28:29], v[22:23], off
	s_add_u32 s0, s46, -1
	s_addc_u32 s1, s47, -1
	s_cmp_eq_u64 s[46:47], 0
	s_mov_b64 s[46:47], s[0:1]
	s_cselect_b64 s[48:49], -1, 0
	v_lshl_add_u64 v[16:17], v[16:17], 0, 8
	v_lshl_add_u64 v[22:23], v[22:23], 0, 8
	s_waitcnt vmcnt(0)
	v_cmp_ne_u64_e64 s[0:1], v[24:25], v[28:29]
	s_or_b64 s[0:1], s[0:1], s[48:49]
	s_and_b64 s[0:1], exec, s[0:1]
	v_cmp_eq_u64_e32 vcc, v[24:25], v[28:29]
	s_or_b64 s[38:39], s[0:1], s[38:39]
	s_andn2_b64 s[0:1], s[44:45], exec
	s_and_b64 s[44:45], vcc, exec
	s_or_b64 s[44:45], s[0:1], s[44:45]
	s_andn2_b64 exec, exec, s[38:39]
	s_cbranch_execnz .LBB587_82
; %bb.83:
	s_or_b64 exec, exec, s[38:39]
	s_xor_b64 s[0:1], s[44:45], -1
.LBB587_84:
	s_and_b64 s[38:39], s[0:1], exec
.LBB587_85:
	s_or_b64 exec, exec, s[42:43]
	s_waitcnt lgkmcnt(0)
	s_barrier
	s_and_saveexec_b64 s[0:1], s[2:3]
	s_cbranch_execz .LBB587_87
; %bb.86:
	v_add_u32_e32 v16, -8, v27
	s_waitcnt vmcnt(0)
	ds_read_b64 v[20:21], v16
.LBB587_87:
	s_or_b64 exec, exec, s[0:1]
	v_cndmask_b32_e64 v17, 0, 1, s[14:15]
	v_cndmask_b32_e64 v16, 0, 1, s[40:41]
	;; [unrolled: 1-line block ×3, first 2 shown]
	v_lshlrev_b16_e32 v17, 8, v17
	v_cmp_gt_u32_e32 vcc, s50, v1
	v_lshlrev_b16_e32 v22, 8, v19
	v_or_b32_sdwa v23, v16, v17 dst_sel:WORD_1 dst_unused:UNUSED_PAD src0_sel:DWORD src1_sel:DWORD
	s_mov_b64 s[0:1], 0
	s_and_saveexec_b64 s[14:15], vcc
	s_cbranch_execz .LBB587_93
; %bb.88:
	s_and_b64 vcc, exec, s[4:5]
	s_cbranch_vccnz .LBB587_92
; %bb.89:
	s_waitcnt vmcnt(0) lgkmcnt(0)
	v_mul_lo_u32 v19, v21, s26
	v_mul_lo_u32 v21, v20, s27
	v_mad_u64_u32 v[16:17], s[0:1], v20, s26, 0
	v_add3_u32 v17, v17, v21, v19
	v_mul_lo_u32 v19, v11, s26
	v_mul_lo_u32 v24, v10, s27
	v_mad_u64_u32 v[20:21], s[0:1], v10, s26, 0
	v_add3_u32 v21, v21, v24, v19
	s_add_u32 s40, s26, -1
	v_lshl_add_u64 v[16:17], v[16:17], 3, s[28:29]
	v_lshl_add_u64 v[20:21], v[20:21], 3, s[28:29]
	s_addc_u32 s41, s27, -1
	s_mov_b64 s[4:5], 0
                                        ; implicit-def: $sgpr38_sgpr39
.LBB587_90:                             ; =>This Inner Loop Header: Depth=1
	global_load_dwordx2 v[24:25], v[16:17], off
	global_load_dwordx2 v[28:29], v[20:21], off
	s_add_u32 s0, s40, -1
	s_addc_u32 s1, s41, -1
	s_cmp_eq_u64 s[40:41], 0
	s_mov_b64 s[40:41], s[0:1]
	s_cselect_b64 s[42:43], -1, 0
	v_lshl_add_u64 v[16:17], v[16:17], 0, 8
	v_lshl_add_u64 v[20:21], v[20:21], 0, 8
	s_waitcnt vmcnt(0)
	v_cmp_ne_u64_e64 s[0:1], v[24:25], v[28:29]
	s_or_b64 s[0:1], s[0:1], s[42:43]
	s_and_b64 s[0:1], exec, s[0:1]
	v_cmp_eq_u64_e32 vcc, v[24:25], v[28:29]
	s_or_b64 s[4:5], s[0:1], s[4:5]
	s_andn2_b64 s[0:1], s[38:39], exec
	s_and_b64 s[38:39], vcc, exec
	s_or_b64 s[38:39], s[0:1], s[38:39]
	s_andn2_b64 exec, exec, s[4:5]
	s_cbranch_execnz .LBB587_90
; %bb.91:
	s_or_b64 exec, exec, s[4:5]
	s_xor_b64 s[0:1], s[38:39], -1
.LBB587_92:
	s_and_b64 s[0:1], s[0:1], exec
.LBB587_93:
	s_or_b64 exec, exec, s[14:15]
	v_cndmask_b32_e64 v17, 0, 1, s[12:13]
	v_cndmask_b32_e64 v40, 0, 1, s[10:11]
	;; [unrolled: 1-line block ×3, first 2 shown]
	v_or_b32_e32 v22, v22, v23
.LBB587_94:
	s_mov_b64 s[10:11], -1
	s_cbranch_execnz .LBB587_39
.LBB587_95:
	s_movk_i32 s0, 0xffd0
	v_mad_i32_i24 v26, v0, s0, v26
	s_mov_b64 s[0:1], 0
	v_cmp_gt_i64_e64 s[6:7], s[26:27], 0
	s_and_b64 vcc, exec, s[36:37]
	ds_write_b64 v26, v[14:15]
	s_cbranch_vccz .LBB587_110
; %bb.96:
	v_cndmask_b32_e64 v16, 0, 1, s[6:7]
	v_cmp_ne_u32_e64 s[4:5], 1, v16
	s_andn2_b64 vcc, exec, s[6:7]
	s_cbranch_vccnz .LBB587_111
; %bb.97:
	v_mul_lo_u32 v19, v5, s26
	s_waitcnt vmcnt(0) lgkmcnt(1)
	v_mul_lo_u32 v20, v4, s27
	v_mad_u64_u32 v[16:17], s[0:1], v4, s26, 0
	v_add3_u32 v17, v17, v20, v19
	v_mul_lo_u32 v19, v15, s26
	v_mul_lo_u32 v22, v14, s27
	v_mad_u64_u32 v[20:21], s[0:1], v14, s26, 0
	s_add_u32 s14, s26, -1
	v_lshl_add_u64 v[16:17], v[16:17], 3, s[28:29]
	v_add3_u32 v21, v21, v22, v19
	s_addc_u32 s15, s27, -1
	v_lshl_add_u64 v[20:21], v[20:21], 3, s[28:29]
	s_mov_b64 s[38:39], 0
	s_mov_b64 s[40:41], s[14:15]
	v_mov_b64_e32 v[22:23], v[16:17]
                                        ; implicit-def: $sgpr12_sgpr13
.LBB587_98:                             ; =>This Inner Loop Header: Depth=1
	global_load_dwordx2 v[24:25], v[22:23], off
	global_load_dwordx2 v[28:29], v[20:21], off
	s_add_u32 s0, s40, -1
	s_addc_u32 s1, s41, -1
	s_cmp_eq_u64 s[40:41], 0
	s_mov_b64 s[40:41], s[0:1]
	s_cselect_b64 s[42:43], -1, 0
	v_lshl_add_u64 v[22:23], v[22:23], 0, 8
	v_lshl_add_u64 v[20:21], v[20:21], 0, 8
	s_waitcnt vmcnt(0)
	v_cmp_ne_u64_e64 s[0:1], v[24:25], v[28:29]
	s_or_b64 s[0:1], s[0:1], s[42:43]
	s_and_b64 s[0:1], exec, s[0:1]
	v_cmp_eq_u64_e32 vcc, v[24:25], v[28:29]
	s_or_b64 s[38:39], s[0:1], s[38:39]
	s_andn2_b64 s[0:1], s[12:13], exec
	s_and_b64 s[12:13], vcc, exec
	s_or_b64 s[12:13], s[0:1], s[12:13]
	s_andn2_b64 exec, exec, s[38:39]
	s_cbranch_execnz .LBB587_98
; %bb.99:
	s_or_b64 exec, exec, s[38:39]
	v_mul_lo_u32 v19, v3, s26
	v_mul_lo_u32 v22, v2, s27
	v_mad_u64_u32 v[20:21], s[0:1], v2, s26, 0
	v_add3_u32 v21, v21, v22, v19
	v_lshl_add_u64 v[20:21], v[20:21], 3, s[28:29]
	s_mov_b64 s[40:41], 0
	s_mov_b64 s[42:43], s[14:15]
	v_mov_b64_e32 v[22:23], v[20:21]
                                        ; implicit-def: $sgpr38_sgpr39
.LBB587_100:                            ; =>This Inner Loop Header: Depth=1
	global_load_dwordx2 v[24:25], v[22:23], off
	global_load_dwordx2 v[28:29], v[16:17], off
	s_add_u32 s0, s42, -1
	s_addc_u32 s1, s43, -1
	s_cmp_eq_u64 s[42:43], 0
	s_mov_b64 s[42:43], s[0:1]
	s_cselect_b64 s[44:45], -1, 0
	v_lshl_add_u64 v[22:23], v[22:23], 0, 8
	v_lshl_add_u64 v[16:17], v[16:17], 0, 8
	s_waitcnt vmcnt(0)
	v_cmp_ne_u64_e64 s[0:1], v[24:25], v[28:29]
	s_or_b64 s[0:1], s[0:1], s[44:45]
	s_and_b64 s[0:1], exec, s[0:1]
	v_cmp_eq_u64_e32 vcc, v[24:25], v[28:29]
	s_or_b64 s[40:41], s[0:1], s[40:41]
	s_andn2_b64 s[0:1], s[38:39], exec
	s_and_b64 s[38:39], vcc, exec
	s_or_b64 s[38:39], s[0:1], s[38:39]
	s_andn2_b64 exec, exec, s[40:41]
	s_cbranch_execnz .LBB587_100
; %bb.101:
	s_or_b64 exec, exec, s[40:41]
	v_mul_lo_u32 v19, v9, s26
	v_mul_lo_u32 v22, v8, s27
	v_mad_u64_u32 v[16:17], s[0:1], v8, s26, 0
	v_add3_u32 v17, v17, v22, v19
	v_lshl_add_u64 v[16:17], v[16:17], 3, s[28:29]
	s_mov_b64 s[42:43], 0
	s_mov_b64 s[44:45], s[14:15]
	v_mov_b64_e32 v[22:23], v[16:17]
                                        ; implicit-def: $sgpr40_sgpr41
.LBB587_102:                            ; =>This Inner Loop Header: Depth=1
	global_load_dwordx2 v[24:25], v[22:23], off
	global_load_dwordx2 v[28:29], v[20:21], off
	s_add_u32 s0, s44, -1
	s_addc_u32 s1, s45, -1
	s_cmp_eq_u64 s[44:45], 0
	s_mov_b64 s[44:45], s[0:1]
	s_cselect_b64 s[46:47], -1, 0
	v_lshl_add_u64 v[22:23], v[22:23], 0, 8
	v_lshl_add_u64 v[20:21], v[20:21], 0, 8
	s_waitcnt vmcnt(0)
	v_cmp_ne_u64_e64 s[0:1], v[24:25], v[28:29]
	s_or_b64 s[0:1], s[0:1], s[46:47]
	s_and_b64 s[0:1], exec, s[0:1]
	v_cmp_eq_u64_e32 vcc, v[24:25], v[28:29]
	s_or_b64 s[42:43], s[0:1], s[42:43]
	s_andn2_b64 s[0:1], s[40:41], exec
	s_and_b64 s[40:41], vcc, exec
	s_or_b64 s[40:41], s[0:1], s[40:41]
	s_andn2_b64 exec, exec, s[42:43]
	s_cbranch_execnz .LBB587_102
; %bb.103:
	s_or_b64 exec, exec, s[42:43]
	v_mul_lo_u32 v19, v7, s26
	v_mul_lo_u32 v22, v6, s27
	v_mad_u64_u32 v[20:21], s[0:1], v6, s26, 0
	v_add3_u32 v21, v21, v22, v19
	v_lshl_add_u64 v[20:21], v[20:21], 3, s[28:29]
	s_mov_b64 s[44:45], 0
	s_mov_b64 s[46:47], s[14:15]
	v_mov_b64_e32 v[22:23], v[20:21]
                                        ; implicit-def: $sgpr42_sgpr43
.LBB587_104:                            ; =>This Inner Loop Header: Depth=1
	global_load_dwordx2 v[24:25], v[22:23], off
	global_load_dwordx2 v[28:29], v[16:17], off
	s_add_u32 s0, s46, -1
	s_addc_u32 s1, s47, -1
	s_cmp_eq_u64 s[46:47], 0
	s_mov_b64 s[46:47], s[0:1]
	s_cselect_b64 s[48:49], -1, 0
	v_lshl_add_u64 v[22:23], v[22:23], 0, 8
	v_lshl_add_u64 v[16:17], v[16:17], 0, 8
	s_waitcnt vmcnt(0)
	v_cmp_ne_u64_e64 s[0:1], v[24:25], v[28:29]
	s_or_b64 s[0:1], s[0:1], s[48:49]
	s_and_b64 s[0:1], exec, s[0:1]
	v_cmp_eq_u64_e32 vcc, v[24:25], v[28:29]
	s_or_b64 s[44:45], s[0:1], s[44:45]
	s_andn2_b64 s[0:1], s[42:43], exec
	s_and_b64 s[42:43], vcc, exec
	s_or_b64 s[42:43], s[0:1], s[42:43]
	s_andn2_b64 exec, exec, s[44:45]
	s_cbranch_execnz .LBB587_104
; %bb.105:
	s_or_b64 exec, exec, s[44:45]
	v_mul_lo_u32 v19, v13, s26
	v_mul_lo_u32 v22, v12, s27
	v_mad_u64_u32 v[16:17], s[0:1], v12, s26, 0
	v_add3_u32 v17, v17, v22, v19
	v_lshl_add_u64 v[16:17], v[16:17], 3, s[28:29]
	s_mov_b64 s[46:47], 0
	s_mov_b64 s[48:49], s[14:15]
	v_mov_b64_e32 v[22:23], v[16:17]
                                        ; implicit-def: $sgpr44_sgpr45
.LBB587_106:                            ; =>This Inner Loop Header: Depth=1
	global_load_dwordx2 v[24:25], v[22:23], off
	global_load_dwordx2 v[28:29], v[20:21], off
	s_add_u32 s0, s48, -1
	s_addc_u32 s1, s49, -1
	s_cmp_eq_u64 s[48:49], 0
	s_mov_b64 s[48:49], s[0:1]
	s_cselect_b64 s[52:53], -1, 0
	v_lshl_add_u64 v[22:23], v[22:23], 0, 8
	v_lshl_add_u64 v[20:21], v[20:21], 0, 8
	s_waitcnt vmcnt(0)
	v_cmp_ne_u64_e64 s[0:1], v[24:25], v[28:29]
	s_or_b64 s[0:1], s[0:1], s[52:53]
	s_and_b64 s[0:1], exec, s[0:1]
	v_cmp_eq_u64_e32 vcc, v[24:25], v[28:29]
	s_or_b64 s[46:47], s[0:1], s[46:47]
	s_andn2_b64 s[0:1], s[44:45], exec
	s_and_b64 s[44:45], vcc, exec
	s_or_b64 s[44:45], s[0:1], s[44:45]
	s_andn2_b64 exec, exec, s[46:47]
	s_cbranch_execnz .LBB587_106
; %bb.107:
	s_or_b64 exec, exec, s[46:47]
	v_mul_lo_u32 v19, v11, s26
	v_mul_lo_u32 v22, v10, s27
	v_mad_u64_u32 v[20:21], s[0:1], v10, s26, 0
	v_add3_u32 v21, v21, v22, v19
	v_lshl_add_u64 v[20:21], v[20:21], 3, s[28:29]
	s_mov_b64 s[48:49], 0
                                        ; implicit-def: $sgpr46_sgpr47
.LBB587_108:                            ; =>This Inner Loop Header: Depth=1
	global_load_dwordx2 v[22:23], v[20:21], off
	global_load_dwordx2 v[24:25], v[16:17], off
	s_add_u32 s0, s14, -1
	s_addc_u32 s1, s15, -1
	s_cmp_eq_u64 s[14:15], 0
	s_mov_b64 s[14:15], s[0:1]
	s_cselect_b64 s[52:53], -1, 0
	v_lshl_add_u64 v[20:21], v[20:21], 0, 8
	v_lshl_add_u64 v[16:17], v[16:17], 0, 8
	s_waitcnt vmcnt(0)
	v_cmp_ne_u64_e64 s[0:1], v[22:23], v[24:25]
	s_or_b64 s[0:1], s[0:1], s[52:53]
	s_and_b64 s[0:1], exec, s[0:1]
	v_cmp_eq_u64_e32 vcc, v[22:23], v[24:25]
	s_or_b64 s[48:49], s[0:1], s[48:49]
	s_andn2_b64 s[0:1], s[46:47], exec
	s_and_b64 s[46:47], vcc, exec
	s_or_b64 s[46:47], s[0:1], s[46:47]
	s_andn2_b64 exec, exec, s[48:49]
	s_cbranch_execnz .LBB587_108
; %bb.109:
	s_or_b64 exec, exec, s[48:49]
	s_xor_b64 s[0:1], s[38:39], -1
	v_cndmask_b32_e64 v40, 0, 1, s[0:1]
	s_xor_b64 s[0:1], s[42:43], -1
	v_cndmask_b32_e64 v16, 0, 1, s[0:1]
	v_lshlrev_b16_e32 v16, 8, v16
	s_xor_b64 s[0:1], s[12:13], -1
	v_lshrrev_b32_e32 v16, 8, v16
	v_mov_b32_e32 v20, 1
	s_xor_b64 s[12:13], s[44:45], -1
	v_cndmask_b32_e64 v19, 0, 1, s[0:1]
	s_xor_b64 s[0:1], s[40:41], -1
	v_and_b32_sdwa v16, v16, v20 dst_sel:BYTE_1 dst_unused:UNUSED_PAD src0_sel:DWORD src1_sel:DWORD
	v_cndmask_b32_e64 v20, 0, 1, s[12:13]
	v_cndmask_b32_e64 v17, 0, 1, s[0:1]
	s_xor_b64 s[0:1], s[46:47], -1
	v_or_b32_sdwa v16, v20, v16 dst_sel:WORD_1 dst_unused:UNUSED_PAD src0_sel:DWORD src1_sel:DWORD
	s_branch .LBB587_112
.LBB587_110:
                                        ; implicit-def: $sgpr0_sgpr1
                                        ; implicit-def: $vgpr19
                                        ; implicit-def: $vgpr40
                                        ; implicit-def: $vgpr17
                                        ; implicit-def: $vgpr22
                                        ; implicit-def: $vgpr42
                                        ; implicit-def: $vgpr41
                                        ; implicit-def: $vgpr20
	s_cbranch_execnz .LBB587_119
	s_branch .LBB587_164
.LBB587_111:
	v_mov_b32_e32 v16, 0
	v_mov_b32_e32 v19, 0
	;; [unrolled: 1-line block ×4, first 2 shown]
.LBB587_112:
	v_lshrrev_b32_e32 v41, 16, v16
	s_waitcnt vmcnt(0) lgkmcnt(1)
	v_lshrrev_b32_e32 v20, 24, v16
	v_cndmask_b32_e64 v42, 0, 1, s[0:1]
	v_mov_b32_e32 v16, 1
	s_waitcnt lgkmcnt(0)
	s_barrier
                                        ; implicit-def: $sgpr0_sgpr1
                                        ; implicit-def: $vgpr22
	s_and_saveexec_b64 s[12:13], s[2:3]
	s_xor_b64 s[12:13], exec, s[12:13]
	s_cbranch_execz .LBB587_118
; %bb.113:
	v_lshlrev_b16_e32 v21, 8, v20
	s_movk_i32 s0, 0xff
	v_bitop3_b16 v21, v41, v21, s0 bitop3:0xec
	v_lshlrev_b16_e32 v22, 8, v42
	v_lshlrev_b32_e32 v21, 16, v21
	v_or_b32_e32 v22, 1, v22
	v_or_b32_sdwa v21, v22, v21 dst_sel:DWORD dst_unused:UNUSED_PAD src0_sel:WORD_0 src1_sel:DWORD
	s_mov_b32 s40, 0x3020104
	s_and_b64 vcc, exec, s[4:5]
	s_mov_b64 s[0:1], 0
	s_cbranch_vccnz .LBB587_117
; %bb.114:
	v_add_u32_e32 v22, -8, v26
	ds_read_b64 v[22:23], v22
	v_mul_lo_u32 v27, v11, s26
	v_mul_lo_u32 v28, v10, s27
	s_add_u32 s38, s26, -1
	s_addc_u32 s39, s27, -1
	s_waitcnt lgkmcnt(0)
	v_mul_lo_u32 v24, v23, s26
	v_mul_lo_u32 v25, v22, s27
	v_mad_u64_u32 v[22:23], s[0:1], v22, s26, 0
	v_add3_u32 v23, v23, v25, v24
	v_mad_u64_u32 v[24:25], s[0:1], v10, s26, 0
	v_add3_u32 v25, v25, v28, v27
	v_lshl_add_u64 v[22:23], v[22:23], 3, s[28:29]
	v_lshl_add_u64 v[24:25], v[24:25], 3, s[28:29]
	s_mov_b64 s[4:5], 0
                                        ; implicit-def: $sgpr14_sgpr15
.LBB587_115:                            ; =>This Inner Loop Header: Depth=1
	global_load_dwordx2 v[28:29], v[22:23], off
	global_load_dwordx2 v[30:31], v[24:25], off
	s_add_u32 s0, s38, -1
	s_addc_u32 s1, s39, -1
	s_cmp_eq_u64 s[38:39], 0
	s_mov_b64 s[38:39], s[0:1]
	s_cselect_b64 s[42:43], -1, 0
	v_lshl_add_u64 v[22:23], v[22:23], 0, 8
	v_lshl_add_u64 v[24:25], v[24:25], 0, 8
	s_waitcnt vmcnt(0)
	v_cmp_ne_u64_e64 s[0:1], v[28:29], v[30:31]
	s_or_b64 s[0:1], s[0:1], s[42:43]
	s_and_b64 s[0:1], exec, s[0:1]
	v_cmp_eq_u64_e32 vcc, v[28:29], v[30:31]
	s_or_b64 s[4:5], s[0:1], s[4:5]
	s_andn2_b64 s[0:1], s[14:15], exec
	s_and_b64 s[14:15], vcc, exec
	s_or_b64 s[14:15], s[0:1], s[14:15]
	s_andn2_b64 exec, exec, s[4:5]
	s_cbranch_execnz .LBB587_115
; %bb.116:
	s_or_b64 exec, exec, s[4:5]
	s_xor_b64 s[0:1], s[14:15], -1
.LBB587_117:
	v_perm_b32 v22, v21, v21, s40
	s_or_b64 s[10:11], s[10:11], exec
.LBB587_118:
	s_or_b64 exec, exec, s[12:13]
	s_branch .LBB587_164
.LBB587_119:
	v_add_u32_e32 v16, 6, v1
	v_cmp_gt_u32_e32 vcc, s50, v16
	s_mov_b64 s[12:13], 0
	s_mov_b64 s[4:5], 0
	s_and_saveexec_b64 s[14:15], vcc
	s_cbranch_execz .LBB587_125
; %bb.120:
	s_andn2_b64 vcc, exec, s[6:7]
	s_mov_b64 s[0:1], 0
	s_cbranch_vccnz .LBB587_124
; %bb.121:
	v_mul_lo_u32 v19, v5, s26
	s_waitcnt vmcnt(0) lgkmcnt(1)
	v_mul_lo_u32 v20, v4, s27
	v_mad_u64_u32 v[16:17], s[0:1], v4, s26, 0
	v_add3_u32 v17, v17, v20, v19
	v_mul_lo_u32 v19, v15, s26
	v_mul_lo_u32 v22, v14, s27
	v_mad_u64_u32 v[20:21], s[0:1], v14, s26, 0
	v_add3_u32 v21, v21, v22, v19
	s_add_u32 s40, s26, -1
	v_lshl_add_u64 v[16:17], v[16:17], 3, s[28:29]
	v_lshl_add_u64 v[20:21], v[20:21], 3, s[28:29]
	s_addc_u32 s41, s27, -1
                                        ; implicit-def: $sgpr38_sgpr39
.LBB587_122:                            ; =>This Inner Loop Header: Depth=1
	global_load_dwordx2 v[22:23], v[16:17], off
	global_load_dwordx2 v[24:25], v[20:21], off
	s_add_u32 s0, s40, -1
	s_addc_u32 s1, s41, -1
	s_cmp_eq_u64 s[40:41], 0
	s_mov_b64 s[40:41], s[0:1]
	s_cselect_b64 s[42:43], -1, 0
	v_lshl_add_u64 v[16:17], v[16:17], 0, 8
	v_lshl_add_u64 v[20:21], v[20:21], 0, 8
	s_waitcnt vmcnt(0)
	v_cmp_ne_u64_e64 s[0:1], v[22:23], v[24:25]
	s_or_b64 s[0:1], s[0:1], s[42:43]
	s_and_b64 s[0:1], exec, s[0:1]
	v_cmp_eq_u64_e32 vcc, v[22:23], v[24:25]
	s_or_b64 s[4:5], s[0:1], s[4:5]
	s_andn2_b64 s[0:1], s[38:39], exec
	s_and_b64 s[38:39], vcc, exec
	s_or_b64 s[38:39], s[0:1], s[38:39]
	s_andn2_b64 exec, exec, s[4:5]
	s_cbranch_execnz .LBB587_122
; %bb.123:
	s_or_b64 exec, exec, s[4:5]
	s_xor_b64 s[0:1], s[38:39], -1
.LBB587_124:
	s_and_b64 s[4:5], s[0:1], exec
.LBB587_125:
	s_or_b64 exec, exec, s[14:15]
	v_add_u32_e32 v16, 5, v1
	v_cmp_gt_u32_e32 vcc, s50, v16
	s_and_saveexec_b64 s[14:15], vcc
	s_cbranch_execz .LBB587_131
; %bb.126:
	s_andn2_b64 vcc, exec, s[6:7]
	s_mov_b64 s[0:1], 0
	s_cbranch_vccnz .LBB587_130
; %bb.127:
	v_mul_lo_u32 v19, v3, s26
	s_waitcnt vmcnt(0) lgkmcnt(1)
	v_mul_lo_u32 v20, v2, s27
	v_mad_u64_u32 v[16:17], s[0:1], v2, s26, 0
	v_add3_u32 v17, v17, v20, v19
	v_mul_lo_u32 v19, v5, s26
	v_mul_lo_u32 v22, v4, s27
	v_mad_u64_u32 v[20:21], s[0:1], v4, s26, 0
	v_add3_u32 v21, v21, v22, v19
	s_add_u32 s40, s26, -1
	v_lshl_add_u64 v[16:17], v[16:17], 3, s[28:29]
	v_lshl_add_u64 v[20:21], v[20:21], 3, s[28:29]
	s_addc_u32 s41, s27, -1
	s_mov_b64 s[12:13], 0
                                        ; implicit-def: $sgpr38_sgpr39
.LBB587_128:                            ; =>This Inner Loop Header: Depth=1
	global_load_dwordx2 v[22:23], v[16:17], off
	global_load_dwordx2 v[24:25], v[20:21], off
	s_add_u32 s0, s40, -1
	s_addc_u32 s1, s41, -1
	s_cmp_eq_u64 s[40:41], 0
	s_mov_b64 s[40:41], s[0:1]
	s_cselect_b64 s[42:43], -1, 0
	v_lshl_add_u64 v[16:17], v[16:17], 0, 8
	v_lshl_add_u64 v[20:21], v[20:21], 0, 8
	s_waitcnt vmcnt(0)
	v_cmp_ne_u64_e64 s[0:1], v[22:23], v[24:25]
	s_or_b64 s[0:1], s[0:1], s[42:43]
	s_and_b64 s[0:1], exec, s[0:1]
	v_cmp_eq_u64_e32 vcc, v[22:23], v[24:25]
	s_or_b64 s[12:13], s[0:1], s[12:13]
	s_andn2_b64 s[0:1], s[38:39], exec
	s_and_b64 s[38:39], vcc, exec
	s_or_b64 s[38:39], s[0:1], s[38:39]
	s_andn2_b64 exec, exec, s[12:13]
	s_cbranch_execnz .LBB587_128
; %bb.129:
	s_or_b64 exec, exec, s[12:13]
	s_xor_b64 s[0:1], s[38:39], -1
.LBB587_130:
	s_and_b64 s[12:13], s[0:1], exec
.LBB587_131:
	s_or_b64 exec, exec, s[14:15]
	v_add_u32_e32 v16, 4, v1
	v_cmp_gt_u32_e32 vcc, s50, v16
	s_mov_b64 s[14:15], 0
	s_mov_b64 s[38:39], 0
	s_and_saveexec_b64 s[40:41], vcc
	s_cbranch_execz .LBB587_137
; %bb.132:
	s_andn2_b64 vcc, exec, s[6:7]
	s_mov_b64 s[0:1], 0
	s_cbranch_vccnz .LBB587_136
; %bb.133:
	v_mul_lo_u32 v19, v9, s26
	s_waitcnt vmcnt(0) lgkmcnt(1)
	v_mul_lo_u32 v20, v8, s27
	v_mad_u64_u32 v[16:17], s[0:1], v8, s26, 0
	v_add3_u32 v17, v17, v20, v19
	v_mul_lo_u32 v19, v3, s26
	v_mul_lo_u32 v22, v2, s27
	v_mad_u64_u32 v[20:21], s[0:1], v2, s26, 0
	v_add3_u32 v21, v21, v22, v19
	s_add_u32 s44, s26, -1
	v_lshl_add_u64 v[16:17], v[16:17], 3, s[28:29]
	v_lshl_add_u64 v[20:21], v[20:21], 3, s[28:29]
	s_addc_u32 s45, s27, -1
                                        ; implicit-def: $sgpr42_sgpr43
.LBB587_134:                            ; =>This Inner Loop Header: Depth=1
	global_load_dwordx2 v[22:23], v[16:17], off
	global_load_dwordx2 v[24:25], v[20:21], off
	s_add_u32 s0, s44, -1
	s_addc_u32 s1, s45, -1
	s_cmp_eq_u64 s[44:45], 0
	s_mov_b64 s[44:45], s[0:1]
	s_cselect_b64 s[46:47], -1, 0
	v_lshl_add_u64 v[16:17], v[16:17], 0, 8
	v_lshl_add_u64 v[20:21], v[20:21], 0, 8
	s_waitcnt vmcnt(0)
	v_cmp_ne_u64_e64 s[0:1], v[22:23], v[24:25]
	s_or_b64 s[0:1], s[0:1], s[46:47]
	s_and_b64 s[0:1], exec, s[0:1]
	v_cmp_eq_u64_e32 vcc, v[22:23], v[24:25]
	s_or_b64 s[38:39], s[0:1], s[38:39]
	s_andn2_b64 s[0:1], s[42:43], exec
	s_and_b64 s[42:43], vcc, exec
	s_or_b64 s[42:43], s[0:1], s[42:43]
	s_andn2_b64 exec, exec, s[38:39]
	s_cbranch_execnz .LBB587_134
; %bb.135:
	s_or_b64 exec, exec, s[38:39]
	s_xor_b64 s[0:1], s[42:43], -1
.LBB587_136:
	s_and_b64 s[38:39], s[0:1], exec
.LBB587_137:
	s_or_b64 exec, exec, s[40:41]
	v_add_u32_e32 v16, 3, v1
	v_cmp_gt_u32_e32 vcc, s50, v16
	s_and_saveexec_b64 s[40:41], vcc
	s_cbranch_execz .LBB587_143
; %bb.138:
	s_andn2_b64 vcc, exec, s[6:7]
	s_mov_b64 s[0:1], 0
	s_cbranch_vccnz .LBB587_142
; %bb.139:
	v_mul_lo_u32 v19, v7, s26
	s_waitcnt vmcnt(0) lgkmcnt(1)
	v_mul_lo_u32 v20, v6, s27
	v_mad_u64_u32 v[16:17], s[0:1], v6, s26, 0
	v_add3_u32 v17, v17, v20, v19
	v_mul_lo_u32 v19, v9, s26
	v_mul_lo_u32 v22, v8, s27
	v_mad_u64_u32 v[20:21], s[0:1], v8, s26, 0
	v_add3_u32 v21, v21, v22, v19
	s_add_u32 s44, s26, -1
	v_lshl_add_u64 v[16:17], v[16:17], 3, s[28:29]
	v_lshl_add_u64 v[20:21], v[20:21], 3, s[28:29]
	s_addc_u32 s45, s27, -1
	s_mov_b64 s[14:15], 0
                                        ; implicit-def: $sgpr42_sgpr43
.LBB587_140:                            ; =>This Inner Loop Header: Depth=1
	global_load_dwordx2 v[22:23], v[16:17], off
	global_load_dwordx2 v[24:25], v[20:21], off
	s_add_u32 s0, s44, -1
	s_addc_u32 s1, s45, -1
	s_cmp_eq_u64 s[44:45], 0
	s_mov_b64 s[44:45], s[0:1]
	s_cselect_b64 s[46:47], -1, 0
	v_lshl_add_u64 v[16:17], v[16:17], 0, 8
	v_lshl_add_u64 v[20:21], v[20:21], 0, 8
	s_waitcnt vmcnt(0)
	v_cmp_ne_u64_e64 s[0:1], v[22:23], v[24:25]
	s_or_b64 s[0:1], s[0:1], s[46:47]
	s_and_b64 s[0:1], exec, s[0:1]
	v_cmp_eq_u64_e32 vcc, v[22:23], v[24:25]
	s_or_b64 s[14:15], s[0:1], s[14:15]
	s_andn2_b64 s[0:1], s[42:43], exec
	s_and_b64 s[42:43], vcc, exec
	s_or_b64 s[42:43], s[0:1], s[42:43]
	s_andn2_b64 exec, exec, s[14:15]
	s_cbranch_execnz .LBB587_140
; %bb.141:
	s_or_b64 exec, exec, s[14:15]
	s_xor_b64 s[0:1], s[42:43], -1
.LBB587_142:
	s_and_b64 s[14:15], s[0:1], exec
.LBB587_143:
	s_or_b64 exec, exec, s[40:41]
	v_add_u32_e32 v16, 2, v1
	v_cmp_gt_u32_e32 vcc, s50, v16
	s_mov_b64 s[40:41], 0
	s_mov_b64 s[42:43], 0
	s_and_saveexec_b64 s[44:45], vcc
	s_cbranch_execz .LBB587_149
; %bb.144:
	s_andn2_b64 vcc, exec, s[6:7]
	s_mov_b64 s[0:1], 0
	s_cbranch_vccnz .LBB587_148
; %bb.145:
	v_mul_lo_u32 v19, v13, s26
	s_waitcnt vmcnt(0) lgkmcnt(1)
	v_mul_lo_u32 v20, v12, s27
	v_mad_u64_u32 v[16:17], s[0:1], v12, s26, 0
	v_add3_u32 v17, v17, v20, v19
	v_mul_lo_u32 v19, v7, s26
	v_mul_lo_u32 v22, v6, s27
	v_mad_u64_u32 v[20:21], s[0:1], v6, s26, 0
	v_add3_u32 v21, v21, v22, v19
	s_add_u32 s48, s26, -1
	v_lshl_add_u64 v[16:17], v[16:17], 3, s[28:29]
	v_lshl_add_u64 v[20:21], v[20:21], 3, s[28:29]
	s_addc_u32 s49, s27, -1
                                        ; implicit-def: $sgpr46_sgpr47
.LBB587_146:                            ; =>This Inner Loop Header: Depth=1
	global_load_dwordx2 v[22:23], v[16:17], off
	global_load_dwordx2 v[24:25], v[20:21], off
	s_add_u32 s0, s48, -1
	s_addc_u32 s1, s49, -1
	s_cmp_eq_u64 s[48:49], 0
	s_mov_b64 s[48:49], s[0:1]
	s_cselect_b64 s[52:53], -1, 0
	v_lshl_add_u64 v[16:17], v[16:17], 0, 8
	v_lshl_add_u64 v[20:21], v[20:21], 0, 8
	s_waitcnt vmcnt(0)
	v_cmp_ne_u64_e64 s[0:1], v[22:23], v[24:25]
	s_or_b64 s[0:1], s[0:1], s[52:53]
	s_and_b64 s[0:1], exec, s[0:1]
	v_cmp_eq_u64_e32 vcc, v[22:23], v[24:25]
	s_or_b64 s[42:43], s[0:1], s[42:43]
	s_andn2_b64 s[0:1], s[46:47], exec
	s_and_b64 s[46:47], vcc, exec
	s_or_b64 s[46:47], s[0:1], s[46:47]
	s_andn2_b64 exec, exec, s[42:43]
	s_cbranch_execnz .LBB587_146
; %bb.147:
	s_or_b64 exec, exec, s[42:43]
	s_xor_b64 s[0:1], s[46:47], -1
.LBB587_148:
	s_and_b64 s[42:43], s[0:1], exec
.LBB587_149:
	s_or_b64 exec, exec, s[44:45]
	v_add_u32_e32 v16, 1, v1
	v_cmp_gt_u32_e32 vcc, s50, v16
	s_and_saveexec_b64 s[44:45], vcc
	s_cbranch_execz .LBB587_155
; %bb.150:
	s_andn2_b64 vcc, exec, s[6:7]
	s_mov_b64 s[0:1], 0
	s_cbranch_vccnz .LBB587_154
; %bb.151:
	v_mul_lo_u32 v19, v11, s26
	s_waitcnt vmcnt(0) lgkmcnt(1)
	v_mul_lo_u32 v20, v10, s27
	v_mad_u64_u32 v[16:17], s[0:1], v10, s26, 0
	v_add3_u32 v17, v17, v20, v19
	v_mul_lo_u32 v19, v13, s26
	v_mul_lo_u32 v22, v12, s27
	v_mad_u64_u32 v[20:21], s[0:1], v12, s26, 0
	v_add3_u32 v21, v21, v22, v19
	s_add_u32 s48, s26, -1
	v_lshl_add_u64 v[16:17], v[16:17], 3, s[28:29]
	v_lshl_add_u64 v[20:21], v[20:21], 3, s[28:29]
	s_addc_u32 s49, s27, -1
	s_mov_b64 s[40:41], 0
                                        ; implicit-def: $sgpr46_sgpr47
.LBB587_152:                            ; =>This Inner Loop Header: Depth=1
	global_load_dwordx2 v[22:23], v[16:17], off
	global_load_dwordx2 v[24:25], v[20:21], off
	s_add_u32 s0, s48, -1
	s_addc_u32 s1, s49, -1
	s_cmp_eq_u64 s[48:49], 0
	s_mov_b64 s[48:49], s[0:1]
	s_cselect_b64 s[52:53], -1, 0
	v_lshl_add_u64 v[16:17], v[16:17], 0, 8
	v_lshl_add_u64 v[20:21], v[20:21], 0, 8
	s_waitcnt vmcnt(0)
	v_cmp_ne_u64_e64 s[0:1], v[22:23], v[24:25]
	s_or_b64 s[0:1], s[0:1], s[52:53]
	s_and_b64 s[0:1], exec, s[0:1]
	v_cmp_eq_u64_e32 vcc, v[22:23], v[24:25]
	s_or_b64 s[40:41], s[0:1], s[40:41]
	s_andn2_b64 s[0:1], s[46:47], exec
	s_and_b64 s[46:47], vcc, exec
	s_or_b64 s[46:47], s[0:1], s[46:47]
	s_andn2_b64 exec, exec, s[40:41]
	s_cbranch_execnz .LBB587_152
; %bb.153:
	s_or_b64 exec, exec, s[40:41]
	s_xor_b64 s[0:1], s[46:47], -1
.LBB587_154:
	s_and_b64 s[40:41], s[0:1], exec
.LBB587_155:
	s_or_b64 exec, exec, s[44:45]
	v_cndmask_b32_e64 v17, 0, 1, s[38:39]
	v_cndmask_b32_e64 v40, 0, 1, s[12:13]
	;; [unrolled: 1-line block ×4, first 2 shown]
	s_waitcnt vmcnt(0) lgkmcnt(1)
	v_cndmask_b32_e64 v20, 0, 1, s[14:15]
	v_cndmask_b32_e64 v42, 0, 1, s[40:41]
	v_mov_b32_e32 v16, 1
	s_waitcnt lgkmcnt(0)
	s_barrier
                                        ; implicit-def: $sgpr0_sgpr1
                                        ; implicit-def: $vgpr22
	s_and_saveexec_b64 s[4:5], s[2:3]
	s_cbranch_execz .LBB587_163
; %bb.156:
	v_lshlrev_b16_e32 v21, 8, v42
	v_lshlrev_b16_e32 v22, 8, v20
	v_or_b32_e32 v21, 1, v21
	v_or_b32_sdwa v22, v41, v22 dst_sel:WORD_1 dst_unused:UNUSED_PAD src0_sel:DWORD src1_sel:DWORD
	v_cmp_gt_u32_e32 vcc, s50, v1
	v_or_b32_sdwa v21, v21, v22 dst_sel:DWORD dst_unused:UNUSED_PAD src0_sel:WORD_0 src1_sel:DWORD
	s_mov_b32 s38, 0x3020104
	s_mov_b64 s[0:1], 0
	s_and_saveexec_b64 s[2:3], vcc
	s_cbranch_execz .LBB587_162
; %bb.157:
	s_andn2_b64 vcc, exec, s[6:7]
	s_cbranch_vccnz .LBB587_161
; %bb.158:
	v_add_u32_e32 v22, -8, v26
	ds_read_b64 v[22:23], v22
	v_mul_lo_u32 v26, v11, s26
	v_mul_lo_u32 v27, v10, s27
	s_add_u32 s14, s26, -1
	s_addc_u32 s15, s27, -1
	s_waitcnt lgkmcnt(0)
	v_mul_lo_u32 v24, v23, s26
	v_mul_lo_u32 v25, v22, s27
	v_mad_u64_u32 v[22:23], s[0:1], v22, s26, 0
	v_add3_u32 v23, v23, v25, v24
	v_mad_u64_u32 v[24:25], s[0:1], v10, s26, 0
	v_add3_u32 v25, v25, v27, v26
	v_lshl_add_u64 v[22:23], v[22:23], 3, s[28:29]
	v_lshl_add_u64 v[24:25], v[24:25], 3, s[28:29]
	s_mov_b64 s[6:7], 0
                                        ; implicit-def: $sgpr12_sgpr13
.LBB587_159:                            ; =>This Inner Loop Header: Depth=1
	global_load_dwordx2 v[26:27], v[22:23], off
	global_load_dwordx2 v[28:29], v[24:25], off
	s_add_u32 s0, s14, -1
	s_addc_u32 s1, s15, -1
	s_cmp_eq_u64 s[14:15], 0
	s_mov_b64 s[14:15], s[0:1]
	s_cselect_b64 s[26:27], -1, 0
	v_lshl_add_u64 v[22:23], v[22:23], 0, 8
	v_lshl_add_u64 v[24:25], v[24:25], 0, 8
	s_waitcnt vmcnt(0)
	v_cmp_ne_u64_e64 s[0:1], v[26:27], v[28:29]
	s_or_b64 s[0:1], s[0:1], s[26:27]
	s_and_b64 s[0:1], exec, s[0:1]
	v_cmp_eq_u64_e32 vcc, v[26:27], v[28:29]
	s_or_b64 s[6:7], s[0:1], s[6:7]
	s_andn2_b64 s[0:1], s[12:13], exec
	s_and_b64 s[12:13], vcc, exec
	s_or_b64 s[12:13], s[0:1], s[12:13]
	s_andn2_b64 exec, exec, s[6:7]
	s_cbranch_execnz .LBB587_159
; %bb.160:
	s_or_b64 exec, exec, s[6:7]
	s_xor_b64 s[0:1], s[12:13], -1
.LBB587_161:
	s_and_b64 s[0:1], s[0:1], exec
.LBB587_162:
	s_or_b64 exec, exec, s[2:3]
	v_perm_b32 v22, v21, v21, s38
	s_or_b64 s[10:11], s[10:11], exec
.LBB587_163:
	s_or_b64 exec, exec, s[4:5]
.LBB587_164:
	s_and_saveexec_b64 s[2:3], s[10:11]
	s_cbranch_execz .LBB587_166
; %bb.165:
	s_waitcnt vmcnt(0) lgkmcnt(0)
	v_lshrrev_b32_e32 v20, 24, v22
	v_lshrrev_b32_e32 v41, 16, v22
	;; [unrolled: 1-line block ×3, first 2 shown]
	v_cndmask_b32_e64 v16, 0, 1, s[0:1]
.LBB587_166:
	s_or_b64 exec, exec, s[2:3]
	s_andn2_b64 vcc, exec, s[8:9]
	s_cbranch_vccnz .LBB587_170
; %bb.167:
	s_mov_b32 s0, 0xc0c0004
	s_waitcnt vmcnt(0) lgkmcnt(0)
	v_perm_b32 v20, v41, v20, s0
	v_perm_b32 v16, v16, v42, s0
	v_lshlrev_b32_e32 v20, 16, v20
	v_or_b32_e32 v16, v16, v20
	v_cmp_gt_u32_e32 vcc, s50, v1
	v_add_u32_e32 v22, 1, v1
	v_perm_b32 v17, v17, v40, s0
	v_cndmask_b32_e32 v20, v20, v16, vcc
	v_and_b32_e32 v20, 0xffff00ff, v20
	v_cmp_gt_u32_e32 vcc, s50, v22
	v_add_u32_e32 v22, 2, v1
	s_mov_b32 s0, 0x40c0100
	v_cndmask_b32_e32 v20, v20, v16, vcc
	v_lshrrev_b32_e32 v23, 24, v20
	v_and_b32_e32 v19, 0xff, v19
	v_perm_b32 v20, v23, v20, s0
	v_cmp_gt_u32_e32 vcc, s50, v22
	v_lshlrev_b32_e32 v19, 16, v19
	v_add_u32_e32 v22, 3, v1
	v_cndmask_b32_e32 v20, v20, v16, vcc
	s_mov_b32 s0, 0xffff00
	v_or_b32_e32 v21, v17, v19
	v_and_b32_e32 v20, 0xffffff, v20
	v_cmp_gt_u32_e32 vcc, s50, v22
	v_bitop3_b32 v17, v17, s0, v19 bitop3:0xc8
	v_add_u32_e32 v19, 4, v1
	v_cndmask_b32_e32 v20, v20, v16, vcc
	v_cmp_gt_u32_e32 vcc, s50, v19
	v_add_u32_e32 v19, 5, v1
	v_cmp_gt_u32_e64 s[0:1], s50, v19
	v_cndmask_b32_e32 v17, v17, v21, vcc
	v_and_b32_e32 v17, 0xffff00ff, v17
	s_or_b64 vcc, s[0:1], vcc
	v_cndmask_b32_e64 v17, v17, v21, s[0:1]
	v_cndmask_b32_e32 v16, v20, v16, vcc
	v_add_u32_e32 v1, 6, v1
	v_lshrrev_b32_e32 v41, 16, v16
	v_lshrrev_b32_e32 v42, 8, v16
	v_lshrrev_b64 v[20:21], 24, v[16:17]
	v_lshrrev_b32_e32 v19, 16, v17
	v_lshrrev_b32_e32 v40, 8, v17
	v_cmp_le_u32_e32 vcc, s50, v1
	s_and_saveexec_b64 s[0:1], vcc
; %bb.168:
	v_mov_b32_e32 v19, 0
; %bb.169:
	s_or_b64 exec, exec, s[0:1]
.LBB587_170:
	v_and_b32_e32 v1, 0xff, v16
	s_waitcnt vmcnt(0) lgkmcnt(0)
	v_and_b32_e32 v21, 0xff, v42
	v_and_b32_e32 v33, 0xff, v41
	;; [unrolled: 1-line block ×4, first 2 shown]
	v_add3_u32 v23, v21, v1, v33
	v_and_b32_e32 v39, 0xff, v40
	v_and_b32_e32 v22, 0xff, v19
	v_add3_u32 v23, v23, v35, v37
	v_add3_u32 v45, v23, v39, v22
	v_mbcnt_lo_u32_b32 v22, -1, 0
	v_mbcnt_hi_u32_b32 v43, -1, v22
	v_and_b32_e32 v22, 15, v43
	v_cmp_eq_u32_e64 s[14:15], 0, v22
	v_cmp_lt_u32_e64 s[12:13], 1, v22
	v_cmp_lt_u32_e64 s[10:11], 3, v22
	;; [unrolled: 1-line block ×3, first 2 shown]
	v_and_b32_e32 v22, 16, v43
	v_cmp_eq_u32_e64 s[6:7], 0, v22
	v_or_b32_e32 v22, 63, v0
	v_cmp_lt_u32_e64 s[2:3], 31, v43
	v_lshrrev_b32_e32 v44, 6, v0
	v_cmp_eq_u32_e64 s[4:5], v0, v22
	s_and_b64 vcc, exec, s[16:17]
	s_barrier
	s_cbranch_vccz .LBB587_192
; %bb.171:
	v_mov_b32_dpp v22, v45 row_shr:1 row_mask:0xf bank_mask:0xf
	v_cndmask_b32_e64 v22, v22, 0, s[14:15]
	v_add_u32_e32 v22, v22, v45
	s_nop 1
	v_mov_b32_dpp v23, v22 row_shr:2 row_mask:0xf bank_mask:0xf
	v_cndmask_b32_e64 v23, 0, v23, s[12:13]
	v_add_u32_e32 v22, v22, v23
	s_nop 1
	v_mov_b32_dpp v23, v22 row_shr:4 row_mask:0xf bank_mask:0xf
	v_cndmask_b32_e64 v23, 0, v23, s[10:11]
	v_add_u32_e32 v22, v22, v23
	s_nop 1
	v_mov_b32_dpp v23, v22 row_shr:8 row_mask:0xf bank_mask:0xf
	v_cndmask_b32_e64 v23, 0, v23, s[8:9]
	v_add_u32_e32 v22, v22, v23
	s_nop 1
	v_mov_b32_dpp v23, v22 row_bcast:15 row_mask:0xf bank_mask:0xf
	v_cndmask_b32_e64 v23, v23, 0, s[6:7]
	v_add_u32_e32 v22, v22, v23
	s_nop 1
	v_mov_b32_dpp v23, v22 row_bcast:31 row_mask:0xf bank_mask:0xf
	v_cndmask_b32_e64 v23, 0, v23, s[2:3]
	v_add_u32_e32 v22, v22, v23
	s_and_saveexec_b64 s[0:1], s[4:5]
; %bb.172:
	v_lshlrev_b32_e32 v23, 2, v44
	ds_write_b32 v23, v22
; %bb.173:
	s_or_b64 exec, exec, s[0:1]
	v_cmp_gt_u32_e32 vcc, 8, v0
	s_waitcnt lgkmcnt(0)
	s_barrier
	s_and_saveexec_b64 s[0:1], vcc
	s_cbranch_execz .LBB587_175
; %bb.174:
	v_lshlrev_b32_e32 v23, 2, v0
	ds_read_b32 v24, v23
	v_and_b32_e32 v25, 7, v43
	v_cmp_ne_u32_e32 vcc, 0, v25
	s_waitcnt lgkmcnt(0)
	v_mov_b32_dpp v26, v24 row_shr:1 row_mask:0xf bank_mask:0xf
	v_cndmask_b32_e32 v26, 0, v26, vcc
	v_add_u32_e32 v24, v26, v24
	v_cmp_lt_u32_e32 vcc, 1, v25
	s_nop 0
	v_mov_b32_dpp v26, v24 row_shr:2 row_mask:0xf bank_mask:0xf
	v_cndmask_b32_e32 v26, 0, v26, vcc
	v_add_u32_e32 v24, v24, v26
	v_cmp_lt_u32_e32 vcc, 3, v25
	s_nop 0
	v_mov_b32_dpp v26, v24 row_shr:4 row_mask:0xf bank_mask:0xf
	v_cndmask_b32_e32 v25, 0, v26, vcc
	v_add_u32_e32 v24, v24, v25
	ds_write_b32 v23, v24
.LBB587_175:
	s_or_b64 exec, exec, s[0:1]
	v_cmp_gt_u32_e32 vcc, 64, v0
	v_cmp_lt_u32_e64 s[0:1], 63, v0
	s_waitcnt lgkmcnt(0)
	s_barrier
                                        ; implicit-def: $vgpr32
	s_and_saveexec_b64 s[16:17], s[0:1]
	s_cbranch_execz .LBB587_177
; %bb.176:
	v_lshl_add_u32 v23, v44, 2, -4
	ds_read_b32 v32, v23
	s_waitcnt lgkmcnt(0)
	v_add_u32_e32 v22, v32, v22
.LBB587_177:
	s_or_b64 exec, exec, s[16:17]
	v_subrev_co_u32_e64 v23, s[16:17], 1, v43
	v_and_b32_e32 v24, 64, v43
	v_cmp_lt_i32_e64 s[0:1], v23, v24
	s_nop 1
	v_cndmask_b32_e64 v23, v23, v43, s[0:1]
	v_lshlrev_b32_e32 v23, 2, v23
	ds_bpermute_b32 v34, v23, v22
	s_and_saveexec_b64 s[0:1], vcc
	s_cbranch_execz .LBB587_197
; %bb.178:
	v_mov_b32_e32 v29, 0
	ds_read_b32 v22, v29 offset:28
	s_and_saveexec_b64 s[26:27], s[16:17]
	s_cbranch_execz .LBB587_180
; %bb.179:
	s_add_i32 s28, s33, 64
	s_mov_b32 s29, 0
	s_lshl_b64 s[28:29], s[28:29], 3
	s_add_u32 s28, s30, s28
	v_mov_b32_e32 v23, 1
	s_addc_u32 s29, s31, s29
	s_waitcnt lgkmcnt(0)
	global_store_dwordx2 v29, v[22:23], s[28:29] sc1
.LBB587_180:
	s_or_b64 exec, exec, s[26:27]
	v_xad_u32 v24, v43, -1, s33
	v_add_u32_e32 v28, 64, v24
	v_lshl_add_u64 v[30:31], v[28:29], 3, s[30:31]
	global_load_dwordx2 v[26:27], v[30:31], off sc1
	s_waitcnt vmcnt(0)
	v_cmp_eq_u16_sdwa s[28:29], v27, v29 src0_sel:BYTE_0 src1_sel:DWORD
	s_and_saveexec_b64 s[26:27], s[28:29]
	s_cbranch_execz .LBB587_184
; %bb.181:
	s_mov_b64 s[28:29], 0
	v_mov_b32_e32 v23, 0
.LBB587_182:                            ; =>This Inner Loop Header: Depth=1
	global_load_dwordx2 v[26:27], v[30:31], off sc1
	s_waitcnt vmcnt(0)
	v_cmp_ne_u16_sdwa s[38:39], v27, v23 src0_sel:BYTE_0 src1_sel:DWORD
	s_or_b64 s[28:29], s[38:39], s[28:29]
	s_andn2_b64 exec, exec, s[28:29]
	s_cbranch_execnz .LBB587_182
; %bb.183:
	s_or_b64 exec, exec, s[28:29]
.LBB587_184:
	s_or_b64 exec, exec, s[26:27]
	v_and_b32_e32 v38, 63, v43
	v_mov_b32_e32 v36, 2
	v_cmp_ne_u32_e32 vcc, 63, v38
	v_cmp_eq_u16_sdwa s[26:27], v27, v36 src0_sel:BYTE_0 src1_sel:DWORD
	v_lshlrev_b64 v[28:29], v43, -1
	v_addc_co_u32_e32 v30, vcc, 0, v43, vcc
	v_and_b32_e32 v23, s27, v29
	v_lshlrev_b32_e32 v46, 2, v30
	v_or_b32_e32 v23, 0x80000000, v23
	ds_bpermute_b32 v30, v46, v26
	v_and_b32_e32 v25, s26, v28
	v_ffbl_b32_e32 v23, v23
	v_add_u32_e32 v23, 32, v23
	v_ffbl_b32_e32 v25, v25
	v_min_u32_e32 v23, v25, v23
	v_cmp_lt_u32_e32 vcc, v38, v23
	v_add_u32_e32 v48, 2, v38
	v_add_u32_e32 v50, 4, v38
	s_waitcnt lgkmcnt(0)
	v_cndmask_b32_e32 v25, 0, v30, vcc
	v_cmp_gt_u32_e32 vcc, 62, v38
	v_add_u32_e32 v25, v25, v26
	v_add_u32_e32 v52, 8, v38
	v_cndmask_b32_e64 v26, 0, 2, vcc
	v_add_lshl_u32 v47, v26, v43, 2
	ds_bpermute_b32 v26, v47, v25
	v_cmp_le_u32_e32 vcc, v48, v23
	v_add_u32_e32 v54, 16, v38
	v_add_u32_e32 v56, 32, v38
	s_waitcnt lgkmcnt(0)
	v_cndmask_b32_e32 v26, 0, v26, vcc
	v_cmp_gt_u32_e32 vcc, 60, v38
	v_add_u32_e32 v25, v25, v26
	s_nop 0
	v_cndmask_b32_e64 v26, 0, 4, vcc
	v_add_lshl_u32 v49, v26, v43, 2
	ds_bpermute_b32 v26, v49, v25
	v_cmp_le_u32_e32 vcc, v50, v23
	s_waitcnt lgkmcnt(0)
	s_nop 0
	v_cndmask_b32_e32 v26, 0, v26, vcc
	v_cmp_gt_u32_e32 vcc, 56, v38
	v_add_u32_e32 v25, v25, v26
	s_nop 0
	v_cndmask_b32_e64 v26, 0, 8, vcc
	v_add_lshl_u32 v51, v26, v43, 2
	ds_bpermute_b32 v26, v51, v25
	v_cmp_le_u32_e32 vcc, v52, v23
	s_waitcnt lgkmcnt(0)
	s_nop 0
	;; [unrolled: 10-line block ×3, first 2 shown]
	v_cndmask_b32_e32 v26, 0, v26, vcc
	v_add_u32_e32 v25, v25, v26
	v_mov_b32_e32 v26, 0x80
	v_lshl_or_b32 v55, v43, 2, v26
	ds_bpermute_b32 v26, v55, v25
	v_cmp_le_u32_e32 vcc, v56, v23
	s_waitcnt lgkmcnt(0)
	s_nop 0
	v_cndmask_b32_e32 v23, 0, v26, vcc
	v_add_u32_e32 v26, v25, v23
	v_mov_b32_e32 v25, 0
	s_branch .LBB587_187
.LBB587_185:                            ;   in Loop: Header=BB587_187 Depth=1
	s_or_b64 exec, exec, s[26:27]
	v_cmp_eq_u16_sdwa s[26:27], v27, v36 src0_sel:BYTE_0 src1_sel:DWORD
	ds_bpermute_b32 v57, v46, v26
	v_subrev_u32_e32 v24, 64, v24
	v_and_b32_e32 v30, s27, v29
	v_or_b32_e32 v30, 0x80000000, v30
	v_and_b32_e32 v31, s26, v28
	v_ffbl_b32_e32 v30, v30
	v_add_u32_e32 v30, 32, v30
	v_ffbl_b32_e32 v31, v31
	v_min_u32_e32 v30, v31, v30
	v_cmp_lt_u32_e32 vcc, v38, v30
	s_mov_b64 s[26:27], 0
	s_waitcnt lgkmcnt(0)
	v_cndmask_b32_e32 v31, 0, v57, vcc
	v_add_u32_e32 v26, v31, v26
	ds_bpermute_b32 v31, v47, v26
	v_cmp_le_u32_e32 vcc, v48, v30
	s_waitcnt lgkmcnt(0)
	s_nop 0
	v_cndmask_b32_e32 v31, 0, v31, vcc
	v_add_u32_e32 v26, v26, v31
	ds_bpermute_b32 v31, v49, v26
	v_cmp_le_u32_e32 vcc, v50, v30
	s_waitcnt lgkmcnt(0)
	s_nop 0
	;; [unrolled: 6-line block ×5, first 2 shown]
	v_cndmask_b32_e32 v30, 0, v31, vcc
	v_add3_u32 v26, v30, v23, v26
.LBB587_186:                            ;   in Loop: Header=BB587_187 Depth=1
	s_and_b64 vcc, exec, s[26:27]
	s_cbranch_vccnz .LBB587_193
.LBB587_187:                            ; =>This Loop Header: Depth=1
                                        ;     Child Loop BB587_190 Depth 2
	v_cmp_ne_u16_sdwa s[26:27], v27, v36 src0_sel:BYTE_0 src1_sel:DWORD
	v_mov_b32_e32 v23, v26
	s_cmp_lg_u64 s[26:27], exec
	s_mov_b64 s[26:27], -1
                                        ; implicit-def: $vgpr26
                                        ; implicit-def: $vgpr27
	s_cbranch_scc1 .LBB587_186
; %bb.188:                              ;   in Loop: Header=BB587_187 Depth=1
	v_lshl_add_u64 v[30:31], v[24:25], 3, s[30:31]
	global_load_dwordx2 v[26:27], v[30:31], off sc1
	s_waitcnt vmcnt(0)
	v_cmp_eq_u16_sdwa s[28:29], v27, v25 src0_sel:BYTE_0 src1_sel:DWORD
	s_and_saveexec_b64 s[26:27], s[28:29]
	s_cbranch_execz .LBB587_185
; %bb.189:                              ;   in Loop: Header=BB587_187 Depth=1
	s_mov_b64 s[28:29], 0
.LBB587_190:                            ;   Parent Loop BB587_187 Depth=1
                                        ; =>  This Inner Loop Header: Depth=2
	global_load_dwordx2 v[26:27], v[30:31], off sc1
	s_waitcnt vmcnt(0)
	v_cmp_ne_u16_sdwa s[38:39], v27, v25 src0_sel:BYTE_0 src1_sel:DWORD
	s_or_b64 s[28:29], s[38:39], s[28:29]
	s_andn2_b64 exec, exec, s[28:29]
	s_cbranch_execnz .LBB587_190
; %bb.191:                              ;   in Loop: Header=BB587_187 Depth=1
	s_or_b64 exec, exec, s[28:29]
	s_branch .LBB587_185
.LBB587_192:
                                        ; implicit-def: $vgpr26
                                        ; implicit-def: $vgpr28
                                        ; implicit-def: $vgpr30
                                        ; implicit-def: $vgpr32
                                        ; implicit-def: $vgpr34
                                        ; implicit-def: $vgpr36
                                        ; implicit-def: $vgpr38
                                        ; implicit-def: $vgpr24
                                        ; implicit-def: $vgpr22
	s_cbranch_execnz .LBB587_198
	s_branch .LBB587_207
.LBB587_193:
	s_and_saveexec_b64 s[26:27], s[16:17]
	s_cbranch_execz .LBB587_195
; %bb.194:
	s_add_i32 s28, s33, 64
	s_mov_b32 s29, 0
	s_lshl_b64 s[28:29], s[28:29], 3
	s_add_u32 s28, s30, s28
	v_add_u32_e32 v24, v23, v22
	v_mov_b32_e32 v25, 2
	s_addc_u32 s29, s31, s29
	v_mov_b32_e32 v26, 0
	global_store_dwordx2 v26, v[24:25], s[28:29] sc1
	ds_write_b64 v26, v[22:23] offset:28672
.LBB587_195:
	s_or_b64 exec, exec, s[26:27]
	s_and_b64 exec, exec, s[18:19]
; %bb.196:
	v_mov_b32_e32 v22, 0
	ds_write_b32 v22, v23 offset:28
.LBB587_197:
	s_or_b64 exec, exec, s[0:1]
	v_mov_b32_e32 v22, 0
	s_waitcnt lgkmcnt(0)
	s_barrier
	ds_read_b32 v23, v22 offset:28
	v_cndmask_b32_e64 v24, v34, v32, s[16:17]
	v_cndmask_b32_e64 v24, v24, 0, s[18:19]
	s_waitcnt lgkmcnt(0)
	s_barrier
	v_add_u32_e32 v38, v23, v24
	v_add_u32_e32 v36, v38, v1
	ds_read_b64 v[22:23], v22 offset:28672
	v_add_u32_e32 v34, v36, v21
	v_add_u32_e32 v32, v34, v33
	;; [unrolled: 1-line block ×5, first 2 shown]
	s_waitcnt lgkmcnt(0)
	v_mov_b32_e32 v24, v23
	s_branch .LBB587_207
.LBB587_198:
	v_mov_b32_dpp v22, v45 row_shr:1 row_mask:0xf bank_mask:0xf
	v_cndmask_b32_e64 v22, v22, 0, s[14:15]
	v_add_u32_e32 v22, v22, v45
	s_nop 1
	v_mov_b32_dpp v23, v22 row_shr:2 row_mask:0xf bank_mask:0xf
	v_cndmask_b32_e64 v23, 0, v23, s[12:13]
	v_add_u32_e32 v22, v22, v23
	s_nop 1
	v_mov_b32_dpp v23, v22 row_shr:4 row_mask:0xf bank_mask:0xf
	v_cndmask_b32_e64 v23, 0, v23, s[10:11]
	v_add_u32_e32 v22, v22, v23
	s_nop 1
	v_mov_b32_dpp v23, v22 row_shr:8 row_mask:0xf bank_mask:0xf
	v_cndmask_b32_e64 v23, 0, v23, s[8:9]
	v_add_u32_e32 v22, v22, v23
	s_nop 1
	v_mov_b32_dpp v23, v22 row_bcast:15 row_mask:0xf bank_mask:0xf
	v_cndmask_b32_e64 v23, v23, 0, s[6:7]
	v_add_u32_e32 v22, v22, v23
	s_nop 1
	v_mov_b32_dpp v23, v22 row_bcast:31 row_mask:0xf bank_mask:0xf
	v_cndmask_b32_e64 v23, 0, v23, s[2:3]
	v_add_u32_e32 v22, v22, v23
	s_and_saveexec_b64 s[0:1], s[4:5]
; %bb.199:
	v_lshlrev_b32_e32 v23, 2, v44
	ds_write_b32 v23, v22
; %bb.200:
	s_or_b64 exec, exec, s[0:1]
	v_cmp_gt_u32_e32 vcc, 8, v0
	s_waitcnt lgkmcnt(0)
	s_barrier
	s_and_saveexec_b64 s[0:1], vcc
	s_cbranch_execz .LBB587_202
; %bb.201:
	v_lshlrev_b32_e32 v23, 2, v0
	ds_read_b32 v24, v23
	v_and_b32_e32 v25, 7, v43
	v_cmp_ne_u32_e32 vcc, 0, v25
	s_waitcnt lgkmcnt(0)
	v_mov_b32_dpp v26, v24 row_shr:1 row_mask:0xf bank_mask:0xf
	v_cndmask_b32_e32 v26, 0, v26, vcc
	v_add_u32_e32 v24, v26, v24
	v_cmp_lt_u32_e32 vcc, 1, v25
	s_nop 0
	v_mov_b32_dpp v26, v24 row_shr:2 row_mask:0xf bank_mask:0xf
	v_cndmask_b32_e32 v26, 0, v26, vcc
	v_add_u32_e32 v24, v24, v26
	v_cmp_lt_u32_e32 vcc, 3, v25
	s_nop 0
	v_mov_b32_dpp v26, v24 row_shr:4 row_mask:0xf bank_mask:0xf
	v_cndmask_b32_e32 v25, 0, v26, vcc
	v_add_u32_e32 v24, v24, v25
	ds_write_b32 v23, v24
.LBB587_202:
	s_or_b64 exec, exec, s[0:1]
	v_cmp_lt_u32_e32 vcc, 63, v0
	v_mov_b32_e32 v23, 0
	v_mov_b32_e32 v24, 0
	s_waitcnt lgkmcnt(0)
	s_barrier
	s_and_saveexec_b64 s[0:1], vcc
; %bb.203:
	v_lshl_add_u32 v24, v44, 2, -4
	ds_read_b32 v24, v24
; %bb.204:
	s_or_b64 exec, exec, s[0:1]
	v_subrev_co_u32_e32 v25, vcc, 1, v43
	v_and_b32_e32 v26, 64, v43
	v_cmp_lt_i32_e64 s[0:1], v25, v26
	s_waitcnt lgkmcnt(0)
	v_add_u32_e32 v22, v24, v22
	v_cndmask_b32_e64 v25, v25, v43, s[0:1]
	v_lshlrev_b32_e32 v25, 2, v25
	ds_bpermute_b32 v25, v25, v22
	ds_read_b32 v22, v23 offset:28
	s_and_saveexec_b64 s[0:1], s[18:19]
	s_cbranch_execz .LBB587_206
; %bb.205:
	v_mov_b32_e32 v26, 0
	v_mov_b32_e32 v23, 2
	s_waitcnt lgkmcnt(0)
	global_store_dwordx2 v26, v[22:23], s[30:31] offset:512 sc1
.LBB587_206:
	s_or_b64 exec, exec, s[0:1]
	s_waitcnt lgkmcnt(1)
	v_cndmask_b32_e32 v23, v25, v24, vcc
	v_cndmask_b32_e64 v38, v23, 0, s[18:19]
	v_add_u32_e32 v36, v38, v1
	v_add_u32_e32 v34, v36, v21
	;; [unrolled: 1-line block ×6, first 2 shown]
	s_waitcnt lgkmcnt(0)
	s_barrier
	v_mov_b32_e32 v24, 0
.LBB587_207:
	s_movk_i32 s0, 0x201
	v_cmp_gt_u32_e32 vcc, s0, v22
	v_and_b32_e32 v1, 1, v16
	s_mov_b64 s[2:3], -1
	v_cmp_eq_u32_e64 s[0:1], 1, v1
	s_cbranch_vccnz .LBB587_211
; %bb.208:
	s_and_b64 vcc, exec, s[2:3]
	s_cbranch_vccnz .LBB587_226
.LBB587_209:
	s_and_b64 s[0:1], s[18:19], s[24:25]
	s_and_saveexec_b64 s[2:3], s[0:1]
	s_cbranch_execnz .LBB587_243
.LBB587_210:
	s_endpgm
.LBB587_211:
	v_add_u32_e32 v16, v24, v22
	v_cmp_lt_u32_e32 vcc, v38, v16
	s_or_b64 s[2:3], s[36:37], vcc
	s_and_b64 s[2:3], s[2:3], s[0:1]
	s_and_saveexec_b64 s[0:1], s[2:3]
	s_cbranch_execz .LBB587_213
; %bb.212:
	s_lshl_b64 s[2:3], s[22:23], 3
	s_add_u32 s2, s34, s2
	s_addc_u32 s3, s35, s3
	v_mov_b32_e32 v39, 0
	v_lshl_add_u64 v[44:45], v[38:39], 3, s[2:3]
	global_store_dwordx2 v[44:45], v[10:11], off
.LBB587_213:
	s_or_b64 exec, exec, s[0:1]
	v_cmp_lt_u32_e32 vcc, v36, v16
	v_and_b32_e32 v21, 1, v42
	s_or_b64 s[0:1], s[36:37], vcc
	v_cmp_eq_u32_e32 vcc, 1, v21
	s_and_b64 s[2:3], s[0:1], vcc
	s_and_saveexec_b64 s[0:1], s[2:3]
	s_cbranch_execz .LBB587_215
; %bb.214:
	s_lshl_b64 s[2:3], s[22:23], 3
	s_add_u32 s2, s34, s2
	s_addc_u32 s3, s35, s3
	v_mov_b32_e32 v37, 0
	v_lshl_add_u64 v[44:45], v[36:37], 3, s[2:3]
	global_store_dwordx2 v[44:45], v[12:13], off
.LBB587_215:
	s_or_b64 exec, exec, s[0:1]
	v_cmp_lt_u32_e32 vcc, v34, v16
	v_and_b32_e32 v21, 1, v41
	s_or_b64 s[0:1], s[36:37], vcc
	v_cmp_eq_u32_e32 vcc, 1, v21
	s_and_b64 s[2:3], s[0:1], vcc
	;; [unrolled: 16-line block ×6, first 2 shown]
	s_and_saveexec_b64 s[0:1], s[2:3]
	s_cbranch_execz .LBB587_225
; %bb.224:
	s_lshl_b64 s[2:3], s[22:23], 3
	s_add_u32 s2, s34, s2
	s_addc_u32 s3, s35, s3
	v_mov_b32_e32 v27, 0
	v_lshl_add_u64 v[44:45], v[26:27], 3, s[2:3]
	global_store_dwordx2 v[44:45], v[14:15], off
.LBB587_225:
	s_or_b64 exec, exec, s[0:1]
	s_branch .LBB587_209
.LBB587_226:
	v_cmp_eq_u32_e32 vcc, 1, v1
	s_and_saveexec_b64 s[0:1], vcc
; %bb.227:
	v_sub_u32_e32 v1, v38, v24
	v_lshlrev_b32_e32 v1, 3, v1
	ds_write_b64 v1, v[10:11]
; %bb.228:
	s_or_b64 exec, exec, s[0:1]
	v_and_b32_e32 v1, 1, v42
	v_cmp_eq_u32_e32 vcc, 1, v1
	s_and_saveexec_b64 s[0:1], vcc
; %bb.229:
	v_sub_u32_e32 v1, v36, v24
	v_lshlrev_b32_e32 v1, 3, v1
	ds_write_b64 v1, v[12:13]
; %bb.230:
	s_or_b64 exec, exec, s[0:1]
	v_and_b32_e32 v1, 1, v41
	;; [unrolled: 9-line block ×6, first 2 shown]
	v_cmp_eq_u32_e32 vcc, 1, v1
	s_and_saveexec_b64 s[0:1], vcc
; %bb.239:
	v_sub_u32_e32 v1, v26, v24
	v_lshlrev_b32_e32 v1, 3, v1
	ds_write_b64 v1, v[14:15]
; %bb.240:
	s_or_b64 exec, exec, s[0:1]
	v_mov_b32_e32 v25, 0
	s_lshl_b64 s[0:1], s[22:23], 3
	v_lshlrev_b64 v[2:3], 3, v[24:25]
	v_lshl_add_u64 v[2:3], s[0:1], 0, v[2:3]
	v_mov_b32_e32 v19, v25
	v_lshl_add_u64 v[2:3], s[34:35], 0, v[2:3]
	v_lshl_add_u64 v[2:3], v[2:3], 0, v[18:19]
	s_mov_b64 s[0:1], 0
	s_mov_b64 s[2:3], 0x1000
	s_waitcnt lgkmcnt(0)
	s_barrier
.LBB587_241:                            ; =>This Inner Loop Header: Depth=1
	ds_read_b64 v[4:5], v18
	v_add_u32_e32 v0, 0x200, v0
	v_cmp_ge_u32_e32 vcc, v0, v22
	v_add_u32_e32 v18, 0x1000, v18
	s_or_b64 s[0:1], vcc, s[0:1]
	s_waitcnt lgkmcnt(0)
	global_store_dwordx2 v[2:3], v[4:5], off
	v_lshl_add_u64 v[2:3], v[2:3], 0, s[2:3]
	s_andn2_b64 exec, exec, s[0:1]
	s_cbranch_execnz .LBB587_241
; %bb.242:
	s_or_b64 exec, exec, s[0:1]
	s_and_b64 s[0:1], s[18:19], s[24:25]
	s_and_saveexec_b64 s[2:3], s[0:1]
	s_cbranch_execz .LBB587_210
.LBB587_243:
	v_mov_b32_e32 v23, 0
	v_lshl_add_u64 v[0:1], s[22:23], 0, v[22:23]
	v_mov_b32_e32 v25, v23
	v_lshl_add_u64 v[0:1], v[0:1], 0, v[24:25]
	global_store_dwordx2 v23, v[0:1], s[20:21]
	s_endpgm
	.section	.rodata,"a",@progbits
	.p2align	6, 0x0
	.amdhsa_kernel _ZN7rocprim17ROCPRIM_400000_NS6detail17trampoline_kernelINS0_14default_configENS1_25partition_config_selectorILNS1_17partition_subalgoE8ElNS0_10empty_typeEbEEZZNS1_14partition_implILS5_8ELb0ES3_jPlPS6_PKS6_NS0_5tupleIJS9_S6_EEENSD_IJSA_SA_EEENS0_18inequality_wrapperIZN2at6native12_GLOBAL__N_124unique_dim_cuda_templateIlEESt5tupleIJNSH_6TensorESM_SM_EERKSM_lbbbEUlllE0_EEPmJS6_EEE10hipError_tPvRmT3_T4_T5_T6_T7_T9_mT8_P12ihipStream_tbDpT10_ENKUlT_T0_E_clISt17integral_constantIbLb0EES1B_IbLb1EEEEDaS17_S18_EUlS17_E_NS1_11comp_targetILNS1_3genE0ELNS1_11target_archE4294967295ELNS1_3gpuE0ELNS1_3repE0EEENS1_30default_config_static_selectorELNS0_4arch9wavefront6targetE1EEEvT1_
		.amdhsa_group_segment_fixed_size 28680
		.amdhsa_private_segment_fixed_size 0
		.amdhsa_kernarg_size 136
		.amdhsa_user_sgpr_count 2
		.amdhsa_user_sgpr_dispatch_ptr 0
		.amdhsa_user_sgpr_queue_ptr 0
		.amdhsa_user_sgpr_kernarg_segment_ptr 1
		.amdhsa_user_sgpr_dispatch_id 0
		.amdhsa_user_sgpr_kernarg_preload_length 0
		.amdhsa_user_sgpr_kernarg_preload_offset 0
		.amdhsa_user_sgpr_private_segment_size 0
		.amdhsa_uses_dynamic_stack 0
		.amdhsa_enable_private_segment 0
		.amdhsa_system_sgpr_workgroup_id_x 1
		.amdhsa_system_sgpr_workgroup_id_y 0
		.amdhsa_system_sgpr_workgroup_id_z 0
		.amdhsa_system_sgpr_workgroup_info 0
		.amdhsa_system_vgpr_workitem_id 0
		.amdhsa_next_free_vgpr 58
		.amdhsa_next_free_sgpr 54
		.amdhsa_accum_offset 60
		.amdhsa_reserve_vcc 1
		.amdhsa_float_round_mode_32 0
		.amdhsa_float_round_mode_16_64 0
		.amdhsa_float_denorm_mode_32 3
		.amdhsa_float_denorm_mode_16_64 3
		.amdhsa_dx10_clamp 1
		.amdhsa_ieee_mode 1
		.amdhsa_fp16_overflow 0
		.amdhsa_tg_split 0
		.amdhsa_exception_fp_ieee_invalid_op 0
		.amdhsa_exception_fp_denorm_src 0
		.amdhsa_exception_fp_ieee_div_zero 0
		.amdhsa_exception_fp_ieee_overflow 0
		.amdhsa_exception_fp_ieee_underflow 0
		.amdhsa_exception_fp_ieee_inexact 0
		.amdhsa_exception_int_div_zero 0
	.end_amdhsa_kernel
	.section	.text._ZN7rocprim17ROCPRIM_400000_NS6detail17trampoline_kernelINS0_14default_configENS1_25partition_config_selectorILNS1_17partition_subalgoE8ElNS0_10empty_typeEbEEZZNS1_14partition_implILS5_8ELb0ES3_jPlPS6_PKS6_NS0_5tupleIJS9_S6_EEENSD_IJSA_SA_EEENS0_18inequality_wrapperIZN2at6native12_GLOBAL__N_124unique_dim_cuda_templateIlEESt5tupleIJNSH_6TensorESM_SM_EERKSM_lbbbEUlllE0_EEPmJS6_EEE10hipError_tPvRmT3_T4_T5_T6_T7_T9_mT8_P12ihipStream_tbDpT10_ENKUlT_T0_E_clISt17integral_constantIbLb0EES1B_IbLb1EEEEDaS17_S18_EUlS17_E_NS1_11comp_targetILNS1_3genE0ELNS1_11target_archE4294967295ELNS1_3gpuE0ELNS1_3repE0EEENS1_30default_config_static_selectorELNS0_4arch9wavefront6targetE1EEEvT1_,"axG",@progbits,_ZN7rocprim17ROCPRIM_400000_NS6detail17trampoline_kernelINS0_14default_configENS1_25partition_config_selectorILNS1_17partition_subalgoE8ElNS0_10empty_typeEbEEZZNS1_14partition_implILS5_8ELb0ES3_jPlPS6_PKS6_NS0_5tupleIJS9_S6_EEENSD_IJSA_SA_EEENS0_18inequality_wrapperIZN2at6native12_GLOBAL__N_124unique_dim_cuda_templateIlEESt5tupleIJNSH_6TensorESM_SM_EERKSM_lbbbEUlllE0_EEPmJS6_EEE10hipError_tPvRmT3_T4_T5_T6_T7_T9_mT8_P12ihipStream_tbDpT10_ENKUlT_T0_E_clISt17integral_constantIbLb0EES1B_IbLb1EEEEDaS17_S18_EUlS17_E_NS1_11comp_targetILNS1_3genE0ELNS1_11target_archE4294967295ELNS1_3gpuE0ELNS1_3repE0EEENS1_30default_config_static_selectorELNS0_4arch9wavefront6targetE1EEEvT1_,comdat
.Lfunc_end587:
	.size	_ZN7rocprim17ROCPRIM_400000_NS6detail17trampoline_kernelINS0_14default_configENS1_25partition_config_selectorILNS1_17partition_subalgoE8ElNS0_10empty_typeEbEEZZNS1_14partition_implILS5_8ELb0ES3_jPlPS6_PKS6_NS0_5tupleIJS9_S6_EEENSD_IJSA_SA_EEENS0_18inequality_wrapperIZN2at6native12_GLOBAL__N_124unique_dim_cuda_templateIlEESt5tupleIJNSH_6TensorESM_SM_EERKSM_lbbbEUlllE0_EEPmJS6_EEE10hipError_tPvRmT3_T4_T5_T6_T7_T9_mT8_P12ihipStream_tbDpT10_ENKUlT_T0_E_clISt17integral_constantIbLb0EES1B_IbLb1EEEEDaS17_S18_EUlS17_E_NS1_11comp_targetILNS1_3genE0ELNS1_11target_archE4294967295ELNS1_3gpuE0ELNS1_3repE0EEENS1_30default_config_static_selectorELNS0_4arch9wavefront6targetE1EEEvT1_, .Lfunc_end587-_ZN7rocprim17ROCPRIM_400000_NS6detail17trampoline_kernelINS0_14default_configENS1_25partition_config_selectorILNS1_17partition_subalgoE8ElNS0_10empty_typeEbEEZZNS1_14partition_implILS5_8ELb0ES3_jPlPS6_PKS6_NS0_5tupleIJS9_S6_EEENSD_IJSA_SA_EEENS0_18inequality_wrapperIZN2at6native12_GLOBAL__N_124unique_dim_cuda_templateIlEESt5tupleIJNSH_6TensorESM_SM_EERKSM_lbbbEUlllE0_EEPmJS6_EEE10hipError_tPvRmT3_T4_T5_T6_T7_T9_mT8_P12ihipStream_tbDpT10_ENKUlT_T0_E_clISt17integral_constantIbLb0EES1B_IbLb1EEEEDaS17_S18_EUlS17_E_NS1_11comp_targetILNS1_3genE0ELNS1_11target_archE4294967295ELNS1_3gpuE0ELNS1_3repE0EEENS1_30default_config_static_selectorELNS0_4arch9wavefront6targetE1EEEvT1_
                                        ; -- End function
	.set _ZN7rocprim17ROCPRIM_400000_NS6detail17trampoline_kernelINS0_14default_configENS1_25partition_config_selectorILNS1_17partition_subalgoE8ElNS0_10empty_typeEbEEZZNS1_14partition_implILS5_8ELb0ES3_jPlPS6_PKS6_NS0_5tupleIJS9_S6_EEENSD_IJSA_SA_EEENS0_18inequality_wrapperIZN2at6native12_GLOBAL__N_124unique_dim_cuda_templateIlEESt5tupleIJNSH_6TensorESM_SM_EERKSM_lbbbEUlllE0_EEPmJS6_EEE10hipError_tPvRmT3_T4_T5_T6_T7_T9_mT8_P12ihipStream_tbDpT10_ENKUlT_T0_E_clISt17integral_constantIbLb0EES1B_IbLb1EEEEDaS17_S18_EUlS17_E_NS1_11comp_targetILNS1_3genE0ELNS1_11target_archE4294967295ELNS1_3gpuE0ELNS1_3repE0EEENS1_30default_config_static_selectorELNS0_4arch9wavefront6targetE1EEEvT1_.num_vgpr, 58
	.set _ZN7rocprim17ROCPRIM_400000_NS6detail17trampoline_kernelINS0_14default_configENS1_25partition_config_selectorILNS1_17partition_subalgoE8ElNS0_10empty_typeEbEEZZNS1_14partition_implILS5_8ELb0ES3_jPlPS6_PKS6_NS0_5tupleIJS9_S6_EEENSD_IJSA_SA_EEENS0_18inequality_wrapperIZN2at6native12_GLOBAL__N_124unique_dim_cuda_templateIlEESt5tupleIJNSH_6TensorESM_SM_EERKSM_lbbbEUlllE0_EEPmJS6_EEE10hipError_tPvRmT3_T4_T5_T6_T7_T9_mT8_P12ihipStream_tbDpT10_ENKUlT_T0_E_clISt17integral_constantIbLb0EES1B_IbLb1EEEEDaS17_S18_EUlS17_E_NS1_11comp_targetILNS1_3genE0ELNS1_11target_archE4294967295ELNS1_3gpuE0ELNS1_3repE0EEENS1_30default_config_static_selectorELNS0_4arch9wavefront6targetE1EEEvT1_.num_agpr, 0
	.set _ZN7rocprim17ROCPRIM_400000_NS6detail17trampoline_kernelINS0_14default_configENS1_25partition_config_selectorILNS1_17partition_subalgoE8ElNS0_10empty_typeEbEEZZNS1_14partition_implILS5_8ELb0ES3_jPlPS6_PKS6_NS0_5tupleIJS9_S6_EEENSD_IJSA_SA_EEENS0_18inequality_wrapperIZN2at6native12_GLOBAL__N_124unique_dim_cuda_templateIlEESt5tupleIJNSH_6TensorESM_SM_EERKSM_lbbbEUlllE0_EEPmJS6_EEE10hipError_tPvRmT3_T4_T5_T6_T7_T9_mT8_P12ihipStream_tbDpT10_ENKUlT_T0_E_clISt17integral_constantIbLb0EES1B_IbLb1EEEEDaS17_S18_EUlS17_E_NS1_11comp_targetILNS1_3genE0ELNS1_11target_archE4294967295ELNS1_3gpuE0ELNS1_3repE0EEENS1_30default_config_static_selectorELNS0_4arch9wavefront6targetE1EEEvT1_.numbered_sgpr, 54
	.set _ZN7rocprim17ROCPRIM_400000_NS6detail17trampoline_kernelINS0_14default_configENS1_25partition_config_selectorILNS1_17partition_subalgoE8ElNS0_10empty_typeEbEEZZNS1_14partition_implILS5_8ELb0ES3_jPlPS6_PKS6_NS0_5tupleIJS9_S6_EEENSD_IJSA_SA_EEENS0_18inequality_wrapperIZN2at6native12_GLOBAL__N_124unique_dim_cuda_templateIlEESt5tupleIJNSH_6TensorESM_SM_EERKSM_lbbbEUlllE0_EEPmJS6_EEE10hipError_tPvRmT3_T4_T5_T6_T7_T9_mT8_P12ihipStream_tbDpT10_ENKUlT_T0_E_clISt17integral_constantIbLb0EES1B_IbLb1EEEEDaS17_S18_EUlS17_E_NS1_11comp_targetILNS1_3genE0ELNS1_11target_archE4294967295ELNS1_3gpuE0ELNS1_3repE0EEENS1_30default_config_static_selectorELNS0_4arch9wavefront6targetE1EEEvT1_.num_named_barrier, 0
	.set _ZN7rocprim17ROCPRIM_400000_NS6detail17trampoline_kernelINS0_14default_configENS1_25partition_config_selectorILNS1_17partition_subalgoE8ElNS0_10empty_typeEbEEZZNS1_14partition_implILS5_8ELb0ES3_jPlPS6_PKS6_NS0_5tupleIJS9_S6_EEENSD_IJSA_SA_EEENS0_18inequality_wrapperIZN2at6native12_GLOBAL__N_124unique_dim_cuda_templateIlEESt5tupleIJNSH_6TensorESM_SM_EERKSM_lbbbEUlllE0_EEPmJS6_EEE10hipError_tPvRmT3_T4_T5_T6_T7_T9_mT8_P12ihipStream_tbDpT10_ENKUlT_T0_E_clISt17integral_constantIbLb0EES1B_IbLb1EEEEDaS17_S18_EUlS17_E_NS1_11comp_targetILNS1_3genE0ELNS1_11target_archE4294967295ELNS1_3gpuE0ELNS1_3repE0EEENS1_30default_config_static_selectorELNS0_4arch9wavefront6targetE1EEEvT1_.private_seg_size, 0
	.set _ZN7rocprim17ROCPRIM_400000_NS6detail17trampoline_kernelINS0_14default_configENS1_25partition_config_selectorILNS1_17partition_subalgoE8ElNS0_10empty_typeEbEEZZNS1_14partition_implILS5_8ELb0ES3_jPlPS6_PKS6_NS0_5tupleIJS9_S6_EEENSD_IJSA_SA_EEENS0_18inequality_wrapperIZN2at6native12_GLOBAL__N_124unique_dim_cuda_templateIlEESt5tupleIJNSH_6TensorESM_SM_EERKSM_lbbbEUlllE0_EEPmJS6_EEE10hipError_tPvRmT3_T4_T5_T6_T7_T9_mT8_P12ihipStream_tbDpT10_ENKUlT_T0_E_clISt17integral_constantIbLb0EES1B_IbLb1EEEEDaS17_S18_EUlS17_E_NS1_11comp_targetILNS1_3genE0ELNS1_11target_archE4294967295ELNS1_3gpuE0ELNS1_3repE0EEENS1_30default_config_static_selectorELNS0_4arch9wavefront6targetE1EEEvT1_.uses_vcc, 1
	.set _ZN7rocprim17ROCPRIM_400000_NS6detail17trampoline_kernelINS0_14default_configENS1_25partition_config_selectorILNS1_17partition_subalgoE8ElNS0_10empty_typeEbEEZZNS1_14partition_implILS5_8ELb0ES3_jPlPS6_PKS6_NS0_5tupleIJS9_S6_EEENSD_IJSA_SA_EEENS0_18inequality_wrapperIZN2at6native12_GLOBAL__N_124unique_dim_cuda_templateIlEESt5tupleIJNSH_6TensorESM_SM_EERKSM_lbbbEUlllE0_EEPmJS6_EEE10hipError_tPvRmT3_T4_T5_T6_T7_T9_mT8_P12ihipStream_tbDpT10_ENKUlT_T0_E_clISt17integral_constantIbLb0EES1B_IbLb1EEEEDaS17_S18_EUlS17_E_NS1_11comp_targetILNS1_3genE0ELNS1_11target_archE4294967295ELNS1_3gpuE0ELNS1_3repE0EEENS1_30default_config_static_selectorELNS0_4arch9wavefront6targetE1EEEvT1_.uses_flat_scratch, 0
	.set _ZN7rocprim17ROCPRIM_400000_NS6detail17trampoline_kernelINS0_14default_configENS1_25partition_config_selectorILNS1_17partition_subalgoE8ElNS0_10empty_typeEbEEZZNS1_14partition_implILS5_8ELb0ES3_jPlPS6_PKS6_NS0_5tupleIJS9_S6_EEENSD_IJSA_SA_EEENS0_18inequality_wrapperIZN2at6native12_GLOBAL__N_124unique_dim_cuda_templateIlEESt5tupleIJNSH_6TensorESM_SM_EERKSM_lbbbEUlllE0_EEPmJS6_EEE10hipError_tPvRmT3_T4_T5_T6_T7_T9_mT8_P12ihipStream_tbDpT10_ENKUlT_T0_E_clISt17integral_constantIbLb0EES1B_IbLb1EEEEDaS17_S18_EUlS17_E_NS1_11comp_targetILNS1_3genE0ELNS1_11target_archE4294967295ELNS1_3gpuE0ELNS1_3repE0EEENS1_30default_config_static_selectorELNS0_4arch9wavefront6targetE1EEEvT1_.has_dyn_sized_stack, 0
	.set _ZN7rocprim17ROCPRIM_400000_NS6detail17trampoline_kernelINS0_14default_configENS1_25partition_config_selectorILNS1_17partition_subalgoE8ElNS0_10empty_typeEbEEZZNS1_14partition_implILS5_8ELb0ES3_jPlPS6_PKS6_NS0_5tupleIJS9_S6_EEENSD_IJSA_SA_EEENS0_18inequality_wrapperIZN2at6native12_GLOBAL__N_124unique_dim_cuda_templateIlEESt5tupleIJNSH_6TensorESM_SM_EERKSM_lbbbEUlllE0_EEPmJS6_EEE10hipError_tPvRmT3_T4_T5_T6_T7_T9_mT8_P12ihipStream_tbDpT10_ENKUlT_T0_E_clISt17integral_constantIbLb0EES1B_IbLb1EEEEDaS17_S18_EUlS17_E_NS1_11comp_targetILNS1_3genE0ELNS1_11target_archE4294967295ELNS1_3gpuE0ELNS1_3repE0EEENS1_30default_config_static_selectorELNS0_4arch9wavefront6targetE1EEEvT1_.has_recursion, 0
	.set _ZN7rocprim17ROCPRIM_400000_NS6detail17trampoline_kernelINS0_14default_configENS1_25partition_config_selectorILNS1_17partition_subalgoE8ElNS0_10empty_typeEbEEZZNS1_14partition_implILS5_8ELb0ES3_jPlPS6_PKS6_NS0_5tupleIJS9_S6_EEENSD_IJSA_SA_EEENS0_18inequality_wrapperIZN2at6native12_GLOBAL__N_124unique_dim_cuda_templateIlEESt5tupleIJNSH_6TensorESM_SM_EERKSM_lbbbEUlllE0_EEPmJS6_EEE10hipError_tPvRmT3_T4_T5_T6_T7_T9_mT8_P12ihipStream_tbDpT10_ENKUlT_T0_E_clISt17integral_constantIbLb0EES1B_IbLb1EEEEDaS17_S18_EUlS17_E_NS1_11comp_targetILNS1_3genE0ELNS1_11target_archE4294967295ELNS1_3gpuE0ELNS1_3repE0EEENS1_30default_config_static_selectorELNS0_4arch9wavefront6targetE1EEEvT1_.has_indirect_call, 0
	.section	.AMDGPU.csdata,"",@progbits
; Kernel info:
; codeLenInByte = 11008
; TotalNumSgprs: 60
; NumVgprs: 58
; NumAgprs: 0
; TotalNumVgprs: 58
; ScratchSize: 0
; MemoryBound: 0
; FloatMode: 240
; IeeeMode: 1
; LDSByteSize: 28680 bytes/workgroup (compile time only)
; SGPRBlocks: 7
; VGPRBlocks: 7
; NumSGPRsForWavesPerEU: 60
; NumVGPRsForWavesPerEU: 58
; AccumOffset: 60
; Occupancy: 8
; WaveLimiterHint : 1
; COMPUTE_PGM_RSRC2:SCRATCH_EN: 0
; COMPUTE_PGM_RSRC2:USER_SGPR: 2
; COMPUTE_PGM_RSRC2:TRAP_HANDLER: 0
; COMPUTE_PGM_RSRC2:TGID_X_EN: 1
; COMPUTE_PGM_RSRC2:TGID_Y_EN: 0
; COMPUTE_PGM_RSRC2:TGID_Z_EN: 0
; COMPUTE_PGM_RSRC2:TIDIG_COMP_CNT: 0
; COMPUTE_PGM_RSRC3_GFX90A:ACCUM_OFFSET: 14
; COMPUTE_PGM_RSRC3_GFX90A:TG_SPLIT: 0
	.section	.text._ZN7rocprim17ROCPRIM_400000_NS6detail17trampoline_kernelINS0_14default_configENS1_25partition_config_selectorILNS1_17partition_subalgoE8ElNS0_10empty_typeEbEEZZNS1_14partition_implILS5_8ELb0ES3_jPlPS6_PKS6_NS0_5tupleIJS9_S6_EEENSD_IJSA_SA_EEENS0_18inequality_wrapperIZN2at6native12_GLOBAL__N_124unique_dim_cuda_templateIlEESt5tupleIJNSH_6TensorESM_SM_EERKSM_lbbbEUlllE0_EEPmJS6_EEE10hipError_tPvRmT3_T4_T5_T6_T7_T9_mT8_P12ihipStream_tbDpT10_ENKUlT_T0_E_clISt17integral_constantIbLb0EES1B_IbLb1EEEEDaS17_S18_EUlS17_E_NS1_11comp_targetILNS1_3genE5ELNS1_11target_archE942ELNS1_3gpuE9ELNS1_3repE0EEENS1_30default_config_static_selectorELNS0_4arch9wavefront6targetE1EEEvT1_,"axG",@progbits,_ZN7rocprim17ROCPRIM_400000_NS6detail17trampoline_kernelINS0_14default_configENS1_25partition_config_selectorILNS1_17partition_subalgoE8ElNS0_10empty_typeEbEEZZNS1_14partition_implILS5_8ELb0ES3_jPlPS6_PKS6_NS0_5tupleIJS9_S6_EEENSD_IJSA_SA_EEENS0_18inequality_wrapperIZN2at6native12_GLOBAL__N_124unique_dim_cuda_templateIlEESt5tupleIJNSH_6TensorESM_SM_EERKSM_lbbbEUlllE0_EEPmJS6_EEE10hipError_tPvRmT3_T4_T5_T6_T7_T9_mT8_P12ihipStream_tbDpT10_ENKUlT_T0_E_clISt17integral_constantIbLb0EES1B_IbLb1EEEEDaS17_S18_EUlS17_E_NS1_11comp_targetILNS1_3genE5ELNS1_11target_archE942ELNS1_3gpuE9ELNS1_3repE0EEENS1_30default_config_static_selectorELNS0_4arch9wavefront6targetE1EEEvT1_,comdat
	.globl	_ZN7rocprim17ROCPRIM_400000_NS6detail17trampoline_kernelINS0_14default_configENS1_25partition_config_selectorILNS1_17partition_subalgoE8ElNS0_10empty_typeEbEEZZNS1_14partition_implILS5_8ELb0ES3_jPlPS6_PKS6_NS0_5tupleIJS9_S6_EEENSD_IJSA_SA_EEENS0_18inequality_wrapperIZN2at6native12_GLOBAL__N_124unique_dim_cuda_templateIlEESt5tupleIJNSH_6TensorESM_SM_EERKSM_lbbbEUlllE0_EEPmJS6_EEE10hipError_tPvRmT3_T4_T5_T6_T7_T9_mT8_P12ihipStream_tbDpT10_ENKUlT_T0_E_clISt17integral_constantIbLb0EES1B_IbLb1EEEEDaS17_S18_EUlS17_E_NS1_11comp_targetILNS1_3genE5ELNS1_11target_archE942ELNS1_3gpuE9ELNS1_3repE0EEENS1_30default_config_static_selectorELNS0_4arch9wavefront6targetE1EEEvT1_ ; -- Begin function _ZN7rocprim17ROCPRIM_400000_NS6detail17trampoline_kernelINS0_14default_configENS1_25partition_config_selectorILNS1_17partition_subalgoE8ElNS0_10empty_typeEbEEZZNS1_14partition_implILS5_8ELb0ES3_jPlPS6_PKS6_NS0_5tupleIJS9_S6_EEENSD_IJSA_SA_EEENS0_18inequality_wrapperIZN2at6native12_GLOBAL__N_124unique_dim_cuda_templateIlEESt5tupleIJNSH_6TensorESM_SM_EERKSM_lbbbEUlllE0_EEPmJS6_EEE10hipError_tPvRmT3_T4_T5_T6_T7_T9_mT8_P12ihipStream_tbDpT10_ENKUlT_T0_E_clISt17integral_constantIbLb0EES1B_IbLb1EEEEDaS17_S18_EUlS17_E_NS1_11comp_targetILNS1_3genE5ELNS1_11target_archE942ELNS1_3gpuE9ELNS1_3repE0EEENS1_30default_config_static_selectorELNS0_4arch9wavefront6targetE1EEEvT1_
	.p2align	8
	.type	_ZN7rocprim17ROCPRIM_400000_NS6detail17trampoline_kernelINS0_14default_configENS1_25partition_config_selectorILNS1_17partition_subalgoE8ElNS0_10empty_typeEbEEZZNS1_14partition_implILS5_8ELb0ES3_jPlPS6_PKS6_NS0_5tupleIJS9_S6_EEENSD_IJSA_SA_EEENS0_18inequality_wrapperIZN2at6native12_GLOBAL__N_124unique_dim_cuda_templateIlEESt5tupleIJNSH_6TensorESM_SM_EERKSM_lbbbEUlllE0_EEPmJS6_EEE10hipError_tPvRmT3_T4_T5_T6_T7_T9_mT8_P12ihipStream_tbDpT10_ENKUlT_T0_E_clISt17integral_constantIbLb0EES1B_IbLb1EEEEDaS17_S18_EUlS17_E_NS1_11comp_targetILNS1_3genE5ELNS1_11target_archE942ELNS1_3gpuE9ELNS1_3repE0EEENS1_30default_config_static_selectorELNS0_4arch9wavefront6targetE1EEEvT1_,@function
_ZN7rocprim17ROCPRIM_400000_NS6detail17trampoline_kernelINS0_14default_configENS1_25partition_config_selectorILNS1_17partition_subalgoE8ElNS0_10empty_typeEbEEZZNS1_14partition_implILS5_8ELb0ES3_jPlPS6_PKS6_NS0_5tupleIJS9_S6_EEENSD_IJSA_SA_EEENS0_18inequality_wrapperIZN2at6native12_GLOBAL__N_124unique_dim_cuda_templateIlEESt5tupleIJNSH_6TensorESM_SM_EERKSM_lbbbEUlllE0_EEPmJS6_EEE10hipError_tPvRmT3_T4_T5_T6_T7_T9_mT8_P12ihipStream_tbDpT10_ENKUlT_T0_E_clISt17integral_constantIbLb0EES1B_IbLb1EEEEDaS17_S18_EUlS17_E_NS1_11comp_targetILNS1_3genE5ELNS1_11target_archE942ELNS1_3gpuE9ELNS1_3repE0EEENS1_30default_config_static_selectorELNS0_4arch9wavefront6targetE1EEEvT1_: ; @_ZN7rocprim17ROCPRIM_400000_NS6detail17trampoline_kernelINS0_14default_configENS1_25partition_config_selectorILNS1_17partition_subalgoE8ElNS0_10empty_typeEbEEZZNS1_14partition_implILS5_8ELb0ES3_jPlPS6_PKS6_NS0_5tupleIJS9_S6_EEENSD_IJSA_SA_EEENS0_18inequality_wrapperIZN2at6native12_GLOBAL__N_124unique_dim_cuda_templateIlEESt5tupleIJNSH_6TensorESM_SM_EERKSM_lbbbEUlllE0_EEPmJS6_EEE10hipError_tPvRmT3_T4_T5_T6_T7_T9_mT8_P12ihipStream_tbDpT10_ENKUlT_T0_E_clISt17integral_constantIbLb0EES1B_IbLb1EEEEDaS17_S18_EUlS17_E_NS1_11comp_targetILNS1_3genE5ELNS1_11target_archE942ELNS1_3gpuE9ELNS1_3repE0EEENS1_30default_config_static_selectorELNS0_4arch9wavefront6targetE1EEEvT1_
; %bb.0:
	.section	.rodata,"a",@progbits
	.p2align	6, 0x0
	.amdhsa_kernel _ZN7rocprim17ROCPRIM_400000_NS6detail17trampoline_kernelINS0_14default_configENS1_25partition_config_selectorILNS1_17partition_subalgoE8ElNS0_10empty_typeEbEEZZNS1_14partition_implILS5_8ELb0ES3_jPlPS6_PKS6_NS0_5tupleIJS9_S6_EEENSD_IJSA_SA_EEENS0_18inequality_wrapperIZN2at6native12_GLOBAL__N_124unique_dim_cuda_templateIlEESt5tupleIJNSH_6TensorESM_SM_EERKSM_lbbbEUlllE0_EEPmJS6_EEE10hipError_tPvRmT3_T4_T5_T6_T7_T9_mT8_P12ihipStream_tbDpT10_ENKUlT_T0_E_clISt17integral_constantIbLb0EES1B_IbLb1EEEEDaS17_S18_EUlS17_E_NS1_11comp_targetILNS1_3genE5ELNS1_11target_archE942ELNS1_3gpuE9ELNS1_3repE0EEENS1_30default_config_static_selectorELNS0_4arch9wavefront6targetE1EEEvT1_
		.amdhsa_group_segment_fixed_size 0
		.amdhsa_private_segment_fixed_size 0
		.amdhsa_kernarg_size 136
		.amdhsa_user_sgpr_count 2
		.amdhsa_user_sgpr_dispatch_ptr 0
		.amdhsa_user_sgpr_queue_ptr 0
		.amdhsa_user_sgpr_kernarg_segment_ptr 1
		.amdhsa_user_sgpr_dispatch_id 0
		.amdhsa_user_sgpr_kernarg_preload_length 0
		.amdhsa_user_sgpr_kernarg_preload_offset 0
		.amdhsa_user_sgpr_private_segment_size 0
		.amdhsa_uses_dynamic_stack 0
		.amdhsa_enable_private_segment 0
		.amdhsa_system_sgpr_workgroup_id_x 1
		.amdhsa_system_sgpr_workgroup_id_y 0
		.amdhsa_system_sgpr_workgroup_id_z 0
		.amdhsa_system_sgpr_workgroup_info 0
		.amdhsa_system_vgpr_workitem_id 0
		.amdhsa_next_free_vgpr 1
		.amdhsa_next_free_sgpr 0
		.amdhsa_accum_offset 4
		.amdhsa_reserve_vcc 0
		.amdhsa_float_round_mode_32 0
		.amdhsa_float_round_mode_16_64 0
		.amdhsa_float_denorm_mode_32 3
		.amdhsa_float_denorm_mode_16_64 3
		.amdhsa_dx10_clamp 1
		.amdhsa_ieee_mode 1
		.amdhsa_fp16_overflow 0
		.amdhsa_tg_split 0
		.amdhsa_exception_fp_ieee_invalid_op 0
		.amdhsa_exception_fp_denorm_src 0
		.amdhsa_exception_fp_ieee_div_zero 0
		.amdhsa_exception_fp_ieee_overflow 0
		.amdhsa_exception_fp_ieee_underflow 0
		.amdhsa_exception_fp_ieee_inexact 0
		.amdhsa_exception_int_div_zero 0
	.end_amdhsa_kernel
	.section	.text._ZN7rocprim17ROCPRIM_400000_NS6detail17trampoline_kernelINS0_14default_configENS1_25partition_config_selectorILNS1_17partition_subalgoE8ElNS0_10empty_typeEbEEZZNS1_14partition_implILS5_8ELb0ES3_jPlPS6_PKS6_NS0_5tupleIJS9_S6_EEENSD_IJSA_SA_EEENS0_18inequality_wrapperIZN2at6native12_GLOBAL__N_124unique_dim_cuda_templateIlEESt5tupleIJNSH_6TensorESM_SM_EERKSM_lbbbEUlllE0_EEPmJS6_EEE10hipError_tPvRmT3_T4_T5_T6_T7_T9_mT8_P12ihipStream_tbDpT10_ENKUlT_T0_E_clISt17integral_constantIbLb0EES1B_IbLb1EEEEDaS17_S18_EUlS17_E_NS1_11comp_targetILNS1_3genE5ELNS1_11target_archE942ELNS1_3gpuE9ELNS1_3repE0EEENS1_30default_config_static_selectorELNS0_4arch9wavefront6targetE1EEEvT1_,"axG",@progbits,_ZN7rocprim17ROCPRIM_400000_NS6detail17trampoline_kernelINS0_14default_configENS1_25partition_config_selectorILNS1_17partition_subalgoE8ElNS0_10empty_typeEbEEZZNS1_14partition_implILS5_8ELb0ES3_jPlPS6_PKS6_NS0_5tupleIJS9_S6_EEENSD_IJSA_SA_EEENS0_18inequality_wrapperIZN2at6native12_GLOBAL__N_124unique_dim_cuda_templateIlEESt5tupleIJNSH_6TensorESM_SM_EERKSM_lbbbEUlllE0_EEPmJS6_EEE10hipError_tPvRmT3_T4_T5_T6_T7_T9_mT8_P12ihipStream_tbDpT10_ENKUlT_T0_E_clISt17integral_constantIbLb0EES1B_IbLb1EEEEDaS17_S18_EUlS17_E_NS1_11comp_targetILNS1_3genE5ELNS1_11target_archE942ELNS1_3gpuE9ELNS1_3repE0EEENS1_30default_config_static_selectorELNS0_4arch9wavefront6targetE1EEEvT1_,comdat
.Lfunc_end588:
	.size	_ZN7rocprim17ROCPRIM_400000_NS6detail17trampoline_kernelINS0_14default_configENS1_25partition_config_selectorILNS1_17partition_subalgoE8ElNS0_10empty_typeEbEEZZNS1_14partition_implILS5_8ELb0ES3_jPlPS6_PKS6_NS0_5tupleIJS9_S6_EEENSD_IJSA_SA_EEENS0_18inequality_wrapperIZN2at6native12_GLOBAL__N_124unique_dim_cuda_templateIlEESt5tupleIJNSH_6TensorESM_SM_EERKSM_lbbbEUlllE0_EEPmJS6_EEE10hipError_tPvRmT3_T4_T5_T6_T7_T9_mT8_P12ihipStream_tbDpT10_ENKUlT_T0_E_clISt17integral_constantIbLb0EES1B_IbLb1EEEEDaS17_S18_EUlS17_E_NS1_11comp_targetILNS1_3genE5ELNS1_11target_archE942ELNS1_3gpuE9ELNS1_3repE0EEENS1_30default_config_static_selectorELNS0_4arch9wavefront6targetE1EEEvT1_, .Lfunc_end588-_ZN7rocprim17ROCPRIM_400000_NS6detail17trampoline_kernelINS0_14default_configENS1_25partition_config_selectorILNS1_17partition_subalgoE8ElNS0_10empty_typeEbEEZZNS1_14partition_implILS5_8ELb0ES3_jPlPS6_PKS6_NS0_5tupleIJS9_S6_EEENSD_IJSA_SA_EEENS0_18inequality_wrapperIZN2at6native12_GLOBAL__N_124unique_dim_cuda_templateIlEESt5tupleIJNSH_6TensorESM_SM_EERKSM_lbbbEUlllE0_EEPmJS6_EEE10hipError_tPvRmT3_T4_T5_T6_T7_T9_mT8_P12ihipStream_tbDpT10_ENKUlT_T0_E_clISt17integral_constantIbLb0EES1B_IbLb1EEEEDaS17_S18_EUlS17_E_NS1_11comp_targetILNS1_3genE5ELNS1_11target_archE942ELNS1_3gpuE9ELNS1_3repE0EEENS1_30default_config_static_selectorELNS0_4arch9wavefront6targetE1EEEvT1_
                                        ; -- End function
	.set _ZN7rocprim17ROCPRIM_400000_NS6detail17trampoline_kernelINS0_14default_configENS1_25partition_config_selectorILNS1_17partition_subalgoE8ElNS0_10empty_typeEbEEZZNS1_14partition_implILS5_8ELb0ES3_jPlPS6_PKS6_NS0_5tupleIJS9_S6_EEENSD_IJSA_SA_EEENS0_18inequality_wrapperIZN2at6native12_GLOBAL__N_124unique_dim_cuda_templateIlEESt5tupleIJNSH_6TensorESM_SM_EERKSM_lbbbEUlllE0_EEPmJS6_EEE10hipError_tPvRmT3_T4_T5_T6_T7_T9_mT8_P12ihipStream_tbDpT10_ENKUlT_T0_E_clISt17integral_constantIbLb0EES1B_IbLb1EEEEDaS17_S18_EUlS17_E_NS1_11comp_targetILNS1_3genE5ELNS1_11target_archE942ELNS1_3gpuE9ELNS1_3repE0EEENS1_30default_config_static_selectorELNS0_4arch9wavefront6targetE1EEEvT1_.num_vgpr, 0
	.set _ZN7rocprim17ROCPRIM_400000_NS6detail17trampoline_kernelINS0_14default_configENS1_25partition_config_selectorILNS1_17partition_subalgoE8ElNS0_10empty_typeEbEEZZNS1_14partition_implILS5_8ELb0ES3_jPlPS6_PKS6_NS0_5tupleIJS9_S6_EEENSD_IJSA_SA_EEENS0_18inequality_wrapperIZN2at6native12_GLOBAL__N_124unique_dim_cuda_templateIlEESt5tupleIJNSH_6TensorESM_SM_EERKSM_lbbbEUlllE0_EEPmJS6_EEE10hipError_tPvRmT3_T4_T5_T6_T7_T9_mT8_P12ihipStream_tbDpT10_ENKUlT_T0_E_clISt17integral_constantIbLb0EES1B_IbLb1EEEEDaS17_S18_EUlS17_E_NS1_11comp_targetILNS1_3genE5ELNS1_11target_archE942ELNS1_3gpuE9ELNS1_3repE0EEENS1_30default_config_static_selectorELNS0_4arch9wavefront6targetE1EEEvT1_.num_agpr, 0
	.set _ZN7rocprim17ROCPRIM_400000_NS6detail17trampoline_kernelINS0_14default_configENS1_25partition_config_selectorILNS1_17partition_subalgoE8ElNS0_10empty_typeEbEEZZNS1_14partition_implILS5_8ELb0ES3_jPlPS6_PKS6_NS0_5tupleIJS9_S6_EEENSD_IJSA_SA_EEENS0_18inequality_wrapperIZN2at6native12_GLOBAL__N_124unique_dim_cuda_templateIlEESt5tupleIJNSH_6TensorESM_SM_EERKSM_lbbbEUlllE0_EEPmJS6_EEE10hipError_tPvRmT3_T4_T5_T6_T7_T9_mT8_P12ihipStream_tbDpT10_ENKUlT_T0_E_clISt17integral_constantIbLb0EES1B_IbLb1EEEEDaS17_S18_EUlS17_E_NS1_11comp_targetILNS1_3genE5ELNS1_11target_archE942ELNS1_3gpuE9ELNS1_3repE0EEENS1_30default_config_static_selectorELNS0_4arch9wavefront6targetE1EEEvT1_.numbered_sgpr, 0
	.set _ZN7rocprim17ROCPRIM_400000_NS6detail17trampoline_kernelINS0_14default_configENS1_25partition_config_selectorILNS1_17partition_subalgoE8ElNS0_10empty_typeEbEEZZNS1_14partition_implILS5_8ELb0ES3_jPlPS6_PKS6_NS0_5tupleIJS9_S6_EEENSD_IJSA_SA_EEENS0_18inequality_wrapperIZN2at6native12_GLOBAL__N_124unique_dim_cuda_templateIlEESt5tupleIJNSH_6TensorESM_SM_EERKSM_lbbbEUlllE0_EEPmJS6_EEE10hipError_tPvRmT3_T4_T5_T6_T7_T9_mT8_P12ihipStream_tbDpT10_ENKUlT_T0_E_clISt17integral_constantIbLb0EES1B_IbLb1EEEEDaS17_S18_EUlS17_E_NS1_11comp_targetILNS1_3genE5ELNS1_11target_archE942ELNS1_3gpuE9ELNS1_3repE0EEENS1_30default_config_static_selectorELNS0_4arch9wavefront6targetE1EEEvT1_.num_named_barrier, 0
	.set _ZN7rocprim17ROCPRIM_400000_NS6detail17trampoline_kernelINS0_14default_configENS1_25partition_config_selectorILNS1_17partition_subalgoE8ElNS0_10empty_typeEbEEZZNS1_14partition_implILS5_8ELb0ES3_jPlPS6_PKS6_NS0_5tupleIJS9_S6_EEENSD_IJSA_SA_EEENS0_18inequality_wrapperIZN2at6native12_GLOBAL__N_124unique_dim_cuda_templateIlEESt5tupleIJNSH_6TensorESM_SM_EERKSM_lbbbEUlllE0_EEPmJS6_EEE10hipError_tPvRmT3_T4_T5_T6_T7_T9_mT8_P12ihipStream_tbDpT10_ENKUlT_T0_E_clISt17integral_constantIbLb0EES1B_IbLb1EEEEDaS17_S18_EUlS17_E_NS1_11comp_targetILNS1_3genE5ELNS1_11target_archE942ELNS1_3gpuE9ELNS1_3repE0EEENS1_30default_config_static_selectorELNS0_4arch9wavefront6targetE1EEEvT1_.private_seg_size, 0
	.set _ZN7rocprim17ROCPRIM_400000_NS6detail17trampoline_kernelINS0_14default_configENS1_25partition_config_selectorILNS1_17partition_subalgoE8ElNS0_10empty_typeEbEEZZNS1_14partition_implILS5_8ELb0ES3_jPlPS6_PKS6_NS0_5tupleIJS9_S6_EEENSD_IJSA_SA_EEENS0_18inequality_wrapperIZN2at6native12_GLOBAL__N_124unique_dim_cuda_templateIlEESt5tupleIJNSH_6TensorESM_SM_EERKSM_lbbbEUlllE0_EEPmJS6_EEE10hipError_tPvRmT3_T4_T5_T6_T7_T9_mT8_P12ihipStream_tbDpT10_ENKUlT_T0_E_clISt17integral_constantIbLb0EES1B_IbLb1EEEEDaS17_S18_EUlS17_E_NS1_11comp_targetILNS1_3genE5ELNS1_11target_archE942ELNS1_3gpuE9ELNS1_3repE0EEENS1_30default_config_static_selectorELNS0_4arch9wavefront6targetE1EEEvT1_.uses_vcc, 0
	.set _ZN7rocprim17ROCPRIM_400000_NS6detail17trampoline_kernelINS0_14default_configENS1_25partition_config_selectorILNS1_17partition_subalgoE8ElNS0_10empty_typeEbEEZZNS1_14partition_implILS5_8ELb0ES3_jPlPS6_PKS6_NS0_5tupleIJS9_S6_EEENSD_IJSA_SA_EEENS0_18inequality_wrapperIZN2at6native12_GLOBAL__N_124unique_dim_cuda_templateIlEESt5tupleIJNSH_6TensorESM_SM_EERKSM_lbbbEUlllE0_EEPmJS6_EEE10hipError_tPvRmT3_T4_T5_T6_T7_T9_mT8_P12ihipStream_tbDpT10_ENKUlT_T0_E_clISt17integral_constantIbLb0EES1B_IbLb1EEEEDaS17_S18_EUlS17_E_NS1_11comp_targetILNS1_3genE5ELNS1_11target_archE942ELNS1_3gpuE9ELNS1_3repE0EEENS1_30default_config_static_selectorELNS0_4arch9wavefront6targetE1EEEvT1_.uses_flat_scratch, 0
	.set _ZN7rocprim17ROCPRIM_400000_NS6detail17trampoline_kernelINS0_14default_configENS1_25partition_config_selectorILNS1_17partition_subalgoE8ElNS0_10empty_typeEbEEZZNS1_14partition_implILS5_8ELb0ES3_jPlPS6_PKS6_NS0_5tupleIJS9_S6_EEENSD_IJSA_SA_EEENS0_18inequality_wrapperIZN2at6native12_GLOBAL__N_124unique_dim_cuda_templateIlEESt5tupleIJNSH_6TensorESM_SM_EERKSM_lbbbEUlllE0_EEPmJS6_EEE10hipError_tPvRmT3_T4_T5_T6_T7_T9_mT8_P12ihipStream_tbDpT10_ENKUlT_T0_E_clISt17integral_constantIbLb0EES1B_IbLb1EEEEDaS17_S18_EUlS17_E_NS1_11comp_targetILNS1_3genE5ELNS1_11target_archE942ELNS1_3gpuE9ELNS1_3repE0EEENS1_30default_config_static_selectorELNS0_4arch9wavefront6targetE1EEEvT1_.has_dyn_sized_stack, 0
	.set _ZN7rocprim17ROCPRIM_400000_NS6detail17trampoline_kernelINS0_14default_configENS1_25partition_config_selectorILNS1_17partition_subalgoE8ElNS0_10empty_typeEbEEZZNS1_14partition_implILS5_8ELb0ES3_jPlPS6_PKS6_NS0_5tupleIJS9_S6_EEENSD_IJSA_SA_EEENS0_18inequality_wrapperIZN2at6native12_GLOBAL__N_124unique_dim_cuda_templateIlEESt5tupleIJNSH_6TensorESM_SM_EERKSM_lbbbEUlllE0_EEPmJS6_EEE10hipError_tPvRmT3_T4_T5_T6_T7_T9_mT8_P12ihipStream_tbDpT10_ENKUlT_T0_E_clISt17integral_constantIbLb0EES1B_IbLb1EEEEDaS17_S18_EUlS17_E_NS1_11comp_targetILNS1_3genE5ELNS1_11target_archE942ELNS1_3gpuE9ELNS1_3repE0EEENS1_30default_config_static_selectorELNS0_4arch9wavefront6targetE1EEEvT1_.has_recursion, 0
	.set _ZN7rocprim17ROCPRIM_400000_NS6detail17trampoline_kernelINS0_14default_configENS1_25partition_config_selectorILNS1_17partition_subalgoE8ElNS0_10empty_typeEbEEZZNS1_14partition_implILS5_8ELb0ES3_jPlPS6_PKS6_NS0_5tupleIJS9_S6_EEENSD_IJSA_SA_EEENS0_18inequality_wrapperIZN2at6native12_GLOBAL__N_124unique_dim_cuda_templateIlEESt5tupleIJNSH_6TensorESM_SM_EERKSM_lbbbEUlllE0_EEPmJS6_EEE10hipError_tPvRmT3_T4_T5_T6_T7_T9_mT8_P12ihipStream_tbDpT10_ENKUlT_T0_E_clISt17integral_constantIbLb0EES1B_IbLb1EEEEDaS17_S18_EUlS17_E_NS1_11comp_targetILNS1_3genE5ELNS1_11target_archE942ELNS1_3gpuE9ELNS1_3repE0EEENS1_30default_config_static_selectorELNS0_4arch9wavefront6targetE1EEEvT1_.has_indirect_call, 0
	.section	.AMDGPU.csdata,"",@progbits
; Kernel info:
; codeLenInByte = 0
; TotalNumSgprs: 6
; NumVgprs: 0
; NumAgprs: 0
; TotalNumVgprs: 0
; ScratchSize: 0
; MemoryBound: 0
; FloatMode: 240
; IeeeMode: 1
; LDSByteSize: 0 bytes/workgroup (compile time only)
; SGPRBlocks: 0
; VGPRBlocks: 0
; NumSGPRsForWavesPerEU: 6
; NumVGPRsForWavesPerEU: 1
; AccumOffset: 4
; Occupancy: 8
; WaveLimiterHint : 0
; COMPUTE_PGM_RSRC2:SCRATCH_EN: 0
; COMPUTE_PGM_RSRC2:USER_SGPR: 2
; COMPUTE_PGM_RSRC2:TRAP_HANDLER: 0
; COMPUTE_PGM_RSRC2:TGID_X_EN: 1
; COMPUTE_PGM_RSRC2:TGID_Y_EN: 0
; COMPUTE_PGM_RSRC2:TGID_Z_EN: 0
; COMPUTE_PGM_RSRC2:TIDIG_COMP_CNT: 0
; COMPUTE_PGM_RSRC3_GFX90A:ACCUM_OFFSET: 0
; COMPUTE_PGM_RSRC3_GFX90A:TG_SPLIT: 0
	.section	.text._ZN7rocprim17ROCPRIM_400000_NS6detail17trampoline_kernelINS0_14default_configENS1_25partition_config_selectorILNS1_17partition_subalgoE8ElNS0_10empty_typeEbEEZZNS1_14partition_implILS5_8ELb0ES3_jPlPS6_PKS6_NS0_5tupleIJS9_S6_EEENSD_IJSA_SA_EEENS0_18inequality_wrapperIZN2at6native12_GLOBAL__N_124unique_dim_cuda_templateIlEESt5tupleIJNSH_6TensorESM_SM_EERKSM_lbbbEUlllE0_EEPmJS6_EEE10hipError_tPvRmT3_T4_T5_T6_T7_T9_mT8_P12ihipStream_tbDpT10_ENKUlT_T0_E_clISt17integral_constantIbLb0EES1B_IbLb1EEEEDaS17_S18_EUlS17_E_NS1_11comp_targetILNS1_3genE4ELNS1_11target_archE910ELNS1_3gpuE8ELNS1_3repE0EEENS1_30default_config_static_selectorELNS0_4arch9wavefront6targetE1EEEvT1_,"axG",@progbits,_ZN7rocprim17ROCPRIM_400000_NS6detail17trampoline_kernelINS0_14default_configENS1_25partition_config_selectorILNS1_17partition_subalgoE8ElNS0_10empty_typeEbEEZZNS1_14partition_implILS5_8ELb0ES3_jPlPS6_PKS6_NS0_5tupleIJS9_S6_EEENSD_IJSA_SA_EEENS0_18inequality_wrapperIZN2at6native12_GLOBAL__N_124unique_dim_cuda_templateIlEESt5tupleIJNSH_6TensorESM_SM_EERKSM_lbbbEUlllE0_EEPmJS6_EEE10hipError_tPvRmT3_T4_T5_T6_T7_T9_mT8_P12ihipStream_tbDpT10_ENKUlT_T0_E_clISt17integral_constantIbLb0EES1B_IbLb1EEEEDaS17_S18_EUlS17_E_NS1_11comp_targetILNS1_3genE4ELNS1_11target_archE910ELNS1_3gpuE8ELNS1_3repE0EEENS1_30default_config_static_selectorELNS0_4arch9wavefront6targetE1EEEvT1_,comdat
	.globl	_ZN7rocprim17ROCPRIM_400000_NS6detail17trampoline_kernelINS0_14default_configENS1_25partition_config_selectorILNS1_17partition_subalgoE8ElNS0_10empty_typeEbEEZZNS1_14partition_implILS5_8ELb0ES3_jPlPS6_PKS6_NS0_5tupleIJS9_S6_EEENSD_IJSA_SA_EEENS0_18inequality_wrapperIZN2at6native12_GLOBAL__N_124unique_dim_cuda_templateIlEESt5tupleIJNSH_6TensorESM_SM_EERKSM_lbbbEUlllE0_EEPmJS6_EEE10hipError_tPvRmT3_T4_T5_T6_T7_T9_mT8_P12ihipStream_tbDpT10_ENKUlT_T0_E_clISt17integral_constantIbLb0EES1B_IbLb1EEEEDaS17_S18_EUlS17_E_NS1_11comp_targetILNS1_3genE4ELNS1_11target_archE910ELNS1_3gpuE8ELNS1_3repE0EEENS1_30default_config_static_selectorELNS0_4arch9wavefront6targetE1EEEvT1_ ; -- Begin function _ZN7rocprim17ROCPRIM_400000_NS6detail17trampoline_kernelINS0_14default_configENS1_25partition_config_selectorILNS1_17partition_subalgoE8ElNS0_10empty_typeEbEEZZNS1_14partition_implILS5_8ELb0ES3_jPlPS6_PKS6_NS0_5tupleIJS9_S6_EEENSD_IJSA_SA_EEENS0_18inequality_wrapperIZN2at6native12_GLOBAL__N_124unique_dim_cuda_templateIlEESt5tupleIJNSH_6TensorESM_SM_EERKSM_lbbbEUlllE0_EEPmJS6_EEE10hipError_tPvRmT3_T4_T5_T6_T7_T9_mT8_P12ihipStream_tbDpT10_ENKUlT_T0_E_clISt17integral_constantIbLb0EES1B_IbLb1EEEEDaS17_S18_EUlS17_E_NS1_11comp_targetILNS1_3genE4ELNS1_11target_archE910ELNS1_3gpuE8ELNS1_3repE0EEENS1_30default_config_static_selectorELNS0_4arch9wavefront6targetE1EEEvT1_
	.p2align	8
	.type	_ZN7rocprim17ROCPRIM_400000_NS6detail17trampoline_kernelINS0_14default_configENS1_25partition_config_selectorILNS1_17partition_subalgoE8ElNS0_10empty_typeEbEEZZNS1_14partition_implILS5_8ELb0ES3_jPlPS6_PKS6_NS0_5tupleIJS9_S6_EEENSD_IJSA_SA_EEENS0_18inequality_wrapperIZN2at6native12_GLOBAL__N_124unique_dim_cuda_templateIlEESt5tupleIJNSH_6TensorESM_SM_EERKSM_lbbbEUlllE0_EEPmJS6_EEE10hipError_tPvRmT3_T4_T5_T6_T7_T9_mT8_P12ihipStream_tbDpT10_ENKUlT_T0_E_clISt17integral_constantIbLb0EES1B_IbLb1EEEEDaS17_S18_EUlS17_E_NS1_11comp_targetILNS1_3genE4ELNS1_11target_archE910ELNS1_3gpuE8ELNS1_3repE0EEENS1_30default_config_static_selectorELNS0_4arch9wavefront6targetE1EEEvT1_,@function
_ZN7rocprim17ROCPRIM_400000_NS6detail17trampoline_kernelINS0_14default_configENS1_25partition_config_selectorILNS1_17partition_subalgoE8ElNS0_10empty_typeEbEEZZNS1_14partition_implILS5_8ELb0ES3_jPlPS6_PKS6_NS0_5tupleIJS9_S6_EEENSD_IJSA_SA_EEENS0_18inequality_wrapperIZN2at6native12_GLOBAL__N_124unique_dim_cuda_templateIlEESt5tupleIJNSH_6TensorESM_SM_EERKSM_lbbbEUlllE0_EEPmJS6_EEE10hipError_tPvRmT3_T4_T5_T6_T7_T9_mT8_P12ihipStream_tbDpT10_ENKUlT_T0_E_clISt17integral_constantIbLb0EES1B_IbLb1EEEEDaS17_S18_EUlS17_E_NS1_11comp_targetILNS1_3genE4ELNS1_11target_archE910ELNS1_3gpuE8ELNS1_3repE0EEENS1_30default_config_static_selectorELNS0_4arch9wavefront6targetE1EEEvT1_: ; @_ZN7rocprim17ROCPRIM_400000_NS6detail17trampoline_kernelINS0_14default_configENS1_25partition_config_selectorILNS1_17partition_subalgoE8ElNS0_10empty_typeEbEEZZNS1_14partition_implILS5_8ELb0ES3_jPlPS6_PKS6_NS0_5tupleIJS9_S6_EEENSD_IJSA_SA_EEENS0_18inequality_wrapperIZN2at6native12_GLOBAL__N_124unique_dim_cuda_templateIlEESt5tupleIJNSH_6TensorESM_SM_EERKSM_lbbbEUlllE0_EEPmJS6_EEE10hipError_tPvRmT3_T4_T5_T6_T7_T9_mT8_P12ihipStream_tbDpT10_ENKUlT_T0_E_clISt17integral_constantIbLb0EES1B_IbLb1EEEEDaS17_S18_EUlS17_E_NS1_11comp_targetILNS1_3genE4ELNS1_11target_archE910ELNS1_3gpuE8ELNS1_3repE0EEENS1_30default_config_static_selectorELNS0_4arch9wavefront6targetE1EEEvT1_
; %bb.0:
	.section	.rodata,"a",@progbits
	.p2align	6, 0x0
	.amdhsa_kernel _ZN7rocprim17ROCPRIM_400000_NS6detail17trampoline_kernelINS0_14default_configENS1_25partition_config_selectorILNS1_17partition_subalgoE8ElNS0_10empty_typeEbEEZZNS1_14partition_implILS5_8ELb0ES3_jPlPS6_PKS6_NS0_5tupleIJS9_S6_EEENSD_IJSA_SA_EEENS0_18inequality_wrapperIZN2at6native12_GLOBAL__N_124unique_dim_cuda_templateIlEESt5tupleIJNSH_6TensorESM_SM_EERKSM_lbbbEUlllE0_EEPmJS6_EEE10hipError_tPvRmT3_T4_T5_T6_T7_T9_mT8_P12ihipStream_tbDpT10_ENKUlT_T0_E_clISt17integral_constantIbLb0EES1B_IbLb1EEEEDaS17_S18_EUlS17_E_NS1_11comp_targetILNS1_3genE4ELNS1_11target_archE910ELNS1_3gpuE8ELNS1_3repE0EEENS1_30default_config_static_selectorELNS0_4arch9wavefront6targetE1EEEvT1_
		.amdhsa_group_segment_fixed_size 0
		.amdhsa_private_segment_fixed_size 0
		.amdhsa_kernarg_size 136
		.amdhsa_user_sgpr_count 2
		.amdhsa_user_sgpr_dispatch_ptr 0
		.amdhsa_user_sgpr_queue_ptr 0
		.amdhsa_user_sgpr_kernarg_segment_ptr 1
		.amdhsa_user_sgpr_dispatch_id 0
		.amdhsa_user_sgpr_kernarg_preload_length 0
		.amdhsa_user_sgpr_kernarg_preload_offset 0
		.amdhsa_user_sgpr_private_segment_size 0
		.amdhsa_uses_dynamic_stack 0
		.amdhsa_enable_private_segment 0
		.amdhsa_system_sgpr_workgroup_id_x 1
		.amdhsa_system_sgpr_workgroup_id_y 0
		.amdhsa_system_sgpr_workgroup_id_z 0
		.amdhsa_system_sgpr_workgroup_info 0
		.amdhsa_system_vgpr_workitem_id 0
		.amdhsa_next_free_vgpr 1
		.amdhsa_next_free_sgpr 0
		.amdhsa_accum_offset 4
		.amdhsa_reserve_vcc 0
		.amdhsa_float_round_mode_32 0
		.amdhsa_float_round_mode_16_64 0
		.amdhsa_float_denorm_mode_32 3
		.amdhsa_float_denorm_mode_16_64 3
		.amdhsa_dx10_clamp 1
		.amdhsa_ieee_mode 1
		.amdhsa_fp16_overflow 0
		.amdhsa_tg_split 0
		.amdhsa_exception_fp_ieee_invalid_op 0
		.amdhsa_exception_fp_denorm_src 0
		.amdhsa_exception_fp_ieee_div_zero 0
		.amdhsa_exception_fp_ieee_overflow 0
		.amdhsa_exception_fp_ieee_underflow 0
		.amdhsa_exception_fp_ieee_inexact 0
		.amdhsa_exception_int_div_zero 0
	.end_amdhsa_kernel
	.section	.text._ZN7rocprim17ROCPRIM_400000_NS6detail17trampoline_kernelINS0_14default_configENS1_25partition_config_selectorILNS1_17partition_subalgoE8ElNS0_10empty_typeEbEEZZNS1_14partition_implILS5_8ELb0ES3_jPlPS6_PKS6_NS0_5tupleIJS9_S6_EEENSD_IJSA_SA_EEENS0_18inequality_wrapperIZN2at6native12_GLOBAL__N_124unique_dim_cuda_templateIlEESt5tupleIJNSH_6TensorESM_SM_EERKSM_lbbbEUlllE0_EEPmJS6_EEE10hipError_tPvRmT3_T4_T5_T6_T7_T9_mT8_P12ihipStream_tbDpT10_ENKUlT_T0_E_clISt17integral_constantIbLb0EES1B_IbLb1EEEEDaS17_S18_EUlS17_E_NS1_11comp_targetILNS1_3genE4ELNS1_11target_archE910ELNS1_3gpuE8ELNS1_3repE0EEENS1_30default_config_static_selectorELNS0_4arch9wavefront6targetE1EEEvT1_,"axG",@progbits,_ZN7rocprim17ROCPRIM_400000_NS6detail17trampoline_kernelINS0_14default_configENS1_25partition_config_selectorILNS1_17partition_subalgoE8ElNS0_10empty_typeEbEEZZNS1_14partition_implILS5_8ELb0ES3_jPlPS6_PKS6_NS0_5tupleIJS9_S6_EEENSD_IJSA_SA_EEENS0_18inequality_wrapperIZN2at6native12_GLOBAL__N_124unique_dim_cuda_templateIlEESt5tupleIJNSH_6TensorESM_SM_EERKSM_lbbbEUlllE0_EEPmJS6_EEE10hipError_tPvRmT3_T4_T5_T6_T7_T9_mT8_P12ihipStream_tbDpT10_ENKUlT_T0_E_clISt17integral_constantIbLb0EES1B_IbLb1EEEEDaS17_S18_EUlS17_E_NS1_11comp_targetILNS1_3genE4ELNS1_11target_archE910ELNS1_3gpuE8ELNS1_3repE0EEENS1_30default_config_static_selectorELNS0_4arch9wavefront6targetE1EEEvT1_,comdat
.Lfunc_end589:
	.size	_ZN7rocprim17ROCPRIM_400000_NS6detail17trampoline_kernelINS0_14default_configENS1_25partition_config_selectorILNS1_17partition_subalgoE8ElNS0_10empty_typeEbEEZZNS1_14partition_implILS5_8ELb0ES3_jPlPS6_PKS6_NS0_5tupleIJS9_S6_EEENSD_IJSA_SA_EEENS0_18inequality_wrapperIZN2at6native12_GLOBAL__N_124unique_dim_cuda_templateIlEESt5tupleIJNSH_6TensorESM_SM_EERKSM_lbbbEUlllE0_EEPmJS6_EEE10hipError_tPvRmT3_T4_T5_T6_T7_T9_mT8_P12ihipStream_tbDpT10_ENKUlT_T0_E_clISt17integral_constantIbLb0EES1B_IbLb1EEEEDaS17_S18_EUlS17_E_NS1_11comp_targetILNS1_3genE4ELNS1_11target_archE910ELNS1_3gpuE8ELNS1_3repE0EEENS1_30default_config_static_selectorELNS0_4arch9wavefront6targetE1EEEvT1_, .Lfunc_end589-_ZN7rocprim17ROCPRIM_400000_NS6detail17trampoline_kernelINS0_14default_configENS1_25partition_config_selectorILNS1_17partition_subalgoE8ElNS0_10empty_typeEbEEZZNS1_14partition_implILS5_8ELb0ES3_jPlPS6_PKS6_NS0_5tupleIJS9_S6_EEENSD_IJSA_SA_EEENS0_18inequality_wrapperIZN2at6native12_GLOBAL__N_124unique_dim_cuda_templateIlEESt5tupleIJNSH_6TensorESM_SM_EERKSM_lbbbEUlllE0_EEPmJS6_EEE10hipError_tPvRmT3_T4_T5_T6_T7_T9_mT8_P12ihipStream_tbDpT10_ENKUlT_T0_E_clISt17integral_constantIbLb0EES1B_IbLb1EEEEDaS17_S18_EUlS17_E_NS1_11comp_targetILNS1_3genE4ELNS1_11target_archE910ELNS1_3gpuE8ELNS1_3repE0EEENS1_30default_config_static_selectorELNS0_4arch9wavefront6targetE1EEEvT1_
                                        ; -- End function
	.set _ZN7rocprim17ROCPRIM_400000_NS6detail17trampoline_kernelINS0_14default_configENS1_25partition_config_selectorILNS1_17partition_subalgoE8ElNS0_10empty_typeEbEEZZNS1_14partition_implILS5_8ELb0ES3_jPlPS6_PKS6_NS0_5tupleIJS9_S6_EEENSD_IJSA_SA_EEENS0_18inequality_wrapperIZN2at6native12_GLOBAL__N_124unique_dim_cuda_templateIlEESt5tupleIJNSH_6TensorESM_SM_EERKSM_lbbbEUlllE0_EEPmJS6_EEE10hipError_tPvRmT3_T4_T5_T6_T7_T9_mT8_P12ihipStream_tbDpT10_ENKUlT_T0_E_clISt17integral_constantIbLb0EES1B_IbLb1EEEEDaS17_S18_EUlS17_E_NS1_11comp_targetILNS1_3genE4ELNS1_11target_archE910ELNS1_3gpuE8ELNS1_3repE0EEENS1_30default_config_static_selectorELNS0_4arch9wavefront6targetE1EEEvT1_.num_vgpr, 0
	.set _ZN7rocprim17ROCPRIM_400000_NS6detail17trampoline_kernelINS0_14default_configENS1_25partition_config_selectorILNS1_17partition_subalgoE8ElNS0_10empty_typeEbEEZZNS1_14partition_implILS5_8ELb0ES3_jPlPS6_PKS6_NS0_5tupleIJS9_S6_EEENSD_IJSA_SA_EEENS0_18inequality_wrapperIZN2at6native12_GLOBAL__N_124unique_dim_cuda_templateIlEESt5tupleIJNSH_6TensorESM_SM_EERKSM_lbbbEUlllE0_EEPmJS6_EEE10hipError_tPvRmT3_T4_T5_T6_T7_T9_mT8_P12ihipStream_tbDpT10_ENKUlT_T0_E_clISt17integral_constantIbLb0EES1B_IbLb1EEEEDaS17_S18_EUlS17_E_NS1_11comp_targetILNS1_3genE4ELNS1_11target_archE910ELNS1_3gpuE8ELNS1_3repE0EEENS1_30default_config_static_selectorELNS0_4arch9wavefront6targetE1EEEvT1_.num_agpr, 0
	.set _ZN7rocprim17ROCPRIM_400000_NS6detail17trampoline_kernelINS0_14default_configENS1_25partition_config_selectorILNS1_17partition_subalgoE8ElNS0_10empty_typeEbEEZZNS1_14partition_implILS5_8ELb0ES3_jPlPS6_PKS6_NS0_5tupleIJS9_S6_EEENSD_IJSA_SA_EEENS0_18inequality_wrapperIZN2at6native12_GLOBAL__N_124unique_dim_cuda_templateIlEESt5tupleIJNSH_6TensorESM_SM_EERKSM_lbbbEUlllE0_EEPmJS6_EEE10hipError_tPvRmT3_T4_T5_T6_T7_T9_mT8_P12ihipStream_tbDpT10_ENKUlT_T0_E_clISt17integral_constantIbLb0EES1B_IbLb1EEEEDaS17_S18_EUlS17_E_NS1_11comp_targetILNS1_3genE4ELNS1_11target_archE910ELNS1_3gpuE8ELNS1_3repE0EEENS1_30default_config_static_selectorELNS0_4arch9wavefront6targetE1EEEvT1_.numbered_sgpr, 0
	.set _ZN7rocprim17ROCPRIM_400000_NS6detail17trampoline_kernelINS0_14default_configENS1_25partition_config_selectorILNS1_17partition_subalgoE8ElNS0_10empty_typeEbEEZZNS1_14partition_implILS5_8ELb0ES3_jPlPS6_PKS6_NS0_5tupleIJS9_S6_EEENSD_IJSA_SA_EEENS0_18inequality_wrapperIZN2at6native12_GLOBAL__N_124unique_dim_cuda_templateIlEESt5tupleIJNSH_6TensorESM_SM_EERKSM_lbbbEUlllE0_EEPmJS6_EEE10hipError_tPvRmT3_T4_T5_T6_T7_T9_mT8_P12ihipStream_tbDpT10_ENKUlT_T0_E_clISt17integral_constantIbLb0EES1B_IbLb1EEEEDaS17_S18_EUlS17_E_NS1_11comp_targetILNS1_3genE4ELNS1_11target_archE910ELNS1_3gpuE8ELNS1_3repE0EEENS1_30default_config_static_selectorELNS0_4arch9wavefront6targetE1EEEvT1_.num_named_barrier, 0
	.set _ZN7rocprim17ROCPRIM_400000_NS6detail17trampoline_kernelINS0_14default_configENS1_25partition_config_selectorILNS1_17partition_subalgoE8ElNS0_10empty_typeEbEEZZNS1_14partition_implILS5_8ELb0ES3_jPlPS6_PKS6_NS0_5tupleIJS9_S6_EEENSD_IJSA_SA_EEENS0_18inequality_wrapperIZN2at6native12_GLOBAL__N_124unique_dim_cuda_templateIlEESt5tupleIJNSH_6TensorESM_SM_EERKSM_lbbbEUlllE0_EEPmJS6_EEE10hipError_tPvRmT3_T4_T5_T6_T7_T9_mT8_P12ihipStream_tbDpT10_ENKUlT_T0_E_clISt17integral_constantIbLb0EES1B_IbLb1EEEEDaS17_S18_EUlS17_E_NS1_11comp_targetILNS1_3genE4ELNS1_11target_archE910ELNS1_3gpuE8ELNS1_3repE0EEENS1_30default_config_static_selectorELNS0_4arch9wavefront6targetE1EEEvT1_.private_seg_size, 0
	.set _ZN7rocprim17ROCPRIM_400000_NS6detail17trampoline_kernelINS0_14default_configENS1_25partition_config_selectorILNS1_17partition_subalgoE8ElNS0_10empty_typeEbEEZZNS1_14partition_implILS5_8ELb0ES3_jPlPS6_PKS6_NS0_5tupleIJS9_S6_EEENSD_IJSA_SA_EEENS0_18inequality_wrapperIZN2at6native12_GLOBAL__N_124unique_dim_cuda_templateIlEESt5tupleIJNSH_6TensorESM_SM_EERKSM_lbbbEUlllE0_EEPmJS6_EEE10hipError_tPvRmT3_T4_T5_T6_T7_T9_mT8_P12ihipStream_tbDpT10_ENKUlT_T0_E_clISt17integral_constantIbLb0EES1B_IbLb1EEEEDaS17_S18_EUlS17_E_NS1_11comp_targetILNS1_3genE4ELNS1_11target_archE910ELNS1_3gpuE8ELNS1_3repE0EEENS1_30default_config_static_selectorELNS0_4arch9wavefront6targetE1EEEvT1_.uses_vcc, 0
	.set _ZN7rocprim17ROCPRIM_400000_NS6detail17trampoline_kernelINS0_14default_configENS1_25partition_config_selectorILNS1_17partition_subalgoE8ElNS0_10empty_typeEbEEZZNS1_14partition_implILS5_8ELb0ES3_jPlPS6_PKS6_NS0_5tupleIJS9_S6_EEENSD_IJSA_SA_EEENS0_18inequality_wrapperIZN2at6native12_GLOBAL__N_124unique_dim_cuda_templateIlEESt5tupleIJNSH_6TensorESM_SM_EERKSM_lbbbEUlllE0_EEPmJS6_EEE10hipError_tPvRmT3_T4_T5_T6_T7_T9_mT8_P12ihipStream_tbDpT10_ENKUlT_T0_E_clISt17integral_constantIbLb0EES1B_IbLb1EEEEDaS17_S18_EUlS17_E_NS1_11comp_targetILNS1_3genE4ELNS1_11target_archE910ELNS1_3gpuE8ELNS1_3repE0EEENS1_30default_config_static_selectorELNS0_4arch9wavefront6targetE1EEEvT1_.uses_flat_scratch, 0
	.set _ZN7rocprim17ROCPRIM_400000_NS6detail17trampoline_kernelINS0_14default_configENS1_25partition_config_selectorILNS1_17partition_subalgoE8ElNS0_10empty_typeEbEEZZNS1_14partition_implILS5_8ELb0ES3_jPlPS6_PKS6_NS0_5tupleIJS9_S6_EEENSD_IJSA_SA_EEENS0_18inequality_wrapperIZN2at6native12_GLOBAL__N_124unique_dim_cuda_templateIlEESt5tupleIJNSH_6TensorESM_SM_EERKSM_lbbbEUlllE0_EEPmJS6_EEE10hipError_tPvRmT3_T4_T5_T6_T7_T9_mT8_P12ihipStream_tbDpT10_ENKUlT_T0_E_clISt17integral_constantIbLb0EES1B_IbLb1EEEEDaS17_S18_EUlS17_E_NS1_11comp_targetILNS1_3genE4ELNS1_11target_archE910ELNS1_3gpuE8ELNS1_3repE0EEENS1_30default_config_static_selectorELNS0_4arch9wavefront6targetE1EEEvT1_.has_dyn_sized_stack, 0
	.set _ZN7rocprim17ROCPRIM_400000_NS6detail17trampoline_kernelINS0_14default_configENS1_25partition_config_selectorILNS1_17partition_subalgoE8ElNS0_10empty_typeEbEEZZNS1_14partition_implILS5_8ELb0ES3_jPlPS6_PKS6_NS0_5tupleIJS9_S6_EEENSD_IJSA_SA_EEENS0_18inequality_wrapperIZN2at6native12_GLOBAL__N_124unique_dim_cuda_templateIlEESt5tupleIJNSH_6TensorESM_SM_EERKSM_lbbbEUlllE0_EEPmJS6_EEE10hipError_tPvRmT3_T4_T5_T6_T7_T9_mT8_P12ihipStream_tbDpT10_ENKUlT_T0_E_clISt17integral_constantIbLb0EES1B_IbLb1EEEEDaS17_S18_EUlS17_E_NS1_11comp_targetILNS1_3genE4ELNS1_11target_archE910ELNS1_3gpuE8ELNS1_3repE0EEENS1_30default_config_static_selectorELNS0_4arch9wavefront6targetE1EEEvT1_.has_recursion, 0
	.set _ZN7rocprim17ROCPRIM_400000_NS6detail17trampoline_kernelINS0_14default_configENS1_25partition_config_selectorILNS1_17partition_subalgoE8ElNS0_10empty_typeEbEEZZNS1_14partition_implILS5_8ELb0ES3_jPlPS6_PKS6_NS0_5tupleIJS9_S6_EEENSD_IJSA_SA_EEENS0_18inequality_wrapperIZN2at6native12_GLOBAL__N_124unique_dim_cuda_templateIlEESt5tupleIJNSH_6TensorESM_SM_EERKSM_lbbbEUlllE0_EEPmJS6_EEE10hipError_tPvRmT3_T4_T5_T6_T7_T9_mT8_P12ihipStream_tbDpT10_ENKUlT_T0_E_clISt17integral_constantIbLb0EES1B_IbLb1EEEEDaS17_S18_EUlS17_E_NS1_11comp_targetILNS1_3genE4ELNS1_11target_archE910ELNS1_3gpuE8ELNS1_3repE0EEENS1_30default_config_static_selectorELNS0_4arch9wavefront6targetE1EEEvT1_.has_indirect_call, 0
	.section	.AMDGPU.csdata,"",@progbits
; Kernel info:
; codeLenInByte = 0
; TotalNumSgprs: 6
; NumVgprs: 0
; NumAgprs: 0
; TotalNumVgprs: 0
; ScratchSize: 0
; MemoryBound: 0
; FloatMode: 240
; IeeeMode: 1
; LDSByteSize: 0 bytes/workgroup (compile time only)
; SGPRBlocks: 0
; VGPRBlocks: 0
; NumSGPRsForWavesPerEU: 6
; NumVGPRsForWavesPerEU: 1
; AccumOffset: 4
; Occupancy: 8
; WaveLimiterHint : 0
; COMPUTE_PGM_RSRC2:SCRATCH_EN: 0
; COMPUTE_PGM_RSRC2:USER_SGPR: 2
; COMPUTE_PGM_RSRC2:TRAP_HANDLER: 0
; COMPUTE_PGM_RSRC2:TGID_X_EN: 1
; COMPUTE_PGM_RSRC2:TGID_Y_EN: 0
; COMPUTE_PGM_RSRC2:TGID_Z_EN: 0
; COMPUTE_PGM_RSRC2:TIDIG_COMP_CNT: 0
; COMPUTE_PGM_RSRC3_GFX90A:ACCUM_OFFSET: 0
; COMPUTE_PGM_RSRC3_GFX90A:TG_SPLIT: 0
	.section	.text._ZN7rocprim17ROCPRIM_400000_NS6detail17trampoline_kernelINS0_14default_configENS1_25partition_config_selectorILNS1_17partition_subalgoE8ElNS0_10empty_typeEbEEZZNS1_14partition_implILS5_8ELb0ES3_jPlPS6_PKS6_NS0_5tupleIJS9_S6_EEENSD_IJSA_SA_EEENS0_18inequality_wrapperIZN2at6native12_GLOBAL__N_124unique_dim_cuda_templateIlEESt5tupleIJNSH_6TensorESM_SM_EERKSM_lbbbEUlllE0_EEPmJS6_EEE10hipError_tPvRmT3_T4_T5_T6_T7_T9_mT8_P12ihipStream_tbDpT10_ENKUlT_T0_E_clISt17integral_constantIbLb0EES1B_IbLb1EEEEDaS17_S18_EUlS17_E_NS1_11comp_targetILNS1_3genE3ELNS1_11target_archE908ELNS1_3gpuE7ELNS1_3repE0EEENS1_30default_config_static_selectorELNS0_4arch9wavefront6targetE1EEEvT1_,"axG",@progbits,_ZN7rocprim17ROCPRIM_400000_NS6detail17trampoline_kernelINS0_14default_configENS1_25partition_config_selectorILNS1_17partition_subalgoE8ElNS0_10empty_typeEbEEZZNS1_14partition_implILS5_8ELb0ES3_jPlPS6_PKS6_NS0_5tupleIJS9_S6_EEENSD_IJSA_SA_EEENS0_18inequality_wrapperIZN2at6native12_GLOBAL__N_124unique_dim_cuda_templateIlEESt5tupleIJNSH_6TensorESM_SM_EERKSM_lbbbEUlllE0_EEPmJS6_EEE10hipError_tPvRmT3_T4_T5_T6_T7_T9_mT8_P12ihipStream_tbDpT10_ENKUlT_T0_E_clISt17integral_constantIbLb0EES1B_IbLb1EEEEDaS17_S18_EUlS17_E_NS1_11comp_targetILNS1_3genE3ELNS1_11target_archE908ELNS1_3gpuE7ELNS1_3repE0EEENS1_30default_config_static_selectorELNS0_4arch9wavefront6targetE1EEEvT1_,comdat
	.globl	_ZN7rocprim17ROCPRIM_400000_NS6detail17trampoline_kernelINS0_14default_configENS1_25partition_config_selectorILNS1_17partition_subalgoE8ElNS0_10empty_typeEbEEZZNS1_14partition_implILS5_8ELb0ES3_jPlPS6_PKS6_NS0_5tupleIJS9_S6_EEENSD_IJSA_SA_EEENS0_18inequality_wrapperIZN2at6native12_GLOBAL__N_124unique_dim_cuda_templateIlEESt5tupleIJNSH_6TensorESM_SM_EERKSM_lbbbEUlllE0_EEPmJS6_EEE10hipError_tPvRmT3_T4_T5_T6_T7_T9_mT8_P12ihipStream_tbDpT10_ENKUlT_T0_E_clISt17integral_constantIbLb0EES1B_IbLb1EEEEDaS17_S18_EUlS17_E_NS1_11comp_targetILNS1_3genE3ELNS1_11target_archE908ELNS1_3gpuE7ELNS1_3repE0EEENS1_30default_config_static_selectorELNS0_4arch9wavefront6targetE1EEEvT1_ ; -- Begin function _ZN7rocprim17ROCPRIM_400000_NS6detail17trampoline_kernelINS0_14default_configENS1_25partition_config_selectorILNS1_17partition_subalgoE8ElNS0_10empty_typeEbEEZZNS1_14partition_implILS5_8ELb0ES3_jPlPS6_PKS6_NS0_5tupleIJS9_S6_EEENSD_IJSA_SA_EEENS0_18inequality_wrapperIZN2at6native12_GLOBAL__N_124unique_dim_cuda_templateIlEESt5tupleIJNSH_6TensorESM_SM_EERKSM_lbbbEUlllE0_EEPmJS6_EEE10hipError_tPvRmT3_T4_T5_T6_T7_T9_mT8_P12ihipStream_tbDpT10_ENKUlT_T0_E_clISt17integral_constantIbLb0EES1B_IbLb1EEEEDaS17_S18_EUlS17_E_NS1_11comp_targetILNS1_3genE3ELNS1_11target_archE908ELNS1_3gpuE7ELNS1_3repE0EEENS1_30default_config_static_selectorELNS0_4arch9wavefront6targetE1EEEvT1_
	.p2align	8
	.type	_ZN7rocprim17ROCPRIM_400000_NS6detail17trampoline_kernelINS0_14default_configENS1_25partition_config_selectorILNS1_17partition_subalgoE8ElNS0_10empty_typeEbEEZZNS1_14partition_implILS5_8ELb0ES3_jPlPS6_PKS6_NS0_5tupleIJS9_S6_EEENSD_IJSA_SA_EEENS0_18inequality_wrapperIZN2at6native12_GLOBAL__N_124unique_dim_cuda_templateIlEESt5tupleIJNSH_6TensorESM_SM_EERKSM_lbbbEUlllE0_EEPmJS6_EEE10hipError_tPvRmT3_T4_T5_T6_T7_T9_mT8_P12ihipStream_tbDpT10_ENKUlT_T0_E_clISt17integral_constantIbLb0EES1B_IbLb1EEEEDaS17_S18_EUlS17_E_NS1_11comp_targetILNS1_3genE3ELNS1_11target_archE908ELNS1_3gpuE7ELNS1_3repE0EEENS1_30default_config_static_selectorELNS0_4arch9wavefront6targetE1EEEvT1_,@function
_ZN7rocprim17ROCPRIM_400000_NS6detail17trampoline_kernelINS0_14default_configENS1_25partition_config_selectorILNS1_17partition_subalgoE8ElNS0_10empty_typeEbEEZZNS1_14partition_implILS5_8ELb0ES3_jPlPS6_PKS6_NS0_5tupleIJS9_S6_EEENSD_IJSA_SA_EEENS0_18inequality_wrapperIZN2at6native12_GLOBAL__N_124unique_dim_cuda_templateIlEESt5tupleIJNSH_6TensorESM_SM_EERKSM_lbbbEUlllE0_EEPmJS6_EEE10hipError_tPvRmT3_T4_T5_T6_T7_T9_mT8_P12ihipStream_tbDpT10_ENKUlT_T0_E_clISt17integral_constantIbLb0EES1B_IbLb1EEEEDaS17_S18_EUlS17_E_NS1_11comp_targetILNS1_3genE3ELNS1_11target_archE908ELNS1_3gpuE7ELNS1_3repE0EEENS1_30default_config_static_selectorELNS0_4arch9wavefront6targetE1EEEvT1_: ; @_ZN7rocprim17ROCPRIM_400000_NS6detail17trampoline_kernelINS0_14default_configENS1_25partition_config_selectorILNS1_17partition_subalgoE8ElNS0_10empty_typeEbEEZZNS1_14partition_implILS5_8ELb0ES3_jPlPS6_PKS6_NS0_5tupleIJS9_S6_EEENSD_IJSA_SA_EEENS0_18inequality_wrapperIZN2at6native12_GLOBAL__N_124unique_dim_cuda_templateIlEESt5tupleIJNSH_6TensorESM_SM_EERKSM_lbbbEUlllE0_EEPmJS6_EEE10hipError_tPvRmT3_T4_T5_T6_T7_T9_mT8_P12ihipStream_tbDpT10_ENKUlT_T0_E_clISt17integral_constantIbLb0EES1B_IbLb1EEEEDaS17_S18_EUlS17_E_NS1_11comp_targetILNS1_3genE3ELNS1_11target_archE908ELNS1_3gpuE7ELNS1_3repE0EEENS1_30default_config_static_selectorELNS0_4arch9wavefront6targetE1EEEvT1_
; %bb.0:
	.section	.rodata,"a",@progbits
	.p2align	6, 0x0
	.amdhsa_kernel _ZN7rocprim17ROCPRIM_400000_NS6detail17trampoline_kernelINS0_14default_configENS1_25partition_config_selectorILNS1_17partition_subalgoE8ElNS0_10empty_typeEbEEZZNS1_14partition_implILS5_8ELb0ES3_jPlPS6_PKS6_NS0_5tupleIJS9_S6_EEENSD_IJSA_SA_EEENS0_18inequality_wrapperIZN2at6native12_GLOBAL__N_124unique_dim_cuda_templateIlEESt5tupleIJNSH_6TensorESM_SM_EERKSM_lbbbEUlllE0_EEPmJS6_EEE10hipError_tPvRmT3_T4_T5_T6_T7_T9_mT8_P12ihipStream_tbDpT10_ENKUlT_T0_E_clISt17integral_constantIbLb0EES1B_IbLb1EEEEDaS17_S18_EUlS17_E_NS1_11comp_targetILNS1_3genE3ELNS1_11target_archE908ELNS1_3gpuE7ELNS1_3repE0EEENS1_30default_config_static_selectorELNS0_4arch9wavefront6targetE1EEEvT1_
		.amdhsa_group_segment_fixed_size 0
		.amdhsa_private_segment_fixed_size 0
		.amdhsa_kernarg_size 136
		.amdhsa_user_sgpr_count 2
		.amdhsa_user_sgpr_dispatch_ptr 0
		.amdhsa_user_sgpr_queue_ptr 0
		.amdhsa_user_sgpr_kernarg_segment_ptr 1
		.amdhsa_user_sgpr_dispatch_id 0
		.amdhsa_user_sgpr_kernarg_preload_length 0
		.amdhsa_user_sgpr_kernarg_preload_offset 0
		.amdhsa_user_sgpr_private_segment_size 0
		.amdhsa_uses_dynamic_stack 0
		.amdhsa_enable_private_segment 0
		.amdhsa_system_sgpr_workgroup_id_x 1
		.amdhsa_system_sgpr_workgroup_id_y 0
		.amdhsa_system_sgpr_workgroup_id_z 0
		.amdhsa_system_sgpr_workgroup_info 0
		.amdhsa_system_vgpr_workitem_id 0
		.amdhsa_next_free_vgpr 1
		.amdhsa_next_free_sgpr 0
		.amdhsa_accum_offset 4
		.amdhsa_reserve_vcc 0
		.amdhsa_float_round_mode_32 0
		.amdhsa_float_round_mode_16_64 0
		.amdhsa_float_denorm_mode_32 3
		.amdhsa_float_denorm_mode_16_64 3
		.amdhsa_dx10_clamp 1
		.amdhsa_ieee_mode 1
		.amdhsa_fp16_overflow 0
		.amdhsa_tg_split 0
		.amdhsa_exception_fp_ieee_invalid_op 0
		.amdhsa_exception_fp_denorm_src 0
		.amdhsa_exception_fp_ieee_div_zero 0
		.amdhsa_exception_fp_ieee_overflow 0
		.amdhsa_exception_fp_ieee_underflow 0
		.amdhsa_exception_fp_ieee_inexact 0
		.amdhsa_exception_int_div_zero 0
	.end_amdhsa_kernel
	.section	.text._ZN7rocprim17ROCPRIM_400000_NS6detail17trampoline_kernelINS0_14default_configENS1_25partition_config_selectorILNS1_17partition_subalgoE8ElNS0_10empty_typeEbEEZZNS1_14partition_implILS5_8ELb0ES3_jPlPS6_PKS6_NS0_5tupleIJS9_S6_EEENSD_IJSA_SA_EEENS0_18inequality_wrapperIZN2at6native12_GLOBAL__N_124unique_dim_cuda_templateIlEESt5tupleIJNSH_6TensorESM_SM_EERKSM_lbbbEUlllE0_EEPmJS6_EEE10hipError_tPvRmT3_T4_T5_T6_T7_T9_mT8_P12ihipStream_tbDpT10_ENKUlT_T0_E_clISt17integral_constantIbLb0EES1B_IbLb1EEEEDaS17_S18_EUlS17_E_NS1_11comp_targetILNS1_3genE3ELNS1_11target_archE908ELNS1_3gpuE7ELNS1_3repE0EEENS1_30default_config_static_selectorELNS0_4arch9wavefront6targetE1EEEvT1_,"axG",@progbits,_ZN7rocprim17ROCPRIM_400000_NS6detail17trampoline_kernelINS0_14default_configENS1_25partition_config_selectorILNS1_17partition_subalgoE8ElNS0_10empty_typeEbEEZZNS1_14partition_implILS5_8ELb0ES3_jPlPS6_PKS6_NS0_5tupleIJS9_S6_EEENSD_IJSA_SA_EEENS0_18inequality_wrapperIZN2at6native12_GLOBAL__N_124unique_dim_cuda_templateIlEESt5tupleIJNSH_6TensorESM_SM_EERKSM_lbbbEUlllE0_EEPmJS6_EEE10hipError_tPvRmT3_T4_T5_T6_T7_T9_mT8_P12ihipStream_tbDpT10_ENKUlT_T0_E_clISt17integral_constantIbLb0EES1B_IbLb1EEEEDaS17_S18_EUlS17_E_NS1_11comp_targetILNS1_3genE3ELNS1_11target_archE908ELNS1_3gpuE7ELNS1_3repE0EEENS1_30default_config_static_selectorELNS0_4arch9wavefront6targetE1EEEvT1_,comdat
.Lfunc_end590:
	.size	_ZN7rocprim17ROCPRIM_400000_NS6detail17trampoline_kernelINS0_14default_configENS1_25partition_config_selectorILNS1_17partition_subalgoE8ElNS0_10empty_typeEbEEZZNS1_14partition_implILS5_8ELb0ES3_jPlPS6_PKS6_NS0_5tupleIJS9_S6_EEENSD_IJSA_SA_EEENS0_18inequality_wrapperIZN2at6native12_GLOBAL__N_124unique_dim_cuda_templateIlEESt5tupleIJNSH_6TensorESM_SM_EERKSM_lbbbEUlllE0_EEPmJS6_EEE10hipError_tPvRmT3_T4_T5_T6_T7_T9_mT8_P12ihipStream_tbDpT10_ENKUlT_T0_E_clISt17integral_constantIbLb0EES1B_IbLb1EEEEDaS17_S18_EUlS17_E_NS1_11comp_targetILNS1_3genE3ELNS1_11target_archE908ELNS1_3gpuE7ELNS1_3repE0EEENS1_30default_config_static_selectorELNS0_4arch9wavefront6targetE1EEEvT1_, .Lfunc_end590-_ZN7rocprim17ROCPRIM_400000_NS6detail17trampoline_kernelINS0_14default_configENS1_25partition_config_selectorILNS1_17partition_subalgoE8ElNS0_10empty_typeEbEEZZNS1_14partition_implILS5_8ELb0ES3_jPlPS6_PKS6_NS0_5tupleIJS9_S6_EEENSD_IJSA_SA_EEENS0_18inequality_wrapperIZN2at6native12_GLOBAL__N_124unique_dim_cuda_templateIlEESt5tupleIJNSH_6TensorESM_SM_EERKSM_lbbbEUlllE0_EEPmJS6_EEE10hipError_tPvRmT3_T4_T5_T6_T7_T9_mT8_P12ihipStream_tbDpT10_ENKUlT_T0_E_clISt17integral_constantIbLb0EES1B_IbLb1EEEEDaS17_S18_EUlS17_E_NS1_11comp_targetILNS1_3genE3ELNS1_11target_archE908ELNS1_3gpuE7ELNS1_3repE0EEENS1_30default_config_static_selectorELNS0_4arch9wavefront6targetE1EEEvT1_
                                        ; -- End function
	.set _ZN7rocprim17ROCPRIM_400000_NS6detail17trampoline_kernelINS0_14default_configENS1_25partition_config_selectorILNS1_17partition_subalgoE8ElNS0_10empty_typeEbEEZZNS1_14partition_implILS5_8ELb0ES3_jPlPS6_PKS6_NS0_5tupleIJS9_S6_EEENSD_IJSA_SA_EEENS0_18inequality_wrapperIZN2at6native12_GLOBAL__N_124unique_dim_cuda_templateIlEESt5tupleIJNSH_6TensorESM_SM_EERKSM_lbbbEUlllE0_EEPmJS6_EEE10hipError_tPvRmT3_T4_T5_T6_T7_T9_mT8_P12ihipStream_tbDpT10_ENKUlT_T0_E_clISt17integral_constantIbLb0EES1B_IbLb1EEEEDaS17_S18_EUlS17_E_NS1_11comp_targetILNS1_3genE3ELNS1_11target_archE908ELNS1_3gpuE7ELNS1_3repE0EEENS1_30default_config_static_selectorELNS0_4arch9wavefront6targetE1EEEvT1_.num_vgpr, 0
	.set _ZN7rocprim17ROCPRIM_400000_NS6detail17trampoline_kernelINS0_14default_configENS1_25partition_config_selectorILNS1_17partition_subalgoE8ElNS0_10empty_typeEbEEZZNS1_14partition_implILS5_8ELb0ES3_jPlPS6_PKS6_NS0_5tupleIJS9_S6_EEENSD_IJSA_SA_EEENS0_18inequality_wrapperIZN2at6native12_GLOBAL__N_124unique_dim_cuda_templateIlEESt5tupleIJNSH_6TensorESM_SM_EERKSM_lbbbEUlllE0_EEPmJS6_EEE10hipError_tPvRmT3_T4_T5_T6_T7_T9_mT8_P12ihipStream_tbDpT10_ENKUlT_T0_E_clISt17integral_constantIbLb0EES1B_IbLb1EEEEDaS17_S18_EUlS17_E_NS1_11comp_targetILNS1_3genE3ELNS1_11target_archE908ELNS1_3gpuE7ELNS1_3repE0EEENS1_30default_config_static_selectorELNS0_4arch9wavefront6targetE1EEEvT1_.num_agpr, 0
	.set _ZN7rocprim17ROCPRIM_400000_NS6detail17trampoline_kernelINS0_14default_configENS1_25partition_config_selectorILNS1_17partition_subalgoE8ElNS0_10empty_typeEbEEZZNS1_14partition_implILS5_8ELb0ES3_jPlPS6_PKS6_NS0_5tupleIJS9_S6_EEENSD_IJSA_SA_EEENS0_18inequality_wrapperIZN2at6native12_GLOBAL__N_124unique_dim_cuda_templateIlEESt5tupleIJNSH_6TensorESM_SM_EERKSM_lbbbEUlllE0_EEPmJS6_EEE10hipError_tPvRmT3_T4_T5_T6_T7_T9_mT8_P12ihipStream_tbDpT10_ENKUlT_T0_E_clISt17integral_constantIbLb0EES1B_IbLb1EEEEDaS17_S18_EUlS17_E_NS1_11comp_targetILNS1_3genE3ELNS1_11target_archE908ELNS1_3gpuE7ELNS1_3repE0EEENS1_30default_config_static_selectorELNS0_4arch9wavefront6targetE1EEEvT1_.numbered_sgpr, 0
	.set _ZN7rocprim17ROCPRIM_400000_NS6detail17trampoline_kernelINS0_14default_configENS1_25partition_config_selectorILNS1_17partition_subalgoE8ElNS0_10empty_typeEbEEZZNS1_14partition_implILS5_8ELb0ES3_jPlPS6_PKS6_NS0_5tupleIJS9_S6_EEENSD_IJSA_SA_EEENS0_18inequality_wrapperIZN2at6native12_GLOBAL__N_124unique_dim_cuda_templateIlEESt5tupleIJNSH_6TensorESM_SM_EERKSM_lbbbEUlllE0_EEPmJS6_EEE10hipError_tPvRmT3_T4_T5_T6_T7_T9_mT8_P12ihipStream_tbDpT10_ENKUlT_T0_E_clISt17integral_constantIbLb0EES1B_IbLb1EEEEDaS17_S18_EUlS17_E_NS1_11comp_targetILNS1_3genE3ELNS1_11target_archE908ELNS1_3gpuE7ELNS1_3repE0EEENS1_30default_config_static_selectorELNS0_4arch9wavefront6targetE1EEEvT1_.num_named_barrier, 0
	.set _ZN7rocprim17ROCPRIM_400000_NS6detail17trampoline_kernelINS0_14default_configENS1_25partition_config_selectorILNS1_17partition_subalgoE8ElNS0_10empty_typeEbEEZZNS1_14partition_implILS5_8ELb0ES3_jPlPS6_PKS6_NS0_5tupleIJS9_S6_EEENSD_IJSA_SA_EEENS0_18inequality_wrapperIZN2at6native12_GLOBAL__N_124unique_dim_cuda_templateIlEESt5tupleIJNSH_6TensorESM_SM_EERKSM_lbbbEUlllE0_EEPmJS6_EEE10hipError_tPvRmT3_T4_T5_T6_T7_T9_mT8_P12ihipStream_tbDpT10_ENKUlT_T0_E_clISt17integral_constantIbLb0EES1B_IbLb1EEEEDaS17_S18_EUlS17_E_NS1_11comp_targetILNS1_3genE3ELNS1_11target_archE908ELNS1_3gpuE7ELNS1_3repE0EEENS1_30default_config_static_selectorELNS0_4arch9wavefront6targetE1EEEvT1_.private_seg_size, 0
	.set _ZN7rocprim17ROCPRIM_400000_NS6detail17trampoline_kernelINS0_14default_configENS1_25partition_config_selectorILNS1_17partition_subalgoE8ElNS0_10empty_typeEbEEZZNS1_14partition_implILS5_8ELb0ES3_jPlPS6_PKS6_NS0_5tupleIJS9_S6_EEENSD_IJSA_SA_EEENS0_18inequality_wrapperIZN2at6native12_GLOBAL__N_124unique_dim_cuda_templateIlEESt5tupleIJNSH_6TensorESM_SM_EERKSM_lbbbEUlllE0_EEPmJS6_EEE10hipError_tPvRmT3_T4_T5_T6_T7_T9_mT8_P12ihipStream_tbDpT10_ENKUlT_T0_E_clISt17integral_constantIbLb0EES1B_IbLb1EEEEDaS17_S18_EUlS17_E_NS1_11comp_targetILNS1_3genE3ELNS1_11target_archE908ELNS1_3gpuE7ELNS1_3repE0EEENS1_30default_config_static_selectorELNS0_4arch9wavefront6targetE1EEEvT1_.uses_vcc, 0
	.set _ZN7rocprim17ROCPRIM_400000_NS6detail17trampoline_kernelINS0_14default_configENS1_25partition_config_selectorILNS1_17partition_subalgoE8ElNS0_10empty_typeEbEEZZNS1_14partition_implILS5_8ELb0ES3_jPlPS6_PKS6_NS0_5tupleIJS9_S6_EEENSD_IJSA_SA_EEENS0_18inequality_wrapperIZN2at6native12_GLOBAL__N_124unique_dim_cuda_templateIlEESt5tupleIJNSH_6TensorESM_SM_EERKSM_lbbbEUlllE0_EEPmJS6_EEE10hipError_tPvRmT3_T4_T5_T6_T7_T9_mT8_P12ihipStream_tbDpT10_ENKUlT_T0_E_clISt17integral_constantIbLb0EES1B_IbLb1EEEEDaS17_S18_EUlS17_E_NS1_11comp_targetILNS1_3genE3ELNS1_11target_archE908ELNS1_3gpuE7ELNS1_3repE0EEENS1_30default_config_static_selectorELNS0_4arch9wavefront6targetE1EEEvT1_.uses_flat_scratch, 0
	.set _ZN7rocprim17ROCPRIM_400000_NS6detail17trampoline_kernelINS0_14default_configENS1_25partition_config_selectorILNS1_17partition_subalgoE8ElNS0_10empty_typeEbEEZZNS1_14partition_implILS5_8ELb0ES3_jPlPS6_PKS6_NS0_5tupleIJS9_S6_EEENSD_IJSA_SA_EEENS0_18inequality_wrapperIZN2at6native12_GLOBAL__N_124unique_dim_cuda_templateIlEESt5tupleIJNSH_6TensorESM_SM_EERKSM_lbbbEUlllE0_EEPmJS6_EEE10hipError_tPvRmT3_T4_T5_T6_T7_T9_mT8_P12ihipStream_tbDpT10_ENKUlT_T0_E_clISt17integral_constantIbLb0EES1B_IbLb1EEEEDaS17_S18_EUlS17_E_NS1_11comp_targetILNS1_3genE3ELNS1_11target_archE908ELNS1_3gpuE7ELNS1_3repE0EEENS1_30default_config_static_selectorELNS0_4arch9wavefront6targetE1EEEvT1_.has_dyn_sized_stack, 0
	.set _ZN7rocprim17ROCPRIM_400000_NS6detail17trampoline_kernelINS0_14default_configENS1_25partition_config_selectorILNS1_17partition_subalgoE8ElNS0_10empty_typeEbEEZZNS1_14partition_implILS5_8ELb0ES3_jPlPS6_PKS6_NS0_5tupleIJS9_S6_EEENSD_IJSA_SA_EEENS0_18inequality_wrapperIZN2at6native12_GLOBAL__N_124unique_dim_cuda_templateIlEESt5tupleIJNSH_6TensorESM_SM_EERKSM_lbbbEUlllE0_EEPmJS6_EEE10hipError_tPvRmT3_T4_T5_T6_T7_T9_mT8_P12ihipStream_tbDpT10_ENKUlT_T0_E_clISt17integral_constantIbLb0EES1B_IbLb1EEEEDaS17_S18_EUlS17_E_NS1_11comp_targetILNS1_3genE3ELNS1_11target_archE908ELNS1_3gpuE7ELNS1_3repE0EEENS1_30default_config_static_selectorELNS0_4arch9wavefront6targetE1EEEvT1_.has_recursion, 0
	.set _ZN7rocprim17ROCPRIM_400000_NS6detail17trampoline_kernelINS0_14default_configENS1_25partition_config_selectorILNS1_17partition_subalgoE8ElNS0_10empty_typeEbEEZZNS1_14partition_implILS5_8ELb0ES3_jPlPS6_PKS6_NS0_5tupleIJS9_S6_EEENSD_IJSA_SA_EEENS0_18inequality_wrapperIZN2at6native12_GLOBAL__N_124unique_dim_cuda_templateIlEESt5tupleIJNSH_6TensorESM_SM_EERKSM_lbbbEUlllE0_EEPmJS6_EEE10hipError_tPvRmT3_T4_T5_T6_T7_T9_mT8_P12ihipStream_tbDpT10_ENKUlT_T0_E_clISt17integral_constantIbLb0EES1B_IbLb1EEEEDaS17_S18_EUlS17_E_NS1_11comp_targetILNS1_3genE3ELNS1_11target_archE908ELNS1_3gpuE7ELNS1_3repE0EEENS1_30default_config_static_selectorELNS0_4arch9wavefront6targetE1EEEvT1_.has_indirect_call, 0
	.section	.AMDGPU.csdata,"",@progbits
; Kernel info:
; codeLenInByte = 0
; TotalNumSgprs: 6
; NumVgprs: 0
; NumAgprs: 0
; TotalNumVgprs: 0
; ScratchSize: 0
; MemoryBound: 0
; FloatMode: 240
; IeeeMode: 1
; LDSByteSize: 0 bytes/workgroup (compile time only)
; SGPRBlocks: 0
; VGPRBlocks: 0
; NumSGPRsForWavesPerEU: 6
; NumVGPRsForWavesPerEU: 1
; AccumOffset: 4
; Occupancy: 8
; WaveLimiterHint : 0
; COMPUTE_PGM_RSRC2:SCRATCH_EN: 0
; COMPUTE_PGM_RSRC2:USER_SGPR: 2
; COMPUTE_PGM_RSRC2:TRAP_HANDLER: 0
; COMPUTE_PGM_RSRC2:TGID_X_EN: 1
; COMPUTE_PGM_RSRC2:TGID_Y_EN: 0
; COMPUTE_PGM_RSRC2:TGID_Z_EN: 0
; COMPUTE_PGM_RSRC2:TIDIG_COMP_CNT: 0
; COMPUTE_PGM_RSRC3_GFX90A:ACCUM_OFFSET: 0
; COMPUTE_PGM_RSRC3_GFX90A:TG_SPLIT: 0
	.section	.text._ZN7rocprim17ROCPRIM_400000_NS6detail17trampoline_kernelINS0_14default_configENS1_25partition_config_selectorILNS1_17partition_subalgoE8ElNS0_10empty_typeEbEEZZNS1_14partition_implILS5_8ELb0ES3_jPlPS6_PKS6_NS0_5tupleIJS9_S6_EEENSD_IJSA_SA_EEENS0_18inequality_wrapperIZN2at6native12_GLOBAL__N_124unique_dim_cuda_templateIlEESt5tupleIJNSH_6TensorESM_SM_EERKSM_lbbbEUlllE0_EEPmJS6_EEE10hipError_tPvRmT3_T4_T5_T6_T7_T9_mT8_P12ihipStream_tbDpT10_ENKUlT_T0_E_clISt17integral_constantIbLb0EES1B_IbLb1EEEEDaS17_S18_EUlS17_E_NS1_11comp_targetILNS1_3genE2ELNS1_11target_archE906ELNS1_3gpuE6ELNS1_3repE0EEENS1_30default_config_static_selectorELNS0_4arch9wavefront6targetE1EEEvT1_,"axG",@progbits,_ZN7rocprim17ROCPRIM_400000_NS6detail17trampoline_kernelINS0_14default_configENS1_25partition_config_selectorILNS1_17partition_subalgoE8ElNS0_10empty_typeEbEEZZNS1_14partition_implILS5_8ELb0ES3_jPlPS6_PKS6_NS0_5tupleIJS9_S6_EEENSD_IJSA_SA_EEENS0_18inequality_wrapperIZN2at6native12_GLOBAL__N_124unique_dim_cuda_templateIlEESt5tupleIJNSH_6TensorESM_SM_EERKSM_lbbbEUlllE0_EEPmJS6_EEE10hipError_tPvRmT3_T4_T5_T6_T7_T9_mT8_P12ihipStream_tbDpT10_ENKUlT_T0_E_clISt17integral_constantIbLb0EES1B_IbLb1EEEEDaS17_S18_EUlS17_E_NS1_11comp_targetILNS1_3genE2ELNS1_11target_archE906ELNS1_3gpuE6ELNS1_3repE0EEENS1_30default_config_static_selectorELNS0_4arch9wavefront6targetE1EEEvT1_,comdat
	.globl	_ZN7rocprim17ROCPRIM_400000_NS6detail17trampoline_kernelINS0_14default_configENS1_25partition_config_selectorILNS1_17partition_subalgoE8ElNS0_10empty_typeEbEEZZNS1_14partition_implILS5_8ELb0ES3_jPlPS6_PKS6_NS0_5tupleIJS9_S6_EEENSD_IJSA_SA_EEENS0_18inequality_wrapperIZN2at6native12_GLOBAL__N_124unique_dim_cuda_templateIlEESt5tupleIJNSH_6TensorESM_SM_EERKSM_lbbbEUlllE0_EEPmJS6_EEE10hipError_tPvRmT3_T4_T5_T6_T7_T9_mT8_P12ihipStream_tbDpT10_ENKUlT_T0_E_clISt17integral_constantIbLb0EES1B_IbLb1EEEEDaS17_S18_EUlS17_E_NS1_11comp_targetILNS1_3genE2ELNS1_11target_archE906ELNS1_3gpuE6ELNS1_3repE0EEENS1_30default_config_static_selectorELNS0_4arch9wavefront6targetE1EEEvT1_ ; -- Begin function _ZN7rocprim17ROCPRIM_400000_NS6detail17trampoline_kernelINS0_14default_configENS1_25partition_config_selectorILNS1_17partition_subalgoE8ElNS0_10empty_typeEbEEZZNS1_14partition_implILS5_8ELb0ES3_jPlPS6_PKS6_NS0_5tupleIJS9_S6_EEENSD_IJSA_SA_EEENS0_18inequality_wrapperIZN2at6native12_GLOBAL__N_124unique_dim_cuda_templateIlEESt5tupleIJNSH_6TensorESM_SM_EERKSM_lbbbEUlllE0_EEPmJS6_EEE10hipError_tPvRmT3_T4_T5_T6_T7_T9_mT8_P12ihipStream_tbDpT10_ENKUlT_T0_E_clISt17integral_constantIbLb0EES1B_IbLb1EEEEDaS17_S18_EUlS17_E_NS1_11comp_targetILNS1_3genE2ELNS1_11target_archE906ELNS1_3gpuE6ELNS1_3repE0EEENS1_30default_config_static_selectorELNS0_4arch9wavefront6targetE1EEEvT1_
	.p2align	8
	.type	_ZN7rocprim17ROCPRIM_400000_NS6detail17trampoline_kernelINS0_14default_configENS1_25partition_config_selectorILNS1_17partition_subalgoE8ElNS0_10empty_typeEbEEZZNS1_14partition_implILS5_8ELb0ES3_jPlPS6_PKS6_NS0_5tupleIJS9_S6_EEENSD_IJSA_SA_EEENS0_18inequality_wrapperIZN2at6native12_GLOBAL__N_124unique_dim_cuda_templateIlEESt5tupleIJNSH_6TensorESM_SM_EERKSM_lbbbEUlllE0_EEPmJS6_EEE10hipError_tPvRmT3_T4_T5_T6_T7_T9_mT8_P12ihipStream_tbDpT10_ENKUlT_T0_E_clISt17integral_constantIbLb0EES1B_IbLb1EEEEDaS17_S18_EUlS17_E_NS1_11comp_targetILNS1_3genE2ELNS1_11target_archE906ELNS1_3gpuE6ELNS1_3repE0EEENS1_30default_config_static_selectorELNS0_4arch9wavefront6targetE1EEEvT1_,@function
_ZN7rocprim17ROCPRIM_400000_NS6detail17trampoline_kernelINS0_14default_configENS1_25partition_config_selectorILNS1_17partition_subalgoE8ElNS0_10empty_typeEbEEZZNS1_14partition_implILS5_8ELb0ES3_jPlPS6_PKS6_NS0_5tupleIJS9_S6_EEENSD_IJSA_SA_EEENS0_18inequality_wrapperIZN2at6native12_GLOBAL__N_124unique_dim_cuda_templateIlEESt5tupleIJNSH_6TensorESM_SM_EERKSM_lbbbEUlllE0_EEPmJS6_EEE10hipError_tPvRmT3_T4_T5_T6_T7_T9_mT8_P12ihipStream_tbDpT10_ENKUlT_T0_E_clISt17integral_constantIbLb0EES1B_IbLb1EEEEDaS17_S18_EUlS17_E_NS1_11comp_targetILNS1_3genE2ELNS1_11target_archE906ELNS1_3gpuE6ELNS1_3repE0EEENS1_30default_config_static_selectorELNS0_4arch9wavefront6targetE1EEEvT1_: ; @_ZN7rocprim17ROCPRIM_400000_NS6detail17trampoline_kernelINS0_14default_configENS1_25partition_config_selectorILNS1_17partition_subalgoE8ElNS0_10empty_typeEbEEZZNS1_14partition_implILS5_8ELb0ES3_jPlPS6_PKS6_NS0_5tupleIJS9_S6_EEENSD_IJSA_SA_EEENS0_18inequality_wrapperIZN2at6native12_GLOBAL__N_124unique_dim_cuda_templateIlEESt5tupleIJNSH_6TensorESM_SM_EERKSM_lbbbEUlllE0_EEPmJS6_EEE10hipError_tPvRmT3_T4_T5_T6_T7_T9_mT8_P12ihipStream_tbDpT10_ENKUlT_T0_E_clISt17integral_constantIbLb0EES1B_IbLb1EEEEDaS17_S18_EUlS17_E_NS1_11comp_targetILNS1_3genE2ELNS1_11target_archE906ELNS1_3gpuE6ELNS1_3repE0EEENS1_30default_config_static_selectorELNS0_4arch9wavefront6targetE1EEEvT1_
; %bb.0:
	.section	.rodata,"a",@progbits
	.p2align	6, 0x0
	.amdhsa_kernel _ZN7rocprim17ROCPRIM_400000_NS6detail17trampoline_kernelINS0_14default_configENS1_25partition_config_selectorILNS1_17partition_subalgoE8ElNS0_10empty_typeEbEEZZNS1_14partition_implILS5_8ELb0ES3_jPlPS6_PKS6_NS0_5tupleIJS9_S6_EEENSD_IJSA_SA_EEENS0_18inequality_wrapperIZN2at6native12_GLOBAL__N_124unique_dim_cuda_templateIlEESt5tupleIJNSH_6TensorESM_SM_EERKSM_lbbbEUlllE0_EEPmJS6_EEE10hipError_tPvRmT3_T4_T5_T6_T7_T9_mT8_P12ihipStream_tbDpT10_ENKUlT_T0_E_clISt17integral_constantIbLb0EES1B_IbLb1EEEEDaS17_S18_EUlS17_E_NS1_11comp_targetILNS1_3genE2ELNS1_11target_archE906ELNS1_3gpuE6ELNS1_3repE0EEENS1_30default_config_static_selectorELNS0_4arch9wavefront6targetE1EEEvT1_
		.amdhsa_group_segment_fixed_size 0
		.amdhsa_private_segment_fixed_size 0
		.amdhsa_kernarg_size 136
		.amdhsa_user_sgpr_count 2
		.amdhsa_user_sgpr_dispatch_ptr 0
		.amdhsa_user_sgpr_queue_ptr 0
		.amdhsa_user_sgpr_kernarg_segment_ptr 1
		.amdhsa_user_sgpr_dispatch_id 0
		.amdhsa_user_sgpr_kernarg_preload_length 0
		.amdhsa_user_sgpr_kernarg_preload_offset 0
		.amdhsa_user_sgpr_private_segment_size 0
		.amdhsa_uses_dynamic_stack 0
		.amdhsa_enable_private_segment 0
		.amdhsa_system_sgpr_workgroup_id_x 1
		.amdhsa_system_sgpr_workgroup_id_y 0
		.amdhsa_system_sgpr_workgroup_id_z 0
		.amdhsa_system_sgpr_workgroup_info 0
		.amdhsa_system_vgpr_workitem_id 0
		.amdhsa_next_free_vgpr 1
		.amdhsa_next_free_sgpr 0
		.amdhsa_accum_offset 4
		.amdhsa_reserve_vcc 0
		.amdhsa_float_round_mode_32 0
		.amdhsa_float_round_mode_16_64 0
		.amdhsa_float_denorm_mode_32 3
		.amdhsa_float_denorm_mode_16_64 3
		.amdhsa_dx10_clamp 1
		.amdhsa_ieee_mode 1
		.amdhsa_fp16_overflow 0
		.amdhsa_tg_split 0
		.amdhsa_exception_fp_ieee_invalid_op 0
		.amdhsa_exception_fp_denorm_src 0
		.amdhsa_exception_fp_ieee_div_zero 0
		.amdhsa_exception_fp_ieee_overflow 0
		.amdhsa_exception_fp_ieee_underflow 0
		.amdhsa_exception_fp_ieee_inexact 0
		.amdhsa_exception_int_div_zero 0
	.end_amdhsa_kernel
	.section	.text._ZN7rocprim17ROCPRIM_400000_NS6detail17trampoline_kernelINS0_14default_configENS1_25partition_config_selectorILNS1_17partition_subalgoE8ElNS0_10empty_typeEbEEZZNS1_14partition_implILS5_8ELb0ES3_jPlPS6_PKS6_NS0_5tupleIJS9_S6_EEENSD_IJSA_SA_EEENS0_18inequality_wrapperIZN2at6native12_GLOBAL__N_124unique_dim_cuda_templateIlEESt5tupleIJNSH_6TensorESM_SM_EERKSM_lbbbEUlllE0_EEPmJS6_EEE10hipError_tPvRmT3_T4_T5_T6_T7_T9_mT8_P12ihipStream_tbDpT10_ENKUlT_T0_E_clISt17integral_constantIbLb0EES1B_IbLb1EEEEDaS17_S18_EUlS17_E_NS1_11comp_targetILNS1_3genE2ELNS1_11target_archE906ELNS1_3gpuE6ELNS1_3repE0EEENS1_30default_config_static_selectorELNS0_4arch9wavefront6targetE1EEEvT1_,"axG",@progbits,_ZN7rocprim17ROCPRIM_400000_NS6detail17trampoline_kernelINS0_14default_configENS1_25partition_config_selectorILNS1_17partition_subalgoE8ElNS0_10empty_typeEbEEZZNS1_14partition_implILS5_8ELb0ES3_jPlPS6_PKS6_NS0_5tupleIJS9_S6_EEENSD_IJSA_SA_EEENS0_18inequality_wrapperIZN2at6native12_GLOBAL__N_124unique_dim_cuda_templateIlEESt5tupleIJNSH_6TensorESM_SM_EERKSM_lbbbEUlllE0_EEPmJS6_EEE10hipError_tPvRmT3_T4_T5_T6_T7_T9_mT8_P12ihipStream_tbDpT10_ENKUlT_T0_E_clISt17integral_constantIbLb0EES1B_IbLb1EEEEDaS17_S18_EUlS17_E_NS1_11comp_targetILNS1_3genE2ELNS1_11target_archE906ELNS1_3gpuE6ELNS1_3repE0EEENS1_30default_config_static_selectorELNS0_4arch9wavefront6targetE1EEEvT1_,comdat
.Lfunc_end591:
	.size	_ZN7rocprim17ROCPRIM_400000_NS6detail17trampoline_kernelINS0_14default_configENS1_25partition_config_selectorILNS1_17partition_subalgoE8ElNS0_10empty_typeEbEEZZNS1_14partition_implILS5_8ELb0ES3_jPlPS6_PKS6_NS0_5tupleIJS9_S6_EEENSD_IJSA_SA_EEENS0_18inequality_wrapperIZN2at6native12_GLOBAL__N_124unique_dim_cuda_templateIlEESt5tupleIJNSH_6TensorESM_SM_EERKSM_lbbbEUlllE0_EEPmJS6_EEE10hipError_tPvRmT3_T4_T5_T6_T7_T9_mT8_P12ihipStream_tbDpT10_ENKUlT_T0_E_clISt17integral_constantIbLb0EES1B_IbLb1EEEEDaS17_S18_EUlS17_E_NS1_11comp_targetILNS1_3genE2ELNS1_11target_archE906ELNS1_3gpuE6ELNS1_3repE0EEENS1_30default_config_static_selectorELNS0_4arch9wavefront6targetE1EEEvT1_, .Lfunc_end591-_ZN7rocprim17ROCPRIM_400000_NS6detail17trampoline_kernelINS0_14default_configENS1_25partition_config_selectorILNS1_17partition_subalgoE8ElNS0_10empty_typeEbEEZZNS1_14partition_implILS5_8ELb0ES3_jPlPS6_PKS6_NS0_5tupleIJS9_S6_EEENSD_IJSA_SA_EEENS0_18inequality_wrapperIZN2at6native12_GLOBAL__N_124unique_dim_cuda_templateIlEESt5tupleIJNSH_6TensorESM_SM_EERKSM_lbbbEUlllE0_EEPmJS6_EEE10hipError_tPvRmT3_T4_T5_T6_T7_T9_mT8_P12ihipStream_tbDpT10_ENKUlT_T0_E_clISt17integral_constantIbLb0EES1B_IbLb1EEEEDaS17_S18_EUlS17_E_NS1_11comp_targetILNS1_3genE2ELNS1_11target_archE906ELNS1_3gpuE6ELNS1_3repE0EEENS1_30default_config_static_selectorELNS0_4arch9wavefront6targetE1EEEvT1_
                                        ; -- End function
	.set _ZN7rocprim17ROCPRIM_400000_NS6detail17trampoline_kernelINS0_14default_configENS1_25partition_config_selectorILNS1_17partition_subalgoE8ElNS0_10empty_typeEbEEZZNS1_14partition_implILS5_8ELb0ES3_jPlPS6_PKS6_NS0_5tupleIJS9_S6_EEENSD_IJSA_SA_EEENS0_18inequality_wrapperIZN2at6native12_GLOBAL__N_124unique_dim_cuda_templateIlEESt5tupleIJNSH_6TensorESM_SM_EERKSM_lbbbEUlllE0_EEPmJS6_EEE10hipError_tPvRmT3_T4_T5_T6_T7_T9_mT8_P12ihipStream_tbDpT10_ENKUlT_T0_E_clISt17integral_constantIbLb0EES1B_IbLb1EEEEDaS17_S18_EUlS17_E_NS1_11comp_targetILNS1_3genE2ELNS1_11target_archE906ELNS1_3gpuE6ELNS1_3repE0EEENS1_30default_config_static_selectorELNS0_4arch9wavefront6targetE1EEEvT1_.num_vgpr, 0
	.set _ZN7rocprim17ROCPRIM_400000_NS6detail17trampoline_kernelINS0_14default_configENS1_25partition_config_selectorILNS1_17partition_subalgoE8ElNS0_10empty_typeEbEEZZNS1_14partition_implILS5_8ELb0ES3_jPlPS6_PKS6_NS0_5tupleIJS9_S6_EEENSD_IJSA_SA_EEENS0_18inequality_wrapperIZN2at6native12_GLOBAL__N_124unique_dim_cuda_templateIlEESt5tupleIJNSH_6TensorESM_SM_EERKSM_lbbbEUlllE0_EEPmJS6_EEE10hipError_tPvRmT3_T4_T5_T6_T7_T9_mT8_P12ihipStream_tbDpT10_ENKUlT_T0_E_clISt17integral_constantIbLb0EES1B_IbLb1EEEEDaS17_S18_EUlS17_E_NS1_11comp_targetILNS1_3genE2ELNS1_11target_archE906ELNS1_3gpuE6ELNS1_3repE0EEENS1_30default_config_static_selectorELNS0_4arch9wavefront6targetE1EEEvT1_.num_agpr, 0
	.set _ZN7rocprim17ROCPRIM_400000_NS6detail17trampoline_kernelINS0_14default_configENS1_25partition_config_selectorILNS1_17partition_subalgoE8ElNS0_10empty_typeEbEEZZNS1_14partition_implILS5_8ELb0ES3_jPlPS6_PKS6_NS0_5tupleIJS9_S6_EEENSD_IJSA_SA_EEENS0_18inequality_wrapperIZN2at6native12_GLOBAL__N_124unique_dim_cuda_templateIlEESt5tupleIJNSH_6TensorESM_SM_EERKSM_lbbbEUlllE0_EEPmJS6_EEE10hipError_tPvRmT3_T4_T5_T6_T7_T9_mT8_P12ihipStream_tbDpT10_ENKUlT_T0_E_clISt17integral_constantIbLb0EES1B_IbLb1EEEEDaS17_S18_EUlS17_E_NS1_11comp_targetILNS1_3genE2ELNS1_11target_archE906ELNS1_3gpuE6ELNS1_3repE0EEENS1_30default_config_static_selectorELNS0_4arch9wavefront6targetE1EEEvT1_.numbered_sgpr, 0
	.set _ZN7rocprim17ROCPRIM_400000_NS6detail17trampoline_kernelINS0_14default_configENS1_25partition_config_selectorILNS1_17partition_subalgoE8ElNS0_10empty_typeEbEEZZNS1_14partition_implILS5_8ELb0ES3_jPlPS6_PKS6_NS0_5tupleIJS9_S6_EEENSD_IJSA_SA_EEENS0_18inequality_wrapperIZN2at6native12_GLOBAL__N_124unique_dim_cuda_templateIlEESt5tupleIJNSH_6TensorESM_SM_EERKSM_lbbbEUlllE0_EEPmJS6_EEE10hipError_tPvRmT3_T4_T5_T6_T7_T9_mT8_P12ihipStream_tbDpT10_ENKUlT_T0_E_clISt17integral_constantIbLb0EES1B_IbLb1EEEEDaS17_S18_EUlS17_E_NS1_11comp_targetILNS1_3genE2ELNS1_11target_archE906ELNS1_3gpuE6ELNS1_3repE0EEENS1_30default_config_static_selectorELNS0_4arch9wavefront6targetE1EEEvT1_.num_named_barrier, 0
	.set _ZN7rocprim17ROCPRIM_400000_NS6detail17trampoline_kernelINS0_14default_configENS1_25partition_config_selectorILNS1_17partition_subalgoE8ElNS0_10empty_typeEbEEZZNS1_14partition_implILS5_8ELb0ES3_jPlPS6_PKS6_NS0_5tupleIJS9_S6_EEENSD_IJSA_SA_EEENS0_18inequality_wrapperIZN2at6native12_GLOBAL__N_124unique_dim_cuda_templateIlEESt5tupleIJNSH_6TensorESM_SM_EERKSM_lbbbEUlllE0_EEPmJS6_EEE10hipError_tPvRmT3_T4_T5_T6_T7_T9_mT8_P12ihipStream_tbDpT10_ENKUlT_T0_E_clISt17integral_constantIbLb0EES1B_IbLb1EEEEDaS17_S18_EUlS17_E_NS1_11comp_targetILNS1_3genE2ELNS1_11target_archE906ELNS1_3gpuE6ELNS1_3repE0EEENS1_30default_config_static_selectorELNS0_4arch9wavefront6targetE1EEEvT1_.private_seg_size, 0
	.set _ZN7rocprim17ROCPRIM_400000_NS6detail17trampoline_kernelINS0_14default_configENS1_25partition_config_selectorILNS1_17partition_subalgoE8ElNS0_10empty_typeEbEEZZNS1_14partition_implILS5_8ELb0ES3_jPlPS6_PKS6_NS0_5tupleIJS9_S6_EEENSD_IJSA_SA_EEENS0_18inequality_wrapperIZN2at6native12_GLOBAL__N_124unique_dim_cuda_templateIlEESt5tupleIJNSH_6TensorESM_SM_EERKSM_lbbbEUlllE0_EEPmJS6_EEE10hipError_tPvRmT3_T4_T5_T6_T7_T9_mT8_P12ihipStream_tbDpT10_ENKUlT_T0_E_clISt17integral_constantIbLb0EES1B_IbLb1EEEEDaS17_S18_EUlS17_E_NS1_11comp_targetILNS1_3genE2ELNS1_11target_archE906ELNS1_3gpuE6ELNS1_3repE0EEENS1_30default_config_static_selectorELNS0_4arch9wavefront6targetE1EEEvT1_.uses_vcc, 0
	.set _ZN7rocprim17ROCPRIM_400000_NS6detail17trampoline_kernelINS0_14default_configENS1_25partition_config_selectorILNS1_17partition_subalgoE8ElNS0_10empty_typeEbEEZZNS1_14partition_implILS5_8ELb0ES3_jPlPS6_PKS6_NS0_5tupleIJS9_S6_EEENSD_IJSA_SA_EEENS0_18inequality_wrapperIZN2at6native12_GLOBAL__N_124unique_dim_cuda_templateIlEESt5tupleIJNSH_6TensorESM_SM_EERKSM_lbbbEUlllE0_EEPmJS6_EEE10hipError_tPvRmT3_T4_T5_T6_T7_T9_mT8_P12ihipStream_tbDpT10_ENKUlT_T0_E_clISt17integral_constantIbLb0EES1B_IbLb1EEEEDaS17_S18_EUlS17_E_NS1_11comp_targetILNS1_3genE2ELNS1_11target_archE906ELNS1_3gpuE6ELNS1_3repE0EEENS1_30default_config_static_selectorELNS0_4arch9wavefront6targetE1EEEvT1_.uses_flat_scratch, 0
	.set _ZN7rocprim17ROCPRIM_400000_NS6detail17trampoline_kernelINS0_14default_configENS1_25partition_config_selectorILNS1_17partition_subalgoE8ElNS0_10empty_typeEbEEZZNS1_14partition_implILS5_8ELb0ES3_jPlPS6_PKS6_NS0_5tupleIJS9_S6_EEENSD_IJSA_SA_EEENS0_18inequality_wrapperIZN2at6native12_GLOBAL__N_124unique_dim_cuda_templateIlEESt5tupleIJNSH_6TensorESM_SM_EERKSM_lbbbEUlllE0_EEPmJS6_EEE10hipError_tPvRmT3_T4_T5_T6_T7_T9_mT8_P12ihipStream_tbDpT10_ENKUlT_T0_E_clISt17integral_constantIbLb0EES1B_IbLb1EEEEDaS17_S18_EUlS17_E_NS1_11comp_targetILNS1_3genE2ELNS1_11target_archE906ELNS1_3gpuE6ELNS1_3repE0EEENS1_30default_config_static_selectorELNS0_4arch9wavefront6targetE1EEEvT1_.has_dyn_sized_stack, 0
	.set _ZN7rocprim17ROCPRIM_400000_NS6detail17trampoline_kernelINS0_14default_configENS1_25partition_config_selectorILNS1_17partition_subalgoE8ElNS0_10empty_typeEbEEZZNS1_14partition_implILS5_8ELb0ES3_jPlPS6_PKS6_NS0_5tupleIJS9_S6_EEENSD_IJSA_SA_EEENS0_18inequality_wrapperIZN2at6native12_GLOBAL__N_124unique_dim_cuda_templateIlEESt5tupleIJNSH_6TensorESM_SM_EERKSM_lbbbEUlllE0_EEPmJS6_EEE10hipError_tPvRmT3_T4_T5_T6_T7_T9_mT8_P12ihipStream_tbDpT10_ENKUlT_T0_E_clISt17integral_constantIbLb0EES1B_IbLb1EEEEDaS17_S18_EUlS17_E_NS1_11comp_targetILNS1_3genE2ELNS1_11target_archE906ELNS1_3gpuE6ELNS1_3repE0EEENS1_30default_config_static_selectorELNS0_4arch9wavefront6targetE1EEEvT1_.has_recursion, 0
	.set _ZN7rocprim17ROCPRIM_400000_NS6detail17trampoline_kernelINS0_14default_configENS1_25partition_config_selectorILNS1_17partition_subalgoE8ElNS0_10empty_typeEbEEZZNS1_14partition_implILS5_8ELb0ES3_jPlPS6_PKS6_NS0_5tupleIJS9_S6_EEENSD_IJSA_SA_EEENS0_18inequality_wrapperIZN2at6native12_GLOBAL__N_124unique_dim_cuda_templateIlEESt5tupleIJNSH_6TensorESM_SM_EERKSM_lbbbEUlllE0_EEPmJS6_EEE10hipError_tPvRmT3_T4_T5_T6_T7_T9_mT8_P12ihipStream_tbDpT10_ENKUlT_T0_E_clISt17integral_constantIbLb0EES1B_IbLb1EEEEDaS17_S18_EUlS17_E_NS1_11comp_targetILNS1_3genE2ELNS1_11target_archE906ELNS1_3gpuE6ELNS1_3repE0EEENS1_30default_config_static_selectorELNS0_4arch9wavefront6targetE1EEEvT1_.has_indirect_call, 0
	.section	.AMDGPU.csdata,"",@progbits
; Kernel info:
; codeLenInByte = 0
; TotalNumSgprs: 6
; NumVgprs: 0
; NumAgprs: 0
; TotalNumVgprs: 0
; ScratchSize: 0
; MemoryBound: 0
; FloatMode: 240
; IeeeMode: 1
; LDSByteSize: 0 bytes/workgroup (compile time only)
; SGPRBlocks: 0
; VGPRBlocks: 0
; NumSGPRsForWavesPerEU: 6
; NumVGPRsForWavesPerEU: 1
; AccumOffset: 4
; Occupancy: 8
; WaveLimiterHint : 0
; COMPUTE_PGM_RSRC2:SCRATCH_EN: 0
; COMPUTE_PGM_RSRC2:USER_SGPR: 2
; COMPUTE_PGM_RSRC2:TRAP_HANDLER: 0
; COMPUTE_PGM_RSRC2:TGID_X_EN: 1
; COMPUTE_PGM_RSRC2:TGID_Y_EN: 0
; COMPUTE_PGM_RSRC2:TGID_Z_EN: 0
; COMPUTE_PGM_RSRC2:TIDIG_COMP_CNT: 0
; COMPUTE_PGM_RSRC3_GFX90A:ACCUM_OFFSET: 0
; COMPUTE_PGM_RSRC3_GFX90A:TG_SPLIT: 0
	.section	.text._ZN7rocprim17ROCPRIM_400000_NS6detail17trampoline_kernelINS0_14default_configENS1_25partition_config_selectorILNS1_17partition_subalgoE8ElNS0_10empty_typeEbEEZZNS1_14partition_implILS5_8ELb0ES3_jPlPS6_PKS6_NS0_5tupleIJS9_S6_EEENSD_IJSA_SA_EEENS0_18inequality_wrapperIZN2at6native12_GLOBAL__N_124unique_dim_cuda_templateIlEESt5tupleIJNSH_6TensorESM_SM_EERKSM_lbbbEUlllE0_EEPmJS6_EEE10hipError_tPvRmT3_T4_T5_T6_T7_T9_mT8_P12ihipStream_tbDpT10_ENKUlT_T0_E_clISt17integral_constantIbLb0EES1B_IbLb1EEEEDaS17_S18_EUlS17_E_NS1_11comp_targetILNS1_3genE10ELNS1_11target_archE1200ELNS1_3gpuE4ELNS1_3repE0EEENS1_30default_config_static_selectorELNS0_4arch9wavefront6targetE1EEEvT1_,"axG",@progbits,_ZN7rocprim17ROCPRIM_400000_NS6detail17trampoline_kernelINS0_14default_configENS1_25partition_config_selectorILNS1_17partition_subalgoE8ElNS0_10empty_typeEbEEZZNS1_14partition_implILS5_8ELb0ES3_jPlPS6_PKS6_NS0_5tupleIJS9_S6_EEENSD_IJSA_SA_EEENS0_18inequality_wrapperIZN2at6native12_GLOBAL__N_124unique_dim_cuda_templateIlEESt5tupleIJNSH_6TensorESM_SM_EERKSM_lbbbEUlllE0_EEPmJS6_EEE10hipError_tPvRmT3_T4_T5_T6_T7_T9_mT8_P12ihipStream_tbDpT10_ENKUlT_T0_E_clISt17integral_constantIbLb0EES1B_IbLb1EEEEDaS17_S18_EUlS17_E_NS1_11comp_targetILNS1_3genE10ELNS1_11target_archE1200ELNS1_3gpuE4ELNS1_3repE0EEENS1_30default_config_static_selectorELNS0_4arch9wavefront6targetE1EEEvT1_,comdat
	.globl	_ZN7rocprim17ROCPRIM_400000_NS6detail17trampoline_kernelINS0_14default_configENS1_25partition_config_selectorILNS1_17partition_subalgoE8ElNS0_10empty_typeEbEEZZNS1_14partition_implILS5_8ELb0ES3_jPlPS6_PKS6_NS0_5tupleIJS9_S6_EEENSD_IJSA_SA_EEENS0_18inequality_wrapperIZN2at6native12_GLOBAL__N_124unique_dim_cuda_templateIlEESt5tupleIJNSH_6TensorESM_SM_EERKSM_lbbbEUlllE0_EEPmJS6_EEE10hipError_tPvRmT3_T4_T5_T6_T7_T9_mT8_P12ihipStream_tbDpT10_ENKUlT_T0_E_clISt17integral_constantIbLb0EES1B_IbLb1EEEEDaS17_S18_EUlS17_E_NS1_11comp_targetILNS1_3genE10ELNS1_11target_archE1200ELNS1_3gpuE4ELNS1_3repE0EEENS1_30default_config_static_selectorELNS0_4arch9wavefront6targetE1EEEvT1_ ; -- Begin function _ZN7rocprim17ROCPRIM_400000_NS6detail17trampoline_kernelINS0_14default_configENS1_25partition_config_selectorILNS1_17partition_subalgoE8ElNS0_10empty_typeEbEEZZNS1_14partition_implILS5_8ELb0ES3_jPlPS6_PKS6_NS0_5tupleIJS9_S6_EEENSD_IJSA_SA_EEENS0_18inequality_wrapperIZN2at6native12_GLOBAL__N_124unique_dim_cuda_templateIlEESt5tupleIJNSH_6TensorESM_SM_EERKSM_lbbbEUlllE0_EEPmJS6_EEE10hipError_tPvRmT3_T4_T5_T6_T7_T9_mT8_P12ihipStream_tbDpT10_ENKUlT_T0_E_clISt17integral_constantIbLb0EES1B_IbLb1EEEEDaS17_S18_EUlS17_E_NS1_11comp_targetILNS1_3genE10ELNS1_11target_archE1200ELNS1_3gpuE4ELNS1_3repE0EEENS1_30default_config_static_selectorELNS0_4arch9wavefront6targetE1EEEvT1_
	.p2align	8
	.type	_ZN7rocprim17ROCPRIM_400000_NS6detail17trampoline_kernelINS0_14default_configENS1_25partition_config_selectorILNS1_17partition_subalgoE8ElNS0_10empty_typeEbEEZZNS1_14partition_implILS5_8ELb0ES3_jPlPS6_PKS6_NS0_5tupleIJS9_S6_EEENSD_IJSA_SA_EEENS0_18inequality_wrapperIZN2at6native12_GLOBAL__N_124unique_dim_cuda_templateIlEESt5tupleIJNSH_6TensorESM_SM_EERKSM_lbbbEUlllE0_EEPmJS6_EEE10hipError_tPvRmT3_T4_T5_T6_T7_T9_mT8_P12ihipStream_tbDpT10_ENKUlT_T0_E_clISt17integral_constantIbLb0EES1B_IbLb1EEEEDaS17_S18_EUlS17_E_NS1_11comp_targetILNS1_3genE10ELNS1_11target_archE1200ELNS1_3gpuE4ELNS1_3repE0EEENS1_30default_config_static_selectorELNS0_4arch9wavefront6targetE1EEEvT1_,@function
_ZN7rocprim17ROCPRIM_400000_NS6detail17trampoline_kernelINS0_14default_configENS1_25partition_config_selectorILNS1_17partition_subalgoE8ElNS0_10empty_typeEbEEZZNS1_14partition_implILS5_8ELb0ES3_jPlPS6_PKS6_NS0_5tupleIJS9_S6_EEENSD_IJSA_SA_EEENS0_18inequality_wrapperIZN2at6native12_GLOBAL__N_124unique_dim_cuda_templateIlEESt5tupleIJNSH_6TensorESM_SM_EERKSM_lbbbEUlllE0_EEPmJS6_EEE10hipError_tPvRmT3_T4_T5_T6_T7_T9_mT8_P12ihipStream_tbDpT10_ENKUlT_T0_E_clISt17integral_constantIbLb0EES1B_IbLb1EEEEDaS17_S18_EUlS17_E_NS1_11comp_targetILNS1_3genE10ELNS1_11target_archE1200ELNS1_3gpuE4ELNS1_3repE0EEENS1_30default_config_static_selectorELNS0_4arch9wavefront6targetE1EEEvT1_: ; @_ZN7rocprim17ROCPRIM_400000_NS6detail17trampoline_kernelINS0_14default_configENS1_25partition_config_selectorILNS1_17partition_subalgoE8ElNS0_10empty_typeEbEEZZNS1_14partition_implILS5_8ELb0ES3_jPlPS6_PKS6_NS0_5tupleIJS9_S6_EEENSD_IJSA_SA_EEENS0_18inequality_wrapperIZN2at6native12_GLOBAL__N_124unique_dim_cuda_templateIlEESt5tupleIJNSH_6TensorESM_SM_EERKSM_lbbbEUlllE0_EEPmJS6_EEE10hipError_tPvRmT3_T4_T5_T6_T7_T9_mT8_P12ihipStream_tbDpT10_ENKUlT_T0_E_clISt17integral_constantIbLb0EES1B_IbLb1EEEEDaS17_S18_EUlS17_E_NS1_11comp_targetILNS1_3genE10ELNS1_11target_archE1200ELNS1_3gpuE4ELNS1_3repE0EEENS1_30default_config_static_selectorELNS0_4arch9wavefront6targetE1EEEvT1_
; %bb.0:
	.section	.rodata,"a",@progbits
	.p2align	6, 0x0
	.amdhsa_kernel _ZN7rocprim17ROCPRIM_400000_NS6detail17trampoline_kernelINS0_14default_configENS1_25partition_config_selectorILNS1_17partition_subalgoE8ElNS0_10empty_typeEbEEZZNS1_14partition_implILS5_8ELb0ES3_jPlPS6_PKS6_NS0_5tupleIJS9_S6_EEENSD_IJSA_SA_EEENS0_18inequality_wrapperIZN2at6native12_GLOBAL__N_124unique_dim_cuda_templateIlEESt5tupleIJNSH_6TensorESM_SM_EERKSM_lbbbEUlllE0_EEPmJS6_EEE10hipError_tPvRmT3_T4_T5_T6_T7_T9_mT8_P12ihipStream_tbDpT10_ENKUlT_T0_E_clISt17integral_constantIbLb0EES1B_IbLb1EEEEDaS17_S18_EUlS17_E_NS1_11comp_targetILNS1_3genE10ELNS1_11target_archE1200ELNS1_3gpuE4ELNS1_3repE0EEENS1_30default_config_static_selectorELNS0_4arch9wavefront6targetE1EEEvT1_
		.amdhsa_group_segment_fixed_size 0
		.amdhsa_private_segment_fixed_size 0
		.amdhsa_kernarg_size 136
		.amdhsa_user_sgpr_count 2
		.amdhsa_user_sgpr_dispatch_ptr 0
		.amdhsa_user_sgpr_queue_ptr 0
		.amdhsa_user_sgpr_kernarg_segment_ptr 1
		.amdhsa_user_sgpr_dispatch_id 0
		.amdhsa_user_sgpr_kernarg_preload_length 0
		.amdhsa_user_sgpr_kernarg_preload_offset 0
		.amdhsa_user_sgpr_private_segment_size 0
		.amdhsa_uses_dynamic_stack 0
		.amdhsa_enable_private_segment 0
		.amdhsa_system_sgpr_workgroup_id_x 1
		.amdhsa_system_sgpr_workgroup_id_y 0
		.amdhsa_system_sgpr_workgroup_id_z 0
		.amdhsa_system_sgpr_workgroup_info 0
		.amdhsa_system_vgpr_workitem_id 0
		.amdhsa_next_free_vgpr 1
		.amdhsa_next_free_sgpr 0
		.amdhsa_accum_offset 4
		.amdhsa_reserve_vcc 0
		.amdhsa_float_round_mode_32 0
		.amdhsa_float_round_mode_16_64 0
		.amdhsa_float_denorm_mode_32 3
		.amdhsa_float_denorm_mode_16_64 3
		.amdhsa_dx10_clamp 1
		.amdhsa_ieee_mode 1
		.amdhsa_fp16_overflow 0
		.amdhsa_tg_split 0
		.amdhsa_exception_fp_ieee_invalid_op 0
		.amdhsa_exception_fp_denorm_src 0
		.amdhsa_exception_fp_ieee_div_zero 0
		.amdhsa_exception_fp_ieee_overflow 0
		.amdhsa_exception_fp_ieee_underflow 0
		.amdhsa_exception_fp_ieee_inexact 0
		.amdhsa_exception_int_div_zero 0
	.end_amdhsa_kernel
	.section	.text._ZN7rocprim17ROCPRIM_400000_NS6detail17trampoline_kernelINS0_14default_configENS1_25partition_config_selectorILNS1_17partition_subalgoE8ElNS0_10empty_typeEbEEZZNS1_14partition_implILS5_8ELb0ES3_jPlPS6_PKS6_NS0_5tupleIJS9_S6_EEENSD_IJSA_SA_EEENS0_18inequality_wrapperIZN2at6native12_GLOBAL__N_124unique_dim_cuda_templateIlEESt5tupleIJNSH_6TensorESM_SM_EERKSM_lbbbEUlllE0_EEPmJS6_EEE10hipError_tPvRmT3_T4_T5_T6_T7_T9_mT8_P12ihipStream_tbDpT10_ENKUlT_T0_E_clISt17integral_constantIbLb0EES1B_IbLb1EEEEDaS17_S18_EUlS17_E_NS1_11comp_targetILNS1_3genE10ELNS1_11target_archE1200ELNS1_3gpuE4ELNS1_3repE0EEENS1_30default_config_static_selectorELNS0_4arch9wavefront6targetE1EEEvT1_,"axG",@progbits,_ZN7rocprim17ROCPRIM_400000_NS6detail17trampoline_kernelINS0_14default_configENS1_25partition_config_selectorILNS1_17partition_subalgoE8ElNS0_10empty_typeEbEEZZNS1_14partition_implILS5_8ELb0ES3_jPlPS6_PKS6_NS0_5tupleIJS9_S6_EEENSD_IJSA_SA_EEENS0_18inequality_wrapperIZN2at6native12_GLOBAL__N_124unique_dim_cuda_templateIlEESt5tupleIJNSH_6TensorESM_SM_EERKSM_lbbbEUlllE0_EEPmJS6_EEE10hipError_tPvRmT3_T4_T5_T6_T7_T9_mT8_P12ihipStream_tbDpT10_ENKUlT_T0_E_clISt17integral_constantIbLb0EES1B_IbLb1EEEEDaS17_S18_EUlS17_E_NS1_11comp_targetILNS1_3genE10ELNS1_11target_archE1200ELNS1_3gpuE4ELNS1_3repE0EEENS1_30default_config_static_selectorELNS0_4arch9wavefront6targetE1EEEvT1_,comdat
.Lfunc_end592:
	.size	_ZN7rocprim17ROCPRIM_400000_NS6detail17trampoline_kernelINS0_14default_configENS1_25partition_config_selectorILNS1_17partition_subalgoE8ElNS0_10empty_typeEbEEZZNS1_14partition_implILS5_8ELb0ES3_jPlPS6_PKS6_NS0_5tupleIJS9_S6_EEENSD_IJSA_SA_EEENS0_18inequality_wrapperIZN2at6native12_GLOBAL__N_124unique_dim_cuda_templateIlEESt5tupleIJNSH_6TensorESM_SM_EERKSM_lbbbEUlllE0_EEPmJS6_EEE10hipError_tPvRmT3_T4_T5_T6_T7_T9_mT8_P12ihipStream_tbDpT10_ENKUlT_T0_E_clISt17integral_constantIbLb0EES1B_IbLb1EEEEDaS17_S18_EUlS17_E_NS1_11comp_targetILNS1_3genE10ELNS1_11target_archE1200ELNS1_3gpuE4ELNS1_3repE0EEENS1_30default_config_static_selectorELNS0_4arch9wavefront6targetE1EEEvT1_, .Lfunc_end592-_ZN7rocprim17ROCPRIM_400000_NS6detail17trampoline_kernelINS0_14default_configENS1_25partition_config_selectorILNS1_17partition_subalgoE8ElNS0_10empty_typeEbEEZZNS1_14partition_implILS5_8ELb0ES3_jPlPS6_PKS6_NS0_5tupleIJS9_S6_EEENSD_IJSA_SA_EEENS0_18inequality_wrapperIZN2at6native12_GLOBAL__N_124unique_dim_cuda_templateIlEESt5tupleIJNSH_6TensorESM_SM_EERKSM_lbbbEUlllE0_EEPmJS6_EEE10hipError_tPvRmT3_T4_T5_T6_T7_T9_mT8_P12ihipStream_tbDpT10_ENKUlT_T0_E_clISt17integral_constantIbLb0EES1B_IbLb1EEEEDaS17_S18_EUlS17_E_NS1_11comp_targetILNS1_3genE10ELNS1_11target_archE1200ELNS1_3gpuE4ELNS1_3repE0EEENS1_30default_config_static_selectorELNS0_4arch9wavefront6targetE1EEEvT1_
                                        ; -- End function
	.set _ZN7rocprim17ROCPRIM_400000_NS6detail17trampoline_kernelINS0_14default_configENS1_25partition_config_selectorILNS1_17partition_subalgoE8ElNS0_10empty_typeEbEEZZNS1_14partition_implILS5_8ELb0ES3_jPlPS6_PKS6_NS0_5tupleIJS9_S6_EEENSD_IJSA_SA_EEENS0_18inequality_wrapperIZN2at6native12_GLOBAL__N_124unique_dim_cuda_templateIlEESt5tupleIJNSH_6TensorESM_SM_EERKSM_lbbbEUlllE0_EEPmJS6_EEE10hipError_tPvRmT3_T4_T5_T6_T7_T9_mT8_P12ihipStream_tbDpT10_ENKUlT_T0_E_clISt17integral_constantIbLb0EES1B_IbLb1EEEEDaS17_S18_EUlS17_E_NS1_11comp_targetILNS1_3genE10ELNS1_11target_archE1200ELNS1_3gpuE4ELNS1_3repE0EEENS1_30default_config_static_selectorELNS0_4arch9wavefront6targetE1EEEvT1_.num_vgpr, 0
	.set _ZN7rocprim17ROCPRIM_400000_NS6detail17trampoline_kernelINS0_14default_configENS1_25partition_config_selectorILNS1_17partition_subalgoE8ElNS0_10empty_typeEbEEZZNS1_14partition_implILS5_8ELb0ES3_jPlPS6_PKS6_NS0_5tupleIJS9_S6_EEENSD_IJSA_SA_EEENS0_18inequality_wrapperIZN2at6native12_GLOBAL__N_124unique_dim_cuda_templateIlEESt5tupleIJNSH_6TensorESM_SM_EERKSM_lbbbEUlllE0_EEPmJS6_EEE10hipError_tPvRmT3_T4_T5_T6_T7_T9_mT8_P12ihipStream_tbDpT10_ENKUlT_T0_E_clISt17integral_constantIbLb0EES1B_IbLb1EEEEDaS17_S18_EUlS17_E_NS1_11comp_targetILNS1_3genE10ELNS1_11target_archE1200ELNS1_3gpuE4ELNS1_3repE0EEENS1_30default_config_static_selectorELNS0_4arch9wavefront6targetE1EEEvT1_.num_agpr, 0
	.set _ZN7rocprim17ROCPRIM_400000_NS6detail17trampoline_kernelINS0_14default_configENS1_25partition_config_selectorILNS1_17partition_subalgoE8ElNS0_10empty_typeEbEEZZNS1_14partition_implILS5_8ELb0ES3_jPlPS6_PKS6_NS0_5tupleIJS9_S6_EEENSD_IJSA_SA_EEENS0_18inequality_wrapperIZN2at6native12_GLOBAL__N_124unique_dim_cuda_templateIlEESt5tupleIJNSH_6TensorESM_SM_EERKSM_lbbbEUlllE0_EEPmJS6_EEE10hipError_tPvRmT3_T4_T5_T6_T7_T9_mT8_P12ihipStream_tbDpT10_ENKUlT_T0_E_clISt17integral_constantIbLb0EES1B_IbLb1EEEEDaS17_S18_EUlS17_E_NS1_11comp_targetILNS1_3genE10ELNS1_11target_archE1200ELNS1_3gpuE4ELNS1_3repE0EEENS1_30default_config_static_selectorELNS0_4arch9wavefront6targetE1EEEvT1_.numbered_sgpr, 0
	.set _ZN7rocprim17ROCPRIM_400000_NS6detail17trampoline_kernelINS0_14default_configENS1_25partition_config_selectorILNS1_17partition_subalgoE8ElNS0_10empty_typeEbEEZZNS1_14partition_implILS5_8ELb0ES3_jPlPS6_PKS6_NS0_5tupleIJS9_S6_EEENSD_IJSA_SA_EEENS0_18inequality_wrapperIZN2at6native12_GLOBAL__N_124unique_dim_cuda_templateIlEESt5tupleIJNSH_6TensorESM_SM_EERKSM_lbbbEUlllE0_EEPmJS6_EEE10hipError_tPvRmT3_T4_T5_T6_T7_T9_mT8_P12ihipStream_tbDpT10_ENKUlT_T0_E_clISt17integral_constantIbLb0EES1B_IbLb1EEEEDaS17_S18_EUlS17_E_NS1_11comp_targetILNS1_3genE10ELNS1_11target_archE1200ELNS1_3gpuE4ELNS1_3repE0EEENS1_30default_config_static_selectorELNS0_4arch9wavefront6targetE1EEEvT1_.num_named_barrier, 0
	.set _ZN7rocprim17ROCPRIM_400000_NS6detail17trampoline_kernelINS0_14default_configENS1_25partition_config_selectorILNS1_17partition_subalgoE8ElNS0_10empty_typeEbEEZZNS1_14partition_implILS5_8ELb0ES3_jPlPS6_PKS6_NS0_5tupleIJS9_S6_EEENSD_IJSA_SA_EEENS0_18inequality_wrapperIZN2at6native12_GLOBAL__N_124unique_dim_cuda_templateIlEESt5tupleIJNSH_6TensorESM_SM_EERKSM_lbbbEUlllE0_EEPmJS6_EEE10hipError_tPvRmT3_T4_T5_T6_T7_T9_mT8_P12ihipStream_tbDpT10_ENKUlT_T0_E_clISt17integral_constantIbLb0EES1B_IbLb1EEEEDaS17_S18_EUlS17_E_NS1_11comp_targetILNS1_3genE10ELNS1_11target_archE1200ELNS1_3gpuE4ELNS1_3repE0EEENS1_30default_config_static_selectorELNS0_4arch9wavefront6targetE1EEEvT1_.private_seg_size, 0
	.set _ZN7rocprim17ROCPRIM_400000_NS6detail17trampoline_kernelINS0_14default_configENS1_25partition_config_selectorILNS1_17partition_subalgoE8ElNS0_10empty_typeEbEEZZNS1_14partition_implILS5_8ELb0ES3_jPlPS6_PKS6_NS0_5tupleIJS9_S6_EEENSD_IJSA_SA_EEENS0_18inequality_wrapperIZN2at6native12_GLOBAL__N_124unique_dim_cuda_templateIlEESt5tupleIJNSH_6TensorESM_SM_EERKSM_lbbbEUlllE0_EEPmJS6_EEE10hipError_tPvRmT3_T4_T5_T6_T7_T9_mT8_P12ihipStream_tbDpT10_ENKUlT_T0_E_clISt17integral_constantIbLb0EES1B_IbLb1EEEEDaS17_S18_EUlS17_E_NS1_11comp_targetILNS1_3genE10ELNS1_11target_archE1200ELNS1_3gpuE4ELNS1_3repE0EEENS1_30default_config_static_selectorELNS0_4arch9wavefront6targetE1EEEvT1_.uses_vcc, 0
	.set _ZN7rocprim17ROCPRIM_400000_NS6detail17trampoline_kernelINS0_14default_configENS1_25partition_config_selectorILNS1_17partition_subalgoE8ElNS0_10empty_typeEbEEZZNS1_14partition_implILS5_8ELb0ES3_jPlPS6_PKS6_NS0_5tupleIJS9_S6_EEENSD_IJSA_SA_EEENS0_18inequality_wrapperIZN2at6native12_GLOBAL__N_124unique_dim_cuda_templateIlEESt5tupleIJNSH_6TensorESM_SM_EERKSM_lbbbEUlllE0_EEPmJS6_EEE10hipError_tPvRmT3_T4_T5_T6_T7_T9_mT8_P12ihipStream_tbDpT10_ENKUlT_T0_E_clISt17integral_constantIbLb0EES1B_IbLb1EEEEDaS17_S18_EUlS17_E_NS1_11comp_targetILNS1_3genE10ELNS1_11target_archE1200ELNS1_3gpuE4ELNS1_3repE0EEENS1_30default_config_static_selectorELNS0_4arch9wavefront6targetE1EEEvT1_.uses_flat_scratch, 0
	.set _ZN7rocprim17ROCPRIM_400000_NS6detail17trampoline_kernelINS0_14default_configENS1_25partition_config_selectorILNS1_17partition_subalgoE8ElNS0_10empty_typeEbEEZZNS1_14partition_implILS5_8ELb0ES3_jPlPS6_PKS6_NS0_5tupleIJS9_S6_EEENSD_IJSA_SA_EEENS0_18inequality_wrapperIZN2at6native12_GLOBAL__N_124unique_dim_cuda_templateIlEESt5tupleIJNSH_6TensorESM_SM_EERKSM_lbbbEUlllE0_EEPmJS6_EEE10hipError_tPvRmT3_T4_T5_T6_T7_T9_mT8_P12ihipStream_tbDpT10_ENKUlT_T0_E_clISt17integral_constantIbLb0EES1B_IbLb1EEEEDaS17_S18_EUlS17_E_NS1_11comp_targetILNS1_3genE10ELNS1_11target_archE1200ELNS1_3gpuE4ELNS1_3repE0EEENS1_30default_config_static_selectorELNS0_4arch9wavefront6targetE1EEEvT1_.has_dyn_sized_stack, 0
	.set _ZN7rocprim17ROCPRIM_400000_NS6detail17trampoline_kernelINS0_14default_configENS1_25partition_config_selectorILNS1_17partition_subalgoE8ElNS0_10empty_typeEbEEZZNS1_14partition_implILS5_8ELb0ES3_jPlPS6_PKS6_NS0_5tupleIJS9_S6_EEENSD_IJSA_SA_EEENS0_18inequality_wrapperIZN2at6native12_GLOBAL__N_124unique_dim_cuda_templateIlEESt5tupleIJNSH_6TensorESM_SM_EERKSM_lbbbEUlllE0_EEPmJS6_EEE10hipError_tPvRmT3_T4_T5_T6_T7_T9_mT8_P12ihipStream_tbDpT10_ENKUlT_T0_E_clISt17integral_constantIbLb0EES1B_IbLb1EEEEDaS17_S18_EUlS17_E_NS1_11comp_targetILNS1_3genE10ELNS1_11target_archE1200ELNS1_3gpuE4ELNS1_3repE0EEENS1_30default_config_static_selectorELNS0_4arch9wavefront6targetE1EEEvT1_.has_recursion, 0
	.set _ZN7rocprim17ROCPRIM_400000_NS6detail17trampoline_kernelINS0_14default_configENS1_25partition_config_selectorILNS1_17partition_subalgoE8ElNS0_10empty_typeEbEEZZNS1_14partition_implILS5_8ELb0ES3_jPlPS6_PKS6_NS0_5tupleIJS9_S6_EEENSD_IJSA_SA_EEENS0_18inequality_wrapperIZN2at6native12_GLOBAL__N_124unique_dim_cuda_templateIlEESt5tupleIJNSH_6TensorESM_SM_EERKSM_lbbbEUlllE0_EEPmJS6_EEE10hipError_tPvRmT3_T4_T5_T6_T7_T9_mT8_P12ihipStream_tbDpT10_ENKUlT_T0_E_clISt17integral_constantIbLb0EES1B_IbLb1EEEEDaS17_S18_EUlS17_E_NS1_11comp_targetILNS1_3genE10ELNS1_11target_archE1200ELNS1_3gpuE4ELNS1_3repE0EEENS1_30default_config_static_selectorELNS0_4arch9wavefront6targetE1EEEvT1_.has_indirect_call, 0
	.section	.AMDGPU.csdata,"",@progbits
; Kernel info:
; codeLenInByte = 0
; TotalNumSgprs: 6
; NumVgprs: 0
; NumAgprs: 0
; TotalNumVgprs: 0
; ScratchSize: 0
; MemoryBound: 0
; FloatMode: 240
; IeeeMode: 1
; LDSByteSize: 0 bytes/workgroup (compile time only)
; SGPRBlocks: 0
; VGPRBlocks: 0
; NumSGPRsForWavesPerEU: 6
; NumVGPRsForWavesPerEU: 1
; AccumOffset: 4
; Occupancy: 8
; WaveLimiterHint : 0
; COMPUTE_PGM_RSRC2:SCRATCH_EN: 0
; COMPUTE_PGM_RSRC2:USER_SGPR: 2
; COMPUTE_PGM_RSRC2:TRAP_HANDLER: 0
; COMPUTE_PGM_RSRC2:TGID_X_EN: 1
; COMPUTE_PGM_RSRC2:TGID_Y_EN: 0
; COMPUTE_PGM_RSRC2:TGID_Z_EN: 0
; COMPUTE_PGM_RSRC2:TIDIG_COMP_CNT: 0
; COMPUTE_PGM_RSRC3_GFX90A:ACCUM_OFFSET: 0
; COMPUTE_PGM_RSRC3_GFX90A:TG_SPLIT: 0
	.section	.text._ZN7rocprim17ROCPRIM_400000_NS6detail17trampoline_kernelINS0_14default_configENS1_25partition_config_selectorILNS1_17partition_subalgoE8ElNS0_10empty_typeEbEEZZNS1_14partition_implILS5_8ELb0ES3_jPlPS6_PKS6_NS0_5tupleIJS9_S6_EEENSD_IJSA_SA_EEENS0_18inequality_wrapperIZN2at6native12_GLOBAL__N_124unique_dim_cuda_templateIlEESt5tupleIJNSH_6TensorESM_SM_EERKSM_lbbbEUlllE0_EEPmJS6_EEE10hipError_tPvRmT3_T4_T5_T6_T7_T9_mT8_P12ihipStream_tbDpT10_ENKUlT_T0_E_clISt17integral_constantIbLb0EES1B_IbLb1EEEEDaS17_S18_EUlS17_E_NS1_11comp_targetILNS1_3genE9ELNS1_11target_archE1100ELNS1_3gpuE3ELNS1_3repE0EEENS1_30default_config_static_selectorELNS0_4arch9wavefront6targetE1EEEvT1_,"axG",@progbits,_ZN7rocprim17ROCPRIM_400000_NS6detail17trampoline_kernelINS0_14default_configENS1_25partition_config_selectorILNS1_17partition_subalgoE8ElNS0_10empty_typeEbEEZZNS1_14partition_implILS5_8ELb0ES3_jPlPS6_PKS6_NS0_5tupleIJS9_S6_EEENSD_IJSA_SA_EEENS0_18inequality_wrapperIZN2at6native12_GLOBAL__N_124unique_dim_cuda_templateIlEESt5tupleIJNSH_6TensorESM_SM_EERKSM_lbbbEUlllE0_EEPmJS6_EEE10hipError_tPvRmT3_T4_T5_T6_T7_T9_mT8_P12ihipStream_tbDpT10_ENKUlT_T0_E_clISt17integral_constantIbLb0EES1B_IbLb1EEEEDaS17_S18_EUlS17_E_NS1_11comp_targetILNS1_3genE9ELNS1_11target_archE1100ELNS1_3gpuE3ELNS1_3repE0EEENS1_30default_config_static_selectorELNS0_4arch9wavefront6targetE1EEEvT1_,comdat
	.globl	_ZN7rocprim17ROCPRIM_400000_NS6detail17trampoline_kernelINS0_14default_configENS1_25partition_config_selectorILNS1_17partition_subalgoE8ElNS0_10empty_typeEbEEZZNS1_14partition_implILS5_8ELb0ES3_jPlPS6_PKS6_NS0_5tupleIJS9_S6_EEENSD_IJSA_SA_EEENS0_18inequality_wrapperIZN2at6native12_GLOBAL__N_124unique_dim_cuda_templateIlEESt5tupleIJNSH_6TensorESM_SM_EERKSM_lbbbEUlllE0_EEPmJS6_EEE10hipError_tPvRmT3_T4_T5_T6_T7_T9_mT8_P12ihipStream_tbDpT10_ENKUlT_T0_E_clISt17integral_constantIbLb0EES1B_IbLb1EEEEDaS17_S18_EUlS17_E_NS1_11comp_targetILNS1_3genE9ELNS1_11target_archE1100ELNS1_3gpuE3ELNS1_3repE0EEENS1_30default_config_static_selectorELNS0_4arch9wavefront6targetE1EEEvT1_ ; -- Begin function _ZN7rocprim17ROCPRIM_400000_NS6detail17trampoline_kernelINS0_14default_configENS1_25partition_config_selectorILNS1_17partition_subalgoE8ElNS0_10empty_typeEbEEZZNS1_14partition_implILS5_8ELb0ES3_jPlPS6_PKS6_NS0_5tupleIJS9_S6_EEENSD_IJSA_SA_EEENS0_18inequality_wrapperIZN2at6native12_GLOBAL__N_124unique_dim_cuda_templateIlEESt5tupleIJNSH_6TensorESM_SM_EERKSM_lbbbEUlllE0_EEPmJS6_EEE10hipError_tPvRmT3_T4_T5_T6_T7_T9_mT8_P12ihipStream_tbDpT10_ENKUlT_T0_E_clISt17integral_constantIbLb0EES1B_IbLb1EEEEDaS17_S18_EUlS17_E_NS1_11comp_targetILNS1_3genE9ELNS1_11target_archE1100ELNS1_3gpuE3ELNS1_3repE0EEENS1_30default_config_static_selectorELNS0_4arch9wavefront6targetE1EEEvT1_
	.p2align	8
	.type	_ZN7rocprim17ROCPRIM_400000_NS6detail17trampoline_kernelINS0_14default_configENS1_25partition_config_selectorILNS1_17partition_subalgoE8ElNS0_10empty_typeEbEEZZNS1_14partition_implILS5_8ELb0ES3_jPlPS6_PKS6_NS0_5tupleIJS9_S6_EEENSD_IJSA_SA_EEENS0_18inequality_wrapperIZN2at6native12_GLOBAL__N_124unique_dim_cuda_templateIlEESt5tupleIJNSH_6TensorESM_SM_EERKSM_lbbbEUlllE0_EEPmJS6_EEE10hipError_tPvRmT3_T4_T5_T6_T7_T9_mT8_P12ihipStream_tbDpT10_ENKUlT_T0_E_clISt17integral_constantIbLb0EES1B_IbLb1EEEEDaS17_S18_EUlS17_E_NS1_11comp_targetILNS1_3genE9ELNS1_11target_archE1100ELNS1_3gpuE3ELNS1_3repE0EEENS1_30default_config_static_selectorELNS0_4arch9wavefront6targetE1EEEvT1_,@function
_ZN7rocprim17ROCPRIM_400000_NS6detail17trampoline_kernelINS0_14default_configENS1_25partition_config_selectorILNS1_17partition_subalgoE8ElNS0_10empty_typeEbEEZZNS1_14partition_implILS5_8ELb0ES3_jPlPS6_PKS6_NS0_5tupleIJS9_S6_EEENSD_IJSA_SA_EEENS0_18inequality_wrapperIZN2at6native12_GLOBAL__N_124unique_dim_cuda_templateIlEESt5tupleIJNSH_6TensorESM_SM_EERKSM_lbbbEUlllE0_EEPmJS6_EEE10hipError_tPvRmT3_T4_T5_T6_T7_T9_mT8_P12ihipStream_tbDpT10_ENKUlT_T0_E_clISt17integral_constantIbLb0EES1B_IbLb1EEEEDaS17_S18_EUlS17_E_NS1_11comp_targetILNS1_3genE9ELNS1_11target_archE1100ELNS1_3gpuE3ELNS1_3repE0EEENS1_30default_config_static_selectorELNS0_4arch9wavefront6targetE1EEEvT1_: ; @_ZN7rocprim17ROCPRIM_400000_NS6detail17trampoline_kernelINS0_14default_configENS1_25partition_config_selectorILNS1_17partition_subalgoE8ElNS0_10empty_typeEbEEZZNS1_14partition_implILS5_8ELb0ES3_jPlPS6_PKS6_NS0_5tupleIJS9_S6_EEENSD_IJSA_SA_EEENS0_18inequality_wrapperIZN2at6native12_GLOBAL__N_124unique_dim_cuda_templateIlEESt5tupleIJNSH_6TensorESM_SM_EERKSM_lbbbEUlllE0_EEPmJS6_EEE10hipError_tPvRmT3_T4_T5_T6_T7_T9_mT8_P12ihipStream_tbDpT10_ENKUlT_T0_E_clISt17integral_constantIbLb0EES1B_IbLb1EEEEDaS17_S18_EUlS17_E_NS1_11comp_targetILNS1_3genE9ELNS1_11target_archE1100ELNS1_3gpuE3ELNS1_3repE0EEENS1_30default_config_static_selectorELNS0_4arch9wavefront6targetE1EEEvT1_
; %bb.0:
	.section	.rodata,"a",@progbits
	.p2align	6, 0x0
	.amdhsa_kernel _ZN7rocprim17ROCPRIM_400000_NS6detail17trampoline_kernelINS0_14default_configENS1_25partition_config_selectorILNS1_17partition_subalgoE8ElNS0_10empty_typeEbEEZZNS1_14partition_implILS5_8ELb0ES3_jPlPS6_PKS6_NS0_5tupleIJS9_S6_EEENSD_IJSA_SA_EEENS0_18inequality_wrapperIZN2at6native12_GLOBAL__N_124unique_dim_cuda_templateIlEESt5tupleIJNSH_6TensorESM_SM_EERKSM_lbbbEUlllE0_EEPmJS6_EEE10hipError_tPvRmT3_T4_T5_T6_T7_T9_mT8_P12ihipStream_tbDpT10_ENKUlT_T0_E_clISt17integral_constantIbLb0EES1B_IbLb1EEEEDaS17_S18_EUlS17_E_NS1_11comp_targetILNS1_3genE9ELNS1_11target_archE1100ELNS1_3gpuE3ELNS1_3repE0EEENS1_30default_config_static_selectorELNS0_4arch9wavefront6targetE1EEEvT1_
		.amdhsa_group_segment_fixed_size 0
		.amdhsa_private_segment_fixed_size 0
		.amdhsa_kernarg_size 136
		.amdhsa_user_sgpr_count 2
		.amdhsa_user_sgpr_dispatch_ptr 0
		.amdhsa_user_sgpr_queue_ptr 0
		.amdhsa_user_sgpr_kernarg_segment_ptr 1
		.amdhsa_user_sgpr_dispatch_id 0
		.amdhsa_user_sgpr_kernarg_preload_length 0
		.amdhsa_user_sgpr_kernarg_preload_offset 0
		.amdhsa_user_sgpr_private_segment_size 0
		.amdhsa_uses_dynamic_stack 0
		.amdhsa_enable_private_segment 0
		.amdhsa_system_sgpr_workgroup_id_x 1
		.amdhsa_system_sgpr_workgroup_id_y 0
		.amdhsa_system_sgpr_workgroup_id_z 0
		.amdhsa_system_sgpr_workgroup_info 0
		.amdhsa_system_vgpr_workitem_id 0
		.amdhsa_next_free_vgpr 1
		.amdhsa_next_free_sgpr 0
		.amdhsa_accum_offset 4
		.amdhsa_reserve_vcc 0
		.amdhsa_float_round_mode_32 0
		.amdhsa_float_round_mode_16_64 0
		.amdhsa_float_denorm_mode_32 3
		.amdhsa_float_denorm_mode_16_64 3
		.amdhsa_dx10_clamp 1
		.amdhsa_ieee_mode 1
		.amdhsa_fp16_overflow 0
		.amdhsa_tg_split 0
		.amdhsa_exception_fp_ieee_invalid_op 0
		.amdhsa_exception_fp_denorm_src 0
		.amdhsa_exception_fp_ieee_div_zero 0
		.amdhsa_exception_fp_ieee_overflow 0
		.amdhsa_exception_fp_ieee_underflow 0
		.amdhsa_exception_fp_ieee_inexact 0
		.amdhsa_exception_int_div_zero 0
	.end_amdhsa_kernel
	.section	.text._ZN7rocprim17ROCPRIM_400000_NS6detail17trampoline_kernelINS0_14default_configENS1_25partition_config_selectorILNS1_17partition_subalgoE8ElNS0_10empty_typeEbEEZZNS1_14partition_implILS5_8ELb0ES3_jPlPS6_PKS6_NS0_5tupleIJS9_S6_EEENSD_IJSA_SA_EEENS0_18inequality_wrapperIZN2at6native12_GLOBAL__N_124unique_dim_cuda_templateIlEESt5tupleIJNSH_6TensorESM_SM_EERKSM_lbbbEUlllE0_EEPmJS6_EEE10hipError_tPvRmT3_T4_T5_T6_T7_T9_mT8_P12ihipStream_tbDpT10_ENKUlT_T0_E_clISt17integral_constantIbLb0EES1B_IbLb1EEEEDaS17_S18_EUlS17_E_NS1_11comp_targetILNS1_3genE9ELNS1_11target_archE1100ELNS1_3gpuE3ELNS1_3repE0EEENS1_30default_config_static_selectorELNS0_4arch9wavefront6targetE1EEEvT1_,"axG",@progbits,_ZN7rocprim17ROCPRIM_400000_NS6detail17trampoline_kernelINS0_14default_configENS1_25partition_config_selectorILNS1_17partition_subalgoE8ElNS0_10empty_typeEbEEZZNS1_14partition_implILS5_8ELb0ES3_jPlPS6_PKS6_NS0_5tupleIJS9_S6_EEENSD_IJSA_SA_EEENS0_18inequality_wrapperIZN2at6native12_GLOBAL__N_124unique_dim_cuda_templateIlEESt5tupleIJNSH_6TensorESM_SM_EERKSM_lbbbEUlllE0_EEPmJS6_EEE10hipError_tPvRmT3_T4_T5_T6_T7_T9_mT8_P12ihipStream_tbDpT10_ENKUlT_T0_E_clISt17integral_constantIbLb0EES1B_IbLb1EEEEDaS17_S18_EUlS17_E_NS1_11comp_targetILNS1_3genE9ELNS1_11target_archE1100ELNS1_3gpuE3ELNS1_3repE0EEENS1_30default_config_static_selectorELNS0_4arch9wavefront6targetE1EEEvT1_,comdat
.Lfunc_end593:
	.size	_ZN7rocprim17ROCPRIM_400000_NS6detail17trampoline_kernelINS0_14default_configENS1_25partition_config_selectorILNS1_17partition_subalgoE8ElNS0_10empty_typeEbEEZZNS1_14partition_implILS5_8ELb0ES3_jPlPS6_PKS6_NS0_5tupleIJS9_S6_EEENSD_IJSA_SA_EEENS0_18inequality_wrapperIZN2at6native12_GLOBAL__N_124unique_dim_cuda_templateIlEESt5tupleIJNSH_6TensorESM_SM_EERKSM_lbbbEUlllE0_EEPmJS6_EEE10hipError_tPvRmT3_T4_T5_T6_T7_T9_mT8_P12ihipStream_tbDpT10_ENKUlT_T0_E_clISt17integral_constantIbLb0EES1B_IbLb1EEEEDaS17_S18_EUlS17_E_NS1_11comp_targetILNS1_3genE9ELNS1_11target_archE1100ELNS1_3gpuE3ELNS1_3repE0EEENS1_30default_config_static_selectorELNS0_4arch9wavefront6targetE1EEEvT1_, .Lfunc_end593-_ZN7rocprim17ROCPRIM_400000_NS6detail17trampoline_kernelINS0_14default_configENS1_25partition_config_selectorILNS1_17partition_subalgoE8ElNS0_10empty_typeEbEEZZNS1_14partition_implILS5_8ELb0ES3_jPlPS6_PKS6_NS0_5tupleIJS9_S6_EEENSD_IJSA_SA_EEENS0_18inequality_wrapperIZN2at6native12_GLOBAL__N_124unique_dim_cuda_templateIlEESt5tupleIJNSH_6TensorESM_SM_EERKSM_lbbbEUlllE0_EEPmJS6_EEE10hipError_tPvRmT3_T4_T5_T6_T7_T9_mT8_P12ihipStream_tbDpT10_ENKUlT_T0_E_clISt17integral_constantIbLb0EES1B_IbLb1EEEEDaS17_S18_EUlS17_E_NS1_11comp_targetILNS1_3genE9ELNS1_11target_archE1100ELNS1_3gpuE3ELNS1_3repE0EEENS1_30default_config_static_selectorELNS0_4arch9wavefront6targetE1EEEvT1_
                                        ; -- End function
	.set _ZN7rocprim17ROCPRIM_400000_NS6detail17trampoline_kernelINS0_14default_configENS1_25partition_config_selectorILNS1_17partition_subalgoE8ElNS0_10empty_typeEbEEZZNS1_14partition_implILS5_8ELb0ES3_jPlPS6_PKS6_NS0_5tupleIJS9_S6_EEENSD_IJSA_SA_EEENS0_18inequality_wrapperIZN2at6native12_GLOBAL__N_124unique_dim_cuda_templateIlEESt5tupleIJNSH_6TensorESM_SM_EERKSM_lbbbEUlllE0_EEPmJS6_EEE10hipError_tPvRmT3_T4_T5_T6_T7_T9_mT8_P12ihipStream_tbDpT10_ENKUlT_T0_E_clISt17integral_constantIbLb0EES1B_IbLb1EEEEDaS17_S18_EUlS17_E_NS1_11comp_targetILNS1_3genE9ELNS1_11target_archE1100ELNS1_3gpuE3ELNS1_3repE0EEENS1_30default_config_static_selectorELNS0_4arch9wavefront6targetE1EEEvT1_.num_vgpr, 0
	.set _ZN7rocprim17ROCPRIM_400000_NS6detail17trampoline_kernelINS0_14default_configENS1_25partition_config_selectorILNS1_17partition_subalgoE8ElNS0_10empty_typeEbEEZZNS1_14partition_implILS5_8ELb0ES3_jPlPS6_PKS6_NS0_5tupleIJS9_S6_EEENSD_IJSA_SA_EEENS0_18inequality_wrapperIZN2at6native12_GLOBAL__N_124unique_dim_cuda_templateIlEESt5tupleIJNSH_6TensorESM_SM_EERKSM_lbbbEUlllE0_EEPmJS6_EEE10hipError_tPvRmT3_T4_T5_T6_T7_T9_mT8_P12ihipStream_tbDpT10_ENKUlT_T0_E_clISt17integral_constantIbLb0EES1B_IbLb1EEEEDaS17_S18_EUlS17_E_NS1_11comp_targetILNS1_3genE9ELNS1_11target_archE1100ELNS1_3gpuE3ELNS1_3repE0EEENS1_30default_config_static_selectorELNS0_4arch9wavefront6targetE1EEEvT1_.num_agpr, 0
	.set _ZN7rocprim17ROCPRIM_400000_NS6detail17trampoline_kernelINS0_14default_configENS1_25partition_config_selectorILNS1_17partition_subalgoE8ElNS0_10empty_typeEbEEZZNS1_14partition_implILS5_8ELb0ES3_jPlPS6_PKS6_NS0_5tupleIJS9_S6_EEENSD_IJSA_SA_EEENS0_18inequality_wrapperIZN2at6native12_GLOBAL__N_124unique_dim_cuda_templateIlEESt5tupleIJNSH_6TensorESM_SM_EERKSM_lbbbEUlllE0_EEPmJS6_EEE10hipError_tPvRmT3_T4_T5_T6_T7_T9_mT8_P12ihipStream_tbDpT10_ENKUlT_T0_E_clISt17integral_constantIbLb0EES1B_IbLb1EEEEDaS17_S18_EUlS17_E_NS1_11comp_targetILNS1_3genE9ELNS1_11target_archE1100ELNS1_3gpuE3ELNS1_3repE0EEENS1_30default_config_static_selectorELNS0_4arch9wavefront6targetE1EEEvT1_.numbered_sgpr, 0
	.set _ZN7rocprim17ROCPRIM_400000_NS6detail17trampoline_kernelINS0_14default_configENS1_25partition_config_selectorILNS1_17partition_subalgoE8ElNS0_10empty_typeEbEEZZNS1_14partition_implILS5_8ELb0ES3_jPlPS6_PKS6_NS0_5tupleIJS9_S6_EEENSD_IJSA_SA_EEENS0_18inequality_wrapperIZN2at6native12_GLOBAL__N_124unique_dim_cuda_templateIlEESt5tupleIJNSH_6TensorESM_SM_EERKSM_lbbbEUlllE0_EEPmJS6_EEE10hipError_tPvRmT3_T4_T5_T6_T7_T9_mT8_P12ihipStream_tbDpT10_ENKUlT_T0_E_clISt17integral_constantIbLb0EES1B_IbLb1EEEEDaS17_S18_EUlS17_E_NS1_11comp_targetILNS1_3genE9ELNS1_11target_archE1100ELNS1_3gpuE3ELNS1_3repE0EEENS1_30default_config_static_selectorELNS0_4arch9wavefront6targetE1EEEvT1_.num_named_barrier, 0
	.set _ZN7rocprim17ROCPRIM_400000_NS6detail17trampoline_kernelINS0_14default_configENS1_25partition_config_selectorILNS1_17partition_subalgoE8ElNS0_10empty_typeEbEEZZNS1_14partition_implILS5_8ELb0ES3_jPlPS6_PKS6_NS0_5tupleIJS9_S6_EEENSD_IJSA_SA_EEENS0_18inequality_wrapperIZN2at6native12_GLOBAL__N_124unique_dim_cuda_templateIlEESt5tupleIJNSH_6TensorESM_SM_EERKSM_lbbbEUlllE0_EEPmJS6_EEE10hipError_tPvRmT3_T4_T5_T6_T7_T9_mT8_P12ihipStream_tbDpT10_ENKUlT_T0_E_clISt17integral_constantIbLb0EES1B_IbLb1EEEEDaS17_S18_EUlS17_E_NS1_11comp_targetILNS1_3genE9ELNS1_11target_archE1100ELNS1_3gpuE3ELNS1_3repE0EEENS1_30default_config_static_selectorELNS0_4arch9wavefront6targetE1EEEvT1_.private_seg_size, 0
	.set _ZN7rocprim17ROCPRIM_400000_NS6detail17trampoline_kernelINS0_14default_configENS1_25partition_config_selectorILNS1_17partition_subalgoE8ElNS0_10empty_typeEbEEZZNS1_14partition_implILS5_8ELb0ES3_jPlPS6_PKS6_NS0_5tupleIJS9_S6_EEENSD_IJSA_SA_EEENS0_18inequality_wrapperIZN2at6native12_GLOBAL__N_124unique_dim_cuda_templateIlEESt5tupleIJNSH_6TensorESM_SM_EERKSM_lbbbEUlllE0_EEPmJS6_EEE10hipError_tPvRmT3_T4_T5_T6_T7_T9_mT8_P12ihipStream_tbDpT10_ENKUlT_T0_E_clISt17integral_constantIbLb0EES1B_IbLb1EEEEDaS17_S18_EUlS17_E_NS1_11comp_targetILNS1_3genE9ELNS1_11target_archE1100ELNS1_3gpuE3ELNS1_3repE0EEENS1_30default_config_static_selectorELNS0_4arch9wavefront6targetE1EEEvT1_.uses_vcc, 0
	.set _ZN7rocprim17ROCPRIM_400000_NS6detail17trampoline_kernelINS0_14default_configENS1_25partition_config_selectorILNS1_17partition_subalgoE8ElNS0_10empty_typeEbEEZZNS1_14partition_implILS5_8ELb0ES3_jPlPS6_PKS6_NS0_5tupleIJS9_S6_EEENSD_IJSA_SA_EEENS0_18inequality_wrapperIZN2at6native12_GLOBAL__N_124unique_dim_cuda_templateIlEESt5tupleIJNSH_6TensorESM_SM_EERKSM_lbbbEUlllE0_EEPmJS6_EEE10hipError_tPvRmT3_T4_T5_T6_T7_T9_mT8_P12ihipStream_tbDpT10_ENKUlT_T0_E_clISt17integral_constantIbLb0EES1B_IbLb1EEEEDaS17_S18_EUlS17_E_NS1_11comp_targetILNS1_3genE9ELNS1_11target_archE1100ELNS1_3gpuE3ELNS1_3repE0EEENS1_30default_config_static_selectorELNS0_4arch9wavefront6targetE1EEEvT1_.uses_flat_scratch, 0
	.set _ZN7rocprim17ROCPRIM_400000_NS6detail17trampoline_kernelINS0_14default_configENS1_25partition_config_selectorILNS1_17partition_subalgoE8ElNS0_10empty_typeEbEEZZNS1_14partition_implILS5_8ELb0ES3_jPlPS6_PKS6_NS0_5tupleIJS9_S6_EEENSD_IJSA_SA_EEENS0_18inequality_wrapperIZN2at6native12_GLOBAL__N_124unique_dim_cuda_templateIlEESt5tupleIJNSH_6TensorESM_SM_EERKSM_lbbbEUlllE0_EEPmJS6_EEE10hipError_tPvRmT3_T4_T5_T6_T7_T9_mT8_P12ihipStream_tbDpT10_ENKUlT_T0_E_clISt17integral_constantIbLb0EES1B_IbLb1EEEEDaS17_S18_EUlS17_E_NS1_11comp_targetILNS1_3genE9ELNS1_11target_archE1100ELNS1_3gpuE3ELNS1_3repE0EEENS1_30default_config_static_selectorELNS0_4arch9wavefront6targetE1EEEvT1_.has_dyn_sized_stack, 0
	.set _ZN7rocprim17ROCPRIM_400000_NS6detail17trampoline_kernelINS0_14default_configENS1_25partition_config_selectorILNS1_17partition_subalgoE8ElNS0_10empty_typeEbEEZZNS1_14partition_implILS5_8ELb0ES3_jPlPS6_PKS6_NS0_5tupleIJS9_S6_EEENSD_IJSA_SA_EEENS0_18inequality_wrapperIZN2at6native12_GLOBAL__N_124unique_dim_cuda_templateIlEESt5tupleIJNSH_6TensorESM_SM_EERKSM_lbbbEUlllE0_EEPmJS6_EEE10hipError_tPvRmT3_T4_T5_T6_T7_T9_mT8_P12ihipStream_tbDpT10_ENKUlT_T0_E_clISt17integral_constantIbLb0EES1B_IbLb1EEEEDaS17_S18_EUlS17_E_NS1_11comp_targetILNS1_3genE9ELNS1_11target_archE1100ELNS1_3gpuE3ELNS1_3repE0EEENS1_30default_config_static_selectorELNS0_4arch9wavefront6targetE1EEEvT1_.has_recursion, 0
	.set _ZN7rocprim17ROCPRIM_400000_NS6detail17trampoline_kernelINS0_14default_configENS1_25partition_config_selectorILNS1_17partition_subalgoE8ElNS0_10empty_typeEbEEZZNS1_14partition_implILS5_8ELb0ES3_jPlPS6_PKS6_NS0_5tupleIJS9_S6_EEENSD_IJSA_SA_EEENS0_18inequality_wrapperIZN2at6native12_GLOBAL__N_124unique_dim_cuda_templateIlEESt5tupleIJNSH_6TensorESM_SM_EERKSM_lbbbEUlllE0_EEPmJS6_EEE10hipError_tPvRmT3_T4_T5_T6_T7_T9_mT8_P12ihipStream_tbDpT10_ENKUlT_T0_E_clISt17integral_constantIbLb0EES1B_IbLb1EEEEDaS17_S18_EUlS17_E_NS1_11comp_targetILNS1_3genE9ELNS1_11target_archE1100ELNS1_3gpuE3ELNS1_3repE0EEENS1_30default_config_static_selectorELNS0_4arch9wavefront6targetE1EEEvT1_.has_indirect_call, 0
	.section	.AMDGPU.csdata,"",@progbits
; Kernel info:
; codeLenInByte = 0
; TotalNumSgprs: 6
; NumVgprs: 0
; NumAgprs: 0
; TotalNumVgprs: 0
; ScratchSize: 0
; MemoryBound: 0
; FloatMode: 240
; IeeeMode: 1
; LDSByteSize: 0 bytes/workgroup (compile time only)
; SGPRBlocks: 0
; VGPRBlocks: 0
; NumSGPRsForWavesPerEU: 6
; NumVGPRsForWavesPerEU: 1
; AccumOffset: 4
; Occupancy: 8
; WaveLimiterHint : 0
; COMPUTE_PGM_RSRC2:SCRATCH_EN: 0
; COMPUTE_PGM_RSRC2:USER_SGPR: 2
; COMPUTE_PGM_RSRC2:TRAP_HANDLER: 0
; COMPUTE_PGM_RSRC2:TGID_X_EN: 1
; COMPUTE_PGM_RSRC2:TGID_Y_EN: 0
; COMPUTE_PGM_RSRC2:TGID_Z_EN: 0
; COMPUTE_PGM_RSRC2:TIDIG_COMP_CNT: 0
; COMPUTE_PGM_RSRC3_GFX90A:ACCUM_OFFSET: 0
; COMPUTE_PGM_RSRC3_GFX90A:TG_SPLIT: 0
	.section	.text._ZN7rocprim17ROCPRIM_400000_NS6detail17trampoline_kernelINS0_14default_configENS1_25partition_config_selectorILNS1_17partition_subalgoE8ElNS0_10empty_typeEbEEZZNS1_14partition_implILS5_8ELb0ES3_jPlPS6_PKS6_NS0_5tupleIJS9_S6_EEENSD_IJSA_SA_EEENS0_18inequality_wrapperIZN2at6native12_GLOBAL__N_124unique_dim_cuda_templateIlEESt5tupleIJNSH_6TensorESM_SM_EERKSM_lbbbEUlllE0_EEPmJS6_EEE10hipError_tPvRmT3_T4_T5_T6_T7_T9_mT8_P12ihipStream_tbDpT10_ENKUlT_T0_E_clISt17integral_constantIbLb0EES1B_IbLb1EEEEDaS17_S18_EUlS17_E_NS1_11comp_targetILNS1_3genE8ELNS1_11target_archE1030ELNS1_3gpuE2ELNS1_3repE0EEENS1_30default_config_static_selectorELNS0_4arch9wavefront6targetE1EEEvT1_,"axG",@progbits,_ZN7rocprim17ROCPRIM_400000_NS6detail17trampoline_kernelINS0_14default_configENS1_25partition_config_selectorILNS1_17partition_subalgoE8ElNS0_10empty_typeEbEEZZNS1_14partition_implILS5_8ELb0ES3_jPlPS6_PKS6_NS0_5tupleIJS9_S6_EEENSD_IJSA_SA_EEENS0_18inequality_wrapperIZN2at6native12_GLOBAL__N_124unique_dim_cuda_templateIlEESt5tupleIJNSH_6TensorESM_SM_EERKSM_lbbbEUlllE0_EEPmJS6_EEE10hipError_tPvRmT3_T4_T5_T6_T7_T9_mT8_P12ihipStream_tbDpT10_ENKUlT_T0_E_clISt17integral_constantIbLb0EES1B_IbLb1EEEEDaS17_S18_EUlS17_E_NS1_11comp_targetILNS1_3genE8ELNS1_11target_archE1030ELNS1_3gpuE2ELNS1_3repE0EEENS1_30default_config_static_selectorELNS0_4arch9wavefront6targetE1EEEvT1_,comdat
	.globl	_ZN7rocprim17ROCPRIM_400000_NS6detail17trampoline_kernelINS0_14default_configENS1_25partition_config_selectorILNS1_17partition_subalgoE8ElNS0_10empty_typeEbEEZZNS1_14partition_implILS5_8ELb0ES3_jPlPS6_PKS6_NS0_5tupleIJS9_S6_EEENSD_IJSA_SA_EEENS0_18inequality_wrapperIZN2at6native12_GLOBAL__N_124unique_dim_cuda_templateIlEESt5tupleIJNSH_6TensorESM_SM_EERKSM_lbbbEUlllE0_EEPmJS6_EEE10hipError_tPvRmT3_T4_T5_T6_T7_T9_mT8_P12ihipStream_tbDpT10_ENKUlT_T0_E_clISt17integral_constantIbLb0EES1B_IbLb1EEEEDaS17_S18_EUlS17_E_NS1_11comp_targetILNS1_3genE8ELNS1_11target_archE1030ELNS1_3gpuE2ELNS1_3repE0EEENS1_30default_config_static_selectorELNS0_4arch9wavefront6targetE1EEEvT1_ ; -- Begin function _ZN7rocprim17ROCPRIM_400000_NS6detail17trampoline_kernelINS0_14default_configENS1_25partition_config_selectorILNS1_17partition_subalgoE8ElNS0_10empty_typeEbEEZZNS1_14partition_implILS5_8ELb0ES3_jPlPS6_PKS6_NS0_5tupleIJS9_S6_EEENSD_IJSA_SA_EEENS0_18inequality_wrapperIZN2at6native12_GLOBAL__N_124unique_dim_cuda_templateIlEESt5tupleIJNSH_6TensorESM_SM_EERKSM_lbbbEUlllE0_EEPmJS6_EEE10hipError_tPvRmT3_T4_T5_T6_T7_T9_mT8_P12ihipStream_tbDpT10_ENKUlT_T0_E_clISt17integral_constantIbLb0EES1B_IbLb1EEEEDaS17_S18_EUlS17_E_NS1_11comp_targetILNS1_3genE8ELNS1_11target_archE1030ELNS1_3gpuE2ELNS1_3repE0EEENS1_30default_config_static_selectorELNS0_4arch9wavefront6targetE1EEEvT1_
	.p2align	8
	.type	_ZN7rocprim17ROCPRIM_400000_NS6detail17trampoline_kernelINS0_14default_configENS1_25partition_config_selectorILNS1_17partition_subalgoE8ElNS0_10empty_typeEbEEZZNS1_14partition_implILS5_8ELb0ES3_jPlPS6_PKS6_NS0_5tupleIJS9_S6_EEENSD_IJSA_SA_EEENS0_18inequality_wrapperIZN2at6native12_GLOBAL__N_124unique_dim_cuda_templateIlEESt5tupleIJNSH_6TensorESM_SM_EERKSM_lbbbEUlllE0_EEPmJS6_EEE10hipError_tPvRmT3_T4_T5_T6_T7_T9_mT8_P12ihipStream_tbDpT10_ENKUlT_T0_E_clISt17integral_constantIbLb0EES1B_IbLb1EEEEDaS17_S18_EUlS17_E_NS1_11comp_targetILNS1_3genE8ELNS1_11target_archE1030ELNS1_3gpuE2ELNS1_3repE0EEENS1_30default_config_static_selectorELNS0_4arch9wavefront6targetE1EEEvT1_,@function
_ZN7rocprim17ROCPRIM_400000_NS6detail17trampoline_kernelINS0_14default_configENS1_25partition_config_selectorILNS1_17partition_subalgoE8ElNS0_10empty_typeEbEEZZNS1_14partition_implILS5_8ELb0ES3_jPlPS6_PKS6_NS0_5tupleIJS9_S6_EEENSD_IJSA_SA_EEENS0_18inequality_wrapperIZN2at6native12_GLOBAL__N_124unique_dim_cuda_templateIlEESt5tupleIJNSH_6TensorESM_SM_EERKSM_lbbbEUlllE0_EEPmJS6_EEE10hipError_tPvRmT3_T4_T5_T6_T7_T9_mT8_P12ihipStream_tbDpT10_ENKUlT_T0_E_clISt17integral_constantIbLb0EES1B_IbLb1EEEEDaS17_S18_EUlS17_E_NS1_11comp_targetILNS1_3genE8ELNS1_11target_archE1030ELNS1_3gpuE2ELNS1_3repE0EEENS1_30default_config_static_selectorELNS0_4arch9wavefront6targetE1EEEvT1_: ; @_ZN7rocprim17ROCPRIM_400000_NS6detail17trampoline_kernelINS0_14default_configENS1_25partition_config_selectorILNS1_17partition_subalgoE8ElNS0_10empty_typeEbEEZZNS1_14partition_implILS5_8ELb0ES3_jPlPS6_PKS6_NS0_5tupleIJS9_S6_EEENSD_IJSA_SA_EEENS0_18inequality_wrapperIZN2at6native12_GLOBAL__N_124unique_dim_cuda_templateIlEESt5tupleIJNSH_6TensorESM_SM_EERKSM_lbbbEUlllE0_EEPmJS6_EEE10hipError_tPvRmT3_T4_T5_T6_T7_T9_mT8_P12ihipStream_tbDpT10_ENKUlT_T0_E_clISt17integral_constantIbLb0EES1B_IbLb1EEEEDaS17_S18_EUlS17_E_NS1_11comp_targetILNS1_3genE8ELNS1_11target_archE1030ELNS1_3gpuE2ELNS1_3repE0EEENS1_30default_config_static_selectorELNS0_4arch9wavefront6targetE1EEEvT1_
; %bb.0:
	.section	.rodata,"a",@progbits
	.p2align	6, 0x0
	.amdhsa_kernel _ZN7rocprim17ROCPRIM_400000_NS6detail17trampoline_kernelINS0_14default_configENS1_25partition_config_selectorILNS1_17partition_subalgoE8ElNS0_10empty_typeEbEEZZNS1_14partition_implILS5_8ELb0ES3_jPlPS6_PKS6_NS0_5tupleIJS9_S6_EEENSD_IJSA_SA_EEENS0_18inequality_wrapperIZN2at6native12_GLOBAL__N_124unique_dim_cuda_templateIlEESt5tupleIJNSH_6TensorESM_SM_EERKSM_lbbbEUlllE0_EEPmJS6_EEE10hipError_tPvRmT3_T4_T5_T6_T7_T9_mT8_P12ihipStream_tbDpT10_ENKUlT_T0_E_clISt17integral_constantIbLb0EES1B_IbLb1EEEEDaS17_S18_EUlS17_E_NS1_11comp_targetILNS1_3genE8ELNS1_11target_archE1030ELNS1_3gpuE2ELNS1_3repE0EEENS1_30default_config_static_selectorELNS0_4arch9wavefront6targetE1EEEvT1_
		.amdhsa_group_segment_fixed_size 0
		.amdhsa_private_segment_fixed_size 0
		.amdhsa_kernarg_size 136
		.amdhsa_user_sgpr_count 2
		.amdhsa_user_sgpr_dispatch_ptr 0
		.amdhsa_user_sgpr_queue_ptr 0
		.amdhsa_user_sgpr_kernarg_segment_ptr 1
		.amdhsa_user_sgpr_dispatch_id 0
		.amdhsa_user_sgpr_kernarg_preload_length 0
		.amdhsa_user_sgpr_kernarg_preload_offset 0
		.amdhsa_user_sgpr_private_segment_size 0
		.amdhsa_uses_dynamic_stack 0
		.amdhsa_enable_private_segment 0
		.amdhsa_system_sgpr_workgroup_id_x 1
		.amdhsa_system_sgpr_workgroup_id_y 0
		.amdhsa_system_sgpr_workgroup_id_z 0
		.amdhsa_system_sgpr_workgroup_info 0
		.amdhsa_system_vgpr_workitem_id 0
		.amdhsa_next_free_vgpr 1
		.amdhsa_next_free_sgpr 0
		.amdhsa_accum_offset 4
		.amdhsa_reserve_vcc 0
		.amdhsa_float_round_mode_32 0
		.amdhsa_float_round_mode_16_64 0
		.amdhsa_float_denorm_mode_32 3
		.amdhsa_float_denorm_mode_16_64 3
		.amdhsa_dx10_clamp 1
		.amdhsa_ieee_mode 1
		.amdhsa_fp16_overflow 0
		.amdhsa_tg_split 0
		.amdhsa_exception_fp_ieee_invalid_op 0
		.amdhsa_exception_fp_denorm_src 0
		.amdhsa_exception_fp_ieee_div_zero 0
		.amdhsa_exception_fp_ieee_overflow 0
		.amdhsa_exception_fp_ieee_underflow 0
		.amdhsa_exception_fp_ieee_inexact 0
		.amdhsa_exception_int_div_zero 0
	.end_amdhsa_kernel
	.section	.text._ZN7rocprim17ROCPRIM_400000_NS6detail17trampoline_kernelINS0_14default_configENS1_25partition_config_selectorILNS1_17partition_subalgoE8ElNS0_10empty_typeEbEEZZNS1_14partition_implILS5_8ELb0ES3_jPlPS6_PKS6_NS0_5tupleIJS9_S6_EEENSD_IJSA_SA_EEENS0_18inequality_wrapperIZN2at6native12_GLOBAL__N_124unique_dim_cuda_templateIlEESt5tupleIJNSH_6TensorESM_SM_EERKSM_lbbbEUlllE0_EEPmJS6_EEE10hipError_tPvRmT3_T4_T5_T6_T7_T9_mT8_P12ihipStream_tbDpT10_ENKUlT_T0_E_clISt17integral_constantIbLb0EES1B_IbLb1EEEEDaS17_S18_EUlS17_E_NS1_11comp_targetILNS1_3genE8ELNS1_11target_archE1030ELNS1_3gpuE2ELNS1_3repE0EEENS1_30default_config_static_selectorELNS0_4arch9wavefront6targetE1EEEvT1_,"axG",@progbits,_ZN7rocprim17ROCPRIM_400000_NS6detail17trampoline_kernelINS0_14default_configENS1_25partition_config_selectorILNS1_17partition_subalgoE8ElNS0_10empty_typeEbEEZZNS1_14partition_implILS5_8ELb0ES3_jPlPS6_PKS6_NS0_5tupleIJS9_S6_EEENSD_IJSA_SA_EEENS0_18inequality_wrapperIZN2at6native12_GLOBAL__N_124unique_dim_cuda_templateIlEESt5tupleIJNSH_6TensorESM_SM_EERKSM_lbbbEUlllE0_EEPmJS6_EEE10hipError_tPvRmT3_T4_T5_T6_T7_T9_mT8_P12ihipStream_tbDpT10_ENKUlT_T0_E_clISt17integral_constantIbLb0EES1B_IbLb1EEEEDaS17_S18_EUlS17_E_NS1_11comp_targetILNS1_3genE8ELNS1_11target_archE1030ELNS1_3gpuE2ELNS1_3repE0EEENS1_30default_config_static_selectorELNS0_4arch9wavefront6targetE1EEEvT1_,comdat
.Lfunc_end594:
	.size	_ZN7rocprim17ROCPRIM_400000_NS6detail17trampoline_kernelINS0_14default_configENS1_25partition_config_selectorILNS1_17partition_subalgoE8ElNS0_10empty_typeEbEEZZNS1_14partition_implILS5_8ELb0ES3_jPlPS6_PKS6_NS0_5tupleIJS9_S6_EEENSD_IJSA_SA_EEENS0_18inequality_wrapperIZN2at6native12_GLOBAL__N_124unique_dim_cuda_templateIlEESt5tupleIJNSH_6TensorESM_SM_EERKSM_lbbbEUlllE0_EEPmJS6_EEE10hipError_tPvRmT3_T4_T5_T6_T7_T9_mT8_P12ihipStream_tbDpT10_ENKUlT_T0_E_clISt17integral_constantIbLb0EES1B_IbLb1EEEEDaS17_S18_EUlS17_E_NS1_11comp_targetILNS1_3genE8ELNS1_11target_archE1030ELNS1_3gpuE2ELNS1_3repE0EEENS1_30default_config_static_selectorELNS0_4arch9wavefront6targetE1EEEvT1_, .Lfunc_end594-_ZN7rocprim17ROCPRIM_400000_NS6detail17trampoline_kernelINS0_14default_configENS1_25partition_config_selectorILNS1_17partition_subalgoE8ElNS0_10empty_typeEbEEZZNS1_14partition_implILS5_8ELb0ES3_jPlPS6_PKS6_NS0_5tupleIJS9_S6_EEENSD_IJSA_SA_EEENS0_18inequality_wrapperIZN2at6native12_GLOBAL__N_124unique_dim_cuda_templateIlEESt5tupleIJNSH_6TensorESM_SM_EERKSM_lbbbEUlllE0_EEPmJS6_EEE10hipError_tPvRmT3_T4_T5_T6_T7_T9_mT8_P12ihipStream_tbDpT10_ENKUlT_T0_E_clISt17integral_constantIbLb0EES1B_IbLb1EEEEDaS17_S18_EUlS17_E_NS1_11comp_targetILNS1_3genE8ELNS1_11target_archE1030ELNS1_3gpuE2ELNS1_3repE0EEENS1_30default_config_static_selectorELNS0_4arch9wavefront6targetE1EEEvT1_
                                        ; -- End function
	.set _ZN7rocprim17ROCPRIM_400000_NS6detail17trampoline_kernelINS0_14default_configENS1_25partition_config_selectorILNS1_17partition_subalgoE8ElNS0_10empty_typeEbEEZZNS1_14partition_implILS5_8ELb0ES3_jPlPS6_PKS6_NS0_5tupleIJS9_S6_EEENSD_IJSA_SA_EEENS0_18inequality_wrapperIZN2at6native12_GLOBAL__N_124unique_dim_cuda_templateIlEESt5tupleIJNSH_6TensorESM_SM_EERKSM_lbbbEUlllE0_EEPmJS6_EEE10hipError_tPvRmT3_T4_T5_T6_T7_T9_mT8_P12ihipStream_tbDpT10_ENKUlT_T0_E_clISt17integral_constantIbLb0EES1B_IbLb1EEEEDaS17_S18_EUlS17_E_NS1_11comp_targetILNS1_3genE8ELNS1_11target_archE1030ELNS1_3gpuE2ELNS1_3repE0EEENS1_30default_config_static_selectorELNS0_4arch9wavefront6targetE1EEEvT1_.num_vgpr, 0
	.set _ZN7rocprim17ROCPRIM_400000_NS6detail17trampoline_kernelINS0_14default_configENS1_25partition_config_selectorILNS1_17partition_subalgoE8ElNS0_10empty_typeEbEEZZNS1_14partition_implILS5_8ELb0ES3_jPlPS6_PKS6_NS0_5tupleIJS9_S6_EEENSD_IJSA_SA_EEENS0_18inequality_wrapperIZN2at6native12_GLOBAL__N_124unique_dim_cuda_templateIlEESt5tupleIJNSH_6TensorESM_SM_EERKSM_lbbbEUlllE0_EEPmJS6_EEE10hipError_tPvRmT3_T4_T5_T6_T7_T9_mT8_P12ihipStream_tbDpT10_ENKUlT_T0_E_clISt17integral_constantIbLb0EES1B_IbLb1EEEEDaS17_S18_EUlS17_E_NS1_11comp_targetILNS1_3genE8ELNS1_11target_archE1030ELNS1_3gpuE2ELNS1_3repE0EEENS1_30default_config_static_selectorELNS0_4arch9wavefront6targetE1EEEvT1_.num_agpr, 0
	.set _ZN7rocprim17ROCPRIM_400000_NS6detail17trampoline_kernelINS0_14default_configENS1_25partition_config_selectorILNS1_17partition_subalgoE8ElNS0_10empty_typeEbEEZZNS1_14partition_implILS5_8ELb0ES3_jPlPS6_PKS6_NS0_5tupleIJS9_S6_EEENSD_IJSA_SA_EEENS0_18inequality_wrapperIZN2at6native12_GLOBAL__N_124unique_dim_cuda_templateIlEESt5tupleIJNSH_6TensorESM_SM_EERKSM_lbbbEUlllE0_EEPmJS6_EEE10hipError_tPvRmT3_T4_T5_T6_T7_T9_mT8_P12ihipStream_tbDpT10_ENKUlT_T0_E_clISt17integral_constantIbLb0EES1B_IbLb1EEEEDaS17_S18_EUlS17_E_NS1_11comp_targetILNS1_3genE8ELNS1_11target_archE1030ELNS1_3gpuE2ELNS1_3repE0EEENS1_30default_config_static_selectorELNS0_4arch9wavefront6targetE1EEEvT1_.numbered_sgpr, 0
	.set _ZN7rocprim17ROCPRIM_400000_NS6detail17trampoline_kernelINS0_14default_configENS1_25partition_config_selectorILNS1_17partition_subalgoE8ElNS0_10empty_typeEbEEZZNS1_14partition_implILS5_8ELb0ES3_jPlPS6_PKS6_NS0_5tupleIJS9_S6_EEENSD_IJSA_SA_EEENS0_18inequality_wrapperIZN2at6native12_GLOBAL__N_124unique_dim_cuda_templateIlEESt5tupleIJNSH_6TensorESM_SM_EERKSM_lbbbEUlllE0_EEPmJS6_EEE10hipError_tPvRmT3_T4_T5_T6_T7_T9_mT8_P12ihipStream_tbDpT10_ENKUlT_T0_E_clISt17integral_constantIbLb0EES1B_IbLb1EEEEDaS17_S18_EUlS17_E_NS1_11comp_targetILNS1_3genE8ELNS1_11target_archE1030ELNS1_3gpuE2ELNS1_3repE0EEENS1_30default_config_static_selectorELNS0_4arch9wavefront6targetE1EEEvT1_.num_named_barrier, 0
	.set _ZN7rocprim17ROCPRIM_400000_NS6detail17trampoline_kernelINS0_14default_configENS1_25partition_config_selectorILNS1_17partition_subalgoE8ElNS0_10empty_typeEbEEZZNS1_14partition_implILS5_8ELb0ES3_jPlPS6_PKS6_NS0_5tupleIJS9_S6_EEENSD_IJSA_SA_EEENS0_18inequality_wrapperIZN2at6native12_GLOBAL__N_124unique_dim_cuda_templateIlEESt5tupleIJNSH_6TensorESM_SM_EERKSM_lbbbEUlllE0_EEPmJS6_EEE10hipError_tPvRmT3_T4_T5_T6_T7_T9_mT8_P12ihipStream_tbDpT10_ENKUlT_T0_E_clISt17integral_constantIbLb0EES1B_IbLb1EEEEDaS17_S18_EUlS17_E_NS1_11comp_targetILNS1_3genE8ELNS1_11target_archE1030ELNS1_3gpuE2ELNS1_3repE0EEENS1_30default_config_static_selectorELNS0_4arch9wavefront6targetE1EEEvT1_.private_seg_size, 0
	.set _ZN7rocprim17ROCPRIM_400000_NS6detail17trampoline_kernelINS0_14default_configENS1_25partition_config_selectorILNS1_17partition_subalgoE8ElNS0_10empty_typeEbEEZZNS1_14partition_implILS5_8ELb0ES3_jPlPS6_PKS6_NS0_5tupleIJS9_S6_EEENSD_IJSA_SA_EEENS0_18inequality_wrapperIZN2at6native12_GLOBAL__N_124unique_dim_cuda_templateIlEESt5tupleIJNSH_6TensorESM_SM_EERKSM_lbbbEUlllE0_EEPmJS6_EEE10hipError_tPvRmT3_T4_T5_T6_T7_T9_mT8_P12ihipStream_tbDpT10_ENKUlT_T0_E_clISt17integral_constantIbLb0EES1B_IbLb1EEEEDaS17_S18_EUlS17_E_NS1_11comp_targetILNS1_3genE8ELNS1_11target_archE1030ELNS1_3gpuE2ELNS1_3repE0EEENS1_30default_config_static_selectorELNS0_4arch9wavefront6targetE1EEEvT1_.uses_vcc, 0
	.set _ZN7rocprim17ROCPRIM_400000_NS6detail17trampoline_kernelINS0_14default_configENS1_25partition_config_selectorILNS1_17partition_subalgoE8ElNS0_10empty_typeEbEEZZNS1_14partition_implILS5_8ELb0ES3_jPlPS6_PKS6_NS0_5tupleIJS9_S6_EEENSD_IJSA_SA_EEENS0_18inequality_wrapperIZN2at6native12_GLOBAL__N_124unique_dim_cuda_templateIlEESt5tupleIJNSH_6TensorESM_SM_EERKSM_lbbbEUlllE0_EEPmJS6_EEE10hipError_tPvRmT3_T4_T5_T6_T7_T9_mT8_P12ihipStream_tbDpT10_ENKUlT_T0_E_clISt17integral_constantIbLb0EES1B_IbLb1EEEEDaS17_S18_EUlS17_E_NS1_11comp_targetILNS1_3genE8ELNS1_11target_archE1030ELNS1_3gpuE2ELNS1_3repE0EEENS1_30default_config_static_selectorELNS0_4arch9wavefront6targetE1EEEvT1_.uses_flat_scratch, 0
	.set _ZN7rocprim17ROCPRIM_400000_NS6detail17trampoline_kernelINS0_14default_configENS1_25partition_config_selectorILNS1_17partition_subalgoE8ElNS0_10empty_typeEbEEZZNS1_14partition_implILS5_8ELb0ES3_jPlPS6_PKS6_NS0_5tupleIJS9_S6_EEENSD_IJSA_SA_EEENS0_18inequality_wrapperIZN2at6native12_GLOBAL__N_124unique_dim_cuda_templateIlEESt5tupleIJNSH_6TensorESM_SM_EERKSM_lbbbEUlllE0_EEPmJS6_EEE10hipError_tPvRmT3_T4_T5_T6_T7_T9_mT8_P12ihipStream_tbDpT10_ENKUlT_T0_E_clISt17integral_constantIbLb0EES1B_IbLb1EEEEDaS17_S18_EUlS17_E_NS1_11comp_targetILNS1_3genE8ELNS1_11target_archE1030ELNS1_3gpuE2ELNS1_3repE0EEENS1_30default_config_static_selectorELNS0_4arch9wavefront6targetE1EEEvT1_.has_dyn_sized_stack, 0
	.set _ZN7rocprim17ROCPRIM_400000_NS6detail17trampoline_kernelINS0_14default_configENS1_25partition_config_selectorILNS1_17partition_subalgoE8ElNS0_10empty_typeEbEEZZNS1_14partition_implILS5_8ELb0ES3_jPlPS6_PKS6_NS0_5tupleIJS9_S6_EEENSD_IJSA_SA_EEENS0_18inequality_wrapperIZN2at6native12_GLOBAL__N_124unique_dim_cuda_templateIlEESt5tupleIJNSH_6TensorESM_SM_EERKSM_lbbbEUlllE0_EEPmJS6_EEE10hipError_tPvRmT3_T4_T5_T6_T7_T9_mT8_P12ihipStream_tbDpT10_ENKUlT_T0_E_clISt17integral_constantIbLb0EES1B_IbLb1EEEEDaS17_S18_EUlS17_E_NS1_11comp_targetILNS1_3genE8ELNS1_11target_archE1030ELNS1_3gpuE2ELNS1_3repE0EEENS1_30default_config_static_selectorELNS0_4arch9wavefront6targetE1EEEvT1_.has_recursion, 0
	.set _ZN7rocprim17ROCPRIM_400000_NS6detail17trampoline_kernelINS0_14default_configENS1_25partition_config_selectorILNS1_17partition_subalgoE8ElNS0_10empty_typeEbEEZZNS1_14partition_implILS5_8ELb0ES3_jPlPS6_PKS6_NS0_5tupleIJS9_S6_EEENSD_IJSA_SA_EEENS0_18inequality_wrapperIZN2at6native12_GLOBAL__N_124unique_dim_cuda_templateIlEESt5tupleIJNSH_6TensorESM_SM_EERKSM_lbbbEUlllE0_EEPmJS6_EEE10hipError_tPvRmT3_T4_T5_T6_T7_T9_mT8_P12ihipStream_tbDpT10_ENKUlT_T0_E_clISt17integral_constantIbLb0EES1B_IbLb1EEEEDaS17_S18_EUlS17_E_NS1_11comp_targetILNS1_3genE8ELNS1_11target_archE1030ELNS1_3gpuE2ELNS1_3repE0EEENS1_30default_config_static_selectorELNS0_4arch9wavefront6targetE1EEEvT1_.has_indirect_call, 0
	.section	.AMDGPU.csdata,"",@progbits
; Kernel info:
; codeLenInByte = 0
; TotalNumSgprs: 6
; NumVgprs: 0
; NumAgprs: 0
; TotalNumVgprs: 0
; ScratchSize: 0
; MemoryBound: 0
; FloatMode: 240
; IeeeMode: 1
; LDSByteSize: 0 bytes/workgroup (compile time only)
; SGPRBlocks: 0
; VGPRBlocks: 0
; NumSGPRsForWavesPerEU: 6
; NumVGPRsForWavesPerEU: 1
; AccumOffset: 4
; Occupancy: 8
; WaveLimiterHint : 0
; COMPUTE_PGM_RSRC2:SCRATCH_EN: 0
; COMPUTE_PGM_RSRC2:USER_SGPR: 2
; COMPUTE_PGM_RSRC2:TRAP_HANDLER: 0
; COMPUTE_PGM_RSRC2:TGID_X_EN: 1
; COMPUTE_PGM_RSRC2:TGID_Y_EN: 0
; COMPUTE_PGM_RSRC2:TGID_Z_EN: 0
; COMPUTE_PGM_RSRC2:TIDIG_COMP_CNT: 0
; COMPUTE_PGM_RSRC3_GFX90A:ACCUM_OFFSET: 0
; COMPUTE_PGM_RSRC3_GFX90A:TG_SPLIT: 0
	.section	.text._ZN7rocprim17ROCPRIM_400000_NS6detail17trampoline_kernelINS0_14default_configENS1_25partition_config_selectorILNS1_17partition_subalgoE9EllbEEZZNS1_14partition_implILS5_9ELb0ES3_jPlS8_PNS0_10empty_typeENS0_5tupleIJS8_S9_EEENSB_IJS8_SA_EEENS0_18inequality_wrapperIZN2at6native12_GLOBAL__N_124unique_dim_cuda_templateIlEESt5tupleIJNSF_6TensorESK_SK_EERKSK_lbbbEUlllE0_EEPmJS9_EEE10hipError_tPvRmT3_T4_T5_T6_T7_T9_mT8_P12ihipStream_tbDpT10_ENKUlT_T0_E_clISt17integral_constantIbLb0EES1A_EEDaS15_S16_EUlS15_E_NS1_11comp_targetILNS1_3genE0ELNS1_11target_archE4294967295ELNS1_3gpuE0ELNS1_3repE0EEENS1_30default_config_static_selectorELNS0_4arch9wavefront6targetE1EEEvT1_,"axG",@progbits,_ZN7rocprim17ROCPRIM_400000_NS6detail17trampoline_kernelINS0_14default_configENS1_25partition_config_selectorILNS1_17partition_subalgoE9EllbEEZZNS1_14partition_implILS5_9ELb0ES3_jPlS8_PNS0_10empty_typeENS0_5tupleIJS8_S9_EEENSB_IJS8_SA_EEENS0_18inequality_wrapperIZN2at6native12_GLOBAL__N_124unique_dim_cuda_templateIlEESt5tupleIJNSF_6TensorESK_SK_EERKSK_lbbbEUlllE0_EEPmJS9_EEE10hipError_tPvRmT3_T4_T5_T6_T7_T9_mT8_P12ihipStream_tbDpT10_ENKUlT_T0_E_clISt17integral_constantIbLb0EES1A_EEDaS15_S16_EUlS15_E_NS1_11comp_targetILNS1_3genE0ELNS1_11target_archE4294967295ELNS1_3gpuE0ELNS1_3repE0EEENS1_30default_config_static_selectorELNS0_4arch9wavefront6targetE1EEEvT1_,comdat
	.globl	_ZN7rocprim17ROCPRIM_400000_NS6detail17trampoline_kernelINS0_14default_configENS1_25partition_config_selectorILNS1_17partition_subalgoE9EllbEEZZNS1_14partition_implILS5_9ELb0ES3_jPlS8_PNS0_10empty_typeENS0_5tupleIJS8_S9_EEENSB_IJS8_SA_EEENS0_18inequality_wrapperIZN2at6native12_GLOBAL__N_124unique_dim_cuda_templateIlEESt5tupleIJNSF_6TensorESK_SK_EERKSK_lbbbEUlllE0_EEPmJS9_EEE10hipError_tPvRmT3_T4_T5_T6_T7_T9_mT8_P12ihipStream_tbDpT10_ENKUlT_T0_E_clISt17integral_constantIbLb0EES1A_EEDaS15_S16_EUlS15_E_NS1_11comp_targetILNS1_3genE0ELNS1_11target_archE4294967295ELNS1_3gpuE0ELNS1_3repE0EEENS1_30default_config_static_selectorELNS0_4arch9wavefront6targetE1EEEvT1_ ; -- Begin function _ZN7rocprim17ROCPRIM_400000_NS6detail17trampoline_kernelINS0_14default_configENS1_25partition_config_selectorILNS1_17partition_subalgoE9EllbEEZZNS1_14partition_implILS5_9ELb0ES3_jPlS8_PNS0_10empty_typeENS0_5tupleIJS8_S9_EEENSB_IJS8_SA_EEENS0_18inequality_wrapperIZN2at6native12_GLOBAL__N_124unique_dim_cuda_templateIlEESt5tupleIJNSF_6TensorESK_SK_EERKSK_lbbbEUlllE0_EEPmJS9_EEE10hipError_tPvRmT3_T4_T5_T6_T7_T9_mT8_P12ihipStream_tbDpT10_ENKUlT_T0_E_clISt17integral_constantIbLb0EES1A_EEDaS15_S16_EUlS15_E_NS1_11comp_targetILNS1_3genE0ELNS1_11target_archE4294967295ELNS1_3gpuE0ELNS1_3repE0EEENS1_30default_config_static_selectorELNS0_4arch9wavefront6targetE1EEEvT1_
	.p2align	8
	.type	_ZN7rocprim17ROCPRIM_400000_NS6detail17trampoline_kernelINS0_14default_configENS1_25partition_config_selectorILNS1_17partition_subalgoE9EllbEEZZNS1_14partition_implILS5_9ELb0ES3_jPlS8_PNS0_10empty_typeENS0_5tupleIJS8_S9_EEENSB_IJS8_SA_EEENS0_18inequality_wrapperIZN2at6native12_GLOBAL__N_124unique_dim_cuda_templateIlEESt5tupleIJNSF_6TensorESK_SK_EERKSK_lbbbEUlllE0_EEPmJS9_EEE10hipError_tPvRmT3_T4_T5_T6_T7_T9_mT8_P12ihipStream_tbDpT10_ENKUlT_T0_E_clISt17integral_constantIbLb0EES1A_EEDaS15_S16_EUlS15_E_NS1_11comp_targetILNS1_3genE0ELNS1_11target_archE4294967295ELNS1_3gpuE0ELNS1_3repE0EEENS1_30default_config_static_selectorELNS0_4arch9wavefront6targetE1EEEvT1_,@function
_ZN7rocprim17ROCPRIM_400000_NS6detail17trampoline_kernelINS0_14default_configENS1_25partition_config_selectorILNS1_17partition_subalgoE9EllbEEZZNS1_14partition_implILS5_9ELb0ES3_jPlS8_PNS0_10empty_typeENS0_5tupleIJS8_S9_EEENSB_IJS8_SA_EEENS0_18inequality_wrapperIZN2at6native12_GLOBAL__N_124unique_dim_cuda_templateIlEESt5tupleIJNSF_6TensorESK_SK_EERKSK_lbbbEUlllE0_EEPmJS9_EEE10hipError_tPvRmT3_T4_T5_T6_T7_T9_mT8_P12ihipStream_tbDpT10_ENKUlT_T0_E_clISt17integral_constantIbLb0EES1A_EEDaS15_S16_EUlS15_E_NS1_11comp_targetILNS1_3genE0ELNS1_11target_archE4294967295ELNS1_3gpuE0ELNS1_3repE0EEENS1_30default_config_static_selectorELNS0_4arch9wavefront6targetE1EEEvT1_: ; @_ZN7rocprim17ROCPRIM_400000_NS6detail17trampoline_kernelINS0_14default_configENS1_25partition_config_selectorILNS1_17partition_subalgoE9EllbEEZZNS1_14partition_implILS5_9ELb0ES3_jPlS8_PNS0_10empty_typeENS0_5tupleIJS8_S9_EEENSB_IJS8_SA_EEENS0_18inequality_wrapperIZN2at6native12_GLOBAL__N_124unique_dim_cuda_templateIlEESt5tupleIJNSF_6TensorESK_SK_EERKSK_lbbbEUlllE0_EEPmJS9_EEE10hipError_tPvRmT3_T4_T5_T6_T7_T9_mT8_P12ihipStream_tbDpT10_ENKUlT_T0_E_clISt17integral_constantIbLb0EES1A_EEDaS15_S16_EUlS15_E_NS1_11comp_targetILNS1_3genE0ELNS1_11target_archE4294967295ELNS1_3gpuE0ELNS1_3repE0EEENS1_30default_config_static_selectorELNS0_4arch9wavefront6targetE1EEEvT1_
; %bb.0:
	s_load_dwordx4 s[4:7], s[0:1], 0x8
	s_load_dwordx2 s[10:11], s[0:1], 0x18
	s_load_dwordx8 s[24:31], s[0:1], 0x40
	s_load_dword s3, s[0:1], 0x70
	s_mul_i32 s12, s2, 0x280
	s_waitcnt lgkmcnt(0)
	s_lshl_b64 s[14:15], s[6:7], 3
	s_add_u32 s18, s4, s14
	s_addc_u32 s19, s5, s15
	s_mul_i32 s4, s3, 0x280
	s_add_i32 s8, s3, -1
	s_add_i32 s3, s4, s6
	s_sub_i32 s3, s28, s3
	s_addk_i32 s3, 0x280
	s_add_u32 s4, s6, s4
	s_addc_u32 s5, s7, 0
	v_mov_b64_e32 v[2:3], s[4:5]
	s_cmp_eq_u32 s2, s8
	s_load_dwordx2 s[26:27], s[26:27], 0x0
	v_cmp_le_u64_e32 vcc, s[28:29], v[2:3]
	s_cselect_b64 s[28:29], -1, 0
	s_mov_b32 s13, 0
	s_and_b64 s[8:9], s[28:29], vcc
	s_xor_b64 s[34:35], s[8:9], -1
	s_lshl_b64 s[16:17], s[12:13], 3
	s_add_u32 s12, s18, s16
	s_mov_b64 s[4:5], -1
	s_addc_u32 s13, s19, s17
	s_and_b64 vcc, exec, s[34:35]
	v_lshlrev_b32_e32 v1, 3, v0
	s_cbranch_vccz .LBB595_2
; %bb.1:
	v_lshlrev_b32_e32 v2, 3, v0
	v_mov_b32_e32 v3, 0
	v_lshl_add_u64 v[4:5], s[12:13], 0, v[2:3]
	v_add_co_u32_e32 v4, vcc, 0x1000, v4
	global_load_dwordx2 v[6:7], v2, s[12:13] offset:3072
	s_nop 0
	v_addc_co_u32_e32 v5, vcc, 0, v5, vcc
	global_load_dwordx2 v[8:9], v2, s[12:13]
	global_load_dwordx2 v[10:11], v2, s[12:13] offset:1024
	global_load_dwordx2 v[12:13], v2, s[12:13] offset:2048
	global_load_dwordx2 v[14:15], v[4:5], off
	s_mov_b64 s[4:5], 0
	s_waitcnt vmcnt(2)
	ds_write2st64_b64 v2, v[8:9], v[10:11] offset1:2
	s_waitcnt vmcnt(1)
	ds_write2st64_b64 v2, v[12:13], v[6:7] offset0:4 offset1:6
	s_waitcnt vmcnt(0)
	ds_write_b64 v2, v[14:15] offset:4096
	s_waitcnt lgkmcnt(0)
	s_barrier
.LBB595_2:
	s_load_dwordx4 s[20:23], s[0:1], 0x60
	s_andn2_b64 vcc, exec, s[4:5]
	v_cmp_gt_u32_e64 s[4:5], s3, v0
	s_cbranch_vccnz .LBB595_14
; %bb.3:
	v_mov_b32_e32 v2, 0
	v_mov_b32_e32 v3, v2
	;; [unrolled: 1-line block ×10, first 2 shown]
	s_and_saveexec_b64 s[18:19], s[4:5]
	s_cbranch_execz .LBB595_5
; %bb.4:
	v_lshlrev_b32_e32 v3, 3, v0
	global_load_dwordx2 v[4:5], v3, s[12:13]
	v_mov_b32_e32 v6, v2
	v_mov_b32_e32 v7, v2
	;; [unrolled: 1-line block ×8, first 2 shown]
	s_waitcnt vmcnt(0)
	v_mov_b64_e32 v[2:3], v[4:5]
	v_mov_b64_e32 v[4:5], v[6:7]
	;; [unrolled: 1-line block ×8, first 2 shown]
.LBB595_5:
	s_or_b64 exec, exec, s[18:19]
	v_or_b32_e32 v12, 0x80, v0
	v_cmp_gt_u32_e32 vcc, s3, v12
	s_and_saveexec_b64 s[4:5], vcc
	s_cbranch_execz .LBB595_7
; %bb.6:
	v_lshlrev_b32_e32 v4, 3, v0
	global_load_dwordx2 v[4:5], v4, s[12:13] offset:1024
.LBB595_7:
	s_or_b64 exec, exec, s[4:5]
	v_or_b32_e32 v12, 0x100, v0
	v_cmp_gt_u32_e32 vcc, s3, v12
	s_and_saveexec_b64 s[4:5], vcc
	s_cbranch_execz .LBB595_9
; %bb.8:
	v_lshlrev_b32_e32 v6, 3, v0
	global_load_dwordx2 v[6:7], v6, s[12:13] offset:2048
.LBB595_9:
	;; [unrolled: 9-line block ×3, first 2 shown]
	s_or_b64 exec, exec, s[4:5]
	v_or_b32_e32 v12, 0x200, v0
	v_cmp_gt_u32_e32 vcc, s3, v12
	s_and_saveexec_b64 s[4:5], vcc
	s_cbranch_execz .LBB595_13
; %bb.12:
	v_lshlrev_b32_e32 v10, 3, v12
	global_load_dwordx2 v[10:11], v10, s[12:13]
.LBB595_13:
	s_or_b64 exec, exec, s[4:5]
	v_lshlrev_b32_e32 v12, 3, v0
	s_waitcnt vmcnt(0)
	ds_write2st64_b64 v12, v[2:3], v[4:5] offset1:2
	ds_write2st64_b64 v12, v[6:7], v[8:9] offset0:4 offset1:6
	ds_write_b64 v12, v[10:11] offset:4096
	s_waitcnt lgkmcnt(0)
	s_barrier
.LBB595_14:
	v_mul_u32_u24_e32 v22, 5, v0
	v_lshlrev_b32_e32 v20, 3, v22
	s_waitcnt lgkmcnt(0)
	ds_read2_b64 v[6:9], v20 offset1:1
	ds_read2_b64 v[2:5], v20 offset0:2 offset1:3
	ds_read_b64 v[12:13], v20 offset:32
	s_add_u32 s4, s10, s14
	s_addc_u32 s5, s11, s15
	s_add_u32 s4, s4, s16
	s_addc_u32 s5, s5, s17
	s_mov_b64 s[10:11], -1
	s_and_b64 vcc, exec, s[34:35]
	s_waitcnt lgkmcnt(0)
	s_barrier
	s_cbranch_vccz .LBB595_16
; %bb.15:
	v_lshlrev_b32_e32 v10, 3, v0
	v_mov_b32_e32 v11, 0
	v_lshl_add_u64 v[14:15], s[4:5], 0, v[10:11]
	v_add_co_u32_e32 v14, vcc, 0x1000, v14
	global_load_dwordx2 v[16:17], v10, s[4:5] offset:3072
	s_nop 0
	v_addc_co_u32_e32 v15, vcc, 0, v15, vcc
	global_load_dwordx2 v[18:19], v10, s[4:5]
	global_load_dwordx2 v[24:25], v10, s[4:5] offset:1024
	global_load_dwordx2 v[26:27], v10, s[4:5] offset:2048
	global_load_dwordx2 v[28:29], v[14:15], off
	s_mov_b64 s[10:11], 0
	s_waitcnt vmcnt(2)
	ds_write2st64_b64 v10, v[18:19], v[24:25] offset1:2
	s_waitcnt vmcnt(1)
	ds_write2st64_b64 v10, v[26:27], v[16:17] offset0:4 offset1:6
	s_waitcnt vmcnt(0)
	ds_write_b64 v10, v[28:29] offset:4096
	s_waitcnt lgkmcnt(0)
	s_barrier
.LBB595_16:
	s_andn2_b64 vcc, exec, s[10:11]
	s_cbranch_vccnz .LBB595_28
; %bb.17:
	v_cmp_gt_u32_e32 vcc, s3, v0
                                        ; implicit-def: $vgpr10_vgpr11
	s_and_saveexec_b64 s[10:11], vcc
	s_cbranch_execz .LBB595_19
; %bb.18:
	v_lshlrev_b32_e32 v10, 3, v0
	global_load_dwordx2 v[10:11], v10, s[4:5]
.LBB595_19:
	s_or_b64 exec, exec, s[10:11]
	v_or_b32_e32 v14, 0x80, v0
	v_cmp_gt_u32_e32 vcc, s3, v14
                                        ; implicit-def: $vgpr14_vgpr15
	s_and_saveexec_b64 s[10:11], vcc
	s_cbranch_execz .LBB595_21
; %bb.20:
	v_lshlrev_b32_e32 v14, 3, v0
	global_load_dwordx2 v[14:15], v14, s[4:5] offset:1024
.LBB595_21:
	s_or_b64 exec, exec, s[10:11]
	v_or_b32_e32 v16, 0x100, v0
	v_cmp_gt_u32_e32 vcc, s3, v16
                                        ; implicit-def: $vgpr16_vgpr17
	s_and_saveexec_b64 s[10:11], vcc
	s_cbranch_execz .LBB595_23
; %bb.22:
	v_lshlrev_b32_e32 v16, 3, v0
	global_load_dwordx2 v[16:17], v16, s[4:5] offset:2048
.LBB595_23:
	s_or_b64 exec, exec, s[10:11]
	v_or_b32_e32 v18, 0x180, v0
	v_cmp_gt_u32_e32 vcc, s3, v18
                                        ; implicit-def: $vgpr18_vgpr19
	s_and_saveexec_b64 s[10:11], vcc
	s_cbranch_execz .LBB595_25
; %bb.24:
	v_lshlrev_b32_e32 v18, 3, v0
	global_load_dwordx2 v[18:19], v18, s[4:5] offset:3072
.LBB595_25:
	s_or_b64 exec, exec, s[10:11]
	v_or_b32_e32 v21, 0x200, v0
	v_cmp_gt_u32_e32 vcc, s3, v21
                                        ; implicit-def: $vgpr24_vgpr25
	s_and_saveexec_b64 s[10:11], vcc
	s_cbranch_execz .LBB595_27
; %bb.26:
	v_lshlrev_b32_e32 v21, 3, v21
	global_load_dwordx2 v[24:25], v21, s[4:5]
.LBB595_27:
	s_or_b64 exec, exec, s[10:11]
	v_lshlrev_b32_e32 v21, 5, v0
	v_sub_u32_e32 v21, v20, v21
	s_waitcnt vmcnt(0)
	ds_write2st64_b64 v21, v[10:11], v[14:15] offset1:2
	ds_write2st64_b64 v21, v[16:17], v[18:19] offset0:4 offset1:6
	ds_write_b64 v21, v[24:25] offset:4096
	s_waitcnt lgkmcnt(0)
	s_barrier
.LBB595_28:
	ds_read_b64 v[10:11], v20 offset:32
	ds_read2_b64 v[52:55], v20 offset0:2 offset1:3
	ds_read2_b64 v[56:59], v20 offset1:1
	s_cmp_lg_u32 s2, 0
	s_cselect_b64 s[16:17], -1, 0
	s_cmp_lg_u64 s[6:7], 0
	s_cselect_b64 s[4:5], -1, 0
	s_or_b64 s[4:5], s[16:17], s[4:5]
	s_mov_b64 s[10:11], 0
	s_and_b64 vcc, exec, s[4:5]
	v_cmp_gt_i64_e64 s[4:5], s[30:31], 0
	s_waitcnt lgkmcnt(0)
	s_barrier
	s_cbranch_vccz .LBB595_40
; %bb.29:
	s_add_u32 s6, s12, -8
	s_addc_u32 s7, s13, -1
	s_load_dwordx2 s[10:11], s[6:7], 0x0
	v_cndmask_b32_e64 v14, 0, 1, s[4:5]
	v_lshlrev_b32_e32 v21, 3, v0
	s_mov_b64 s[6:7], 0
	s_and_b64 vcc, exec, s[34:35]
	v_cmp_ne_u32_e64 s[4:5], 1, v14
	ds_write_b64 v21, v[12:13]
	s_cbranch_vccz .LBB595_42
; %bb.30:
	s_and_b64 vcc, exec, s[4:5]
	s_cbranch_vccnz .LBB595_43
; %bb.31:
	v_mul_lo_u32 v16, v5, s30
	v_mul_lo_u32 v17, v4, s31
	v_mad_u64_u32 v[14:15], s[6:7], v4, s30, 0
	v_add3_u32 v15, v15, v17, v16
	v_mul_lo_u32 v18, v13, s30
	v_mul_lo_u32 v19, v12, s31
	v_mad_u64_u32 v[16:17], s[6:7], v12, s30, 0
	s_add_u32 s14, s30, -1
	v_lshl_add_u64 v[14:15], v[14:15], 3, s[20:21]
	v_add3_u32 v17, v17, v19, v18
	s_addc_u32 s15, s31, -1
	v_lshl_add_u64 v[16:17], v[16:17], 3, s[20:21]
	s_mov_b64 s[18:19], 0
	s_mov_b64 s[36:37], s[14:15]
	v_mov_b64_e32 v[18:19], v[14:15]
                                        ; implicit-def: $sgpr12_sgpr13
.LBB595_32:                             ; =>This Inner Loop Header: Depth=1
	global_load_dwordx2 v[24:25], v[18:19], off
	global_load_dwordx2 v[26:27], v[16:17], off
	s_add_u32 s6, s36, -1
	s_addc_u32 s7, s37, -1
	s_cmp_eq_u64 s[36:37], 0
	s_mov_b64 s[36:37], s[6:7]
	s_cselect_b64 s[38:39], -1, 0
	v_lshl_add_u64 v[18:19], v[18:19], 0, 8
	v_lshl_add_u64 v[16:17], v[16:17], 0, 8
	s_waitcnt vmcnt(0)
	v_cmp_ne_u64_e64 s[6:7], v[24:25], v[26:27]
	s_or_b64 s[6:7], s[6:7], s[38:39]
	s_and_b64 s[6:7], exec, s[6:7]
	v_cmp_eq_u64_e32 vcc, v[24:25], v[26:27]
	s_or_b64 s[18:19], s[6:7], s[18:19]
	s_andn2_b64 s[6:7], s[12:13], exec
	s_and_b64 s[12:13], vcc, exec
	s_or_b64 s[12:13], s[6:7], s[12:13]
	s_andn2_b64 exec, exec, s[18:19]
	s_cbranch_execnz .LBB595_32
; %bb.33:
	s_or_b64 exec, exec, s[18:19]
	v_mul_lo_u32 v18, v3, s30
	v_mul_lo_u32 v19, v2, s31
	v_mad_u64_u32 v[16:17], s[6:7], v2, s30, 0
	v_add3_u32 v17, v17, v19, v18
	v_lshl_add_u64 v[16:17], v[16:17], 3, s[20:21]
	s_mov_b64 s[36:37], 0
	s_mov_b64 s[38:39], s[14:15]
	v_mov_b64_e32 v[18:19], v[16:17]
                                        ; implicit-def: $sgpr18_sgpr19
.LBB595_34:                             ; =>This Inner Loop Header: Depth=1
	global_load_dwordx2 v[24:25], v[18:19], off
	global_load_dwordx2 v[26:27], v[14:15], off
	s_add_u32 s6, s38, -1
	s_addc_u32 s7, s39, -1
	s_cmp_eq_u64 s[38:39], 0
	s_mov_b64 s[38:39], s[6:7]
	s_cselect_b64 s[40:41], -1, 0
	v_lshl_add_u64 v[18:19], v[18:19], 0, 8
	v_lshl_add_u64 v[14:15], v[14:15], 0, 8
	s_waitcnt vmcnt(0)
	v_cmp_ne_u64_e64 s[6:7], v[24:25], v[26:27]
	s_or_b64 s[6:7], s[6:7], s[40:41]
	s_and_b64 s[6:7], exec, s[6:7]
	v_cmp_eq_u64_e32 vcc, v[24:25], v[26:27]
	s_or_b64 s[36:37], s[6:7], s[36:37]
	s_andn2_b64 s[6:7], s[18:19], exec
	s_and_b64 s[18:19], vcc, exec
	s_or_b64 s[18:19], s[6:7], s[18:19]
	s_andn2_b64 exec, exec, s[36:37]
	s_cbranch_execnz .LBB595_34
; %bb.35:
	s_or_b64 exec, exec, s[36:37]
	v_mul_lo_u32 v18, v9, s30
	v_mul_lo_u32 v19, v8, s31
	v_mad_u64_u32 v[14:15], s[6:7], v8, s30, 0
	v_add3_u32 v15, v15, v19, v18
	v_lshl_add_u64 v[14:15], v[14:15], 3, s[20:21]
	s_mov_b64 s[38:39], 0
	s_mov_b64 s[40:41], s[14:15]
	v_mov_b64_e32 v[18:19], v[14:15]
                                        ; implicit-def: $sgpr36_sgpr37
.LBB595_36:                             ; =>This Inner Loop Header: Depth=1
	global_load_dwordx2 v[24:25], v[18:19], off
	global_load_dwordx2 v[26:27], v[16:17], off
	s_add_u32 s6, s40, -1
	s_addc_u32 s7, s41, -1
	s_cmp_eq_u64 s[40:41], 0
	s_mov_b64 s[40:41], s[6:7]
	s_cselect_b64 s[42:43], -1, 0
	v_lshl_add_u64 v[18:19], v[18:19], 0, 8
	v_lshl_add_u64 v[16:17], v[16:17], 0, 8
	s_waitcnt vmcnt(0)
	v_cmp_ne_u64_e64 s[6:7], v[24:25], v[26:27]
	s_or_b64 s[6:7], s[6:7], s[42:43]
	s_and_b64 s[6:7], exec, s[6:7]
	v_cmp_eq_u64_e32 vcc, v[24:25], v[26:27]
	s_or_b64 s[38:39], s[6:7], s[38:39]
	s_andn2_b64 s[6:7], s[36:37], exec
	s_and_b64 s[36:37], vcc, exec
	s_or_b64 s[36:37], s[6:7], s[36:37]
	s_andn2_b64 exec, exec, s[38:39]
	s_cbranch_execnz .LBB595_36
; %bb.37:
	s_or_b64 exec, exec, s[38:39]
	v_mul_lo_u32 v18, v7, s30
	v_mul_lo_u32 v19, v6, s31
	v_mad_u64_u32 v[16:17], s[6:7], v6, s30, 0
	v_add3_u32 v17, v17, v19, v18
	v_lshl_add_u64 v[16:17], v[16:17], 3, s[20:21]
	s_mov_b64 s[40:41], 0
                                        ; implicit-def: $sgpr38_sgpr39
.LBB595_38:                             ; =>This Inner Loop Header: Depth=1
	global_load_dwordx2 v[18:19], v[16:17], off
	global_load_dwordx2 v[24:25], v[14:15], off
	s_add_u32 s6, s14, -1
	s_addc_u32 s7, s15, -1
	s_cmp_eq_u64 s[14:15], 0
	s_mov_b64 s[14:15], s[6:7]
	s_cselect_b64 s[42:43], -1, 0
	v_lshl_add_u64 v[16:17], v[16:17], 0, 8
	v_lshl_add_u64 v[14:15], v[14:15], 0, 8
	s_waitcnt vmcnt(0)
	v_cmp_ne_u64_e64 s[6:7], v[18:19], v[24:25]
	s_or_b64 s[6:7], s[6:7], s[42:43]
	s_and_b64 s[6:7], exec, s[6:7]
	v_cmp_eq_u64_e32 vcc, v[18:19], v[24:25]
	s_or_b64 s[40:41], s[6:7], s[40:41]
	s_andn2_b64 s[6:7], s[38:39], exec
	s_and_b64 s[38:39], vcc, exec
	s_or_b64 s[38:39], s[6:7], s[38:39]
	s_andn2_b64 exec, exec, s[40:41]
	s_cbranch_execnz .LBB595_38
; %bb.39:
	s_or_b64 exec, exec, s[40:41]
	s_xor_b64 s[6:7], s[12:13], -1
	v_cndmask_b32_e64 v32, 0, 1, s[6:7]
	s_xor_b64 s[6:7], s[18:19], -1
	v_cndmask_b32_e64 v14, 0, 1, s[6:7]
	v_lshlrev_b16_e32 v14, 8, v14
	v_mov_b32_e32 v15, 8
	s_xor_b64 s[12:13], s[36:37], -1
	v_lshrrev_b32_sdwa v14, v15, v14 dst_sel:BYTE_1 dst_unused:UNUSED_PAD src0_sel:DWORD src1_sel:DWORD
	v_cndmask_b32_e64 v15, 0, 1, s[12:13]
	s_xor_b64 s[6:7], s[38:39], -1
	v_or_b32_sdwa v16, v15, v14 dst_sel:WORD_1 dst_unused:UNUSED_PAD src0_sel:DWORD src1_sel:DWORD
	s_branch .LBB595_44
.LBB595_40:
                                        ; implicit-def: $sgpr6_sgpr7
                                        ; implicit-def: $vgpr32
                                        ; implicit-def: $vgpr15
	s_branch .LBB595_85
.LBB595_41:
                                        ; implicit-def: $vgpr16
                                        ; implicit-def: $vgpr34
                                        ; implicit-def: $vgpr33
                                        ; implicit-def: $vgpr14
	s_branch .LBB595_138
.LBB595_42:
                                        ; implicit-def: $sgpr6_sgpr7
                                        ; implicit-def: $vgpr32
                                        ; implicit-def: $vgpr15
	s_cbranch_execnz .LBB595_51
	s_branch .LBB595_84
.LBB595_43:
	v_mov_b32_e32 v16, 0
	v_mov_b32_e32 v32, 0
.LBB595_44:
	v_cmp_ne_u32_e32 vcc, 0, v0
	s_waitcnt lgkmcnt(0)
	v_mov_b64_e32 v[14:15], s[10:11]
	s_barrier
	s_and_saveexec_b64 s[12:13], vcc
; %bb.45:
	v_add_u32_e32 v14, -8, v21
	ds_read_b64 v[14:15], v14
; %bb.46:
	s_or_b64 exec, exec, s[12:13]
	v_cndmask_b32_e64 v17, 0, 1, s[6:7]
	v_lshrrev_b32_e32 v18, 16, v16
	s_mov_b32 s6, 0xc0c0304
	v_perm_b32 v18, v18, v16, s6
	v_lshlrev_b16_e32 v17, 8, v17
	s_movk_i32 s6, 0xff
	v_bitop3_b16 v16, v16, v17, s6 bitop3:0xec
	v_and_b32_e32 v19, 0xffff, v16
	s_mov_b64 s[12:13], 0
	s_and_b64 vcc, exec, s[4:5]
	s_mov_b64 s[6:7], 0
	s_cbranch_vccnz .LBB595_50
; %bb.47:
	s_waitcnt lgkmcnt(0)
	v_mul_lo_u32 v16, v15, s30
	v_mul_lo_u32 v17, v14, s31
	v_mad_u64_u32 v[14:15], s[6:7], v14, s30, 0
	v_add3_u32 v15, v15, v17, v16
	v_mul_lo_u32 v23, v7, s30
	v_mul_lo_u32 v24, v6, s31
	v_mad_u64_u32 v[16:17], s[6:7], v6, s30, 0
	v_add3_u32 v17, v17, v24, v23
	s_add_u32 s36, s30, -1
	v_lshl_add_u64 v[14:15], v[14:15], 3, s[20:21]
	v_lshl_add_u64 v[16:17], v[16:17], 3, s[20:21]
	s_addc_u32 s37, s31, -1
	s_mov_b64 s[14:15], 0
                                        ; implicit-def: $sgpr18_sgpr19
.LBB595_48:                             ; =>This Inner Loop Header: Depth=1
	global_load_dwordx2 v[24:25], v[14:15], off
	global_load_dwordx2 v[26:27], v[16:17], off
	s_add_u32 s6, s36, -1
	s_addc_u32 s7, s37, -1
	s_cmp_eq_u64 s[36:37], 0
	s_mov_b64 s[36:37], s[6:7]
	s_cselect_b64 s[38:39], -1, 0
	v_lshl_add_u64 v[14:15], v[14:15], 0, 8
	v_lshl_add_u64 v[16:17], v[16:17], 0, 8
	s_waitcnt vmcnt(0)
	v_cmp_ne_u64_e64 s[6:7], v[24:25], v[26:27]
	s_or_b64 s[6:7], s[6:7], s[38:39]
	s_and_b64 s[6:7], exec, s[6:7]
	v_cmp_eq_u64_e32 vcc, v[24:25], v[26:27]
	s_or_b64 s[14:15], s[6:7], s[14:15]
	s_andn2_b64 s[6:7], s[18:19], exec
	s_and_b64 s[18:19], vcc, exec
	s_or_b64 s[18:19], s[6:7], s[18:19]
	s_andn2_b64 exec, exec, s[14:15]
	s_cbranch_execnz .LBB595_48
; %bb.49:
	s_or_b64 exec, exec, s[14:15]
	s_xor_b64 s[6:7], s[18:19], -1
.LBB595_50:
	s_waitcnt lgkmcnt(0)
	v_lshl_or_b32 v15, v18, 16, v19
	s_and_b64 vcc, exec, s[12:13]
	s_cbranch_vccz .LBB595_84
.LBB595_51:
	v_add_u32_e32 v14, 4, v22
	v_cmp_gt_u32_e32 vcc, s3, v14
	s_mov_b64 s[14:15], 0
	s_mov_b64 s[12:13], 0
	s_and_saveexec_b64 s[18:19], vcc
	s_cbranch_execz .LBB595_57
; %bb.52:
	s_and_b64 vcc, exec, s[4:5]
	s_mov_b64 s[6:7], 0
	s_cbranch_vccnz .LBB595_56
; %bb.53:
	v_mul_lo_u32 v16, v5, s30
	v_mul_lo_u32 v17, v4, s31
	v_mad_u64_u32 v[14:15], s[6:7], v4, s30, 0
	v_add3_u32 v15, v15, v17, v16
	v_mul_lo_u32 v18, v13, s30
	v_mul_lo_u32 v19, v12, s31
	v_mad_u64_u32 v[16:17], s[6:7], v12, s30, 0
	v_add3_u32 v17, v17, v19, v18
	s_add_u32 s38, s30, -1
	v_lshl_add_u64 v[14:15], v[14:15], 3, s[20:21]
	v_lshl_add_u64 v[16:17], v[16:17], 3, s[20:21]
	s_addc_u32 s39, s31, -1
                                        ; implicit-def: $sgpr36_sgpr37
.LBB595_54:                             ; =>This Inner Loop Header: Depth=1
	global_load_dwordx2 v[18:19], v[14:15], off
	global_load_dwordx2 v[24:25], v[16:17], off
	s_add_u32 s6, s38, -1
	s_addc_u32 s7, s39, -1
	s_cmp_eq_u64 s[38:39], 0
	s_mov_b64 s[38:39], s[6:7]
	s_cselect_b64 s[40:41], -1, 0
	v_lshl_add_u64 v[14:15], v[14:15], 0, 8
	v_lshl_add_u64 v[16:17], v[16:17], 0, 8
	s_waitcnt vmcnt(0)
	v_cmp_ne_u64_e64 s[6:7], v[18:19], v[24:25]
	s_or_b64 s[6:7], s[6:7], s[40:41]
	s_and_b64 s[6:7], exec, s[6:7]
	v_cmp_eq_u64_e32 vcc, v[18:19], v[24:25]
	s_or_b64 s[12:13], s[6:7], s[12:13]
	s_andn2_b64 s[6:7], s[36:37], exec
	s_and_b64 s[36:37], vcc, exec
	s_or_b64 s[36:37], s[6:7], s[36:37]
	s_andn2_b64 exec, exec, s[12:13]
	s_cbranch_execnz .LBB595_54
; %bb.55:
	s_or_b64 exec, exec, s[12:13]
	s_xor_b64 s[6:7], s[36:37], -1
.LBB595_56:
	s_and_b64 s[12:13], s[6:7], exec
.LBB595_57:
	s_or_b64 exec, exec, s[18:19]
	v_add_u32_e32 v14, 3, v22
	v_cmp_gt_u32_e32 vcc, s3, v14
	s_and_saveexec_b64 s[18:19], vcc
	s_cbranch_execz .LBB595_63
; %bb.58:
	s_and_b64 vcc, exec, s[4:5]
	s_mov_b64 s[6:7], 0
	s_cbranch_vccnz .LBB595_62
; %bb.59:
	v_mul_lo_u32 v16, v3, s30
	v_mul_lo_u32 v17, v2, s31
	v_mad_u64_u32 v[14:15], s[6:7], v2, s30, 0
	v_add3_u32 v15, v15, v17, v16
	v_mul_lo_u32 v18, v5, s30
	v_mul_lo_u32 v19, v4, s31
	v_mad_u64_u32 v[16:17], s[6:7], v4, s30, 0
	v_add3_u32 v17, v17, v19, v18
	s_add_u32 s38, s30, -1
	v_lshl_add_u64 v[14:15], v[14:15], 3, s[20:21]
	v_lshl_add_u64 v[16:17], v[16:17], 3, s[20:21]
	s_addc_u32 s39, s31, -1
	s_mov_b64 s[14:15], 0
                                        ; implicit-def: $sgpr36_sgpr37
.LBB595_60:                             ; =>This Inner Loop Header: Depth=1
	global_load_dwordx2 v[18:19], v[14:15], off
	global_load_dwordx2 v[24:25], v[16:17], off
	s_add_u32 s6, s38, -1
	s_addc_u32 s7, s39, -1
	s_cmp_eq_u64 s[38:39], 0
	s_mov_b64 s[38:39], s[6:7]
	s_cselect_b64 s[40:41], -1, 0
	v_lshl_add_u64 v[14:15], v[14:15], 0, 8
	v_lshl_add_u64 v[16:17], v[16:17], 0, 8
	s_waitcnt vmcnt(0)
	v_cmp_ne_u64_e64 s[6:7], v[18:19], v[24:25]
	s_or_b64 s[6:7], s[6:7], s[40:41]
	s_and_b64 s[6:7], exec, s[6:7]
	v_cmp_eq_u64_e32 vcc, v[18:19], v[24:25]
	s_or_b64 s[14:15], s[6:7], s[14:15]
	s_andn2_b64 s[6:7], s[36:37], exec
	s_and_b64 s[36:37], vcc, exec
	s_or_b64 s[36:37], s[6:7], s[36:37]
	s_andn2_b64 exec, exec, s[14:15]
	s_cbranch_execnz .LBB595_60
; %bb.61:
	s_or_b64 exec, exec, s[14:15]
	s_xor_b64 s[6:7], s[36:37], -1
.LBB595_62:
	s_and_b64 s[14:15], s[6:7], exec
.LBB595_63:
	s_or_b64 exec, exec, s[18:19]
	v_add_u32_e32 v14, 2, v22
	v_cmp_gt_u32_e32 vcc, s3, v14
	s_mov_b64 s[18:19], 0
	s_mov_b64 s[36:37], 0
	s_and_saveexec_b64 s[38:39], vcc
	s_cbranch_execz .LBB595_69
; %bb.64:
	s_and_b64 vcc, exec, s[4:5]
	s_mov_b64 s[6:7], 0
	s_cbranch_vccnz .LBB595_68
; %bb.65:
	v_mul_lo_u32 v16, v9, s30
	v_mul_lo_u32 v17, v8, s31
	v_mad_u64_u32 v[14:15], s[6:7], v8, s30, 0
	v_add3_u32 v15, v15, v17, v16
	v_mul_lo_u32 v18, v3, s30
	v_mul_lo_u32 v19, v2, s31
	v_mad_u64_u32 v[16:17], s[6:7], v2, s30, 0
	v_add3_u32 v17, v17, v19, v18
	s_add_u32 s42, s30, -1
	v_lshl_add_u64 v[14:15], v[14:15], 3, s[20:21]
	v_lshl_add_u64 v[16:17], v[16:17], 3, s[20:21]
	s_addc_u32 s43, s31, -1
                                        ; implicit-def: $sgpr40_sgpr41
.LBB595_66:                             ; =>This Inner Loop Header: Depth=1
	global_load_dwordx2 v[18:19], v[14:15], off
	global_load_dwordx2 v[24:25], v[16:17], off
	s_add_u32 s6, s42, -1
	s_addc_u32 s7, s43, -1
	s_cmp_eq_u64 s[42:43], 0
	s_mov_b64 s[42:43], s[6:7]
	s_cselect_b64 s[44:45], -1, 0
	v_lshl_add_u64 v[14:15], v[14:15], 0, 8
	v_lshl_add_u64 v[16:17], v[16:17], 0, 8
	s_waitcnt vmcnt(0)
	v_cmp_ne_u64_e64 s[6:7], v[18:19], v[24:25]
	s_or_b64 s[6:7], s[6:7], s[44:45]
	s_and_b64 s[6:7], exec, s[6:7]
	v_cmp_eq_u64_e32 vcc, v[18:19], v[24:25]
	s_or_b64 s[36:37], s[6:7], s[36:37]
	s_andn2_b64 s[6:7], s[40:41], exec
	s_and_b64 s[40:41], vcc, exec
	s_or_b64 s[40:41], s[6:7], s[40:41]
	s_andn2_b64 exec, exec, s[36:37]
	s_cbranch_execnz .LBB595_66
; %bb.67:
	s_or_b64 exec, exec, s[36:37]
	s_xor_b64 s[6:7], s[40:41], -1
.LBB595_68:
	s_and_b64 s[36:37], s[6:7], exec
.LBB595_69:
	s_or_b64 exec, exec, s[38:39]
	v_add_u32_e32 v14, 1, v22
	v_cmp_gt_u32_e32 vcc, s3, v14
	s_and_saveexec_b64 s[38:39], vcc
	s_cbranch_execz .LBB595_75
; %bb.70:
	s_and_b64 vcc, exec, s[4:5]
	s_mov_b64 s[6:7], 0
	s_cbranch_vccnz .LBB595_74
; %bb.71:
	v_mul_lo_u32 v16, v7, s30
	v_mul_lo_u32 v17, v6, s31
	v_mad_u64_u32 v[14:15], s[6:7], v6, s30, 0
	v_add3_u32 v15, v15, v17, v16
	v_mul_lo_u32 v18, v9, s30
	v_mul_lo_u32 v19, v8, s31
	v_mad_u64_u32 v[16:17], s[6:7], v8, s30, 0
	v_add3_u32 v17, v17, v19, v18
	s_add_u32 s42, s30, -1
	v_lshl_add_u64 v[14:15], v[14:15], 3, s[20:21]
	v_lshl_add_u64 v[16:17], v[16:17], 3, s[20:21]
	s_addc_u32 s43, s31, -1
	s_mov_b64 s[18:19], 0
                                        ; implicit-def: $sgpr40_sgpr41
.LBB595_72:                             ; =>This Inner Loop Header: Depth=1
	global_load_dwordx2 v[18:19], v[14:15], off
	global_load_dwordx2 v[24:25], v[16:17], off
	s_add_u32 s6, s42, -1
	s_addc_u32 s7, s43, -1
	s_cmp_eq_u64 s[42:43], 0
	s_mov_b64 s[42:43], s[6:7]
	s_cselect_b64 s[44:45], -1, 0
	v_lshl_add_u64 v[14:15], v[14:15], 0, 8
	v_lshl_add_u64 v[16:17], v[16:17], 0, 8
	s_waitcnt vmcnt(0)
	v_cmp_ne_u64_e64 s[6:7], v[18:19], v[24:25]
	s_or_b64 s[6:7], s[6:7], s[44:45]
	s_and_b64 s[6:7], exec, s[6:7]
	v_cmp_eq_u64_e32 vcc, v[18:19], v[24:25]
	s_or_b64 s[18:19], s[6:7], s[18:19]
	s_andn2_b64 s[6:7], s[40:41], exec
	s_and_b64 s[40:41], vcc, exec
	s_or_b64 s[40:41], s[6:7], s[40:41]
	s_andn2_b64 exec, exec, s[18:19]
	s_cbranch_execnz .LBB595_72
; %bb.73:
	s_or_b64 exec, exec, s[18:19]
	s_xor_b64 s[6:7], s[40:41], -1
.LBB595_74:
	s_and_b64 s[18:19], s[6:7], exec
.LBB595_75:
	s_or_b64 exec, exec, s[38:39]
	v_cmp_ne_u32_e32 vcc, 0, v0
	s_waitcnt lgkmcnt(0)
	v_mov_b64_e32 v[14:15], s[10:11]
	s_barrier
	s_and_saveexec_b64 s[6:7], vcc
; %bb.76:
	v_add_u32_e32 v14, -8, v21
	ds_read_b64 v[14:15], v14
; %bb.77:
	s_or_b64 exec, exec, s[6:7]
	v_cndmask_b32_e64 v17, 0, 1, s[14:15]
	v_cndmask_b32_e64 v16, 0, 1, s[36:37]
	v_cndmask_b32_e64 v18, 0, 1, s[18:19]
	v_lshlrev_b16_e32 v17, 8, v17
	v_cmp_gt_u32_e32 vcc, s3, v22
	v_lshlrev_b16_e32 v18, 8, v18
	v_or_b32_sdwa v19, v16, v17 dst_sel:WORD_1 dst_unused:UNUSED_PAD src0_sel:DWORD src1_sel:DWORD
	s_mov_b64 s[6:7], 0
	s_and_saveexec_b64 s[10:11], vcc
	s_cbranch_execz .LBB595_83
; %bb.78:
	s_and_b64 vcc, exec, s[4:5]
	s_mov_b64 s[4:5], 0
	s_cbranch_vccnz .LBB595_82
; %bb.79:
	s_waitcnt lgkmcnt(0)
	v_mul_lo_u32 v16, v15, s30
	v_mul_lo_u32 v17, v14, s31
	v_mad_u64_u32 v[14:15], s[4:5], v14, s30, 0
	v_add3_u32 v15, v15, v17, v16
	v_mul_lo_u32 v21, v7, s30
	v_mul_lo_u32 v23, v6, s31
	v_mad_u64_u32 v[16:17], s[4:5], v6, s30, 0
	v_add3_u32 v17, v17, v23, v21
	s_add_u32 s18, s30, -1
	v_lshl_add_u64 v[14:15], v[14:15], 3, s[20:21]
	v_lshl_add_u64 v[16:17], v[16:17], 3, s[20:21]
	s_addc_u32 s19, s31, -1
                                        ; implicit-def: $sgpr14_sgpr15
.LBB595_80:                             ; =>This Inner Loop Header: Depth=1
	global_load_dwordx2 v[24:25], v[14:15], off
	global_load_dwordx2 v[26:27], v[16:17], off
	s_add_u32 s4, s18, -1
	s_addc_u32 s5, s19, -1
	s_cmp_eq_u64 s[18:19], 0
	s_mov_b64 s[18:19], s[4:5]
	s_cselect_b64 s[36:37], -1, 0
	v_lshl_add_u64 v[14:15], v[14:15], 0, 8
	v_lshl_add_u64 v[16:17], v[16:17], 0, 8
	s_waitcnt vmcnt(0)
	v_cmp_ne_u64_e64 s[4:5], v[24:25], v[26:27]
	s_or_b64 s[4:5], s[4:5], s[36:37]
	s_and_b64 s[4:5], exec, s[4:5]
	v_cmp_eq_u64_e32 vcc, v[24:25], v[26:27]
	s_or_b64 s[6:7], s[4:5], s[6:7]
	s_andn2_b64 s[4:5], s[14:15], exec
	s_and_b64 s[14:15], vcc, exec
	s_or_b64 s[14:15], s[4:5], s[14:15]
	s_andn2_b64 exec, exec, s[6:7]
	s_cbranch_execnz .LBB595_80
; %bb.81:
	s_or_b64 exec, exec, s[6:7]
	s_xor_b64 s[4:5], s[14:15], -1
.LBB595_82:
	s_and_b64 s[6:7], s[4:5], exec
.LBB595_83:
	s_or_b64 exec, exec, s[10:11]
	v_cndmask_b32_e64 v32, 0, 1, s[12:13]
	s_waitcnt lgkmcnt(0)
	v_or_b32_e32 v15, v18, v19
.LBB595_84:
	s_waitcnt lgkmcnt(0)
	s_mov_b64 s[10:11], -1
	s_cbranch_execnz .LBB595_41
.LBB595_85:
	v_lshlrev_b32_e32 v14, 5, v0
	v_sub_u32_e32 v23, v20, v14
	s_mov_b64 s[6:7], 0
	v_cmp_gt_i64_e64 s[12:13], s[30:31], 0
	s_and_b64 vcc, exec, s[34:35]
	ds_write_b64 v23, v[12:13]
	s_cbranch_vccz .LBB595_96
; %bb.86:
	v_cndmask_b32_e64 v14, 0, 1, s[12:13]
	v_cmp_ne_u32_e64 s[4:5], 1, v14
	s_andn2_b64 vcc, exec, s[12:13]
	s_cbranch_vccnz .LBB595_97
; %bb.87:
	v_mul_lo_u32 v16, v5, s30
	v_mul_lo_u32 v17, v4, s31
	v_mad_u64_u32 v[14:15], s[6:7], v4, s30, 0
	v_add3_u32 v15, v15, v17, v16
	v_mul_lo_u32 v18, v13, s30
	v_mul_lo_u32 v19, v12, s31
	v_mad_u64_u32 v[16:17], s[6:7], v12, s30, 0
	s_add_u32 s18, s30, -1
	v_lshl_add_u64 v[14:15], v[14:15], 3, s[20:21]
	v_add3_u32 v17, v17, v19, v18
	s_addc_u32 s19, s31, -1
	v_lshl_add_u64 v[16:17], v[16:17], 3, s[20:21]
	s_mov_b64 s[36:37], 0
	s_mov_b64 s[38:39], s[18:19]
	v_mov_b64_e32 v[18:19], v[14:15]
                                        ; implicit-def: $sgpr14_sgpr15
.LBB595_88:                             ; =>This Inner Loop Header: Depth=1
	global_load_dwordx2 v[20:21], v[18:19], off
	global_load_dwordx2 v[24:25], v[16:17], off
	s_add_u32 s6, s38, -1
	s_addc_u32 s7, s39, -1
	s_cmp_eq_u64 s[38:39], 0
	s_mov_b64 s[38:39], s[6:7]
	s_cselect_b64 s[40:41], -1, 0
	v_lshl_add_u64 v[18:19], v[18:19], 0, 8
	v_lshl_add_u64 v[16:17], v[16:17], 0, 8
	s_waitcnt vmcnt(0)
	v_cmp_ne_u64_e64 s[6:7], v[20:21], v[24:25]
	s_or_b64 s[6:7], s[6:7], s[40:41]
	s_and_b64 s[6:7], exec, s[6:7]
	v_cmp_eq_u64_e32 vcc, v[20:21], v[24:25]
	s_or_b64 s[36:37], s[6:7], s[36:37]
	s_andn2_b64 s[6:7], s[14:15], exec
	s_and_b64 s[14:15], vcc, exec
	s_or_b64 s[14:15], s[6:7], s[14:15]
	s_andn2_b64 exec, exec, s[36:37]
	s_cbranch_execnz .LBB595_88
; %bb.89:
	s_or_b64 exec, exec, s[36:37]
	v_mul_lo_u32 v18, v3, s30
	v_mul_lo_u32 v19, v2, s31
	v_mad_u64_u32 v[16:17], s[6:7], v2, s30, 0
	v_add3_u32 v17, v17, v19, v18
	v_lshl_add_u64 v[16:17], v[16:17], 3, s[20:21]
	s_mov_b64 s[38:39], 0
	s_mov_b64 s[40:41], s[18:19]
	v_mov_b64_e32 v[18:19], v[16:17]
                                        ; implicit-def: $sgpr36_sgpr37
.LBB595_90:                             ; =>This Inner Loop Header: Depth=1
	global_load_dwordx2 v[20:21], v[18:19], off
	global_load_dwordx2 v[24:25], v[14:15], off
	s_add_u32 s6, s40, -1
	s_addc_u32 s7, s41, -1
	s_cmp_eq_u64 s[40:41], 0
	s_mov_b64 s[40:41], s[6:7]
	s_cselect_b64 s[42:43], -1, 0
	v_lshl_add_u64 v[18:19], v[18:19], 0, 8
	v_lshl_add_u64 v[14:15], v[14:15], 0, 8
	s_waitcnt vmcnt(0)
	v_cmp_ne_u64_e64 s[6:7], v[20:21], v[24:25]
	s_or_b64 s[6:7], s[6:7], s[42:43]
	s_and_b64 s[6:7], exec, s[6:7]
	v_cmp_eq_u64_e32 vcc, v[20:21], v[24:25]
	s_or_b64 s[38:39], s[6:7], s[38:39]
	s_andn2_b64 s[6:7], s[36:37], exec
	s_and_b64 s[36:37], vcc, exec
	s_or_b64 s[36:37], s[6:7], s[36:37]
	s_andn2_b64 exec, exec, s[38:39]
	s_cbranch_execnz .LBB595_90
; %bb.91:
	s_or_b64 exec, exec, s[38:39]
	v_mul_lo_u32 v18, v9, s30
	v_mul_lo_u32 v19, v8, s31
	v_mad_u64_u32 v[14:15], s[6:7], v8, s30, 0
	v_add3_u32 v15, v15, v19, v18
	v_lshl_add_u64 v[14:15], v[14:15], 3, s[20:21]
	s_mov_b64 s[40:41], 0
	s_mov_b64 s[42:43], s[18:19]
	v_mov_b64_e32 v[18:19], v[14:15]
                                        ; implicit-def: $sgpr38_sgpr39
.LBB595_92:                             ; =>This Inner Loop Header: Depth=1
	global_load_dwordx2 v[20:21], v[18:19], off
	global_load_dwordx2 v[24:25], v[16:17], off
	s_add_u32 s6, s42, -1
	s_addc_u32 s7, s43, -1
	s_cmp_eq_u64 s[42:43], 0
	s_mov_b64 s[42:43], s[6:7]
	s_cselect_b64 s[44:45], -1, 0
	v_lshl_add_u64 v[18:19], v[18:19], 0, 8
	v_lshl_add_u64 v[16:17], v[16:17], 0, 8
	s_waitcnt vmcnt(0)
	v_cmp_ne_u64_e64 s[6:7], v[20:21], v[24:25]
	s_or_b64 s[6:7], s[6:7], s[44:45]
	s_and_b64 s[6:7], exec, s[6:7]
	v_cmp_eq_u64_e32 vcc, v[20:21], v[24:25]
	s_or_b64 s[40:41], s[6:7], s[40:41]
	s_andn2_b64 s[6:7], s[38:39], exec
	s_and_b64 s[38:39], vcc, exec
	s_or_b64 s[38:39], s[6:7], s[38:39]
	s_andn2_b64 exec, exec, s[40:41]
	s_cbranch_execnz .LBB595_92
; %bb.93:
	s_or_b64 exec, exec, s[40:41]
	v_mul_lo_u32 v18, v7, s30
	v_mul_lo_u32 v19, v6, s31
	v_mad_u64_u32 v[16:17], s[6:7], v6, s30, 0
	v_add3_u32 v17, v17, v19, v18
	v_lshl_add_u64 v[16:17], v[16:17], 3, s[20:21]
	s_mov_b64 s[42:43], 0
                                        ; implicit-def: $sgpr40_sgpr41
.LBB595_94:                             ; =>This Inner Loop Header: Depth=1
	global_load_dwordx2 v[18:19], v[16:17], off
	global_load_dwordx2 v[20:21], v[14:15], off
	s_add_u32 s6, s18, -1
	s_addc_u32 s7, s19, -1
	s_cmp_eq_u64 s[18:19], 0
	s_mov_b64 s[18:19], s[6:7]
	s_cselect_b64 s[44:45], -1, 0
	v_lshl_add_u64 v[16:17], v[16:17], 0, 8
	v_lshl_add_u64 v[14:15], v[14:15], 0, 8
	s_waitcnt vmcnt(0)
	v_cmp_ne_u64_e64 s[6:7], v[18:19], v[20:21]
	s_or_b64 s[6:7], s[6:7], s[44:45]
	s_and_b64 s[6:7], exec, s[6:7]
	v_cmp_eq_u64_e32 vcc, v[18:19], v[20:21]
	s_or_b64 s[42:43], s[6:7], s[42:43]
	s_andn2_b64 s[6:7], s[40:41], exec
	s_and_b64 s[40:41], vcc, exec
	s_or_b64 s[40:41], s[6:7], s[40:41]
	s_andn2_b64 exec, exec, s[42:43]
	s_cbranch_execnz .LBB595_94
; %bb.95:
	s_or_b64 exec, exec, s[42:43]
	s_xor_b64 s[6:7], s[14:15], -1
	v_cndmask_b32_e64 v32, 0, 1, s[6:7]
	s_xor_b64 s[6:7], s[36:37], -1
	v_cndmask_b32_e64 v14, 0, 1, s[6:7]
	v_lshlrev_b16_e32 v14, 8, v14
	v_mov_b32_e32 v15, 8
	s_xor_b64 s[14:15], s[38:39], -1
	v_lshrrev_b32_sdwa v14, v15, v14 dst_sel:BYTE_1 dst_unused:UNUSED_PAD src0_sel:DWORD src1_sel:DWORD
	v_cndmask_b32_e64 v15, 0, 1, s[14:15]
	s_xor_b64 s[6:7], s[40:41], -1
	v_or_b32_sdwa v14, v15, v14 dst_sel:WORD_1 dst_unused:UNUSED_PAD src0_sel:DWORD src1_sel:DWORD
	s_branch .LBB595_98
.LBB595_96:
                                        ; implicit-def: $sgpr6_sgpr7
                                        ; implicit-def: $vgpr32
                                        ; implicit-def: $vgpr15
                                        ; implicit-def: $vgpr16
                                        ; implicit-def: $vgpr34
                                        ; implicit-def: $vgpr33
                                        ; implicit-def: $vgpr14
	s_cbranch_execnz .LBB595_105
	s_branch .LBB595_138
.LBB595_97:
	v_mov_b32_e32 v14, 0
	v_mov_b32_e32 v32, 0
.LBB595_98:
	v_lshrrev_b32_e32 v33, 16, v14
	v_lshrrev_b32_e32 v14, 24, v14
	v_cndmask_b32_e64 v34, 0, 1, s[6:7]
	v_mov_b32_e32 v16, 1
	v_cmp_ne_u32_e32 vcc, 0, v0
	s_waitcnt lgkmcnt(0)
	s_barrier
                                        ; implicit-def: $sgpr6_sgpr7
                                        ; implicit-def: $vgpr15
	s_and_saveexec_b64 s[14:15], vcc
	s_xor_b64 s[14:15], exec, s[14:15]
	s_cbranch_execz .LBB595_104
; %bb.99:
	v_lshlrev_b16_e32 v15, 8, v14
	s_movk_i32 s6, 0xff
	v_bitop3_b16 v15, v33, v15, s6 bitop3:0xec
	v_lshlrev_b16_e32 v17, 8, v34
	v_lshlrev_b32_e32 v15, 16, v15
	v_or_b32_e32 v17, 1, v17
	v_or_b32_sdwa v15, v17, v15 dst_sel:DWORD dst_unused:UNUSED_PAD src0_sel:WORD_0 src1_sel:DWORD
	s_mov_b32 s33, 0x3020104
	s_and_b64 vcc, exec, s[4:5]
	s_mov_b64 s[6:7], 0
	s_cbranch_vccnz .LBB595_103
; %bb.100:
	v_add_u32_e32 v17, -8, v23
	ds_read_b64 v[18:19], v17
	v_mul_lo_u32 v17, v7, s30
	v_mul_lo_u32 v24, v6, s31
	s_add_u32 s36, s30, -1
	s_addc_u32 s37, s31, -1
	s_waitcnt lgkmcnt(0)
	v_mul_lo_u32 v20, v19, s30
	v_mul_lo_u32 v21, v18, s31
	v_mad_u64_u32 v[18:19], s[4:5], v18, s30, 0
	v_add3_u32 v19, v19, v21, v20
	v_mad_u64_u32 v[20:21], s[4:5], v6, s30, 0
	v_add3_u32 v21, v21, v24, v17
	v_lshl_add_u64 v[18:19], v[18:19], 3, s[20:21]
	v_lshl_add_u64 v[20:21], v[20:21], 3, s[20:21]
                                        ; implicit-def: $sgpr18_sgpr19
.LBB595_101:                            ; =>This Inner Loop Header: Depth=1
	global_load_dwordx2 v[24:25], v[18:19], off
	global_load_dwordx2 v[26:27], v[20:21], off
	s_add_u32 s4, s36, -1
	s_addc_u32 s5, s37, -1
	s_cmp_eq_u64 s[36:37], 0
	s_mov_b64 s[36:37], s[4:5]
	s_cselect_b64 s[38:39], -1, 0
	v_lshl_add_u64 v[18:19], v[18:19], 0, 8
	v_lshl_add_u64 v[20:21], v[20:21], 0, 8
	s_waitcnt vmcnt(0)
	v_cmp_ne_u64_e64 s[4:5], v[24:25], v[26:27]
	s_or_b64 s[4:5], s[4:5], s[38:39]
	s_and_b64 s[4:5], exec, s[4:5]
	v_cmp_eq_u64_e32 vcc, v[24:25], v[26:27]
	s_or_b64 s[6:7], s[4:5], s[6:7]
	s_andn2_b64 s[4:5], s[18:19], exec
	s_and_b64 s[18:19], vcc, exec
	s_or_b64 s[18:19], s[4:5], s[18:19]
	s_andn2_b64 exec, exec, s[6:7]
	s_cbranch_execnz .LBB595_101
; %bb.102:
	s_or_b64 exec, exec, s[6:7]
	s_xor_b64 s[6:7], s[18:19], -1
.LBB595_103:
	v_perm_b32 v15, v15, v15, s33
	s_or_b64 s[10:11], s[10:11], exec
.LBB595_104:
	s_or_b64 exec, exec, s[14:15]
	s_branch .LBB595_138
.LBB595_105:
	v_add_u32_e32 v14, 4, v22
	v_cmp_gt_u32_e32 vcc, s3, v14
	s_mov_b64 s[6:7], 0
	s_mov_b64 s[14:15], 0
	s_and_saveexec_b64 s[18:19], vcc
	s_cbranch_execz .LBB595_111
; %bb.106:
	s_andn2_b64 vcc, exec, s[12:13]
	s_mov_b64 s[4:5], 0
	s_cbranch_vccnz .LBB595_110
; %bb.107:
	v_mul_lo_u32 v16, v5, s30
	v_mul_lo_u32 v17, v4, s31
	v_mad_u64_u32 v[14:15], s[4:5], v4, s30, 0
	v_add3_u32 v15, v15, v17, v16
	v_mul_lo_u32 v18, v13, s30
	v_mul_lo_u32 v19, v12, s31
	v_mad_u64_u32 v[16:17], s[4:5], v12, s30, 0
	v_add3_u32 v17, v17, v19, v18
	s_add_u32 s38, s30, -1
	v_lshl_add_u64 v[14:15], v[14:15], 3, s[20:21]
	v_lshl_add_u64 v[16:17], v[16:17], 3, s[20:21]
	s_addc_u32 s39, s31, -1
                                        ; implicit-def: $sgpr36_sgpr37
.LBB595_108:                            ; =>This Inner Loop Header: Depth=1
	global_load_dwordx2 v[18:19], v[14:15], off
	global_load_dwordx2 v[20:21], v[16:17], off
	s_add_u32 s4, s38, -1
	s_addc_u32 s5, s39, -1
	s_cmp_eq_u64 s[38:39], 0
	s_mov_b64 s[38:39], s[4:5]
	s_cselect_b64 s[40:41], -1, 0
	v_lshl_add_u64 v[14:15], v[14:15], 0, 8
	v_lshl_add_u64 v[16:17], v[16:17], 0, 8
	s_waitcnt vmcnt(0)
	v_cmp_ne_u64_e64 s[4:5], v[18:19], v[20:21]
	s_or_b64 s[4:5], s[4:5], s[40:41]
	s_and_b64 s[4:5], exec, s[4:5]
	v_cmp_eq_u64_e32 vcc, v[18:19], v[20:21]
	s_or_b64 s[14:15], s[4:5], s[14:15]
	s_andn2_b64 s[4:5], s[36:37], exec
	s_and_b64 s[36:37], vcc, exec
	s_or_b64 s[36:37], s[4:5], s[36:37]
	s_andn2_b64 exec, exec, s[14:15]
	s_cbranch_execnz .LBB595_108
; %bb.109:
	s_or_b64 exec, exec, s[14:15]
	s_xor_b64 s[4:5], s[36:37], -1
.LBB595_110:
	s_and_b64 s[14:15], s[4:5], exec
.LBB595_111:
	s_or_b64 exec, exec, s[18:19]
	v_add_u32_e32 v14, 3, v22
	v_cmp_gt_u32_e32 vcc, s3, v14
	s_and_saveexec_b64 s[18:19], vcc
	s_cbranch_execz .LBB595_117
; %bb.112:
	s_andn2_b64 vcc, exec, s[12:13]
	s_mov_b64 s[4:5], 0
	s_cbranch_vccnz .LBB595_116
; %bb.113:
	v_mul_lo_u32 v16, v3, s30
	v_mul_lo_u32 v17, v2, s31
	v_mad_u64_u32 v[14:15], s[4:5], v2, s30, 0
	v_add3_u32 v15, v15, v17, v16
	v_mul_lo_u32 v18, v5, s30
	v_mul_lo_u32 v19, v4, s31
	v_mad_u64_u32 v[16:17], s[4:5], v4, s30, 0
	v_add3_u32 v17, v17, v19, v18
	s_add_u32 s38, s30, -1
	v_lshl_add_u64 v[14:15], v[14:15], 3, s[20:21]
	v_lshl_add_u64 v[16:17], v[16:17], 3, s[20:21]
	s_addc_u32 s39, s31, -1
	s_mov_b64 s[6:7], 0
                                        ; implicit-def: $sgpr36_sgpr37
.LBB595_114:                            ; =>This Inner Loop Header: Depth=1
	global_load_dwordx2 v[18:19], v[14:15], off
	global_load_dwordx2 v[20:21], v[16:17], off
	s_add_u32 s4, s38, -1
	s_addc_u32 s5, s39, -1
	s_cmp_eq_u64 s[38:39], 0
	s_mov_b64 s[38:39], s[4:5]
	s_cselect_b64 s[40:41], -1, 0
	v_lshl_add_u64 v[14:15], v[14:15], 0, 8
	v_lshl_add_u64 v[16:17], v[16:17], 0, 8
	s_waitcnt vmcnt(0)
	v_cmp_ne_u64_e64 s[4:5], v[18:19], v[20:21]
	s_or_b64 s[4:5], s[4:5], s[40:41]
	s_and_b64 s[4:5], exec, s[4:5]
	v_cmp_eq_u64_e32 vcc, v[18:19], v[20:21]
	s_or_b64 s[6:7], s[4:5], s[6:7]
	s_andn2_b64 s[4:5], s[36:37], exec
	s_and_b64 s[36:37], vcc, exec
	s_or_b64 s[36:37], s[4:5], s[36:37]
	s_andn2_b64 exec, exec, s[6:7]
	s_cbranch_execnz .LBB595_114
; %bb.115:
	s_or_b64 exec, exec, s[6:7]
	s_xor_b64 s[4:5], s[36:37], -1
.LBB595_116:
	s_and_b64 s[6:7], s[4:5], exec
.LBB595_117:
	s_or_b64 exec, exec, s[18:19]
	v_add_u32_e32 v14, 2, v22
	v_cmp_gt_u32_e32 vcc, s3, v14
	s_mov_b64 s[18:19], 0
	s_mov_b64 s[36:37], 0
	s_and_saveexec_b64 s[38:39], vcc
	s_cbranch_execz .LBB595_123
; %bb.118:
	s_andn2_b64 vcc, exec, s[12:13]
	s_mov_b64 s[4:5], 0
	s_cbranch_vccnz .LBB595_122
; %bb.119:
	v_mul_lo_u32 v16, v9, s30
	v_mul_lo_u32 v17, v8, s31
	v_mad_u64_u32 v[14:15], s[4:5], v8, s30, 0
	v_add3_u32 v15, v15, v17, v16
	v_mul_lo_u32 v18, v3, s30
	v_mul_lo_u32 v19, v2, s31
	v_mad_u64_u32 v[16:17], s[4:5], v2, s30, 0
	v_add3_u32 v17, v17, v19, v18
	s_add_u32 s42, s30, -1
	v_lshl_add_u64 v[14:15], v[14:15], 3, s[20:21]
	v_lshl_add_u64 v[16:17], v[16:17], 3, s[20:21]
	s_addc_u32 s43, s31, -1
                                        ; implicit-def: $sgpr40_sgpr41
.LBB595_120:                            ; =>This Inner Loop Header: Depth=1
	global_load_dwordx2 v[18:19], v[14:15], off
	global_load_dwordx2 v[20:21], v[16:17], off
	s_add_u32 s4, s42, -1
	s_addc_u32 s5, s43, -1
	s_cmp_eq_u64 s[42:43], 0
	s_mov_b64 s[42:43], s[4:5]
	s_cselect_b64 s[44:45], -1, 0
	v_lshl_add_u64 v[14:15], v[14:15], 0, 8
	v_lshl_add_u64 v[16:17], v[16:17], 0, 8
	s_waitcnt vmcnt(0)
	v_cmp_ne_u64_e64 s[4:5], v[18:19], v[20:21]
	s_or_b64 s[4:5], s[4:5], s[44:45]
	s_and_b64 s[4:5], exec, s[4:5]
	v_cmp_eq_u64_e32 vcc, v[18:19], v[20:21]
	s_or_b64 s[36:37], s[4:5], s[36:37]
	s_andn2_b64 s[4:5], s[40:41], exec
	s_and_b64 s[40:41], vcc, exec
	s_or_b64 s[40:41], s[4:5], s[40:41]
	s_andn2_b64 exec, exec, s[36:37]
	s_cbranch_execnz .LBB595_120
; %bb.121:
	s_or_b64 exec, exec, s[36:37]
	s_xor_b64 s[4:5], s[40:41], -1
.LBB595_122:
	s_and_b64 s[36:37], s[4:5], exec
.LBB595_123:
	s_or_b64 exec, exec, s[38:39]
	v_add_u32_e32 v14, 1, v22
	v_cmp_gt_u32_e32 vcc, s3, v14
	s_and_saveexec_b64 s[38:39], vcc
	s_cbranch_execz .LBB595_129
; %bb.124:
	s_andn2_b64 vcc, exec, s[12:13]
	s_mov_b64 s[4:5], 0
	s_cbranch_vccnz .LBB595_128
; %bb.125:
	v_mul_lo_u32 v16, v7, s30
	v_mul_lo_u32 v17, v6, s31
	v_mad_u64_u32 v[14:15], s[4:5], v6, s30, 0
	v_add3_u32 v15, v15, v17, v16
	v_mul_lo_u32 v18, v9, s30
	v_mul_lo_u32 v19, v8, s31
	v_mad_u64_u32 v[16:17], s[4:5], v8, s30, 0
	v_add3_u32 v17, v17, v19, v18
	s_add_u32 s42, s30, -1
	v_lshl_add_u64 v[14:15], v[14:15], 3, s[20:21]
	v_lshl_add_u64 v[16:17], v[16:17], 3, s[20:21]
	s_addc_u32 s43, s31, -1
	s_mov_b64 s[18:19], 0
                                        ; implicit-def: $sgpr40_sgpr41
.LBB595_126:                            ; =>This Inner Loop Header: Depth=1
	global_load_dwordx2 v[18:19], v[14:15], off
	global_load_dwordx2 v[20:21], v[16:17], off
	s_add_u32 s4, s42, -1
	s_addc_u32 s5, s43, -1
	s_cmp_eq_u64 s[42:43], 0
	s_mov_b64 s[42:43], s[4:5]
	s_cselect_b64 s[44:45], -1, 0
	v_lshl_add_u64 v[14:15], v[14:15], 0, 8
	v_lshl_add_u64 v[16:17], v[16:17], 0, 8
	s_waitcnt vmcnt(0)
	v_cmp_ne_u64_e64 s[4:5], v[18:19], v[20:21]
	s_or_b64 s[4:5], s[4:5], s[44:45]
	s_and_b64 s[4:5], exec, s[4:5]
	v_cmp_eq_u64_e32 vcc, v[18:19], v[20:21]
	s_or_b64 s[18:19], s[4:5], s[18:19]
	s_andn2_b64 s[4:5], s[40:41], exec
	s_and_b64 s[40:41], vcc, exec
	s_or_b64 s[40:41], s[4:5], s[40:41]
	s_andn2_b64 exec, exec, s[18:19]
	s_cbranch_execnz .LBB595_126
; %bb.127:
	s_or_b64 exec, exec, s[18:19]
	s_xor_b64 s[4:5], s[40:41], -1
.LBB595_128:
	s_and_b64 s[18:19], s[4:5], exec
.LBB595_129:
	s_or_b64 exec, exec, s[38:39]
	v_cndmask_b32_e64 v32, 0, 1, s[14:15]
	v_cndmask_b32_e64 v33, 0, 1, s[36:37]
	;; [unrolled: 1-line block ×4, first 2 shown]
	v_mov_b32_e32 v16, 1
	v_cmp_ne_u32_e32 vcc, 0, v0
	s_waitcnt lgkmcnt(0)
	s_barrier
                                        ; implicit-def: $sgpr6_sgpr7
                                        ; implicit-def: $vgpr15
	s_and_saveexec_b64 s[14:15], vcc
	s_cbranch_execz .LBB595_137
; %bb.130:
	v_lshlrev_b16_e32 v15, 8, v34
	v_lshlrev_b16_e32 v17, 8, v14
	v_or_b32_e32 v15, 1, v15
	v_or_b32_sdwa v17, v33, v17 dst_sel:WORD_1 dst_unused:UNUSED_PAD src0_sel:DWORD src1_sel:DWORD
	v_cmp_gt_u32_e32 vcc, s3, v22
	v_or_b32_sdwa v15, v15, v17 dst_sel:DWORD dst_unused:UNUSED_PAD src0_sel:WORD_0 src1_sel:DWORD
	s_mov_b32 s33, 0x3020104
	s_mov_b64 s[6:7], 0
	s_and_saveexec_b64 s[18:19], vcc
	s_cbranch_execz .LBB595_136
; %bb.131:
	s_andn2_b64 vcc, exec, s[12:13]
	s_mov_b64 s[4:5], 0
	s_cbranch_vccnz .LBB595_135
; %bb.132:
	v_add_u32_e32 v17, -8, v23
	ds_read_b64 v[18:19], v17
	v_mul_lo_u32 v17, v7, s30
	v_mul_lo_u32 v23, v6, s31
                                        ; implicit-def: $sgpr12_sgpr13
	s_waitcnt lgkmcnt(0)
	v_mul_lo_u32 v20, v19, s30
	v_mul_lo_u32 v21, v18, s31
	v_mad_u64_u32 v[18:19], s[4:5], v18, s30, 0
	v_add3_u32 v19, v19, v21, v20
	v_mad_u64_u32 v[20:21], s[4:5], v6, s30, 0
	v_add3_u32 v21, v21, v23, v17
	v_lshl_add_u64 v[18:19], v[18:19], 3, s[20:21]
	v_lshl_add_u64 v[20:21], v[20:21], 3, s[20:21]
	s_add_u32 s20, s30, -1
	s_addc_u32 s21, s31, -1
.LBB595_133:                            ; =>This Inner Loop Header: Depth=1
	global_load_dwordx2 v[24:25], v[18:19], off
	global_load_dwordx2 v[26:27], v[20:21], off
	s_add_u32 s4, s20, -1
	s_addc_u32 s5, s21, -1
	s_cmp_eq_u64 s[20:21], 0
	s_mov_b64 s[20:21], s[4:5]
	s_cselect_b64 s[30:31], -1, 0
	v_lshl_add_u64 v[18:19], v[18:19], 0, 8
	v_lshl_add_u64 v[20:21], v[20:21], 0, 8
	s_waitcnt vmcnt(0)
	v_cmp_ne_u64_e64 s[4:5], v[24:25], v[26:27]
	s_or_b64 s[4:5], s[4:5], s[30:31]
	s_and_b64 s[4:5], exec, s[4:5]
	v_cmp_eq_u64_e32 vcc, v[24:25], v[26:27]
	s_or_b64 s[6:7], s[4:5], s[6:7]
	s_andn2_b64 s[4:5], s[12:13], exec
	s_and_b64 s[12:13], vcc, exec
	s_or_b64 s[12:13], s[4:5], s[12:13]
	s_andn2_b64 exec, exec, s[6:7]
	s_cbranch_execnz .LBB595_133
; %bb.134:
	s_or_b64 exec, exec, s[6:7]
	s_xor_b64 s[4:5], s[12:13], -1
.LBB595_135:
	s_and_b64 s[6:7], s[4:5], exec
.LBB595_136:
	s_or_b64 exec, exec, s[18:19]
	v_perm_b32 v15, v15, v15, s33
	s_or_b64 s[10:11], s[10:11], exec
.LBB595_137:
	s_or_b64 exec, exec, s[14:15]
.LBB595_138:
	s_and_saveexec_b64 s[4:5], s[10:11]
; %bb.139:
	v_lshrrev_b32_e32 v14, 24, v15
	v_lshrrev_b32_e32 v33, 16, v15
	;; [unrolled: 1-line block ×3, first 2 shown]
	v_cndmask_b32_e64 v16, 0, 1, s[6:7]
; %bb.140:
	s_or_b64 exec, exec, s[4:5]
	s_andn2_b64 vcc, exec, s[8:9]
	s_cbranch_vccnz .LBB595_144
; %bb.141:
	s_mov_b32 s4, 0xc0c0004
	v_perm_b32 v14, v33, v14, s4
	v_perm_b32 v15, v16, v34, s4
	v_lshlrev_b32_e32 v14, 16, v14
	v_or_b32_e32 v15, v15, v14
	v_cmp_gt_u32_e32 vcc, s3, v22
	v_add_u32_e32 v16, 1, v22
	s_mov_b32 s4, 0x40c0100
	v_cndmask_b32_e32 v14, v14, v15, vcc
	v_and_b32_e32 v14, 0xffff00ff, v14
	v_cmp_gt_u32_e32 vcc, s3, v16
	v_add_u32_e32 v16, 2, v22
	v_and_b32_e32 v32, 0xff, v32
	v_cndmask_b32_e32 v14, v14, v15, vcc
	v_lshrrev_b32_e32 v18, 24, v14
	v_perm_b32 v14, v18, v14, s4
	v_cmp_gt_u32_e32 vcc, s3, v16
	v_add_u32_e32 v16, 3, v22
	v_and_b32_e32 v17, 0xffff, v32
	v_cndmask_b32_e32 v14, v14, v15, vcc
	v_and_b32_e32 v14, 0xffffff, v14
	v_cmp_gt_u32_e32 vcc, s3, v16
	s_nop 1
	v_cndmask_b32_e32 v16, v14, v15, vcc
	v_lshrrev_b64 v[14:15], 24, v[16:17]
	v_add_u32_e32 v15, 4, v22
	v_lshrrev_b32_e32 v33, 16, v16
	v_lshrrev_b32_e32 v34, 8, v16
	v_cmp_le_u32_e32 vcc, s3, v15
	s_and_saveexec_b64 s[4:5], vcc
; %bb.142:
	v_mov_b32_e32 v32, 0
; %bb.143:
	s_or_b64 exec, exec, s[4:5]
.LBB595_144:
	v_and_b32_e32 v15, 0xff, v16
	v_and_b32_e32 v17, 0xff, v34
	v_and_b32_e32 v29, 0xff, v33
	v_and_b32_e32 v31, 0xff, v14
	v_and_b32_e32 v18, 0xff, v32
	v_add3_u32 v19, v17, v15, v29
	v_add3_u32 v37, v19, v31, v18
	v_mbcnt_lo_u32_b32 v18, -1, 0
	v_mbcnt_hi_u32_b32 v35, -1, v18
	v_and_b32_e32 v18, 15, v35
	v_cmp_eq_u32_e64 s[14:15], 0, v18
	v_cmp_lt_u32_e64 s[12:13], 1, v18
	v_cmp_lt_u32_e64 s[10:11], 3, v18
	;; [unrolled: 1-line block ×3, first 2 shown]
	v_and_b32_e32 v18, 16, v35
	v_cmp_eq_u32_e64 s[6:7], 0, v18
	v_or_b32_e32 v18, 63, v0
	v_cmp_lt_u32_e64 s[18:19], 31, v35
	v_lshrrev_b32_e32 v36, 6, v0
	v_cmp_eq_u32_e64 s[4:5], v0, v18
	s_and_b64 vcc, exec, s[16:17]
	s_waitcnt lgkmcnt(0)
	s_barrier
	s_cbranch_vccz .LBB595_166
; %bb.145:
	v_mov_b32_dpp v18, v37 row_shr:1 row_mask:0xf bank_mask:0xf
	v_cndmask_b32_e64 v18, v18, 0, s[14:15]
	v_add_u32_e32 v18, v18, v37
	s_nop 1
	v_mov_b32_dpp v19, v18 row_shr:2 row_mask:0xf bank_mask:0xf
	v_cndmask_b32_e64 v19, 0, v19, s[12:13]
	v_add_u32_e32 v18, v18, v19
	s_nop 1
	;; [unrolled: 4-line block ×4, first 2 shown]
	v_mov_b32_dpp v19, v18 row_bcast:15 row_mask:0xf bank_mask:0xf
	v_cndmask_b32_e64 v19, v19, 0, s[6:7]
	v_add_u32_e32 v18, v18, v19
	s_nop 1
	v_mov_b32_dpp v19, v18 row_bcast:31 row_mask:0xf bank_mask:0xf
	v_cndmask_b32_e64 v19, 0, v19, s[18:19]
	v_add_u32_e32 v18, v18, v19
	s_and_saveexec_b64 s[16:17], s[4:5]
; %bb.146:
	v_lshlrev_b32_e32 v19, 2, v36
	ds_write_b32 v19, v18
; %bb.147:
	s_or_b64 exec, exec, s[16:17]
	v_cmp_gt_u32_e32 vcc, 2, v0
	s_waitcnt lgkmcnt(0)
	s_barrier
	s_and_saveexec_b64 s[16:17], vcc
	s_cbranch_execz .LBB595_149
; %bb.148:
	v_lshlrev_b32_e32 v19, 2, v0
	ds_read_b32 v20, v19
	v_bfe_i32 v21, v35, 0, 1
	s_waitcnt lgkmcnt(0)
	v_mov_b32_dpp v22, v20 row_shr:1 row_mask:0xf bank_mask:0xf
	v_and_b32_e32 v21, v21, v22
	v_add_u32_e32 v20, v21, v20
	ds_write_b32 v19, v20
.LBB595_149:
	s_or_b64 exec, exec, s[16:17]
	v_cmp_gt_u32_e32 vcc, 64, v0
	v_cmp_lt_u32_e64 s[16:17], 63, v0
	s_waitcnt lgkmcnt(0)
	s_barrier
                                        ; implicit-def: $vgpr28
	s_and_saveexec_b64 s[20:21], s[16:17]
	s_cbranch_execz .LBB595_151
; %bb.150:
	v_lshl_add_u32 v19, v36, 2, -4
	ds_read_b32 v28, v19
	s_waitcnt lgkmcnt(0)
	v_add_u32_e32 v18, v28, v18
.LBB595_151:
	s_or_b64 exec, exec, s[20:21]
	v_subrev_co_u32_e64 v19, s[16:17], 1, v35
	v_and_b32_e32 v20, 64, v35
	v_cmp_lt_i32_e64 s[20:21], v19, v20
	s_nop 1
	v_cndmask_b32_e64 v19, v19, v35, s[20:21]
	v_lshlrev_b32_e32 v19, 2, v19
	ds_bpermute_b32 v30, v19, v18
	s_and_saveexec_b64 s[20:21], vcc
	s_cbranch_execz .LBB595_171
; %bb.152:
	v_mov_b32_e32 v25, 0
	ds_read_b32 v18, v25 offset:4
	s_and_saveexec_b64 s[30:31], s[16:17]
	s_cbranch_execz .LBB595_154
; %bb.153:
	s_add_i32 s36, s2, 64
	s_mov_b32 s37, 0
	s_lshl_b64 s[36:37], s[36:37], 3
	s_add_u32 s36, s22, s36
	v_mov_b32_e32 v19, 1
	s_addc_u32 s37, s23, s37
	s_waitcnt lgkmcnt(0)
	global_store_dwordx2 v25, v[18:19], s[36:37] sc1
.LBB595_154:
	s_or_b64 exec, exec, s[30:31]
	v_xad_u32 v20, v35, -1, s2
	v_add_u32_e32 v24, 64, v20
	v_lshl_add_u64 v[26:27], v[24:25], 3, s[22:23]
	global_load_dwordx2 v[22:23], v[26:27], off sc1
	s_waitcnt vmcnt(0)
	v_cmp_eq_u16_sdwa s[36:37], v23, v25 src0_sel:BYTE_0 src1_sel:DWORD
	s_and_saveexec_b64 s[30:31], s[36:37]
	s_cbranch_execz .LBB595_158
; %bb.155:
	s_mov_b64 s[36:37], 0
	v_mov_b32_e32 v19, 0
.LBB595_156:                            ; =>This Inner Loop Header: Depth=1
	global_load_dwordx2 v[22:23], v[26:27], off sc1
	s_waitcnt vmcnt(0)
	v_cmp_ne_u16_sdwa s[38:39], v23, v19 src0_sel:BYTE_0 src1_sel:DWORD
	s_or_b64 s[36:37], s[38:39], s[36:37]
	s_andn2_b64 exec, exec, s[36:37]
	s_cbranch_execnz .LBB595_156
; %bb.157:
	s_or_b64 exec, exec, s[36:37]
.LBB595_158:
	s_or_b64 exec, exec, s[30:31]
	v_and_b32_e32 v39, 63, v35
	v_mov_b32_e32 v38, 2
	v_cmp_ne_u32_e32 vcc, 63, v39
	v_cmp_eq_u16_sdwa s[30:31], v23, v38 src0_sel:BYTE_0 src1_sel:DWORD
	v_lshlrev_b64 v[24:25], v35, -1
	v_addc_co_u32_e32 v26, vcc, 0, v35, vcc
	v_and_b32_e32 v19, s31, v25
	v_lshlrev_b32_e32 v40, 2, v26
	v_or_b32_e32 v19, 0x80000000, v19
	ds_bpermute_b32 v26, v40, v22
	v_and_b32_e32 v21, s30, v24
	v_ffbl_b32_e32 v19, v19
	v_add_u32_e32 v19, 32, v19
	v_ffbl_b32_e32 v21, v21
	v_min_u32_e32 v19, v21, v19
	v_cmp_lt_u32_e32 vcc, v39, v19
	v_add_u32_e32 v42, 2, v39
	v_add_u32_e32 v44, 4, v39
	s_waitcnt lgkmcnt(0)
	v_cndmask_b32_e32 v21, 0, v26, vcc
	v_cmp_gt_u32_e32 vcc, 62, v39
	v_add_u32_e32 v21, v21, v22
	v_add_u32_e32 v46, 8, v39
	v_cndmask_b32_e64 v22, 0, 2, vcc
	v_add_lshl_u32 v41, v22, v35, 2
	ds_bpermute_b32 v22, v41, v21
	v_cmp_le_u32_e32 vcc, v42, v19
	v_add_u32_e32 v48, 16, v39
	v_add_u32_e32 v50, 32, v39
	s_waitcnt lgkmcnt(0)
	v_cndmask_b32_e32 v22, 0, v22, vcc
	v_cmp_gt_u32_e32 vcc, 60, v39
	v_add_u32_e32 v21, v21, v22
	s_nop 0
	v_cndmask_b32_e64 v22, 0, 4, vcc
	v_add_lshl_u32 v43, v22, v35, 2
	ds_bpermute_b32 v22, v43, v21
	v_cmp_le_u32_e32 vcc, v44, v19
	s_waitcnt lgkmcnt(0)
	s_nop 0
	v_cndmask_b32_e32 v22, 0, v22, vcc
	v_cmp_gt_u32_e32 vcc, 56, v39
	v_add_u32_e32 v21, v21, v22
	s_nop 0
	v_cndmask_b32_e64 v22, 0, 8, vcc
	v_add_lshl_u32 v45, v22, v35, 2
	ds_bpermute_b32 v22, v45, v21
	v_cmp_le_u32_e32 vcc, v46, v19
	s_waitcnt lgkmcnt(0)
	s_nop 0
	;; [unrolled: 10-line block ×3, first 2 shown]
	v_cndmask_b32_e32 v22, 0, v22, vcc
	v_add_u32_e32 v21, v21, v22
	v_mov_b32_e32 v22, 0x80
	v_lshl_or_b32 v49, v35, 2, v22
	ds_bpermute_b32 v22, v49, v21
	v_cmp_le_u32_e32 vcc, v50, v19
	s_waitcnt lgkmcnt(0)
	s_nop 0
	v_cndmask_b32_e32 v19, 0, v22, vcc
	v_add_u32_e32 v22, v21, v19
	v_mov_b32_e32 v21, 0
	s_branch .LBB595_161
.LBB595_159:                            ;   in Loop: Header=BB595_161 Depth=1
	s_or_b64 exec, exec, s[30:31]
	v_cmp_eq_u16_sdwa s[30:31], v23, v38 src0_sel:BYTE_0 src1_sel:DWORD
	ds_bpermute_b32 v51, v40, v22
	v_subrev_u32_e32 v20, 64, v20
	v_and_b32_e32 v26, s31, v25
	v_or_b32_e32 v26, 0x80000000, v26
	v_and_b32_e32 v27, s30, v24
	v_ffbl_b32_e32 v26, v26
	v_add_u32_e32 v26, 32, v26
	v_ffbl_b32_e32 v27, v27
	v_min_u32_e32 v26, v27, v26
	v_cmp_lt_u32_e32 vcc, v39, v26
	s_mov_b64 s[30:31], 0
	s_waitcnt lgkmcnt(0)
	v_cndmask_b32_e32 v27, 0, v51, vcc
	v_add_u32_e32 v22, v27, v22
	ds_bpermute_b32 v27, v41, v22
	v_cmp_le_u32_e32 vcc, v42, v26
	s_waitcnt lgkmcnt(0)
	s_nop 0
	v_cndmask_b32_e32 v27, 0, v27, vcc
	v_add_u32_e32 v22, v22, v27
	ds_bpermute_b32 v27, v43, v22
	v_cmp_le_u32_e32 vcc, v44, v26
	s_waitcnt lgkmcnt(0)
	s_nop 0
	;; [unrolled: 6-line block ×5, first 2 shown]
	v_cndmask_b32_e32 v26, 0, v27, vcc
	v_add3_u32 v22, v26, v19, v22
.LBB595_160:                            ;   in Loop: Header=BB595_161 Depth=1
	s_and_b64 vcc, exec, s[30:31]
	s_cbranch_vccnz .LBB595_167
.LBB595_161:                            ; =>This Loop Header: Depth=1
                                        ;     Child Loop BB595_164 Depth 2
	v_cmp_ne_u16_sdwa s[30:31], v23, v38 src0_sel:BYTE_0 src1_sel:DWORD
	v_mov_b32_e32 v19, v22
	s_cmp_lg_u64 s[30:31], exec
	s_mov_b64 s[30:31], -1
                                        ; implicit-def: $vgpr22
                                        ; implicit-def: $vgpr23
	s_cbranch_scc1 .LBB595_160
; %bb.162:                              ;   in Loop: Header=BB595_161 Depth=1
	v_lshl_add_u64 v[26:27], v[20:21], 3, s[22:23]
	global_load_dwordx2 v[22:23], v[26:27], off sc1
	s_waitcnt vmcnt(0)
	v_cmp_eq_u16_sdwa s[36:37], v23, v21 src0_sel:BYTE_0 src1_sel:DWORD
	s_and_saveexec_b64 s[30:31], s[36:37]
	s_cbranch_execz .LBB595_159
; %bb.163:                              ;   in Loop: Header=BB595_161 Depth=1
	s_mov_b64 s[36:37], 0
.LBB595_164:                            ;   Parent Loop BB595_161 Depth=1
                                        ; =>  This Inner Loop Header: Depth=2
	global_load_dwordx2 v[22:23], v[26:27], off sc1
	s_waitcnt vmcnt(0)
	v_cmp_ne_u16_sdwa s[38:39], v23, v21 src0_sel:BYTE_0 src1_sel:DWORD
	s_or_b64 s[36:37], s[38:39], s[36:37]
	s_andn2_b64 exec, exec, s[36:37]
	s_cbranch_execnz .LBB595_164
; %bb.165:                              ;   in Loop: Header=BB595_161 Depth=1
	s_or_b64 exec, exec, s[36:37]
	s_branch .LBB595_159
.LBB595_166:
                                        ; implicit-def: $vgpr22
                                        ; implicit-def: $vgpr24
                                        ; implicit-def: $vgpr26
                                        ; implicit-def: $vgpr28
                                        ; implicit-def: $vgpr30
                                        ; implicit-def: $vgpr20
                                        ; implicit-def: $vgpr18
	s_cbranch_execnz .LBB595_172
	s_branch .LBB595_181
.LBB595_167:
	s_and_saveexec_b64 s[30:31], s[16:17]
	s_cbranch_execz .LBB595_169
; %bb.168:
	s_add_i32 s2, s2, 64
	s_mov_b32 s3, 0
	s_lshl_b64 s[2:3], s[2:3], 3
	s_add_u32 s2, s22, s2
	v_add_u32_e32 v20, v19, v18
	v_mov_b32_e32 v21, 2
	s_addc_u32 s3, s23, s3
	v_mov_b32_e32 v22, 0
	global_store_dwordx2 v22, v[20:21], s[2:3] sc1
	ds_write_b64 v22, v[18:19] offset:5120
.LBB595_169:
	s_or_b64 exec, exec, s[30:31]
	v_cmp_eq_u32_e32 vcc, 0, v0
	s_and_b64 exec, exec, vcc
; %bb.170:
	v_mov_b32_e32 v18, 0
	ds_write_b32 v18, v19 offset:4
.LBB595_171:
	s_or_b64 exec, exec, s[20:21]
	v_mov_b32_e32 v18, 0
	s_waitcnt lgkmcnt(0)
	s_barrier
	ds_read_b32 v19, v18 offset:4
	v_cndmask_b32_e64 v20, v30, v28, s[16:17]
	v_cmp_ne_u32_e32 vcc, 0, v0
	s_waitcnt lgkmcnt(0)
	s_barrier
	v_cndmask_b32_e32 v20, 0, v20, vcc
	v_add_u32_e32 v30, v19, v20
	ds_read_b64 v[18:19], v18 offset:5120
	v_add_u32_e32 v28, v30, v15
	v_add_u32_e32 v26, v28, v17
	;; [unrolled: 1-line block ×4, first 2 shown]
	s_waitcnt lgkmcnt(0)
	v_mov_b32_e32 v20, v19
	s_branch .LBB595_181
.LBB595_172:
	v_mov_b32_dpp v18, v37 row_shr:1 row_mask:0xf bank_mask:0xf
	v_cndmask_b32_e64 v18, v18, 0, s[14:15]
	v_add_u32_e32 v18, v18, v37
	s_nop 1
	v_mov_b32_dpp v19, v18 row_shr:2 row_mask:0xf bank_mask:0xf
	v_cndmask_b32_e64 v19, 0, v19, s[12:13]
	v_add_u32_e32 v18, v18, v19
	s_nop 1
	;; [unrolled: 4-line block ×4, first 2 shown]
	v_mov_b32_dpp v19, v18 row_bcast:15 row_mask:0xf bank_mask:0xf
	v_cndmask_b32_e64 v19, v19, 0, s[6:7]
	v_add_u32_e32 v18, v18, v19
	s_nop 1
	v_mov_b32_dpp v19, v18 row_bcast:31 row_mask:0xf bank_mask:0xf
	v_cndmask_b32_e64 v19, 0, v19, s[18:19]
	v_add_u32_e32 v18, v18, v19
	s_and_saveexec_b64 s[2:3], s[4:5]
; %bb.173:
	v_lshlrev_b32_e32 v19, 2, v36
	ds_write_b32 v19, v18
; %bb.174:
	s_or_b64 exec, exec, s[2:3]
	v_cmp_gt_u32_e32 vcc, 2, v0
	s_waitcnt lgkmcnt(0)
	s_barrier
	s_and_saveexec_b64 s[2:3], vcc
	s_cbranch_execz .LBB595_176
; %bb.175:
	v_lshlrev_b32_e32 v19, 2, v0
	ds_read_b32 v20, v19
	v_bfe_i32 v21, v35, 0, 1
	s_waitcnt lgkmcnt(0)
	v_mov_b32_dpp v22, v20 row_shr:1 row_mask:0xf bank_mask:0xf
	v_and_b32_e32 v21, v21, v22
	v_add_u32_e32 v20, v21, v20
	ds_write_b32 v19, v20
.LBB595_176:
	s_or_b64 exec, exec, s[2:3]
	v_cmp_lt_u32_e32 vcc, 63, v0
	v_mov_b32_e32 v19, 0
	v_mov_b32_e32 v20, 0
	s_waitcnt lgkmcnt(0)
	s_barrier
	s_and_saveexec_b64 s[2:3], vcc
; %bb.177:
	v_lshl_add_u32 v20, v36, 2, -4
	ds_read_b32 v20, v20
; %bb.178:
	s_or_b64 exec, exec, s[2:3]
	v_subrev_co_u32_e32 v21, vcc, 1, v35
	v_and_b32_e32 v22, 64, v35
	v_cmp_lt_i32_e64 s[2:3], v21, v22
	s_waitcnt lgkmcnt(0)
	v_add_u32_e32 v18, v20, v18
	v_cndmask_b32_e64 v21, v21, v35, s[2:3]
	v_lshlrev_b32_e32 v21, 2, v21
	ds_bpermute_b32 v21, v21, v18
	ds_read_b32 v18, v19 offset:4
	v_cmp_eq_u32_e64 s[2:3], 0, v0
	s_and_saveexec_b64 s[4:5], s[2:3]
	s_cbranch_execz .LBB595_180
; %bb.179:
	v_mov_b32_e32 v22, 0
	v_mov_b32_e32 v19, 2
	s_waitcnt lgkmcnt(0)
	global_store_dwordx2 v22, v[18:19], s[22:23] offset:512 sc1
.LBB595_180:
	s_or_b64 exec, exec, s[4:5]
	s_waitcnt lgkmcnt(1)
	v_cndmask_b32_e32 v19, v21, v20, vcc
	v_cndmask_b32_e64 v30, v19, 0, s[2:3]
	v_add_u32_e32 v28, v30, v15
	v_add_u32_e32 v26, v28, v17
	;; [unrolled: 1-line block ×4, first 2 shown]
	s_waitcnt lgkmcnt(0)
	s_barrier
	v_mov_b32_e32 v20, 0
.LBB595_181:
	s_load_dwordx4 s[8:11], s[0:1], 0x28
	s_movk_i32 s0, 0x81
	v_cmp_gt_u32_e64 s[0:1], s0, v18
	v_add_u32_e32 v17, v20, v18
	v_and_b32_e32 v15, 1, v16
	s_mov_b64 s[6:7], -1
	s_and_b64 vcc, exec, s[0:1]
	v_cmp_lt_u32_e64 s[2:3], v30, v17
	v_cmp_eq_u32_e64 s[4:5], 1, v15
	s_cbranch_vccz .LBB595_193
; %bb.182:
	s_or_b64 s[2:3], s[34:35], s[2:3]
	s_and_b64 s[4:5], s[2:3], s[4:5]
	s_and_saveexec_b64 s[2:3], s[4:5]
	s_cbranch_execz .LBB595_184
; %bb.183:
	s_lshl_b64 s[4:5], s[26:27], 3
	s_waitcnt lgkmcnt(0)
	s_add_u32 s4, s8, s4
	s_addc_u32 s5, s9, s5
	v_mov_b32_e32 v31, 0
	v_lshl_add_u64 v[36:37], v[30:31], 3, s[4:5]
	global_store_dwordx2 v[36:37], v[6:7], off
.LBB595_184:
	s_or_b64 exec, exec, s[2:3]
	v_cmp_lt_u32_e32 vcc, v28, v17
	v_and_b32_e32 v16, 1, v34
	s_or_b64 s[2:3], s[34:35], vcc
	v_cmp_eq_u32_e32 vcc, 1, v16
	s_and_b64 s[4:5], s[2:3], vcc
	s_and_saveexec_b64 s[2:3], s[4:5]
	s_cbranch_execz .LBB595_186
; %bb.185:
	s_lshl_b64 s[4:5], s[26:27], 3
	s_waitcnt lgkmcnt(0)
	s_add_u32 s4, s8, s4
	s_addc_u32 s5, s9, s5
	v_mov_b32_e32 v29, 0
	v_lshl_add_u64 v[36:37], v[28:29], 3, s[4:5]
	global_store_dwordx2 v[36:37], v[8:9], off
.LBB595_186:
	s_or_b64 exec, exec, s[2:3]
	v_cmp_lt_u32_e32 vcc, v26, v17
	v_and_b32_e32 v16, 1, v33
	s_or_b64 s[2:3], s[34:35], vcc
	v_cmp_eq_u32_e32 vcc, 1, v16
	s_and_b64 s[4:5], s[2:3], vcc
	;; [unrolled: 17-line block ×4, first 2 shown]
	s_and_saveexec_b64 s[2:3], s[4:5]
	s_cbranch_execz .LBB595_192
; %bb.191:
	s_lshl_b64 s[4:5], s[26:27], 3
	s_waitcnt lgkmcnt(0)
	s_add_u32 s4, s8, s4
	s_addc_u32 s5, s9, s5
	v_mov_b32_e32 v23, 0
	v_lshl_add_u64 v[36:37], v[22:23], 3, s[4:5]
	global_store_dwordx2 v[36:37], v[12:13], off
.LBB595_192:
	s_or_b64 exec, exec, s[2:3]
	s_mov_b64 s[6:7], 0
.LBB595_193:
	s_and_b64 vcc, exec, s[6:7]
	s_cbranch_vccz .LBB595_207
; %bb.194:
	v_cmp_eq_u32_e32 vcc, 1, v15
	s_and_saveexec_b64 s[2:3], vcc
; %bb.195:
	v_sub_u32_e32 v16, v30, v20
	v_lshlrev_b32_e32 v16, 3, v16
	ds_write_b64 v16, v[6:7]
; %bb.196:
	s_or_b64 exec, exec, s[2:3]
	v_and_b32_e32 v6, 1, v34
	v_cmp_eq_u32_e32 vcc, 1, v6
	s_and_saveexec_b64 s[2:3], vcc
; %bb.197:
	v_sub_u32_e32 v6, v28, v20
	v_lshlrev_b32_e32 v6, 3, v6
	ds_write_b64 v6, v[8:9]
; %bb.198:
	s_or_b64 exec, exec, s[2:3]
	v_and_b32_e32 v6, 1, v33
	;; [unrolled: 9-line block ×4, first 2 shown]
	v_cmp_eq_u32_e32 vcc, 1, v2
	s_and_saveexec_b64 s[2:3], vcc
; %bb.203:
	v_sub_u32_e32 v2, v22, v20
	v_lshlrev_b32_e32 v2, 3, v2
	ds_write_b64 v2, v[12:13]
; %bb.204:
	s_or_b64 exec, exec, s[2:3]
	v_mov_b32_e32 v3, 0
	v_mov_b32_e32 v21, v3
	v_lshlrev_b64 v[4:5], 3, v[20:21]
	s_waitcnt lgkmcnt(0)
	v_lshl_add_u64 v[4:5], s[8:9], 0, v[4:5]
	s_lshl_b64 s[2:3], s[26:27], 3
	v_lshl_add_u64 v[4:5], v[4:5], 0, s[2:3]
	v_lshlrev_b32_e32 v6, 3, v0
	s_mov_b64 s[2:3], 0
	v_mov_b32_e32 v2, v0
	s_barrier
.LBB595_205:                            ; =>This Inner Loop Header: Depth=1
	ds_read_b64 v[8:9], v6
	v_lshl_add_u64 v[12:13], v[2:3], 3, v[4:5]
	v_add_u32_e32 v2, 0x80, v2
	v_cmp_ge_u32_e32 vcc, v2, v18
	v_add_u32_e32 v6, 0x400, v6
	s_or_b64 s[2:3], vcc, s[2:3]
	s_waitcnt lgkmcnt(0)
	global_store_dwordx2 v[12:13], v[8:9], off
	s_andn2_b64 exec, exec, s[2:3]
	s_cbranch_execnz .LBB595_205
; %bb.206:
	s_or_b64 exec, exec, s[2:3]
.LBB595_207:
	s_mov_b64 s[2:3], -1
	s_and_b64 vcc, exec, s[0:1]
	s_waitcnt lgkmcnt(0)
	s_barrier
	s_cbranch_vccnz .LBB595_211
; %bb.208:
	s_and_b64 vcc, exec, s[2:3]
	s_cbranch_vccnz .LBB595_222
.LBB595_209:
	v_cmp_eq_u32_e32 vcc, 0, v0
	s_and_b64 s[0:1], vcc, s[28:29]
	s_and_saveexec_b64 s[2:3], s[0:1]
	s_cbranch_execnz .LBB595_235
.LBB595_210:
	s_endpgm
.LBB595_211:
	v_cmp_lt_u32_e32 vcc, v30, v17
	s_or_b64 s[0:1], s[34:35], vcc
	v_cmp_eq_u32_e32 vcc, 1, v15
	s_and_b64 s[2:3], s[0:1], vcc
	s_and_saveexec_b64 s[0:1], s[2:3]
	s_cbranch_execz .LBB595_213
; %bb.212:
	s_lshl_b64 s[2:3], s[26:27], 3
	s_add_u32 s2, s10, s2
	s_addc_u32 s3, s11, s3
	v_mov_b32_e32 v31, 0
	v_lshl_add_u64 v[2:3], v[30:31], 3, s[2:3]
	global_store_dwordx2 v[2:3], v[56:57], off
.LBB595_213:
	s_or_b64 exec, exec, s[0:1]
	v_cmp_lt_u32_e32 vcc, v28, v17
	v_and_b32_e32 v2, 1, v34
	s_or_b64 s[0:1], s[34:35], vcc
	v_cmp_eq_u32_e32 vcc, 1, v2
	s_and_b64 s[2:3], s[0:1], vcc
	s_and_saveexec_b64 s[0:1], s[2:3]
	s_cbranch_execz .LBB595_215
; %bb.214:
	s_lshl_b64 s[2:3], s[26:27], 3
	s_add_u32 s2, s10, s2
	s_addc_u32 s3, s11, s3
	v_mov_b32_e32 v29, 0
	v_lshl_add_u64 v[2:3], v[28:29], 3, s[2:3]
	global_store_dwordx2 v[2:3], v[58:59], off
.LBB595_215:
	s_or_b64 exec, exec, s[0:1]
	v_cmp_lt_u32_e32 vcc, v26, v17
	v_and_b32_e32 v2, 1, v33
	;; [unrolled: 16-line block ×4, first 2 shown]
	s_or_b64 s[0:1], s[34:35], vcc
	v_cmp_eq_u32_e32 vcc, 1, v2
	s_and_b64 s[2:3], s[0:1], vcc
	s_and_saveexec_b64 s[0:1], s[2:3]
	s_cbranch_execz .LBB595_221
; %bb.220:
	s_lshl_b64 s[2:3], s[26:27], 3
	s_add_u32 s2, s10, s2
	s_addc_u32 s3, s11, s3
	v_mov_b32_e32 v23, 0
	v_lshl_add_u64 v[2:3], v[22:23], 3, s[2:3]
	global_store_dwordx2 v[2:3], v[10:11], off
.LBB595_221:
	s_or_b64 exec, exec, s[0:1]
	s_branch .LBB595_209
.LBB595_222:
	v_cmp_eq_u32_e32 vcc, 1, v15
	s_and_saveexec_b64 s[0:1], vcc
; %bb.223:
	v_sub_u32_e32 v2, v30, v20
	v_lshlrev_b32_e32 v2, 3, v2
	ds_write_b64 v2, v[56:57]
; %bb.224:
	s_or_b64 exec, exec, s[0:1]
	v_and_b32_e32 v2, 1, v34
	v_cmp_eq_u32_e32 vcc, 1, v2
	s_and_saveexec_b64 s[0:1], vcc
; %bb.225:
	v_sub_u32_e32 v2, v28, v20
	v_lshlrev_b32_e32 v2, 3, v2
	ds_write_b64 v2, v[58:59]
; %bb.226:
	s_or_b64 exec, exec, s[0:1]
	v_and_b32_e32 v2, 1, v33
	;; [unrolled: 9-line block ×4, first 2 shown]
	v_cmp_eq_u32_e32 vcc, 1, v2
	s_and_saveexec_b64 s[0:1], vcc
; %bb.231:
	v_sub_u32_e32 v2, v22, v20
	v_lshlrev_b32_e32 v2, 3, v2
	ds_write_b64 v2, v[10:11]
; %bb.232:
	s_or_b64 exec, exec, s[0:1]
	v_mov_b32_e32 v3, 0
	v_mov_b32_e32 v21, v3
	v_lshlrev_b64 v[4:5], 3, v[20:21]
	v_lshl_add_u64 v[4:5], s[10:11], 0, v[4:5]
	s_lshl_b64 s[0:1], s[26:27], 3
	v_lshl_add_u64 v[4:5], v[4:5], 0, s[0:1]
	s_mov_b64 s[0:1], 0
	v_mov_b32_e32 v2, v0
	s_waitcnt lgkmcnt(0)
	s_barrier
.LBB595_233:                            ; =>This Inner Loop Header: Depth=1
	ds_read_b64 v[6:7], v1
	v_lshl_add_u64 v[8:9], v[2:3], 3, v[4:5]
	v_add_u32_e32 v2, 0x80, v2
	v_cmp_ge_u32_e32 vcc, v2, v18
	v_add_u32_e32 v1, 0x400, v1
	s_or_b64 s[0:1], vcc, s[0:1]
	s_waitcnt lgkmcnt(0)
	global_store_dwordx2 v[8:9], v[6:7], off
	s_andn2_b64 exec, exec, s[0:1]
	s_cbranch_execnz .LBB595_233
; %bb.234:
	s_or_b64 exec, exec, s[0:1]
	v_cmp_eq_u32_e32 vcc, 0, v0
	s_and_b64 s[0:1], vcc, s[28:29]
	s_and_saveexec_b64 s[2:3], s[0:1]
	s_cbranch_execz .LBB595_210
.LBB595_235:
	v_mov_b32_e32 v19, 0
	v_lshl_add_u64 v[0:1], s[26:27], 0, v[18:19]
	v_mov_b32_e32 v21, v19
	v_lshl_add_u64 v[0:1], v[0:1], 0, v[20:21]
	global_store_dwordx2 v19, v[0:1], s[24:25]
	s_endpgm
	.section	.rodata,"a",@progbits
	.p2align	6, 0x0
	.amdhsa_kernel _ZN7rocprim17ROCPRIM_400000_NS6detail17trampoline_kernelINS0_14default_configENS1_25partition_config_selectorILNS1_17partition_subalgoE9EllbEEZZNS1_14partition_implILS5_9ELb0ES3_jPlS8_PNS0_10empty_typeENS0_5tupleIJS8_S9_EEENSB_IJS8_SA_EEENS0_18inequality_wrapperIZN2at6native12_GLOBAL__N_124unique_dim_cuda_templateIlEESt5tupleIJNSF_6TensorESK_SK_EERKSK_lbbbEUlllE0_EEPmJS9_EEE10hipError_tPvRmT3_T4_T5_T6_T7_T9_mT8_P12ihipStream_tbDpT10_ENKUlT_T0_E_clISt17integral_constantIbLb0EES1A_EEDaS15_S16_EUlS15_E_NS1_11comp_targetILNS1_3genE0ELNS1_11target_archE4294967295ELNS1_3gpuE0ELNS1_3repE0EEENS1_30default_config_static_selectorELNS0_4arch9wavefront6targetE1EEEvT1_
		.amdhsa_group_segment_fixed_size 5128
		.amdhsa_private_segment_fixed_size 0
		.amdhsa_kernarg_size 120
		.amdhsa_user_sgpr_count 2
		.amdhsa_user_sgpr_dispatch_ptr 0
		.amdhsa_user_sgpr_queue_ptr 0
		.amdhsa_user_sgpr_kernarg_segment_ptr 1
		.amdhsa_user_sgpr_dispatch_id 0
		.amdhsa_user_sgpr_kernarg_preload_length 0
		.amdhsa_user_sgpr_kernarg_preload_offset 0
		.amdhsa_user_sgpr_private_segment_size 0
		.amdhsa_uses_dynamic_stack 0
		.amdhsa_enable_private_segment 0
		.amdhsa_system_sgpr_workgroup_id_x 1
		.amdhsa_system_sgpr_workgroup_id_y 0
		.amdhsa_system_sgpr_workgroup_id_z 0
		.amdhsa_system_sgpr_workgroup_info 0
		.amdhsa_system_vgpr_workitem_id 0
		.amdhsa_next_free_vgpr 60
		.amdhsa_next_free_sgpr 46
		.amdhsa_accum_offset 60
		.amdhsa_reserve_vcc 1
		.amdhsa_float_round_mode_32 0
		.amdhsa_float_round_mode_16_64 0
		.amdhsa_float_denorm_mode_32 3
		.amdhsa_float_denorm_mode_16_64 3
		.amdhsa_dx10_clamp 1
		.amdhsa_ieee_mode 1
		.amdhsa_fp16_overflow 0
		.amdhsa_tg_split 0
		.amdhsa_exception_fp_ieee_invalid_op 0
		.amdhsa_exception_fp_denorm_src 0
		.amdhsa_exception_fp_ieee_div_zero 0
		.amdhsa_exception_fp_ieee_overflow 0
		.amdhsa_exception_fp_ieee_underflow 0
		.amdhsa_exception_fp_ieee_inexact 0
		.amdhsa_exception_int_div_zero 0
	.end_amdhsa_kernel
	.section	.text._ZN7rocprim17ROCPRIM_400000_NS6detail17trampoline_kernelINS0_14default_configENS1_25partition_config_selectorILNS1_17partition_subalgoE9EllbEEZZNS1_14partition_implILS5_9ELb0ES3_jPlS8_PNS0_10empty_typeENS0_5tupleIJS8_S9_EEENSB_IJS8_SA_EEENS0_18inequality_wrapperIZN2at6native12_GLOBAL__N_124unique_dim_cuda_templateIlEESt5tupleIJNSF_6TensorESK_SK_EERKSK_lbbbEUlllE0_EEPmJS9_EEE10hipError_tPvRmT3_T4_T5_T6_T7_T9_mT8_P12ihipStream_tbDpT10_ENKUlT_T0_E_clISt17integral_constantIbLb0EES1A_EEDaS15_S16_EUlS15_E_NS1_11comp_targetILNS1_3genE0ELNS1_11target_archE4294967295ELNS1_3gpuE0ELNS1_3repE0EEENS1_30default_config_static_selectorELNS0_4arch9wavefront6targetE1EEEvT1_,"axG",@progbits,_ZN7rocprim17ROCPRIM_400000_NS6detail17trampoline_kernelINS0_14default_configENS1_25partition_config_selectorILNS1_17partition_subalgoE9EllbEEZZNS1_14partition_implILS5_9ELb0ES3_jPlS8_PNS0_10empty_typeENS0_5tupleIJS8_S9_EEENSB_IJS8_SA_EEENS0_18inequality_wrapperIZN2at6native12_GLOBAL__N_124unique_dim_cuda_templateIlEESt5tupleIJNSF_6TensorESK_SK_EERKSK_lbbbEUlllE0_EEPmJS9_EEE10hipError_tPvRmT3_T4_T5_T6_T7_T9_mT8_P12ihipStream_tbDpT10_ENKUlT_T0_E_clISt17integral_constantIbLb0EES1A_EEDaS15_S16_EUlS15_E_NS1_11comp_targetILNS1_3genE0ELNS1_11target_archE4294967295ELNS1_3gpuE0ELNS1_3repE0EEENS1_30default_config_static_selectorELNS0_4arch9wavefront6targetE1EEEvT1_,comdat
.Lfunc_end595:
	.size	_ZN7rocprim17ROCPRIM_400000_NS6detail17trampoline_kernelINS0_14default_configENS1_25partition_config_selectorILNS1_17partition_subalgoE9EllbEEZZNS1_14partition_implILS5_9ELb0ES3_jPlS8_PNS0_10empty_typeENS0_5tupleIJS8_S9_EEENSB_IJS8_SA_EEENS0_18inequality_wrapperIZN2at6native12_GLOBAL__N_124unique_dim_cuda_templateIlEESt5tupleIJNSF_6TensorESK_SK_EERKSK_lbbbEUlllE0_EEPmJS9_EEE10hipError_tPvRmT3_T4_T5_T6_T7_T9_mT8_P12ihipStream_tbDpT10_ENKUlT_T0_E_clISt17integral_constantIbLb0EES1A_EEDaS15_S16_EUlS15_E_NS1_11comp_targetILNS1_3genE0ELNS1_11target_archE4294967295ELNS1_3gpuE0ELNS1_3repE0EEENS1_30default_config_static_selectorELNS0_4arch9wavefront6targetE1EEEvT1_, .Lfunc_end595-_ZN7rocprim17ROCPRIM_400000_NS6detail17trampoline_kernelINS0_14default_configENS1_25partition_config_selectorILNS1_17partition_subalgoE9EllbEEZZNS1_14partition_implILS5_9ELb0ES3_jPlS8_PNS0_10empty_typeENS0_5tupleIJS8_S9_EEENSB_IJS8_SA_EEENS0_18inequality_wrapperIZN2at6native12_GLOBAL__N_124unique_dim_cuda_templateIlEESt5tupleIJNSF_6TensorESK_SK_EERKSK_lbbbEUlllE0_EEPmJS9_EEE10hipError_tPvRmT3_T4_T5_T6_T7_T9_mT8_P12ihipStream_tbDpT10_ENKUlT_T0_E_clISt17integral_constantIbLb0EES1A_EEDaS15_S16_EUlS15_E_NS1_11comp_targetILNS1_3genE0ELNS1_11target_archE4294967295ELNS1_3gpuE0ELNS1_3repE0EEENS1_30default_config_static_selectorELNS0_4arch9wavefront6targetE1EEEvT1_
                                        ; -- End function
	.set _ZN7rocprim17ROCPRIM_400000_NS6detail17trampoline_kernelINS0_14default_configENS1_25partition_config_selectorILNS1_17partition_subalgoE9EllbEEZZNS1_14partition_implILS5_9ELb0ES3_jPlS8_PNS0_10empty_typeENS0_5tupleIJS8_S9_EEENSB_IJS8_SA_EEENS0_18inequality_wrapperIZN2at6native12_GLOBAL__N_124unique_dim_cuda_templateIlEESt5tupleIJNSF_6TensorESK_SK_EERKSK_lbbbEUlllE0_EEPmJS9_EEE10hipError_tPvRmT3_T4_T5_T6_T7_T9_mT8_P12ihipStream_tbDpT10_ENKUlT_T0_E_clISt17integral_constantIbLb0EES1A_EEDaS15_S16_EUlS15_E_NS1_11comp_targetILNS1_3genE0ELNS1_11target_archE4294967295ELNS1_3gpuE0ELNS1_3repE0EEENS1_30default_config_static_selectorELNS0_4arch9wavefront6targetE1EEEvT1_.num_vgpr, 60
	.set _ZN7rocprim17ROCPRIM_400000_NS6detail17trampoline_kernelINS0_14default_configENS1_25partition_config_selectorILNS1_17partition_subalgoE9EllbEEZZNS1_14partition_implILS5_9ELb0ES3_jPlS8_PNS0_10empty_typeENS0_5tupleIJS8_S9_EEENSB_IJS8_SA_EEENS0_18inequality_wrapperIZN2at6native12_GLOBAL__N_124unique_dim_cuda_templateIlEESt5tupleIJNSF_6TensorESK_SK_EERKSK_lbbbEUlllE0_EEPmJS9_EEE10hipError_tPvRmT3_T4_T5_T6_T7_T9_mT8_P12ihipStream_tbDpT10_ENKUlT_T0_E_clISt17integral_constantIbLb0EES1A_EEDaS15_S16_EUlS15_E_NS1_11comp_targetILNS1_3genE0ELNS1_11target_archE4294967295ELNS1_3gpuE0ELNS1_3repE0EEENS1_30default_config_static_selectorELNS0_4arch9wavefront6targetE1EEEvT1_.num_agpr, 0
	.set _ZN7rocprim17ROCPRIM_400000_NS6detail17trampoline_kernelINS0_14default_configENS1_25partition_config_selectorILNS1_17partition_subalgoE9EllbEEZZNS1_14partition_implILS5_9ELb0ES3_jPlS8_PNS0_10empty_typeENS0_5tupleIJS8_S9_EEENSB_IJS8_SA_EEENS0_18inequality_wrapperIZN2at6native12_GLOBAL__N_124unique_dim_cuda_templateIlEESt5tupleIJNSF_6TensorESK_SK_EERKSK_lbbbEUlllE0_EEPmJS9_EEE10hipError_tPvRmT3_T4_T5_T6_T7_T9_mT8_P12ihipStream_tbDpT10_ENKUlT_T0_E_clISt17integral_constantIbLb0EES1A_EEDaS15_S16_EUlS15_E_NS1_11comp_targetILNS1_3genE0ELNS1_11target_archE4294967295ELNS1_3gpuE0ELNS1_3repE0EEENS1_30default_config_static_selectorELNS0_4arch9wavefront6targetE1EEEvT1_.numbered_sgpr, 46
	.set _ZN7rocprim17ROCPRIM_400000_NS6detail17trampoline_kernelINS0_14default_configENS1_25partition_config_selectorILNS1_17partition_subalgoE9EllbEEZZNS1_14partition_implILS5_9ELb0ES3_jPlS8_PNS0_10empty_typeENS0_5tupleIJS8_S9_EEENSB_IJS8_SA_EEENS0_18inequality_wrapperIZN2at6native12_GLOBAL__N_124unique_dim_cuda_templateIlEESt5tupleIJNSF_6TensorESK_SK_EERKSK_lbbbEUlllE0_EEPmJS9_EEE10hipError_tPvRmT3_T4_T5_T6_T7_T9_mT8_P12ihipStream_tbDpT10_ENKUlT_T0_E_clISt17integral_constantIbLb0EES1A_EEDaS15_S16_EUlS15_E_NS1_11comp_targetILNS1_3genE0ELNS1_11target_archE4294967295ELNS1_3gpuE0ELNS1_3repE0EEENS1_30default_config_static_selectorELNS0_4arch9wavefront6targetE1EEEvT1_.num_named_barrier, 0
	.set _ZN7rocprim17ROCPRIM_400000_NS6detail17trampoline_kernelINS0_14default_configENS1_25partition_config_selectorILNS1_17partition_subalgoE9EllbEEZZNS1_14partition_implILS5_9ELb0ES3_jPlS8_PNS0_10empty_typeENS0_5tupleIJS8_S9_EEENSB_IJS8_SA_EEENS0_18inequality_wrapperIZN2at6native12_GLOBAL__N_124unique_dim_cuda_templateIlEESt5tupleIJNSF_6TensorESK_SK_EERKSK_lbbbEUlllE0_EEPmJS9_EEE10hipError_tPvRmT3_T4_T5_T6_T7_T9_mT8_P12ihipStream_tbDpT10_ENKUlT_T0_E_clISt17integral_constantIbLb0EES1A_EEDaS15_S16_EUlS15_E_NS1_11comp_targetILNS1_3genE0ELNS1_11target_archE4294967295ELNS1_3gpuE0ELNS1_3repE0EEENS1_30default_config_static_selectorELNS0_4arch9wavefront6targetE1EEEvT1_.private_seg_size, 0
	.set _ZN7rocprim17ROCPRIM_400000_NS6detail17trampoline_kernelINS0_14default_configENS1_25partition_config_selectorILNS1_17partition_subalgoE9EllbEEZZNS1_14partition_implILS5_9ELb0ES3_jPlS8_PNS0_10empty_typeENS0_5tupleIJS8_S9_EEENSB_IJS8_SA_EEENS0_18inequality_wrapperIZN2at6native12_GLOBAL__N_124unique_dim_cuda_templateIlEESt5tupleIJNSF_6TensorESK_SK_EERKSK_lbbbEUlllE0_EEPmJS9_EEE10hipError_tPvRmT3_T4_T5_T6_T7_T9_mT8_P12ihipStream_tbDpT10_ENKUlT_T0_E_clISt17integral_constantIbLb0EES1A_EEDaS15_S16_EUlS15_E_NS1_11comp_targetILNS1_3genE0ELNS1_11target_archE4294967295ELNS1_3gpuE0ELNS1_3repE0EEENS1_30default_config_static_selectorELNS0_4arch9wavefront6targetE1EEEvT1_.uses_vcc, 1
	.set _ZN7rocprim17ROCPRIM_400000_NS6detail17trampoline_kernelINS0_14default_configENS1_25partition_config_selectorILNS1_17partition_subalgoE9EllbEEZZNS1_14partition_implILS5_9ELb0ES3_jPlS8_PNS0_10empty_typeENS0_5tupleIJS8_S9_EEENSB_IJS8_SA_EEENS0_18inequality_wrapperIZN2at6native12_GLOBAL__N_124unique_dim_cuda_templateIlEESt5tupleIJNSF_6TensorESK_SK_EERKSK_lbbbEUlllE0_EEPmJS9_EEE10hipError_tPvRmT3_T4_T5_T6_T7_T9_mT8_P12ihipStream_tbDpT10_ENKUlT_T0_E_clISt17integral_constantIbLb0EES1A_EEDaS15_S16_EUlS15_E_NS1_11comp_targetILNS1_3genE0ELNS1_11target_archE4294967295ELNS1_3gpuE0ELNS1_3repE0EEENS1_30default_config_static_selectorELNS0_4arch9wavefront6targetE1EEEvT1_.uses_flat_scratch, 0
	.set _ZN7rocprim17ROCPRIM_400000_NS6detail17trampoline_kernelINS0_14default_configENS1_25partition_config_selectorILNS1_17partition_subalgoE9EllbEEZZNS1_14partition_implILS5_9ELb0ES3_jPlS8_PNS0_10empty_typeENS0_5tupleIJS8_S9_EEENSB_IJS8_SA_EEENS0_18inequality_wrapperIZN2at6native12_GLOBAL__N_124unique_dim_cuda_templateIlEESt5tupleIJNSF_6TensorESK_SK_EERKSK_lbbbEUlllE0_EEPmJS9_EEE10hipError_tPvRmT3_T4_T5_T6_T7_T9_mT8_P12ihipStream_tbDpT10_ENKUlT_T0_E_clISt17integral_constantIbLb0EES1A_EEDaS15_S16_EUlS15_E_NS1_11comp_targetILNS1_3genE0ELNS1_11target_archE4294967295ELNS1_3gpuE0ELNS1_3repE0EEENS1_30default_config_static_selectorELNS0_4arch9wavefront6targetE1EEEvT1_.has_dyn_sized_stack, 0
	.set _ZN7rocprim17ROCPRIM_400000_NS6detail17trampoline_kernelINS0_14default_configENS1_25partition_config_selectorILNS1_17partition_subalgoE9EllbEEZZNS1_14partition_implILS5_9ELb0ES3_jPlS8_PNS0_10empty_typeENS0_5tupleIJS8_S9_EEENSB_IJS8_SA_EEENS0_18inequality_wrapperIZN2at6native12_GLOBAL__N_124unique_dim_cuda_templateIlEESt5tupleIJNSF_6TensorESK_SK_EERKSK_lbbbEUlllE0_EEPmJS9_EEE10hipError_tPvRmT3_T4_T5_T6_T7_T9_mT8_P12ihipStream_tbDpT10_ENKUlT_T0_E_clISt17integral_constantIbLb0EES1A_EEDaS15_S16_EUlS15_E_NS1_11comp_targetILNS1_3genE0ELNS1_11target_archE4294967295ELNS1_3gpuE0ELNS1_3repE0EEENS1_30default_config_static_selectorELNS0_4arch9wavefront6targetE1EEEvT1_.has_recursion, 0
	.set _ZN7rocprim17ROCPRIM_400000_NS6detail17trampoline_kernelINS0_14default_configENS1_25partition_config_selectorILNS1_17partition_subalgoE9EllbEEZZNS1_14partition_implILS5_9ELb0ES3_jPlS8_PNS0_10empty_typeENS0_5tupleIJS8_S9_EEENSB_IJS8_SA_EEENS0_18inequality_wrapperIZN2at6native12_GLOBAL__N_124unique_dim_cuda_templateIlEESt5tupleIJNSF_6TensorESK_SK_EERKSK_lbbbEUlllE0_EEPmJS9_EEE10hipError_tPvRmT3_T4_T5_T6_T7_T9_mT8_P12ihipStream_tbDpT10_ENKUlT_T0_E_clISt17integral_constantIbLb0EES1A_EEDaS15_S16_EUlS15_E_NS1_11comp_targetILNS1_3genE0ELNS1_11target_archE4294967295ELNS1_3gpuE0ELNS1_3repE0EEENS1_30default_config_static_selectorELNS0_4arch9wavefront6targetE1EEEvT1_.has_indirect_call, 0
	.section	.AMDGPU.csdata,"",@progbits
; Kernel info:
; codeLenInByte = 9496
; TotalNumSgprs: 52
; NumVgprs: 60
; NumAgprs: 0
; TotalNumVgprs: 60
; ScratchSize: 0
; MemoryBound: 0
; FloatMode: 240
; IeeeMode: 1
; LDSByteSize: 5128 bytes/workgroup (compile time only)
; SGPRBlocks: 6
; VGPRBlocks: 7
; NumSGPRsForWavesPerEU: 52
; NumVGPRsForWavesPerEU: 60
; AccumOffset: 60
; Occupancy: 8
; WaveLimiterHint : 1
; COMPUTE_PGM_RSRC2:SCRATCH_EN: 0
; COMPUTE_PGM_RSRC2:USER_SGPR: 2
; COMPUTE_PGM_RSRC2:TRAP_HANDLER: 0
; COMPUTE_PGM_RSRC2:TGID_X_EN: 1
; COMPUTE_PGM_RSRC2:TGID_Y_EN: 0
; COMPUTE_PGM_RSRC2:TGID_Z_EN: 0
; COMPUTE_PGM_RSRC2:TIDIG_COMP_CNT: 0
; COMPUTE_PGM_RSRC3_GFX90A:ACCUM_OFFSET: 14
; COMPUTE_PGM_RSRC3_GFX90A:TG_SPLIT: 0
	.section	.text._ZN7rocprim17ROCPRIM_400000_NS6detail17trampoline_kernelINS0_14default_configENS1_25partition_config_selectorILNS1_17partition_subalgoE9EllbEEZZNS1_14partition_implILS5_9ELb0ES3_jPlS8_PNS0_10empty_typeENS0_5tupleIJS8_S9_EEENSB_IJS8_SA_EEENS0_18inequality_wrapperIZN2at6native12_GLOBAL__N_124unique_dim_cuda_templateIlEESt5tupleIJNSF_6TensorESK_SK_EERKSK_lbbbEUlllE0_EEPmJS9_EEE10hipError_tPvRmT3_T4_T5_T6_T7_T9_mT8_P12ihipStream_tbDpT10_ENKUlT_T0_E_clISt17integral_constantIbLb0EES1A_EEDaS15_S16_EUlS15_E_NS1_11comp_targetILNS1_3genE5ELNS1_11target_archE942ELNS1_3gpuE9ELNS1_3repE0EEENS1_30default_config_static_selectorELNS0_4arch9wavefront6targetE1EEEvT1_,"axG",@progbits,_ZN7rocprim17ROCPRIM_400000_NS6detail17trampoline_kernelINS0_14default_configENS1_25partition_config_selectorILNS1_17partition_subalgoE9EllbEEZZNS1_14partition_implILS5_9ELb0ES3_jPlS8_PNS0_10empty_typeENS0_5tupleIJS8_S9_EEENSB_IJS8_SA_EEENS0_18inequality_wrapperIZN2at6native12_GLOBAL__N_124unique_dim_cuda_templateIlEESt5tupleIJNSF_6TensorESK_SK_EERKSK_lbbbEUlllE0_EEPmJS9_EEE10hipError_tPvRmT3_T4_T5_T6_T7_T9_mT8_P12ihipStream_tbDpT10_ENKUlT_T0_E_clISt17integral_constantIbLb0EES1A_EEDaS15_S16_EUlS15_E_NS1_11comp_targetILNS1_3genE5ELNS1_11target_archE942ELNS1_3gpuE9ELNS1_3repE0EEENS1_30default_config_static_selectorELNS0_4arch9wavefront6targetE1EEEvT1_,comdat
	.globl	_ZN7rocprim17ROCPRIM_400000_NS6detail17trampoline_kernelINS0_14default_configENS1_25partition_config_selectorILNS1_17partition_subalgoE9EllbEEZZNS1_14partition_implILS5_9ELb0ES3_jPlS8_PNS0_10empty_typeENS0_5tupleIJS8_S9_EEENSB_IJS8_SA_EEENS0_18inequality_wrapperIZN2at6native12_GLOBAL__N_124unique_dim_cuda_templateIlEESt5tupleIJNSF_6TensorESK_SK_EERKSK_lbbbEUlllE0_EEPmJS9_EEE10hipError_tPvRmT3_T4_T5_T6_T7_T9_mT8_P12ihipStream_tbDpT10_ENKUlT_T0_E_clISt17integral_constantIbLb0EES1A_EEDaS15_S16_EUlS15_E_NS1_11comp_targetILNS1_3genE5ELNS1_11target_archE942ELNS1_3gpuE9ELNS1_3repE0EEENS1_30default_config_static_selectorELNS0_4arch9wavefront6targetE1EEEvT1_ ; -- Begin function _ZN7rocprim17ROCPRIM_400000_NS6detail17trampoline_kernelINS0_14default_configENS1_25partition_config_selectorILNS1_17partition_subalgoE9EllbEEZZNS1_14partition_implILS5_9ELb0ES3_jPlS8_PNS0_10empty_typeENS0_5tupleIJS8_S9_EEENSB_IJS8_SA_EEENS0_18inequality_wrapperIZN2at6native12_GLOBAL__N_124unique_dim_cuda_templateIlEESt5tupleIJNSF_6TensorESK_SK_EERKSK_lbbbEUlllE0_EEPmJS9_EEE10hipError_tPvRmT3_T4_T5_T6_T7_T9_mT8_P12ihipStream_tbDpT10_ENKUlT_T0_E_clISt17integral_constantIbLb0EES1A_EEDaS15_S16_EUlS15_E_NS1_11comp_targetILNS1_3genE5ELNS1_11target_archE942ELNS1_3gpuE9ELNS1_3repE0EEENS1_30default_config_static_selectorELNS0_4arch9wavefront6targetE1EEEvT1_
	.p2align	8
	.type	_ZN7rocprim17ROCPRIM_400000_NS6detail17trampoline_kernelINS0_14default_configENS1_25partition_config_selectorILNS1_17partition_subalgoE9EllbEEZZNS1_14partition_implILS5_9ELb0ES3_jPlS8_PNS0_10empty_typeENS0_5tupleIJS8_S9_EEENSB_IJS8_SA_EEENS0_18inequality_wrapperIZN2at6native12_GLOBAL__N_124unique_dim_cuda_templateIlEESt5tupleIJNSF_6TensorESK_SK_EERKSK_lbbbEUlllE0_EEPmJS9_EEE10hipError_tPvRmT3_T4_T5_T6_T7_T9_mT8_P12ihipStream_tbDpT10_ENKUlT_T0_E_clISt17integral_constantIbLb0EES1A_EEDaS15_S16_EUlS15_E_NS1_11comp_targetILNS1_3genE5ELNS1_11target_archE942ELNS1_3gpuE9ELNS1_3repE0EEENS1_30default_config_static_selectorELNS0_4arch9wavefront6targetE1EEEvT1_,@function
_ZN7rocprim17ROCPRIM_400000_NS6detail17trampoline_kernelINS0_14default_configENS1_25partition_config_selectorILNS1_17partition_subalgoE9EllbEEZZNS1_14partition_implILS5_9ELb0ES3_jPlS8_PNS0_10empty_typeENS0_5tupleIJS8_S9_EEENSB_IJS8_SA_EEENS0_18inequality_wrapperIZN2at6native12_GLOBAL__N_124unique_dim_cuda_templateIlEESt5tupleIJNSF_6TensorESK_SK_EERKSK_lbbbEUlllE0_EEPmJS9_EEE10hipError_tPvRmT3_T4_T5_T6_T7_T9_mT8_P12ihipStream_tbDpT10_ENKUlT_T0_E_clISt17integral_constantIbLb0EES1A_EEDaS15_S16_EUlS15_E_NS1_11comp_targetILNS1_3genE5ELNS1_11target_archE942ELNS1_3gpuE9ELNS1_3repE0EEENS1_30default_config_static_selectorELNS0_4arch9wavefront6targetE1EEEvT1_: ; @_ZN7rocprim17ROCPRIM_400000_NS6detail17trampoline_kernelINS0_14default_configENS1_25partition_config_selectorILNS1_17partition_subalgoE9EllbEEZZNS1_14partition_implILS5_9ELb0ES3_jPlS8_PNS0_10empty_typeENS0_5tupleIJS8_S9_EEENSB_IJS8_SA_EEENS0_18inequality_wrapperIZN2at6native12_GLOBAL__N_124unique_dim_cuda_templateIlEESt5tupleIJNSF_6TensorESK_SK_EERKSK_lbbbEUlllE0_EEPmJS9_EEE10hipError_tPvRmT3_T4_T5_T6_T7_T9_mT8_P12ihipStream_tbDpT10_ENKUlT_T0_E_clISt17integral_constantIbLb0EES1A_EEDaS15_S16_EUlS15_E_NS1_11comp_targetILNS1_3genE5ELNS1_11target_archE942ELNS1_3gpuE9ELNS1_3repE0EEENS1_30default_config_static_selectorELNS0_4arch9wavefront6targetE1EEEvT1_
; %bb.0:
	.section	.rodata,"a",@progbits
	.p2align	6, 0x0
	.amdhsa_kernel _ZN7rocprim17ROCPRIM_400000_NS6detail17trampoline_kernelINS0_14default_configENS1_25partition_config_selectorILNS1_17partition_subalgoE9EllbEEZZNS1_14partition_implILS5_9ELb0ES3_jPlS8_PNS0_10empty_typeENS0_5tupleIJS8_S9_EEENSB_IJS8_SA_EEENS0_18inequality_wrapperIZN2at6native12_GLOBAL__N_124unique_dim_cuda_templateIlEESt5tupleIJNSF_6TensorESK_SK_EERKSK_lbbbEUlllE0_EEPmJS9_EEE10hipError_tPvRmT3_T4_T5_T6_T7_T9_mT8_P12ihipStream_tbDpT10_ENKUlT_T0_E_clISt17integral_constantIbLb0EES1A_EEDaS15_S16_EUlS15_E_NS1_11comp_targetILNS1_3genE5ELNS1_11target_archE942ELNS1_3gpuE9ELNS1_3repE0EEENS1_30default_config_static_selectorELNS0_4arch9wavefront6targetE1EEEvT1_
		.amdhsa_group_segment_fixed_size 0
		.amdhsa_private_segment_fixed_size 0
		.amdhsa_kernarg_size 120
		.amdhsa_user_sgpr_count 2
		.amdhsa_user_sgpr_dispatch_ptr 0
		.amdhsa_user_sgpr_queue_ptr 0
		.amdhsa_user_sgpr_kernarg_segment_ptr 1
		.amdhsa_user_sgpr_dispatch_id 0
		.amdhsa_user_sgpr_kernarg_preload_length 0
		.amdhsa_user_sgpr_kernarg_preload_offset 0
		.amdhsa_user_sgpr_private_segment_size 0
		.amdhsa_uses_dynamic_stack 0
		.amdhsa_enable_private_segment 0
		.amdhsa_system_sgpr_workgroup_id_x 1
		.amdhsa_system_sgpr_workgroup_id_y 0
		.amdhsa_system_sgpr_workgroup_id_z 0
		.amdhsa_system_sgpr_workgroup_info 0
		.amdhsa_system_vgpr_workitem_id 0
		.amdhsa_next_free_vgpr 1
		.amdhsa_next_free_sgpr 0
		.amdhsa_accum_offset 4
		.amdhsa_reserve_vcc 0
		.amdhsa_float_round_mode_32 0
		.amdhsa_float_round_mode_16_64 0
		.amdhsa_float_denorm_mode_32 3
		.amdhsa_float_denorm_mode_16_64 3
		.amdhsa_dx10_clamp 1
		.amdhsa_ieee_mode 1
		.amdhsa_fp16_overflow 0
		.amdhsa_tg_split 0
		.amdhsa_exception_fp_ieee_invalid_op 0
		.amdhsa_exception_fp_denorm_src 0
		.amdhsa_exception_fp_ieee_div_zero 0
		.amdhsa_exception_fp_ieee_overflow 0
		.amdhsa_exception_fp_ieee_underflow 0
		.amdhsa_exception_fp_ieee_inexact 0
		.amdhsa_exception_int_div_zero 0
	.end_amdhsa_kernel
	.section	.text._ZN7rocprim17ROCPRIM_400000_NS6detail17trampoline_kernelINS0_14default_configENS1_25partition_config_selectorILNS1_17partition_subalgoE9EllbEEZZNS1_14partition_implILS5_9ELb0ES3_jPlS8_PNS0_10empty_typeENS0_5tupleIJS8_S9_EEENSB_IJS8_SA_EEENS0_18inequality_wrapperIZN2at6native12_GLOBAL__N_124unique_dim_cuda_templateIlEESt5tupleIJNSF_6TensorESK_SK_EERKSK_lbbbEUlllE0_EEPmJS9_EEE10hipError_tPvRmT3_T4_T5_T6_T7_T9_mT8_P12ihipStream_tbDpT10_ENKUlT_T0_E_clISt17integral_constantIbLb0EES1A_EEDaS15_S16_EUlS15_E_NS1_11comp_targetILNS1_3genE5ELNS1_11target_archE942ELNS1_3gpuE9ELNS1_3repE0EEENS1_30default_config_static_selectorELNS0_4arch9wavefront6targetE1EEEvT1_,"axG",@progbits,_ZN7rocprim17ROCPRIM_400000_NS6detail17trampoline_kernelINS0_14default_configENS1_25partition_config_selectorILNS1_17partition_subalgoE9EllbEEZZNS1_14partition_implILS5_9ELb0ES3_jPlS8_PNS0_10empty_typeENS0_5tupleIJS8_S9_EEENSB_IJS8_SA_EEENS0_18inequality_wrapperIZN2at6native12_GLOBAL__N_124unique_dim_cuda_templateIlEESt5tupleIJNSF_6TensorESK_SK_EERKSK_lbbbEUlllE0_EEPmJS9_EEE10hipError_tPvRmT3_T4_T5_T6_T7_T9_mT8_P12ihipStream_tbDpT10_ENKUlT_T0_E_clISt17integral_constantIbLb0EES1A_EEDaS15_S16_EUlS15_E_NS1_11comp_targetILNS1_3genE5ELNS1_11target_archE942ELNS1_3gpuE9ELNS1_3repE0EEENS1_30default_config_static_selectorELNS0_4arch9wavefront6targetE1EEEvT1_,comdat
.Lfunc_end596:
	.size	_ZN7rocprim17ROCPRIM_400000_NS6detail17trampoline_kernelINS0_14default_configENS1_25partition_config_selectorILNS1_17partition_subalgoE9EllbEEZZNS1_14partition_implILS5_9ELb0ES3_jPlS8_PNS0_10empty_typeENS0_5tupleIJS8_S9_EEENSB_IJS8_SA_EEENS0_18inequality_wrapperIZN2at6native12_GLOBAL__N_124unique_dim_cuda_templateIlEESt5tupleIJNSF_6TensorESK_SK_EERKSK_lbbbEUlllE0_EEPmJS9_EEE10hipError_tPvRmT3_T4_T5_T6_T7_T9_mT8_P12ihipStream_tbDpT10_ENKUlT_T0_E_clISt17integral_constantIbLb0EES1A_EEDaS15_S16_EUlS15_E_NS1_11comp_targetILNS1_3genE5ELNS1_11target_archE942ELNS1_3gpuE9ELNS1_3repE0EEENS1_30default_config_static_selectorELNS0_4arch9wavefront6targetE1EEEvT1_, .Lfunc_end596-_ZN7rocprim17ROCPRIM_400000_NS6detail17trampoline_kernelINS0_14default_configENS1_25partition_config_selectorILNS1_17partition_subalgoE9EllbEEZZNS1_14partition_implILS5_9ELb0ES3_jPlS8_PNS0_10empty_typeENS0_5tupleIJS8_S9_EEENSB_IJS8_SA_EEENS0_18inequality_wrapperIZN2at6native12_GLOBAL__N_124unique_dim_cuda_templateIlEESt5tupleIJNSF_6TensorESK_SK_EERKSK_lbbbEUlllE0_EEPmJS9_EEE10hipError_tPvRmT3_T4_T5_T6_T7_T9_mT8_P12ihipStream_tbDpT10_ENKUlT_T0_E_clISt17integral_constantIbLb0EES1A_EEDaS15_S16_EUlS15_E_NS1_11comp_targetILNS1_3genE5ELNS1_11target_archE942ELNS1_3gpuE9ELNS1_3repE0EEENS1_30default_config_static_selectorELNS0_4arch9wavefront6targetE1EEEvT1_
                                        ; -- End function
	.set _ZN7rocprim17ROCPRIM_400000_NS6detail17trampoline_kernelINS0_14default_configENS1_25partition_config_selectorILNS1_17partition_subalgoE9EllbEEZZNS1_14partition_implILS5_9ELb0ES3_jPlS8_PNS0_10empty_typeENS0_5tupleIJS8_S9_EEENSB_IJS8_SA_EEENS0_18inequality_wrapperIZN2at6native12_GLOBAL__N_124unique_dim_cuda_templateIlEESt5tupleIJNSF_6TensorESK_SK_EERKSK_lbbbEUlllE0_EEPmJS9_EEE10hipError_tPvRmT3_T4_T5_T6_T7_T9_mT8_P12ihipStream_tbDpT10_ENKUlT_T0_E_clISt17integral_constantIbLb0EES1A_EEDaS15_S16_EUlS15_E_NS1_11comp_targetILNS1_3genE5ELNS1_11target_archE942ELNS1_3gpuE9ELNS1_3repE0EEENS1_30default_config_static_selectorELNS0_4arch9wavefront6targetE1EEEvT1_.num_vgpr, 0
	.set _ZN7rocprim17ROCPRIM_400000_NS6detail17trampoline_kernelINS0_14default_configENS1_25partition_config_selectorILNS1_17partition_subalgoE9EllbEEZZNS1_14partition_implILS5_9ELb0ES3_jPlS8_PNS0_10empty_typeENS0_5tupleIJS8_S9_EEENSB_IJS8_SA_EEENS0_18inequality_wrapperIZN2at6native12_GLOBAL__N_124unique_dim_cuda_templateIlEESt5tupleIJNSF_6TensorESK_SK_EERKSK_lbbbEUlllE0_EEPmJS9_EEE10hipError_tPvRmT3_T4_T5_T6_T7_T9_mT8_P12ihipStream_tbDpT10_ENKUlT_T0_E_clISt17integral_constantIbLb0EES1A_EEDaS15_S16_EUlS15_E_NS1_11comp_targetILNS1_3genE5ELNS1_11target_archE942ELNS1_3gpuE9ELNS1_3repE0EEENS1_30default_config_static_selectorELNS0_4arch9wavefront6targetE1EEEvT1_.num_agpr, 0
	.set _ZN7rocprim17ROCPRIM_400000_NS6detail17trampoline_kernelINS0_14default_configENS1_25partition_config_selectorILNS1_17partition_subalgoE9EllbEEZZNS1_14partition_implILS5_9ELb0ES3_jPlS8_PNS0_10empty_typeENS0_5tupleIJS8_S9_EEENSB_IJS8_SA_EEENS0_18inequality_wrapperIZN2at6native12_GLOBAL__N_124unique_dim_cuda_templateIlEESt5tupleIJNSF_6TensorESK_SK_EERKSK_lbbbEUlllE0_EEPmJS9_EEE10hipError_tPvRmT3_T4_T5_T6_T7_T9_mT8_P12ihipStream_tbDpT10_ENKUlT_T0_E_clISt17integral_constantIbLb0EES1A_EEDaS15_S16_EUlS15_E_NS1_11comp_targetILNS1_3genE5ELNS1_11target_archE942ELNS1_3gpuE9ELNS1_3repE0EEENS1_30default_config_static_selectorELNS0_4arch9wavefront6targetE1EEEvT1_.numbered_sgpr, 0
	.set _ZN7rocprim17ROCPRIM_400000_NS6detail17trampoline_kernelINS0_14default_configENS1_25partition_config_selectorILNS1_17partition_subalgoE9EllbEEZZNS1_14partition_implILS5_9ELb0ES3_jPlS8_PNS0_10empty_typeENS0_5tupleIJS8_S9_EEENSB_IJS8_SA_EEENS0_18inequality_wrapperIZN2at6native12_GLOBAL__N_124unique_dim_cuda_templateIlEESt5tupleIJNSF_6TensorESK_SK_EERKSK_lbbbEUlllE0_EEPmJS9_EEE10hipError_tPvRmT3_T4_T5_T6_T7_T9_mT8_P12ihipStream_tbDpT10_ENKUlT_T0_E_clISt17integral_constantIbLb0EES1A_EEDaS15_S16_EUlS15_E_NS1_11comp_targetILNS1_3genE5ELNS1_11target_archE942ELNS1_3gpuE9ELNS1_3repE0EEENS1_30default_config_static_selectorELNS0_4arch9wavefront6targetE1EEEvT1_.num_named_barrier, 0
	.set _ZN7rocprim17ROCPRIM_400000_NS6detail17trampoline_kernelINS0_14default_configENS1_25partition_config_selectorILNS1_17partition_subalgoE9EllbEEZZNS1_14partition_implILS5_9ELb0ES3_jPlS8_PNS0_10empty_typeENS0_5tupleIJS8_S9_EEENSB_IJS8_SA_EEENS0_18inequality_wrapperIZN2at6native12_GLOBAL__N_124unique_dim_cuda_templateIlEESt5tupleIJNSF_6TensorESK_SK_EERKSK_lbbbEUlllE0_EEPmJS9_EEE10hipError_tPvRmT3_T4_T5_T6_T7_T9_mT8_P12ihipStream_tbDpT10_ENKUlT_T0_E_clISt17integral_constantIbLb0EES1A_EEDaS15_S16_EUlS15_E_NS1_11comp_targetILNS1_3genE5ELNS1_11target_archE942ELNS1_3gpuE9ELNS1_3repE0EEENS1_30default_config_static_selectorELNS0_4arch9wavefront6targetE1EEEvT1_.private_seg_size, 0
	.set _ZN7rocprim17ROCPRIM_400000_NS6detail17trampoline_kernelINS0_14default_configENS1_25partition_config_selectorILNS1_17partition_subalgoE9EllbEEZZNS1_14partition_implILS5_9ELb0ES3_jPlS8_PNS0_10empty_typeENS0_5tupleIJS8_S9_EEENSB_IJS8_SA_EEENS0_18inequality_wrapperIZN2at6native12_GLOBAL__N_124unique_dim_cuda_templateIlEESt5tupleIJNSF_6TensorESK_SK_EERKSK_lbbbEUlllE0_EEPmJS9_EEE10hipError_tPvRmT3_T4_T5_T6_T7_T9_mT8_P12ihipStream_tbDpT10_ENKUlT_T0_E_clISt17integral_constantIbLb0EES1A_EEDaS15_S16_EUlS15_E_NS1_11comp_targetILNS1_3genE5ELNS1_11target_archE942ELNS1_3gpuE9ELNS1_3repE0EEENS1_30default_config_static_selectorELNS0_4arch9wavefront6targetE1EEEvT1_.uses_vcc, 0
	.set _ZN7rocprim17ROCPRIM_400000_NS6detail17trampoline_kernelINS0_14default_configENS1_25partition_config_selectorILNS1_17partition_subalgoE9EllbEEZZNS1_14partition_implILS5_9ELb0ES3_jPlS8_PNS0_10empty_typeENS0_5tupleIJS8_S9_EEENSB_IJS8_SA_EEENS0_18inequality_wrapperIZN2at6native12_GLOBAL__N_124unique_dim_cuda_templateIlEESt5tupleIJNSF_6TensorESK_SK_EERKSK_lbbbEUlllE0_EEPmJS9_EEE10hipError_tPvRmT3_T4_T5_T6_T7_T9_mT8_P12ihipStream_tbDpT10_ENKUlT_T0_E_clISt17integral_constantIbLb0EES1A_EEDaS15_S16_EUlS15_E_NS1_11comp_targetILNS1_3genE5ELNS1_11target_archE942ELNS1_3gpuE9ELNS1_3repE0EEENS1_30default_config_static_selectorELNS0_4arch9wavefront6targetE1EEEvT1_.uses_flat_scratch, 0
	.set _ZN7rocprim17ROCPRIM_400000_NS6detail17trampoline_kernelINS0_14default_configENS1_25partition_config_selectorILNS1_17partition_subalgoE9EllbEEZZNS1_14partition_implILS5_9ELb0ES3_jPlS8_PNS0_10empty_typeENS0_5tupleIJS8_S9_EEENSB_IJS8_SA_EEENS0_18inequality_wrapperIZN2at6native12_GLOBAL__N_124unique_dim_cuda_templateIlEESt5tupleIJNSF_6TensorESK_SK_EERKSK_lbbbEUlllE0_EEPmJS9_EEE10hipError_tPvRmT3_T4_T5_T6_T7_T9_mT8_P12ihipStream_tbDpT10_ENKUlT_T0_E_clISt17integral_constantIbLb0EES1A_EEDaS15_S16_EUlS15_E_NS1_11comp_targetILNS1_3genE5ELNS1_11target_archE942ELNS1_3gpuE9ELNS1_3repE0EEENS1_30default_config_static_selectorELNS0_4arch9wavefront6targetE1EEEvT1_.has_dyn_sized_stack, 0
	.set _ZN7rocprim17ROCPRIM_400000_NS6detail17trampoline_kernelINS0_14default_configENS1_25partition_config_selectorILNS1_17partition_subalgoE9EllbEEZZNS1_14partition_implILS5_9ELb0ES3_jPlS8_PNS0_10empty_typeENS0_5tupleIJS8_S9_EEENSB_IJS8_SA_EEENS0_18inequality_wrapperIZN2at6native12_GLOBAL__N_124unique_dim_cuda_templateIlEESt5tupleIJNSF_6TensorESK_SK_EERKSK_lbbbEUlllE0_EEPmJS9_EEE10hipError_tPvRmT3_T4_T5_T6_T7_T9_mT8_P12ihipStream_tbDpT10_ENKUlT_T0_E_clISt17integral_constantIbLb0EES1A_EEDaS15_S16_EUlS15_E_NS1_11comp_targetILNS1_3genE5ELNS1_11target_archE942ELNS1_3gpuE9ELNS1_3repE0EEENS1_30default_config_static_selectorELNS0_4arch9wavefront6targetE1EEEvT1_.has_recursion, 0
	.set _ZN7rocprim17ROCPRIM_400000_NS6detail17trampoline_kernelINS0_14default_configENS1_25partition_config_selectorILNS1_17partition_subalgoE9EllbEEZZNS1_14partition_implILS5_9ELb0ES3_jPlS8_PNS0_10empty_typeENS0_5tupleIJS8_S9_EEENSB_IJS8_SA_EEENS0_18inequality_wrapperIZN2at6native12_GLOBAL__N_124unique_dim_cuda_templateIlEESt5tupleIJNSF_6TensorESK_SK_EERKSK_lbbbEUlllE0_EEPmJS9_EEE10hipError_tPvRmT3_T4_T5_T6_T7_T9_mT8_P12ihipStream_tbDpT10_ENKUlT_T0_E_clISt17integral_constantIbLb0EES1A_EEDaS15_S16_EUlS15_E_NS1_11comp_targetILNS1_3genE5ELNS1_11target_archE942ELNS1_3gpuE9ELNS1_3repE0EEENS1_30default_config_static_selectorELNS0_4arch9wavefront6targetE1EEEvT1_.has_indirect_call, 0
	.section	.AMDGPU.csdata,"",@progbits
; Kernel info:
; codeLenInByte = 0
; TotalNumSgprs: 6
; NumVgprs: 0
; NumAgprs: 0
; TotalNumVgprs: 0
; ScratchSize: 0
; MemoryBound: 0
; FloatMode: 240
; IeeeMode: 1
; LDSByteSize: 0 bytes/workgroup (compile time only)
; SGPRBlocks: 0
; VGPRBlocks: 0
; NumSGPRsForWavesPerEU: 6
; NumVGPRsForWavesPerEU: 1
; AccumOffset: 4
; Occupancy: 8
; WaveLimiterHint : 0
; COMPUTE_PGM_RSRC2:SCRATCH_EN: 0
; COMPUTE_PGM_RSRC2:USER_SGPR: 2
; COMPUTE_PGM_RSRC2:TRAP_HANDLER: 0
; COMPUTE_PGM_RSRC2:TGID_X_EN: 1
; COMPUTE_PGM_RSRC2:TGID_Y_EN: 0
; COMPUTE_PGM_RSRC2:TGID_Z_EN: 0
; COMPUTE_PGM_RSRC2:TIDIG_COMP_CNT: 0
; COMPUTE_PGM_RSRC3_GFX90A:ACCUM_OFFSET: 0
; COMPUTE_PGM_RSRC3_GFX90A:TG_SPLIT: 0
	.section	.text._ZN7rocprim17ROCPRIM_400000_NS6detail17trampoline_kernelINS0_14default_configENS1_25partition_config_selectorILNS1_17partition_subalgoE9EllbEEZZNS1_14partition_implILS5_9ELb0ES3_jPlS8_PNS0_10empty_typeENS0_5tupleIJS8_S9_EEENSB_IJS8_SA_EEENS0_18inequality_wrapperIZN2at6native12_GLOBAL__N_124unique_dim_cuda_templateIlEESt5tupleIJNSF_6TensorESK_SK_EERKSK_lbbbEUlllE0_EEPmJS9_EEE10hipError_tPvRmT3_T4_T5_T6_T7_T9_mT8_P12ihipStream_tbDpT10_ENKUlT_T0_E_clISt17integral_constantIbLb0EES1A_EEDaS15_S16_EUlS15_E_NS1_11comp_targetILNS1_3genE4ELNS1_11target_archE910ELNS1_3gpuE8ELNS1_3repE0EEENS1_30default_config_static_selectorELNS0_4arch9wavefront6targetE1EEEvT1_,"axG",@progbits,_ZN7rocprim17ROCPRIM_400000_NS6detail17trampoline_kernelINS0_14default_configENS1_25partition_config_selectorILNS1_17partition_subalgoE9EllbEEZZNS1_14partition_implILS5_9ELb0ES3_jPlS8_PNS0_10empty_typeENS0_5tupleIJS8_S9_EEENSB_IJS8_SA_EEENS0_18inequality_wrapperIZN2at6native12_GLOBAL__N_124unique_dim_cuda_templateIlEESt5tupleIJNSF_6TensorESK_SK_EERKSK_lbbbEUlllE0_EEPmJS9_EEE10hipError_tPvRmT3_T4_T5_T6_T7_T9_mT8_P12ihipStream_tbDpT10_ENKUlT_T0_E_clISt17integral_constantIbLb0EES1A_EEDaS15_S16_EUlS15_E_NS1_11comp_targetILNS1_3genE4ELNS1_11target_archE910ELNS1_3gpuE8ELNS1_3repE0EEENS1_30default_config_static_selectorELNS0_4arch9wavefront6targetE1EEEvT1_,comdat
	.globl	_ZN7rocprim17ROCPRIM_400000_NS6detail17trampoline_kernelINS0_14default_configENS1_25partition_config_selectorILNS1_17partition_subalgoE9EllbEEZZNS1_14partition_implILS5_9ELb0ES3_jPlS8_PNS0_10empty_typeENS0_5tupleIJS8_S9_EEENSB_IJS8_SA_EEENS0_18inequality_wrapperIZN2at6native12_GLOBAL__N_124unique_dim_cuda_templateIlEESt5tupleIJNSF_6TensorESK_SK_EERKSK_lbbbEUlllE0_EEPmJS9_EEE10hipError_tPvRmT3_T4_T5_T6_T7_T9_mT8_P12ihipStream_tbDpT10_ENKUlT_T0_E_clISt17integral_constantIbLb0EES1A_EEDaS15_S16_EUlS15_E_NS1_11comp_targetILNS1_3genE4ELNS1_11target_archE910ELNS1_3gpuE8ELNS1_3repE0EEENS1_30default_config_static_selectorELNS0_4arch9wavefront6targetE1EEEvT1_ ; -- Begin function _ZN7rocprim17ROCPRIM_400000_NS6detail17trampoline_kernelINS0_14default_configENS1_25partition_config_selectorILNS1_17partition_subalgoE9EllbEEZZNS1_14partition_implILS5_9ELb0ES3_jPlS8_PNS0_10empty_typeENS0_5tupleIJS8_S9_EEENSB_IJS8_SA_EEENS0_18inequality_wrapperIZN2at6native12_GLOBAL__N_124unique_dim_cuda_templateIlEESt5tupleIJNSF_6TensorESK_SK_EERKSK_lbbbEUlllE0_EEPmJS9_EEE10hipError_tPvRmT3_T4_T5_T6_T7_T9_mT8_P12ihipStream_tbDpT10_ENKUlT_T0_E_clISt17integral_constantIbLb0EES1A_EEDaS15_S16_EUlS15_E_NS1_11comp_targetILNS1_3genE4ELNS1_11target_archE910ELNS1_3gpuE8ELNS1_3repE0EEENS1_30default_config_static_selectorELNS0_4arch9wavefront6targetE1EEEvT1_
	.p2align	8
	.type	_ZN7rocprim17ROCPRIM_400000_NS6detail17trampoline_kernelINS0_14default_configENS1_25partition_config_selectorILNS1_17partition_subalgoE9EllbEEZZNS1_14partition_implILS5_9ELb0ES3_jPlS8_PNS0_10empty_typeENS0_5tupleIJS8_S9_EEENSB_IJS8_SA_EEENS0_18inequality_wrapperIZN2at6native12_GLOBAL__N_124unique_dim_cuda_templateIlEESt5tupleIJNSF_6TensorESK_SK_EERKSK_lbbbEUlllE0_EEPmJS9_EEE10hipError_tPvRmT3_T4_T5_T6_T7_T9_mT8_P12ihipStream_tbDpT10_ENKUlT_T0_E_clISt17integral_constantIbLb0EES1A_EEDaS15_S16_EUlS15_E_NS1_11comp_targetILNS1_3genE4ELNS1_11target_archE910ELNS1_3gpuE8ELNS1_3repE0EEENS1_30default_config_static_selectorELNS0_4arch9wavefront6targetE1EEEvT1_,@function
_ZN7rocprim17ROCPRIM_400000_NS6detail17trampoline_kernelINS0_14default_configENS1_25partition_config_selectorILNS1_17partition_subalgoE9EllbEEZZNS1_14partition_implILS5_9ELb0ES3_jPlS8_PNS0_10empty_typeENS0_5tupleIJS8_S9_EEENSB_IJS8_SA_EEENS0_18inequality_wrapperIZN2at6native12_GLOBAL__N_124unique_dim_cuda_templateIlEESt5tupleIJNSF_6TensorESK_SK_EERKSK_lbbbEUlllE0_EEPmJS9_EEE10hipError_tPvRmT3_T4_T5_T6_T7_T9_mT8_P12ihipStream_tbDpT10_ENKUlT_T0_E_clISt17integral_constantIbLb0EES1A_EEDaS15_S16_EUlS15_E_NS1_11comp_targetILNS1_3genE4ELNS1_11target_archE910ELNS1_3gpuE8ELNS1_3repE0EEENS1_30default_config_static_selectorELNS0_4arch9wavefront6targetE1EEEvT1_: ; @_ZN7rocprim17ROCPRIM_400000_NS6detail17trampoline_kernelINS0_14default_configENS1_25partition_config_selectorILNS1_17partition_subalgoE9EllbEEZZNS1_14partition_implILS5_9ELb0ES3_jPlS8_PNS0_10empty_typeENS0_5tupleIJS8_S9_EEENSB_IJS8_SA_EEENS0_18inequality_wrapperIZN2at6native12_GLOBAL__N_124unique_dim_cuda_templateIlEESt5tupleIJNSF_6TensorESK_SK_EERKSK_lbbbEUlllE0_EEPmJS9_EEE10hipError_tPvRmT3_T4_T5_T6_T7_T9_mT8_P12ihipStream_tbDpT10_ENKUlT_T0_E_clISt17integral_constantIbLb0EES1A_EEDaS15_S16_EUlS15_E_NS1_11comp_targetILNS1_3genE4ELNS1_11target_archE910ELNS1_3gpuE8ELNS1_3repE0EEENS1_30default_config_static_selectorELNS0_4arch9wavefront6targetE1EEEvT1_
; %bb.0:
	.section	.rodata,"a",@progbits
	.p2align	6, 0x0
	.amdhsa_kernel _ZN7rocprim17ROCPRIM_400000_NS6detail17trampoline_kernelINS0_14default_configENS1_25partition_config_selectorILNS1_17partition_subalgoE9EllbEEZZNS1_14partition_implILS5_9ELb0ES3_jPlS8_PNS0_10empty_typeENS0_5tupleIJS8_S9_EEENSB_IJS8_SA_EEENS0_18inequality_wrapperIZN2at6native12_GLOBAL__N_124unique_dim_cuda_templateIlEESt5tupleIJNSF_6TensorESK_SK_EERKSK_lbbbEUlllE0_EEPmJS9_EEE10hipError_tPvRmT3_T4_T5_T6_T7_T9_mT8_P12ihipStream_tbDpT10_ENKUlT_T0_E_clISt17integral_constantIbLb0EES1A_EEDaS15_S16_EUlS15_E_NS1_11comp_targetILNS1_3genE4ELNS1_11target_archE910ELNS1_3gpuE8ELNS1_3repE0EEENS1_30default_config_static_selectorELNS0_4arch9wavefront6targetE1EEEvT1_
		.amdhsa_group_segment_fixed_size 0
		.amdhsa_private_segment_fixed_size 0
		.amdhsa_kernarg_size 120
		.amdhsa_user_sgpr_count 2
		.amdhsa_user_sgpr_dispatch_ptr 0
		.amdhsa_user_sgpr_queue_ptr 0
		.amdhsa_user_sgpr_kernarg_segment_ptr 1
		.amdhsa_user_sgpr_dispatch_id 0
		.amdhsa_user_sgpr_kernarg_preload_length 0
		.amdhsa_user_sgpr_kernarg_preload_offset 0
		.amdhsa_user_sgpr_private_segment_size 0
		.amdhsa_uses_dynamic_stack 0
		.amdhsa_enable_private_segment 0
		.amdhsa_system_sgpr_workgroup_id_x 1
		.amdhsa_system_sgpr_workgroup_id_y 0
		.amdhsa_system_sgpr_workgroup_id_z 0
		.amdhsa_system_sgpr_workgroup_info 0
		.amdhsa_system_vgpr_workitem_id 0
		.amdhsa_next_free_vgpr 1
		.amdhsa_next_free_sgpr 0
		.amdhsa_accum_offset 4
		.amdhsa_reserve_vcc 0
		.amdhsa_float_round_mode_32 0
		.amdhsa_float_round_mode_16_64 0
		.amdhsa_float_denorm_mode_32 3
		.amdhsa_float_denorm_mode_16_64 3
		.amdhsa_dx10_clamp 1
		.amdhsa_ieee_mode 1
		.amdhsa_fp16_overflow 0
		.amdhsa_tg_split 0
		.amdhsa_exception_fp_ieee_invalid_op 0
		.amdhsa_exception_fp_denorm_src 0
		.amdhsa_exception_fp_ieee_div_zero 0
		.amdhsa_exception_fp_ieee_overflow 0
		.amdhsa_exception_fp_ieee_underflow 0
		.amdhsa_exception_fp_ieee_inexact 0
		.amdhsa_exception_int_div_zero 0
	.end_amdhsa_kernel
	.section	.text._ZN7rocprim17ROCPRIM_400000_NS6detail17trampoline_kernelINS0_14default_configENS1_25partition_config_selectorILNS1_17partition_subalgoE9EllbEEZZNS1_14partition_implILS5_9ELb0ES3_jPlS8_PNS0_10empty_typeENS0_5tupleIJS8_S9_EEENSB_IJS8_SA_EEENS0_18inequality_wrapperIZN2at6native12_GLOBAL__N_124unique_dim_cuda_templateIlEESt5tupleIJNSF_6TensorESK_SK_EERKSK_lbbbEUlllE0_EEPmJS9_EEE10hipError_tPvRmT3_T4_T5_T6_T7_T9_mT8_P12ihipStream_tbDpT10_ENKUlT_T0_E_clISt17integral_constantIbLb0EES1A_EEDaS15_S16_EUlS15_E_NS1_11comp_targetILNS1_3genE4ELNS1_11target_archE910ELNS1_3gpuE8ELNS1_3repE0EEENS1_30default_config_static_selectorELNS0_4arch9wavefront6targetE1EEEvT1_,"axG",@progbits,_ZN7rocprim17ROCPRIM_400000_NS6detail17trampoline_kernelINS0_14default_configENS1_25partition_config_selectorILNS1_17partition_subalgoE9EllbEEZZNS1_14partition_implILS5_9ELb0ES3_jPlS8_PNS0_10empty_typeENS0_5tupleIJS8_S9_EEENSB_IJS8_SA_EEENS0_18inequality_wrapperIZN2at6native12_GLOBAL__N_124unique_dim_cuda_templateIlEESt5tupleIJNSF_6TensorESK_SK_EERKSK_lbbbEUlllE0_EEPmJS9_EEE10hipError_tPvRmT3_T4_T5_T6_T7_T9_mT8_P12ihipStream_tbDpT10_ENKUlT_T0_E_clISt17integral_constantIbLb0EES1A_EEDaS15_S16_EUlS15_E_NS1_11comp_targetILNS1_3genE4ELNS1_11target_archE910ELNS1_3gpuE8ELNS1_3repE0EEENS1_30default_config_static_selectorELNS0_4arch9wavefront6targetE1EEEvT1_,comdat
.Lfunc_end597:
	.size	_ZN7rocprim17ROCPRIM_400000_NS6detail17trampoline_kernelINS0_14default_configENS1_25partition_config_selectorILNS1_17partition_subalgoE9EllbEEZZNS1_14partition_implILS5_9ELb0ES3_jPlS8_PNS0_10empty_typeENS0_5tupleIJS8_S9_EEENSB_IJS8_SA_EEENS0_18inequality_wrapperIZN2at6native12_GLOBAL__N_124unique_dim_cuda_templateIlEESt5tupleIJNSF_6TensorESK_SK_EERKSK_lbbbEUlllE0_EEPmJS9_EEE10hipError_tPvRmT3_T4_T5_T6_T7_T9_mT8_P12ihipStream_tbDpT10_ENKUlT_T0_E_clISt17integral_constantIbLb0EES1A_EEDaS15_S16_EUlS15_E_NS1_11comp_targetILNS1_3genE4ELNS1_11target_archE910ELNS1_3gpuE8ELNS1_3repE0EEENS1_30default_config_static_selectorELNS0_4arch9wavefront6targetE1EEEvT1_, .Lfunc_end597-_ZN7rocprim17ROCPRIM_400000_NS6detail17trampoline_kernelINS0_14default_configENS1_25partition_config_selectorILNS1_17partition_subalgoE9EllbEEZZNS1_14partition_implILS5_9ELb0ES3_jPlS8_PNS0_10empty_typeENS0_5tupleIJS8_S9_EEENSB_IJS8_SA_EEENS0_18inequality_wrapperIZN2at6native12_GLOBAL__N_124unique_dim_cuda_templateIlEESt5tupleIJNSF_6TensorESK_SK_EERKSK_lbbbEUlllE0_EEPmJS9_EEE10hipError_tPvRmT3_T4_T5_T6_T7_T9_mT8_P12ihipStream_tbDpT10_ENKUlT_T0_E_clISt17integral_constantIbLb0EES1A_EEDaS15_S16_EUlS15_E_NS1_11comp_targetILNS1_3genE4ELNS1_11target_archE910ELNS1_3gpuE8ELNS1_3repE0EEENS1_30default_config_static_selectorELNS0_4arch9wavefront6targetE1EEEvT1_
                                        ; -- End function
	.set _ZN7rocprim17ROCPRIM_400000_NS6detail17trampoline_kernelINS0_14default_configENS1_25partition_config_selectorILNS1_17partition_subalgoE9EllbEEZZNS1_14partition_implILS5_9ELb0ES3_jPlS8_PNS0_10empty_typeENS0_5tupleIJS8_S9_EEENSB_IJS8_SA_EEENS0_18inequality_wrapperIZN2at6native12_GLOBAL__N_124unique_dim_cuda_templateIlEESt5tupleIJNSF_6TensorESK_SK_EERKSK_lbbbEUlllE0_EEPmJS9_EEE10hipError_tPvRmT3_T4_T5_T6_T7_T9_mT8_P12ihipStream_tbDpT10_ENKUlT_T0_E_clISt17integral_constantIbLb0EES1A_EEDaS15_S16_EUlS15_E_NS1_11comp_targetILNS1_3genE4ELNS1_11target_archE910ELNS1_3gpuE8ELNS1_3repE0EEENS1_30default_config_static_selectorELNS0_4arch9wavefront6targetE1EEEvT1_.num_vgpr, 0
	.set _ZN7rocprim17ROCPRIM_400000_NS6detail17trampoline_kernelINS0_14default_configENS1_25partition_config_selectorILNS1_17partition_subalgoE9EllbEEZZNS1_14partition_implILS5_9ELb0ES3_jPlS8_PNS0_10empty_typeENS0_5tupleIJS8_S9_EEENSB_IJS8_SA_EEENS0_18inequality_wrapperIZN2at6native12_GLOBAL__N_124unique_dim_cuda_templateIlEESt5tupleIJNSF_6TensorESK_SK_EERKSK_lbbbEUlllE0_EEPmJS9_EEE10hipError_tPvRmT3_T4_T5_T6_T7_T9_mT8_P12ihipStream_tbDpT10_ENKUlT_T0_E_clISt17integral_constantIbLb0EES1A_EEDaS15_S16_EUlS15_E_NS1_11comp_targetILNS1_3genE4ELNS1_11target_archE910ELNS1_3gpuE8ELNS1_3repE0EEENS1_30default_config_static_selectorELNS0_4arch9wavefront6targetE1EEEvT1_.num_agpr, 0
	.set _ZN7rocprim17ROCPRIM_400000_NS6detail17trampoline_kernelINS0_14default_configENS1_25partition_config_selectorILNS1_17partition_subalgoE9EllbEEZZNS1_14partition_implILS5_9ELb0ES3_jPlS8_PNS0_10empty_typeENS0_5tupleIJS8_S9_EEENSB_IJS8_SA_EEENS0_18inequality_wrapperIZN2at6native12_GLOBAL__N_124unique_dim_cuda_templateIlEESt5tupleIJNSF_6TensorESK_SK_EERKSK_lbbbEUlllE0_EEPmJS9_EEE10hipError_tPvRmT3_T4_T5_T6_T7_T9_mT8_P12ihipStream_tbDpT10_ENKUlT_T0_E_clISt17integral_constantIbLb0EES1A_EEDaS15_S16_EUlS15_E_NS1_11comp_targetILNS1_3genE4ELNS1_11target_archE910ELNS1_3gpuE8ELNS1_3repE0EEENS1_30default_config_static_selectorELNS0_4arch9wavefront6targetE1EEEvT1_.numbered_sgpr, 0
	.set _ZN7rocprim17ROCPRIM_400000_NS6detail17trampoline_kernelINS0_14default_configENS1_25partition_config_selectorILNS1_17partition_subalgoE9EllbEEZZNS1_14partition_implILS5_9ELb0ES3_jPlS8_PNS0_10empty_typeENS0_5tupleIJS8_S9_EEENSB_IJS8_SA_EEENS0_18inequality_wrapperIZN2at6native12_GLOBAL__N_124unique_dim_cuda_templateIlEESt5tupleIJNSF_6TensorESK_SK_EERKSK_lbbbEUlllE0_EEPmJS9_EEE10hipError_tPvRmT3_T4_T5_T6_T7_T9_mT8_P12ihipStream_tbDpT10_ENKUlT_T0_E_clISt17integral_constantIbLb0EES1A_EEDaS15_S16_EUlS15_E_NS1_11comp_targetILNS1_3genE4ELNS1_11target_archE910ELNS1_3gpuE8ELNS1_3repE0EEENS1_30default_config_static_selectorELNS0_4arch9wavefront6targetE1EEEvT1_.num_named_barrier, 0
	.set _ZN7rocprim17ROCPRIM_400000_NS6detail17trampoline_kernelINS0_14default_configENS1_25partition_config_selectorILNS1_17partition_subalgoE9EllbEEZZNS1_14partition_implILS5_9ELb0ES3_jPlS8_PNS0_10empty_typeENS0_5tupleIJS8_S9_EEENSB_IJS8_SA_EEENS0_18inequality_wrapperIZN2at6native12_GLOBAL__N_124unique_dim_cuda_templateIlEESt5tupleIJNSF_6TensorESK_SK_EERKSK_lbbbEUlllE0_EEPmJS9_EEE10hipError_tPvRmT3_T4_T5_T6_T7_T9_mT8_P12ihipStream_tbDpT10_ENKUlT_T0_E_clISt17integral_constantIbLb0EES1A_EEDaS15_S16_EUlS15_E_NS1_11comp_targetILNS1_3genE4ELNS1_11target_archE910ELNS1_3gpuE8ELNS1_3repE0EEENS1_30default_config_static_selectorELNS0_4arch9wavefront6targetE1EEEvT1_.private_seg_size, 0
	.set _ZN7rocprim17ROCPRIM_400000_NS6detail17trampoline_kernelINS0_14default_configENS1_25partition_config_selectorILNS1_17partition_subalgoE9EllbEEZZNS1_14partition_implILS5_9ELb0ES3_jPlS8_PNS0_10empty_typeENS0_5tupleIJS8_S9_EEENSB_IJS8_SA_EEENS0_18inequality_wrapperIZN2at6native12_GLOBAL__N_124unique_dim_cuda_templateIlEESt5tupleIJNSF_6TensorESK_SK_EERKSK_lbbbEUlllE0_EEPmJS9_EEE10hipError_tPvRmT3_T4_T5_T6_T7_T9_mT8_P12ihipStream_tbDpT10_ENKUlT_T0_E_clISt17integral_constantIbLb0EES1A_EEDaS15_S16_EUlS15_E_NS1_11comp_targetILNS1_3genE4ELNS1_11target_archE910ELNS1_3gpuE8ELNS1_3repE0EEENS1_30default_config_static_selectorELNS0_4arch9wavefront6targetE1EEEvT1_.uses_vcc, 0
	.set _ZN7rocprim17ROCPRIM_400000_NS6detail17trampoline_kernelINS0_14default_configENS1_25partition_config_selectorILNS1_17partition_subalgoE9EllbEEZZNS1_14partition_implILS5_9ELb0ES3_jPlS8_PNS0_10empty_typeENS0_5tupleIJS8_S9_EEENSB_IJS8_SA_EEENS0_18inequality_wrapperIZN2at6native12_GLOBAL__N_124unique_dim_cuda_templateIlEESt5tupleIJNSF_6TensorESK_SK_EERKSK_lbbbEUlllE0_EEPmJS9_EEE10hipError_tPvRmT3_T4_T5_T6_T7_T9_mT8_P12ihipStream_tbDpT10_ENKUlT_T0_E_clISt17integral_constantIbLb0EES1A_EEDaS15_S16_EUlS15_E_NS1_11comp_targetILNS1_3genE4ELNS1_11target_archE910ELNS1_3gpuE8ELNS1_3repE0EEENS1_30default_config_static_selectorELNS0_4arch9wavefront6targetE1EEEvT1_.uses_flat_scratch, 0
	.set _ZN7rocprim17ROCPRIM_400000_NS6detail17trampoline_kernelINS0_14default_configENS1_25partition_config_selectorILNS1_17partition_subalgoE9EllbEEZZNS1_14partition_implILS5_9ELb0ES3_jPlS8_PNS0_10empty_typeENS0_5tupleIJS8_S9_EEENSB_IJS8_SA_EEENS0_18inequality_wrapperIZN2at6native12_GLOBAL__N_124unique_dim_cuda_templateIlEESt5tupleIJNSF_6TensorESK_SK_EERKSK_lbbbEUlllE0_EEPmJS9_EEE10hipError_tPvRmT3_T4_T5_T6_T7_T9_mT8_P12ihipStream_tbDpT10_ENKUlT_T0_E_clISt17integral_constantIbLb0EES1A_EEDaS15_S16_EUlS15_E_NS1_11comp_targetILNS1_3genE4ELNS1_11target_archE910ELNS1_3gpuE8ELNS1_3repE0EEENS1_30default_config_static_selectorELNS0_4arch9wavefront6targetE1EEEvT1_.has_dyn_sized_stack, 0
	.set _ZN7rocprim17ROCPRIM_400000_NS6detail17trampoline_kernelINS0_14default_configENS1_25partition_config_selectorILNS1_17partition_subalgoE9EllbEEZZNS1_14partition_implILS5_9ELb0ES3_jPlS8_PNS0_10empty_typeENS0_5tupleIJS8_S9_EEENSB_IJS8_SA_EEENS0_18inequality_wrapperIZN2at6native12_GLOBAL__N_124unique_dim_cuda_templateIlEESt5tupleIJNSF_6TensorESK_SK_EERKSK_lbbbEUlllE0_EEPmJS9_EEE10hipError_tPvRmT3_T4_T5_T6_T7_T9_mT8_P12ihipStream_tbDpT10_ENKUlT_T0_E_clISt17integral_constantIbLb0EES1A_EEDaS15_S16_EUlS15_E_NS1_11comp_targetILNS1_3genE4ELNS1_11target_archE910ELNS1_3gpuE8ELNS1_3repE0EEENS1_30default_config_static_selectorELNS0_4arch9wavefront6targetE1EEEvT1_.has_recursion, 0
	.set _ZN7rocprim17ROCPRIM_400000_NS6detail17trampoline_kernelINS0_14default_configENS1_25partition_config_selectorILNS1_17partition_subalgoE9EllbEEZZNS1_14partition_implILS5_9ELb0ES3_jPlS8_PNS0_10empty_typeENS0_5tupleIJS8_S9_EEENSB_IJS8_SA_EEENS0_18inequality_wrapperIZN2at6native12_GLOBAL__N_124unique_dim_cuda_templateIlEESt5tupleIJNSF_6TensorESK_SK_EERKSK_lbbbEUlllE0_EEPmJS9_EEE10hipError_tPvRmT3_T4_T5_T6_T7_T9_mT8_P12ihipStream_tbDpT10_ENKUlT_T0_E_clISt17integral_constantIbLb0EES1A_EEDaS15_S16_EUlS15_E_NS1_11comp_targetILNS1_3genE4ELNS1_11target_archE910ELNS1_3gpuE8ELNS1_3repE0EEENS1_30default_config_static_selectorELNS0_4arch9wavefront6targetE1EEEvT1_.has_indirect_call, 0
	.section	.AMDGPU.csdata,"",@progbits
; Kernel info:
; codeLenInByte = 0
; TotalNumSgprs: 6
; NumVgprs: 0
; NumAgprs: 0
; TotalNumVgprs: 0
; ScratchSize: 0
; MemoryBound: 0
; FloatMode: 240
; IeeeMode: 1
; LDSByteSize: 0 bytes/workgroup (compile time only)
; SGPRBlocks: 0
; VGPRBlocks: 0
; NumSGPRsForWavesPerEU: 6
; NumVGPRsForWavesPerEU: 1
; AccumOffset: 4
; Occupancy: 8
; WaveLimiterHint : 0
; COMPUTE_PGM_RSRC2:SCRATCH_EN: 0
; COMPUTE_PGM_RSRC2:USER_SGPR: 2
; COMPUTE_PGM_RSRC2:TRAP_HANDLER: 0
; COMPUTE_PGM_RSRC2:TGID_X_EN: 1
; COMPUTE_PGM_RSRC2:TGID_Y_EN: 0
; COMPUTE_PGM_RSRC2:TGID_Z_EN: 0
; COMPUTE_PGM_RSRC2:TIDIG_COMP_CNT: 0
; COMPUTE_PGM_RSRC3_GFX90A:ACCUM_OFFSET: 0
; COMPUTE_PGM_RSRC3_GFX90A:TG_SPLIT: 0
	.section	.text._ZN7rocprim17ROCPRIM_400000_NS6detail17trampoline_kernelINS0_14default_configENS1_25partition_config_selectorILNS1_17partition_subalgoE9EllbEEZZNS1_14partition_implILS5_9ELb0ES3_jPlS8_PNS0_10empty_typeENS0_5tupleIJS8_S9_EEENSB_IJS8_SA_EEENS0_18inequality_wrapperIZN2at6native12_GLOBAL__N_124unique_dim_cuda_templateIlEESt5tupleIJNSF_6TensorESK_SK_EERKSK_lbbbEUlllE0_EEPmJS9_EEE10hipError_tPvRmT3_T4_T5_T6_T7_T9_mT8_P12ihipStream_tbDpT10_ENKUlT_T0_E_clISt17integral_constantIbLb0EES1A_EEDaS15_S16_EUlS15_E_NS1_11comp_targetILNS1_3genE3ELNS1_11target_archE908ELNS1_3gpuE7ELNS1_3repE0EEENS1_30default_config_static_selectorELNS0_4arch9wavefront6targetE1EEEvT1_,"axG",@progbits,_ZN7rocprim17ROCPRIM_400000_NS6detail17trampoline_kernelINS0_14default_configENS1_25partition_config_selectorILNS1_17partition_subalgoE9EllbEEZZNS1_14partition_implILS5_9ELb0ES3_jPlS8_PNS0_10empty_typeENS0_5tupleIJS8_S9_EEENSB_IJS8_SA_EEENS0_18inequality_wrapperIZN2at6native12_GLOBAL__N_124unique_dim_cuda_templateIlEESt5tupleIJNSF_6TensorESK_SK_EERKSK_lbbbEUlllE0_EEPmJS9_EEE10hipError_tPvRmT3_T4_T5_T6_T7_T9_mT8_P12ihipStream_tbDpT10_ENKUlT_T0_E_clISt17integral_constantIbLb0EES1A_EEDaS15_S16_EUlS15_E_NS1_11comp_targetILNS1_3genE3ELNS1_11target_archE908ELNS1_3gpuE7ELNS1_3repE0EEENS1_30default_config_static_selectorELNS0_4arch9wavefront6targetE1EEEvT1_,comdat
	.globl	_ZN7rocprim17ROCPRIM_400000_NS6detail17trampoline_kernelINS0_14default_configENS1_25partition_config_selectorILNS1_17partition_subalgoE9EllbEEZZNS1_14partition_implILS5_9ELb0ES3_jPlS8_PNS0_10empty_typeENS0_5tupleIJS8_S9_EEENSB_IJS8_SA_EEENS0_18inequality_wrapperIZN2at6native12_GLOBAL__N_124unique_dim_cuda_templateIlEESt5tupleIJNSF_6TensorESK_SK_EERKSK_lbbbEUlllE0_EEPmJS9_EEE10hipError_tPvRmT3_T4_T5_T6_T7_T9_mT8_P12ihipStream_tbDpT10_ENKUlT_T0_E_clISt17integral_constantIbLb0EES1A_EEDaS15_S16_EUlS15_E_NS1_11comp_targetILNS1_3genE3ELNS1_11target_archE908ELNS1_3gpuE7ELNS1_3repE0EEENS1_30default_config_static_selectorELNS0_4arch9wavefront6targetE1EEEvT1_ ; -- Begin function _ZN7rocprim17ROCPRIM_400000_NS6detail17trampoline_kernelINS0_14default_configENS1_25partition_config_selectorILNS1_17partition_subalgoE9EllbEEZZNS1_14partition_implILS5_9ELb0ES3_jPlS8_PNS0_10empty_typeENS0_5tupleIJS8_S9_EEENSB_IJS8_SA_EEENS0_18inequality_wrapperIZN2at6native12_GLOBAL__N_124unique_dim_cuda_templateIlEESt5tupleIJNSF_6TensorESK_SK_EERKSK_lbbbEUlllE0_EEPmJS9_EEE10hipError_tPvRmT3_T4_T5_T6_T7_T9_mT8_P12ihipStream_tbDpT10_ENKUlT_T0_E_clISt17integral_constantIbLb0EES1A_EEDaS15_S16_EUlS15_E_NS1_11comp_targetILNS1_3genE3ELNS1_11target_archE908ELNS1_3gpuE7ELNS1_3repE0EEENS1_30default_config_static_selectorELNS0_4arch9wavefront6targetE1EEEvT1_
	.p2align	8
	.type	_ZN7rocprim17ROCPRIM_400000_NS6detail17trampoline_kernelINS0_14default_configENS1_25partition_config_selectorILNS1_17partition_subalgoE9EllbEEZZNS1_14partition_implILS5_9ELb0ES3_jPlS8_PNS0_10empty_typeENS0_5tupleIJS8_S9_EEENSB_IJS8_SA_EEENS0_18inequality_wrapperIZN2at6native12_GLOBAL__N_124unique_dim_cuda_templateIlEESt5tupleIJNSF_6TensorESK_SK_EERKSK_lbbbEUlllE0_EEPmJS9_EEE10hipError_tPvRmT3_T4_T5_T6_T7_T9_mT8_P12ihipStream_tbDpT10_ENKUlT_T0_E_clISt17integral_constantIbLb0EES1A_EEDaS15_S16_EUlS15_E_NS1_11comp_targetILNS1_3genE3ELNS1_11target_archE908ELNS1_3gpuE7ELNS1_3repE0EEENS1_30default_config_static_selectorELNS0_4arch9wavefront6targetE1EEEvT1_,@function
_ZN7rocprim17ROCPRIM_400000_NS6detail17trampoline_kernelINS0_14default_configENS1_25partition_config_selectorILNS1_17partition_subalgoE9EllbEEZZNS1_14partition_implILS5_9ELb0ES3_jPlS8_PNS0_10empty_typeENS0_5tupleIJS8_S9_EEENSB_IJS8_SA_EEENS0_18inequality_wrapperIZN2at6native12_GLOBAL__N_124unique_dim_cuda_templateIlEESt5tupleIJNSF_6TensorESK_SK_EERKSK_lbbbEUlllE0_EEPmJS9_EEE10hipError_tPvRmT3_T4_T5_T6_T7_T9_mT8_P12ihipStream_tbDpT10_ENKUlT_T0_E_clISt17integral_constantIbLb0EES1A_EEDaS15_S16_EUlS15_E_NS1_11comp_targetILNS1_3genE3ELNS1_11target_archE908ELNS1_3gpuE7ELNS1_3repE0EEENS1_30default_config_static_selectorELNS0_4arch9wavefront6targetE1EEEvT1_: ; @_ZN7rocprim17ROCPRIM_400000_NS6detail17trampoline_kernelINS0_14default_configENS1_25partition_config_selectorILNS1_17partition_subalgoE9EllbEEZZNS1_14partition_implILS5_9ELb0ES3_jPlS8_PNS0_10empty_typeENS0_5tupleIJS8_S9_EEENSB_IJS8_SA_EEENS0_18inequality_wrapperIZN2at6native12_GLOBAL__N_124unique_dim_cuda_templateIlEESt5tupleIJNSF_6TensorESK_SK_EERKSK_lbbbEUlllE0_EEPmJS9_EEE10hipError_tPvRmT3_T4_T5_T6_T7_T9_mT8_P12ihipStream_tbDpT10_ENKUlT_T0_E_clISt17integral_constantIbLb0EES1A_EEDaS15_S16_EUlS15_E_NS1_11comp_targetILNS1_3genE3ELNS1_11target_archE908ELNS1_3gpuE7ELNS1_3repE0EEENS1_30default_config_static_selectorELNS0_4arch9wavefront6targetE1EEEvT1_
; %bb.0:
	.section	.rodata,"a",@progbits
	.p2align	6, 0x0
	.amdhsa_kernel _ZN7rocprim17ROCPRIM_400000_NS6detail17trampoline_kernelINS0_14default_configENS1_25partition_config_selectorILNS1_17partition_subalgoE9EllbEEZZNS1_14partition_implILS5_9ELb0ES3_jPlS8_PNS0_10empty_typeENS0_5tupleIJS8_S9_EEENSB_IJS8_SA_EEENS0_18inequality_wrapperIZN2at6native12_GLOBAL__N_124unique_dim_cuda_templateIlEESt5tupleIJNSF_6TensorESK_SK_EERKSK_lbbbEUlllE0_EEPmJS9_EEE10hipError_tPvRmT3_T4_T5_T6_T7_T9_mT8_P12ihipStream_tbDpT10_ENKUlT_T0_E_clISt17integral_constantIbLb0EES1A_EEDaS15_S16_EUlS15_E_NS1_11comp_targetILNS1_3genE3ELNS1_11target_archE908ELNS1_3gpuE7ELNS1_3repE0EEENS1_30default_config_static_selectorELNS0_4arch9wavefront6targetE1EEEvT1_
		.amdhsa_group_segment_fixed_size 0
		.amdhsa_private_segment_fixed_size 0
		.amdhsa_kernarg_size 120
		.amdhsa_user_sgpr_count 2
		.amdhsa_user_sgpr_dispatch_ptr 0
		.amdhsa_user_sgpr_queue_ptr 0
		.amdhsa_user_sgpr_kernarg_segment_ptr 1
		.amdhsa_user_sgpr_dispatch_id 0
		.amdhsa_user_sgpr_kernarg_preload_length 0
		.amdhsa_user_sgpr_kernarg_preload_offset 0
		.amdhsa_user_sgpr_private_segment_size 0
		.amdhsa_uses_dynamic_stack 0
		.amdhsa_enable_private_segment 0
		.amdhsa_system_sgpr_workgroup_id_x 1
		.amdhsa_system_sgpr_workgroup_id_y 0
		.amdhsa_system_sgpr_workgroup_id_z 0
		.amdhsa_system_sgpr_workgroup_info 0
		.amdhsa_system_vgpr_workitem_id 0
		.amdhsa_next_free_vgpr 1
		.amdhsa_next_free_sgpr 0
		.amdhsa_accum_offset 4
		.amdhsa_reserve_vcc 0
		.amdhsa_float_round_mode_32 0
		.amdhsa_float_round_mode_16_64 0
		.amdhsa_float_denorm_mode_32 3
		.amdhsa_float_denorm_mode_16_64 3
		.amdhsa_dx10_clamp 1
		.amdhsa_ieee_mode 1
		.amdhsa_fp16_overflow 0
		.amdhsa_tg_split 0
		.amdhsa_exception_fp_ieee_invalid_op 0
		.amdhsa_exception_fp_denorm_src 0
		.amdhsa_exception_fp_ieee_div_zero 0
		.amdhsa_exception_fp_ieee_overflow 0
		.amdhsa_exception_fp_ieee_underflow 0
		.amdhsa_exception_fp_ieee_inexact 0
		.amdhsa_exception_int_div_zero 0
	.end_amdhsa_kernel
	.section	.text._ZN7rocprim17ROCPRIM_400000_NS6detail17trampoline_kernelINS0_14default_configENS1_25partition_config_selectorILNS1_17partition_subalgoE9EllbEEZZNS1_14partition_implILS5_9ELb0ES3_jPlS8_PNS0_10empty_typeENS0_5tupleIJS8_S9_EEENSB_IJS8_SA_EEENS0_18inequality_wrapperIZN2at6native12_GLOBAL__N_124unique_dim_cuda_templateIlEESt5tupleIJNSF_6TensorESK_SK_EERKSK_lbbbEUlllE0_EEPmJS9_EEE10hipError_tPvRmT3_T4_T5_T6_T7_T9_mT8_P12ihipStream_tbDpT10_ENKUlT_T0_E_clISt17integral_constantIbLb0EES1A_EEDaS15_S16_EUlS15_E_NS1_11comp_targetILNS1_3genE3ELNS1_11target_archE908ELNS1_3gpuE7ELNS1_3repE0EEENS1_30default_config_static_selectorELNS0_4arch9wavefront6targetE1EEEvT1_,"axG",@progbits,_ZN7rocprim17ROCPRIM_400000_NS6detail17trampoline_kernelINS0_14default_configENS1_25partition_config_selectorILNS1_17partition_subalgoE9EllbEEZZNS1_14partition_implILS5_9ELb0ES3_jPlS8_PNS0_10empty_typeENS0_5tupleIJS8_S9_EEENSB_IJS8_SA_EEENS0_18inequality_wrapperIZN2at6native12_GLOBAL__N_124unique_dim_cuda_templateIlEESt5tupleIJNSF_6TensorESK_SK_EERKSK_lbbbEUlllE0_EEPmJS9_EEE10hipError_tPvRmT3_T4_T5_T6_T7_T9_mT8_P12ihipStream_tbDpT10_ENKUlT_T0_E_clISt17integral_constantIbLb0EES1A_EEDaS15_S16_EUlS15_E_NS1_11comp_targetILNS1_3genE3ELNS1_11target_archE908ELNS1_3gpuE7ELNS1_3repE0EEENS1_30default_config_static_selectorELNS0_4arch9wavefront6targetE1EEEvT1_,comdat
.Lfunc_end598:
	.size	_ZN7rocprim17ROCPRIM_400000_NS6detail17trampoline_kernelINS0_14default_configENS1_25partition_config_selectorILNS1_17partition_subalgoE9EllbEEZZNS1_14partition_implILS5_9ELb0ES3_jPlS8_PNS0_10empty_typeENS0_5tupleIJS8_S9_EEENSB_IJS8_SA_EEENS0_18inequality_wrapperIZN2at6native12_GLOBAL__N_124unique_dim_cuda_templateIlEESt5tupleIJNSF_6TensorESK_SK_EERKSK_lbbbEUlllE0_EEPmJS9_EEE10hipError_tPvRmT3_T4_T5_T6_T7_T9_mT8_P12ihipStream_tbDpT10_ENKUlT_T0_E_clISt17integral_constantIbLb0EES1A_EEDaS15_S16_EUlS15_E_NS1_11comp_targetILNS1_3genE3ELNS1_11target_archE908ELNS1_3gpuE7ELNS1_3repE0EEENS1_30default_config_static_selectorELNS0_4arch9wavefront6targetE1EEEvT1_, .Lfunc_end598-_ZN7rocprim17ROCPRIM_400000_NS6detail17trampoline_kernelINS0_14default_configENS1_25partition_config_selectorILNS1_17partition_subalgoE9EllbEEZZNS1_14partition_implILS5_9ELb0ES3_jPlS8_PNS0_10empty_typeENS0_5tupleIJS8_S9_EEENSB_IJS8_SA_EEENS0_18inequality_wrapperIZN2at6native12_GLOBAL__N_124unique_dim_cuda_templateIlEESt5tupleIJNSF_6TensorESK_SK_EERKSK_lbbbEUlllE0_EEPmJS9_EEE10hipError_tPvRmT3_T4_T5_T6_T7_T9_mT8_P12ihipStream_tbDpT10_ENKUlT_T0_E_clISt17integral_constantIbLb0EES1A_EEDaS15_S16_EUlS15_E_NS1_11comp_targetILNS1_3genE3ELNS1_11target_archE908ELNS1_3gpuE7ELNS1_3repE0EEENS1_30default_config_static_selectorELNS0_4arch9wavefront6targetE1EEEvT1_
                                        ; -- End function
	.set _ZN7rocprim17ROCPRIM_400000_NS6detail17trampoline_kernelINS0_14default_configENS1_25partition_config_selectorILNS1_17partition_subalgoE9EllbEEZZNS1_14partition_implILS5_9ELb0ES3_jPlS8_PNS0_10empty_typeENS0_5tupleIJS8_S9_EEENSB_IJS8_SA_EEENS0_18inequality_wrapperIZN2at6native12_GLOBAL__N_124unique_dim_cuda_templateIlEESt5tupleIJNSF_6TensorESK_SK_EERKSK_lbbbEUlllE0_EEPmJS9_EEE10hipError_tPvRmT3_T4_T5_T6_T7_T9_mT8_P12ihipStream_tbDpT10_ENKUlT_T0_E_clISt17integral_constantIbLb0EES1A_EEDaS15_S16_EUlS15_E_NS1_11comp_targetILNS1_3genE3ELNS1_11target_archE908ELNS1_3gpuE7ELNS1_3repE0EEENS1_30default_config_static_selectorELNS0_4arch9wavefront6targetE1EEEvT1_.num_vgpr, 0
	.set _ZN7rocprim17ROCPRIM_400000_NS6detail17trampoline_kernelINS0_14default_configENS1_25partition_config_selectorILNS1_17partition_subalgoE9EllbEEZZNS1_14partition_implILS5_9ELb0ES3_jPlS8_PNS0_10empty_typeENS0_5tupleIJS8_S9_EEENSB_IJS8_SA_EEENS0_18inequality_wrapperIZN2at6native12_GLOBAL__N_124unique_dim_cuda_templateIlEESt5tupleIJNSF_6TensorESK_SK_EERKSK_lbbbEUlllE0_EEPmJS9_EEE10hipError_tPvRmT3_T4_T5_T6_T7_T9_mT8_P12ihipStream_tbDpT10_ENKUlT_T0_E_clISt17integral_constantIbLb0EES1A_EEDaS15_S16_EUlS15_E_NS1_11comp_targetILNS1_3genE3ELNS1_11target_archE908ELNS1_3gpuE7ELNS1_3repE0EEENS1_30default_config_static_selectorELNS0_4arch9wavefront6targetE1EEEvT1_.num_agpr, 0
	.set _ZN7rocprim17ROCPRIM_400000_NS6detail17trampoline_kernelINS0_14default_configENS1_25partition_config_selectorILNS1_17partition_subalgoE9EllbEEZZNS1_14partition_implILS5_9ELb0ES3_jPlS8_PNS0_10empty_typeENS0_5tupleIJS8_S9_EEENSB_IJS8_SA_EEENS0_18inequality_wrapperIZN2at6native12_GLOBAL__N_124unique_dim_cuda_templateIlEESt5tupleIJNSF_6TensorESK_SK_EERKSK_lbbbEUlllE0_EEPmJS9_EEE10hipError_tPvRmT3_T4_T5_T6_T7_T9_mT8_P12ihipStream_tbDpT10_ENKUlT_T0_E_clISt17integral_constantIbLb0EES1A_EEDaS15_S16_EUlS15_E_NS1_11comp_targetILNS1_3genE3ELNS1_11target_archE908ELNS1_3gpuE7ELNS1_3repE0EEENS1_30default_config_static_selectorELNS0_4arch9wavefront6targetE1EEEvT1_.numbered_sgpr, 0
	.set _ZN7rocprim17ROCPRIM_400000_NS6detail17trampoline_kernelINS0_14default_configENS1_25partition_config_selectorILNS1_17partition_subalgoE9EllbEEZZNS1_14partition_implILS5_9ELb0ES3_jPlS8_PNS0_10empty_typeENS0_5tupleIJS8_S9_EEENSB_IJS8_SA_EEENS0_18inequality_wrapperIZN2at6native12_GLOBAL__N_124unique_dim_cuda_templateIlEESt5tupleIJNSF_6TensorESK_SK_EERKSK_lbbbEUlllE0_EEPmJS9_EEE10hipError_tPvRmT3_T4_T5_T6_T7_T9_mT8_P12ihipStream_tbDpT10_ENKUlT_T0_E_clISt17integral_constantIbLb0EES1A_EEDaS15_S16_EUlS15_E_NS1_11comp_targetILNS1_3genE3ELNS1_11target_archE908ELNS1_3gpuE7ELNS1_3repE0EEENS1_30default_config_static_selectorELNS0_4arch9wavefront6targetE1EEEvT1_.num_named_barrier, 0
	.set _ZN7rocprim17ROCPRIM_400000_NS6detail17trampoline_kernelINS0_14default_configENS1_25partition_config_selectorILNS1_17partition_subalgoE9EllbEEZZNS1_14partition_implILS5_9ELb0ES3_jPlS8_PNS0_10empty_typeENS0_5tupleIJS8_S9_EEENSB_IJS8_SA_EEENS0_18inequality_wrapperIZN2at6native12_GLOBAL__N_124unique_dim_cuda_templateIlEESt5tupleIJNSF_6TensorESK_SK_EERKSK_lbbbEUlllE0_EEPmJS9_EEE10hipError_tPvRmT3_T4_T5_T6_T7_T9_mT8_P12ihipStream_tbDpT10_ENKUlT_T0_E_clISt17integral_constantIbLb0EES1A_EEDaS15_S16_EUlS15_E_NS1_11comp_targetILNS1_3genE3ELNS1_11target_archE908ELNS1_3gpuE7ELNS1_3repE0EEENS1_30default_config_static_selectorELNS0_4arch9wavefront6targetE1EEEvT1_.private_seg_size, 0
	.set _ZN7rocprim17ROCPRIM_400000_NS6detail17trampoline_kernelINS0_14default_configENS1_25partition_config_selectorILNS1_17partition_subalgoE9EllbEEZZNS1_14partition_implILS5_9ELb0ES3_jPlS8_PNS0_10empty_typeENS0_5tupleIJS8_S9_EEENSB_IJS8_SA_EEENS0_18inequality_wrapperIZN2at6native12_GLOBAL__N_124unique_dim_cuda_templateIlEESt5tupleIJNSF_6TensorESK_SK_EERKSK_lbbbEUlllE0_EEPmJS9_EEE10hipError_tPvRmT3_T4_T5_T6_T7_T9_mT8_P12ihipStream_tbDpT10_ENKUlT_T0_E_clISt17integral_constantIbLb0EES1A_EEDaS15_S16_EUlS15_E_NS1_11comp_targetILNS1_3genE3ELNS1_11target_archE908ELNS1_3gpuE7ELNS1_3repE0EEENS1_30default_config_static_selectorELNS0_4arch9wavefront6targetE1EEEvT1_.uses_vcc, 0
	.set _ZN7rocprim17ROCPRIM_400000_NS6detail17trampoline_kernelINS0_14default_configENS1_25partition_config_selectorILNS1_17partition_subalgoE9EllbEEZZNS1_14partition_implILS5_9ELb0ES3_jPlS8_PNS0_10empty_typeENS0_5tupleIJS8_S9_EEENSB_IJS8_SA_EEENS0_18inequality_wrapperIZN2at6native12_GLOBAL__N_124unique_dim_cuda_templateIlEESt5tupleIJNSF_6TensorESK_SK_EERKSK_lbbbEUlllE0_EEPmJS9_EEE10hipError_tPvRmT3_T4_T5_T6_T7_T9_mT8_P12ihipStream_tbDpT10_ENKUlT_T0_E_clISt17integral_constantIbLb0EES1A_EEDaS15_S16_EUlS15_E_NS1_11comp_targetILNS1_3genE3ELNS1_11target_archE908ELNS1_3gpuE7ELNS1_3repE0EEENS1_30default_config_static_selectorELNS0_4arch9wavefront6targetE1EEEvT1_.uses_flat_scratch, 0
	.set _ZN7rocprim17ROCPRIM_400000_NS6detail17trampoline_kernelINS0_14default_configENS1_25partition_config_selectorILNS1_17partition_subalgoE9EllbEEZZNS1_14partition_implILS5_9ELb0ES3_jPlS8_PNS0_10empty_typeENS0_5tupleIJS8_S9_EEENSB_IJS8_SA_EEENS0_18inequality_wrapperIZN2at6native12_GLOBAL__N_124unique_dim_cuda_templateIlEESt5tupleIJNSF_6TensorESK_SK_EERKSK_lbbbEUlllE0_EEPmJS9_EEE10hipError_tPvRmT3_T4_T5_T6_T7_T9_mT8_P12ihipStream_tbDpT10_ENKUlT_T0_E_clISt17integral_constantIbLb0EES1A_EEDaS15_S16_EUlS15_E_NS1_11comp_targetILNS1_3genE3ELNS1_11target_archE908ELNS1_3gpuE7ELNS1_3repE0EEENS1_30default_config_static_selectorELNS0_4arch9wavefront6targetE1EEEvT1_.has_dyn_sized_stack, 0
	.set _ZN7rocprim17ROCPRIM_400000_NS6detail17trampoline_kernelINS0_14default_configENS1_25partition_config_selectorILNS1_17partition_subalgoE9EllbEEZZNS1_14partition_implILS5_9ELb0ES3_jPlS8_PNS0_10empty_typeENS0_5tupleIJS8_S9_EEENSB_IJS8_SA_EEENS0_18inequality_wrapperIZN2at6native12_GLOBAL__N_124unique_dim_cuda_templateIlEESt5tupleIJNSF_6TensorESK_SK_EERKSK_lbbbEUlllE0_EEPmJS9_EEE10hipError_tPvRmT3_T4_T5_T6_T7_T9_mT8_P12ihipStream_tbDpT10_ENKUlT_T0_E_clISt17integral_constantIbLb0EES1A_EEDaS15_S16_EUlS15_E_NS1_11comp_targetILNS1_3genE3ELNS1_11target_archE908ELNS1_3gpuE7ELNS1_3repE0EEENS1_30default_config_static_selectorELNS0_4arch9wavefront6targetE1EEEvT1_.has_recursion, 0
	.set _ZN7rocprim17ROCPRIM_400000_NS6detail17trampoline_kernelINS0_14default_configENS1_25partition_config_selectorILNS1_17partition_subalgoE9EllbEEZZNS1_14partition_implILS5_9ELb0ES3_jPlS8_PNS0_10empty_typeENS0_5tupleIJS8_S9_EEENSB_IJS8_SA_EEENS0_18inequality_wrapperIZN2at6native12_GLOBAL__N_124unique_dim_cuda_templateIlEESt5tupleIJNSF_6TensorESK_SK_EERKSK_lbbbEUlllE0_EEPmJS9_EEE10hipError_tPvRmT3_T4_T5_T6_T7_T9_mT8_P12ihipStream_tbDpT10_ENKUlT_T0_E_clISt17integral_constantIbLb0EES1A_EEDaS15_S16_EUlS15_E_NS1_11comp_targetILNS1_3genE3ELNS1_11target_archE908ELNS1_3gpuE7ELNS1_3repE0EEENS1_30default_config_static_selectorELNS0_4arch9wavefront6targetE1EEEvT1_.has_indirect_call, 0
	.section	.AMDGPU.csdata,"",@progbits
; Kernel info:
; codeLenInByte = 0
; TotalNumSgprs: 6
; NumVgprs: 0
; NumAgprs: 0
; TotalNumVgprs: 0
; ScratchSize: 0
; MemoryBound: 0
; FloatMode: 240
; IeeeMode: 1
; LDSByteSize: 0 bytes/workgroup (compile time only)
; SGPRBlocks: 0
; VGPRBlocks: 0
; NumSGPRsForWavesPerEU: 6
; NumVGPRsForWavesPerEU: 1
; AccumOffset: 4
; Occupancy: 8
; WaveLimiterHint : 0
; COMPUTE_PGM_RSRC2:SCRATCH_EN: 0
; COMPUTE_PGM_RSRC2:USER_SGPR: 2
; COMPUTE_PGM_RSRC2:TRAP_HANDLER: 0
; COMPUTE_PGM_RSRC2:TGID_X_EN: 1
; COMPUTE_PGM_RSRC2:TGID_Y_EN: 0
; COMPUTE_PGM_RSRC2:TGID_Z_EN: 0
; COMPUTE_PGM_RSRC2:TIDIG_COMP_CNT: 0
; COMPUTE_PGM_RSRC3_GFX90A:ACCUM_OFFSET: 0
; COMPUTE_PGM_RSRC3_GFX90A:TG_SPLIT: 0
	.section	.text._ZN7rocprim17ROCPRIM_400000_NS6detail17trampoline_kernelINS0_14default_configENS1_25partition_config_selectorILNS1_17partition_subalgoE9EllbEEZZNS1_14partition_implILS5_9ELb0ES3_jPlS8_PNS0_10empty_typeENS0_5tupleIJS8_S9_EEENSB_IJS8_SA_EEENS0_18inequality_wrapperIZN2at6native12_GLOBAL__N_124unique_dim_cuda_templateIlEESt5tupleIJNSF_6TensorESK_SK_EERKSK_lbbbEUlllE0_EEPmJS9_EEE10hipError_tPvRmT3_T4_T5_T6_T7_T9_mT8_P12ihipStream_tbDpT10_ENKUlT_T0_E_clISt17integral_constantIbLb0EES1A_EEDaS15_S16_EUlS15_E_NS1_11comp_targetILNS1_3genE2ELNS1_11target_archE906ELNS1_3gpuE6ELNS1_3repE0EEENS1_30default_config_static_selectorELNS0_4arch9wavefront6targetE1EEEvT1_,"axG",@progbits,_ZN7rocprim17ROCPRIM_400000_NS6detail17trampoline_kernelINS0_14default_configENS1_25partition_config_selectorILNS1_17partition_subalgoE9EllbEEZZNS1_14partition_implILS5_9ELb0ES3_jPlS8_PNS0_10empty_typeENS0_5tupleIJS8_S9_EEENSB_IJS8_SA_EEENS0_18inequality_wrapperIZN2at6native12_GLOBAL__N_124unique_dim_cuda_templateIlEESt5tupleIJNSF_6TensorESK_SK_EERKSK_lbbbEUlllE0_EEPmJS9_EEE10hipError_tPvRmT3_T4_T5_T6_T7_T9_mT8_P12ihipStream_tbDpT10_ENKUlT_T0_E_clISt17integral_constantIbLb0EES1A_EEDaS15_S16_EUlS15_E_NS1_11comp_targetILNS1_3genE2ELNS1_11target_archE906ELNS1_3gpuE6ELNS1_3repE0EEENS1_30default_config_static_selectorELNS0_4arch9wavefront6targetE1EEEvT1_,comdat
	.globl	_ZN7rocprim17ROCPRIM_400000_NS6detail17trampoline_kernelINS0_14default_configENS1_25partition_config_selectorILNS1_17partition_subalgoE9EllbEEZZNS1_14partition_implILS5_9ELb0ES3_jPlS8_PNS0_10empty_typeENS0_5tupleIJS8_S9_EEENSB_IJS8_SA_EEENS0_18inequality_wrapperIZN2at6native12_GLOBAL__N_124unique_dim_cuda_templateIlEESt5tupleIJNSF_6TensorESK_SK_EERKSK_lbbbEUlllE0_EEPmJS9_EEE10hipError_tPvRmT3_T4_T5_T6_T7_T9_mT8_P12ihipStream_tbDpT10_ENKUlT_T0_E_clISt17integral_constantIbLb0EES1A_EEDaS15_S16_EUlS15_E_NS1_11comp_targetILNS1_3genE2ELNS1_11target_archE906ELNS1_3gpuE6ELNS1_3repE0EEENS1_30default_config_static_selectorELNS0_4arch9wavefront6targetE1EEEvT1_ ; -- Begin function _ZN7rocprim17ROCPRIM_400000_NS6detail17trampoline_kernelINS0_14default_configENS1_25partition_config_selectorILNS1_17partition_subalgoE9EllbEEZZNS1_14partition_implILS5_9ELb0ES3_jPlS8_PNS0_10empty_typeENS0_5tupleIJS8_S9_EEENSB_IJS8_SA_EEENS0_18inequality_wrapperIZN2at6native12_GLOBAL__N_124unique_dim_cuda_templateIlEESt5tupleIJNSF_6TensorESK_SK_EERKSK_lbbbEUlllE0_EEPmJS9_EEE10hipError_tPvRmT3_T4_T5_T6_T7_T9_mT8_P12ihipStream_tbDpT10_ENKUlT_T0_E_clISt17integral_constantIbLb0EES1A_EEDaS15_S16_EUlS15_E_NS1_11comp_targetILNS1_3genE2ELNS1_11target_archE906ELNS1_3gpuE6ELNS1_3repE0EEENS1_30default_config_static_selectorELNS0_4arch9wavefront6targetE1EEEvT1_
	.p2align	8
	.type	_ZN7rocprim17ROCPRIM_400000_NS6detail17trampoline_kernelINS0_14default_configENS1_25partition_config_selectorILNS1_17partition_subalgoE9EllbEEZZNS1_14partition_implILS5_9ELb0ES3_jPlS8_PNS0_10empty_typeENS0_5tupleIJS8_S9_EEENSB_IJS8_SA_EEENS0_18inequality_wrapperIZN2at6native12_GLOBAL__N_124unique_dim_cuda_templateIlEESt5tupleIJNSF_6TensorESK_SK_EERKSK_lbbbEUlllE0_EEPmJS9_EEE10hipError_tPvRmT3_T4_T5_T6_T7_T9_mT8_P12ihipStream_tbDpT10_ENKUlT_T0_E_clISt17integral_constantIbLb0EES1A_EEDaS15_S16_EUlS15_E_NS1_11comp_targetILNS1_3genE2ELNS1_11target_archE906ELNS1_3gpuE6ELNS1_3repE0EEENS1_30default_config_static_selectorELNS0_4arch9wavefront6targetE1EEEvT1_,@function
_ZN7rocprim17ROCPRIM_400000_NS6detail17trampoline_kernelINS0_14default_configENS1_25partition_config_selectorILNS1_17partition_subalgoE9EllbEEZZNS1_14partition_implILS5_9ELb0ES3_jPlS8_PNS0_10empty_typeENS0_5tupleIJS8_S9_EEENSB_IJS8_SA_EEENS0_18inequality_wrapperIZN2at6native12_GLOBAL__N_124unique_dim_cuda_templateIlEESt5tupleIJNSF_6TensorESK_SK_EERKSK_lbbbEUlllE0_EEPmJS9_EEE10hipError_tPvRmT3_T4_T5_T6_T7_T9_mT8_P12ihipStream_tbDpT10_ENKUlT_T0_E_clISt17integral_constantIbLb0EES1A_EEDaS15_S16_EUlS15_E_NS1_11comp_targetILNS1_3genE2ELNS1_11target_archE906ELNS1_3gpuE6ELNS1_3repE0EEENS1_30default_config_static_selectorELNS0_4arch9wavefront6targetE1EEEvT1_: ; @_ZN7rocprim17ROCPRIM_400000_NS6detail17trampoline_kernelINS0_14default_configENS1_25partition_config_selectorILNS1_17partition_subalgoE9EllbEEZZNS1_14partition_implILS5_9ELb0ES3_jPlS8_PNS0_10empty_typeENS0_5tupleIJS8_S9_EEENSB_IJS8_SA_EEENS0_18inequality_wrapperIZN2at6native12_GLOBAL__N_124unique_dim_cuda_templateIlEESt5tupleIJNSF_6TensorESK_SK_EERKSK_lbbbEUlllE0_EEPmJS9_EEE10hipError_tPvRmT3_T4_T5_T6_T7_T9_mT8_P12ihipStream_tbDpT10_ENKUlT_T0_E_clISt17integral_constantIbLb0EES1A_EEDaS15_S16_EUlS15_E_NS1_11comp_targetILNS1_3genE2ELNS1_11target_archE906ELNS1_3gpuE6ELNS1_3repE0EEENS1_30default_config_static_selectorELNS0_4arch9wavefront6targetE1EEEvT1_
; %bb.0:
	.section	.rodata,"a",@progbits
	.p2align	6, 0x0
	.amdhsa_kernel _ZN7rocprim17ROCPRIM_400000_NS6detail17trampoline_kernelINS0_14default_configENS1_25partition_config_selectorILNS1_17partition_subalgoE9EllbEEZZNS1_14partition_implILS5_9ELb0ES3_jPlS8_PNS0_10empty_typeENS0_5tupleIJS8_S9_EEENSB_IJS8_SA_EEENS0_18inequality_wrapperIZN2at6native12_GLOBAL__N_124unique_dim_cuda_templateIlEESt5tupleIJNSF_6TensorESK_SK_EERKSK_lbbbEUlllE0_EEPmJS9_EEE10hipError_tPvRmT3_T4_T5_T6_T7_T9_mT8_P12ihipStream_tbDpT10_ENKUlT_T0_E_clISt17integral_constantIbLb0EES1A_EEDaS15_S16_EUlS15_E_NS1_11comp_targetILNS1_3genE2ELNS1_11target_archE906ELNS1_3gpuE6ELNS1_3repE0EEENS1_30default_config_static_selectorELNS0_4arch9wavefront6targetE1EEEvT1_
		.amdhsa_group_segment_fixed_size 0
		.amdhsa_private_segment_fixed_size 0
		.amdhsa_kernarg_size 120
		.amdhsa_user_sgpr_count 2
		.amdhsa_user_sgpr_dispatch_ptr 0
		.amdhsa_user_sgpr_queue_ptr 0
		.amdhsa_user_sgpr_kernarg_segment_ptr 1
		.amdhsa_user_sgpr_dispatch_id 0
		.amdhsa_user_sgpr_kernarg_preload_length 0
		.amdhsa_user_sgpr_kernarg_preload_offset 0
		.amdhsa_user_sgpr_private_segment_size 0
		.amdhsa_uses_dynamic_stack 0
		.amdhsa_enable_private_segment 0
		.amdhsa_system_sgpr_workgroup_id_x 1
		.amdhsa_system_sgpr_workgroup_id_y 0
		.amdhsa_system_sgpr_workgroup_id_z 0
		.amdhsa_system_sgpr_workgroup_info 0
		.amdhsa_system_vgpr_workitem_id 0
		.amdhsa_next_free_vgpr 1
		.amdhsa_next_free_sgpr 0
		.amdhsa_accum_offset 4
		.amdhsa_reserve_vcc 0
		.amdhsa_float_round_mode_32 0
		.amdhsa_float_round_mode_16_64 0
		.amdhsa_float_denorm_mode_32 3
		.amdhsa_float_denorm_mode_16_64 3
		.amdhsa_dx10_clamp 1
		.amdhsa_ieee_mode 1
		.amdhsa_fp16_overflow 0
		.amdhsa_tg_split 0
		.amdhsa_exception_fp_ieee_invalid_op 0
		.amdhsa_exception_fp_denorm_src 0
		.amdhsa_exception_fp_ieee_div_zero 0
		.amdhsa_exception_fp_ieee_overflow 0
		.amdhsa_exception_fp_ieee_underflow 0
		.amdhsa_exception_fp_ieee_inexact 0
		.amdhsa_exception_int_div_zero 0
	.end_amdhsa_kernel
	.section	.text._ZN7rocprim17ROCPRIM_400000_NS6detail17trampoline_kernelINS0_14default_configENS1_25partition_config_selectorILNS1_17partition_subalgoE9EllbEEZZNS1_14partition_implILS5_9ELb0ES3_jPlS8_PNS0_10empty_typeENS0_5tupleIJS8_S9_EEENSB_IJS8_SA_EEENS0_18inequality_wrapperIZN2at6native12_GLOBAL__N_124unique_dim_cuda_templateIlEESt5tupleIJNSF_6TensorESK_SK_EERKSK_lbbbEUlllE0_EEPmJS9_EEE10hipError_tPvRmT3_T4_T5_T6_T7_T9_mT8_P12ihipStream_tbDpT10_ENKUlT_T0_E_clISt17integral_constantIbLb0EES1A_EEDaS15_S16_EUlS15_E_NS1_11comp_targetILNS1_3genE2ELNS1_11target_archE906ELNS1_3gpuE6ELNS1_3repE0EEENS1_30default_config_static_selectorELNS0_4arch9wavefront6targetE1EEEvT1_,"axG",@progbits,_ZN7rocprim17ROCPRIM_400000_NS6detail17trampoline_kernelINS0_14default_configENS1_25partition_config_selectorILNS1_17partition_subalgoE9EllbEEZZNS1_14partition_implILS5_9ELb0ES3_jPlS8_PNS0_10empty_typeENS0_5tupleIJS8_S9_EEENSB_IJS8_SA_EEENS0_18inequality_wrapperIZN2at6native12_GLOBAL__N_124unique_dim_cuda_templateIlEESt5tupleIJNSF_6TensorESK_SK_EERKSK_lbbbEUlllE0_EEPmJS9_EEE10hipError_tPvRmT3_T4_T5_T6_T7_T9_mT8_P12ihipStream_tbDpT10_ENKUlT_T0_E_clISt17integral_constantIbLb0EES1A_EEDaS15_S16_EUlS15_E_NS1_11comp_targetILNS1_3genE2ELNS1_11target_archE906ELNS1_3gpuE6ELNS1_3repE0EEENS1_30default_config_static_selectorELNS0_4arch9wavefront6targetE1EEEvT1_,comdat
.Lfunc_end599:
	.size	_ZN7rocprim17ROCPRIM_400000_NS6detail17trampoline_kernelINS0_14default_configENS1_25partition_config_selectorILNS1_17partition_subalgoE9EllbEEZZNS1_14partition_implILS5_9ELb0ES3_jPlS8_PNS0_10empty_typeENS0_5tupleIJS8_S9_EEENSB_IJS8_SA_EEENS0_18inequality_wrapperIZN2at6native12_GLOBAL__N_124unique_dim_cuda_templateIlEESt5tupleIJNSF_6TensorESK_SK_EERKSK_lbbbEUlllE0_EEPmJS9_EEE10hipError_tPvRmT3_T4_T5_T6_T7_T9_mT8_P12ihipStream_tbDpT10_ENKUlT_T0_E_clISt17integral_constantIbLb0EES1A_EEDaS15_S16_EUlS15_E_NS1_11comp_targetILNS1_3genE2ELNS1_11target_archE906ELNS1_3gpuE6ELNS1_3repE0EEENS1_30default_config_static_selectorELNS0_4arch9wavefront6targetE1EEEvT1_, .Lfunc_end599-_ZN7rocprim17ROCPRIM_400000_NS6detail17trampoline_kernelINS0_14default_configENS1_25partition_config_selectorILNS1_17partition_subalgoE9EllbEEZZNS1_14partition_implILS5_9ELb0ES3_jPlS8_PNS0_10empty_typeENS0_5tupleIJS8_S9_EEENSB_IJS8_SA_EEENS0_18inequality_wrapperIZN2at6native12_GLOBAL__N_124unique_dim_cuda_templateIlEESt5tupleIJNSF_6TensorESK_SK_EERKSK_lbbbEUlllE0_EEPmJS9_EEE10hipError_tPvRmT3_T4_T5_T6_T7_T9_mT8_P12ihipStream_tbDpT10_ENKUlT_T0_E_clISt17integral_constantIbLb0EES1A_EEDaS15_S16_EUlS15_E_NS1_11comp_targetILNS1_3genE2ELNS1_11target_archE906ELNS1_3gpuE6ELNS1_3repE0EEENS1_30default_config_static_selectorELNS0_4arch9wavefront6targetE1EEEvT1_
                                        ; -- End function
	.set _ZN7rocprim17ROCPRIM_400000_NS6detail17trampoline_kernelINS0_14default_configENS1_25partition_config_selectorILNS1_17partition_subalgoE9EllbEEZZNS1_14partition_implILS5_9ELb0ES3_jPlS8_PNS0_10empty_typeENS0_5tupleIJS8_S9_EEENSB_IJS8_SA_EEENS0_18inequality_wrapperIZN2at6native12_GLOBAL__N_124unique_dim_cuda_templateIlEESt5tupleIJNSF_6TensorESK_SK_EERKSK_lbbbEUlllE0_EEPmJS9_EEE10hipError_tPvRmT3_T4_T5_T6_T7_T9_mT8_P12ihipStream_tbDpT10_ENKUlT_T0_E_clISt17integral_constantIbLb0EES1A_EEDaS15_S16_EUlS15_E_NS1_11comp_targetILNS1_3genE2ELNS1_11target_archE906ELNS1_3gpuE6ELNS1_3repE0EEENS1_30default_config_static_selectorELNS0_4arch9wavefront6targetE1EEEvT1_.num_vgpr, 0
	.set _ZN7rocprim17ROCPRIM_400000_NS6detail17trampoline_kernelINS0_14default_configENS1_25partition_config_selectorILNS1_17partition_subalgoE9EllbEEZZNS1_14partition_implILS5_9ELb0ES3_jPlS8_PNS0_10empty_typeENS0_5tupleIJS8_S9_EEENSB_IJS8_SA_EEENS0_18inequality_wrapperIZN2at6native12_GLOBAL__N_124unique_dim_cuda_templateIlEESt5tupleIJNSF_6TensorESK_SK_EERKSK_lbbbEUlllE0_EEPmJS9_EEE10hipError_tPvRmT3_T4_T5_T6_T7_T9_mT8_P12ihipStream_tbDpT10_ENKUlT_T0_E_clISt17integral_constantIbLb0EES1A_EEDaS15_S16_EUlS15_E_NS1_11comp_targetILNS1_3genE2ELNS1_11target_archE906ELNS1_3gpuE6ELNS1_3repE0EEENS1_30default_config_static_selectorELNS0_4arch9wavefront6targetE1EEEvT1_.num_agpr, 0
	.set _ZN7rocprim17ROCPRIM_400000_NS6detail17trampoline_kernelINS0_14default_configENS1_25partition_config_selectorILNS1_17partition_subalgoE9EllbEEZZNS1_14partition_implILS5_9ELb0ES3_jPlS8_PNS0_10empty_typeENS0_5tupleIJS8_S9_EEENSB_IJS8_SA_EEENS0_18inequality_wrapperIZN2at6native12_GLOBAL__N_124unique_dim_cuda_templateIlEESt5tupleIJNSF_6TensorESK_SK_EERKSK_lbbbEUlllE0_EEPmJS9_EEE10hipError_tPvRmT3_T4_T5_T6_T7_T9_mT8_P12ihipStream_tbDpT10_ENKUlT_T0_E_clISt17integral_constantIbLb0EES1A_EEDaS15_S16_EUlS15_E_NS1_11comp_targetILNS1_3genE2ELNS1_11target_archE906ELNS1_3gpuE6ELNS1_3repE0EEENS1_30default_config_static_selectorELNS0_4arch9wavefront6targetE1EEEvT1_.numbered_sgpr, 0
	.set _ZN7rocprim17ROCPRIM_400000_NS6detail17trampoline_kernelINS0_14default_configENS1_25partition_config_selectorILNS1_17partition_subalgoE9EllbEEZZNS1_14partition_implILS5_9ELb0ES3_jPlS8_PNS0_10empty_typeENS0_5tupleIJS8_S9_EEENSB_IJS8_SA_EEENS0_18inequality_wrapperIZN2at6native12_GLOBAL__N_124unique_dim_cuda_templateIlEESt5tupleIJNSF_6TensorESK_SK_EERKSK_lbbbEUlllE0_EEPmJS9_EEE10hipError_tPvRmT3_T4_T5_T6_T7_T9_mT8_P12ihipStream_tbDpT10_ENKUlT_T0_E_clISt17integral_constantIbLb0EES1A_EEDaS15_S16_EUlS15_E_NS1_11comp_targetILNS1_3genE2ELNS1_11target_archE906ELNS1_3gpuE6ELNS1_3repE0EEENS1_30default_config_static_selectorELNS0_4arch9wavefront6targetE1EEEvT1_.num_named_barrier, 0
	.set _ZN7rocprim17ROCPRIM_400000_NS6detail17trampoline_kernelINS0_14default_configENS1_25partition_config_selectorILNS1_17partition_subalgoE9EllbEEZZNS1_14partition_implILS5_9ELb0ES3_jPlS8_PNS0_10empty_typeENS0_5tupleIJS8_S9_EEENSB_IJS8_SA_EEENS0_18inequality_wrapperIZN2at6native12_GLOBAL__N_124unique_dim_cuda_templateIlEESt5tupleIJNSF_6TensorESK_SK_EERKSK_lbbbEUlllE0_EEPmJS9_EEE10hipError_tPvRmT3_T4_T5_T6_T7_T9_mT8_P12ihipStream_tbDpT10_ENKUlT_T0_E_clISt17integral_constantIbLb0EES1A_EEDaS15_S16_EUlS15_E_NS1_11comp_targetILNS1_3genE2ELNS1_11target_archE906ELNS1_3gpuE6ELNS1_3repE0EEENS1_30default_config_static_selectorELNS0_4arch9wavefront6targetE1EEEvT1_.private_seg_size, 0
	.set _ZN7rocprim17ROCPRIM_400000_NS6detail17trampoline_kernelINS0_14default_configENS1_25partition_config_selectorILNS1_17partition_subalgoE9EllbEEZZNS1_14partition_implILS5_9ELb0ES3_jPlS8_PNS0_10empty_typeENS0_5tupleIJS8_S9_EEENSB_IJS8_SA_EEENS0_18inequality_wrapperIZN2at6native12_GLOBAL__N_124unique_dim_cuda_templateIlEESt5tupleIJNSF_6TensorESK_SK_EERKSK_lbbbEUlllE0_EEPmJS9_EEE10hipError_tPvRmT3_T4_T5_T6_T7_T9_mT8_P12ihipStream_tbDpT10_ENKUlT_T0_E_clISt17integral_constantIbLb0EES1A_EEDaS15_S16_EUlS15_E_NS1_11comp_targetILNS1_3genE2ELNS1_11target_archE906ELNS1_3gpuE6ELNS1_3repE0EEENS1_30default_config_static_selectorELNS0_4arch9wavefront6targetE1EEEvT1_.uses_vcc, 0
	.set _ZN7rocprim17ROCPRIM_400000_NS6detail17trampoline_kernelINS0_14default_configENS1_25partition_config_selectorILNS1_17partition_subalgoE9EllbEEZZNS1_14partition_implILS5_9ELb0ES3_jPlS8_PNS0_10empty_typeENS0_5tupleIJS8_S9_EEENSB_IJS8_SA_EEENS0_18inequality_wrapperIZN2at6native12_GLOBAL__N_124unique_dim_cuda_templateIlEESt5tupleIJNSF_6TensorESK_SK_EERKSK_lbbbEUlllE0_EEPmJS9_EEE10hipError_tPvRmT3_T4_T5_T6_T7_T9_mT8_P12ihipStream_tbDpT10_ENKUlT_T0_E_clISt17integral_constantIbLb0EES1A_EEDaS15_S16_EUlS15_E_NS1_11comp_targetILNS1_3genE2ELNS1_11target_archE906ELNS1_3gpuE6ELNS1_3repE0EEENS1_30default_config_static_selectorELNS0_4arch9wavefront6targetE1EEEvT1_.uses_flat_scratch, 0
	.set _ZN7rocprim17ROCPRIM_400000_NS6detail17trampoline_kernelINS0_14default_configENS1_25partition_config_selectorILNS1_17partition_subalgoE9EllbEEZZNS1_14partition_implILS5_9ELb0ES3_jPlS8_PNS0_10empty_typeENS0_5tupleIJS8_S9_EEENSB_IJS8_SA_EEENS0_18inequality_wrapperIZN2at6native12_GLOBAL__N_124unique_dim_cuda_templateIlEESt5tupleIJNSF_6TensorESK_SK_EERKSK_lbbbEUlllE0_EEPmJS9_EEE10hipError_tPvRmT3_T4_T5_T6_T7_T9_mT8_P12ihipStream_tbDpT10_ENKUlT_T0_E_clISt17integral_constantIbLb0EES1A_EEDaS15_S16_EUlS15_E_NS1_11comp_targetILNS1_3genE2ELNS1_11target_archE906ELNS1_3gpuE6ELNS1_3repE0EEENS1_30default_config_static_selectorELNS0_4arch9wavefront6targetE1EEEvT1_.has_dyn_sized_stack, 0
	.set _ZN7rocprim17ROCPRIM_400000_NS6detail17trampoline_kernelINS0_14default_configENS1_25partition_config_selectorILNS1_17partition_subalgoE9EllbEEZZNS1_14partition_implILS5_9ELb0ES3_jPlS8_PNS0_10empty_typeENS0_5tupleIJS8_S9_EEENSB_IJS8_SA_EEENS0_18inequality_wrapperIZN2at6native12_GLOBAL__N_124unique_dim_cuda_templateIlEESt5tupleIJNSF_6TensorESK_SK_EERKSK_lbbbEUlllE0_EEPmJS9_EEE10hipError_tPvRmT3_T4_T5_T6_T7_T9_mT8_P12ihipStream_tbDpT10_ENKUlT_T0_E_clISt17integral_constantIbLb0EES1A_EEDaS15_S16_EUlS15_E_NS1_11comp_targetILNS1_3genE2ELNS1_11target_archE906ELNS1_3gpuE6ELNS1_3repE0EEENS1_30default_config_static_selectorELNS0_4arch9wavefront6targetE1EEEvT1_.has_recursion, 0
	.set _ZN7rocprim17ROCPRIM_400000_NS6detail17trampoline_kernelINS0_14default_configENS1_25partition_config_selectorILNS1_17partition_subalgoE9EllbEEZZNS1_14partition_implILS5_9ELb0ES3_jPlS8_PNS0_10empty_typeENS0_5tupleIJS8_S9_EEENSB_IJS8_SA_EEENS0_18inequality_wrapperIZN2at6native12_GLOBAL__N_124unique_dim_cuda_templateIlEESt5tupleIJNSF_6TensorESK_SK_EERKSK_lbbbEUlllE0_EEPmJS9_EEE10hipError_tPvRmT3_T4_T5_T6_T7_T9_mT8_P12ihipStream_tbDpT10_ENKUlT_T0_E_clISt17integral_constantIbLb0EES1A_EEDaS15_S16_EUlS15_E_NS1_11comp_targetILNS1_3genE2ELNS1_11target_archE906ELNS1_3gpuE6ELNS1_3repE0EEENS1_30default_config_static_selectorELNS0_4arch9wavefront6targetE1EEEvT1_.has_indirect_call, 0
	.section	.AMDGPU.csdata,"",@progbits
; Kernel info:
; codeLenInByte = 0
; TotalNumSgprs: 6
; NumVgprs: 0
; NumAgprs: 0
; TotalNumVgprs: 0
; ScratchSize: 0
; MemoryBound: 0
; FloatMode: 240
; IeeeMode: 1
; LDSByteSize: 0 bytes/workgroup (compile time only)
; SGPRBlocks: 0
; VGPRBlocks: 0
; NumSGPRsForWavesPerEU: 6
; NumVGPRsForWavesPerEU: 1
; AccumOffset: 4
; Occupancy: 8
; WaveLimiterHint : 0
; COMPUTE_PGM_RSRC2:SCRATCH_EN: 0
; COMPUTE_PGM_RSRC2:USER_SGPR: 2
; COMPUTE_PGM_RSRC2:TRAP_HANDLER: 0
; COMPUTE_PGM_RSRC2:TGID_X_EN: 1
; COMPUTE_PGM_RSRC2:TGID_Y_EN: 0
; COMPUTE_PGM_RSRC2:TGID_Z_EN: 0
; COMPUTE_PGM_RSRC2:TIDIG_COMP_CNT: 0
; COMPUTE_PGM_RSRC3_GFX90A:ACCUM_OFFSET: 0
; COMPUTE_PGM_RSRC3_GFX90A:TG_SPLIT: 0
	.section	.text._ZN7rocprim17ROCPRIM_400000_NS6detail17trampoline_kernelINS0_14default_configENS1_25partition_config_selectorILNS1_17partition_subalgoE9EllbEEZZNS1_14partition_implILS5_9ELb0ES3_jPlS8_PNS0_10empty_typeENS0_5tupleIJS8_S9_EEENSB_IJS8_SA_EEENS0_18inequality_wrapperIZN2at6native12_GLOBAL__N_124unique_dim_cuda_templateIlEESt5tupleIJNSF_6TensorESK_SK_EERKSK_lbbbEUlllE0_EEPmJS9_EEE10hipError_tPvRmT3_T4_T5_T6_T7_T9_mT8_P12ihipStream_tbDpT10_ENKUlT_T0_E_clISt17integral_constantIbLb0EES1A_EEDaS15_S16_EUlS15_E_NS1_11comp_targetILNS1_3genE10ELNS1_11target_archE1200ELNS1_3gpuE4ELNS1_3repE0EEENS1_30default_config_static_selectorELNS0_4arch9wavefront6targetE1EEEvT1_,"axG",@progbits,_ZN7rocprim17ROCPRIM_400000_NS6detail17trampoline_kernelINS0_14default_configENS1_25partition_config_selectorILNS1_17partition_subalgoE9EllbEEZZNS1_14partition_implILS5_9ELb0ES3_jPlS8_PNS0_10empty_typeENS0_5tupleIJS8_S9_EEENSB_IJS8_SA_EEENS0_18inequality_wrapperIZN2at6native12_GLOBAL__N_124unique_dim_cuda_templateIlEESt5tupleIJNSF_6TensorESK_SK_EERKSK_lbbbEUlllE0_EEPmJS9_EEE10hipError_tPvRmT3_T4_T5_T6_T7_T9_mT8_P12ihipStream_tbDpT10_ENKUlT_T0_E_clISt17integral_constantIbLb0EES1A_EEDaS15_S16_EUlS15_E_NS1_11comp_targetILNS1_3genE10ELNS1_11target_archE1200ELNS1_3gpuE4ELNS1_3repE0EEENS1_30default_config_static_selectorELNS0_4arch9wavefront6targetE1EEEvT1_,comdat
	.globl	_ZN7rocprim17ROCPRIM_400000_NS6detail17trampoline_kernelINS0_14default_configENS1_25partition_config_selectorILNS1_17partition_subalgoE9EllbEEZZNS1_14partition_implILS5_9ELb0ES3_jPlS8_PNS0_10empty_typeENS0_5tupleIJS8_S9_EEENSB_IJS8_SA_EEENS0_18inequality_wrapperIZN2at6native12_GLOBAL__N_124unique_dim_cuda_templateIlEESt5tupleIJNSF_6TensorESK_SK_EERKSK_lbbbEUlllE0_EEPmJS9_EEE10hipError_tPvRmT3_T4_T5_T6_T7_T9_mT8_P12ihipStream_tbDpT10_ENKUlT_T0_E_clISt17integral_constantIbLb0EES1A_EEDaS15_S16_EUlS15_E_NS1_11comp_targetILNS1_3genE10ELNS1_11target_archE1200ELNS1_3gpuE4ELNS1_3repE0EEENS1_30default_config_static_selectorELNS0_4arch9wavefront6targetE1EEEvT1_ ; -- Begin function _ZN7rocprim17ROCPRIM_400000_NS6detail17trampoline_kernelINS0_14default_configENS1_25partition_config_selectorILNS1_17partition_subalgoE9EllbEEZZNS1_14partition_implILS5_9ELb0ES3_jPlS8_PNS0_10empty_typeENS0_5tupleIJS8_S9_EEENSB_IJS8_SA_EEENS0_18inequality_wrapperIZN2at6native12_GLOBAL__N_124unique_dim_cuda_templateIlEESt5tupleIJNSF_6TensorESK_SK_EERKSK_lbbbEUlllE0_EEPmJS9_EEE10hipError_tPvRmT3_T4_T5_T6_T7_T9_mT8_P12ihipStream_tbDpT10_ENKUlT_T0_E_clISt17integral_constantIbLb0EES1A_EEDaS15_S16_EUlS15_E_NS1_11comp_targetILNS1_3genE10ELNS1_11target_archE1200ELNS1_3gpuE4ELNS1_3repE0EEENS1_30default_config_static_selectorELNS0_4arch9wavefront6targetE1EEEvT1_
	.p2align	8
	.type	_ZN7rocprim17ROCPRIM_400000_NS6detail17trampoline_kernelINS0_14default_configENS1_25partition_config_selectorILNS1_17partition_subalgoE9EllbEEZZNS1_14partition_implILS5_9ELb0ES3_jPlS8_PNS0_10empty_typeENS0_5tupleIJS8_S9_EEENSB_IJS8_SA_EEENS0_18inequality_wrapperIZN2at6native12_GLOBAL__N_124unique_dim_cuda_templateIlEESt5tupleIJNSF_6TensorESK_SK_EERKSK_lbbbEUlllE0_EEPmJS9_EEE10hipError_tPvRmT3_T4_T5_T6_T7_T9_mT8_P12ihipStream_tbDpT10_ENKUlT_T0_E_clISt17integral_constantIbLb0EES1A_EEDaS15_S16_EUlS15_E_NS1_11comp_targetILNS1_3genE10ELNS1_11target_archE1200ELNS1_3gpuE4ELNS1_3repE0EEENS1_30default_config_static_selectorELNS0_4arch9wavefront6targetE1EEEvT1_,@function
_ZN7rocprim17ROCPRIM_400000_NS6detail17trampoline_kernelINS0_14default_configENS1_25partition_config_selectorILNS1_17partition_subalgoE9EllbEEZZNS1_14partition_implILS5_9ELb0ES3_jPlS8_PNS0_10empty_typeENS0_5tupleIJS8_S9_EEENSB_IJS8_SA_EEENS0_18inequality_wrapperIZN2at6native12_GLOBAL__N_124unique_dim_cuda_templateIlEESt5tupleIJNSF_6TensorESK_SK_EERKSK_lbbbEUlllE0_EEPmJS9_EEE10hipError_tPvRmT3_T4_T5_T6_T7_T9_mT8_P12ihipStream_tbDpT10_ENKUlT_T0_E_clISt17integral_constantIbLb0EES1A_EEDaS15_S16_EUlS15_E_NS1_11comp_targetILNS1_3genE10ELNS1_11target_archE1200ELNS1_3gpuE4ELNS1_3repE0EEENS1_30default_config_static_selectorELNS0_4arch9wavefront6targetE1EEEvT1_: ; @_ZN7rocprim17ROCPRIM_400000_NS6detail17trampoline_kernelINS0_14default_configENS1_25partition_config_selectorILNS1_17partition_subalgoE9EllbEEZZNS1_14partition_implILS5_9ELb0ES3_jPlS8_PNS0_10empty_typeENS0_5tupleIJS8_S9_EEENSB_IJS8_SA_EEENS0_18inequality_wrapperIZN2at6native12_GLOBAL__N_124unique_dim_cuda_templateIlEESt5tupleIJNSF_6TensorESK_SK_EERKSK_lbbbEUlllE0_EEPmJS9_EEE10hipError_tPvRmT3_T4_T5_T6_T7_T9_mT8_P12ihipStream_tbDpT10_ENKUlT_T0_E_clISt17integral_constantIbLb0EES1A_EEDaS15_S16_EUlS15_E_NS1_11comp_targetILNS1_3genE10ELNS1_11target_archE1200ELNS1_3gpuE4ELNS1_3repE0EEENS1_30default_config_static_selectorELNS0_4arch9wavefront6targetE1EEEvT1_
; %bb.0:
	.section	.rodata,"a",@progbits
	.p2align	6, 0x0
	.amdhsa_kernel _ZN7rocprim17ROCPRIM_400000_NS6detail17trampoline_kernelINS0_14default_configENS1_25partition_config_selectorILNS1_17partition_subalgoE9EllbEEZZNS1_14partition_implILS5_9ELb0ES3_jPlS8_PNS0_10empty_typeENS0_5tupleIJS8_S9_EEENSB_IJS8_SA_EEENS0_18inequality_wrapperIZN2at6native12_GLOBAL__N_124unique_dim_cuda_templateIlEESt5tupleIJNSF_6TensorESK_SK_EERKSK_lbbbEUlllE0_EEPmJS9_EEE10hipError_tPvRmT3_T4_T5_T6_T7_T9_mT8_P12ihipStream_tbDpT10_ENKUlT_T0_E_clISt17integral_constantIbLb0EES1A_EEDaS15_S16_EUlS15_E_NS1_11comp_targetILNS1_3genE10ELNS1_11target_archE1200ELNS1_3gpuE4ELNS1_3repE0EEENS1_30default_config_static_selectorELNS0_4arch9wavefront6targetE1EEEvT1_
		.amdhsa_group_segment_fixed_size 0
		.amdhsa_private_segment_fixed_size 0
		.amdhsa_kernarg_size 120
		.amdhsa_user_sgpr_count 2
		.amdhsa_user_sgpr_dispatch_ptr 0
		.amdhsa_user_sgpr_queue_ptr 0
		.amdhsa_user_sgpr_kernarg_segment_ptr 1
		.amdhsa_user_sgpr_dispatch_id 0
		.amdhsa_user_sgpr_kernarg_preload_length 0
		.amdhsa_user_sgpr_kernarg_preload_offset 0
		.amdhsa_user_sgpr_private_segment_size 0
		.amdhsa_uses_dynamic_stack 0
		.amdhsa_enable_private_segment 0
		.amdhsa_system_sgpr_workgroup_id_x 1
		.amdhsa_system_sgpr_workgroup_id_y 0
		.amdhsa_system_sgpr_workgroup_id_z 0
		.amdhsa_system_sgpr_workgroup_info 0
		.amdhsa_system_vgpr_workitem_id 0
		.amdhsa_next_free_vgpr 1
		.amdhsa_next_free_sgpr 0
		.amdhsa_accum_offset 4
		.amdhsa_reserve_vcc 0
		.amdhsa_float_round_mode_32 0
		.amdhsa_float_round_mode_16_64 0
		.amdhsa_float_denorm_mode_32 3
		.amdhsa_float_denorm_mode_16_64 3
		.amdhsa_dx10_clamp 1
		.amdhsa_ieee_mode 1
		.amdhsa_fp16_overflow 0
		.amdhsa_tg_split 0
		.amdhsa_exception_fp_ieee_invalid_op 0
		.amdhsa_exception_fp_denorm_src 0
		.amdhsa_exception_fp_ieee_div_zero 0
		.amdhsa_exception_fp_ieee_overflow 0
		.amdhsa_exception_fp_ieee_underflow 0
		.amdhsa_exception_fp_ieee_inexact 0
		.amdhsa_exception_int_div_zero 0
	.end_amdhsa_kernel
	.section	.text._ZN7rocprim17ROCPRIM_400000_NS6detail17trampoline_kernelINS0_14default_configENS1_25partition_config_selectorILNS1_17partition_subalgoE9EllbEEZZNS1_14partition_implILS5_9ELb0ES3_jPlS8_PNS0_10empty_typeENS0_5tupleIJS8_S9_EEENSB_IJS8_SA_EEENS0_18inequality_wrapperIZN2at6native12_GLOBAL__N_124unique_dim_cuda_templateIlEESt5tupleIJNSF_6TensorESK_SK_EERKSK_lbbbEUlllE0_EEPmJS9_EEE10hipError_tPvRmT3_T4_T5_T6_T7_T9_mT8_P12ihipStream_tbDpT10_ENKUlT_T0_E_clISt17integral_constantIbLb0EES1A_EEDaS15_S16_EUlS15_E_NS1_11comp_targetILNS1_3genE10ELNS1_11target_archE1200ELNS1_3gpuE4ELNS1_3repE0EEENS1_30default_config_static_selectorELNS0_4arch9wavefront6targetE1EEEvT1_,"axG",@progbits,_ZN7rocprim17ROCPRIM_400000_NS6detail17trampoline_kernelINS0_14default_configENS1_25partition_config_selectorILNS1_17partition_subalgoE9EllbEEZZNS1_14partition_implILS5_9ELb0ES3_jPlS8_PNS0_10empty_typeENS0_5tupleIJS8_S9_EEENSB_IJS8_SA_EEENS0_18inequality_wrapperIZN2at6native12_GLOBAL__N_124unique_dim_cuda_templateIlEESt5tupleIJNSF_6TensorESK_SK_EERKSK_lbbbEUlllE0_EEPmJS9_EEE10hipError_tPvRmT3_T4_T5_T6_T7_T9_mT8_P12ihipStream_tbDpT10_ENKUlT_T0_E_clISt17integral_constantIbLb0EES1A_EEDaS15_S16_EUlS15_E_NS1_11comp_targetILNS1_3genE10ELNS1_11target_archE1200ELNS1_3gpuE4ELNS1_3repE0EEENS1_30default_config_static_selectorELNS0_4arch9wavefront6targetE1EEEvT1_,comdat
.Lfunc_end600:
	.size	_ZN7rocprim17ROCPRIM_400000_NS6detail17trampoline_kernelINS0_14default_configENS1_25partition_config_selectorILNS1_17partition_subalgoE9EllbEEZZNS1_14partition_implILS5_9ELb0ES3_jPlS8_PNS0_10empty_typeENS0_5tupleIJS8_S9_EEENSB_IJS8_SA_EEENS0_18inequality_wrapperIZN2at6native12_GLOBAL__N_124unique_dim_cuda_templateIlEESt5tupleIJNSF_6TensorESK_SK_EERKSK_lbbbEUlllE0_EEPmJS9_EEE10hipError_tPvRmT3_T4_T5_T6_T7_T9_mT8_P12ihipStream_tbDpT10_ENKUlT_T0_E_clISt17integral_constantIbLb0EES1A_EEDaS15_S16_EUlS15_E_NS1_11comp_targetILNS1_3genE10ELNS1_11target_archE1200ELNS1_3gpuE4ELNS1_3repE0EEENS1_30default_config_static_selectorELNS0_4arch9wavefront6targetE1EEEvT1_, .Lfunc_end600-_ZN7rocprim17ROCPRIM_400000_NS6detail17trampoline_kernelINS0_14default_configENS1_25partition_config_selectorILNS1_17partition_subalgoE9EllbEEZZNS1_14partition_implILS5_9ELb0ES3_jPlS8_PNS0_10empty_typeENS0_5tupleIJS8_S9_EEENSB_IJS8_SA_EEENS0_18inequality_wrapperIZN2at6native12_GLOBAL__N_124unique_dim_cuda_templateIlEESt5tupleIJNSF_6TensorESK_SK_EERKSK_lbbbEUlllE0_EEPmJS9_EEE10hipError_tPvRmT3_T4_T5_T6_T7_T9_mT8_P12ihipStream_tbDpT10_ENKUlT_T0_E_clISt17integral_constantIbLb0EES1A_EEDaS15_S16_EUlS15_E_NS1_11comp_targetILNS1_3genE10ELNS1_11target_archE1200ELNS1_3gpuE4ELNS1_3repE0EEENS1_30default_config_static_selectorELNS0_4arch9wavefront6targetE1EEEvT1_
                                        ; -- End function
	.set _ZN7rocprim17ROCPRIM_400000_NS6detail17trampoline_kernelINS0_14default_configENS1_25partition_config_selectorILNS1_17partition_subalgoE9EllbEEZZNS1_14partition_implILS5_9ELb0ES3_jPlS8_PNS0_10empty_typeENS0_5tupleIJS8_S9_EEENSB_IJS8_SA_EEENS0_18inequality_wrapperIZN2at6native12_GLOBAL__N_124unique_dim_cuda_templateIlEESt5tupleIJNSF_6TensorESK_SK_EERKSK_lbbbEUlllE0_EEPmJS9_EEE10hipError_tPvRmT3_T4_T5_T6_T7_T9_mT8_P12ihipStream_tbDpT10_ENKUlT_T0_E_clISt17integral_constantIbLb0EES1A_EEDaS15_S16_EUlS15_E_NS1_11comp_targetILNS1_3genE10ELNS1_11target_archE1200ELNS1_3gpuE4ELNS1_3repE0EEENS1_30default_config_static_selectorELNS0_4arch9wavefront6targetE1EEEvT1_.num_vgpr, 0
	.set _ZN7rocprim17ROCPRIM_400000_NS6detail17trampoline_kernelINS0_14default_configENS1_25partition_config_selectorILNS1_17partition_subalgoE9EllbEEZZNS1_14partition_implILS5_9ELb0ES3_jPlS8_PNS0_10empty_typeENS0_5tupleIJS8_S9_EEENSB_IJS8_SA_EEENS0_18inequality_wrapperIZN2at6native12_GLOBAL__N_124unique_dim_cuda_templateIlEESt5tupleIJNSF_6TensorESK_SK_EERKSK_lbbbEUlllE0_EEPmJS9_EEE10hipError_tPvRmT3_T4_T5_T6_T7_T9_mT8_P12ihipStream_tbDpT10_ENKUlT_T0_E_clISt17integral_constantIbLb0EES1A_EEDaS15_S16_EUlS15_E_NS1_11comp_targetILNS1_3genE10ELNS1_11target_archE1200ELNS1_3gpuE4ELNS1_3repE0EEENS1_30default_config_static_selectorELNS0_4arch9wavefront6targetE1EEEvT1_.num_agpr, 0
	.set _ZN7rocprim17ROCPRIM_400000_NS6detail17trampoline_kernelINS0_14default_configENS1_25partition_config_selectorILNS1_17partition_subalgoE9EllbEEZZNS1_14partition_implILS5_9ELb0ES3_jPlS8_PNS0_10empty_typeENS0_5tupleIJS8_S9_EEENSB_IJS8_SA_EEENS0_18inequality_wrapperIZN2at6native12_GLOBAL__N_124unique_dim_cuda_templateIlEESt5tupleIJNSF_6TensorESK_SK_EERKSK_lbbbEUlllE0_EEPmJS9_EEE10hipError_tPvRmT3_T4_T5_T6_T7_T9_mT8_P12ihipStream_tbDpT10_ENKUlT_T0_E_clISt17integral_constantIbLb0EES1A_EEDaS15_S16_EUlS15_E_NS1_11comp_targetILNS1_3genE10ELNS1_11target_archE1200ELNS1_3gpuE4ELNS1_3repE0EEENS1_30default_config_static_selectorELNS0_4arch9wavefront6targetE1EEEvT1_.numbered_sgpr, 0
	.set _ZN7rocprim17ROCPRIM_400000_NS6detail17trampoline_kernelINS0_14default_configENS1_25partition_config_selectorILNS1_17partition_subalgoE9EllbEEZZNS1_14partition_implILS5_9ELb0ES3_jPlS8_PNS0_10empty_typeENS0_5tupleIJS8_S9_EEENSB_IJS8_SA_EEENS0_18inequality_wrapperIZN2at6native12_GLOBAL__N_124unique_dim_cuda_templateIlEESt5tupleIJNSF_6TensorESK_SK_EERKSK_lbbbEUlllE0_EEPmJS9_EEE10hipError_tPvRmT3_T4_T5_T6_T7_T9_mT8_P12ihipStream_tbDpT10_ENKUlT_T0_E_clISt17integral_constantIbLb0EES1A_EEDaS15_S16_EUlS15_E_NS1_11comp_targetILNS1_3genE10ELNS1_11target_archE1200ELNS1_3gpuE4ELNS1_3repE0EEENS1_30default_config_static_selectorELNS0_4arch9wavefront6targetE1EEEvT1_.num_named_barrier, 0
	.set _ZN7rocprim17ROCPRIM_400000_NS6detail17trampoline_kernelINS0_14default_configENS1_25partition_config_selectorILNS1_17partition_subalgoE9EllbEEZZNS1_14partition_implILS5_9ELb0ES3_jPlS8_PNS0_10empty_typeENS0_5tupleIJS8_S9_EEENSB_IJS8_SA_EEENS0_18inequality_wrapperIZN2at6native12_GLOBAL__N_124unique_dim_cuda_templateIlEESt5tupleIJNSF_6TensorESK_SK_EERKSK_lbbbEUlllE0_EEPmJS9_EEE10hipError_tPvRmT3_T4_T5_T6_T7_T9_mT8_P12ihipStream_tbDpT10_ENKUlT_T0_E_clISt17integral_constantIbLb0EES1A_EEDaS15_S16_EUlS15_E_NS1_11comp_targetILNS1_3genE10ELNS1_11target_archE1200ELNS1_3gpuE4ELNS1_3repE0EEENS1_30default_config_static_selectorELNS0_4arch9wavefront6targetE1EEEvT1_.private_seg_size, 0
	.set _ZN7rocprim17ROCPRIM_400000_NS6detail17trampoline_kernelINS0_14default_configENS1_25partition_config_selectorILNS1_17partition_subalgoE9EllbEEZZNS1_14partition_implILS5_9ELb0ES3_jPlS8_PNS0_10empty_typeENS0_5tupleIJS8_S9_EEENSB_IJS8_SA_EEENS0_18inequality_wrapperIZN2at6native12_GLOBAL__N_124unique_dim_cuda_templateIlEESt5tupleIJNSF_6TensorESK_SK_EERKSK_lbbbEUlllE0_EEPmJS9_EEE10hipError_tPvRmT3_T4_T5_T6_T7_T9_mT8_P12ihipStream_tbDpT10_ENKUlT_T0_E_clISt17integral_constantIbLb0EES1A_EEDaS15_S16_EUlS15_E_NS1_11comp_targetILNS1_3genE10ELNS1_11target_archE1200ELNS1_3gpuE4ELNS1_3repE0EEENS1_30default_config_static_selectorELNS0_4arch9wavefront6targetE1EEEvT1_.uses_vcc, 0
	.set _ZN7rocprim17ROCPRIM_400000_NS6detail17trampoline_kernelINS0_14default_configENS1_25partition_config_selectorILNS1_17partition_subalgoE9EllbEEZZNS1_14partition_implILS5_9ELb0ES3_jPlS8_PNS0_10empty_typeENS0_5tupleIJS8_S9_EEENSB_IJS8_SA_EEENS0_18inequality_wrapperIZN2at6native12_GLOBAL__N_124unique_dim_cuda_templateIlEESt5tupleIJNSF_6TensorESK_SK_EERKSK_lbbbEUlllE0_EEPmJS9_EEE10hipError_tPvRmT3_T4_T5_T6_T7_T9_mT8_P12ihipStream_tbDpT10_ENKUlT_T0_E_clISt17integral_constantIbLb0EES1A_EEDaS15_S16_EUlS15_E_NS1_11comp_targetILNS1_3genE10ELNS1_11target_archE1200ELNS1_3gpuE4ELNS1_3repE0EEENS1_30default_config_static_selectorELNS0_4arch9wavefront6targetE1EEEvT1_.uses_flat_scratch, 0
	.set _ZN7rocprim17ROCPRIM_400000_NS6detail17trampoline_kernelINS0_14default_configENS1_25partition_config_selectorILNS1_17partition_subalgoE9EllbEEZZNS1_14partition_implILS5_9ELb0ES3_jPlS8_PNS0_10empty_typeENS0_5tupleIJS8_S9_EEENSB_IJS8_SA_EEENS0_18inequality_wrapperIZN2at6native12_GLOBAL__N_124unique_dim_cuda_templateIlEESt5tupleIJNSF_6TensorESK_SK_EERKSK_lbbbEUlllE0_EEPmJS9_EEE10hipError_tPvRmT3_T4_T5_T6_T7_T9_mT8_P12ihipStream_tbDpT10_ENKUlT_T0_E_clISt17integral_constantIbLb0EES1A_EEDaS15_S16_EUlS15_E_NS1_11comp_targetILNS1_3genE10ELNS1_11target_archE1200ELNS1_3gpuE4ELNS1_3repE0EEENS1_30default_config_static_selectorELNS0_4arch9wavefront6targetE1EEEvT1_.has_dyn_sized_stack, 0
	.set _ZN7rocprim17ROCPRIM_400000_NS6detail17trampoline_kernelINS0_14default_configENS1_25partition_config_selectorILNS1_17partition_subalgoE9EllbEEZZNS1_14partition_implILS5_9ELb0ES3_jPlS8_PNS0_10empty_typeENS0_5tupleIJS8_S9_EEENSB_IJS8_SA_EEENS0_18inequality_wrapperIZN2at6native12_GLOBAL__N_124unique_dim_cuda_templateIlEESt5tupleIJNSF_6TensorESK_SK_EERKSK_lbbbEUlllE0_EEPmJS9_EEE10hipError_tPvRmT3_T4_T5_T6_T7_T9_mT8_P12ihipStream_tbDpT10_ENKUlT_T0_E_clISt17integral_constantIbLb0EES1A_EEDaS15_S16_EUlS15_E_NS1_11comp_targetILNS1_3genE10ELNS1_11target_archE1200ELNS1_3gpuE4ELNS1_3repE0EEENS1_30default_config_static_selectorELNS0_4arch9wavefront6targetE1EEEvT1_.has_recursion, 0
	.set _ZN7rocprim17ROCPRIM_400000_NS6detail17trampoline_kernelINS0_14default_configENS1_25partition_config_selectorILNS1_17partition_subalgoE9EllbEEZZNS1_14partition_implILS5_9ELb0ES3_jPlS8_PNS0_10empty_typeENS0_5tupleIJS8_S9_EEENSB_IJS8_SA_EEENS0_18inequality_wrapperIZN2at6native12_GLOBAL__N_124unique_dim_cuda_templateIlEESt5tupleIJNSF_6TensorESK_SK_EERKSK_lbbbEUlllE0_EEPmJS9_EEE10hipError_tPvRmT3_T4_T5_T6_T7_T9_mT8_P12ihipStream_tbDpT10_ENKUlT_T0_E_clISt17integral_constantIbLb0EES1A_EEDaS15_S16_EUlS15_E_NS1_11comp_targetILNS1_3genE10ELNS1_11target_archE1200ELNS1_3gpuE4ELNS1_3repE0EEENS1_30default_config_static_selectorELNS0_4arch9wavefront6targetE1EEEvT1_.has_indirect_call, 0
	.section	.AMDGPU.csdata,"",@progbits
; Kernel info:
; codeLenInByte = 0
; TotalNumSgprs: 6
; NumVgprs: 0
; NumAgprs: 0
; TotalNumVgprs: 0
; ScratchSize: 0
; MemoryBound: 0
; FloatMode: 240
; IeeeMode: 1
; LDSByteSize: 0 bytes/workgroup (compile time only)
; SGPRBlocks: 0
; VGPRBlocks: 0
; NumSGPRsForWavesPerEU: 6
; NumVGPRsForWavesPerEU: 1
; AccumOffset: 4
; Occupancy: 8
; WaveLimiterHint : 0
; COMPUTE_PGM_RSRC2:SCRATCH_EN: 0
; COMPUTE_PGM_RSRC2:USER_SGPR: 2
; COMPUTE_PGM_RSRC2:TRAP_HANDLER: 0
; COMPUTE_PGM_RSRC2:TGID_X_EN: 1
; COMPUTE_PGM_RSRC2:TGID_Y_EN: 0
; COMPUTE_PGM_RSRC2:TGID_Z_EN: 0
; COMPUTE_PGM_RSRC2:TIDIG_COMP_CNT: 0
; COMPUTE_PGM_RSRC3_GFX90A:ACCUM_OFFSET: 0
; COMPUTE_PGM_RSRC3_GFX90A:TG_SPLIT: 0
	.section	.text._ZN7rocprim17ROCPRIM_400000_NS6detail17trampoline_kernelINS0_14default_configENS1_25partition_config_selectorILNS1_17partition_subalgoE9EllbEEZZNS1_14partition_implILS5_9ELb0ES3_jPlS8_PNS0_10empty_typeENS0_5tupleIJS8_S9_EEENSB_IJS8_SA_EEENS0_18inequality_wrapperIZN2at6native12_GLOBAL__N_124unique_dim_cuda_templateIlEESt5tupleIJNSF_6TensorESK_SK_EERKSK_lbbbEUlllE0_EEPmJS9_EEE10hipError_tPvRmT3_T4_T5_T6_T7_T9_mT8_P12ihipStream_tbDpT10_ENKUlT_T0_E_clISt17integral_constantIbLb0EES1A_EEDaS15_S16_EUlS15_E_NS1_11comp_targetILNS1_3genE9ELNS1_11target_archE1100ELNS1_3gpuE3ELNS1_3repE0EEENS1_30default_config_static_selectorELNS0_4arch9wavefront6targetE1EEEvT1_,"axG",@progbits,_ZN7rocprim17ROCPRIM_400000_NS6detail17trampoline_kernelINS0_14default_configENS1_25partition_config_selectorILNS1_17partition_subalgoE9EllbEEZZNS1_14partition_implILS5_9ELb0ES3_jPlS8_PNS0_10empty_typeENS0_5tupleIJS8_S9_EEENSB_IJS8_SA_EEENS0_18inequality_wrapperIZN2at6native12_GLOBAL__N_124unique_dim_cuda_templateIlEESt5tupleIJNSF_6TensorESK_SK_EERKSK_lbbbEUlllE0_EEPmJS9_EEE10hipError_tPvRmT3_T4_T5_T6_T7_T9_mT8_P12ihipStream_tbDpT10_ENKUlT_T0_E_clISt17integral_constantIbLb0EES1A_EEDaS15_S16_EUlS15_E_NS1_11comp_targetILNS1_3genE9ELNS1_11target_archE1100ELNS1_3gpuE3ELNS1_3repE0EEENS1_30default_config_static_selectorELNS0_4arch9wavefront6targetE1EEEvT1_,comdat
	.globl	_ZN7rocprim17ROCPRIM_400000_NS6detail17trampoline_kernelINS0_14default_configENS1_25partition_config_selectorILNS1_17partition_subalgoE9EllbEEZZNS1_14partition_implILS5_9ELb0ES3_jPlS8_PNS0_10empty_typeENS0_5tupleIJS8_S9_EEENSB_IJS8_SA_EEENS0_18inequality_wrapperIZN2at6native12_GLOBAL__N_124unique_dim_cuda_templateIlEESt5tupleIJNSF_6TensorESK_SK_EERKSK_lbbbEUlllE0_EEPmJS9_EEE10hipError_tPvRmT3_T4_T5_T6_T7_T9_mT8_P12ihipStream_tbDpT10_ENKUlT_T0_E_clISt17integral_constantIbLb0EES1A_EEDaS15_S16_EUlS15_E_NS1_11comp_targetILNS1_3genE9ELNS1_11target_archE1100ELNS1_3gpuE3ELNS1_3repE0EEENS1_30default_config_static_selectorELNS0_4arch9wavefront6targetE1EEEvT1_ ; -- Begin function _ZN7rocprim17ROCPRIM_400000_NS6detail17trampoline_kernelINS0_14default_configENS1_25partition_config_selectorILNS1_17partition_subalgoE9EllbEEZZNS1_14partition_implILS5_9ELb0ES3_jPlS8_PNS0_10empty_typeENS0_5tupleIJS8_S9_EEENSB_IJS8_SA_EEENS0_18inequality_wrapperIZN2at6native12_GLOBAL__N_124unique_dim_cuda_templateIlEESt5tupleIJNSF_6TensorESK_SK_EERKSK_lbbbEUlllE0_EEPmJS9_EEE10hipError_tPvRmT3_T4_T5_T6_T7_T9_mT8_P12ihipStream_tbDpT10_ENKUlT_T0_E_clISt17integral_constantIbLb0EES1A_EEDaS15_S16_EUlS15_E_NS1_11comp_targetILNS1_3genE9ELNS1_11target_archE1100ELNS1_3gpuE3ELNS1_3repE0EEENS1_30default_config_static_selectorELNS0_4arch9wavefront6targetE1EEEvT1_
	.p2align	8
	.type	_ZN7rocprim17ROCPRIM_400000_NS6detail17trampoline_kernelINS0_14default_configENS1_25partition_config_selectorILNS1_17partition_subalgoE9EllbEEZZNS1_14partition_implILS5_9ELb0ES3_jPlS8_PNS0_10empty_typeENS0_5tupleIJS8_S9_EEENSB_IJS8_SA_EEENS0_18inequality_wrapperIZN2at6native12_GLOBAL__N_124unique_dim_cuda_templateIlEESt5tupleIJNSF_6TensorESK_SK_EERKSK_lbbbEUlllE0_EEPmJS9_EEE10hipError_tPvRmT3_T4_T5_T6_T7_T9_mT8_P12ihipStream_tbDpT10_ENKUlT_T0_E_clISt17integral_constantIbLb0EES1A_EEDaS15_S16_EUlS15_E_NS1_11comp_targetILNS1_3genE9ELNS1_11target_archE1100ELNS1_3gpuE3ELNS1_3repE0EEENS1_30default_config_static_selectorELNS0_4arch9wavefront6targetE1EEEvT1_,@function
_ZN7rocprim17ROCPRIM_400000_NS6detail17trampoline_kernelINS0_14default_configENS1_25partition_config_selectorILNS1_17partition_subalgoE9EllbEEZZNS1_14partition_implILS5_9ELb0ES3_jPlS8_PNS0_10empty_typeENS0_5tupleIJS8_S9_EEENSB_IJS8_SA_EEENS0_18inequality_wrapperIZN2at6native12_GLOBAL__N_124unique_dim_cuda_templateIlEESt5tupleIJNSF_6TensorESK_SK_EERKSK_lbbbEUlllE0_EEPmJS9_EEE10hipError_tPvRmT3_T4_T5_T6_T7_T9_mT8_P12ihipStream_tbDpT10_ENKUlT_T0_E_clISt17integral_constantIbLb0EES1A_EEDaS15_S16_EUlS15_E_NS1_11comp_targetILNS1_3genE9ELNS1_11target_archE1100ELNS1_3gpuE3ELNS1_3repE0EEENS1_30default_config_static_selectorELNS0_4arch9wavefront6targetE1EEEvT1_: ; @_ZN7rocprim17ROCPRIM_400000_NS6detail17trampoline_kernelINS0_14default_configENS1_25partition_config_selectorILNS1_17partition_subalgoE9EllbEEZZNS1_14partition_implILS5_9ELb0ES3_jPlS8_PNS0_10empty_typeENS0_5tupleIJS8_S9_EEENSB_IJS8_SA_EEENS0_18inequality_wrapperIZN2at6native12_GLOBAL__N_124unique_dim_cuda_templateIlEESt5tupleIJNSF_6TensorESK_SK_EERKSK_lbbbEUlllE0_EEPmJS9_EEE10hipError_tPvRmT3_T4_T5_T6_T7_T9_mT8_P12ihipStream_tbDpT10_ENKUlT_T0_E_clISt17integral_constantIbLb0EES1A_EEDaS15_S16_EUlS15_E_NS1_11comp_targetILNS1_3genE9ELNS1_11target_archE1100ELNS1_3gpuE3ELNS1_3repE0EEENS1_30default_config_static_selectorELNS0_4arch9wavefront6targetE1EEEvT1_
; %bb.0:
	.section	.rodata,"a",@progbits
	.p2align	6, 0x0
	.amdhsa_kernel _ZN7rocprim17ROCPRIM_400000_NS6detail17trampoline_kernelINS0_14default_configENS1_25partition_config_selectorILNS1_17partition_subalgoE9EllbEEZZNS1_14partition_implILS5_9ELb0ES3_jPlS8_PNS0_10empty_typeENS0_5tupleIJS8_S9_EEENSB_IJS8_SA_EEENS0_18inequality_wrapperIZN2at6native12_GLOBAL__N_124unique_dim_cuda_templateIlEESt5tupleIJNSF_6TensorESK_SK_EERKSK_lbbbEUlllE0_EEPmJS9_EEE10hipError_tPvRmT3_T4_T5_T6_T7_T9_mT8_P12ihipStream_tbDpT10_ENKUlT_T0_E_clISt17integral_constantIbLb0EES1A_EEDaS15_S16_EUlS15_E_NS1_11comp_targetILNS1_3genE9ELNS1_11target_archE1100ELNS1_3gpuE3ELNS1_3repE0EEENS1_30default_config_static_selectorELNS0_4arch9wavefront6targetE1EEEvT1_
		.amdhsa_group_segment_fixed_size 0
		.amdhsa_private_segment_fixed_size 0
		.amdhsa_kernarg_size 120
		.amdhsa_user_sgpr_count 2
		.amdhsa_user_sgpr_dispatch_ptr 0
		.amdhsa_user_sgpr_queue_ptr 0
		.amdhsa_user_sgpr_kernarg_segment_ptr 1
		.amdhsa_user_sgpr_dispatch_id 0
		.amdhsa_user_sgpr_kernarg_preload_length 0
		.amdhsa_user_sgpr_kernarg_preload_offset 0
		.amdhsa_user_sgpr_private_segment_size 0
		.amdhsa_uses_dynamic_stack 0
		.amdhsa_enable_private_segment 0
		.amdhsa_system_sgpr_workgroup_id_x 1
		.amdhsa_system_sgpr_workgroup_id_y 0
		.amdhsa_system_sgpr_workgroup_id_z 0
		.amdhsa_system_sgpr_workgroup_info 0
		.amdhsa_system_vgpr_workitem_id 0
		.amdhsa_next_free_vgpr 1
		.amdhsa_next_free_sgpr 0
		.amdhsa_accum_offset 4
		.amdhsa_reserve_vcc 0
		.amdhsa_float_round_mode_32 0
		.amdhsa_float_round_mode_16_64 0
		.amdhsa_float_denorm_mode_32 3
		.amdhsa_float_denorm_mode_16_64 3
		.amdhsa_dx10_clamp 1
		.amdhsa_ieee_mode 1
		.amdhsa_fp16_overflow 0
		.amdhsa_tg_split 0
		.amdhsa_exception_fp_ieee_invalid_op 0
		.amdhsa_exception_fp_denorm_src 0
		.amdhsa_exception_fp_ieee_div_zero 0
		.amdhsa_exception_fp_ieee_overflow 0
		.amdhsa_exception_fp_ieee_underflow 0
		.amdhsa_exception_fp_ieee_inexact 0
		.amdhsa_exception_int_div_zero 0
	.end_amdhsa_kernel
	.section	.text._ZN7rocprim17ROCPRIM_400000_NS6detail17trampoline_kernelINS0_14default_configENS1_25partition_config_selectorILNS1_17partition_subalgoE9EllbEEZZNS1_14partition_implILS5_9ELb0ES3_jPlS8_PNS0_10empty_typeENS0_5tupleIJS8_S9_EEENSB_IJS8_SA_EEENS0_18inequality_wrapperIZN2at6native12_GLOBAL__N_124unique_dim_cuda_templateIlEESt5tupleIJNSF_6TensorESK_SK_EERKSK_lbbbEUlllE0_EEPmJS9_EEE10hipError_tPvRmT3_T4_T5_T6_T7_T9_mT8_P12ihipStream_tbDpT10_ENKUlT_T0_E_clISt17integral_constantIbLb0EES1A_EEDaS15_S16_EUlS15_E_NS1_11comp_targetILNS1_3genE9ELNS1_11target_archE1100ELNS1_3gpuE3ELNS1_3repE0EEENS1_30default_config_static_selectorELNS0_4arch9wavefront6targetE1EEEvT1_,"axG",@progbits,_ZN7rocprim17ROCPRIM_400000_NS6detail17trampoline_kernelINS0_14default_configENS1_25partition_config_selectorILNS1_17partition_subalgoE9EllbEEZZNS1_14partition_implILS5_9ELb0ES3_jPlS8_PNS0_10empty_typeENS0_5tupleIJS8_S9_EEENSB_IJS8_SA_EEENS0_18inequality_wrapperIZN2at6native12_GLOBAL__N_124unique_dim_cuda_templateIlEESt5tupleIJNSF_6TensorESK_SK_EERKSK_lbbbEUlllE0_EEPmJS9_EEE10hipError_tPvRmT3_T4_T5_T6_T7_T9_mT8_P12ihipStream_tbDpT10_ENKUlT_T0_E_clISt17integral_constantIbLb0EES1A_EEDaS15_S16_EUlS15_E_NS1_11comp_targetILNS1_3genE9ELNS1_11target_archE1100ELNS1_3gpuE3ELNS1_3repE0EEENS1_30default_config_static_selectorELNS0_4arch9wavefront6targetE1EEEvT1_,comdat
.Lfunc_end601:
	.size	_ZN7rocprim17ROCPRIM_400000_NS6detail17trampoline_kernelINS0_14default_configENS1_25partition_config_selectorILNS1_17partition_subalgoE9EllbEEZZNS1_14partition_implILS5_9ELb0ES3_jPlS8_PNS0_10empty_typeENS0_5tupleIJS8_S9_EEENSB_IJS8_SA_EEENS0_18inequality_wrapperIZN2at6native12_GLOBAL__N_124unique_dim_cuda_templateIlEESt5tupleIJNSF_6TensorESK_SK_EERKSK_lbbbEUlllE0_EEPmJS9_EEE10hipError_tPvRmT3_T4_T5_T6_T7_T9_mT8_P12ihipStream_tbDpT10_ENKUlT_T0_E_clISt17integral_constantIbLb0EES1A_EEDaS15_S16_EUlS15_E_NS1_11comp_targetILNS1_3genE9ELNS1_11target_archE1100ELNS1_3gpuE3ELNS1_3repE0EEENS1_30default_config_static_selectorELNS0_4arch9wavefront6targetE1EEEvT1_, .Lfunc_end601-_ZN7rocprim17ROCPRIM_400000_NS6detail17trampoline_kernelINS0_14default_configENS1_25partition_config_selectorILNS1_17partition_subalgoE9EllbEEZZNS1_14partition_implILS5_9ELb0ES3_jPlS8_PNS0_10empty_typeENS0_5tupleIJS8_S9_EEENSB_IJS8_SA_EEENS0_18inequality_wrapperIZN2at6native12_GLOBAL__N_124unique_dim_cuda_templateIlEESt5tupleIJNSF_6TensorESK_SK_EERKSK_lbbbEUlllE0_EEPmJS9_EEE10hipError_tPvRmT3_T4_T5_T6_T7_T9_mT8_P12ihipStream_tbDpT10_ENKUlT_T0_E_clISt17integral_constantIbLb0EES1A_EEDaS15_S16_EUlS15_E_NS1_11comp_targetILNS1_3genE9ELNS1_11target_archE1100ELNS1_3gpuE3ELNS1_3repE0EEENS1_30default_config_static_selectorELNS0_4arch9wavefront6targetE1EEEvT1_
                                        ; -- End function
	.set _ZN7rocprim17ROCPRIM_400000_NS6detail17trampoline_kernelINS0_14default_configENS1_25partition_config_selectorILNS1_17partition_subalgoE9EllbEEZZNS1_14partition_implILS5_9ELb0ES3_jPlS8_PNS0_10empty_typeENS0_5tupleIJS8_S9_EEENSB_IJS8_SA_EEENS0_18inequality_wrapperIZN2at6native12_GLOBAL__N_124unique_dim_cuda_templateIlEESt5tupleIJNSF_6TensorESK_SK_EERKSK_lbbbEUlllE0_EEPmJS9_EEE10hipError_tPvRmT3_T4_T5_T6_T7_T9_mT8_P12ihipStream_tbDpT10_ENKUlT_T0_E_clISt17integral_constantIbLb0EES1A_EEDaS15_S16_EUlS15_E_NS1_11comp_targetILNS1_3genE9ELNS1_11target_archE1100ELNS1_3gpuE3ELNS1_3repE0EEENS1_30default_config_static_selectorELNS0_4arch9wavefront6targetE1EEEvT1_.num_vgpr, 0
	.set _ZN7rocprim17ROCPRIM_400000_NS6detail17trampoline_kernelINS0_14default_configENS1_25partition_config_selectorILNS1_17partition_subalgoE9EllbEEZZNS1_14partition_implILS5_9ELb0ES3_jPlS8_PNS0_10empty_typeENS0_5tupleIJS8_S9_EEENSB_IJS8_SA_EEENS0_18inequality_wrapperIZN2at6native12_GLOBAL__N_124unique_dim_cuda_templateIlEESt5tupleIJNSF_6TensorESK_SK_EERKSK_lbbbEUlllE0_EEPmJS9_EEE10hipError_tPvRmT3_T4_T5_T6_T7_T9_mT8_P12ihipStream_tbDpT10_ENKUlT_T0_E_clISt17integral_constantIbLb0EES1A_EEDaS15_S16_EUlS15_E_NS1_11comp_targetILNS1_3genE9ELNS1_11target_archE1100ELNS1_3gpuE3ELNS1_3repE0EEENS1_30default_config_static_selectorELNS0_4arch9wavefront6targetE1EEEvT1_.num_agpr, 0
	.set _ZN7rocprim17ROCPRIM_400000_NS6detail17trampoline_kernelINS0_14default_configENS1_25partition_config_selectorILNS1_17partition_subalgoE9EllbEEZZNS1_14partition_implILS5_9ELb0ES3_jPlS8_PNS0_10empty_typeENS0_5tupleIJS8_S9_EEENSB_IJS8_SA_EEENS0_18inequality_wrapperIZN2at6native12_GLOBAL__N_124unique_dim_cuda_templateIlEESt5tupleIJNSF_6TensorESK_SK_EERKSK_lbbbEUlllE0_EEPmJS9_EEE10hipError_tPvRmT3_T4_T5_T6_T7_T9_mT8_P12ihipStream_tbDpT10_ENKUlT_T0_E_clISt17integral_constantIbLb0EES1A_EEDaS15_S16_EUlS15_E_NS1_11comp_targetILNS1_3genE9ELNS1_11target_archE1100ELNS1_3gpuE3ELNS1_3repE0EEENS1_30default_config_static_selectorELNS0_4arch9wavefront6targetE1EEEvT1_.numbered_sgpr, 0
	.set _ZN7rocprim17ROCPRIM_400000_NS6detail17trampoline_kernelINS0_14default_configENS1_25partition_config_selectorILNS1_17partition_subalgoE9EllbEEZZNS1_14partition_implILS5_9ELb0ES3_jPlS8_PNS0_10empty_typeENS0_5tupleIJS8_S9_EEENSB_IJS8_SA_EEENS0_18inequality_wrapperIZN2at6native12_GLOBAL__N_124unique_dim_cuda_templateIlEESt5tupleIJNSF_6TensorESK_SK_EERKSK_lbbbEUlllE0_EEPmJS9_EEE10hipError_tPvRmT3_T4_T5_T6_T7_T9_mT8_P12ihipStream_tbDpT10_ENKUlT_T0_E_clISt17integral_constantIbLb0EES1A_EEDaS15_S16_EUlS15_E_NS1_11comp_targetILNS1_3genE9ELNS1_11target_archE1100ELNS1_3gpuE3ELNS1_3repE0EEENS1_30default_config_static_selectorELNS0_4arch9wavefront6targetE1EEEvT1_.num_named_barrier, 0
	.set _ZN7rocprim17ROCPRIM_400000_NS6detail17trampoline_kernelINS0_14default_configENS1_25partition_config_selectorILNS1_17partition_subalgoE9EllbEEZZNS1_14partition_implILS5_9ELb0ES3_jPlS8_PNS0_10empty_typeENS0_5tupleIJS8_S9_EEENSB_IJS8_SA_EEENS0_18inequality_wrapperIZN2at6native12_GLOBAL__N_124unique_dim_cuda_templateIlEESt5tupleIJNSF_6TensorESK_SK_EERKSK_lbbbEUlllE0_EEPmJS9_EEE10hipError_tPvRmT3_T4_T5_T6_T7_T9_mT8_P12ihipStream_tbDpT10_ENKUlT_T0_E_clISt17integral_constantIbLb0EES1A_EEDaS15_S16_EUlS15_E_NS1_11comp_targetILNS1_3genE9ELNS1_11target_archE1100ELNS1_3gpuE3ELNS1_3repE0EEENS1_30default_config_static_selectorELNS0_4arch9wavefront6targetE1EEEvT1_.private_seg_size, 0
	.set _ZN7rocprim17ROCPRIM_400000_NS6detail17trampoline_kernelINS0_14default_configENS1_25partition_config_selectorILNS1_17partition_subalgoE9EllbEEZZNS1_14partition_implILS5_9ELb0ES3_jPlS8_PNS0_10empty_typeENS0_5tupleIJS8_S9_EEENSB_IJS8_SA_EEENS0_18inequality_wrapperIZN2at6native12_GLOBAL__N_124unique_dim_cuda_templateIlEESt5tupleIJNSF_6TensorESK_SK_EERKSK_lbbbEUlllE0_EEPmJS9_EEE10hipError_tPvRmT3_T4_T5_T6_T7_T9_mT8_P12ihipStream_tbDpT10_ENKUlT_T0_E_clISt17integral_constantIbLb0EES1A_EEDaS15_S16_EUlS15_E_NS1_11comp_targetILNS1_3genE9ELNS1_11target_archE1100ELNS1_3gpuE3ELNS1_3repE0EEENS1_30default_config_static_selectorELNS0_4arch9wavefront6targetE1EEEvT1_.uses_vcc, 0
	.set _ZN7rocprim17ROCPRIM_400000_NS6detail17trampoline_kernelINS0_14default_configENS1_25partition_config_selectorILNS1_17partition_subalgoE9EllbEEZZNS1_14partition_implILS5_9ELb0ES3_jPlS8_PNS0_10empty_typeENS0_5tupleIJS8_S9_EEENSB_IJS8_SA_EEENS0_18inequality_wrapperIZN2at6native12_GLOBAL__N_124unique_dim_cuda_templateIlEESt5tupleIJNSF_6TensorESK_SK_EERKSK_lbbbEUlllE0_EEPmJS9_EEE10hipError_tPvRmT3_T4_T5_T6_T7_T9_mT8_P12ihipStream_tbDpT10_ENKUlT_T0_E_clISt17integral_constantIbLb0EES1A_EEDaS15_S16_EUlS15_E_NS1_11comp_targetILNS1_3genE9ELNS1_11target_archE1100ELNS1_3gpuE3ELNS1_3repE0EEENS1_30default_config_static_selectorELNS0_4arch9wavefront6targetE1EEEvT1_.uses_flat_scratch, 0
	.set _ZN7rocprim17ROCPRIM_400000_NS6detail17trampoline_kernelINS0_14default_configENS1_25partition_config_selectorILNS1_17partition_subalgoE9EllbEEZZNS1_14partition_implILS5_9ELb0ES3_jPlS8_PNS0_10empty_typeENS0_5tupleIJS8_S9_EEENSB_IJS8_SA_EEENS0_18inequality_wrapperIZN2at6native12_GLOBAL__N_124unique_dim_cuda_templateIlEESt5tupleIJNSF_6TensorESK_SK_EERKSK_lbbbEUlllE0_EEPmJS9_EEE10hipError_tPvRmT3_T4_T5_T6_T7_T9_mT8_P12ihipStream_tbDpT10_ENKUlT_T0_E_clISt17integral_constantIbLb0EES1A_EEDaS15_S16_EUlS15_E_NS1_11comp_targetILNS1_3genE9ELNS1_11target_archE1100ELNS1_3gpuE3ELNS1_3repE0EEENS1_30default_config_static_selectorELNS0_4arch9wavefront6targetE1EEEvT1_.has_dyn_sized_stack, 0
	.set _ZN7rocprim17ROCPRIM_400000_NS6detail17trampoline_kernelINS0_14default_configENS1_25partition_config_selectorILNS1_17partition_subalgoE9EllbEEZZNS1_14partition_implILS5_9ELb0ES3_jPlS8_PNS0_10empty_typeENS0_5tupleIJS8_S9_EEENSB_IJS8_SA_EEENS0_18inequality_wrapperIZN2at6native12_GLOBAL__N_124unique_dim_cuda_templateIlEESt5tupleIJNSF_6TensorESK_SK_EERKSK_lbbbEUlllE0_EEPmJS9_EEE10hipError_tPvRmT3_T4_T5_T6_T7_T9_mT8_P12ihipStream_tbDpT10_ENKUlT_T0_E_clISt17integral_constantIbLb0EES1A_EEDaS15_S16_EUlS15_E_NS1_11comp_targetILNS1_3genE9ELNS1_11target_archE1100ELNS1_3gpuE3ELNS1_3repE0EEENS1_30default_config_static_selectorELNS0_4arch9wavefront6targetE1EEEvT1_.has_recursion, 0
	.set _ZN7rocprim17ROCPRIM_400000_NS6detail17trampoline_kernelINS0_14default_configENS1_25partition_config_selectorILNS1_17partition_subalgoE9EllbEEZZNS1_14partition_implILS5_9ELb0ES3_jPlS8_PNS0_10empty_typeENS0_5tupleIJS8_S9_EEENSB_IJS8_SA_EEENS0_18inequality_wrapperIZN2at6native12_GLOBAL__N_124unique_dim_cuda_templateIlEESt5tupleIJNSF_6TensorESK_SK_EERKSK_lbbbEUlllE0_EEPmJS9_EEE10hipError_tPvRmT3_T4_T5_T6_T7_T9_mT8_P12ihipStream_tbDpT10_ENKUlT_T0_E_clISt17integral_constantIbLb0EES1A_EEDaS15_S16_EUlS15_E_NS1_11comp_targetILNS1_3genE9ELNS1_11target_archE1100ELNS1_3gpuE3ELNS1_3repE0EEENS1_30default_config_static_selectorELNS0_4arch9wavefront6targetE1EEEvT1_.has_indirect_call, 0
	.section	.AMDGPU.csdata,"",@progbits
; Kernel info:
; codeLenInByte = 0
; TotalNumSgprs: 6
; NumVgprs: 0
; NumAgprs: 0
; TotalNumVgprs: 0
; ScratchSize: 0
; MemoryBound: 0
; FloatMode: 240
; IeeeMode: 1
; LDSByteSize: 0 bytes/workgroup (compile time only)
; SGPRBlocks: 0
; VGPRBlocks: 0
; NumSGPRsForWavesPerEU: 6
; NumVGPRsForWavesPerEU: 1
; AccumOffset: 4
; Occupancy: 8
; WaveLimiterHint : 0
; COMPUTE_PGM_RSRC2:SCRATCH_EN: 0
; COMPUTE_PGM_RSRC2:USER_SGPR: 2
; COMPUTE_PGM_RSRC2:TRAP_HANDLER: 0
; COMPUTE_PGM_RSRC2:TGID_X_EN: 1
; COMPUTE_PGM_RSRC2:TGID_Y_EN: 0
; COMPUTE_PGM_RSRC2:TGID_Z_EN: 0
; COMPUTE_PGM_RSRC2:TIDIG_COMP_CNT: 0
; COMPUTE_PGM_RSRC3_GFX90A:ACCUM_OFFSET: 0
; COMPUTE_PGM_RSRC3_GFX90A:TG_SPLIT: 0
	.section	.text._ZN7rocprim17ROCPRIM_400000_NS6detail17trampoline_kernelINS0_14default_configENS1_25partition_config_selectorILNS1_17partition_subalgoE9EllbEEZZNS1_14partition_implILS5_9ELb0ES3_jPlS8_PNS0_10empty_typeENS0_5tupleIJS8_S9_EEENSB_IJS8_SA_EEENS0_18inequality_wrapperIZN2at6native12_GLOBAL__N_124unique_dim_cuda_templateIlEESt5tupleIJNSF_6TensorESK_SK_EERKSK_lbbbEUlllE0_EEPmJS9_EEE10hipError_tPvRmT3_T4_T5_T6_T7_T9_mT8_P12ihipStream_tbDpT10_ENKUlT_T0_E_clISt17integral_constantIbLb0EES1A_EEDaS15_S16_EUlS15_E_NS1_11comp_targetILNS1_3genE8ELNS1_11target_archE1030ELNS1_3gpuE2ELNS1_3repE0EEENS1_30default_config_static_selectorELNS0_4arch9wavefront6targetE1EEEvT1_,"axG",@progbits,_ZN7rocprim17ROCPRIM_400000_NS6detail17trampoline_kernelINS0_14default_configENS1_25partition_config_selectorILNS1_17partition_subalgoE9EllbEEZZNS1_14partition_implILS5_9ELb0ES3_jPlS8_PNS0_10empty_typeENS0_5tupleIJS8_S9_EEENSB_IJS8_SA_EEENS0_18inequality_wrapperIZN2at6native12_GLOBAL__N_124unique_dim_cuda_templateIlEESt5tupleIJNSF_6TensorESK_SK_EERKSK_lbbbEUlllE0_EEPmJS9_EEE10hipError_tPvRmT3_T4_T5_T6_T7_T9_mT8_P12ihipStream_tbDpT10_ENKUlT_T0_E_clISt17integral_constantIbLb0EES1A_EEDaS15_S16_EUlS15_E_NS1_11comp_targetILNS1_3genE8ELNS1_11target_archE1030ELNS1_3gpuE2ELNS1_3repE0EEENS1_30default_config_static_selectorELNS0_4arch9wavefront6targetE1EEEvT1_,comdat
	.globl	_ZN7rocprim17ROCPRIM_400000_NS6detail17trampoline_kernelINS0_14default_configENS1_25partition_config_selectorILNS1_17partition_subalgoE9EllbEEZZNS1_14partition_implILS5_9ELb0ES3_jPlS8_PNS0_10empty_typeENS0_5tupleIJS8_S9_EEENSB_IJS8_SA_EEENS0_18inequality_wrapperIZN2at6native12_GLOBAL__N_124unique_dim_cuda_templateIlEESt5tupleIJNSF_6TensorESK_SK_EERKSK_lbbbEUlllE0_EEPmJS9_EEE10hipError_tPvRmT3_T4_T5_T6_T7_T9_mT8_P12ihipStream_tbDpT10_ENKUlT_T0_E_clISt17integral_constantIbLb0EES1A_EEDaS15_S16_EUlS15_E_NS1_11comp_targetILNS1_3genE8ELNS1_11target_archE1030ELNS1_3gpuE2ELNS1_3repE0EEENS1_30default_config_static_selectorELNS0_4arch9wavefront6targetE1EEEvT1_ ; -- Begin function _ZN7rocprim17ROCPRIM_400000_NS6detail17trampoline_kernelINS0_14default_configENS1_25partition_config_selectorILNS1_17partition_subalgoE9EllbEEZZNS1_14partition_implILS5_9ELb0ES3_jPlS8_PNS0_10empty_typeENS0_5tupleIJS8_S9_EEENSB_IJS8_SA_EEENS0_18inequality_wrapperIZN2at6native12_GLOBAL__N_124unique_dim_cuda_templateIlEESt5tupleIJNSF_6TensorESK_SK_EERKSK_lbbbEUlllE0_EEPmJS9_EEE10hipError_tPvRmT3_T4_T5_T6_T7_T9_mT8_P12ihipStream_tbDpT10_ENKUlT_T0_E_clISt17integral_constantIbLb0EES1A_EEDaS15_S16_EUlS15_E_NS1_11comp_targetILNS1_3genE8ELNS1_11target_archE1030ELNS1_3gpuE2ELNS1_3repE0EEENS1_30default_config_static_selectorELNS0_4arch9wavefront6targetE1EEEvT1_
	.p2align	8
	.type	_ZN7rocprim17ROCPRIM_400000_NS6detail17trampoline_kernelINS0_14default_configENS1_25partition_config_selectorILNS1_17partition_subalgoE9EllbEEZZNS1_14partition_implILS5_9ELb0ES3_jPlS8_PNS0_10empty_typeENS0_5tupleIJS8_S9_EEENSB_IJS8_SA_EEENS0_18inequality_wrapperIZN2at6native12_GLOBAL__N_124unique_dim_cuda_templateIlEESt5tupleIJNSF_6TensorESK_SK_EERKSK_lbbbEUlllE0_EEPmJS9_EEE10hipError_tPvRmT3_T4_T5_T6_T7_T9_mT8_P12ihipStream_tbDpT10_ENKUlT_T0_E_clISt17integral_constantIbLb0EES1A_EEDaS15_S16_EUlS15_E_NS1_11comp_targetILNS1_3genE8ELNS1_11target_archE1030ELNS1_3gpuE2ELNS1_3repE0EEENS1_30default_config_static_selectorELNS0_4arch9wavefront6targetE1EEEvT1_,@function
_ZN7rocprim17ROCPRIM_400000_NS6detail17trampoline_kernelINS0_14default_configENS1_25partition_config_selectorILNS1_17partition_subalgoE9EllbEEZZNS1_14partition_implILS5_9ELb0ES3_jPlS8_PNS0_10empty_typeENS0_5tupleIJS8_S9_EEENSB_IJS8_SA_EEENS0_18inequality_wrapperIZN2at6native12_GLOBAL__N_124unique_dim_cuda_templateIlEESt5tupleIJNSF_6TensorESK_SK_EERKSK_lbbbEUlllE0_EEPmJS9_EEE10hipError_tPvRmT3_T4_T5_T6_T7_T9_mT8_P12ihipStream_tbDpT10_ENKUlT_T0_E_clISt17integral_constantIbLb0EES1A_EEDaS15_S16_EUlS15_E_NS1_11comp_targetILNS1_3genE8ELNS1_11target_archE1030ELNS1_3gpuE2ELNS1_3repE0EEENS1_30default_config_static_selectorELNS0_4arch9wavefront6targetE1EEEvT1_: ; @_ZN7rocprim17ROCPRIM_400000_NS6detail17trampoline_kernelINS0_14default_configENS1_25partition_config_selectorILNS1_17partition_subalgoE9EllbEEZZNS1_14partition_implILS5_9ELb0ES3_jPlS8_PNS0_10empty_typeENS0_5tupleIJS8_S9_EEENSB_IJS8_SA_EEENS0_18inequality_wrapperIZN2at6native12_GLOBAL__N_124unique_dim_cuda_templateIlEESt5tupleIJNSF_6TensorESK_SK_EERKSK_lbbbEUlllE0_EEPmJS9_EEE10hipError_tPvRmT3_T4_T5_T6_T7_T9_mT8_P12ihipStream_tbDpT10_ENKUlT_T0_E_clISt17integral_constantIbLb0EES1A_EEDaS15_S16_EUlS15_E_NS1_11comp_targetILNS1_3genE8ELNS1_11target_archE1030ELNS1_3gpuE2ELNS1_3repE0EEENS1_30default_config_static_selectorELNS0_4arch9wavefront6targetE1EEEvT1_
; %bb.0:
	.section	.rodata,"a",@progbits
	.p2align	6, 0x0
	.amdhsa_kernel _ZN7rocprim17ROCPRIM_400000_NS6detail17trampoline_kernelINS0_14default_configENS1_25partition_config_selectorILNS1_17partition_subalgoE9EllbEEZZNS1_14partition_implILS5_9ELb0ES3_jPlS8_PNS0_10empty_typeENS0_5tupleIJS8_S9_EEENSB_IJS8_SA_EEENS0_18inequality_wrapperIZN2at6native12_GLOBAL__N_124unique_dim_cuda_templateIlEESt5tupleIJNSF_6TensorESK_SK_EERKSK_lbbbEUlllE0_EEPmJS9_EEE10hipError_tPvRmT3_T4_T5_T6_T7_T9_mT8_P12ihipStream_tbDpT10_ENKUlT_T0_E_clISt17integral_constantIbLb0EES1A_EEDaS15_S16_EUlS15_E_NS1_11comp_targetILNS1_3genE8ELNS1_11target_archE1030ELNS1_3gpuE2ELNS1_3repE0EEENS1_30default_config_static_selectorELNS0_4arch9wavefront6targetE1EEEvT1_
		.amdhsa_group_segment_fixed_size 0
		.amdhsa_private_segment_fixed_size 0
		.amdhsa_kernarg_size 120
		.amdhsa_user_sgpr_count 2
		.amdhsa_user_sgpr_dispatch_ptr 0
		.amdhsa_user_sgpr_queue_ptr 0
		.amdhsa_user_sgpr_kernarg_segment_ptr 1
		.amdhsa_user_sgpr_dispatch_id 0
		.amdhsa_user_sgpr_kernarg_preload_length 0
		.amdhsa_user_sgpr_kernarg_preload_offset 0
		.amdhsa_user_sgpr_private_segment_size 0
		.amdhsa_uses_dynamic_stack 0
		.amdhsa_enable_private_segment 0
		.amdhsa_system_sgpr_workgroup_id_x 1
		.amdhsa_system_sgpr_workgroup_id_y 0
		.amdhsa_system_sgpr_workgroup_id_z 0
		.amdhsa_system_sgpr_workgroup_info 0
		.amdhsa_system_vgpr_workitem_id 0
		.amdhsa_next_free_vgpr 1
		.amdhsa_next_free_sgpr 0
		.amdhsa_accum_offset 4
		.amdhsa_reserve_vcc 0
		.amdhsa_float_round_mode_32 0
		.amdhsa_float_round_mode_16_64 0
		.amdhsa_float_denorm_mode_32 3
		.amdhsa_float_denorm_mode_16_64 3
		.amdhsa_dx10_clamp 1
		.amdhsa_ieee_mode 1
		.amdhsa_fp16_overflow 0
		.amdhsa_tg_split 0
		.amdhsa_exception_fp_ieee_invalid_op 0
		.amdhsa_exception_fp_denorm_src 0
		.amdhsa_exception_fp_ieee_div_zero 0
		.amdhsa_exception_fp_ieee_overflow 0
		.amdhsa_exception_fp_ieee_underflow 0
		.amdhsa_exception_fp_ieee_inexact 0
		.amdhsa_exception_int_div_zero 0
	.end_amdhsa_kernel
	.section	.text._ZN7rocprim17ROCPRIM_400000_NS6detail17trampoline_kernelINS0_14default_configENS1_25partition_config_selectorILNS1_17partition_subalgoE9EllbEEZZNS1_14partition_implILS5_9ELb0ES3_jPlS8_PNS0_10empty_typeENS0_5tupleIJS8_S9_EEENSB_IJS8_SA_EEENS0_18inequality_wrapperIZN2at6native12_GLOBAL__N_124unique_dim_cuda_templateIlEESt5tupleIJNSF_6TensorESK_SK_EERKSK_lbbbEUlllE0_EEPmJS9_EEE10hipError_tPvRmT3_T4_T5_T6_T7_T9_mT8_P12ihipStream_tbDpT10_ENKUlT_T0_E_clISt17integral_constantIbLb0EES1A_EEDaS15_S16_EUlS15_E_NS1_11comp_targetILNS1_3genE8ELNS1_11target_archE1030ELNS1_3gpuE2ELNS1_3repE0EEENS1_30default_config_static_selectorELNS0_4arch9wavefront6targetE1EEEvT1_,"axG",@progbits,_ZN7rocprim17ROCPRIM_400000_NS6detail17trampoline_kernelINS0_14default_configENS1_25partition_config_selectorILNS1_17partition_subalgoE9EllbEEZZNS1_14partition_implILS5_9ELb0ES3_jPlS8_PNS0_10empty_typeENS0_5tupleIJS8_S9_EEENSB_IJS8_SA_EEENS0_18inequality_wrapperIZN2at6native12_GLOBAL__N_124unique_dim_cuda_templateIlEESt5tupleIJNSF_6TensorESK_SK_EERKSK_lbbbEUlllE0_EEPmJS9_EEE10hipError_tPvRmT3_T4_T5_T6_T7_T9_mT8_P12ihipStream_tbDpT10_ENKUlT_T0_E_clISt17integral_constantIbLb0EES1A_EEDaS15_S16_EUlS15_E_NS1_11comp_targetILNS1_3genE8ELNS1_11target_archE1030ELNS1_3gpuE2ELNS1_3repE0EEENS1_30default_config_static_selectorELNS0_4arch9wavefront6targetE1EEEvT1_,comdat
.Lfunc_end602:
	.size	_ZN7rocprim17ROCPRIM_400000_NS6detail17trampoline_kernelINS0_14default_configENS1_25partition_config_selectorILNS1_17partition_subalgoE9EllbEEZZNS1_14partition_implILS5_9ELb0ES3_jPlS8_PNS0_10empty_typeENS0_5tupleIJS8_S9_EEENSB_IJS8_SA_EEENS0_18inequality_wrapperIZN2at6native12_GLOBAL__N_124unique_dim_cuda_templateIlEESt5tupleIJNSF_6TensorESK_SK_EERKSK_lbbbEUlllE0_EEPmJS9_EEE10hipError_tPvRmT3_T4_T5_T6_T7_T9_mT8_P12ihipStream_tbDpT10_ENKUlT_T0_E_clISt17integral_constantIbLb0EES1A_EEDaS15_S16_EUlS15_E_NS1_11comp_targetILNS1_3genE8ELNS1_11target_archE1030ELNS1_3gpuE2ELNS1_3repE0EEENS1_30default_config_static_selectorELNS0_4arch9wavefront6targetE1EEEvT1_, .Lfunc_end602-_ZN7rocprim17ROCPRIM_400000_NS6detail17trampoline_kernelINS0_14default_configENS1_25partition_config_selectorILNS1_17partition_subalgoE9EllbEEZZNS1_14partition_implILS5_9ELb0ES3_jPlS8_PNS0_10empty_typeENS0_5tupleIJS8_S9_EEENSB_IJS8_SA_EEENS0_18inequality_wrapperIZN2at6native12_GLOBAL__N_124unique_dim_cuda_templateIlEESt5tupleIJNSF_6TensorESK_SK_EERKSK_lbbbEUlllE0_EEPmJS9_EEE10hipError_tPvRmT3_T4_T5_T6_T7_T9_mT8_P12ihipStream_tbDpT10_ENKUlT_T0_E_clISt17integral_constantIbLb0EES1A_EEDaS15_S16_EUlS15_E_NS1_11comp_targetILNS1_3genE8ELNS1_11target_archE1030ELNS1_3gpuE2ELNS1_3repE0EEENS1_30default_config_static_selectorELNS0_4arch9wavefront6targetE1EEEvT1_
                                        ; -- End function
	.set _ZN7rocprim17ROCPRIM_400000_NS6detail17trampoline_kernelINS0_14default_configENS1_25partition_config_selectorILNS1_17partition_subalgoE9EllbEEZZNS1_14partition_implILS5_9ELb0ES3_jPlS8_PNS0_10empty_typeENS0_5tupleIJS8_S9_EEENSB_IJS8_SA_EEENS0_18inequality_wrapperIZN2at6native12_GLOBAL__N_124unique_dim_cuda_templateIlEESt5tupleIJNSF_6TensorESK_SK_EERKSK_lbbbEUlllE0_EEPmJS9_EEE10hipError_tPvRmT3_T4_T5_T6_T7_T9_mT8_P12ihipStream_tbDpT10_ENKUlT_T0_E_clISt17integral_constantIbLb0EES1A_EEDaS15_S16_EUlS15_E_NS1_11comp_targetILNS1_3genE8ELNS1_11target_archE1030ELNS1_3gpuE2ELNS1_3repE0EEENS1_30default_config_static_selectorELNS0_4arch9wavefront6targetE1EEEvT1_.num_vgpr, 0
	.set _ZN7rocprim17ROCPRIM_400000_NS6detail17trampoline_kernelINS0_14default_configENS1_25partition_config_selectorILNS1_17partition_subalgoE9EllbEEZZNS1_14partition_implILS5_9ELb0ES3_jPlS8_PNS0_10empty_typeENS0_5tupleIJS8_S9_EEENSB_IJS8_SA_EEENS0_18inequality_wrapperIZN2at6native12_GLOBAL__N_124unique_dim_cuda_templateIlEESt5tupleIJNSF_6TensorESK_SK_EERKSK_lbbbEUlllE0_EEPmJS9_EEE10hipError_tPvRmT3_T4_T5_T6_T7_T9_mT8_P12ihipStream_tbDpT10_ENKUlT_T0_E_clISt17integral_constantIbLb0EES1A_EEDaS15_S16_EUlS15_E_NS1_11comp_targetILNS1_3genE8ELNS1_11target_archE1030ELNS1_3gpuE2ELNS1_3repE0EEENS1_30default_config_static_selectorELNS0_4arch9wavefront6targetE1EEEvT1_.num_agpr, 0
	.set _ZN7rocprim17ROCPRIM_400000_NS6detail17trampoline_kernelINS0_14default_configENS1_25partition_config_selectorILNS1_17partition_subalgoE9EllbEEZZNS1_14partition_implILS5_9ELb0ES3_jPlS8_PNS0_10empty_typeENS0_5tupleIJS8_S9_EEENSB_IJS8_SA_EEENS0_18inequality_wrapperIZN2at6native12_GLOBAL__N_124unique_dim_cuda_templateIlEESt5tupleIJNSF_6TensorESK_SK_EERKSK_lbbbEUlllE0_EEPmJS9_EEE10hipError_tPvRmT3_T4_T5_T6_T7_T9_mT8_P12ihipStream_tbDpT10_ENKUlT_T0_E_clISt17integral_constantIbLb0EES1A_EEDaS15_S16_EUlS15_E_NS1_11comp_targetILNS1_3genE8ELNS1_11target_archE1030ELNS1_3gpuE2ELNS1_3repE0EEENS1_30default_config_static_selectorELNS0_4arch9wavefront6targetE1EEEvT1_.numbered_sgpr, 0
	.set _ZN7rocprim17ROCPRIM_400000_NS6detail17trampoline_kernelINS0_14default_configENS1_25partition_config_selectorILNS1_17partition_subalgoE9EllbEEZZNS1_14partition_implILS5_9ELb0ES3_jPlS8_PNS0_10empty_typeENS0_5tupleIJS8_S9_EEENSB_IJS8_SA_EEENS0_18inequality_wrapperIZN2at6native12_GLOBAL__N_124unique_dim_cuda_templateIlEESt5tupleIJNSF_6TensorESK_SK_EERKSK_lbbbEUlllE0_EEPmJS9_EEE10hipError_tPvRmT3_T4_T5_T6_T7_T9_mT8_P12ihipStream_tbDpT10_ENKUlT_T0_E_clISt17integral_constantIbLb0EES1A_EEDaS15_S16_EUlS15_E_NS1_11comp_targetILNS1_3genE8ELNS1_11target_archE1030ELNS1_3gpuE2ELNS1_3repE0EEENS1_30default_config_static_selectorELNS0_4arch9wavefront6targetE1EEEvT1_.num_named_barrier, 0
	.set _ZN7rocprim17ROCPRIM_400000_NS6detail17trampoline_kernelINS0_14default_configENS1_25partition_config_selectorILNS1_17partition_subalgoE9EllbEEZZNS1_14partition_implILS5_9ELb0ES3_jPlS8_PNS0_10empty_typeENS0_5tupleIJS8_S9_EEENSB_IJS8_SA_EEENS0_18inequality_wrapperIZN2at6native12_GLOBAL__N_124unique_dim_cuda_templateIlEESt5tupleIJNSF_6TensorESK_SK_EERKSK_lbbbEUlllE0_EEPmJS9_EEE10hipError_tPvRmT3_T4_T5_T6_T7_T9_mT8_P12ihipStream_tbDpT10_ENKUlT_T0_E_clISt17integral_constantIbLb0EES1A_EEDaS15_S16_EUlS15_E_NS1_11comp_targetILNS1_3genE8ELNS1_11target_archE1030ELNS1_3gpuE2ELNS1_3repE0EEENS1_30default_config_static_selectorELNS0_4arch9wavefront6targetE1EEEvT1_.private_seg_size, 0
	.set _ZN7rocprim17ROCPRIM_400000_NS6detail17trampoline_kernelINS0_14default_configENS1_25partition_config_selectorILNS1_17partition_subalgoE9EllbEEZZNS1_14partition_implILS5_9ELb0ES3_jPlS8_PNS0_10empty_typeENS0_5tupleIJS8_S9_EEENSB_IJS8_SA_EEENS0_18inequality_wrapperIZN2at6native12_GLOBAL__N_124unique_dim_cuda_templateIlEESt5tupleIJNSF_6TensorESK_SK_EERKSK_lbbbEUlllE0_EEPmJS9_EEE10hipError_tPvRmT3_T4_T5_T6_T7_T9_mT8_P12ihipStream_tbDpT10_ENKUlT_T0_E_clISt17integral_constantIbLb0EES1A_EEDaS15_S16_EUlS15_E_NS1_11comp_targetILNS1_3genE8ELNS1_11target_archE1030ELNS1_3gpuE2ELNS1_3repE0EEENS1_30default_config_static_selectorELNS0_4arch9wavefront6targetE1EEEvT1_.uses_vcc, 0
	.set _ZN7rocprim17ROCPRIM_400000_NS6detail17trampoline_kernelINS0_14default_configENS1_25partition_config_selectorILNS1_17partition_subalgoE9EllbEEZZNS1_14partition_implILS5_9ELb0ES3_jPlS8_PNS0_10empty_typeENS0_5tupleIJS8_S9_EEENSB_IJS8_SA_EEENS0_18inequality_wrapperIZN2at6native12_GLOBAL__N_124unique_dim_cuda_templateIlEESt5tupleIJNSF_6TensorESK_SK_EERKSK_lbbbEUlllE0_EEPmJS9_EEE10hipError_tPvRmT3_T4_T5_T6_T7_T9_mT8_P12ihipStream_tbDpT10_ENKUlT_T0_E_clISt17integral_constantIbLb0EES1A_EEDaS15_S16_EUlS15_E_NS1_11comp_targetILNS1_3genE8ELNS1_11target_archE1030ELNS1_3gpuE2ELNS1_3repE0EEENS1_30default_config_static_selectorELNS0_4arch9wavefront6targetE1EEEvT1_.uses_flat_scratch, 0
	.set _ZN7rocprim17ROCPRIM_400000_NS6detail17trampoline_kernelINS0_14default_configENS1_25partition_config_selectorILNS1_17partition_subalgoE9EllbEEZZNS1_14partition_implILS5_9ELb0ES3_jPlS8_PNS0_10empty_typeENS0_5tupleIJS8_S9_EEENSB_IJS8_SA_EEENS0_18inequality_wrapperIZN2at6native12_GLOBAL__N_124unique_dim_cuda_templateIlEESt5tupleIJNSF_6TensorESK_SK_EERKSK_lbbbEUlllE0_EEPmJS9_EEE10hipError_tPvRmT3_T4_T5_T6_T7_T9_mT8_P12ihipStream_tbDpT10_ENKUlT_T0_E_clISt17integral_constantIbLb0EES1A_EEDaS15_S16_EUlS15_E_NS1_11comp_targetILNS1_3genE8ELNS1_11target_archE1030ELNS1_3gpuE2ELNS1_3repE0EEENS1_30default_config_static_selectorELNS0_4arch9wavefront6targetE1EEEvT1_.has_dyn_sized_stack, 0
	.set _ZN7rocprim17ROCPRIM_400000_NS6detail17trampoline_kernelINS0_14default_configENS1_25partition_config_selectorILNS1_17partition_subalgoE9EllbEEZZNS1_14partition_implILS5_9ELb0ES3_jPlS8_PNS0_10empty_typeENS0_5tupleIJS8_S9_EEENSB_IJS8_SA_EEENS0_18inequality_wrapperIZN2at6native12_GLOBAL__N_124unique_dim_cuda_templateIlEESt5tupleIJNSF_6TensorESK_SK_EERKSK_lbbbEUlllE0_EEPmJS9_EEE10hipError_tPvRmT3_T4_T5_T6_T7_T9_mT8_P12ihipStream_tbDpT10_ENKUlT_T0_E_clISt17integral_constantIbLb0EES1A_EEDaS15_S16_EUlS15_E_NS1_11comp_targetILNS1_3genE8ELNS1_11target_archE1030ELNS1_3gpuE2ELNS1_3repE0EEENS1_30default_config_static_selectorELNS0_4arch9wavefront6targetE1EEEvT1_.has_recursion, 0
	.set _ZN7rocprim17ROCPRIM_400000_NS6detail17trampoline_kernelINS0_14default_configENS1_25partition_config_selectorILNS1_17partition_subalgoE9EllbEEZZNS1_14partition_implILS5_9ELb0ES3_jPlS8_PNS0_10empty_typeENS0_5tupleIJS8_S9_EEENSB_IJS8_SA_EEENS0_18inequality_wrapperIZN2at6native12_GLOBAL__N_124unique_dim_cuda_templateIlEESt5tupleIJNSF_6TensorESK_SK_EERKSK_lbbbEUlllE0_EEPmJS9_EEE10hipError_tPvRmT3_T4_T5_T6_T7_T9_mT8_P12ihipStream_tbDpT10_ENKUlT_T0_E_clISt17integral_constantIbLb0EES1A_EEDaS15_S16_EUlS15_E_NS1_11comp_targetILNS1_3genE8ELNS1_11target_archE1030ELNS1_3gpuE2ELNS1_3repE0EEENS1_30default_config_static_selectorELNS0_4arch9wavefront6targetE1EEEvT1_.has_indirect_call, 0
	.section	.AMDGPU.csdata,"",@progbits
; Kernel info:
; codeLenInByte = 0
; TotalNumSgprs: 6
; NumVgprs: 0
; NumAgprs: 0
; TotalNumVgprs: 0
; ScratchSize: 0
; MemoryBound: 0
; FloatMode: 240
; IeeeMode: 1
; LDSByteSize: 0 bytes/workgroup (compile time only)
; SGPRBlocks: 0
; VGPRBlocks: 0
; NumSGPRsForWavesPerEU: 6
; NumVGPRsForWavesPerEU: 1
; AccumOffset: 4
; Occupancy: 8
; WaveLimiterHint : 0
; COMPUTE_PGM_RSRC2:SCRATCH_EN: 0
; COMPUTE_PGM_RSRC2:USER_SGPR: 2
; COMPUTE_PGM_RSRC2:TRAP_HANDLER: 0
; COMPUTE_PGM_RSRC2:TGID_X_EN: 1
; COMPUTE_PGM_RSRC2:TGID_Y_EN: 0
; COMPUTE_PGM_RSRC2:TGID_Z_EN: 0
; COMPUTE_PGM_RSRC2:TIDIG_COMP_CNT: 0
; COMPUTE_PGM_RSRC3_GFX90A:ACCUM_OFFSET: 0
; COMPUTE_PGM_RSRC3_GFX90A:TG_SPLIT: 0
	.section	.text._ZN7rocprim17ROCPRIM_400000_NS6detail17trampoline_kernelINS0_14default_configENS1_25partition_config_selectorILNS1_17partition_subalgoE9EllbEEZZNS1_14partition_implILS5_9ELb0ES3_jPlS8_PNS0_10empty_typeENS0_5tupleIJS8_S9_EEENSB_IJS8_SA_EEENS0_18inequality_wrapperIZN2at6native12_GLOBAL__N_124unique_dim_cuda_templateIlEESt5tupleIJNSF_6TensorESK_SK_EERKSK_lbbbEUlllE0_EEPmJS9_EEE10hipError_tPvRmT3_T4_T5_T6_T7_T9_mT8_P12ihipStream_tbDpT10_ENKUlT_T0_E_clISt17integral_constantIbLb1EES1A_EEDaS15_S16_EUlS15_E_NS1_11comp_targetILNS1_3genE0ELNS1_11target_archE4294967295ELNS1_3gpuE0ELNS1_3repE0EEENS1_30default_config_static_selectorELNS0_4arch9wavefront6targetE1EEEvT1_,"axG",@progbits,_ZN7rocprim17ROCPRIM_400000_NS6detail17trampoline_kernelINS0_14default_configENS1_25partition_config_selectorILNS1_17partition_subalgoE9EllbEEZZNS1_14partition_implILS5_9ELb0ES3_jPlS8_PNS0_10empty_typeENS0_5tupleIJS8_S9_EEENSB_IJS8_SA_EEENS0_18inequality_wrapperIZN2at6native12_GLOBAL__N_124unique_dim_cuda_templateIlEESt5tupleIJNSF_6TensorESK_SK_EERKSK_lbbbEUlllE0_EEPmJS9_EEE10hipError_tPvRmT3_T4_T5_T6_T7_T9_mT8_P12ihipStream_tbDpT10_ENKUlT_T0_E_clISt17integral_constantIbLb1EES1A_EEDaS15_S16_EUlS15_E_NS1_11comp_targetILNS1_3genE0ELNS1_11target_archE4294967295ELNS1_3gpuE0ELNS1_3repE0EEENS1_30default_config_static_selectorELNS0_4arch9wavefront6targetE1EEEvT1_,comdat
	.globl	_ZN7rocprim17ROCPRIM_400000_NS6detail17trampoline_kernelINS0_14default_configENS1_25partition_config_selectorILNS1_17partition_subalgoE9EllbEEZZNS1_14partition_implILS5_9ELb0ES3_jPlS8_PNS0_10empty_typeENS0_5tupleIJS8_S9_EEENSB_IJS8_SA_EEENS0_18inequality_wrapperIZN2at6native12_GLOBAL__N_124unique_dim_cuda_templateIlEESt5tupleIJNSF_6TensorESK_SK_EERKSK_lbbbEUlllE0_EEPmJS9_EEE10hipError_tPvRmT3_T4_T5_T6_T7_T9_mT8_P12ihipStream_tbDpT10_ENKUlT_T0_E_clISt17integral_constantIbLb1EES1A_EEDaS15_S16_EUlS15_E_NS1_11comp_targetILNS1_3genE0ELNS1_11target_archE4294967295ELNS1_3gpuE0ELNS1_3repE0EEENS1_30default_config_static_selectorELNS0_4arch9wavefront6targetE1EEEvT1_ ; -- Begin function _ZN7rocprim17ROCPRIM_400000_NS6detail17trampoline_kernelINS0_14default_configENS1_25partition_config_selectorILNS1_17partition_subalgoE9EllbEEZZNS1_14partition_implILS5_9ELb0ES3_jPlS8_PNS0_10empty_typeENS0_5tupleIJS8_S9_EEENSB_IJS8_SA_EEENS0_18inequality_wrapperIZN2at6native12_GLOBAL__N_124unique_dim_cuda_templateIlEESt5tupleIJNSF_6TensorESK_SK_EERKSK_lbbbEUlllE0_EEPmJS9_EEE10hipError_tPvRmT3_T4_T5_T6_T7_T9_mT8_P12ihipStream_tbDpT10_ENKUlT_T0_E_clISt17integral_constantIbLb1EES1A_EEDaS15_S16_EUlS15_E_NS1_11comp_targetILNS1_3genE0ELNS1_11target_archE4294967295ELNS1_3gpuE0ELNS1_3repE0EEENS1_30default_config_static_selectorELNS0_4arch9wavefront6targetE1EEEvT1_
	.p2align	8
	.type	_ZN7rocprim17ROCPRIM_400000_NS6detail17trampoline_kernelINS0_14default_configENS1_25partition_config_selectorILNS1_17partition_subalgoE9EllbEEZZNS1_14partition_implILS5_9ELb0ES3_jPlS8_PNS0_10empty_typeENS0_5tupleIJS8_S9_EEENSB_IJS8_SA_EEENS0_18inequality_wrapperIZN2at6native12_GLOBAL__N_124unique_dim_cuda_templateIlEESt5tupleIJNSF_6TensorESK_SK_EERKSK_lbbbEUlllE0_EEPmJS9_EEE10hipError_tPvRmT3_T4_T5_T6_T7_T9_mT8_P12ihipStream_tbDpT10_ENKUlT_T0_E_clISt17integral_constantIbLb1EES1A_EEDaS15_S16_EUlS15_E_NS1_11comp_targetILNS1_3genE0ELNS1_11target_archE4294967295ELNS1_3gpuE0ELNS1_3repE0EEENS1_30default_config_static_selectorELNS0_4arch9wavefront6targetE1EEEvT1_,@function
_ZN7rocprim17ROCPRIM_400000_NS6detail17trampoline_kernelINS0_14default_configENS1_25partition_config_selectorILNS1_17partition_subalgoE9EllbEEZZNS1_14partition_implILS5_9ELb0ES3_jPlS8_PNS0_10empty_typeENS0_5tupleIJS8_S9_EEENSB_IJS8_SA_EEENS0_18inequality_wrapperIZN2at6native12_GLOBAL__N_124unique_dim_cuda_templateIlEESt5tupleIJNSF_6TensorESK_SK_EERKSK_lbbbEUlllE0_EEPmJS9_EEE10hipError_tPvRmT3_T4_T5_T6_T7_T9_mT8_P12ihipStream_tbDpT10_ENKUlT_T0_E_clISt17integral_constantIbLb1EES1A_EEDaS15_S16_EUlS15_E_NS1_11comp_targetILNS1_3genE0ELNS1_11target_archE4294967295ELNS1_3gpuE0ELNS1_3repE0EEENS1_30default_config_static_selectorELNS0_4arch9wavefront6targetE1EEEvT1_: ; @_ZN7rocprim17ROCPRIM_400000_NS6detail17trampoline_kernelINS0_14default_configENS1_25partition_config_selectorILNS1_17partition_subalgoE9EllbEEZZNS1_14partition_implILS5_9ELb0ES3_jPlS8_PNS0_10empty_typeENS0_5tupleIJS8_S9_EEENSB_IJS8_SA_EEENS0_18inequality_wrapperIZN2at6native12_GLOBAL__N_124unique_dim_cuda_templateIlEESt5tupleIJNSF_6TensorESK_SK_EERKSK_lbbbEUlllE0_EEPmJS9_EEE10hipError_tPvRmT3_T4_T5_T6_T7_T9_mT8_P12ihipStream_tbDpT10_ENKUlT_T0_E_clISt17integral_constantIbLb1EES1A_EEDaS15_S16_EUlS15_E_NS1_11comp_targetILNS1_3genE0ELNS1_11target_archE4294967295ELNS1_3gpuE0ELNS1_3repE0EEENS1_30default_config_static_selectorELNS0_4arch9wavefront6targetE1EEEvT1_
; %bb.0:
	s_endpgm
	.section	.rodata,"a",@progbits
	.p2align	6, 0x0
	.amdhsa_kernel _ZN7rocprim17ROCPRIM_400000_NS6detail17trampoline_kernelINS0_14default_configENS1_25partition_config_selectorILNS1_17partition_subalgoE9EllbEEZZNS1_14partition_implILS5_9ELb0ES3_jPlS8_PNS0_10empty_typeENS0_5tupleIJS8_S9_EEENSB_IJS8_SA_EEENS0_18inequality_wrapperIZN2at6native12_GLOBAL__N_124unique_dim_cuda_templateIlEESt5tupleIJNSF_6TensorESK_SK_EERKSK_lbbbEUlllE0_EEPmJS9_EEE10hipError_tPvRmT3_T4_T5_T6_T7_T9_mT8_P12ihipStream_tbDpT10_ENKUlT_T0_E_clISt17integral_constantIbLb1EES1A_EEDaS15_S16_EUlS15_E_NS1_11comp_targetILNS1_3genE0ELNS1_11target_archE4294967295ELNS1_3gpuE0ELNS1_3repE0EEENS1_30default_config_static_selectorELNS0_4arch9wavefront6targetE1EEEvT1_
		.amdhsa_group_segment_fixed_size 0
		.amdhsa_private_segment_fixed_size 0
		.amdhsa_kernarg_size 136
		.amdhsa_user_sgpr_count 2
		.amdhsa_user_sgpr_dispatch_ptr 0
		.amdhsa_user_sgpr_queue_ptr 0
		.amdhsa_user_sgpr_kernarg_segment_ptr 1
		.amdhsa_user_sgpr_dispatch_id 0
		.amdhsa_user_sgpr_kernarg_preload_length 0
		.amdhsa_user_sgpr_kernarg_preload_offset 0
		.amdhsa_user_sgpr_private_segment_size 0
		.amdhsa_uses_dynamic_stack 0
		.amdhsa_enable_private_segment 0
		.amdhsa_system_sgpr_workgroup_id_x 1
		.amdhsa_system_sgpr_workgroup_id_y 0
		.amdhsa_system_sgpr_workgroup_id_z 0
		.amdhsa_system_sgpr_workgroup_info 0
		.amdhsa_system_vgpr_workitem_id 0
		.amdhsa_next_free_vgpr 1
		.amdhsa_next_free_sgpr 0
		.amdhsa_accum_offset 4
		.amdhsa_reserve_vcc 0
		.amdhsa_float_round_mode_32 0
		.amdhsa_float_round_mode_16_64 0
		.amdhsa_float_denorm_mode_32 3
		.amdhsa_float_denorm_mode_16_64 3
		.amdhsa_dx10_clamp 1
		.amdhsa_ieee_mode 1
		.amdhsa_fp16_overflow 0
		.amdhsa_tg_split 0
		.amdhsa_exception_fp_ieee_invalid_op 0
		.amdhsa_exception_fp_denorm_src 0
		.amdhsa_exception_fp_ieee_div_zero 0
		.amdhsa_exception_fp_ieee_overflow 0
		.amdhsa_exception_fp_ieee_underflow 0
		.amdhsa_exception_fp_ieee_inexact 0
		.amdhsa_exception_int_div_zero 0
	.end_amdhsa_kernel
	.section	.text._ZN7rocprim17ROCPRIM_400000_NS6detail17trampoline_kernelINS0_14default_configENS1_25partition_config_selectorILNS1_17partition_subalgoE9EllbEEZZNS1_14partition_implILS5_9ELb0ES3_jPlS8_PNS0_10empty_typeENS0_5tupleIJS8_S9_EEENSB_IJS8_SA_EEENS0_18inequality_wrapperIZN2at6native12_GLOBAL__N_124unique_dim_cuda_templateIlEESt5tupleIJNSF_6TensorESK_SK_EERKSK_lbbbEUlllE0_EEPmJS9_EEE10hipError_tPvRmT3_T4_T5_T6_T7_T9_mT8_P12ihipStream_tbDpT10_ENKUlT_T0_E_clISt17integral_constantIbLb1EES1A_EEDaS15_S16_EUlS15_E_NS1_11comp_targetILNS1_3genE0ELNS1_11target_archE4294967295ELNS1_3gpuE0ELNS1_3repE0EEENS1_30default_config_static_selectorELNS0_4arch9wavefront6targetE1EEEvT1_,"axG",@progbits,_ZN7rocprim17ROCPRIM_400000_NS6detail17trampoline_kernelINS0_14default_configENS1_25partition_config_selectorILNS1_17partition_subalgoE9EllbEEZZNS1_14partition_implILS5_9ELb0ES3_jPlS8_PNS0_10empty_typeENS0_5tupleIJS8_S9_EEENSB_IJS8_SA_EEENS0_18inequality_wrapperIZN2at6native12_GLOBAL__N_124unique_dim_cuda_templateIlEESt5tupleIJNSF_6TensorESK_SK_EERKSK_lbbbEUlllE0_EEPmJS9_EEE10hipError_tPvRmT3_T4_T5_T6_T7_T9_mT8_P12ihipStream_tbDpT10_ENKUlT_T0_E_clISt17integral_constantIbLb1EES1A_EEDaS15_S16_EUlS15_E_NS1_11comp_targetILNS1_3genE0ELNS1_11target_archE4294967295ELNS1_3gpuE0ELNS1_3repE0EEENS1_30default_config_static_selectorELNS0_4arch9wavefront6targetE1EEEvT1_,comdat
.Lfunc_end603:
	.size	_ZN7rocprim17ROCPRIM_400000_NS6detail17trampoline_kernelINS0_14default_configENS1_25partition_config_selectorILNS1_17partition_subalgoE9EllbEEZZNS1_14partition_implILS5_9ELb0ES3_jPlS8_PNS0_10empty_typeENS0_5tupleIJS8_S9_EEENSB_IJS8_SA_EEENS0_18inequality_wrapperIZN2at6native12_GLOBAL__N_124unique_dim_cuda_templateIlEESt5tupleIJNSF_6TensorESK_SK_EERKSK_lbbbEUlllE0_EEPmJS9_EEE10hipError_tPvRmT3_T4_T5_T6_T7_T9_mT8_P12ihipStream_tbDpT10_ENKUlT_T0_E_clISt17integral_constantIbLb1EES1A_EEDaS15_S16_EUlS15_E_NS1_11comp_targetILNS1_3genE0ELNS1_11target_archE4294967295ELNS1_3gpuE0ELNS1_3repE0EEENS1_30default_config_static_selectorELNS0_4arch9wavefront6targetE1EEEvT1_, .Lfunc_end603-_ZN7rocprim17ROCPRIM_400000_NS6detail17trampoline_kernelINS0_14default_configENS1_25partition_config_selectorILNS1_17partition_subalgoE9EllbEEZZNS1_14partition_implILS5_9ELb0ES3_jPlS8_PNS0_10empty_typeENS0_5tupleIJS8_S9_EEENSB_IJS8_SA_EEENS0_18inequality_wrapperIZN2at6native12_GLOBAL__N_124unique_dim_cuda_templateIlEESt5tupleIJNSF_6TensorESK_SK_EERKSK_lbbbEUlllE0_EEPmJS9_EEE10hipError_tPvRmT3_T4_T5_T6_T7_T9_mT8_P12ihipStream_tbDpT10_ENKUlT_T0_E_clISt17integral_constantIbLb1EES1A_EEDaS15_S16_EUlS15_E_NS1_11comp_targetILNS1_3genE0ELNS1_11target_archE4294967295ELNS1_3gpuE0ELNS1_3repE0EEENS1_30default_config_static_selectorELNS0_4arch9wavefront6targetE1EEEvT1_
                                        ; -- End function
	.set _ZN7rocprim17ROCPRIM_400000_NS6detail17trampoline_kernelINS0_14default_configENS1_25partition_config_selectorILNS1_17partition_subalgoE9EllbEEZZNS1_14partition_implILS5_9ELb0ES3_jPlS8_PNS0_10empty_typeENS0_5tupleIJS8_S9_EEENSB_IJS8_SA_EEENS0_18inequality_wrapperIZN2at6native12_GLOBAL__N_124unique_dim_cuda_templateIlEESt5tupleIJNSF_6TensorESK_SK_EERKSK_lbbbEUlllE0_EEPmJS9_EEE10hipError_tPvRmT3_T4_T5_T6_T7_T9_mT8_P12ihipStream_tbDpT10_ENKUlT_T0_E_clISt17integral_constantIbLb1EES1A_EEDaS15_S16_EUlS15_E_NS1_11comp_targetILNS1_3genE0ELNS1_11target_archE4294967295ELNS1_3gpuE0ELNS1_3repE0EEENS1_30default_config_static_selectorELNS0_4arch9wavefront6targetE1EEEvT1_.num_vgpr, 0
	.set _ZN7rocprim17ROCPRIM_400000_NS6detail17trampoline_kernelINS0_14default_configENS1_25partition_config_selectorILNS1_17partition_subalgoE9EllbEEZZNS1_14partition_implILS5_9ELb0ES3_jPlS8_PNS0_10empty_typeENS0_5tupleIJS8_S9_EEENSB_IJS8_SA_EEENS0_18inequality_wrapperIZN2at6native12_GLOBAL__N_124unique_dim_cuda_templateIlEESt5tupleIJNSF_6TensorESK_SK_EERKSK_lbbbEUlllE0_EEPmJS9_EEE10hipError_tPvRmT3_T4_T5_T6_T7_T9_mT8_P12ihipStream_tbDpT10_ENKUlT_T0_E_clISt17integral_constantIbLb1EES1A_EEDaS15_S16_EUlS15_E_NS1_11comp_targetILNS1_3genE0ELNS1_11target_archE4294967295ELNS1_3gpuE0ELNS1_3repE0EEENS1_30default_config_static_selectorELNS0_4arch9wavefront6targetE1EEEvT1_.num_agpr, 0
	.set _ZN7rocprim17ROCPRIM_400000_NS6detail17trampoline_kernelINS0_14default_configENS1_25partition_config_selectorILNS1_17partition_subalgoE9EllbEEZZNS1_14partition_implILS5_9ELb0ES3_jPlS8_PNS0_10empty_typeENS0_5tupleIJS8_S9_EEENSB_IJS8_SA_EEENS0_18inequality_wrapperIZN2at6native12_GLOBAL__N_124unique_dim_cuda_templateIlEESt5tupleIJNSF_6TensorESK_SK_EERKSK_lbbbEUlllE0_EEPmJS9_EEE10hipError_tPvRmT3_T4_T5_T6_T7_T9_mT8_P12ihipStream_tbDpT10_ENKUlT_T0_E_clISt17integral_constantIbLb1EES1A_EEDaS15_S16_EUlS15_E_NS1_11comp_targetILNS1_3genE0ELNS1_11target_archE4294967295ELNS1_3gpuE0ELNS1_3repE0EEENS1_30default_config_static_selectorELNS0_4arch9wavefront6targetE1EEEvT1_.numbered_sgpr, 0
	.set _ZN7rocprim17ROCPRIM_400000_NS6detail17trampoline_kernelINS0_14default_configENS1_25partition_config_selectorILNS1_17partition_subalgoE9EllbEEZZNS1_14partition_implILS5_9ELb0ES3_jPlS8_PNS0_10empty_typeENS0_5tupleIJS8_S9_EEENSB_IJS8_SA_EEENS0_18inequality_wrapperIZN2at6native12_GLOBAL__N_124unique_dim_cuda_templateIlEESt5tupleIJNSF_6TensorESK_SK_EERKSK_lbbbEUlllE0_EEPmJS9_EEE10hipError_tPvRmT3_T4_T5_T6_T7_T9_mT8_P12ihipStream_tbDpT10_ENKUlT_T0_E_clISt17integral_constantIbLb1EES1A_EEDaS15_S16_EUlS15_E_NS1_11comp_targetILNS1_3genE0ELNS1_11target_archE4294967295ELNS1_3gpuE0ELNS1_3repE0EEENS1_30default_config_static_selectorELNS0_4arch9wavefront6targetE1EEEvT1_.num_named_barrier, 0
	.set _ZN7rocprim17ROCPRIM_400000_NS6detail17trampoline_kernelINS0_14default_configENS1_25partition_config_selectorILNS1_17partition_subalgoE9EllbEEZZNS1_14partition_implILS5_9ELb0ES3_jPlS8_PNS0_10empty_typeENS0_5tupleIJS8_S9_EEENSB_IJS8_SA_EEENS0_18inequality_wrapperIZN2at6native12_GLOBAL__N_124unique_dim_cuda_templateIlEESt5tupleIJNSF_6TensorESK_SK_EERKSK_lbbbEUlllE0_EEPmJS9_EEE10hipError_tPvRmT3_T4_T5_T6_T7_T9_mT8_P12ihipStream_tbDpT10_ENKUlT_T0_E_clISt17integral_constantIbLb1EES1A_EEDaS15_S16_EUlS15_E_NS1_11comp_targetILNS1_3genE0ELNS1_11target_archE4294967295ELNS1_3gpuE0ELNS1_3repE0EEENS1_30default_config_static_selectorELNS0_4arch9wavefront6targetE1EEEvT1_.private_seg_size, 0
	.set _ZN7rocprim17ROCPRIM_400000_NS6detail17trampoline_kernelINS0_14default_configENS1_25partition_config_selectorILNS1_17partition_subalgoE9EllbEEZZNS1_14partition_implILS5_9ELb0ES3_jPlS8_PNS0_10empty_typeENS0_5tupleIJS8_S9_EEENSB_IJS8_SA_EEENS0_18inequality_wrapperIZN2at6native12_GLOBAL__N_124unique_dim_cuda_templateIlEESt5tupleIJNSF_6TensorESK_SK_EERKSK_lbbbEUlllE0_EEPmJS9_EEE10hipError_tPvRmT3_T4_T5_T6_T7_T9_mT8_P12ihipStream_tbDpT10_ENKUlT_T0_E_clISt17integral_constantIbLb1EES1A_EEDaS15_S16_EUlS15_E_NS1_11comp_targetILNS1_3genE0ELNS1_11target_archE4294967295ELNS1_3gpuE0ELNS1_3repE0EEENS1_30default_config_static_selectorELNS0_4arch9wavefront6targetE1EEEvT1_.uses_vcc, 0
	.set _ZN7rocprim17ROCPRIM_400000_NS6detail17trampoline_kernelINS0_14default_configENS1_25partition_config_selectorILNS1_17partition_subalgoE9EllbEEZZNS1_14partition_implILS5_9ELb0ES3_jPlS8_PNS0_10empty_typeENS0_5tupleIJS8_S9_EEENSB_IJS8_SA_EEENS0_18inequality_wrapperIZN2at6native12_GLOBAL__N_124unique_dim_cuda_templateIlEESt5tupleIJNSF_6TensorESK_SK_EERKSK_lbbbEUlllE0_EEPmJS9_EEE10hipError_tPvRmT3_T4_T5_T6_T7_T9_mT8_P12ihipStream_tbDpT10_ENKUlT_T0_E_clISt17integral_constantIbLb1EES1A_EEDaS15_S16_EUlS15_E_NS1_11comp_targetILNS1_3genE0ELNS1_11target_archE4294967295ELNS1_3gpuE0ELNS1_3repE0EEENS1_30default_config_static_selectorELNS0_4arch9wavefront6targetE1EEEvT1_.uses_flat_scratch, 0
	.set _ZN7rocprim17ROCPRIM_400000_NS6detail17trampoline_kernelINS0_14default_configENS1_25partition_config_selectorILNS1_17partition_subalgoE9EllbEEZZNS1_14partition_implILS5_9ELb0ES3_jPlS8_PNS0_10empty_typeENS0_5tupleIJS8_S9_EEENSB_IJS8_SA_EEENS0_18inequality_wrapperIZN2at6native12_GLOBAL__N_124unique_dim_cuda_templateIlEESt5tupleIJNSF_6TensorESK_SK_EERKSK_lbbbEUlllE0_EEPmJS9_EEE10hipError_tPvRmT3_T4_T5_T6_T7_T9_mT8_P12ihipStream_tbDpT10_ENKUlT_T0_E_clISt17integral_constantIbLb1EES1A_EEDaS15_S16_EUlS15_E_NS1_11comp_targetILNS1_3genE0ELNS1_11target_archE4294967295ELNS1_3gpuE0ELNS1_3repE0EEENS1_30default_config_static_selectorELNS0_4arch9wavefront6targetE1EEEvT1_.has_dyn_sized_stack, 0
	.set _ZN7rocprim17ROCPRIM_400000_NS6detail17trampoline_kernelINS0_14default_configENS1_25partition_config_selectorILNS1_17partition_subalgoE9EllbEEZZNS1_14partition_implILS5_9ELb0ES3_jPlS8_PNS0_10empty_typeENS0_5tupleIJS8_S9_EEENSB_IJS8_SA_EEENS0_18inequality_wrapperIZN2at6native12_GLOBAL__N_124unique_dim_cuda_templateIlEESt5tupleIJNSF_6TensorESK_SK_EERKSK_lbbbEUlllE0_EEPmJS9_EEE10hipError_tPvRmT3_T4_T5_T6_T7_T9_mT8_P12ihipStream_tbDpT10_ENKUlT_T0_E_clISt17integral_constantIbLb1EES1A_EEDaS15_S16_EUlS15_E_NS1_11comp_targetILNS1_3genE0ELNS1_11target_archE4294967295ELNS1_3gpuE0ELNS1_3repE0EEENS1_30default_config_static_selectorELNS0_4arch9wavefront6targetE1EEEvT1_.has_recursion, 0
	.set _ZN7rocprim17ROCPRIM_400000_NS6detail17trampoline_kernelINS0_14default_configENS1_25partition_config_selectorILNS1_17partition_subalgoE9EllbEEZZNS1_14partition_implILS5_9ELb0ES3_jPlS8_PNS0_10empty_typeENS0_5tupleIJS8_S9_EEENSB_IJS8_SA_EEENS0_18inequality_wrapperIZN2at6native12_GLOBAL__N_124unique_dim_cuda_templateIlEESt5tupleIJNSF_6TensorESK_SK_EERKSK_lbbbEUlllE0_EEPmJS9_EEE10hipError_tPvRmT3_T4_T5_T6_T7_T9_mT8_P12ihipStream_tbDpT10_ENKUlT_T0_E_clISt17integral_constantIbLb1EES1A_EEDaS15_S16_EUlS15_E_NS1_11comp_targetILNS1_3genE0ELNS1_11target_archE4294967295ELNS1_3gpuE0ELNS1_3repE0EEENS1_30default_config_static_selectorELNS0_4arch9wavefront6targetE1EEEvT1_.has_indirect_call, 0
	.section	.AMDGPU.csdata,"",@progbits
; Kernel info:
; codeLenInByte = 4
; TotalNumSgprs: 6
; NumVgprs: 0
; NumAgprs: 0
; TotalNumVgprs: 0
; ScratchSize: 0
; MemoryBound: 0
; FloatMode: 240
; IeeeMode: 1
; LDSByteSize: 0 bytes/workgroup (compile time only)
; SGPRBlocks: 0
; VGPRBlocks: 0
; NumSGPRsForWavesPerEU: 6
; NumVGPRsForWavesPerEU: 1
; AccumOffset: 4
; Occupancy: 8
; WaveLimiterHint : 0
; COMPUTE_PGM_RSRC2:SCRATCH_EN: 0
; COMPUTE_PGM_RSRC2:USER_SGPR: 2
; COMPUTE_PGM_RSRC2:TRAP_HANDLER: 0
; COMPUTE_PGM_RSRC2:TGID_X_EN: 1
; COMPUTE_PGM_RSRC2:TGID_Y_EN: 0
; COMPUTE_PGM_RSRC2:TGID_Z_EN: 0
; COMPUTE_PGM_RSRC2:TIDIG_COMP_CNT: 0
; COMPUTE_PGM_RSRC3_GFX90A:ACCUM_OFFSET: 0
; COMPUTE_PGM_RSRC3_GFX90A:TG_SPLIT: 0
	.section	.text._ZN7rocprim17ROCPRIM_400000_NS6detail17trampoline_kernelINS0_14default_configENS1_25partition_config_selectorILNS1_17partition_subalgoE9EllbEEZZNS1_14partition_implILS5_9ELb0ES3_jPlS8_PNS0_10empty_typeENS0_5tupleIJS8_S9_EEENSB_IJS8_SA_EEENS0_18inequality_wrapperIZN2at6native12_GLOBAL__N_124unique_dim_cuda_templateIlEESt5tupleIJNSF_6TensorESK_SK_EERKSK_lbbbEUlllE0_EEPmJS9_EEE10hipError_tPvRmT3_T4_T5_T6_T7_T9_mT8_P12ihipStream_tbDpT10_ENKUlT_T0_E_clISt17integral_constantIbLb1EES1A_EEDaS15_S16_EUlS15_E_NS1_11comp_targetILNS1_3genE5ELNS1_11target_archE942ELNS1_3gpuE9ELNS1_3repE0EEENS1_30default_config_static_selectorELNS0_4arch9wavefront6targetE1EEEvT1_,"axG",@progbits,_ZN7rocprim17ROCPRIM_400000_NS6detail17trampoline_kernelINS0_14default_configENS1_25partition_config_selectorILNS1_17partition_subalgoE9EllbEEZZNS1_14partition_implILS5_9ELb0ES3_jPlS8_PNS0_10empty_typeENS0_5tupleIJS8_S9_EEENSB_IJS8_SA_EEENS0_18inequality_wrapperIZN2at6native12_GLOBAL__N_124unique_dim_cuda_templateIlEESt5tupleIJNSF_6TensorESK_SK_EERKSK_lbbbEUlllE0_EEPmJS9_EEE10hipError_tPvRmT3_T4_T5_T6_T7_T9_mT8_P12ihipStream_tbDpT10_ENKUlT_T0_E_clISt17integral_constantIbLb1EES1A_EEDaS15_S16_EUlS15_E_NS1_11comp_targetILNS1_3genE5ELNS1_11target_archE942ELNS1_3gpuE9ELNS1_3repE0EEENS1_30default_config_static_selectorELNS0_4arch9wavefront6targetE1EEEvT1_,comdat
	.globl	_ZN7rocprim17ROCPRIM_400000_NS6detail17trampoline_kernelINS0_14default_configENS1_25partition_config_selectorILNS1_17partition_subalgoE9EllbEEZZNS1_14partition_implILS5_9ELb0ES3_jPlS8_PNS0_10empty_typeENS0_5tupleIJS8_S9_EEENSB_IJS8_SA_EEENS0_18inequality_wrapperIZN2at6native12_GLOBAL__N_124unique_dim_cuda_templateIlEESt5tupleIJNSF_6TensorESK_SK_EERKSK_lbbbEUlllE0_EEPmJS9_EEE10hipError_tPvRmT3_T4_T5_T6_T7_T9_mT8_P12ihipStream_tbDpT10_ENKUlT_T0_E_clISt17integral_constantIbLb1EES1A_EEDaS15_S16_EUlS15_E_NS1_11comp_targetILNS1_3genE5ELNS1_11target_archE942ELNS1_3gpuE9ELNS1_3repE0EEENS1_30default_config_static_selectorELNS0_4arch9wavefront6targetE1EEEvT1_ ; -- Begin function _ZN7rocprim17ROCPRIM_400000_NS6detail17trampoline_kernelINS0_14default_configENS1_25partition_config_selectorILNS1_17partition_subalgoE9EllbEEZZNS1_14partition_implILS5_9ELb0ES3_jPlS8_PNS0_10empty_typeENS0_5tupleIJS8_S9_EEENSB_IJS8_SA_EEENS0_18inequality_wrapperIZN2at6native12_GLOBAL__N_124unique_dim_cuda_templateIlEESt5tupleIJNSF_6TensorESK_SK_EERKSK_lbbbEUlllE0_EEPmJS9_EEE10hipError_tPvRmT3_T4_T5_T6_T7_T9_mT8_P12ihipStream_tbDpT10_ENKUlT_T0_E_clISt17integral_constantIbLb1EES1A_EEDaS15_S16_EUlS15_E_NS1_11comp_targetILNS1_3genE5ELNS1_11target_archE942ELNS1_3gpuE9ELNS1_3repE0EEENS1_30default_config_static_selectorELNS0_4arch9wavefront6targetE1EEEvT1_
	.p2align	8
	.type	_ZN7rocprim17ROCPRIM_400000_NS6detail17trampoline_kernelINS0_14default_configENS1_25partition_config_selectorILNS1_17partition_subalgoE9EllbEEZZNS1_14partition_implILS5_9ELb0ES3_jPlS8_PNS0_10empty_typeENS0_5tupleIJS8_S9_EEENSB_IJS8_SA_EEENS0_18inequality_wrapperIZN2at6native12_GLOBAL__N_124unique_dim_cuda_templateIlEESt5tupleIJNSF_6TensorESK_SK_EERKSK_lbbbEUlllE0_EEPmJS9_EEE10hipError_tPvRmT3_T4_T5_T6_T7_T9_mT8_P12ihipStream_tbDpT10_ENKUlT_T0_E_clISt17integral_constantIbLb1EES1A_EEDaS15_S16_EUlS15_E_NS1_11comp_targetILNS1_3genE5ELNS1_11target_archE942ELNS1_3gpuE9ELNS1_3repE0EEENS1_30default_config_static_selectorELNS0_4arch9wavefront6targetE1EEEvT1_,@function
_ZN7rocprim17ROCPRIM_400000_NS6detail17trampoline_kernelINS0_14default_configENS1_25partition_config_selectorILNS1_17partition_subalgoE9EllbEEZZNS1_14partition_implILS5_9ELb0ES3_jPlS8_PNS0_10empty_typeENS0_5tupleIJS8_S9_EEENSB_IJS8_SA_EEENS0_18inequality_wrapperIZN2at6native12_GLOBAL__N_124unique_dim_cuda_templateIlEESt5tupleIJNSF_6TensorESK_SK_EERKSK_lbbbEUlllE0_EEPmJS9_EEE10hipError_tPvRmT3_T4_T5_T6_T7_T9_mT8_P12ihipStream_tbDpT10_ENKUlT_T0_E_clISt17integral_constantIbLb1EES1A_EEDaS15_S16_EUlS15_E_NS1_11comp_targetILNS1_3genE5ELNS1_11target_archE942ELNS1_3gpuE9ELNS1_3repE0EEENS1_30default_config_static_selectorELNS0_4arch9wavefront6targetE1EEEvT1_: ; @_ZN7rocprim17ROCPRIM_400000_NS6detail17trampoline_kernelINS0_14default_configENS1_25partition_config_selectorILNS1_17partition_subalgoE9EllbEEZZNS1_14partition_implILS5_9ELb0ES3_jPlS8_PNS0_10empty_typeENS0_5tupleIJS8_S9_EEENSB_IJS8_SA_EEENS0_18inequality_wrapperIZN2at6native12_GLOBAL__N_124unique_dim_cuda_templateIlEESt5tupleIJNSF_6TensorESK_SK_EERKSK_lbbbEUlllE0_EEPmJS9_EEE10hipError_tPvRmT3_T4_T5_T6_T7_T9_mT8_P12ihipStream_tbDpT10_ENKUlT_T0_E_clISt17integral_constantIbLb1EES1A_EEDaS15_S16_EUlS15_E_NS1_11comp_targetILNS1_3genE5ELNS1_11target_archE942ELNS1_3gpuE9ELNS1_3repE0EEENS1_30default_config_static_selectorELNS0_4arch9wavefront6targetE1EEEvT1_
; %bb.0:
	.section	.rodata,"a",@progbits
	.p2align	6, 0x0
	.amdhsa_kernel _ZN7rocprim17ROCPRIM_400000_NS6detail17trampoline_kernelINS0_14default_configENS1_25partition_config_selectorILNS1_17partition_subalgoE9EllbEEZZNS1_14partition_implILS5_9ELb0ES3_jPlS8_PNS0_10empty_typeENS0_5tupleIJS8_S9_EEENSB_IJS8_SA_EEENS0_18inequality_wrapperIZN2at6native12_GLOBAL__N_124unique_dim_cuda_templateIlEESt5tupleIJNSF_6TensorESK_SK_EERKSK_lbbbEUlllE0_EEPmJS9_EEE10hipError_tPvRmT3_T4_T5_T6_T7_T9_mT8_P12ihipStream_tbDpT10_ENKUlT_T0_E_clISt17integral_constantIbLb1EES1A_EEDaS15_S16_EUlS15_E_NS1_11comp_targetILNS1_3genE5ELNS1_11target_archE942ELNS1_3gpuE9ELNS1_3repE0EEENS1_30default_config_static_selectorELNS0_4arch9wavefront6targetE1EEEvT1_
		.amdhsa_group_segment_fixed_size 0
		.amdhsa_private_segment_fixed_size 0
		.amdhsa_kernarg_size 136
		.amdhsa_user_sgpr_count 2
		.amdhsa_user_sgpr_dispatch_ptr 0
		.amdhsa_user_sgpr_queue_ptr 0
		.amdhsa_user_sgpr_kernarg_segment_ptr 1
		.amdhsa_user_sgpr_dispatch_id 0
		.amdhsa_user_sgpr_kernarg_preload_length 0
		.amdhsa_user_sgpr_kernarg_preload_offset 0
		.amdhsa_user_sgpr_private_segment_size 0
		.amdhsa_uses_dynamic_stack 0
		.amdhsa_enable_private_segment 0
		.amdhsa_system_sgpr_workgroup_id_x 1
		.amdhsa_system_sgpr_workgroup_id_y 0
		.amdhsa_system_sgpr_workgroup_id_z 0
		.amdhsa_system_sgpr_workgroup_info 0
		.amdhsa_system_vgpr_workitem_id 0
		.amdhsa_next_free_vgpr 1
		.amdhsa_next_free_sgpr 0
		.amdhsa_accum_offset 4
		.amdhsa_reserve_vcc 0
		.amdhsa_float_round_mode_32 0
		.amdhsa_float_round_mode_16_64 0
		.amdhsa_float_denorm_mode_32 3
		.amdhsa_float_denorm_mode_16_64 3
		.amdhsa_dx10_clamp 1
		.amdhsa_ieee_mode 1
		.amdhsa_fp16_overflow 0
		.amdhsa_tg_split 0
		.amdhsa_exception_fp_ieee_invalid_op 0
		.amdhsa_exception_fp_denorm_src 0
		.amdhsa_exception_fp_ieee_div_zero 0
		.amdhsa_exception_fp_ieee_overflow 0
		.amdhsa_exception_fp_ieee_underflow 0
		.amdhsa_exception_fp_ieee_inexact 0
		.amdhsa_exception_int_div_zero 0
	.end_amdhsa_kernel
	.section	.text._ZN7rocprim17ROCPRIM_400000_NS6detail17trampoline_kernelINS0_14default_configENS1_25partition_config_selectorILNS1_17partition_subalgoE9EllbEEZZNS1_14partition_implILS5_9ELb0ES3_jPlS8_PNS0_10empty_typeENS0_5tupleIJS8_S9_EEENSB_IJS8_SA_EEENS0_18inequality_wrapperIZN2at6native12_GLOBAL__N_124unique_dim_cuda_templateIlEESt5tupleIJNSF_6TensorESK_SK_EERKSK_lbbbEUlllE0_EEPmJS9_EEE10hipError_tPvRmT3_T4_T5_T6_T7_T9_mT8_P12ihipStream_tbDpT10_ENKUlT_T0_E_clISt17integral_constantIbLb1EES1A_EEDaS15_S16_EUlS15_E_NS1_11comp_targetILNS1_3genE5ELNS1_11target_archE942ELNS1_3gpuE9ELNS1_3repE0EEENS1_30default_config_static_selectorELNS0_4arch9wavefront6targetE1EEEvT1_,"axG",@progbits,_ZN7rocprim17ROCPRIM_400000_NS6detail17trampoline_kernelINS0_14default_configENS1_25partition_config_selectorILNS1_17partition_subalgoE9EllbEEZZNS1_14partition_implILS5_9ELb0ES3_jPlS8_PNS0_10empty_typeENS0_5tupleIJS8_S9_EEENSB_IJS8_SA_EEENS0_18inequality_wrapperIZN2at6native12_GLOBAL__N_124unique_dim_cuda_templateIlEESt5tupleIJNSF_6TensorESK_SK_EERKSK_lbbbEUlllE0_EEPmJS9_EEE10hipError_tPvRmT3_T4_T5_T6_T7_T9_mT8_P12ihipStream_tbDpT10_ENKUlT_T0_E_clISt17integral_constantIbLb1EES1A_EEDaS15_S16_EUlS15_E_NS1_11comp_targetILNS1_3genE5ELNS1_11target_archE942ELNS1_3gpuE9ELNS1_3repE0EEENS1_30default_config_static_selectorELNS0_4arch9wavefront6targetE1EEEvT1_,comdat
.Lfunc_end604:
	.size	_ZN7rocprim17ROCPRIM_400000_NS6detail17trampoline_kernelINS0_14default_configENS1_25partition_config_selectorILNS1_17partition_subalgoE9EllbEEZZNS1_14partition_implILS5_9ELb0ES3_jPlS8_PNS0_10empty_typeENS0_5tupleIJS8_S9_EEENSB_IJS8_SA_EEENS0_18inequality_wrapperIZN2at6native12_GLOBAL__N_124unique_dim_cuda_templateIlEESt5tupleIJNSF_6TensorESK_SK_EERKSK_lbbbEUlllE0_EEPmJS9_EEE10hipError_tPvRmT3_T4_T5_T6_T7_T9_mT8_P12ihipStream_tbDpT10_ENKUlT_T0_E_clISt17integral_constantIbLb1EES1A_EEDaS15_S16_EUlS15_E_NS1_11comp_targetILNS1_3genE5ELNS1_11target_archE942ELNS1_3gpuE9ELNS1_3repE0EEENS1_30default_config_static_selectorELNS0_4arch9wavefront6targetE1EEEvT1_, .Lfunc_end604-_ZN7rocprim17ROCPRIM_400000_NS6detail17trampoline_kernelINS0_14default_configENS1_25partition_config_selectorILNS1_17partition_subalgoE9EllbEEZZNS1_14partition_implILS5_9ELb0ES3_jPlS8_PNS0_10empty_typeENS0_5tupleIJS8_S9_EEENSB_IJS8_SA_EEENS0_18inequality_wrapperIZN2at6native12_GLOBAL__N_124unique_dim_cuda_templateIlEESt5tupleIJNSF_6TensorESK_SK_EERKSK_lbbbEUlllE0_EEPmJS9_EEE10hipError_tPvRmT3_T4_T5_T6_T7_T9_mT8_P12ihipStream_tbDpT10_ENKUlT_T0_E_clISt17integral_constantIbLb1EES1A_EEDaS15_S16_EUlS15_E_NS1_11comp_targetILNS1_3genE5ELNS1_11target_archE942ELNS1_3gpuE9ELNS1_3repE0EEENS1_30default_config_static_selectorELNS0_4arch9wavefront6targetE1EEEvT1_
                                        ; -- End function
	.set _ZN7rocprim17ROCPRIM_400000_NS6detail17trampoline_kernelINS0_14default_configENS1_25partition_config_selectorILNS1_17partition_subalgoE9EllbEEZZNS1_14partition_implILS5_9ELb0ES3_jPlS8_PNS0_10empty_typeENS0_5tupleIJS8_S9_EEENSB_IJS8_SA_EEENS0_18inequality_wrapperIZN2at6native12_GLOBAL__N_124unique_dim_cuda_templateIlEESt5tupleIJNSF_6TensorESK_SK_EERKSK_lbbbEUlllE0_EEPmJS9_EEE10hipError_tPvRmT3_T4_T5_T6_T7_T9_mT8_P12ihipStream_tbDpT10_ENKUlT_T0_E_clISt17integral_constantIbLb1EES1A_EEDaS15_S16_EUlS15_E_NS1_11comp_targetILNS1_3genE5ELNS1_11target_archE942ELNS1_3gpuE9ELNS1_3repE0EEENS1_30default_config_static_selectorELNS0_4arch9wavefront6targetE1EEEvT1_.num_vgpr, 0
	.set _ZN7rocprim17ROCPRIM_400000_NS6detail17trampoline_kernelINS0_14default_configENS1_25partition_config_selectorILNS1_17partition_subalgoE9EllbEEZZNS1_14partition_implILS5_9ELb0ES3_jPlS8_PNS0_10empty_typeENS0_5tupleIJS8_S9_EEENSB_IJS8_SA_EEENS0_18inequality_wrapperIZN2at6native12_GLOBAL__N_124unique_dim_cuda_templateIlEESt5tupleIJNSF_6TensorESK_SK_EERKSK_lbbbEUlllE0_EEPmJS9_EEE10hipError_tPvRmT3_T4_T5_T6_T7_T9_mT8_P12ihipStream_tbDpT10_ENKUlT_T0_E_clISt17integral_constantIbLb1EES1A_EEDaS15_S16_EUlS15_E_NS1_11comp_targetILNS1_3genE5ELNS1_11target_archE942ELNS1_3gpuE9ELNS1_3repE0EEENS1_30default_config_static_selectorELNS0_4arch9wavefront6targetE1EEEvT1_.num_agpr, 0
	.set _ZN7rocprim17ROCPRIM_400000_NS6detail17trampoline_kernelINS0_14default_configENS1_25partition_config_selectorILNS1_17partition_subalgoE9EllbEEZZNS1_14partition_implILS5_9ELb0ES3_jPlS8_PNS0_10empty_typeENS0_5tupleIJS8_S9_EEENSB_IJS8_SA_EEENS0_18inequality_wrapperIZN2at6native12_GLOBAL__N_124unique_dim_cuda_templateIlEESt5tupleIJNSF_6TensorESK_SK_EERKSK_lbbbEUlllE0_EEPmJS9_EEE10hipError_tPvRmT3_T4_T5_T6_T7_T9_mT8_P12ihipStream_tbDpT10_ENKUlT_T0_E_clISt17integral_constantIbLb1EES1A_EEDaS15_S16_EUlS15_E_NS1_11comp_targetILNS1_3genE5ELNS1_11target_archE942ELNS1_3gpuE9ELNS1_3repE0EEENS1_30default_config_static_selectorELNS0_4arch9wavefront6targetE1EEEvT1_.numbered_sgpr, 0
	.set _ZN7rocprim17ROCPRIM_400000_NS6detail17trampoline_kernelINS0_14default_configENS1_25partition_config_selectorILNS1_17partition_subalgoE9EllbEEZZNS1_14partition_implILS5_9ELb0ES3_jPlS8_PNS0_10empty_typeENS0_5tupleIJS8_S9_EEENSB_IJS8_SA_EEENS0_18inequality_wrapperIZN2at6native12_GLOBAL__N_124unique_dim_cuda_templateIlEESt5tupleIJNSF_6TensorESK_SK_EERKSK_lbbbEUlllE0_EEPmJS9_EEE10hipError_tPvRmT3_T4_T5_T6_T7_T9_mT8_P12ihipStream_tbDpT10_ENKUlT_T0_E_clISt17integral_constantIbLb1EES1A_EEDaS15_S16_EUlS15_E_NS1_11comp_targetILNS1_3genE5ELNS1_11target_archE942ELNS1_3gpuE9ELNS1_3repE0EEENS1_30default_config_static_selectorELNS0_4arch9wavefront6targetE1EEEvT1_.num_named_barrier, 0
	.set _ZN7rocprim17ROCPRIM_400000_NS6detail17trampoline_kernelINS0_14default_configENS1_25partition_config_selectorILNS1_17partition_subalgoE9EllbEEZZNS1_14partition_implILS5_9ELb0ES3_jPlS8_PNS0_10empty_typeENS0_5tupleIJS8_S9_EEENSB_IJS8_SA_EEENS0_18inequality_wrapperIZN2at6native12_GLOBAL__N_124unique_dim_cuda_templateIlEESt5tupleIJNSF_6TensorESK_SK_EERKSK_lbbbEUlllE0_EEPmJS9_EEE10hipError_tPvRmT3_T4_T5_T6_T7_T9_mT8_P12ihipStream_tbDpT10_ENKUlT_T0_E_clISt17integral_constantIbLb1EES1A_EEDaS15_S16_EUlS15_E_NS1_11comp_targetILNS1_3genE5ELNS1_11target_archE942ELNS1_3gpuE9ELNS1_3repE0EEENS1_30default_config_static_selectorELNS0_4arch9wavefront6targetE1EEEvT1_.private_seg_size, 0
	.set _ZN7rocprim17ROCPRIM_400000_NS6detail17trampoline_kernelINS0_14default_configENS1_25partition_config_selectorILNS1_17partition_subalgoE9EllbEEZZNS1_14partition_implILS5_9ELb0ES3_jPlS8_PNS0_10empty_typeENS0_5tupleIJS8_S9_EEENSB_IJS8_SA_EEENS0_18inequality_wrapperIZN2at6native12_GLOBAL__N_124unique_dim_cuda_templateIlEESt5tupleIJNSF_6TensorESK_SK_EERKSK_lbbbEUlllE0_EEPmJS9_EEE10hipError_tPvRmT3_T4_T5_T6_T7_T9_mT8_P12ihipStream_tbDpT10_ENKUlT_T0_E_clISt17integral_constantIbLb1EES1A_EEDaS15_S16_EUlS15_E_NS1_11comp_targetILNS1_3genE5ELNS1_11target_archE942ELNS1_3gpuE9ELNS1_3repE0EEENS1_30default_config_static_selectorELNS0_4arch9wavefront6targetE1EEEvT1_.uses_vcc, 0
	.set _ZN7rocprim17ROCPRIM_400000_NS6detail17trampoline_kernelINS0_14default_configENS1_25partition_config_selectorILNS1_17partition_subalgoE9EllbEEZZNS1_14partition_implILS5_9ELb0ES3_jPlS8_PNS0_10empty_typeENS0_5tupleIJS8_S9_EEENSB_IJS8_SA_EEENS0_18inequality_wrapperIZN2at6native12_GLOBAL__N_124unique_dim_cuda_templateIlEESt5tupleIJNSF_6TensorESK_SK_EERKSK_lbbbEUlllE0_EEPmJS9_EEE10hipError_tPvRmT3_T4_T5_T6_T7_T9_mT8_P12ihipStream_tbDpT10_ENKUlT_T0_E_clISt17integral_constantIbLb1EES1A_EEDaS15_S16_EUlS15_E_NS1_11comp_targetILNS1_3genE5ELNS1_11target_archE942ELNS1_3gpuE9ELNS1_3repE0EEENS1_30default_config_static_selectorELNS0_4arch9wavefront6targetE1EEEvT1_.uses_flat_scratch, 0
	.set _ZN7rocprim17ROCPRIM_400000_NS6detail17trampoline_kernelINS0_14default_configENS1_25partition_config_selectorILNS1_17partition_subalgoE9EllbEEZZNS1_14partition_implILS5_9ELb0ES3_jPlS8_PNS0_10empty_typeENS0_5tupleIJS8_S9_EEENSB_IJS8_SA_EEENS0_18inequality_wrapperIZN2at6native12_GLOBAL__N_124unique_dim_cuda_templateIlEESt5tupleIJNSF_6TensorESK_SK_EERKSK_lbbbEUlllE0_EEPmJS9_EEE10hipError_tPvRmT3_T4_T5_T6_T7_T9_mT8_P12ihipStream_tbDpT10_ENKUlT_T0_E_clISt17integral_constantIbLb1EES1A_EEDaS15_S16_EUlS15_E_NS1_11comp_targetILNS1_3genE5ELNS1_11target_archE942ELNS1_3gpuE9ELNS1_3repE0EEENS1_30default_config_static_selectorELNS0_4arch9wavefront6targetE1EEEvT1_.has_dyn_sized_stack, 0
	.set _ZN7rocprim17ROCPRIM_400000_NS6detail17trampoline_kernelINS0_14default_configENS1_25partition_config_selectorILNS1_17partition_subalgoE9EllbEEZZNS1_14partition_implILS5_9ELb0ES3_jPlS8_PNS0_10empty_typeENS0_5tupleIJS8_S9_EEENSB_IJS8_SA_EEENS0_18inequality_wrapperIZN2at6native12_GLOBAL__N_124unique_dim_cuda_templateIlEESt5tupleIJNSF_6TensorESK_SK_EERKSK_lbbbEUlllE0_EEPmJS9_EEE10hipError_tPvRmT3_T4_T5_T6_T7_T9_mT8_P12ihipStream_tbDpT10_ENKUlT_T0_E_clISt17integral_constantIbLb1EES1A_EEDaS15_S16_EUlS15_E_NS1_11comp_targetILNS1_3genE5ELNS1_11target_archE942ELNS1_3gpuE9ELNS1_3repE0EEENS1_30default_config_static_selectorELNS0_4arch9wavefront6targetE1EEEvT1_.has_recursion, 0
	.set _ZN7rocprim17ROCPRIM_400000_NS6detail17trampoline_kernelINS0_14default_configENS1_25partition_config_selectorILNS1_17partition_subalgoE9EllbEEZZNS1_14partition_implILS5_9ELb0ES3_jPlS8_PNS0_10empty_typeENS0_5tupleIJS8_S9_EEENSB_IJS8_SA_EEENS0_18inequality_wrapperIZN2at6native12_GLOBAL__N_124unique_dim_cuda_templateIlEESt5tupleIJNSF_6TensorESK_SK_EERKSK_lbbbEUlllE0_EEPmJS9_EEE10hipError_tPvRmT3_T4_T5_T6_T7_T9_mT8_P12ihipStream_tbDpT10_ENKUlT_T0_E_clISt17integral_constantIbLb1EES1A_EEDaS15_S16_EUlS15_E_NS1_11comp_targetILNS1_3genE5ELNS1_11target_archE942ELNS1_3gpuE9ELNS1_3repE0EEENS1_30default_config_static_selectorELNS0_4arch9wavefront6targetE1EEEvT1_.has_indirect_call, 0
	.section	.AMDGPU.csdata,"",@progbits
; Kernel info:
; codeLenInByte = 0
; TotalNumSgprs: 6
; NumVgprs: 0
; NumAgprs: 0
; TotalNumVgprs: 0
; ScratchSize: 0
; MemoryBound: 0
; FloatMode: 240
; IeeeMode: 1
; LDSByteSize: 0 bytes/workgroup (compile time only)
; SGPRBlocks: 0
; VGPRBlocks: 0
; NumSGPRsForWavesPerEU: 6
; NumVGPRsForWavesPerEU: 1
; AccumOffset: 4
; Occupancy: 8
; WaveLimiterHint : 0
; COMPUTE_PGM_RSRC2:SCRATCH_EN: 0
; COMPUTE_PGM_RSRC2:USER_SGPR: 2
; COMPUTE_PGM_RSRC2:TRAP_HANDLER: 0
; COMPUTE_PGM_RSRC2:TGID_X_EN: 1
; COMPUTE_PGM_RSRC2:TGID_Y_EN: 0
; COMPUTE_PGM_RSRC2:TGID_Z_EN: 0
; COMPUTE_PGM_RSRC2:TIDIG_COMP_CNT: 0
; COMPUTE_PGM_RSRC3_GFX90A:ACCUM_OFFSET: 0
; COMPUTE_PGM_RSRC3_GFX90A:TG_SPLIT: 0
	.section	.text._ZN7rocprim17ROCPRIM_400000_NS6detail17trampoline_kernelINS0_14default_configENS1_25partition_config_selectorILNS1_17partition_subalgoE9EllbEEZZNS1_14partition_implILS5_9ELb0ES3_jPlS8_PNS0_10empty_typeENS0_5tupleIJS8_S9_EEENSB_IJS8_SA_EEENS0_18inequality_wrapperIZN2at6native12_GLOBAL__N_124unique_dim_cuda_templateIlEESt5tupleIJNSF_6TensorESK_SK_EERKSK_lbbbEUlllE0_EEPmJS9_EEE10hipError_tPvRmT3_T4_T5_T6_T7_T9_mT8_P12ihipStream_tbDpT10_ENKUlT_T0_E_clISt17integral_constantIbLb1EES1A_EEDaS15_S16_EUlS15_E_NS1_11comp_targetILNS1_3genE4ELNS1_11target_archE910ELNS1_3gpuE8ELNS1_3repE0EEENS1_30default_config_static_selectorELNS0_4arch9wavefront6targetE1EEEvT1_,"axG",@progbits,_ZN7rocprim17ROCPRIM_400000_NS6detail17trampoline_kernelINS0_14default_configENS1_25partition_config_selectorILNS1_17partition_subalgoE9EllbEEZZNS1_14partition_implILS5_9ELb0ES3_jPlS8_PNS0_10empty_typeENS0_5tupleIJS8_S9_EEENSB_IJS8_SA_EEENS0_18inequality_wrapperIZN2at6native12_GLOBAL__N_124unique_dim_cuda_templateIlEESt5tupleIJNSF_6TensorESK_SK_EERKSK_lbbbEUlllE0_EEPmJS9_EEE10hipError_tPvRmT3_T4_T5_T6_T7_T9_mT8_P12ihipStream_tbDpT10_ENKUlT_T0_E_clISt17integral_constantIbLb1EES1A_EEDaS15_S16_EUlS15_E_NS1_11comp_targetILNS1_3genE4ELNS1_11target_archE910ELNS1_3gpuE8ELNS1_3repE0EEENS1_30default_config_static_selectorELNS0_4arch9wavefront6targetE1EEEvT1_,comdat
	.globl	_ZN7rocprim17ROCPRIM_400000_NS6detail17trampoline_kernelINS0_14default_configENS1_25partition_config_selectorILNS1_17partition_subalgoE9EllbEEZZNS1_14partition_implILS5_9ELb0ES3_jPlS8_PNS0_10empty_typeENS0_5tupleIJS8_S9_EEENSB_IJS8_SA_EEENS0_18inequality_wrapperIZN2at6native12_GLOBAL__N_124unique_dim_cuda_templateIlEESt5tupleIJNSF_6TensorESK_SK_EERKSK_lbbbEUlllE0_EEPmJS9_EEE10hipError_tPvRmT3_T4_T5_T6_T7_T9_mT8_P12ihipStream_tbDpT10_ENKUlT_T0_E_clISt17integral_constantIbLb1EES1A_EEDaS15_S16_EUlS15_E_NS1_11comp_targetILNS1_3genE4ELNS1_11target_archE910ELNS1_3gpuE8ELNS1_3repE0EEENS1_30default_config_static_selectorELNS0_4arch9wavefront6targetE1EEEvT1_ ; -- Begin function _ZN7rocprim17ROCPRIM_400000_NS6detail17trampoline_kernelINS0_14default_configENS1_25partition_config_selectorILNS1_17partition_subalgoE9EllbEEZZNS1_14partition_implILS5_9ELb0ES3_jPlS8_PNS0_10empty_typeENS0_5tupleIJS8_S9_EEENSB_IJS8_SA_EEENS0_18inequality_wrapperIZN2at6native12_GLOBAL__N_124unique_dim_cuda_templateIlEESt5tupleIJNSF_6TensorESK_SK_EERKSK_lbbbEUlllE0_EEPmJS9_EEE10hipError_tPvRmT3_T4_T5_T6_T7_T9_mT8_P12ihipStream_tbDpT10_ENKUlT_T0_E_clISt17integral_constantIbLb1EES1A_EEDaS15_S16_EUlS15_E_NS1_11comp_targetILNS1_3genE4ELNS1_11target_archE910ELNS1_3gpuE8ELNS1_3repE0EEENS1_30default_config_static_selectorELNS0_4arch9wavefront6targetE1EEEvT1_
	.p2align	8
	.type	_ZN7rocprim17ROCPRIM_400000_NS6detail17trampoline_kernelINS0_14default_configENS1_25partition_config_selectorILNS1_17partition_subalgoE9EllbEEZZNS1_14partition_implILS5_9ELb0ES3_jPlS8_PNS0_10empty_typeENS0_5tupleIJS8_S9_EEENSB_IJS8_SA_EEENS0_18inequality_wrapperIZN2at6native12_GLOBAL__N_124unique_dim_cuda_templateIlEESt5tupleIJNSF_6TensorESK_SK_EERKSK_lbbbEUlllE0_EEPmJS9_EEE10hipError_tPvRmT3_T4_T5_T6_T7_T9_mT8_P12ihipStream_tbDpT10_ENKUlT_T0_E_clISt17integral_constantIbLb1EES1A_EEDaS15_S16_EUlS15_E_NS1_11comp_targetILNS1_3genE4ELNS1_11target_archE910ELNS1_3gpuE8ELNS1_3repE0EEENS1_30default_config_static_selectorELNS0_4arch9wavefront6targetE1EEEvT1_,@function
_ZN7rocprim17ROCPRIM_400000_NS6detail17trampoline_kernelINS0_14default_configENS1_25partition_config_selectorILNS1_17partition_subalgoE9EllbEEZZNS1_14partition_implILS5_9ELb0ES3_jPlS8_PNS0_10empty_typeENS0_5tupleIJS8_S9_EEENSB_IJS8_SA_EEENS0_18inequality_wrapperIZN2at6native12_GLOBAL__N_124unique_dim_cuda_templateIlEESt5tupleIJNSF_6TensorESK_SK_EERKSK_lbbbEUlllE0_EEPmJS9_EEE10hipError_tPvRmT3_T4_T5_T6_T7_T9_mT8_P12ihipStream_tbDpT10_ENKUlT_T0_E_clISt17integral_constantIbLb1EES1A_EEDaS15_S16_EUlS15_E_NS1_11comp_targetILNS1_3genE4ELNS1_11target_archE910ELNS1_3gpuE8ELNS1_3repE0EEENS1_30default_config_static_selectorELNS0_4arch9wavefront6targetE1EEEvT1_: ; @_ZN7rocprim17ROCPRIM_400000_NS6detail17trampoline_kernelINS0_14default_configENS1_25partition_config_selectorILNS1_17partition_subalgoE9EllbEEZZNS1_14partition_implILS5_9ELb0ES3_jPlS8_PNS0_10empty_typeENS0_5tupleIJS8_S9_EEENSB_IJS8_SA_EEENS0_18inequality_wrapperIZN2at6native12_GLOBAL__N_124unique_dim_cuda_templateIlEESt5tupleIJNSF_6TensorESK_SK_EERKSK_lbbbEUlllE0_EEPmJS9_EEE10hipError_tPvRmT3_T4_T5_T6_T7_T9_mT8_P12ihipStream_tbDpT10_ENKUlT_T0_E_clISt17integral_constantIbLb1EES1A_EEDaS15_S16_EUlS15_E_NS1_11comp_targetILNS1_3genE4ELNS1_11target_archE910ELNS1_3gpuE8ELNS1_3repE0EEENS1_30default_config_static_selectorELNS0_4arch9wavefront6targetE1EEEvT1_
; %bb.0:
	.section	.rodata,"a",@progbits
	.p2align	6, 0x0
	.amdhsa_kernel _ZN7rocprim17ROCPRIM_400000_NS6detail17trampoline_kernelINS0_14default_configENS1_25partition_config_selectorILNS1_17partition_subalgoE9EllbEEZZNS1_14partition_implILS5_9ELb0ES3_jPlS8_PNS0_10empty_typeENS0_5tupleIJS8_S9_EEENSB_IJS8_SA_EEENS0_18inequality_wrapperIZN2at6native12_GLOBAL__N_124unique_dim_cuda_templateIlEESt5tupleIJNSF_6TensorESK_SK_EERKSK_lbbbEUlllE0_EEPmJS9_EEE10hipError_tPvRmT3_T4_T5_T6_T7_T9_mT8_P12ihipStream_tbDpT10_ENKUlT_T0_E_clISt17integral_constantIbLb1EES1A_EEDaS15_S16_EUlS15_E_NS1_11comp_targetILNS1_3genE4ELNS1_11target_archE910ELNS1_3gpuE8ELNS1_3repE0EEENS1_30default_config_static_selectorELNS0_4arch9wavefront6targetE1EEEvT1_
		.amdhsa_group_segment_fixed_size 0
		.amdhsa_private_segment_fixed_size 0
		.amdhsa_kernarg_size 136
		.amdhsa_user_sgpr_count 2
		.amdhsa_user_sgpr_dispatch_ptr 0
		.amdhsa_user_sgpr_queue_ptr 0
		.amdhsa_user_sgpr_kernarg_segment_ptr 1
		.amdhsa_user_sgpr_dispatch_id 0
		.amdhsa_user_sgpr_kernarg_preload_length 0
		.amdhsa_user_sgpr_kernarg_preload_offset 0
		.amdhsa_user_sgpr_private_segment_size 0
		.amdhsa_uses_dynamic_stack 0
		.amdhsa_enable_private_segment 0
		.amdhsa_system_sgpr_workgroup_id_x 1
		.amdhsa_system_sgpr_workgroup_id_y 0
		.amdhsa_system_sgpr_workgroup_id_z 0
		.amdhsa_system_sgpr_workgroup_info 0
		.amdhsa_system_vgpr_workitem_id 0
		.amdhsa_next_free_vgpr 1
		.amdhsa_next_free_sgpr 0
		.amdhsa_accum_offset 4
		.amdhsa_reserve_vcc 0
		.amdhsa_float_round_mode_32 0
		.amdhsa_float_round_mode_16_64 0
		.amdhsa_float_denorm_mode_32 3
		.amdhsa_float_denorm_mode_16_64 3
		.amdhsa_dx10_clamp 1
		.amdhsa_ieee_mode 1
		.amdhsa_fp16_overflow 0
		.amdhsa_tg_split 0
		.amdhsa_exception_fp_ieee_invalid_op 0
		.amdhsa_exception_fp_denorm_src 0
		.amdhsa_exception_fp_ieee_div_zero 0
		.amdhsa_exception_fp_ieee_overflow 0
		.amdhsa_exception_fp_ieee_underflow 0
		.amdhsa_exception_fp_ieee_inexact 0
		.amdhsa_exception_int_div_zero 0
	.end_amdhsa_kernel
	.section	.text._ZN7rocprim17ROCPRIM_400000_NS6detail17trampoline_kernelINS0_14default_configENS1_25partition_config_selectorILNS1_17partition_subalgoE9EllbEEZZNS1_14partition_implILS5_9ELb0ES3_jPlS8_PNS0_10empty_typeENS0_5tupleIJS8_S9_EEENSB_IJS8_SA_EEENS0_18inequality_wrapperIZN2at6native12_GLOBAL__N_124unique_dim_cuda_templateIlEESt5tupleIJNSF_6TensorESK_SK_EERKSK_lbbbEUlllE0_EEPmJS9_EEE10hipError_tPvRmT3_T4_T5_T6_T7_T9_mT8_P12ihipStream_tbDpT10_ENKUlT_T0_E_clISt17integral_constantIbLb1EES1A_EEDaS15_S16_EUlS15_E_NS1_11comp_targetILNS1_3genE4ELNS1_11target_archE910ELNS1_3gpuE8ELNS1_3repE0EEENS1_30default_config_static_selectorELNS0_4arch9wavefront6targetE1EEEvT1_,"axG",@progbits,_ZN7rocprim17ROCPRIM_400000_NS6detail17trampoline_kernelINS0_14default_configENS1_25partition_config_selectorILNS1_17partition_subalgoE9EllbEEZZNS1_14partition_implILS5_9ELb0ES3_jPlS8_PNS0_10empty_typeENS0_5tupleIJS8_S9_EEENSB_IJS8_SA_EEENS0_18inequality_wrapperIZN2at6native12_GLOBAL__N_124unique_dim_cuda_templateIlEESt5tupleIJNSF_6TensorESK_SK_EERKSK_lbbbEUlllE0_EEPmJS9_EEE10hipError_tPvRmT3_T4_T5_T6_T7_T9_mT8_P12ihipStream_tbDpT10_ENKUlT_T0_E_clISt17integral_constantIbLb1EES1A_EEDaS15_S16_EUlS15_E_NS1_11comp_targetILNS1_3genE4ELNS1_11target_archE910ELNS1_3gpuE8ELNS1_3repE0EEENS1_30default_config_static_selectorELNS0_4arch9wavefront6targetE1EEEvT1_,comdat
.Lfunc_end605:
	.size	_ZN7rocprim17ROCPRIM_400000_NS6detail17trampoline_kernelINS0_14default_configENS1_25partition_config_selectorILNS1_17partition_subalgoE9EllbEEZZNS1_14partition_implILS5_9ELb0ES3_jPlS8_PNS0_10empty_typeENS0_5tupleIJS8_S9_EEENSB_IJS8_SA_EEENS0_18inequality_wrapperIZN2at6native12_GLOBAL__N_124unique_dim_cuda_templateIlEESt5tupleIJNSF_6TensorESK_SK_EERKSK_lbbbEUlllE0_EEPmJS9_EEE10hipError_tPvRmT3_T4_T5_T6_T7_T9_mT8_P12ihipStream_tbDpT10_ENKUlT_T0_E_clISt17integral_constantIbLb1EES1A_EEDaS15_S16_EUlS15_E_NS1_11comp_targetILNS1_3genE4ELNS1_11target_archE910ELNS1_3gpuE8ELNS1_3repE0EEENS1_30default_config_static_selectorELNS0_4arch9wavefront6targetE1EEEvT1_, .Lfunc_end605-_ZN7rocprim17ROCPRIM_400000_NS6detail17trampoline_kernelINS0_14default_configENS1_25partition_config_selectorILNS1_17partition_subalgoE9EllbEEZZNS1_14partition_implILS5_9ELb0ES3_jPlS8_PNS0_10empty_typeENS0_5tupleIJS8_S9_EEENSB_IJS8_SA_EEENS0_18inequality_wrapperIZN2at6native12_GLOBAL__N_124unique_dim_cuda_templateIlEESt5tupleIJNSF_6TensorESK_SK_EERKSK_lbbbEUlllE0_EEPmJS9_EEE10hipError_tPvRmT3_T4_T5_T6_T7_T9_mT8_P12ihipStream_tbDpT10_ENKUlT_T0_E_clISt17integral_constantIbLb1EES1A_EEDaS15_S16_EUlS15_E_NS1_11comp_targetILNS1_3genE4ELNS1_11target_archE910ELNS1_3gpuE8ELNS1_3repE0EEENS1_30default_config_static_selectorELNS0_4arch9wavefront6targetE1EEEvT1_
                                        ; -- End function
	.set _ZN7rocprim17ROCPRIM_400000_NS6detail17trampoline_kernelINS0_14default_configENS1_25partition_config_selectorILNS1_17partition_subalgoE9EllbEEZZNS1_14partition_implILS5_9ELb0ES3_jPlS8_PNS0_10empty_typeENS0_5tupleIJS8_S9_EEENSB_IJS8_SA_EEENS0_18inequality_wrapperIZN2at6native12_GLOBAL__N_124unique_dim_cuda_templateIlEESt5tupleIJNSF_6TensorESK_SK_EERKSK_lbbbEUlllE0_EEPmJS9_EEE10hipError_tPvRmT3_T4_T5_T6_T7_T9_mT8_P12ihipStream_tbDpT10_ENKUlT_T0_E_clISt17integral_constantIbLb1EES1A_EEDaS15_S16_EUlS15_E_NS1_11comp_targetILNS1_3genE4ELNS1_11target_archE910ELNS1_3gpuE8ELNS1_3repE0EEENS1_30default_config_static_selectorELNS0_4arch9wavefront6targetE1EEEvT1_.num_vgpr, 0
	.set _ZN7rocprim17ROCPRIM_400000_NS6detail17trampoline_kernelINS0_14default_configENS1_25partition_config_selectorILNS1_17partition_subalgoE9EllbEEZZNS1_14partition_implILS5_9ELb0ES3_jPlS8_PNS0_10empty_typeENS0_5tupleIJS8_S9_EEENSB_IJS8_SA_EEENS0_18inequality_wrapperIZN2at6native12_GLOBAL__N_124unique_dim_cuda_templateIlEESt5tupleIJNSF_6TensorESK_SK_EERKSK_lbbbEUlllE0_EEPmJS9_EEE10hipError_tPvRmT3_T4_T5_T6_T7_T9_mT8_P12ihipStream_tbDpT10_ENKUlT_T0_E_clISt17integral_constantIbLb1EES1A_EEDaS15_S16_EUlS15_E_NS1_11comp_targetILNS1_3genE4ELNS1_11target_archE910ELNS1_3gpuE8ELNS1_3repE0EEENS1_30default_config_static_selectorELNS0_4arch9wavefront6targetE1EEEvT1_.num_agpr, 0
	.set _ZN7rocprim17ROCPRIM_400000_NS6detail17trampoline_kernelINS0_14default_configENS1_25partition_config_selectorILNS1_17partition_subalgoE9EllbEEZZNS1_14partition_implILS5_9ELb0ES3_jPlS8_PNS0_10empty_typeENS0_5tupleIJS8_S9_EEENSB_IJS8_SA_EEENS0_18inequality_wrapperIZN2at6native12_GLOBAL__N_124unique_dim_cuda_templateIlEESt5tupleIJNSF_6TensorESK_SK_EERKSK_lbbbEUlllE0_EEPmJS9_EEE10hipError_tPvRmT3_T4_T5_T6_T7_T9_mT8_P12ihipStream_tbDpT10_ENKUlT_T0_E_clISt17integral_constantIbLb1EES1A_EEDaS15_S16_EUlS15_E_NS1_11comp_targetILNS1_3genE4ELNS1_11target_archE910ELNS1_3gpuE8ELNS1_3repE0EEENS1_30default_config_static_selectorELNS0_4arch9wavefront6targetE1EEEvT1_.numbered_sgpr, 0
	.set _ZN7rocprim17ROCPRIM_400000_NS6detail17trampoline_kernelINS0_14default_configENS1_25partition_config_selectorILNS1_17partition_subalgoE9EllbEEZZNS1_14partition_implILS5_9ELb0ES3_jPlS8_PNS0_10empty_typeENS0_5tupleIJS8_S9_EEENSB_IJS8_SA_EEENS0_18inequality_wrapperIZN2at6native12_GLOBAL__N_124unique_dim_cuda_templateIlEESt5tupleIJNSF_6TensorESK_SK_EERKSK_lbbbEUlllE0_EEPmJS9_EEE10hipError_tPvRmT3_T4_T5_T6_T7_T9_mT8_P12ihipStream_tbDpT10_ENKUlT_T0_E_clISt17integral_constantIbLb1EES1A_EEDaS15_S16_EUlS15_E_NS1_11comp_targetILNS1_3genE4ELNS1_11target_archE910ELNS1_3gpuE8ELNS1_3repE0EEENS1_30default_config_static_selectorELNS0_4arch9wavefront6targetE1EEEvT1_.num_named_barrier, 0
	.set _ZN7rocprim17ROCPRIM_400000_NS6detail17trampoline_kernelINS0_14default_configENS1_25partition_config_selectorILNS1_17partition_subalgoE9EllbEEZZNS1_14partition_implILS5_9ELb0ES3_jPlS8_PNS0_10empty_typeENS0_5tupleIJS8_S9_EEENSB_IJS8_SA_EEENS0_18inequality_wrapperIZN2at6native12_GLOBAL__N_124unique_dim_cuda_templateIlEESt5tupleIJNSF_6TensorESK_SK_EERKSK_lbbbEUlllE0_EEPmJS9_EEE10hipError_tPvRmT3_T4_T5_T6_T7_T9_mT8_P12ihipStream_tbDpT10_ENKUlT_T0_E_clISt17integral_constantIbLb1EES1A_EEDaS15_S16_EUlS15_E_NS1_11comp_targetILNS1_3genE4ELNS1_11target_archE910ELNS1_3gpuE8ELNS1_3repE0EEENS1_30default_config_static_selectorELNS0_4arch9wavefront6targetE1EEEvT1_.private_seg_size, 0
	.set _ZN7rocprim17ROCPRIM_400000_NS6detail17trampoline_kernelINS0_14default_configENS1_25partition_config_selectorILNS1_17partition_subalgoE9EllbEEZZNS1_14partition_implILS5_9ELb0ES3_jPlS8_PNS0_10empty_typeENS0_5tupleIJS8_S9_EEENSB_IJS8_SA_EEENS0_18inequality_wrapperIZN2at6native12_GLOBAL__N_124unique_dim_cuda_templateIlEESt5tupleIJNSF_6TensorESK_SK_EERKSK_lbbbEUlllE0_EEPmJS9_EEE10hipError_tPvRmT3_T4_T5_T6_T7_T9_mT8_P12ihipStream_tbDpT10_ENKUlT_T0_E_clISt17integral_constantIbLb1EES1A_EEDaS15_S16_EUlS15_E_NS1_11comp_targetILNS1_3genE4ELNS1_11target_archE910ELNS1_3gpuE8ELNS1_3repE0EEENS1_30default_config_static_selectorELNS0_4arch9wavefront6targetE1EEEvT1_.uses_vcc, 0
	.set _ZN7rocprim17ROCPRIM_400000_NS6detail17trampoline_kernelINS0_14default_configENS1_25partition_config_selectorILNS1_17partition_subalgoE9EllbEEZZNS1_14partition_implILS5_9ELb0ES3_jPlS8_PNS0_10empty_typeENS0_5tupleIJS8_S9_EEENSB_IJS8_SA_EEENS0_18inequality_wrapperIZN2at6native12_GLOBAL__N_124unique_dim_cuda_templateIlEESt5tupleIJNSF_6TensorESK_SK_EERKSK_lbbbEUlllE0_EEPmJS9_EEE10hipError_tPvRmT3_T4_T5_T6_T7_T9_mT8_P12ihipStream_tbDpT10_ENKUlT_T0_E_clISt17integral_constantIbLb1EES1A_EEDaS15_S16_EUlS15_E_NS1_11comp_targetILNS1_3genE4ELNS1_11target_archE910ELNS1_3gpuE8ELNS1_3repE0EEENS1_30default_config_static_selectorELNS0_4arch9wavefront6targetE1EEEvT1_.uses_flat_scratch, 0
	.set _ZN7rocprim17ROCPRIM_400000_NS6detail17trampoline_kernelINS0_14default_configENS1_25partition_config_selectorILNS1_17partition_subalgoE9EllbEEZZNS1_14partition_implILS5_9ELb0ES3_jPlS8_PNS0_10empty_typeENS0_5tupleIJS8_S9_EEENSB_IJS8_SA_EEENS0_18inequality_wrapperIZN2at6native12_GLOBAL__N_124unique_dim_cuda_templateIlEESt5tupleIJNSF_6TensorESK_SK_EERKSK_lbbbEUlllE0_EEPmJS9_EEE10hipError_tPvRmT3_T4_T5_T6_T7_T9_mT8_P12ihipStream_tbDpT10_ENKUlT_T0_E_clISt17integral_constantIbLb1EES1A_EEDaS15_S16_EUlS15_E_NS1_11comp_targetILNS1_3genE4ELNS1_11target_archE910ELNS1_3gpuE8ELNS1_3repE0EEENS1_30default_config_static_selectorELNS0_4arch9wavefront6targetE1EEEvT1_.has_dyn_sized_stack, 0
	.set _ZN7rocprim17ROCPRIM_400000_NS6detail17trampoline_kernelINS0_14default_configENS1_25partition_config_selectorILNS1_17partition_subalgoE9EllbEEZZNS1_14partition_implILS5_9ELb0ES3_jPlS8_PNS0_10empty_typeENS0_5tupleIJS8_S9_EEENSB_IJS8_SA_EEENS0_18inequality_wrapperIZN2at6native12_GLOBAL__N_124unique_dim_cuda_templateIlEESt5tupleIJNSF_6TensorESK_SK_EERKSK_lbbbEUlllE0_EEPmJS9_EEE10hipError_tPvRmT3_T4_T5_T6_T7_T9_mT8_P12ihipStream_tbDpT10_ENKUlT_T0_E_clISt17integral_constantIbLb1EES1A_EEDaS15_S16_EUlS15_E_NS1_11comp_targetILNS1_3genE4ELNS1_11target_archE910ELNS1_3gpuE8ELNS1_3repE0EEENS1_30default_config_static_selectorELNS0_4arch9wavefront6targetE1EEEvT1_.has_recursion, 0
	.set _ZN7rocprim17ROCPRIM_400000_NS6detail17trampoline_kernelINS0_14default_configENS1_25partition_config_selectorILNS1_17partition_subalgoE9EllbEEZZNS1_14partition_implILS5_9ELb0ES3_jPlS8_PNS0_10empty_typeENS0_5tupleIJS8_S9_EEENSB_IJS8_SA_EEENS0_18inequality_wrapperIZN2at6native12_GLOBAL__N_124unique_dim_cuda_templateIlEESt5tupleIJNSF_6TensorESK_SK_EERKSK_lbbbEUlllE0_EEPmJS9_EEE10hipError_tPvRmT3_T4_T5_T6_T7_T9_mT8_P12ihipStream_tbDpT10_ENKUlT_T0_E_clISt17integral_constantIbLb1EES1A_EEDaS15_S16_EUlS15_E_NS1_11comp_targetILNS1_3genE4ELNS1_11target_archE910ELNS1_3gpuE8ELNS1_3repE0EEENS1_30default_config_static_selectorELNS0_4arch9wavefront6targetE1EEEvT1_.has_indirect_call, 0
	.section	.AMDGPU.csdata,"",@progbits
; Kernel info:
; codeLenInByte = 0
; TotalNumSgprs: 6
; NumVgprs: 0
; NumAgprs: 0
; TotalNumVgprs: 0
; ScratchSize: 0
; MemoryBound: 0
; FloatMode: 240
; IeeeMode: 1
; LDSByteSize: 0 bytes/workgroup (compile time only)
; SGPRBlocks: 0
; VGPRBlocks: 0
; NumSGPRsForWavesPerEU: 6
; NumVGPRsForWavesPerEU: 1
; AccumOffset: 4
; Occupancy: 8
; WaveLimiterHint : 0
; COMPUTE_PGM_RSRC2:SCRATCH_EN: 0
; COMPUTE_PGM_RSRC2:USER_SGPR: 2
; COMPUTE_PGM_RSRC2:TRAP_HANDLER: 0
; COMPUTE_PGM_RSRC2:TGID_X_EN: 1
; COMPUTE_PGM_RSRC2:TGID_Y_EN: 0
; COMPUTE_PGM_RSRC2:TGID_Z_EN: 0
; COMPUTE_PGM_RSRC2:TIDIG_COMP_CNT: 0
; COMPUTE_PGM_RSRC3_GFX90A:ACCUM_OFFSET: 0
; COMPUTE_PGM_RSRC3_GFX90A:TG_SPLIT: 0
	.section	.text._ZN7rocprim17ROCPRIM_400000_NS6detail17trampoline_kernelINS0_14default_configENS1_25partition_config_selectorILNS1_17partition_subalgoE9EllbEEZZNS1_14partition_implILS5_9ELb0ES3_jPlS8_PNS0_10empty_typeENS0_5tupleIJS8_S9_EEENSB_IJS8_SA_EEENS0_18inequality_wrapperIZN2at6native12_GLOBAL__N_124unique_dim_cuda_templateIlEESt5tupleIJNSF_6TensorESK_SK_EERKSK_lbbbEUlllE0_EEPmJS9_EEE10hipError_tPvRmT3_T4_T5_T6_T7_T9_mT8_P12ihipStream_tbDpT10_ENKUlT_T0_E_clISt17integral_constantIbLb1EES1A_EEDaS15_S16_EUlS15_E_NS1_11comp_targetILNS1_3genE3ELNS1_11target_archE908ELNS1_3gpuE7ELNS1_3repE0EEENS1_30default_config_static_selectorELNS0_4arch9wavefront6targetE1EEEvT1_,"axG",@progbits,_ZN7rocprim17ROCPRIM_400000_NS6detail17trampoline_kernelINS0_14default_configENS1_25partition_config_selectorILNS1_17partition_subalgoE9EllbEEZZNS1_14partition_implILS5_9ELb0ES3_jPlS8_PNS0_10empty_typeENS0_5tupleIJS8_S9_EEENSB_IJS8_SA_EEENS0_18inequality_wrapperIZN2at6native12_GLOBAL__N_124unique_dim_cuda_templateIlEESt5tupleIJNSF_6TensorESK_SK_EERKSK_lbbbEUlllE0_EEPmJS9_EEE10hipError_tPvRmT3_T4_T5_T6_T7_T9_mT8_P12ihipStream_tbDpT10_ENKUlT_T0_E_clISt17integral_constantIbLb1EES1A_EEDaS15_S16_EUlS15_E_NS1_11comp_targetILNS1_3genE3ELNS1_11target_archE908ELNS1_3gpuE7ELNS1_3repE0EEENS1_30default_config_static_selectorELNS0_4arch9wavefront6targetE1EEEvT1_,comdat
	.globl	_ZN7rocprim17ROCPRIM_400000_NS6detail17trampoline_kernelINS0_14default_configENS1_25partition_config_selectorILNS1_17partition_subalgoE9EllbEEZZNS1_14partition_implILS5_9ELb0ES3_jPlS8_PNS0_10empty_typeENS0_5tupleIJS8_S9_EEENSB_IJS8_SA_EEENS0_18inequality_wrapperIZN2at6native12_GLOBAL__N_124unique_dim_cuda_templateIlEESt5tupleIJNSF_6TensorESK_SK_EERKSK_lbbbEUlllE0_EEPmJS9_EEE10hipError_tPvRmT3_T4_T5_T6_T7_T9_mT8_P12ihipStream_tbDpT10_ENKUlT_T0_E_clISt17integral_constantIbLb1EES1A_EEDaS15_S16_EUlS15_E_NS1_11comp_targetILNS1_3genE3ELNS1_11target_archE908ELNS1_3gpuE7ELNS1_3repE0EEENS1_30default_config_static_selectorELNS0_4arch9wavefront6targetE1EEEvT1_ ; -- Begin function _ZN7rocprim17ROCPRIM_400000_NS6detail17trampoline_kernelINS0_14default_configENS1_25partition_config_selectorILNS1_17partition_subalgoE9EllbEEZZNS1_14partition_implILS5_9ELb0ES3_jPlS8_PNS0_10empty_typeENS0_5tupleIJS8_S9_EEENSB_IJS8_SA_EEENS0_18inequality_wrapperIZN2at6native12_GLOBAL__N_124unique_dim_cuda_templateIlEESt5tupleIJNSF_6TensorESK_SK_EERKSK_lbbbEUlllE0_EEPmJS9_EEE10hipError_tPvRmT3_T4_T5_T6_T7_T9_mT8_P12ihipStream_tbDpT10_ENKUlT_T0_E_clISt17integral_constantIbLb1EES1A_EEDaS15_S16_EUlS15_E_NS1_11comp_targetILNS1_3genE3ELNS1_11target_archE908ELNS1_3gpuE7ELNS1_3repE0EEENS1_30default_config_static_selectorELNS0_4arch9wavefront6targetE1EEEvT1_
	.p2align	8
	.type	_ZN7rocprim17ROCPRIM_400000_NS6detail17trampoline_kernelINS0_14default_configENS1_25partition_config_selectorILNS1_17partition_subalgoE9EllbEEZZNS1_14partition_implILS5_9ELb0ES3_jPlS8_PNS0_10empty_typeENS0_5tupleIJS8_S9_EEENSB_IJS8_SA_EEENS0_18inequality_wrapperIZN2at6native12_GLOBAL__N_124unique_dim_cuda_templateIlEESt5tupleIJNSF_6TensorESK_SK_EERKSK_lbbbEUlllE0_EEPmJS9_EEE10hipError_tPvRmT3_T4_T5_T6_T7_T9_mT8_P12ihipStream_tbDpT10_ENKUlT_T0_E_clISt17integral_constantIbLb1EES1A_EEDaS15_S16_EUlS15_E_NS1_11comp_targetILNS1_3genE3ELNS1_11target_archE908ELNS1_3gpuE7ELNS1_3repE0EEENS1_30default_config_static_selectorELNS0_4arch9wavefront6targetE1EEEvT1_,@function
_ZN7rocprim17ROCPRIM_400000_NS6detail17trampoline_kernelINS0_14default_configENS1_25partition_config_selectorILNS1_17partition_subalgoE9EllbEEZZNS1_14partition_implILS5_9ELb0ES3_jPlS8_PNS0_10empty_typeENS0_5tupleIJS8_S9_EEENSB_IJS8_SA_EEENS0_18inequality_wrapperIZN2at6native12_GLOBAL__N_124unique_dim_cuda_templateIlEESt5tupleIJNSF_6TensorESK_SK_EERKSK_lbbbEUlllE0_EEPmJS9_EEE10hipError_tPvRmT3_T4_T5_T6_T7_T9_mT8_P12ihipStream_tbDpT10_ENKUlT_T0_E_clISt17integral_constantIbLb1EES1A_EEDaS15_S16_EUlS15_E_NS1_11comp_targetILNS1_3genE3ELNS1_11target_archE908ELNS1_3gpuE7ELNS1_3repE0EEENS1_30default_config_static_selectorELNS0_4arch9wavefront6targetE1EEEvT1_: ; @_ZN7rocprim17ROCPRIM_400000_NS6detail17trampoline_kernelINS0_14default_configENS1_25partition_config_selectorILNS1_17partition_subalgoE9EllbEEZZNS1_14partition_implILS5_9ELb0ES3_jPlS8_PNS0_10empty_typeENS0_5tupleIJS8_S9_EEENSB_IJS8_SA_EEENS0_18inequality_wrapperIZN2at6native12_GLOBAL__N_124unique_dim_cuda_templateIlEESt5tupleIJNSF_6TensorESK_SK_EERKSK_lbbbEUlllE0_EEPmJS9_EEE10hipError_tPvRmT3_T4_T5_T6_T7_T9_mT8_P12ihipStream_tbDpT10_ENKUlT_T0_E_clISt17integral_constantIbLb1EES1A_EEDaS15_S16_EUlS15_E_NS1_11comp_targetILNS1_3genE3ELNS1_11target_archE908ELNS1_3gpuE7ELNS1_3repE0EEENS1_30default_config_static_selectorELNS0_4arch9wavefront6targetE1EEEvT1_
; %bb.0:
	.section	.rodata,"a",@progbits
	.p2align	6, 0x0
	.amdhsa_kernel _ZN7rocprim17ROCPRIM_400000_NS6detail17trampoline_kernelINS0_14default_configENS1_25partition_config_selectorILNS1_17partition_subalgoE9EllbEEZZNS1_14partition_implILS5_9ELb0ES3_jPlS8_PNS0_10empty_typeENS0_5tupleIJS8_S9_EEENSB_IJS8_SA_EEENS0_18inequality_wrapperIZN2at6native12_GLOBAL__N_124unique_dim_cuda_templateIlEESt5tupleIJNSF_6TensorESK_SK_EERKSK_lbbbEUlllE0_EEPmJS9_EEE10hipError_tPvRmT3_T4_T5_T6_T7_T9_mT8_P12ihipStream_tbDpT10_ENKUlT_T0_E_clISt17integral_constantIbLb1EES1A_EEDaS15_S16_EUlS15_E_NS1_11comp_targetILNS1_3genE3ELNS1_11target_archE908ELNS1_3gpuE7ELNS1_3repE0EEENS1_30default_config_static_selectorELNS0_4arch9wavefront6targetE1EEEvT1_
		.amdhsa_group_segment_fixed_size 0
		.amdhsa_private_segment_fixed_size 0
		.amdhsa_kernarg_size 136
		.amdhsa_user_sgpr_count 2
		.amdhsa_user_sgpr_dispatch_ptr 0
		.amdhsa_user_sgpr_queue_ptr 0
		.amdhsa_user_sgpr_kernarg_segment_ptr 1
		.amdhsa_user_sgpr_dispatch_id 0
		.amdhsa_user_sgpr_kernarg_preload_length 0
		.amdhsa_user_sgpr_kernarg_preload_offset 0
		.amdhsa_user_sgpr_private_segment_size 0
		.amdhsa_uses_dynamic_stack 0
		.amdhsa_enable_private_segment 0
		.amdhsa_system_sgpr_workgroup_id_x 1
		.amdhsa_system_sgpr_workgroup_id_y 0
		.amdhsa_system_sgpr_workgroup_id_z 0
		.amdhsa_system_sgpr_workgroup_info 0
		.amdhsa_system_vgpr_workitem_id 0
		.amdhsa_next_free_vgpr 1
		.amdhsa_next_free_sgpr 0
		.amdhsa_accum_offset 4
		.amdhsa_reserve_vcc 0
		.amdhsa_float_round_mode_32 0
		.amdhsa_float_round_mode_16_64 0
		.amdhsa_float_denorm_mode_32 3
		.amdhsa_float_denorm_mode_16_64 3
		.amdhsa_dx10_clamp 1
		.amdhsa_ieee_mode 1
		.amdhsa_fp16_overflow 0
		.amdhsa_tg_split 0
		.amdhsa_exception_fp_ieee_invalid_op 0
		.amdhsa_exception_fp_denorm_src 0
		.amdhsa_exception_fp_ieee_div_zero 0
		.amdhsa_exception_fp_ieee_overflow 0
		.amdhsa_exception_fp_ieee_underflow 0
		.amdhsa_exception_fp_ieee_inexact 0
		.amdhsa_exception_int_div_zero 0
	.end_amdhsa_kernel
	.section	.text._ZN7rocprim17ROCPRIM_400000_NS6detail17trampoline_kernelINS0_14default_configENS1_25partition_config_selectorILNS1_17partition_subalgoE9EllbEEZZNS1_14partition_implILS5_9ELb0ES3_jPlS8_PNS0_10empty_typeENS0_5tupleIJS8_S9_EEENSB_IJS8_SA_EEENS0_18inequality_wrapperIZN2at6native12_GLOBAL__N_124unique_dim_cuda_templateIlEESt5tupleIJNSF_6TensorESK_SK_EERKSK_lbbbEUlllE0_EEPmJS9_EEE10hipError_tPvRmT3_T4_T5_T6_T7_T9_mT8_P12ihipStream_tbDpT10_ENKUlT_T0_E_clISt17integral_constantIbLb1EES1A_EEDaS15_S16_EUlS15_E_NS1_11comp_targetILNS1_3genE3ELNS1_11target_archE908ELNS1_3gpuE7ELNS1_3repE0EEENS1_30default_config_static_selectorELNS0_4arch9wavefront6targetE1EEEvT1_,"axG",@progbits,_ZN7rocprim17ROCPRIM_400000_NS6detail17trampoline_kernelINS0_14default_configENS1_25partition_config_selectorILNS1_17partition_subalgoE9EllbEEZZNS1_14partition_implILS5_9ELb0ES3_jPlS8_PNS0_10empty_typeENS0_5tupleIJS8_S9_EEENSB_IJS8_SA_EEENS0_18inequality_wrapperIZN2at6native12_GLOBAL__N_124unique_dim_cuda_templateIlEESt5tupleIJNSF_6TensorESK_SK_EERKSK_lbbbEUlllE0_EEPmJS9_EEE10hipError_tPvRmT3_T4_T5_T6_T7_T9_mT8_P12ihipStream_tbDpT10_ENKUlT_T0_E_clISt17integral_constantIbLb1EES1A_EEDaS15_S16_EUlS15_E_NS1_11comp_targetILNS1_3genE3ELNS1_11target_archE908ELNS1_3gpuE7ELNS1_3repE0EEENS1_30default_config_static_selectorELNS0_4arch9wavefront6targetE1EEEvT1_,comdat
.Lfunc_end606:
	.size	_ZN7rocprim17ROCPRIM_400000_NS6detail17trampoline_kernelINS0_14default_configENS1_25partition_config_selectorILNS1_17partition_subalgoE9EllbEEZZNS1_14partition_implILS5_9ELb0ES3_jPlS8_PNS0_10empty_typeENS0_5tupleIJS8_S9_EEENSB_IJS8_SA_EEENS0_18inequality_wrapperIZN2at6native12_GLOBAL__N_124unique_dim_cuda_templateIlEESt5tupleIJNSF_6TensorESK_SK_EERKSK_lbbbEUlllE0_EEPmJS9_EEE10hipError_tPvRmT3_T4_T5_T6_T7_T9_mT8_P12ihipStream_tbDpT10_ENKUlT_T0_E_clISt17integral_constantIbLb1EES1A_EEDaS15_S16_EUlS15_E_NS1_11comp_targetILNS1_3genE3ELNS1_11target_archE908ELNS1_3gpuE7ELNS1_3repE0EEENS1_30default_config_static_selectorELNS0_4arch9wavefront6targetE1EEEvT1_, .Lfunc_end606-_ZN7rocprim17ROCPRIM_400000_NS6detail17trampoline_kernelINS0_14default_configENS1_25partition_config_selectorILNS1_17partition_subalgoE9EllbEEZZNS1_14partition_implILS5_9ELb0ES3_jPlS8_PNS0_10empty_typeENS0_5tupleIJS8_S9_EEENSB_IJS8_SA_EEENS0_18inequality_wrapperIZN2at6native12_GLOBAL__N_124unique_dim_cuda_templateIlEESt5tupleIJNSF_6TensorESK_SK_EERKSK_lbbbEUlllE0_EEPmJS9_EEE10hipError_tPvRmT3_T4_T5_T6_T7_T9_mT8_P12ihipStream_tbDpT10_ENKUlT_T0_E_clISt17integral_constantIbLb1EES1A_EEDaS15_S16_EUlS15_E_NS1_11comp_targetILNS1_3genE3ELNS1_11target_archE908ELNS1_3gpuE7ELNS1_3repE0EEENS1_30default_config_static_selectorELNS0_4arch9wavefront6targetE1EEEvT1_
                                        ; -- End function
	.set _ZN7rocprim17ROCPRIM_400000_NS6detail17trampoline_kernelINS0_14default_configENS1_25partition_config_selectorILNS1_17partition_subalgoE9EllbEEZZNS1_14partition_implILS5_9ELb0ES3_jPlS8_PNS0_10empty_typeENS0_5tupleIJS8_S9_EEENSB_IJS8_SA_EEENS0_18inequality_wrapperIZN2at6native12_GLOBAL__N_124unique_dim_cuda_templateIlEESt5tupleIJNSF_6TensorESK_SK_EERKSK_lbbbEUlllE0_EEPmJS9_EEE10hipError_tPvRmT3_T4_T5_T6_T7_T9_mT8_P12ihipStream_tbDpT10_ENKUlT_T0_E_clISt17integral_constantIbLb1EES1A_EEDaS15_S16_EUlS15_E_NS1_11comp_targetILNS1_3genE3ELNS1_11target_archE908ELNS1_3gpuE7ELNS1_3repE0EEENS1_30default_config_static_selectorELNS0_4arch9wavefront6targetE1EEEvT1_.num_vgpr, 0
	.set _ZN7rocprim17ROCPRIM_400000_NS6detail17trampoline_kernelINS0_14default_configENS1_25partition_config_selectorILNS1_17partition_subalgoE9EllbEEZZNS1_14partition_implILS5_9ELb0ES3_jPlS8_PNS0_10empty_typeENS0_5tupleIJS8_S9_EEENSB_IJS8_SA_EEENS0_18inequality_wrapperIZN2at6native12_GLOBAL__N_124unique_dim_cuda_templateIlEESt5tupleIJNSF_6TensorESK_SK_EERKSK_lbbbEUlllE0_EEPmJS9_EEE10hipError_tPvRmT3_T4_T5_T6_T7_T9_mT8_P12ihipStream_tbDpT10_ENKUlT_T0_E_clISt17integral_constantIbLb1EES1A_EEDaS15_S16_EUlS15_E_NS1_11comp_targetILNS1_3genE3ELNS1_11target_archE908ELNS1_3gpuE7ELNS1_3repE0EEENS1_30default_config_static_selectorELNS0_4arch9wavefront6targetE1EEEvT1_.num_agpr, 0
	.set _ZN7rocprim17ROCPRIM_400000_NS6detail17trampoline_kernelINS0_14default_configENS1_25partition_config_selectorILNS1_17partition_subalgoE9EllbEEZZNS1_14partition_implILS5_9ELb0ES3_jPlS8_PNS0_10empty_typeENS0_5tupleIJS8_S9_EEENSB_IJS8_SA_EEENS0_18inequality_wrapperIZN2at6native12_GLOBAL__N_124unique_dim_cuda_templateIlEESt5tupleIJNSF_6TensorESK_SK_EERKSK_lbbbEUlllE0_EEPmJS9_EEE10hipError_tPvRmT3_T4_T5_T6_T7_T9_mT8_P12ihipStream_tbDpT10_ENKUlT_T0_E_clISt17integral_constantIbLb1EES1A_EEDaS15_S16_EUlS15_E_NS1_11comp_targetILNS1_3genE3ELNS1_11target_archE908ELNS1_3gpuE7ELNS1_3repE0EEENS1_30default_config_static_selectorELNS0_4arch9wavefront6targetE1EEEvT1_.numbered_sgpr, 0
	.set _ZN7rocprim17ROCPRIM_400000_NS6detail17trampoline_kernelINS0_14default_configENS1_25partition_config_selectorILNS1_17partition_subalgoE9EllbEEZZNS1_14partition_implILS5_9ELb0ES3_jPlS8_PNS0_10empty_typeENS0_5tupleIJS8_S9_EEENSB_IJS8_SA_EEENS0_18inequality_wrapperIZN2at6native12_GLOBAL__N_124unique_dim_cuda_templateIlEESt5tupleIJNSF_6TensorESK_SK_EERKSK_lbbbEUlllE0_EEPmJS9_EEE10hipError_tPvRmT3_T4_T5_T6_T7_T9_mT8_P12ihipStream_tbDpT10_ENKUlT_T0_E_clISt17integral_constantIbLb1EES1A_EEDaS15_S16_EUlS15_E_NS1_11comp_targetILNS1_3genE3ELNS1_11target_archE908ELNS1_3gpuE7ELNS1_3repE0EEENS1_30default_config_static_selectorELNS0_4arch9wavefront6targetE1EEEvT1_.num_named_barrier, 0
	.set _ZN7rocprim17ROCPRIM_400000_NS6detail17trampoline_kernelINS0_14default_configENS1_25partition_config_selectorILNS1_17partition_subalgoE9EllbEEZZNS1_14partition_implILS5_9ELb0ES3_jPlS8_PNS0_10empty_typeENS0_5tupleIJS8_S9_EEENSB_IJS8_SA_EEENS0_18inequality_wrapperIZN2at6native12_GLOBAL__N_124unique_dim_cuda_templateIlEESt5tupleIJNSF_6TensorESK_SK_EERKSK_lbbbEUlllE0_EEPmJS9_EEE10hipError_tPvRmT3_T4_T5_T6_T7_T9_mT8_P12ihipStream_tbDpT10_ENKUlT_T0_E_clISt17integral_constantIbLb1EES1A_EEDaS15_S16_EUlS15_E_NS1_11comp_targetILNS1_3genE3ELNS1_11target_archE908ELNS1_3gpuE7ELNS1_3repE0EEENS1_30default_config_static_selectorELNS0_4arch9wavefront6targetE1EEEvT1_.private_seg_size, 0
	.set _ZN7rocprim17ROCPRIM_400000_NS6detail17trampoline_kernelINS0_14default_configENS1_25partition_config_selectorILNS1_17partition_subalgoE9EllbEEZZNS1_14partition_implILS5_9ELb0ES3_jPlS8_PNS0_10empty_typeENS0_5tupleIJS8_S9_EEENSB_IJS8_SA_EEENS0_18inequality_wrapperIZN2at6native12_GLOBAL__N_124unique_dim_cuda_templateIlEESt5tupleIJNSF_6TensorESK_SK_EERKSK_lbbbEUlllE0_EEPmJS9_EEE10hipError_tPvRmT3_T4_T5_T6_T7_T9_mT8_P12ihipStream_tbDpT10_ENKUlT_T0_E_clISt17integral_constantIbLb1EES1A_EEDaS15_S16_EUlS15_E_NS1_11comp_targetILNS1_3genE3ELNS1_11target_archE908ELNS1_3gpuE7ELNS1_3repE0EEENS1_30default_config_static_selectorELNS0_4arch9wavefront6targetE1EEEvT1_.uses_vcc, 0
	.set _ZN7rocprim17ROCPRIM_400000_NS6detail17trampoline_kernelINS0_14default_configENS1_25partition_config_selectorILNS1_17partition_subalgoE9EllbEEZZNS1_14partition_implILS5_9ELb0ES3_jPlS8_PNS0_10empty_typeENS0_5tupleIJS8_S9_EEENSB_IJS8_SA_EEENS0_18inequality_wrapperIZN2at6native12_GLOBAL__N_124unique_dim_cuda_templateIlEESt5tupleIJNSF_6TensorESK_SK_EERKSK_lbbbEUlllE0_EEPmJS9_EEE10hipError_tPvRmT3_T4_T5_T6_T7_T9_mT8_P12ihipStream_tbDpT10_ENKUlT_T0_E_clISt17integral_constantIbLb1EES1A_EEDaS15_S16_EUlS15_E_NS1_11comp_targetILNS1_3genE3ELNS1_11target_archE908ELNS1_3gpuE7ELNS1_3repE0EEENS1_30default_config_static_selectorELNS0_4arch9wavefront6targetE1EEEvT1_.uses_flat_scratch, 0
	.set _ZN7rocprim17ROCPRIM_400000_NS6detail17trampoline_kernelINS0_14default_configENS1_25partition_config_selectorILNS1_17partition_subalgoE9EllbEEZZNS1_14partition_implILS5_9ELb0ES3_jPlS8_PNS0_10empty_typeENS0_5tupleIJS8_S9_EEENSB_IJS8_SA_EEENS0_18inequality_wrapperIZN2at6native12_GLOBAL__N_124unique_dim_cuda_templateIlEESt5tupleIJNSF_6TensorESK_SK_EERKSK_lbbbEUlllE0_EEPmJS9_EEE10hipError_tPvRmT3_T4_T5_T6_T7_T9_mT8_P12ihipStream_tbDpT10_ENKUlT_T0_E_clISt17integral_constantIbLb1EES1A_EEDaS15_S16_EUlS15_E_NS1_11comp_targetILNS1_3genE3ELNS1_11target_archE908ELNS1_3gpuE7ELNS1_3repE0EEENS1_30default_config_static_selectorELNS0_4arch9wavefront6targetE1EEEvT1_.has_dyn_sized_stack, 0
	.set _ZN7rocprim17ROCPRIM_400000_NS6detail17trampoline_kernelINS0_14default_configENS1_25partition_config_selectorILNS1_17partition_subalgoE9EllbEEZZNS1_14partition_implILS5_9ELb0ES3_jPlS8_PNS0_10empty_typeENS0_5tupleIJS8_S9_EEENSB_IJS8_SA_EEENS0_18inequality_wrapperIZN2at6native12_GLOBAL__N_124unique_dim_cuda_templateIlEESt5tupleIJNSF_6TensorESK_SK_EERKSK_lbbbEUlllE0_EEPmJS9_EEE10hipError_tPvRmT3_T4_T5_T6_T7_T9_mT8_P12ihipStream_tbDpT10_ENKUlT_T0_E_clISt17integral_constantIbLb1EES1A_EEDaS15_S16_EUlS15_E_NS1_11comp_targetILNS1_3genE3ELNS1_11target_archE908ELNS1_3gpuE7ELNS1_3repE0EEENS1_30default_config_static_selectorELNS0_4arch9wavefront6targetE1EEEvT1_.has_recursion, 0
	.set _ZN7rocprim17ROCPRIM_400000_NS6detail17trampoline_kernelINS0_14default_configENS1_25partition_config_selectorILNS1_17partition_subalgoE9EllbEEZZNS1_14partition_implILS5_9ELb0ES3_jPlS8_PNS0_10empty_typeENS0_5tupleIJS8_S9_EEENSB_IJS8_SA_EEENS0_18inequality_wrapperIZN2at6native12_GLOBAL__N_124unique_dim_cuda_templateIlEESt5tupleIJNSF_6TensorESK_SK_EERKSK_lbbbEUlllE0_EEPmJS9_EEE10hipError_tPvRmT3_T4_T5_T6_T7_T9_mT8_P12ihipStream_tbDpT10_ENKUlT_T0_E_clISt17integral_constantIbLb1EES1A_EEDaS15_S16_EUlS15_E_NS1_11comp_targetILNS1_3genE3ELNS1_11target_archE908ELNS1_3gpuE7ELNS1_3repE0EEENS1_30default_config_static_selectorELNS0_4arch9wavefront6targetE1EEEvT1_.has_indirect_call, 0
	.section	.AMDGPU.csdata,"",@progbits
; Kernel info:
; codeLenInByte = 0
; TotalNumSgprs: 6
; NumVgprs: 0
; NumAgprs: 0
; TotalNumVgprs: 0
; ScratchSize: 0
; MemoryBound: 0
; FloatMode: 240
; IeeeMode: 1
; LDSByteSize: 0 bytes/workgroup (compile time only)
; SGPRBlocks: 0
; VGPRBlocks: 0
; NumSGPRsForWavesPerEU: 6
; NumVGPRsForWavesPerEU: 1
; AccumOffset: 4
; Occupancy: 8
; WaveLimiterHint : 0
; COMPUTE_PGM_RSRC2:SCRATCH_EN: 0
; COMPUTE_PGM_RSRC2:USER_SGPR: 2
; COMPUTE_PGM_RSRC2:TRAP_HANDLER: 0
; COMPUTE_PGM_RSRC2:TGID_X_EN: 1
; COMPUTE_PGM_RSRC2:TGID_Y_EN: 0
; COMPUTE_PGM_RSRC2:TGID_Z_EN: 0
; COMPUTE_PGM_RSRC2:TIDIG_COMP_CNT: 0
; COMPUTE_PGM_RSRC3_GFX90A:ACCUM_OFFSET: 0
; COMPUTE_PGM_RSRC3_GFX90A:TG_SPLIT: 0
	.section	.text._ZN7rocprim17ROCPRIM_400000_NS6detail17trampoline_kernelINS0_14default_configENS1_25partition_config_selectorILNS1_17partition_subalgoE9EllbEEZZNS1_14partition_implILS5_9ELb0ES3_jPlS8_PNS0_10empty_typeENS0_5tupleIJS8_S9_EEENSB_IJS8_SA_EEENS0_18inequality_wrapperIZN2at6native12_GLOBAL__N_124unique_dim_cuda_templateIlEESt5tupleIJNSF_6TensorESK_SK_EERKSK_lbbbEUlllE0_EEPmJS9_EEE10hipError_tPvRmT3_T4_T5_T6_T7_T9_mT8_P12ihipStream_tbDpT10_ENKUlT_T0_E_clISt17integral_constantIbLb1EES1A_EEDaS15_S16_EUlS15_E_NS1_11comp_targetILNS1_3genE2ELNS1_11target_archE906ELNS1_3gpuE6ELNS1_3repE0EEENS1_30default_config_static_selectorELNS0_4arch9wavefront6targetE1EEEvT1_,"axG",@progbits,_ZN7rocprim17ROCPRIM_400000_NS6detail17trampoline_kernelINS0_14default_configENS1_25partition_config_selectorILNS1_17partition_subalgoE9EllbEEZZNS1_14partition_implILS5_9ELb0ES3_jPlS8_PNS0_10empty_typeENS0_5tupleIJS8_S9_EEENSB_IJS8_SA_EEENS0_18inequality_wrapperIZN2at6native12_GLOBAL__N_124unique_dim_cuda_templateIlEESt5tupleIJNSF_6TensorESK_SK_EERKSK_lbbbEUlllE0_EEPmJS9_EEE10hipError_tPvRmT3_T4_T5_T6_T7_T9_mT8_P12ihipStream_tbDpT10_ENKUlT_T0_E_clISt17integral_constantIbLb1EES1A_EEDaS15_S16_EUlS15_E_NS1_11comp_targetILNS1_3genE2ELNS1_11target_archE906ELNS1_3gpuE6ELNS1_3repE0EEENS1_30default_config_static_selectorELNS0_4arch9wavefront6targetE1EEEvT1_,comdat
	.globl	_ZN7rocprim17ROCPRIM_400000_NS6detail17trampoline_kernelINS0_14default_configENS1_25partition_config_selectorILNS1_17partition_subalgoE9EllbEEZZNS1_14partition_implILS5_9ELb0ES3_jPlS8_PNS0_10empty_typeENS0_5tupleIJS8_S9_EEENSB_IJS8_SA_EEENS0_18inequality_wrapperIZN2at6native12_GLOBAL__N_124unique_dim_cuda_templateIlEESt5tupleIJNSF_6TensorESK_SK_EERKSK_lbbbEUlllE0_EEPmJS9_EEE10hipError_tPvRmT3_T4_T5_T6_T7_T9_mT8_P12ihipStream_tbDpT10_ENKUlT_T0_E_clISt17integral_constantIbLb1EES1A_EEDaS15_S16_EUlS15_E_NS1_11comp_targetILNS1_3genE2ELNS1_11target_archE906ELNS1_3gpuE6ELNS1_3repE0EEENS1_30default_config_static_selectorELNS0_4arch9wavefront6targetE1EEEvT1_ ; -- Begin function _ZN7rocprim17ROCPRIM_400000_NS6detail17trampoline_kernelINS0_14default_configENS1_25partition_config_selectorILNS1_17partition_subalgoE9EllbEEZZNS1_14partition_implILS5_9ELb0ES3_jPlS8_PNS0_10empty_typeENS0_5tupleIJS8_S9_EEENSB_IJS8_SA_EEENS0_18inequality_wrapperIZN2at6native12_GLOBAL__N_124unique_dim_cuda_templateIlEESt5tupleIJNSF_6TensorESK_SK_EERKSK_lbbbEUlllE0_EEPmJS9_EEE10hipError_tPvRmT3_T4_T5_T6_T7_T9_mT8_P12ihipStream_tbDpT10_ENKUlT_T0_E_clISt17integral_constantIbLb1EES1A_EEDaS15_S16_EUlS15_E_NS1_11comp_targetILNS1_3genE2ELNS1_11target_archE906ELNS1_3gpuE6ELNS1_3repE0EEENS1_30default_config_static_selectorELNS0_4arch9wavefront6targetE1EEEvT1_
	.p2align	8
	.type	_ZN7rocprim17ROCPRIM_400000_NS6detail17trampoline_kernelINS0_14default_configENS1_25partition_config_selectorILNS1_17partition_subalgoE9EllbEEZZNS1_14partition_implILS5_9ELb0ES3_jPlS8_PNS0_10empty_typeENS0_5tupleIJS8_S9_EEENSB_IJS8_SA_EEENS0_18inequality_wrapperIZN2at6native12_GLOBAL__N_124unique_dim_cuda_templateIlEESt5tupleIJNSF_6TensorESK_SK_EERKSK_lbbbEUlllE0_EEPmJS9_EEE10hipError_tPvRmT3_T4_T5_T6_T7_T9_mT8_P12ihipStream_tbDpT10_ENKUlT_T0_E_clISt17integral_constantIbLb1EES1A_EEDaS15_S16_EUlS15_E_NS1_11comp_targetILNS1_3genE2ELNS1_11target_archE906ELNS1_3gpuE6ELNS1_3repE0EEENS1_30default_config_static_selectorELNS0_4arch9wavefront6targetE1EEEvT1_,@function
_ZN7rocprim17ROCPRIM_400000_NS6detail17trampoline_kernelINS0_14default_configENS1_25partition_config_selectorILNS1_17partition_subalgoE9EllbEEZZNS1_14partition_implILS5_9ELb0ES3_jPlS8_PNS0_10empty_typeENS0_5tupleIJS8_S9_EEENSB_IJS8_SA_EEENS0_18inequality_wrapperIZN2at6native12_GLOBAL__N_124unique_dim_cuda_templateIlEESt5tupleIJNSF_6TensorESK_SK_EERKSK_lbbbEUlllE0_EEPmJS9_EEE10hipError_tPvRmT3_T4_T5_T6_T7_T9_mT8_P12ihipStream_tbDpT10_ENKUlT_T0_E_clISt17integral_constantIbLb1EES1A_EEDaS15_S16_EUlS15_E_NS1_11comp_targetILNS1_3genE2ELNS1_11target_archE906ELNS1_3gpuE6ELNS1_3repE0EEENS1_30default_config_static_selectorELNS0_4arch9wavefront6targetE1EEEvT1_: ; @_ZN7rocprim17ROCPRIM_400000_NS6detail17trampoline_kernelINS0_14default_configENS1_25partition_config_selectorILNS1_17partition_subalgoE9EllbEEZZNS1_14partition_implILS5_9ELb0ES3_jPlS8_PNS0_10empty_typeENS0_5tupleIJS8_S9_EEENSB_IJS8_SA_EEENS0_18inequality_wrapperIZN2at6native12_GLOBAL__N_124unique_dim_cuda_templateIlEESt5tupleIJNSF_6TensorESK_SK_EERKSK_lbbbEUlllE0_EEPmJS9_EEE10hipError_tPvRmT3_T4_T5_T6_T7_T9_mT8_P12ihipStream_tbDpT10_ENKUlT_T0_E_clISt17integral_constantIbLb1EES1A_EEDaS15_S16_EUlS15_E_NS1_11comp_targetILNS1_3genE2ELNS1_11target_archE906ELNS1_3gpuE6ELNS1_3repE0EEENS1_30default_config_static_selectorELNS0_4arch9wavefront6targetE1EEEvT1_
; %bb.0:
	.section	.rodata,"a",@progbits
	.p2align	6, 0x0
	.amdhsa_kernel _ZN7rocprim17ROCPRIM_400000_NS6detail17trampoline_kernelINS0_14default_configENS1_25partition_config_selectorILNS1_17partition_subalgoE9EllbEEZZNS1_14partition_implILS5_9ELb0ES3_jPlS8_PNS0_10empty_typeENS0_5tupleIJS8_S9_EEENSB_IJS8_SA_EEENS0_18inequality_wrapperIZN2at6native12_GLOBAL__N_124unique_dim_cuda_templateIlEESt5tupleIJNSF_6TensorESK_SK_EERKSK_lbbbEUlllE0_EEPmJS9_EEE10hipError_tPvRmT3_T4_T5_T6_T7_T9_mT8_P12ihipStream_tbDpT10_ENKUlT_T0_E_clISt17integral_constantIbLb1EES1A_EEDaS15_S16_EUlS15_E_NS1_11comp_targetILNS1_3genE2ELNS1_11target_archE906ELNS1_3gpuE6ELNS1_3repE0EEENS1_30default_config_static_selectorELNS0_4arch9wavefront6targetE1EEEvT1_
		.amdhsa_group_segment_fixed_size 0
		.amdhsa_private_segment_fixed_size 0
		.amdhsa_kernarg_size 136
		.amdhsa_user_sgpr_count 2
		.amdhsa_user_sgpr_dispatch_ptr 0
		.amdhsa_user_sgpr_queue_ptr 0
		.amdhsa_user_sgpr_kernarg_segment_ptr 1
		.amdhsa_user_sgpr_dispatch_id 0
		.amdhsa_user_sgpr_kernarg_preload_length 0
		.amdhsa_user_sgpr_kernarg_preload_offset 0
		.amdhsa_user_sgpr_private_segment_size 0
		.amdhsa_uses_dynamic_stack 0
		.amdhsa_enable_private_segment 0
		.amdhsa_system_sgpr_workgroup_id_x 1
		.amdhsa_system_sgpr_workgroup_id_y 0
		.amdhsa_system_sgpr_workgroup_id_z 0
		.amdhsa_system_sgpr_workgroup_info 0
		.amdhsa_system_vgpr_workitem_id 0
		.amdhsa_next_free_vgpr 1
		.amdhsa_next_free_sgpr 0
		.amdhsa_accum_offset 4
		.amdhsa_reserve_vcc 0
		.amdhsa_float_round_mode_32 0
		.amdhsa_float_round_mode_16_64 0
		.amdhsa_float_denorm_mode_32 3
		.amdhsa_float_denorm_mode_16_64 3
		.amdhsa_dx10_clamp 1
		.amdhsa_ieee_mode 1
		.amdhsa_fp16_overflow 0
		.amdhsa_tg_split 0
		.amdhsa_exception_fp_ieee_invalid_op 0
		.amdhsa_exception_fp_denorm_src 0
		.amdhsa_exception_fp_ieee_div_zero 0
		.amdhsa_exception_fp_ieee_overflow 0
		.amdhsa_exception_fp_ieee_underflow 0
		.amdhsa_exception_fp_ieee_inexact 0
		.amdhsa_exception_int_div_zero 0
	.end_amdhsa_kernel
	.section	.text._ZN7rocprim17ROCPRIM_400000_NS6detail17trampoline_kernelINS0_14default_configENS1_25partition_config_selectorILNS1_17partition_subalgoE9EllbEEZZNS1_14partition_implILS5_9ELb0ES3_jPlS8_PNS0_10empty_typeENS0_5tupleIJS8_S9_EEENSB_IJS8_SA_EEENS0_18inequality_wrapperIZN2at6native12_GLOBAL__N_124unique_dim_cuda_templateIlEESt5tupleIJNSF_6TensorESK_SK_EERKSK_lbbbEUlllE0_EEPmJS9_EEE10hipError_tPvRmT3_T4_T5_T6_T7_T9_mT8_P12ihipStream_tbDpT10_ENKUlT_T0_E_clISt17integral_constantIbLb1EES1A_EEDaS15_S16_EUlS15_E_NS1_11comp_targetILNS1_3genE2ELNS1_11target_archE906ELNS1_3gpuE6ELNS1_3repE0EEENS1_30default_config_static_selectorELNS0_4arch9wavefront6targetE1EEEvT1_,"axG",@progbits,_ZN7rocprim17ROCPRIM_400000_NS6detail17trampoline_kernelINS0_14default_configENS1_25partition_config_selectorILNS1_17partition_subalgoE9EllbEEZZNS1_14partition_implILS5_9ELb0ES3_jPlS8_PNS0_10empty_typeENS0_5tupleIJS8_S9_EEENSB_IJS8_SA_EEENS0_18inequality_wrapperIZN2at6native12_GLOBAL__N_124unique_dim_cuda_templateIlEESt5tupleIJNSF_6TensorESK_SK_EERKSK_lbbbEUlllE0_EEPmJS9_EEE10hipError_tPvRmT3_T4_T5_T6_T7_T9_mT8_P12ihipStream_tbDpT10_ENKUlT_T0_E_clISt17integral_constantIbLb1EES1A_EEDaS15_S16_EUlS15_E_NS1_11comp_targetILNS1_3genE2ELNS1_11target_archE906ELNS1_3gpuE6ELNS1_3repE0EEENS1_30default_config_static_selectorELNS0_4arch9wavefront6targetE1EEEvT1_,comdat
.Lfunc_end607:
	.size	_ZN7rocprim17ROCPRIM_400000_NS6detail17trampoline_kernelINS0_14default_configENS1_25partition_config_selectorILNS1_17partition_subalgoE9EllbEEZZNS1_14partition_implILS5_9ELb0ES3_jPlS8_PNS0_10empty_typeENS0_5tupleIJS8_S9_EEENSB_IJS8_SA_EEENS0_18inequality_wrapperIZN2at6native12_GLOBAL__N_124unique_dim_cuda_templateIlEESt5tupleIJNSF_6TensorESK_SK_EERKSK_lbbbEUlllE0_EEPmJS9_EEE10hipError_tPvRmT3_T4_T5_T6_T7_T9_mT8_P12ihipStream_tbDpT10_ENKUlT_T0_E_clISt17integral_constantIbLb1EES1A_EEDaS15_S16_EUlS15_E_NS1_11comp_targetILNS1_3genE2ELNS1_11target_archE906ELNS1_3gpuE6ELNS1_3repE0EEENS1_30default_config_static_selectorELNS0_4arch9wavefront6targetE1EEEvT1_, .Lfunc_end607-_ZN7rocprim17ROCPRIM_400000_NS6detail17trampoline_kernelINS0_14default_configENS1_25partition_config_selectorILNS1_17partition_subalgoE9EllbEEZZNS1_14partition_implILS5_9ELb0ES3_jPlS8_PNS0_10empty_typeENS0_5tupleIJS8_S9_EEENSB_IJS8_SA_EEENS0_18inequality_wrapperIZN2at6native12_GLOBAL__N_124unique_dim_cuda_templateIlEESt5tupleIJNSF_6TensorESK_SK_EERKSK_lbbbEUlllE0_EEPmJS9_EEE10hipError_tPvRmT3_T4_T5_T6_T7_T9_mT8_P12ihipStream_tbDpT10_ENKUlT_T0_E_clISt17integral_constantIbLb1EES1A_EEDaS15_S16_EUlS15_E_NS1_11comp_targetILNS1_3genE2ELNS1_11target_archE906ELNS1_3gpuE6ELNS1_3repE0EEENS1_30default_config_static_selectorELNS0_4arch9wavefront6targetE1EEEvT1_
                                        ; -- End function
	.set _ZN7rocprim17ROCPRIM_400000_NS6detail17trampoline_kernelINS0_14default_configENS1_25partition_config_selectorILNS1_17partition_subalgoE9EllbEEZZNS1_14partition_implILS5_9ELb0ES3_jPlS8_PNS0_10empty_typeENS0_5tupleIJS8_S9_EEENSB_IJS8_SA_EEENS0_18inequality_wrapperIZN2at6native12_GLOBAL__N_124unique_dim_cuda_templateIlEESt5tupleIJNSF_6TensorESK_SK_EERKSK_lbbbEUlllE0_EEPmJS9_EEE10hipError_tPvRmT3_T4_T5_T6_T7_T9_mT8_P12ihipStream_tbDpT10_ENKUlT_T0_E_clISt17integral_constantIbLb1EES1A_EEDaS15_S16_EUlS15_E_NS1_11comp_targetILNS1_3genE2ELNS1_11target_archE906ELNS1_3gpuE6ELNS1_3repE0EEENS1_30default_config_static_selectorELNS0_4arch9wavefront6targetE1EEEvT1_.num_vgpr, 0
	.set _ZN7rocprim17ROCPRIM_400000_NS6detail17trampoline_kernelINS0_14default_configENS1_25partition_config_selectorILNS1_17partition_subalgoE9EllbEEZZNS1_14partition_implILS5_9ELb0ES3_jPlS8_PNS0_10empty_typeENS0_5tupleIJS8_S9_EEENSB_IJS8_SA_EEENS0_18inequality_wrapperIZN2at6native12_GLOBAL__N_124unique_dim_cuda_templateIlEESt5tupleIJNSF_6TensorESK_SK_EERKSK_lbbbEUlllE0_EEPmJS9_EEE10hipError_tPvRmT3_T4_T5_T6_T7_T9_mT8_P12ihipStream_tbDpT10_ENKUlT_T0_E_clISt17integral_constantIbLb1EES1A_EEDaS15_S16_EUlS15_E_NS1_11comp_targetILNS1_3genE2ELNS1_11target_archE906ELNS1_3gpuE6ELNS1_3repE0EEENS1_30default_config_static_selectorELNS0_4arch9wavefront6targetE1EEEvT1_.num_agpr, 0
	.set _ZN7rocprim17ROCPRIM_400000_NS6detail17trampoline_kernelINS0_14default_configENS1_25partition_config_selectorILNS1_17partition_subalgoE9EllbEEZZNS1_14partition_implILS5_9ELb0ES3_jPlS8_PNS0_10empty_typeENS0_5tupleIJS8_S9_EEENSB_IJS8_SA_EEENS0_18inequality_wrapperIZN2at6native12_GLOBAL__N_124unique_dim_cuda_templateIlEESt5tupleIJNSF_6TensorESK_SK_EERKSK_lbbbEUlllE0_EEPmJS9_EEE10hipError_tPvRmT3_T4_T5_T6_T7_T9_mT8_P12ihipStream_tbDpT10_ENKUlT_T0_E_clISt17integral_constantIbLb1EES1A_EEDaS15_S16_EUlS15_E_NS1_11comp_targetILNS1_3genE2ELNS1_11target_archE906ELNS1_3gpuE6ELNS1_3repE0EEENS1_30default_config_static_selectorELNS0_4arch9wavefront6targetE1EEEvT1_.numbered_sgpr, 0
	.set _ZN7rocprim17ROCPRIM_400000_NS6detail17trampoline_kernelINS0_14default_configENS1_25partition_config_selectorILNS1_17partition_subalgoE9EllbEEZZNS1_14partition_implILS5_9ELb0ES3_jPlS8_PNS0_10empty_typeENS0_5tupleIJS8_S9_EEENSB_IJS8_SA_EEENS0_18inequality_wrapperIZN2at6native12_GLOBAL__N_124unique_dim_cuda_templateIlEESt5tupleIJNSF_6TensorESK_SK_EERKSK_lbbbEUlllE0_EEPmJS9_EEE10hipError_tPvRmT3_T4_T5_T6_T7_T9_mT8_P12ihipStream_tbDpT10_ENKUlT_T0_E_clISt17integral_constantIbLb1EES1A_EEDaS15_S16_EUlS15_E_NS1_11comp_targetILNS1_3genE2ELNS1_11target_archE906ELNS1_3gpuE6ELNS1_3repE0EEENS1_30default_config_static_selectorELNS0_4arch9wavefront6targetE1EEEvT1_.num_named_barrier, 0
	.set _ZN7rocprim17ROCPRIM_400000_NS6detail17trampoline_kernelINS0_14default_configENS1_25partition_config_selectorILNS1_17partition_subalgoE9EllbEEZZNS1_14partition_implILS5_9ELb0ES3_jPlS8_PNS0_10empty_typeENS0_5tupleIJS8_S9_EEENSB_IJS8_SA_EEENS0_18inequality_wrapperIZN2at6native12_GLOBAL__N_124unique_dim_cuda_templateIlEESt5tupleIJNSF_6TensorESK_SK_EERKSK_lbbbEUlllE0_EEPmJS9_EEE10hipError_tPvRmT3_T4_T5_T6_T7_T9_mT8_P12ihipStream_tbDpT10_ENKUlT_T0_E_clISt17integral_constantIbLb1EES1A_EEDaS15_S16_EUlS15_E_NS1_11comp_targetILNS1_3genE2ELNS1_11target_archE906ELNS1_3gpuE6ELNS1_3repE0EEENS1_30default_config_static_selectorELNS0_4arch9wavefront6targetE1EEEvT1_.private_seg_size, 0
	.set _ZN7rocprim17ROCPRIM_400000_NS6detail17trampoline_kernelINS0_14default_configENS1_25partition_config_selectorILNS1_17partition_subalgoE9EllbEEZZNS1_14partition_implILS5_9ELb0ES3_jPlS8_PNS0_10empty_typeENS0_5tupleIJS8_S9_EEENSB_IJS8_SA_EEENS0_18inequality_wrapperIZN2at6native12_GLOBAL__N_124unique_dim_cuda_templateIlEESt5tupleIJNSF_6TensorESK_SK_EERKSK_lbbbEUlllE0_EEPmJS9_EEE10hipError_tPvRmT3_T4_T5_T6_T7_T9_mT8_P12ihipStream_tbDpT10_ENKUlT_T0_E_clISt17integral_constantIbLb1EES1A_EEDaS15_S16_EUlS15_E_NS1_11comp_targetILNS1_3genE2ELNS1_11target_archE906ELNS1_3gpuE6ELNS1_3repE0EEENS1_30default_config_static_selectorELNS0_4arch9wavefront6targetE1EEEvT1_.uses_vcc, 0
	.set _ZN7rocprim17ROCPRIM_400000_NS6detail17trampoline_kernelINS0_14default_configENS1_25partition_config_selectorILNS1_17partition_subalgoE9EllbEEZZNS1_14partition_implILS5_9ELb0ES3_jPlS8_PNS0_10empty_typeENS0_5tupleIJS8_S9_EEENSB_IJS8_SA_EEENS0_18inequality_wrapperIZN2at6native12_GLOBAL__N_124unique_dim_cuda_templateIlEESt5tupleIJNSF_6TensorESK_SK_EERKSK_lbbbEUlllE0_EEPmJS9_EEE10hipError_tPvRmT3_T4_T5_T6_T7_T9_mT8_P12ihipStream_tbDpT10_ENKUlT_T0_E_clISt17integral_constantIbLb1EES1A_EEDaS15_S16_EUlS15_E_NS1_11comp_targetILNS1_3genE2ELNS1_11target_archE906ELNS1_3gpuE6ELNS1_3repE0EEENS1_30default_config_static_selectorELNS0_4arch9wavefront6targetE1EEEvT1_.uses_flat_scratch, 0
	.set _ZN7rocprim17ROCPRIM_400000_NS6detail17trampoline_kernelINS0_14default_configENS1_25partition_config_selectorILNS1_17partition_subalgoE9EllbEEZZNS1_14partition_implILS5_9ELb0ES3_jPlS8_PNS0_10empty_typeENS0_5tupleIJS8_S9_EEENSB_IJS8_SA_EEENS0_18inequality_wrapperIZN2at6native12_GLOBAL__N_124unique_dim_cuda_templateIlEESt5tupleIJNSF_6TensorESK_SK_EERKSK_lbbbEUlllE0_EEPmJS9_EEE10hipError_tPvRmT3_T4_T5_T6_T7_T9_mT8_P12ihipStream_tbDpT10_ENKUlT_T0_E_clISt17integral_constantIbLb1EES1A_EEDaS15_S16_EUlS15_E_NS1_11comp_targetILNS1_3genE2ELNS1_11target_archE906ELNS1_3gpuE6ELNS1_3repE0EEENS1_30default_config_static_selectorELNS0_4arch9wavefront6targetE1EEEvT1_.has_dyn_sized_stack, 0
	.set _ZN7rocprim17ROCPRIM_400000_NS6detail17trampoline_kernelINS0_14default_configENS1_25partition_config_selectorILNS1_17partition_subalgoE9EllbEEZZNS1_14partition_implILS5_9ELb0ES3_jPlS8_PNS0_10empty_typeENS0_5tupleIJS8_S9_EEENSB_IJS8_SA_EEENS0_18inequality_wrapperIZN2at6native12_GLOBAL__N_124unique_dim_cuda_templateIlEESt5tupleIJNSF_6TensorESK_SK_EERKSK_lbbbEUlllE0_EEPmJS9_EEE10hipError_tPvRmT3_T4_T5_T6_T7_T9_mT8_P12ihipStream_tbDpT10_ENKUlT_T0_E_clISt17integral_constantIbLb1EES1A_EEDaS15_S16_EUlS15_E_NS1_11comp_targetILNS1_3genE2ELNS1_11target_archE906ELNS1_3gpuE6ELNS1_3repE0EEENS1_30default_config_static_selectorELNS0_4arch9wavefront6targetE1EEEvT1_.has_recursion, 0
	.set _ZN7rocprim17ROCPRIM_400000_NS6detail17trampoline_kernelINS0_14default_configENS1_25partition_config_selectorILNS1_17partition_subalgoE9EllbEEZZNS1_14partition_implILS5_9ELb0ES3_jPlS8_PNS0_10empty_typeENS0_5tupleIJS8_S9_EEENSB_IJS8_SA_EEENS0_18inequality_wrapperIZN2at6native12_GLOBAL__N_124unique_dim_cuda_templateIlEESt5tupleIJNSF_6TensorESK_SK_EERKSK_lbbbEUlllE0_EEPmJS9_EEE10hipError_tPvRmT3_T4_T5_T6_T7_T9_mT8_P12ihipStream_tbDpT10_ENKUlT_T0_E_clISt17integral_constantIbLb1EES1A_EEDaS15_S16_EUlS15_E_NS1_11comp_targetILNS1_3genE2ELNS1_11target_archE906ELNS1_3gpuE6ELNS1_3repE0EEENS1_30default_config_static_selectorELNS0_4arch9wavefront6targetE1EEEvT1_.has_indirect_call, 0
	.section	.AMDGPU.csdata,"",@progbits
; Kernel info:
; codeLenInByte = 0
; TotalNumSgprs: 6
; NumVgprs: 0
; NumAgprs: 0
; TotalNumVgprs: 0
; ScratchSize: 0
; MemoryBound: 0
; FloatMode: 240
; IeeeMode: 1
; LDSByteSize: 0 bytes/workgroup (compile time only)
; SGPRBlocks: 0
; VGPRBlocks: 0
; NumSGPRsForWavesPerEU: 6
; NumVGPRsForWavesPerEU: 1
; AccumOffset: 4
; Occupancy: 8
; WaveLimiterHint : 0
; COMPUTE_PGM_RSRC2:SCRATCH_EN: 0
; COMPUTE_PGM_RSRC2:USER_SGPR: 2
; COMPUTE_PGM_RSRC2:TRAP_HANDLER: 0
; COMPUTE_PGM_RSRC2:TGID_X_EN: 1
; COMPUTE_PGM_RSRC2:TGID_Y_EN: 0
; COMPUTE_PGM_RSRC2:TGID_Z_EN: 0
; COMPUTE_PGM_RSRC2:TIDIG_COMP_CNT: 0
; COMPUTE_PGM_RSRC3_GFX90A:ACCUM_OFFSET: 0
; COMPUTE_PGM_RSRC3_GFX90A:TG_SPLIT: 0
	.section	.text._ZN7rocprim17ROCPRIM_400000_NS6detail17trampoline_kernelINS0_14default_configENS1_25partition_config_selectorILNS1_17partition_subalgoE9EllbEEZZNS1_14partition_implILS5_9ELb0ES3_jPlS8_PNS0_10empty_typeENS0_5tupleIJS8_S9_EEENSB_IJS8_SA_EEENS0_18inequality_wrapperIZN2at6native12_GLOBAL__N_124unique_dim_cuda_templateIlEESt5tupleIJNSF_6TensorESK_SK_EERKSK_lbbbEUlllE0_EEPmJS9_EEE10hipError_tPvRmT3_T4_T5_T6_T7_T9_mT8_P12ihipStream_tbDpT10_ENKUlT_T0_E_clISt17integral_constantIbLb1EES1A_EEDaS15_S16_EUlS15_E_NS1_11comp_targetILNS1_3genE10ELNS1_11target_archE1200ELNS1_3gpuE4ELNS1_3repE0EEENS1_30default_config_static_selectorELNS0_4arch9wavefront6targetE1EEEvT1_,"axG",@progbits,_ZN7rocprim17ROCPRIM_400000_NS6detail17trampoline_kernelINS0_14default_configENS1_25partition_config_selectorILNS1_17partition_subalgoE9EllbEEZZNS1_14partition_implILS5_9ELb0ES3_jPlS8_PNS0_10empty_typeENS0_5tupleIJS8_S9_EEENSB_IJS8_SA_EEENS0_18inequality_wrapperIZN2at6native12_GLOBAL__N_124unique_dim_cuda_templateIlEESt5tupleIJNSF_6TensorESK_SK_EERKSK_lbbbEUlllE0_EEPmJS9_EEE10hipError_tPvRmT3_T4_T5_T6_T7_T9_mT8_P12ihipStream_tbDpT10_ENKUlT_T0_E_clISt17integral_constantIbLb1EES1A_EEDaS15_S16_EUlS15_E_NS1_11comp_targetILNS1_3genE10ELNS1_11target_archE1200ELNS1_3gpuE4ELNS1_3repE0EEENS1_30default_config_static_selectorELNS0_4arch9wavefront6targetE1EEEvT1_,comdat
	.globl	_ZN7rocprim17ROCPRIM_400000_NS6detail17trampoline_kernelINS0_14default_configENS1_25partition_config_selectorILNS1_17partition_subalgoE9EllbEEZZNS1_14partition_implILS5_9ELb0ES3_jPlS8_PNS0_10empty_typeENS0_5tupleIJS8_S9_EEENSB_IJS8_SA_EEENS0_18inequality_wrapperIZN2at6native12_GLOBAL__N_124unique_dim_cuda_templateIlEESt5tupleIJNSF_6TensorESK_SK_EERKSK_lbbbEUlllE0_EEPmJS9_EEE10hipError_tPvRmT3_T4_T5_T6_T7_T9_mT8_P12ihipStream_tbDpT10_ENKUlT_T0_E_clISt17integral_constantIbLb1EES1A_EEDaS15_S16_EUlS15_E_NS1_11comp_targetILNS1_3genE10ELNS1_11target_archE1200ELNS1_3gpuE4ELNS1_3repE0EEENS1_30default_config_static_selectorELNS0_4arch9wavefront6targetE1EEEvT1_ ; -- Begin function _ZN7rocprim17ROCPRIM_400000_NS6detail17trampoline_kernelINS0_14default_configENS1_25partition_config_selectorILNS1_17partition_subalgoE9EllbEEZZNS1_14partition_implILS5_9ELb0ES3_jPlS8_PNS0_10empty_typeENS0_5tupleIJS8_S9_EEENSB_IJS8_SA_EEENS0_18inequality_wrapperIZN2at6native12_GLOBAL__N_124unique_dim_cuda_templateIlEESt5tupleIJNSF_6TensorESK_SK_EERKSK_lbbbEUlllE0_EEPmJS9_EEE10hipError_tPvRmT3_T4_T5_T6_T7_T9_mT8_P12ihipStream_tbDpT10_ENKUlT_T0_E_clISt17integral_constantIbLb1EES1A_EEDaS15_S16_EUlS15_E_NS1_11comp_targetILNS1_3genE10ELNS1_11target_archE1200ELNS1_3gpuE4ELNS1_3repE0EEENS1_30default_config_static_selectorELNS0_4arch9wavefront6targetE1EEEvT1_
	.p2align	8
	.type	_ZN7rocprim17ROCPRIM_400000_NS6detail17trampoline_kernelINS0_14default_configENS1_25partition_config_selectorILNS1_17partition_subalgoE9EllbEEZZNS1_14partition_implILS5_9ELb0ES3_jPlS8_PNS0_10empty_typeENS0_5tupleIJS8_S9_EEENSB_IJS8_SA_EEENS0_18inequality_wrapperIZN2at6native12_GLOBAL__N_124unique_dim_cuda_templateIlEESt5tupleIJNSF_6TensorESK_SK_EERKSK_lbbbEUlllE0_EEPmJS9_EEE10hipError_tPvRmT3_T4_T5_T6_T7_T9_mT8_P12ihipStream_tbDpT10_ENKUlT_T0_E_clISt17integral_constantIbLb1EES1A_EEDaS15_S16_EUlS15_E_NS1_11comp_targetILNS1_3genE10ELNS1_11target_archE1200ELNS1_3gpuE4ELNS1_3repE0EEENS1_30default_config_static_selectorELNS0_4arch9wavefront6targetE1EEEvT1_,@function
_ZN7rocprim17ROCPRIM_400000_NS6detail17trampoline_kernelINS0_14default_configENS1_25partition_config_selectorILNS1_17partition_subalgoE9EllbEEZZNS1_14partition_implILS5_9ELb0ES3_jPlS8_PNS0_10empty_typeENS0_5tupleIJS8_S9_EEENSB_IJS8_SA_EEENS0_18inequality_wrapperIZN2at6native12_GLOBAL__N_124unique_dim_cuda_templateIlEESt5tupleIJNSF_6TensorESK_SK_EERKSK_lbbbEUlllE0_EEPmJS9_EEE10hipError_tPvRmT3_T4_T5_T6_T7_T9_mT8_P12ihipStream_tbDpT10_ENKUlT_T0_E_clISt17integral_constantIbLb1EES1A_EEDaS15_S16_EUlS15_E_NS1_11comp_targetILNS1_3genE10ELNS1_11target_archE1200ELNS1_3gpuE4ELNS1_3repE0EEENS1_30default_config_static_selectorELNS0_4arch9wavefront6targetE1EEEvT1_: ; @_ZN7rocprim17ROCPRIM_400000_NS6detail17trampoline_kernelINS0_14default_configENS1_25partition_config_selectorILNS1_17partition_subalgoE9EllbEEZZNS1_14partition_implILS5_9ELb0ES3_jPlS8_PNS0_10empty_typeENS0_5tupleIJS8_S9_EEENSB_IJS8_SA_EEENS0_18inequality_wrapperIZN2at6native12_GLOBAL__N_124unique_dim_cuda_templateIlEESt5tupleIJNSF_6TensorESK_SK_EERKSK_lbbbEUlllE0_EEPmJS9_EEE10hipError_tPvRmT3_T4_T5_T6_T7_T9_mT8_P12ihipStream_tbDpT10_ENKUlT_T0_E_clISt17integral_constantIbLb1EES1A_EEDaS15_S16_EUlS15_E_NS1_11comp_targetILNS1_3genE10ELNS1_11target_archE1200ELNS1_3gpuE4ELNS1_3repE0EEENS1_30default_config_static_selectorELNS0_4arch9wavefront6targetE1EEEvT1_
; %bb.0:
	.section	.rodata,"a",@progbits
	.p2align	6, 0x0
	.amdhsa_kernel _ZN7rocprim17ROCPRIM_400000_NS6detail17trampoline_kernelINS0_14default_configENS1_25partition_config_selectorILNS1_17partition_subalgoE9EllbEEZZNS1_14partition_implILS5_9ELb0ES3_jPlS8_PNS0_10empty_typeENS0_5tupleIJS8_S9_EEENSB_IJS8_SA_EEENS0_18inequality_wrapperIZN2at6native12_GLOBAL__N_124unique_dim_cuda_templateIlEESt5tupleIJNSF_6TensorESK_SK_EERKSK_lbbbEUlllE0_EEPmJS9_EEE10hipError_tPvRmT3_T4_T5_T6_T7_T9_mT8_P12ihipStream_tbDpT10_ENKUlT_T0_E_clISt17integral_constantIbLb1EES1A_EEDaS15_S16_EUlS15_E_NS1_11comp_targetILNS1_3genE10ELNS1_11target_archE1200ELNS1_3gpuE4ELNS1_3repE0EEENS1_30default_config_static_selectorELNS0_4arch9wavefront6targetE1EEEvT1_
		.amdhsa_group_segment_fixed_size 0
		.amdhsa_private_segment_fixed_size 0
		.amdhsa_kernarg_size 136
		.amdhsa_user_sgpr_count 2
		.amdhsa_user_sgpr_dispatch_ptr 0
		.amdhsa_user_sgpr_queue_ptr 0
		.amdhsa_user_sgpr_kernarg_segment_ptr 1
		.amdhsa_user_sgpr_dispatch_id 0
		.amdhsa_user_sgpr_kernarg_preload_length 0
		.amdhsa_user_sgpr_kernarg_preload_offset 0
		.amdhsa_user_sgpr_private_segment_size 0
		.amdhsa_uses_dynamic_stack 0
		.amdhsa_enable_private_segment 0
		.amdhsa_system_sgpr_workgroup_id_x 1
		.amdhsa_system_sgpr_workgroup_id_y 0
		.amdhsa_system_sgpr_workgroup_id_z 0
		.amdhsa_system_sgpr_workgroup_info 0
		.amdhsa_system_vgpr_workitem_id 0
		.amdhsa_next_free_vgpr 1
		.amdhsa_next_free_sgpr 0
		.amdhsa_accum_offset 4
		.amdhsa_reserve_vcc 0
		.amdhsa_float_round_mode_32 0
		.amdhsa_float_round_mode_16_64 0
		.amdhsa_float_denorm_mode_32 3
		.amdhsa_float_denorm_mode_16_64 3
		.amdhsa_dx10_clamp 1
		.amdhsa_ieee_mode 1
		.amdhsa_fp16_overflow 0
		.amdhsa_tg_split 0
		.amdhsa_exception_fp_ieee_invalid_op 0
		.amdhsa_exception_fp_denorm_src 0
		.amdhsa_exception_fp_ieee_div_zero 0
		.amdhsa_exception_fp_ieee_overflow 0
		.amdhsa_exception_fp_ieee_underflow 0
		.amdhsa_exception_fp_ieee_inexact 0
		.amdhsa_exception_int_div_zero 0
	.end_amdhsa_kernel
	.section	.text._ZN7rocprim17ROCPRIM_400000_NS6detail17trampoline_kernelINS0_14default_configENS1_25partition_config_selectorILNS1_17partition_subalgoE9EllbEEZZNS1_14partition_implILS5_9ELb0ES3_jPlS8_PNS0_10empty_typeENS0_5tupleIJS8_S9_EEENSB_IJS8_SA_EEENS0_18inequality_wrapperIZN2at6native12_GLOBAL__N_124unique_dim_cuda_templateIlEESt5tupleIJNSF_6TensorESK_SK_EERKSK_lbbbEUlllE0_EEPmJS9_EEE10hipError_tPvRmT3_T4_T5_T6_T7_T9_mT8_P12ihipStream_tbDpT10_ENKUlT_T0_E_clISt17integral_constantIbLb1EES1A_EEDaS15_S16_EUlS15_E_NS1_11comp_targetILNS1_3genE10ELNS1_11target_archE1200ELNS1_3gpuE4ELNS1_3repE0EEENS1_30default_config_static_selectorELNS0_4arch9wavefront6targetE1EEEvT1_,"axG",@progbits,_ZN7rocprim17ROCPRIM_400000_NS6detail17trampoline_kernelINS0_14default_configENS1_25partition_config_selectorILNS1_17partition_subalgoE9EllbEEZZNS1_14partition_implILS5_9ELb0ES3_jPlS8_PNS0_10empty_typeENS0_5tupleIJS8_S9_EEENSB_IJS8_SA_EEENS0_18inequality_wrapperIZN2at6native12_GLOBAL__N_124unique_dim_cuda_templateIlEESt5tupleIJNSF_6TensorESK_SK_EERKSK_lbbbEUlllE0_EEPmJS9_EEE10hipError_tPvRmT3_T4_T5_T6_T7_T9_mT8_P12ihipStream_tbDpT10_ENKUlT_T0_E_clISt17integral_constantIbLb1EES1A_EEDaS15_S16_EUlS15_E_NS1_11comp_targetILNS1_3genE10ELNS1_11target_archE1200ELNS1_3gpuE4ELNS1_3repE0EEENS1_30default_config_static_selectorELNS0_4arch9wavefront6targetE1EEEvT1_,comdat
.Lfunc_end608:
	.size	_ZN7rocprim17ROCPRIM_400000_NS6detail17trampoline_kernelINS0_14default_configENS1_25partition_config_selectorILNS1_17partition_subalgoE9EllbEEZZNS1_14partition_implILS5_9ELb0ES3_jPlS8_PNS0_10empty_typeENS0_5tupleIJS8_S9_EEENSB_IJS8_SA_EEENS0_18inequality_wrapperIZN2at6native12_GLOBAL__N_124unique_dim_cuda_templateIlEESt5tupleIJNSF_6TensorESK_SK_EERKSK_lbbbEUlllE0_EEPmJS9_EEE10hipError_tPvRmT3_T4_T5_T6_T7_T9_mT8_P12ihipStream_tbDpT10_ENKUlT_T0_E_clISt17integral_constantIbLb1EES1A_EEDaS15_S16_EUlS15_E_NS1_11comp_targetILNS1_3genE10ELNS1_11target_archE1200ELNS1_3gpuE4ELNS1_3repE0EEENS1_30default_config_static_selectorELNS0_4arch9wavefront6targetE1EEEvT1_, .Lfunc_end608-_ZN7rocprim17ROCPRIM_400000_NS6detail17trampoline_kernelINS0_14default_configENS1_25partition_config_selectorILNS1_17partition_subalgoE9EllbEEZZNS1_14partition_implILS5_9ELb0ES3_jPlS8_PNS0_10empty_typeENS0_5tupleIJS8_S9_EEENSB_IJS8_SA_EEENS0_18inequality_wrapperIZN2at6native12_GLOBAL__N_124unique_dim_cuda_templateIlEESt5tupleIJNSF_6TensorESK_SK_EERKSK_lbbbEUlllE0_EEPmJS9_EEE10hipError_tPvRmT3_T4_T5_T6_T7_T9_mT8_P12ihipStream_tbDpT10_ENKUlT_T0_E_clISt17integral_constantIbLb1EES1A_EEDaS15_S16_EUlS15_E_NS1_11comp_targetILNS1_3genE10ELNS1_11target_archE1200ELNS1_3gpuE4ELNS1_3repE0EEENS1_30default_config_static_selectorELNS0_4arch9wavefront6targetE1EEEvT1_
                                        ; -- End function
	.set _ZN7rocprim17ROCPRIM_400000_NS6detail17trampoline_kernelINS0_14default_configENS1_25partition_config_selectorILNS1_17partition_subalgoE9EllbEEZZNS1_14partition_implILS5_9ELb0ES3_jPlS8_PNS0_10empty_typeENS0_5tupleIJS8_S9_EEENSB_IJS8_SA_EEENS0_18inequality_wrapperIZN2at6native12_GLOBAL__N_124unique_dim_cuda_templateIlEESt5tupleIJNSF_6TensorESK_SK_EERKSK_lbbbEUlllE0_EEPmJS9_EEE10hipError_tPvRmT3_T4_T5_T6_T7_T9_mT8_P12ihipStream_tbDpT10_ENKUlT_T0_E_clISt17integral_constantIbLb1EES1A_EEDaS15_S16_EUlS15_E_NS1_11comp_targetILNS1_3genE10ELNS1_11target_archE1200ELNS1_3gpuE4ELNS1_3repE0EEENS1_30default_config_static_selectorELNS0_4arch9wavefront6targetE1EEEvT1_.num_vgpr, 0
	.set _ZN7rocprim17ROCPRIM_400000_NS6detail17trampoline_kernelINS0_14default_configENS1_25partition_config_selectorILNS1_17partition_subalgoE9EllbEEZZNS1_14partition_implILS5_9ELb0ES3_jPlS8_PNS0_10empty_typeENS0_5tupleIJS8_S9_EEENSB_IJS8_SA_EEENS0_18inequality_wrapperIZN2at6native12_GLOBAL__N_124unique_dim_cuda_templateIlEESt5tupleIJNSF_6TensorESK_SK_EERKSK_lbbbEUlllE0_EEPmJS9_EEE10hipError_tPvRmT3_T4_T5_T6_T7_T9_mT8_P12ihipStream_tbDpT10_ENKUlT_T0_E_clISt17integral_constantIbLb1EES1A_EEDaS15_S16_EUlS15_E_NS1_11comp_targetILNS1_3genE10ELNS1_11target_archE1200ELNS1_3gpuE4ELNS1_3repE0EEENS1_30default_config_static_selectorELNS0_4arch9wavefront6targetE1EEEvT1_.num_agpr, 0
	.set _ZN7rocprim17ROCPRIM_400000_NS6detail17trampoline_kernelINS0_14default_configENS1_25partition_config_selectorILNS1_17partition_subalgoE9EllbEEZZNS1_14partition_implILS5_9ELb0ES3_jPlS8_PNS0_10empty_typeENS0_5tupleIJS8_S9_EEENSB_IJS8_SA_EEENS0_18inequality_wrapperIZN2at6native12_GLOBAL__N_124unique_dim_cuda_templateIlEESt5tupleIJNSF_6TensorESK_SK_EERKSK_lbbbEUlllE0_EEPmJS9_EEE10hipError_tPvRmT3_T4_T5_T6_T7_T9_mT8_P12ihipStream_tbDpT10_ENKUlT_T0_E_clISt17integral_constantIbLb1EES1A_EEDaS15_S16_EUlS15_E_NS1_11comp_targetILNS1_3genE10ELNS1_11target_archE1200ELNS1_3gpuE4ELNS1_3repE0EEENS1_30default_config_static_selectorELNS0_4arch9wavefront6targetE1EEEvT1_.numbered_sgpr, 0
	.set _ZN7rocprim17ROCPRIM_400000_NS6detail17trampoline_kernelINS0_14default_configENS1_25partition_config_selectorILNS1_17partition_subalgoE9EllbEEZZNS1_14partition_implILS5_9ELb0ES3_jPlS8_PNS0_10empty_typeENS0_5tupleIJS8_S9_EEENSB_IJS8_SA_EEENS0_18inequality_wrapperIZN2at6native12_GLOBAL__N_124unique_dim_cuda_templateIlEESt5tupleIJNSF_6TensorESK_SK_EERKSK_lbbbEUlllE0_EEPmJS9_EEE10hipError_tPvRmT3_T4_T5_T6_T7_T9_mT8_P12ihipStream_tbDpT10_ENKUlT_T0_E_clISt17integral_constantIbLb1EES1A_EEDaS15_S16_EUlS15_E_NS1_11comp_targetILNS1_3genE10ELNS1_11target_archE1200ELNS1_3gpuE4ELNS1_3repE0EEENS1_30default_config_static_selectorELNS0_4arch9wavefront6targetE1EEEvT1_.num_named_barrier, 0
	.set _ZN7rocprim17ROCPRIM_400000_NS6detail17trampoline_kernelINS0_14default_configENS1_25partition_config_selectorILNS1_17partition_subalgoE9EllbEEZZNS1_14partition_implILS5_9ELb0ES3_jPlS8_PNS0_10empty_typeENS0_5tupleIJS8_S9_EEENSB_IJS8_SA_EEENS0_18inequality_wrapperIZN2at6native12_GLOBAL__N_124unique_dim_cuda_templateIlEESt5tupleIJNSF_6TensorESK_SK_EERKSK_lbbbEUlllE0_EEPmJS9_EEE10hipError_tPvRmT3_T4_T5_T6_T7_T9_mT8_P12ihipStream_tbDpT10_ENKUlT_T0_E_clISt17integral_constantIbLb1EES1A_EEDaS15_S16_EUlS15_E_NS1_11comp_targetILNS1_3genE10ELNS1_11target_archE1200ELNS1_3gpuE4ELNS1_3repE0EEENS1_30default_config_static_selectorELNS0_4arch9wavefront6targetE1EEEvT1_.private_seg_size, 0
	.set _ZN7rocprim17ROCPRIM_400000_NS6detail17trampoline_kernelINS0_14default_configENS1_25partition_config_selectorILNS1_17partition_subalgoE9EllbEEZZNS1_14partition_implILS5_9ELb0ES3_jPlS8_PNS0_10empty_typeENS0_5tupleIJS8_S9_EEENSB_IJS8_SA_EEENS0_18inequality_wrapperIZN2at6native12_GLOBAL__N_124unique_dim_cuda_templateIlEESt5tupleIJNSF_6TensorESK_SK_EERKSK_lbbbEUlllE0_EEPmJS9_EEE10hipError_tPvRmT3_T4_T5_T6_T7_T9_mT8_P12ihipStream_tbDpT10_ENKUlT_T0_E_clISt17integral_constantIbLb1EES1A_EEDaS15_S16_EUlS15_E_NS1_11comp_targetILNS1_3genE10ELNS1_11target_archE1200ELNS1_3gpuE4ELNS1_3repE0EEENS1_30default_config_static_selectorELNS0_4arch9wavefront6targetE1EEEvT1_.uses_vcc, 0
	.set _ZN7rocprim17ROCPRIM_400000_NS6detail17trampoline_kernelINS0_14default_configENS1_25partition_config_selectorILNS1_17partition_subalgoE9EllbEEZZNS1_14partition_implILS5_9ELb0ES3_jPlS8_PNS0_10empty_typeENS0_5tupleIJS8_S9_EEENSB_IJS8_SA_EEENS0_18inequality_wrapperIZN2at6native12_GLOBAL__N_124unique_dim_cuda_templateIlEESt5tupleIJNSF_6TensorESK_SK_EERKSK_lbbbEUlllE0_EEPmJS9_EEE10hipError_tPvRmT3_T4_T5_T6_T7_T9_mT8_P12ihipStream_tbDpT10_ENKUlT_T0_E_clISt17integral_constantIbLb1EES1A_EEDaS15_S16_EUlS15_E_NS1_11comp_targetILNS1_3genE10ELNS1_11target_archE1200ELNS1_3gpuE4ELNS1_3repE0EEENS1_30default_config_static_selectorELNS0_4arch9wavefront6targetE1EEEvT1_.uses_flat_scratch, 0
	.set _ZN7rocprim17ROCPRIM_400000_NS6detail17trampoline_kernelINS0_14default_configENS1_25partition_config_selectorILNS1_17partition_subalgoE9EllbEEZZNS1_14partition_implILS5_9ELb0ES3_jPlS8_PNS0_10empty_typeENS0_5tupleIJS8_S9_EEENSB_IJS8_SA_EEENS0_18inequality_wrapperIZN2at6native12_GLOBAL__N_124unique_dim_cuda_templateIlEESt5tupleIJNSF_6TensorESK_SK_EERKSK_lbbbEUlllE0_EEPmJS9_EEE10hipError_tPvRmT3_T4_T5_T6_T7_T9_mT8_P12ihipStream_tbDpT10_ENKUlT_T0_E_clISt17integral_constantIbLb1EES1A_EEDaS15_S16_EUlS15_E_NS1_11comp_targetILNS1_3genE10ELNS1_11target_archE1200ELNS1_3gpuE4ELNS1_3repE0EEENS1_30default_config_static_selectorELNS0_4arch9wavefront6targetE1EEEvT1_.has_dyn_sized_stack, 0
	.set _ZN7rocprim17ROCPRIM_400000_NS6detail17trampoline_kernelINS0_14default_configENS1_25partition_config_selectorILNS1_17partition_subalgoE9EllbEEZZNS1_14partition_implILS5_9ELb0ES3_jPlS8_PNS0_10empty_typeENS0_5tupleIJS8_S9_EEENSB_IJS8_SA_EEENS0_18inequality_wrapperIZN2at6native12_GLOBAL__N_124unique_dim_cuda_templateIlEESt5tupleIJNSF_6TensorESK_SK_EERKSK_lbbbEUlllE0_EEPmJS9_EEE10hipError_tPvRmT3_T4_T5_T6_T7_T9_mT8_P12ihipStream_tbDpT10_ENKUlT_T0_E_clISt17integral_constantIbLb1EES1A_EEDaS15_S16_EUlS15_E_NS1_11comp_targetILNS1_3genE10ELNS1_11target_archE1200ELNS1_3gpuE4ELNS1_3repE0EEENS1_30default_config_static_selectorELNS0_4arch9wavefront6targetE1EEEvT1_.has_recursion, 0
	.set _ZN7rocprim17ROCPRIM_400000_NS6detail17trampoline_kernelINS0_14default_configENS1_25partition_config_selectorILNS1_17partition_subalgoE9EllbEEZZNS1_14partition_implILS5_9ELb0ES3_jPlS8_PNS0_10empty_typeENS0_5tupleIJS8_S9_EEENSB_IJS8_SA_EEENS0_18inequality_wrapperIZN2at6native12_GLOBAL__N_124unique_dim_cuda_templateIlEESt5tupleIJNSF_6TensorESK_SK_EERKSK_lbbbEUlllE0_EEPmJS9_EEE10hipError_tPvRmT3_T4_T5_T6_T7_T9_mT8_P12ihipStream_tbDpT10_ENKUlT_T0_E_clISt17integral_constantIbLb1EES1A_EEDaS15_S16_EUlS15_E_NS1_11comp_targetILNS1_3genE10ELNS1_11target_archE1200ELNS1_3gpuE4ELNS1_3repE0EEENS1_30default_config_static_selectorELNS0_4arch9wavefront6targetE1EEEvT1_.has_indirect_call, 0
	.section	.AMDGPU.csdata,"",@progbits
; Kernel info:
; codeLenInByte = 0
; TotalNumSgprs: 6
; NumVgprs: 0
; NumAgprs: 0
; TotalNumVgprs: 0
; ScratchSize: 0
; MemoryBound: 0
; FloatMode: 240
; IeeeMode: 1
; LDSByteSize: 0 bytes/workgroup (compile time only)
; SGPRBlocks: 0
; VGPRBlocks: 0
; NumSGPRsForWavesPerEU: 6
; NumVGPRsForWavesPerEU: 1
; AccumOffset: 4
; Occupancy: 8
; WaveLimiterHint : 0
; COMPUTE_PGM_RSRC2:SCRATCH_EN: 0
; COMPUTE_PGM_RSRC2:USER_SGPR: 2
; COMPUTE_PGM_RSRC2:TRAP_HANDLER: 0
; COMPUTE_PGM_RSRC2:TGID_X_EN: 1
; COMPUTE_PGM_RSRC2:TGID_Y_EN: 0
; COMPUTE_PGM_RSRC2:TGID_Z_EN: 0
; COMPUTE_PGM_RSRC2:TIDIG_COMP_CNT: 0
; COMPUTE_PGM_RSRC3_GFX90A:ACCUM_OFFSET: 0
; COMPUTE_PGM_RSRC3_GFX90A:TG_SPLIT: 0
	.section	.text._ZN7rocprim17ROCPRIM_400000_NS6detail17trampoline_kernelINS0_14default_configENS1_25partition_config_selectorILNS1_17partition_subalgoE9EllbEEZZNS1_14partition_implILS5_9ELb0ES3_jPlS8_PNS0_10empty_typeENS0_5tupleIJS8_S9_EEENSB_IJS8_SA_EEENS0_18inequality_wrapperIZN2at6native12_GLOBAL__N_124unique_dim_cuda_templateIlEESt5tupleIJNSF_6TensorESK_SK_EERKSK_lbbbEUlllE0_EEPmJS9_EEE10hipError_tPvRmT3_T4_T5_T6_T7_T9_mT8_P12ihipStream_tbDpT10_ENKUlT_T0_E_clISt17integral_constantIbLb1EES1A_EEDaS15_S16_EUlS15_E_NS1_11comp_targetILNS1_3genE9ELNS1_11target_archE1100ELNS1_3gpuE3ELNS1_3repE0EEENS1_30default_config_static_selectorELNS0_4arch9wavefront6targetE1EEEvT1_,"axG",@progbits,_ZN7rocprim17ROCPRIM_400000_NS6detail17trampoline_kernelINS0_14default_configENS1_25partition_config_selectorILNS1_17partition_subalgoE9EllbEEZZNS1_14partition_implILS5_9ELb0ES3_jPlS8_PNS0_10empty_typeENS0_5tupleIJS8_S9_EEENSB_IJS8_SA_EEENS0_18inequality_wrapperIZN2at6native12_GLOBAL__N_124unique_dim_cuda_templateIlEESt5tupleIJNSF_6TensorESK_SK_EERKSK_lbbbEUlllE0_EEPmJS9_EEE10hipError_tPvRmT3_T4_T5_T6_T7_T9_mT8_P12ihipStream_tbDpT10_ENKUlT_T0_E_clISt17integral_constantIbLb1EES1A_EEDaS15_S16_EUlS15_E_NS1_11comp_targetILNS1_3genE9ELNS1_11target_archE1100ELNS1_3gpuE3ELNS1_3repE0EEENS1_30default_config_static_selectorELNS0_4arch9wavefront6targetE1EEEvT1_,comdat
	.globl	_ZN7rocprim17ROCPRIM_400000_NS6detail17trampoline_kernelINS0_14default_configENS1_25partition_config_selectorILNS1_17partition_subalgoE9EllbEEZZNS1_14partition_implILS5_9ELb0ES3_jPlS8_PNS0_10empty_typeENS0_5tupleIJS8_S9_EEENSB_IJS8_SA_EEENS0_18inequality_wrapperIZN2at6native12_GLOBAL__N_124unique_dim_cuda_templateIlEESt5tupleIJNSF_6TensorESK_SK_EERKSK_lbbbEUlllE0_EEPmJS9_EEE10hipError_tPvRmT3_T4_T5_T6_T7_T9_mT8_P12ihipStream_tbDpT10_ENKUlT_T0_E_clISt17integral_constantIbLb1EES1A_EEDaS15_S16_EUlS15_E_NS1_11comp_targetILNS1_3genE9ELNS1_11target_archE1100ELNS1_3gpuE3ELNS1_3repE0EEENS1_30default_config_static_selectorELNS0_4arch9wavefront6targetE1EEEvT1_ ; -- Begin function _ZN7rocprim17ROCPRIM_400000_NS6detail17trampoline_kernelINS0_14default_configENS1_25partition_config_selectorILNS1_17partition_subalgoE9EllbEEZZNS1_14partition_implILS5_9ELb0ES3_jPlS8_PNS0_10empty_typeENS0_5tupleIJS8_S9_EEENSB_IJS8_SA_EEENS0_18inequality_wrapperIZN2at6native12_GLOBAL__N_124unique_dim_cuda_templateIlEESt5tupleIJNSF_6TensorESK_SK_EERKSK_lbbbEUlllE0_EEPmJS9_EEE10hipError_tPvRmT3_T4_T5_T6_T7_T9_mT8_P12ihipStream_tbDpT10_ENKUlT_T0_E_clISt17integral_constantIbLb1EES1A_EEDaS15_S16_EUlS15_E_NS1_11comp_targetILNS1_3genE9ELNS1_11target_archE1100ELNS1_3gpuE3ELNS1_3repE0EEENS1_30default_config_static_selectorELNS0_4arch9wavefront6targetE1EEEvT1_
	.p2align	8
	.type	_ZN7rocprim17ROCPRIM_400000_NS6detail17trampoline_kernelINS0_14default_configENS1_25partition_config_selectorILNS1_17partition_subalgoE9EllbEEZZNS1_14partition_implILS5_9ELb0ES3_jPlS8_PNS0_10empty_typeENS0_5tupleIJS8_S9_EEENSB_IJS8_SA_EEENS0_18inequality_wrapperIZN2at6native12_GLOBAL__N_124unique_dim_cuda_templateIlEESt5tupleIJNSF_6TensorESK_SK_EERKSK_lbbbEUlllE0_EEPmJS9_EEE10hipError_tPvRmT3_T4_T5_T6_T7_T9_mT8_P12ihipStream_tbDpT10_ENKUlT_T0_E_clISt17integral_constantIbLb1EES1A_EEDaS15_S16_EUlS15_E_NS1_11comp_targetILNS1_3genE9ELNS1_11target_archE1100ELNS1_3gpuE3ELNS1_3repE0EEENS1_30default_config_static_selectorELNS0_4arch9wavefront6targetE1EEEvT1_,@function
_ZN7rocprim17ROCPRIM_400000_NS6detail17trampoline_kernelINS0_14default_configENS1_25partition_config_selectorILNS1_17partition_subalgoE9EllbEEZZNS1_14partition_implILS5_9ELb0ES3_jPlS8_PNS0_10empty_typeENS0_5tupleIJS8_S9_EEENSB_IJS8_SA_EEENS0_18inequality_wrapperIZN2at6native12_GLOBAL__N_124unique_dim_cuda_templateIlEESt5tupleIJNSF_6TensorESK_SK_EERKSK_lbbbEUlllE0_EEPmJS9_EEE10hipError_tPvRmT3_T4_T5_T6_T7_T9_mT8_P12ihipStream_tbDpT10_ENKUlT_T0_E_clISt17integral_constantIbLb1EES1A_EEDaS15_S16_EUlS15_E_NS1_11comp_targetILNS1_3genE9ELNS1_11target_archE1100ELNS1_3gpuE3ELNS1_3repE0EEENS1_30default_config_static_selectorELNS0_4arch9wavefront6targetE1EEEvT1_: ; @_ZN7rocprim17ROCPRIM_400000_NS6detail17trampoline_kernelINS0_14default_configENS1_25partition_config_selectorILNS1_17partition_subalgoE9EllbEEZZNS1_14partition_implILS5_9ELb0ES3_jPlS8_PNS0_10empty_typeENS0_5tupleIJS8_S9_EEENSB_IJS8_SA_EEENS0_18inequality_wrapperIZN2at6native12_GLOBAL__N_124unique_dim_cuda_templateIlEESt5tupleIJNSF_6TensorESK_SK_EERKSK_lbbbEUlllE0_EEPmJS9_EEE10hipError_tPvRmT3_T4_T5_T6_T7_T9_mT8_P12ihipStream_tbDpT10_ENKUlT_T0_E_clISt17integral_constantIbLb1EES1A_EEDaS15_S16_EUlS15_E_NS1_11comp_targetILNS1_3genE9ELNS1_11target_archE1100ELNS1_3gpuE3ELNS1_3repE0EEENS1_30default_config_static_selectorELNS0_4arch9wavefront6targetE1EEEvT1_
; %bb.0:
	.section	.rodata,"a",@progbits
	.p2align	6, 0x0
	.amdhsa_kernel _ZN7rocprim17ROCPRIM_400000_NS6detail17trampoline_kernelINS0_14default_configENS1_25partition_config_selectorILNS1_17partition_subalgoE9EllbEEZZNS1_14partition_implILS5_9ELb0ES3_jPlS8_PNS0_10empty_typeENS0_5tupleIJS8_S9_EEENSB_IJS8_SA_EEENS0_18inequality_wrapperIZN2at6native12_GLOBAL__N_124unique_dim_cuda_templateIlEESt5tupleIJNSF_6TensorESK_SK_EERKSK_lbbbEUlllE0_EEPmJS9_EEE10hipError_tPvRmT3_T4_T5_T6_T7_T9_mT8_P12ihipStream_tbDpT10_ENKUlT_T0_E_clISt17integral_constantIbLb1EES1A_EEDaS15_S16_EUlS15_E_NS1_11comp_targetILNS1_3genE9ELNS1_11target_archE1100ELNS1_3gpuE3ELNS1_3repE0EEENS1_30default_config_static_selectorELNS0_4arch9wavefront6targetE1EEEvT1_
		.amdhsa_group_segment_fixed_size 0
		.amdhsa_private_segment_fixed_size 0
		.amdhsa_kernarg_size 136
		.amdhsa_user_sgpr_count 2
		.amdhsa_user_sgpr_dispatch_ptr 0
		.amdhsa_user_sgpr_queue_ptr 0
		.amdhsa_user_sgpr_kernarg_segment_ptr 1
		.amdhsa_user_sgpr_dispatch_id 0
		.amdhsa_user_sgpr_kernarg_preload_length 0
		.amdhsa_user_sgpr_kernarg_preload_offset 0
		.amdhsa_user_sgpr_private_segment_size 0
		.amdhsa_uses_dynamic_stack 0
		.amdhsa_enable_private_segment 0
		.amdhsa_system_sgpr_workgroup_id_x 1
		.amdhsa_system_sgpr_workgroup_id_y 0
		.amdhsa_system_sgpr_workgroup_id_z 0
		.amdhsa_system_sgpr_workgroup_info 0
		.amdhsa_system_vgpr_workitem_id 0
		.amdhsa_next_free_vgpr 1
		.amdhsa_next_free_sgpr 0
		.amdhsa_accum_offset 4
		.amdhsa_reserve_vcc 0
		.amdhsa_float_round_mode_32 0
		.amdhsa_float_round_mode_16_64 0
		.amdhsa_float_denorm_mode_32 3
		.amdhsa_float_denorm_mode_16_64 3
		.amdhsa_dx10_clamp 1
		.amdhsa_ieee_mode 1
		.amdhsa_fp16_overflow 0
		.amdhsa_tg_split 0
		.amdhsa_exception_fp_ieee_invalid_op 0
		.amdhsa_exception_fp_denorm_src 0
		.amdhsa_exception_fp_ieee_div_zero 0
		.amdhsa_exception_fp_ieee_overflow 0
		.amdhsa_exception_fp_ieee_underflow 0
		.amdhsa_exception_fp_ieee_inexact 0
		.amdhsa_exception_int_div_zero 0
	.end_amdhsa_kernel
	.section	.text._ZN7rocprim17ROCPRIM_400000_NS6detail17trampoline_kernelINS0_14default_configENS1_25partition_config_selectorILNS1_17partition_subalgoE9EllbEEZZNS1_14partition_implILS5_9ELb0ES3_jPlS8_PNS0_10empty_typeENS0_5tupleIJS8_S9_EEENSB_IJS8_SA_EEENS0_18inequality_wrapperIZN2at6native12_GLOBAL__N_124unique_dim_cuda_templateIlEESt5tupleIJNSF_6TensorESK_SK_EERKSK_lbbbEUlllE0_EEPmJS9_EEE10hipError_tPvRmT3_T4_T5_T6_T7_T9_mT8_P12ihipStream_tbDpT10_ENKUlT_T0_E_clISt17integral_constantIbLb1EES1A_EEDaS15_S16_EUlS15_E_NS1_11comp_targetILNS1_3genE9ELNS1_11target_archE1100ELNS1_3gpuE3ELNS1_3repE0EEENS1_30default_config_static_selectorELNS0_4arch9wavefront6targetE1EEEvT1_,"axG",@progbits,_ZN7rocprim17ROCPRIM_400000_NS6detail17trampoline_kernelINS0_14default_configENS1_25partition_config_selectorILNS1_17partition_subalgoE9EllbEEZZNS1_14partition_implILS5_9ELb0ES3_jPlS8_PNS0_10empty_typeENS0_5tupleIJS8_S9_EEENSB_IJS8_SA_EEENS0_18inequality_wrapperIZN2at6native12_GLOBAL__N_124unique_dim_cuda_templateIlEESt5tupleIJNSF_6TensorESK_SK_EERKSK_lbbbEUlllE0_EEPmJS9_EEE10hipError_tPvRmT3_T4_T5_T6_T7_T9_mT8_P12ihipStream_tbDpT10_ENKUlT_T0_E_clISt17integral_constantIbLb1EES1A_EEDaS15_S16_EUlS15_E_NS1_11comp_targetILNS1_3genE9ELNS1_11target_archE1100ELNS1_3gpuE3ELNS1_3repE0EEENS1_30default_config_static_selectorELNS0_4arch9wavefront6targetE1EEEvT1_,comdat
.Lfunc_end609:
	.size	_ZN7rocprim17ROCPRIM_400000_NS6detail17trampoline_kernelINS0_14default_configENS1_25partition_config_selectorILNS1_17partition_subalgoE9EllbEEZZNS1_14partition_implILS5_9ELb0ES3_jPlS8_PNS0_10empty_typeENS0_5tupleIJS8_S9_EEENSB_IJS8_SA_EEENS0_18inequality_wrapperIZN2at6native12_GLOBAL__N_124unique_dim_cuda_templateIlEESt5tupleIJNSF_6TensorESK_SK_EERKSK_lbbbEUlllE0_EEPmJS9_EEE10hipError_tPvRmT3_T4_T5_T6_T7_T9_mT8_P12ihipStream_tbDpT10_ENKUlT_T0_E_clISt17integral_constantIbLb1EES1A_EEDaS15_S16_EUlS15_E_NS1_11comp_targetILNS1_3genE9ELNS1_11target_archE1100ELNS1_3gpuE3ELNS1_3repE0EEENS1_30default_config_static_selectorELNS0_4arch9wavefront6targetE1EEEvT1_, .Lfunc_end609-_ZN7rocprim17ROCPRIM_400000_NS6detail17trampoline_kernelINS0_14default_configENS1_25partition_config_selectorILNS1_17partition_subalgoE9EllbEEZZNS1_14partition_implILS5_9ELb0ES3_jPlS8_PNS0_10empty_typeENS0_5tupleIJS8_S9_EEENSB_IJS8_SA_EEENS0_18inequality_wrapperIZN2at6native12_GLOBAL__N_124unique_dim_cuda_templateIlEESt5tupleIJNSF_6TensorESK_SK_EERKSK_lbbbEUlllE0_EEPmJS9_EEE10hipError_tPvRmT3_T4_T5_T6_T7_T9_mT8_P12ihipStream_tbDpT10_ENKUlT_T0_E_clISt17integral_constantIbLb1EES1A_EEDaS15_S16_EUlS15_E_NS1_11comp_targetILNS1_3genE9ELNS1_11target_archE1100ELNS1_3gpuE3ELNS1_3repE0EEENS1_30default_config_static_selectorELNS0_4arch9wavefront6targetE1EEEvT1_
                                        ; -- End function
	.set _ZN7rocprim17ROCPRIM_400000_NS6detail17trampoline_kernelINS0_14default_configENS1_25partition_config_selectorILNS1_17partition_subalgoE9EllbEEZZNS1_14partition_implILS5_9ELb0ES3_jPlS8_PNS0_10empty_typeENS0_5tupleIJS8_S9_EEENSB_IJS8_SA_EEENS0_18inequality_wrapperIZN2at6native12_GLOBAL__N_124unique_dim_cuda_templateIlEESt5tupleIJNSF_6TensorESK_SK_EERKSK_lbbbEUlllE0_EEPmJS9_EEE10hipError_tPvRmT3_T4_T5_T6_T7_T9_mT8_P12ihipStream_tbDpT10_ENKUlT_T0_E_clISt17integral_constantIbLb1EES1A_EEDaS15_S16_EUlS15_E_NS1_11comp_targetILNS1_3genE9ELNS1_11target_archE1100ELNS1_3gpuE3ELNS1_3repE0EEENS1_30default_config_static_selectorELNS0_4arch9wavefront6targetE1EEEvT1_.num_vgpr, 0
	.set _ZN7rocprim17ROCPRIM_400000_NS6detail17trampoline_kernelINS0_14default_configENS1_25partition_config_selectorILNS1_17partition_subalgoE9EllbEEZZNS1_14partition_implILS5_9ELb0ES3_jPlS8_PNS0_10empty_typeENS0_5tupleIJS8_S9_EEENSB_IJS8_SA_EEENS0_18inequality_wrapperIZN2at6native12_GLOBAL__N_124unique_dim_cuda_templateIlEESt5tupleIJNSF_6TensorESK_SK_EERKSK_lbbbEUlllE0_EEPmJS9_EEE10hipError_tPvRmT3_T4_T5_T6_T7_T9_mT8_P12ihipStream_tbDpT10_ENKUlT_T0_E_clISt17integral_constantIbLb1EES1A_EEDaS15_S16_EUlS15_E_NS1_11comp_targetILNS1_3genE9ELNS1_11target_archE1100ELNS1_3gpuE3ELNS1_3repE0EEENS1_30default_config_static_selectorELNS0_4arch9wavefront6targetE1EEEvT1_.num_agpr, 0
	.set _ZN7rocprim17ROCPRIM_400000_NS6detail17trampoline_kernelINS0_14default_configENS1_25partition_config_selectorILNS1_17partition_subalgoE9EllbEEZZNS1_14partition_implILS5_9ELb0ES3_jPlS8_PNS0_10empty_typeENS0_5tupleIJS8_S9_EEENSB_IJS8_SA_EEENS0_18inequality_wrapperIZN2at6native12_GLOBAL__N_124unique_dim_cuda_templateIlEESt5tupleIJNSF_6TensorESK_SK_EERKSK_lbbbEUlllE0_EEPmJS9_EEE10hipError_tPvRmT3_T4_T5_T6_T7_T9_mT8_P12ihipStream_tbDpT10_ENKUlT_T0_E_clISt17integral_constantIbLb1EES1A_EEDaS15_S16_EUlS15_E_NS1_11comp_targetILNS1_3genE9ELNS1_11target_archE1100ELNS1_3gpuE3ELNS1_3repE0EEENS1_30default_config_static_selectorELNS0_4arch9wavefront6targetE1EEEvT1_.numbered_sgpr, 0
	.set _ZN7rocprim17ROCPRIM_400000_NS6detail17trampoline_kernelINS0_14default_configENS1_25partition_config_selectorILNS1_17partition_subalgoE9EllbEEZZNS1_14partition_implILS5_9ELb0ES3_jPlS8_PNS0_10empty_typeENS0_5tupleIJS8_S9_EEENSB_IJS8_SA_EEENS0_18inequality_wrapperIZN2at6native12_GLOBAL__N_124unique_dim_cuda_templateIlEESt5tupleIJNSF_6TensorESK_SK_EERKSK_lbbbEUlllE0_EEPmJS9_EEE10hipError_tPvRmT3_T4_T5_T6_T7_T9_mT8_P12ihipStream_tbDpT10_ENKUlT_T0_E_clISt17integral_constantIbLb1EES1A_EEDaS15_S16_EUlS15_E_NS1_11comp_targetILNS1_3genE9ELNS1_11target_archE1100ELNS1_3gpuE3ELNS1_3repE0EEENS1_30default_config_static_selectorELNS0_4arch9wavefront6targetE1EEEvT1_.num_named_barrier, 0
	.set _ZN7rocprim17ROCPRIM_400000_NS6detail17trampoline_kernelINS0_14default_configENS1_25partition_config_selectorILNS1_17partition_subalgoE9EllbEEZZNS1_14partition_implILS5_9ELb0ES3_jPlS8_PNS0_10empty_typeENS0_5tupleIJS8_S9_EEENSB_IJS8_SA_EEENS0_18inequality_wrapperIZN2at6native12_GLOBAL__N_124unique_dim_cuda_templateIlEESt5tupleIJNSF_6TensorESK_SK_EERKSK_lbbbEUlllE0_EEPmJS9_EEE10hipError_tPvRmT3_T4_T5_T6_T7_T9_mT8_P12ihipStream_tbDpT10_ENKUlT_T0_E_clISt17integral_constantIbLb1EES1A_EEDaS15_S16_EUlS15_E_NS1_11comp_targetILNS1_3genE9ELNS1_11target_archE1100ELNS1_3gpuE3ELNS1_3repE0EEENS1_30default_config_static_selectorELNS0_4arch9wavefront6targetE1EEEvT1_.private_seg_size, 0
	.set _ZN7rocprim17ROCPRIM_400000_NS6detail17trampoline_kernelINS0_14default_configENS1_25partition_config_selectorILNS1_17partition_subalgoE9EllbEEZZNS1_14partition_implILS5_9ELb0ES3_jPlS8_PNS0_10empty_typeENS0_5tupleIJS8_S9_EEENSB_IJS8_SA_EEENS0_18inequality_wrapperIZN2at6native12_GLOBAL__N_124unique_dim_cuda_templateIlEESt5tupleIJNSF_6TensorESK_SK_EERKSK_lbbbEUlllE0_EEPmJS9_EEE10hipError_tPvRmT3_T4_T5_T6_T7_T9_mT8_P12ihipStream_tbDpT10_ENKUlT_T0_E_clISt17integral_constantIbLb1EES1A_EEDaS15_S16_EUlS15_E_NS1_11comp_targetILNS1_3genE9ELNS1_11target_archE1100ELNS1_3gpuE3ELNS1_3repE0EEENS1_30default_config_static_selectorELNS0_4arch9wavefront6targetE1EEEvT1_.uses_vcc, 0
	.set _ZN7rocprim17ROCPRIM_400000_NS6detail17trampoline_kernelINS0_14default_configENS1_25partition_config_selectorILNS1_17partition_subalgoE9EllbEEZZNS1_14partition_implILS5_9ELb0ES3_jPlS8_PNS0_10empty_typeENS0_5tupleIJS8_S9_EEENSB_IJS8_SA_EEENS0_18inequality_wrapperIZN2at6native12_GLOBAL__N_124unique_dim_cuda_templateIlEESt5tupleIJNSF_6TensorESK_SK_EERKSK_lbbbEUlllE0_EEPmJS9_EEE10hipError_tPvRmT3_T4_T5_T6_T7_T9_mT8_P12ihipStream_tbDpT10_ENKUlT_T0_E_clISt17integral_constantIbLb1EES1A_EEDaS15_S16_EUlS15_E_NS1_11comp_targetILNS1_3genE9ELNS1_11target_archE1100ELNS1_3gpuE3ELNS1_3repE0EEENS1_30default_config_static_selectorELNS0_4arch9wavefront6targetE1EEEvT1_.uses_flat_scratch, 0
	.set _ZN7rocprim17ROCPRIM_400000_NS6detail17trampoline_kernelINS0_14default_configENS1_25partition_config_selectorILNS1_17partition_subalgoE9EllbEEZZNS1_14partition_implILS5_9ELb0ES3_jPlS8_PNS0_10empty_typeENS0_5tupleIJS8_S9_EEENSB_IJS8_SA_EEENS0_18inequality_wrapperIZN2at6native12_GLOBAL__N_124unique_dim_cuda_templateIlEESt5tupleIJNSF_6TensorESK_SK_EERKSK_lbbbEUlllE0_EEPmJS9_EEE10hipError_tPvRmT3_T4_T5_T6_T7_T9_mT8_P12ihipStream_tbDpT10_ENKUlT_T0_E_clISt17integral_constantIbLb1EES1A_EEDaS15_S16_EUlS15_E_NS1_11comp_targetILNS1_3genE9ELNS1_11target_archE1100ELNS1_3gpuE3ELNS1_3repE0EEENS1_30default_config_static_selectorELNS0_4arch9wavefront6targetE1EEEvT1_.has_dyn_sized_stack, 0
	.set _ZN7rocprim17ROCPRIM_400000_NS6detail17trampoline_kernelINS0_14default_configENS1_25partition_config_selectorILNS1_17partition_subalgoE9EllbEEZZNS1_14partition_implILS5_9ELb0ES3_jPlS8_PNS0_10empty_typeENS0_5tupleIJS8_S9_EEENSB_IJS8_SA_EEENS0_18inequality_wrapperIZN2at6native12_GLOBAL__N_124unique_dim_cuda_templateIlEESt5tupleIJNSF_6TensorESK_SK_EERKSK_lbbbEUlllE0_EEPmJS9_EEE10hipError_tPvRmT3_T4_T5_T6_T7_T9_mT8_P12ihipStream_tbDpT10_ENKUlT_T0_E_clISt17integral_constantIbLb1EES1A_EEDaS15_S16_EUlS15_E_NS1_11comp_targetILNS1_3genE9ELNS1_11target_archE1100ELNS1_3gpuE3ELNS1_3repE0EEENS1_30default_config_static_selectorELNS0_4arch9wavefront6targetE1EEEvT1_.has_recursion, 0
	.set _ZN7rocprim17ROCPRIM_400000_NS6detail17trampoline_kernelINS0_14default_configENS1_25partition_config_selectorILNS1_17partition_subalgoE9EllbEEZZNS1_14partition_implILS5_9ELb0ES3_jPlS8_PNS0_10empty_typeENS0_5tupleIJS8_S9_EEENSB_IJS8_SA_EEENS0_18inequality_wrapperIZN2at6native12_GLOBAL__N_124unique_dim_cuda_templateIlEESt5tupleIJNSF_6TensorESK_SK_EERKSK_lbbbEUlllE0_EEPmJS9_EEE10hipError_tPvRmT3_T4_T5_T6_T7_T9_mT8_P12ihipStream_tbDpT10_ENKUlT_T0_E_clISt17integral_constantIbLb1EES1A_EEDaS15_S16_EUlS15_E_NS1_11comp_targetILNS1_3genE9ELNS1_11target_archE1100ELNS1_3gpuE3ELNS1_3repE0EEENS1_30default_config_static_selectorELNS0_4arch9wavefront6targetE1EEEvT1_.has_indirect_call, 0
	.section	.AMDGPU.csdata,"",@progbits
; Kernel info:
; codeLenInByte = 0
; TotalNumSgprs: 6
; NumVgprs: 0
; NumAgprs: 0
; TotalNumVgprs: 0
; ScratchSize: 0
; MemoryBound: 0
; FloatMode: 240
; IeeeMode: 1
; LDSByteSize: 0 bytes/workgroup (compile time only)
; SGPRBlocks: 0
; VGPRBlocks: 0
; NumSGPRsForWavesPerEU: 6
; NumVGPRsForWavesPerEU: 1
; AccumOffset: 4
; Occupancy: 8
; WaveLimiterHint : 0
; COMPUTE_PGM_RSRC2:SCRATCH_EN: 0
; COMPUTE_PGM_RSRC2:USER_SGPR: 2
; COMPUTE_PGM_RSRC2:TRAP_HANDLER: 0
; COMPUTE_PGM_RSRC2:TGID_X_EN: 1
; COMPUTE_PGM_RSRC2:TGID_Y_EN: 0
; COMPUTE_PGM_RSRC2:TGID_Z_EN: 0
; COMPUTE_PGM_RSRC2:TIDIG_COMP_CNT: 0
; COMPUTE_PGM_RSRC3_GFX90A:ACCUM_OFFSET: 0
; COMPUTE_PGM_RSRC3_GFX90A:TG_SPLIT: 0
	.section	.text._ZN7rocprim17ROCPRIM_400000_NS6detail17trampoline_kernelINS0_14default_configENS1_25partition_config_selectorILNS1_17partition_subalgoE9EllbEEZZNS1_14partition_implILS5_9ELb0ES3_jPlS8_PNS0_10empty_typeENS0_5tupleIJS8_S9_EEENSB_IJS8_SA_EEENS0_18inequality_wrapperIZN2at6native12_GLOBAL__N_124unique_dim_cuda_templateIlEESt5tupleIJNSF_6TensorESK_SK_EERKSK_lbbbEUlllE0_EEPmJS9_EEE10hipError_tPvRmT3_T4_T5_T6_T7_T9_mT8_P12ihipStream_tbDpT10_ENKUlT_T0_E_clISt17integral_constantIbLb1EES1A_EEDaS15_S16_EUlS15_E_NS1_11comp_targetILNS1_3genE8ELNS1_11target_archE1030ELNS1_3gpuE2ELNS1_3repE0EEENS1_30default_config_static_selectorELNS0_4arch9wavefront6targetE1EEEvT1_,"axG",@progbits,_ZN7rocprim17ROCPRIM_400000_NS6detail17trampoline_kernelINS0_14default_configENS1_25partition_config_selectorILNS1_17partition_subalgoE9EllbEEZZNS1_14partition_implILS5_9ELb0ES3_jPlS8_PNS0_10empty_typeENS0_5tupleIJS8_S9_EEENSB_IJS8_SA_EEENS0_18inequality_wrapperIZN2at6native12_GLOBAL__N_124unique_dim_cuda_templateIlEESt5tupleIJNSF_6TensorESK_SK_EERKSK_lbbbEUlllE0_EEPmJS9_EEE10hipError_tPvRmT3_T4_T5_T6_T7_T9_mT8_P12ihipStream_tbDpT10_ENKUlT_T0_E_clISt17integral_constantIbLb1EES1A_EEDaS15_S16_EUlS15_E_NS1_11comp_targetILNS1_3genE8ELNS1_11target_archE1030ELNS1_3gpuE2ELNS1_3repE0EEENS1_30default_config_static_selectorELNS0_4arch9wavefront6targetE1EEEvT1_,comdat
	.globl	_ZN7rocprim17ROCPRIM_400000_NS6detail17trampoline_kernelINS0_14default_configENS1_25partition_config_selectorILNS1_17partition_subalgoE9EllbEEZZNS1_14partition_implILS5_9ELb0ES3_jPlS8_PNS0_10empty_typeENS0_5tupleIJS8_S9_EEENSB_IJS8_SA_EEENS0_18inequality_wrapperIZN2at6native12_GLOBAL__N_124unique_dim_cuda_templateIlEESt5tupleIJNSF_6TensorESK_SK_EERKSK_lbbbEUlllE0_EEPmJS9_EEE10hipError_tPvRmT3_T4_T5_T6_T7_T9_mT8_P12ihipStream_tbDpT10_ENKUlT_T0_E_clISt17integral_constantIbLb1EES1A_EEDaS15_S16_EUlS15_E_NS1_11comp_targetILNS1_3genE8ELNS1_11target_archE1030ELNS1_3gpuE2ELNS1_3repE0EEENS1_30default_config_static_selectorELNS0_4arch9wavefront6targetE1EEEvT1_ ; -- Begin function _ZN7rocprim17ROCPRIM_400000_NS6detail17trampoline_kernelINS0_14default_configENS1_25partition_config_selectorILNS1_17partition_subalgoE9EllbEEZZNS1_14partition_implILS5_9ELb0ES3_jPlS8_PNS0_10empty_typeENS0_5tupleIJS8_S9_EEENSB_IJS8_SA_EEENS0_18inequality_wrapperIZN2at6native12_GLOBAL__N_124unique_dim_cuda_templateIlEESt5tupleIJNSF_6TensorESK_SK_EERKSK_lbbbEUlllE0_EEPmJS9_EEE10hipError_tPvRmT3_T4_T5_T6_T7_T9_mT8_P12ihipStream_tbDpT10_ENKUlT_T0_E_clISt17integral_constantIbLb1EES1A_EEDaS15_S16_EUlS15_E_NS1_11comp_targetILNS1_3genE8ELNS1_11target_archE1030ELNS1_3gpuE2ELNS1_3repE0EEENS1_30default_config_static_selectorELNS0_4arch9wavefront6targetE1EEEvT1_
	.p2align	8
	.type	_ZN7rocprim17ROCPRIM_400000_NS6detail17trampoline_kernelINS0_14default_configENS1_25partition_config_selectorILNS1_17partition_subalgoE9EllbEEZZNS1_14partition_implILS5_9ELb0ES3_jPlS8_PNS0_10empty_typeENS0_5tupleIJS8_S9_EEENSB_IJS8_SA_EEENS0_18inequality_wrapperIZN2at6native12_GLOBAL__N_124unique_dim_cuda_templateIlEESt5tupleIJNSF_6TensorESK_SK_EERKSK_lbbbEUlllE0_EEPmJS9_EEE10hipError_tPvRmT3_T4_T5_T6_T7_T9_mT8_P12ihipStream_tbDpT10_ENKUlT_T0_E_clISt17integral_constantIbLb1EES1A_EEDaS15_S16_EUlS15_E_NS1_11comp_targetILNS1_3genE8ELNS1_11target_archE1030ELNS1_3gpuE2ELNS1_3repE0EEENS1_30default_config_static_selectorELNS0_4arch9wavefront6targetE1EEEvT1_,@function
_ZN7rocprim17ROCPRIM_400000_NS6detail17trampoline_kernelINS0_14default_configENS1_25partition_config_selectorILNS1_17partition_subalgoE9EllbEEZZNS1_14partition_implILS5_9ELb0ES3_jPlS8_PNS0_10empty_typeENS0_5tupleIJS8_S9_EEENSB_IJS8_SA_EEENS0_18inequality_wrapperIZN2at6native12_GLOBAL__N_124unique_dim_cuda_templateIlEESt5tupleIJNSF_6TensorESK_SK_EERKSK_lbbbEUlllE0_EEPmJS9_EEE10hipError_tPvRmT3_T4_T5_T6_T7_T9_mT8_P12ihipStream_tbDpT10_ENKUlT_T0_E_clISt17integral_constantIbLb1EES1A_EEDaS15_S16_EUlS15_E_NS1_11comp_targetILNS1_3genE8ELNS1_11target_archE1030ELNS1_3gpuE2ELNS1_3repE0EEENS1_30default_config_static_selectorELNS0_4arch9wavefront6targetE1EEEvT1_: ; @_ZN7rocprim17ROCPRIM_400000_NS6detail17trampoline_kernelINS0_14default_configENS1_25partition_config_selectorILNS1_17partition_subalgoE9EllbEEZZNS1_14partition_implILS5_9ELb0ES3_jPlS8_PNS0_10empty_typeENS0_5tupleIJS8_S9_EEENSB_IJS8_SA_EEENS0_18inequality_wrapperIZN2at6native12_GLOBAL__N_124unique_dim_cuda_templateIlEESt5tupleIJNSF_6TensorESK_SK_EERKSK_lbbbEUlllE0_EEPmJS9_EEE10hipError_tPvRmT3_T4_T5_T6_T7_T9_mT8_P12ihipStream_tbDpT10_ENKUlT_T0_E_clISt17integral_constantIbLb1EES1A_EEDaS15_S16_EUlS15_E_NS1_11comp_targetILNS1_3genE8ELNS1_11target_archE1030ELNS1_3gpuE2ELNS1_3repE0EEENS1_30default_config_static_selectorELNS0_4arch9wavefront6targetE1EEEvT1_
; %bb.0:
	.section	.rodata,"a",@progbits
	.p2align	6, 0x0
	.amdhsa_kernel _ZN7rocprim17ROCPRIM_400000_NS6detail17trampoline_kernelINS0_14default_configENS1_25partition_config_selectorILNS1_17partition_subalgoE9EllbEEZZNS1_14partition_implILS5_9ELb0ES3_jPlS8_PNS0_10empty_typeENS0_5tupleIJS8_S9_EEENSB_IJS8_SA_EEENS0_18inequality_wrapperIZN2at6native12_GLOBAL__N_124unique_dim_cuda_templateIlEESt5tupleIJNSF_6TensorESK_SK_EERKSK_lbbbEUlllE0_EEPmJS9_EEE10hipError_tPvRmT3_T4_T5_T6_T7_T9_mT8_P12ihipStream_tbDpT10_ENKUlT_T0_E_clISt17integral_constantIbLb1EES1A_EEDaS15_S16_EUlS15_E_NS1_11comp_targetILNS1_3genE8ELNS1_11target_archE1030ELNS1_3gpuE2ELNS1_3repE0EEENS1_30default_config_static_selectorELNS0_4arch9wavefront6targetE1EEEvT1_
		.amdhsa_group_segment_fixed_size 0
		.amdhsa_private_segment_fixed_size 0
		.amdhsa_kernarg_size 136
		.amdhsa_user_sgpr_count 2
		.amdhsa_user_sgpr_dispatch_ptr 0
		.amdhsa_user_sgpr_queue_ptr 0
		.amdhsa_user_sgpr_kernarg_segment_ptr 1
		.amdhsa_user_sgpr_dispatch_id 0
		.amdhsa_user_sgpr_kernarg_preload_length 0
		.amdhsa_user_sgpr_kernarg_preload_offset 0
		.amdhsa_user_sgpr_private_segment_size 0
		.amdhsa_uses_dynamic_stack 0
		.amdhsa_enable_private_segment 0
		.amdhsa_system_sgpr_workgroup_id_x 1
		.amdhsa_system_sgpr_workgroup_id_y 0
		.amdhsa_system_sgpr_workgroup_id_z 0
		.amdhsa_system_sgpr_workgroup_info 0
		.amdhsa_system_vgpr_workitem_id 0
		.amdhsa_next_free_vgpr 1
		.amdhsa_next_free_sgpr 0
		.amdhsa_accum_offset 4
		.amdhsa_reserve_vcc 0
		.amdhsa_float_round_mode_32 0
		.amdhsa_float_round_mode_16_64 0
		.amdhsa_float_denorm_mode_32 3
		.amdhsa_float_denorm_mode_16_64 3
		.amdhsa_dx10_clamp 1
		.amdhsa_ieee_mode 1
		.amdhsa_fp16_overflow 0
		.amdhsa_tg_split 0
		.amdhsa_exception_fp_ieee_invalid_op 0
		.amdhsa_exception_fp_denorm_src 0
		.amdhsa_exception_fp_ieee_div_zero 0
		.amdhsa_exception_fp_ieee_overflow 0
		.amdhsa_exception_fp_ieee_underflow 0
		.amdhsa_exception_fp_ieee_inexact 0
		.amdhsa_exception_int_div_zero 0
	.end_amdhsa_kernel
	.section	.text._ZN7rocprim17ROCPRIM_400000_NS6detail17trampoline_kernelINS0_14default_configENS1_25partition_config_selectorILNS1_17partition_subalgoE9EllbEEZZNS1_14partition_implILS5_9ELb0ES3_jPlS8_PNS0_10empty_typeENS0_5tupleIJS8_S9_EEENSB_IJS8_SA_EEENS0_18inequality_wrapperIZN2at6native12_GLOBAL__N_124unique_dim_cuda_templateIlEESt5tupleIJNSF_6TensorESK_SK_EERKSK_lbbbEUlllE0_EEPmJS9_EEE10hipError_tPvRmT3_T4_T5_T6_T7_T9_mT8_P12ihipStream_tbDpT10_ENKUlT_T0_E_clISt17integral_constantIbLb1EES1A_EEDaS15_S16_EUlS15_E_NS1_11comp_targetILNS1_3genE8ELNS1_11target_archE1030ELNS1_3gpuE2ELNS1_3repE0EEENS1_30default_config_static_selectorELNS0_4arch9wavefront6targetE1EEEvT1_,"axG",@progbits,_ZN7rocprim17ROCPRIM_400000_NS6detail17trampoline_kernelINS0_14default_configENS1_25partition_config_selectorILNS1_17partition_subalgoE9EllbEEZZNS1_14partition_implILS5_9ELb0ES3_jPlS8_PNS0_10empty_typeENS0_5tupleIJS8_S9_EEENSB_IJS8_SA_EEENS0_18inequality_wrapperIZN2at6native12_GLOBAL__N_124unique_dim_cuda_templateIlEESt5tupleIJNSF_6TensorESK_SK_EERKSK_lbbbEUlllE0_EEPmJS9_EEE10hipError_tPvRmT3_T4_T5_T6_T7_T9_mT8_P12ihipStream_tbDpT10_ENKUlT_T0_E_clISt17integral_constantIbLb1EES1A_EEDaS15_S16_EUlS15_E_NS1_11comp_targetILNS1_3genE8ELNS1_11target_archE1030ELNS1_3gpuE2ELNS1_3repE0EEENS1_30default_config_static_selectorELNS0_4arch9wavefront6targetE1EEEvT1_,comdat
.Lfunc_end610:
	.size	_ZN7rocprim17ROCPRIM_400000_NS6detail17trampoline_kernelINS0_14default_configENS1_25partition_config_selectorILNS1_17partition_subalgoE9EllbEEZZNS1_14partition_implILS5_9ELb0ES3_jPlS8_PNS0_10empty_typeENS0_5tupleIJS8_S9_EEENSB_IJS8_SA_EEENS0_18inequality_wrapperIZN2at6native12_GLOBAL__N_124unique_dim_cuda_templateIlEESt5tupleIJNSF_6TensorESK_SK_EERKSK_lbbbEUlllE0_EEPmJS9_EEE10hipError_tPvRmT3_T4_T5_T6_T7_T9_mT8_P12ihipStream_tbDpT10_ENKUlT_T0_E_clISt17integral_constantIbLb1EES1A_EEDaS15_S16_EUlS15_E_NS1_11comp_targetILNS1_3genE8ELNS1_11target_archE1030ELNS1_3gpuE2ELNS1_3repE0EEENS1_30default_config_static_selectorELNS0_4arch9wavefront6targetE1EEEvT1_, .Lfunc_end610-_ZN7rocprim17ROCPRIM_400000_NS6detail17trampoline_kernelINS0_14default_configENS1_25partition_config_selectorILNS1_17partition_subalgoE9EllbEEZZNS1_14partition_implILS5_9ELb0ES3_jPlS8_PNS0_10empty_typeENS0_5tupleIJS8_S9_EEENSB_IJS8_SA_EEENS0_18inequality_wrapperIZN2at6native12_GLOBAL__N_124unique_dim_cuda_templateIlEESt5tupleIJNSF_6TensorESK_SK_EERKSK_lbbbEUlllE0_EEPmJS9_EEE10hipError_tPvRmT3_T4_T5_T6_T7_T9_mT8_P12ihipStream_tbDpT10_ENKUlT_T0_E_clISt17integral_constantIbLb1EES1A_EEDaS15_S16_EUlS15_E_NS1_11comp_targetILNS1_3genE8ELNS1_11target_archE1030ELNS1_3gpuE2ELNS1_3repE0EEENS1_30default_config_static_selectorELNS0_4arch9wavefront6targetE1EEEvT1_
                                        ; -- End function
	.set _ZN7rocprim17ROCPRIM_400000_NS6detail17trampoline_kernelINS0_14default_configENS1_25partition_config_selectorILNS1_17partition_subalgoE9EllbEEZZNS1_14partition_implILS5_9ELb0ES3_jPlS8_PNS0_10empty_typeENS0_5tupleIJS8_S9_EEENSB_IJS8_SA_EEENS0_18inequality_wrapperIZN2at6native12_GLOBAL__N_124unique_dim_cuda_templateIlEESt5tupleIJNSF_6TensorESK_SK_EERKSK_lbbbEUlllE0_EEPmJS9_EEE10hipError_tPvRmT3_T4_T5_T6_T7_T9_mT8_P12ihipStream_tbDpT10_ENKUlT_T0_E_clISt17integral_constantIbLb1EES1A_EEDaS15_S16_EUlS15_E_NS1_11comp_targetILNS1_3genE8ELNS1_11target_archE1030ELNS1_3gpuE2ELNS1_3repE0EEENS1_30default_config_static_selectorELNS0_4arch9wavefront6targetE1EEEvT1_.num_vgpr, 0
	.set _ZN7rocprim17ROCPRIM_400000_NS6detail17trampoline_kernelINS0_14default_configENS1_25partition_config_selectorILNS1_17partition_subalgoE9EllbEEZZNS1_14partition_implILS5_9ELb0ES3_jPlS8_PNS0_10empty_typeENS0_5tupleIJS8_S9_EEENSB_IJS8_SA_EEENS0_18inequality_wrapperIZN2at6native12_GLOBAL__N_124unique_dim_cuda_templateIlEESt5tupleIJNSF_6TensorESK_SK_EERKSK_lbbbEUlllE0_EEPmJS9_EEE10hipError_tPvRmT3_T4_T5_T6_T7_T9_mT8_P12ihipStream_tbDpT10_ENKUlT_T0_E_clISt17integral_constantIbLb1EES1A_EEDaS15_S16_EUlS15_E_NS1_11comp_targetILNS1_3genE8ELNS1_11target_archE1030ELNS1_3gpuE2ELNS1_3repE0EEENS1_30default_config_static_selectorELNS0_4arch9wavefront6targetE1EEEvT1_.num_agpr, 0
	.set _ZN7rocprim17ROCPRIM_400000_NS6detail17trampoline_kernelINS0_14default_configENS1_25partition_config_selectorILNS1_17partition_subalgoE9EllbEEZZNS1_14partition_implILS5_9ELb0ES3_jPlS8_PNS0_10empty_typeENS0_5tupleIJS8_S9_EEENSB_IJS8_SA_EEENS0_18inequality_wrapperIZN2at6native12_GLOBAL__N_124unique_dim_cuda_templateIlEESt5tupleIJNSF_6TensorESK_SK_EERKSK_lbbbEUlllE0_EEPmJS9_EEE10hipError_tPvRmT3_T4_T5_T6_T7_T9_mT8_P12ihipStream_tbDpT10_ENKUlT_T0_E_clISt17integral_constantIbLb1EES1A_EEDaS15_S16_EUlS15_E_NS1_11comp_targetILNS1_3genE8ELNS1_11target_archE1030ELNS1_3gpuE2ELNS1_3repE0EEENS1_30default_config_static_selectorELNS0_4arch9wavefront6targetE1EEEvT1_.numbered_sgpr, 0
	.set _ZN7rocprim17ROCPRIM_400000_NS6detail17trampoline_kernelINS0_14default_configENS1_25partition_config_selectorILNS1_17partition_subalgoE9EllbEEZZNS1_14partition_implILS5_9ELb0ES3_jPlS8_PNS0_10empty_typeENS0_5tupleIJS8_S9_EEENSB_IJS8_SA_EEENS0_18inequality_wrapperIZN2at6native12_GLOBAL__N_124unique_dim_cuda_templateIlEESt5tupleIJNSF_6TensorESK_SK_EERKSK_lbbbEUlllE0_EEPmJS9_EEE10hipError_tPvRmT3_T4_T5_T6_T7_T9_mT8_P12ihipStream_tbDpT10_ENKUlT_T0_E_clISt17integral_constantIbLb1EES1A_EEDaS15_S16_EUlS15_E_NS1_11comp_targetILNS1_3genE8ELNS1_11target_archE1030ELNS1_3gpuE2ELNS1_3repE0EEENS1_30default_config_static_selectorELNS0_4arch9wavefront6targetE1EEEvT1_.num_named_barrier, 0
	.set _ZN7rocprim17ROCPRIM_400000_NS6detail17trampoline_kernelINS0_14default_configENS1_25partition_config_selectorILNS1_17partition_subalgoE9EllbEEZZNS1_14partition_implILS5_9ELb0ES3_jPlS8_PNS0_10empty_typeENS0_5tupleIJS8_S9_EEENSB_IJS8_SA_EEENS0_18inequality_wrapperIZN2at6native12_GLOBAL__N_124unique_dim_cuda_templateIlEESt5tupleIJNSF_6TensorESK_SK_EERKSK_lbbbEUlllE0_EEPmJS9_EEE10hipError_tPvRmT3_T4_T5_T6_T7_T9_mT8_P12ihipStream_tbDpT10_ENKUlT_T0_E_clISt17integral_constantIbLb1EES1A_EEDaS15_S16_EUlS15_E_NS1_11comp_targetILNS1_3genE8ELNS1_11target_archE1030ELNS1_3gpuE2ELNS1_3repE0EEENS1_30default_config_static_selectorELNS0_4arch9wavefront6targetE1EEEvT1_.private_seg_size, 0
	.set _ZN7rocprim17ROCPRIM_400000_NS6detail17trampoline_kernelINS0_14default_configENS1_25partition_config_selectorILNS1_17partition_subalgoE9EllbEEZZNS1_14partition_implILS5_9ELb0ES3_jPlS8_PNS0_10empty_typeENS0_5tupleIJS8_S9_EEENSB_IJS8_SA_EEENS0_18inequality_wrapperIZN2at6native12_GLOBAL__N_124unique_dim_cuda_templateIlEESt5tupleIJNSF_6TensorESK_SK_EERKSK_lbbbEUlllE0_EEPmJS9_EEE10hipError_tPvRmT3_T4_T5_T6_T7_T9_mT8_P12ihipStream_tbDpT10_ENKUlT_T0_E_clISt17integral_constantIbLb1EES1A_EEDaS15_S16_EUlS15_E_NS1_11comp_targetILNS1_3genE8ELNS1_11target_archE1030ELNS1_3gpuE2ELNS1_3repE0EEENS1_30default_config_static_selectorELNS0_4arch9wavefront6targetE1EEEvT1_.uses_vcc, 0
	.set _ZN7rocprim17ROCPRIM_400000_NS6detail17trampoline_kernelINS0_14default_configENS1_25partition_config_selectorILNS1_17partition_subalgoE9EllbEEZZNS1_14partition_implILS5_9ELb0ES3_jPlS8_PNS0_10empty_typeENS0_5tupleIJS8_S9_EEENSB_IJS8_SA_EEENS0_18inequality_wrapperIZN2at6native12_GLOBAL__N_124unique_dim_cuda_templateIlEESt5tupleIJNSF_6TensorESK_SK_EERKSK_lbbbEUlllE0_EEPmJS9_EEE10hipError_tPvRmT3_T4_T5_T6_T7_T9_mT8_P12ihipStream_tbDpT10_ENKUlT_T0_E_clISt17integral_constantIbLb1EES1A_EEDaS15_S16_EUlS15_E_NS1_11comp_targetILNS1_3genE8ELNS1_11target_archE1030ELNS1_3gpuE2ELNS1_3repE0EEENS1_30default_config_static_selectorELNS0_4arch9wavefront6targetE1EEEvT1_.uses_flat_scratch, 0
	.set _ZN7rocprim17ROCPRIM_400000_NS6detail17trampoline_kernelINS0_14default_configENS1_25partition_config_selectorILNS1_17partition_subalgoE9EllbEEZZNS1_14partition_implILS5_9ELb0ES3_jPlS8_PNS0_10empty_typeENS0_5tupleIJS8_S9_EEENSB_IJS8_SA_EEENS0_18inequality_wrapperIZN2at6native12_GLOBAL__N_124unique_dim_cuda_templateIlEESt5tupleIJNSF_6TensorESK_SK_EERKSK_lbbbEUlllE0_EEPmJS9_EEE10hipError_tPvRmT3_T4_T5_T6_T7_T9_mT8_P12ihipStream_tbDpT10_ENKUlT_T0_E_clISt17integral_constantIbLb1EES1A_EEDaS15_S16_EUlS15_E_NS1_11comp_targetILNS1_3genE8ELNS1_11target_archE1030ELNS1_3gpuE2ELNS1_3repE0EEENS1_30default_config_static_selectorELNS0_4arch9wavefront6targetE1EEEvT1_.has_dyn_sized_stack, 0
	.set _ZN7rocprim17ROCPRIM_400000_NS6detail17trampoline_kernelINS0_14default_configENS1_25partition_config_selectorILNS1_17partition_subalgoE9EllbEEZZNS1_14partition_implILS5_9ELb0ES3_jPlS8_PNS0_10empty_typeENS0_5tupleIJS8_S9_EEENSB_IJS8_SA_EEENS0_18inequality_wrapperIZN2at6native12_GLOBAL__N_124unique_dim_cuda_templateIlEESt5tupleIJNSF_6TensorESK_SK_EERKSK_lbbbEUlllE0_EEPmJS9_EEE10hipError_tPvRmT3_T4_T5_T6_T7_T9_mT8_P12ihipStream_tbDpT10_ENKUlT_T0_E_clISt17integral_constantIbLb1EES1A_EEDaS15_S16_EUlS15_E_NS1_11comp_targetILNS1_3genE8ELNS1_11target_archE1030ELNS1_3gpuE2ELNS1_3repE0EEENS1_30default_config_static_selectorELNS0_4arch9wavefront6targetE1EEEvT1_.has_recursion, 0
	.set _ZN7rocprim17ROCPRIM_400000_NS6detail17trampoline_kernelINS0_14default_configENS1_25partition_config_selectorILNS1_17partition_subalgoE9EllbEEZZNS1_14partition_implILS5_9ELb0ES3_jPlS8_PNS0_10empty_typeENS0_5tupleIJS8_S9_EEENSB_IJS8_SA_EEENS0_18inequality_wrapperIZN2at6native12_GLOBAL__N_124unique_dim_cuda_templateIlEESt5tupleIJNSF_6TensorESK_SK_EERKSK_lbbbEUlllE0_EEPmJS9_EEE10hipError_tPvRmT3_T4_T5_T6_T7_T9_mT8_P12ihipStream_tbDpT10_ENKUlT_T0_E_clISt17integral_constantIbLb1EES1A_EEDaS15_S16_EUlS15_E_NS1_11comp_targetILNS1_3genE8ELNS1_11target_archE1030ELNS1_3gpuE2ELNS1_3repE0EEENS1_30default_config_static_selectorELNS0_4arch9wavefront6targetE1EEEvT1_.has_indirect_call, 0
	.section	.AMDGPU.csdata,"",@progbits
; Kernel info:
; codeLenInByte = 0
; TotalNumSgprs: 6
; NumVgprs: 0
; NumAgprs: 0
; TotalNumVgprs: 0
; ScratchSize: 0
; MemoryBound: 0
; FloatMode: 240
; IeeeMode: 1
; LDSByteSize: 0 bytes/workgroup (compile time only)
; SGPRBlocks: 0
; VGPRBlocks: 0
; NumSGPRsForWavesPerEU: 6
; NumVGPRsForWavesPerEU: 1
; AccumOffset: 4
; Occupancy: 8
; WaveLimiterHint : 0
; COMPUTE_PGM_RSRC2:SCRATCH_EN: 0
; COMPUTE_PGM_RSRC2:USER_SGPR: 2
; COMPUTE_PGM_RSRC2:TRAP_HANDLER: 0
; COMPUTE_PGM_RSRC2:TGID_X_EN: 1
; COMPUTE_PGM_RSRC2:TGID_Y_EN: 0
; COMPUTE_PGM_RSRC2:TGID_Z_EN: 0
; COMPUTE_PGM_RSRC2:TIDIG_COMP_CNT: 0
; COMPUTE_PGM_RSRC3_GFX90A:ACCUM_OFFSET: 0
; COMPUTE_PGM_RSRC3_GFX90A:TG_SPLIT: 0
	.section	.text._ZN7rocprim17ROCPRIM_400000_NS6detail17trampoline_kernelINS0_14default_configENS1_25partition_config_selectorILNS1_17partition_subalgoE9EllbEEZZNS1_14partition_implILS5_9ELb0ES3_jPlS8_PNS0_10empty_typeENS0_5tupleIJS8_S9_EEENSB_IJS8_SA_EEENS0_18inequality_wrapperIZN2at6native12_GLOBAL__N_124unique_dim_cuda_templateIlEESt5tupleIJNSF_6TensorESK_SK_EERKSK_lbbbEUlllE0_EEPmJS9_EEE10hipError_tPvRmT3_T4_T5_T6_T7_T9_mT8_P12ihipStream_tbDpT10_ENKUlT_T0_E_clISt17integral_constantIbLb1EES19_IbLb0EEEEDaS15_S16_EUlS15_E_NS1_11comp_targetILNS1_3genE0ELNS1_11target_archE4294967295ELNS1_3gpuE0ELNS1_3repE0EEENS1_30default_config_static_selectorELNS0_4arch9wavefront6targetE1EEEvT1_,"axG",@progbits,_ZN7rocprim17ROCPRIM_400000_NS6detail17trampoline_kernelINS0_14default_configENS1_25partition_config_selectorILNS1_17partition_subalgoE9EllbEEZZNS1_14partition_implILS5_9ELb0ES3_jPlS8_PNS0_10empty_typeENS0_5tupleIJS8_S9_EEENSB_IJS8_SA_EEENS0_18inequality_wrapperIZN2at6native12_GLOBAL__N_124unique_dim_cuda_templateIlEESt5tupleIJNSF_6TensorESK_SK_EERKSK_lbbbEUlllE0_EEPmJS9_EEE10hipError_tPvRmT3_T4_T5_T6_T7_T9_mT8_P12ihipStream_tbDpT10_ENKUlT_T0_E_clISt17integral_constantIbLb1EES19_IbLb0EEEEDaS15_S16_EUlS15_E_NS1_11comp_targetILNS1_3genE0ELNS1_11target_archE4294967295ELNS1_3gpuE0ELNS1_3repE0EEENS1_30default_config_static_selectorELNS0_4arch9wavefront6targetE1EEEvT1_,comdat
	.globl	_ZN7rocprim17ROCPRIM_400000_NS6detail17trampoline_kernelINS0_14default_configENS1_25partition_config_selectorILNS1_17partition_subalgoE9EllbEEZZNS1_14partition_implILS5_9ELb0ES3_jPlS8_PNS0_10empty_typeENS0_5tupleIJS8_S9_EEENSB_IJS8_SA_EEENS0_18inequality_wrapperIZN2at6native12_GLOBAL__N_124unique_dim_cuda_templateIlEESt5tupleIJNSF_6TensorESK_SK_EERKSK_lbbbEUlllE0_EEPmJS9_EEE10hipError_tPvRmT3_T4_T5_T6_T7_T9_mT8_P12ihipStream_tbDpT10_ENKUlT_T0_E_clISt17integral_constantIbLb1EES19_IbLb0EEEEDaS15_S16_EUlS15_E_NS1_11comp_targetILNS1_3genE0ELNS1_11target_archE4294967295ELNS1_3gpuE0ELNS1_3repE0EEENS1_30default_config_static_selectorELNS0_4arch9wavefront6targetE1EEEvT1_ ; -- Begin function _ZN7rocprim17ROCPRIM_400000_NS6detail17trampoline_kernelINS0_14default_configENS1_25partition_config_selectorILNS1_17partition_subalgoE9EllbEEZZNS1_14partition_implILS5_9ELb0ES3_jPlS8_PNS0_10empty_typeENS0_5tupleIJS8_S9_EEENSB_IJS8_SA_EEENS0_18inequality_wrapperIZN2at6native12_GLOBAL__N_124unique_dim_cuda_templateIlEESt5tupleIJNSF_6TensorESK_SK_EERKSK_lbbbEUlllE0_EEPmJS9_EEE10hipError_tPvRmT3_T4_T5_T6_T7_T9_mT8_P12ihipStream_tbDpT10_ENKUlT_T0_E_clISt17integral_constantIbLb1EES19_IbLb0EEEEDaS15_S16_EUlS15_E_NS1_11comp_targetILNS1_3genE0ELNS1_11target_archE4294967295ELNS1_3gpuE0ELNS1_3repE0EEENS1_30default_config_static_selectorELNS0_4arch9wavefront6targetE1EEEvT1_
	.p2align	8
	.type	_ZN7rocprim17ROCPRIM_400000_NS6detail17trampoline_kernelINS0_14default_configENS1_25partition_config_selectorILNS1_17partition_subalgoE9EllbEEZZNS1_14partition_implILS5_9ELb0ES3_jPlS8_PNS0_10empty_typeENS0_5tupleIJS8_S9_EEENSB_IJS8_SA_EEENS0_18inequality_wrapperIZN2at6native12_GLOBAL__N_124unique_dim_cuda_templateIlEESt5tupleIJNSF_6TensorESK_SK_EERKSK_lbbbEUlllE0_EEPmJS9_EEE10hipError_tPvRmT3_T4_T5_T6_T7_T9_mT8_P12ihipStream_tbDpT10_ENKUlT_T0_E_clISt17integral_constantIbLb1EES19_IbLb0EEEEDaS15_S16_EUlS15_E_NS1_11comp_targetILNS1_3genE0ELNS1_11target_archE4294967295ELNS1_3gpuE0ELNS1_3repE0EEENS1_30default_config_static_selectorELNS0_4arch9wavefront6targetE1EEEvT1_,@function
_ZN7rocprim17ROCPRIM_400000_NS6detail17trampoline_kernelINS0_14default_configENS1_25partition_config_selectorILNS1_17partition_subalgoE9EllbEEZZNS1_14partition_implILS5_9ELb0ES3_jPlS8_PNS0_10empty_typeENS0_5tupleIJS8_S9_EEENSB_IJS8_SA_EEENS0_18inequality_wrapperIZN2at6native12_GLOBAL__N_124unique_dim_cuda_templateIlEESt5tupleIJNSF_6TensorESK_SK_EERKSK_lbbbEUlllE0_EEPmJS9_EEE10hipError_tPvRmT3_T4_T5_T6_T7_T9_mT8_P12ihipStream_tbDpT10_ENKUlT_T0_E_clISt17integral_constantIbLb1EES19_IbLb0EEEEDaS15_S16_EUlS15_E_NS1_11comp_targetILNS1_3genE0ELNS1_11target_archE4294967295ELNS1_3gpuE0ELNS1_3repE0EEENS1_30default_config_static_selectorELNS0_4arch9wavefront6targetE1EEEvT1_: ; @_ZN7rocprim17ROCPRIM_400000_NS6detail17trampoline_kernelINS0_14default_configENS1_25partition_config_selectorILNS1_17partition_subalgoE9EllbEEZZNS1_14partition_implILS5_9ELb0ES3_jPlS8_PNS0_10empty_typeENS0_5tupleIJS8_S9_EEENSB_IJS8_SA_EEENS0_18inequality_wrapperIZN2at6native12_GLOBAL__N_124unique_dim_cuda_templateIlEESt5tupleIJNSF_6TensorESK_SK_EERKSK_lbbbEUlllE0_EEPmJS9_EEE10hipError_tPvRmT3_T4_T5_T6_T7_T9_mT8_P12ihipStream_tbDpT10_ENKUlT_T0_E_clISt17integral_constantIbLb1EES19_IbLb0EEEEDaS15_S16_EUlS15_E_NS1_11comp_targetILNS1_3genE0ELNS1_11target_archE4294967295ELNS1_3gpuE0ELNS1_3repE0EEENS1_30default_config_static_selectorELNS0_4arch9wavefront6targetE1EEEvT1_
; %bb.0:
	s_endpgm
	.section	.rodata,"a",@progbits
	.p2align	6, 0x0
	.amdhsa_kernel _ZN7rocprim17ROCPRIM_400000_NS6detail17trampoline_kernelINS0_14default_configENS1_25partition_config_selectorILNS1_17partition_subalgoE9EllbEEZZNS1_14partition_implILS5_9ELb0ES3_jPlS8_PNS0_10empty_typeENS0_5tupleIJS8_S9_EEENSB_IJS8_SA_EEENS0_18inequality_wrapperIZN2at6native12_GLOBAL__N_124unique_dim_cuda_templateIlEESt5tupleIJNSF_6TensorESK_SK_EERKSK_lbbbEUlllE0_EEPmJS9_EEE10hipError_tPvRmT3_T4_T5_T6_T7_T9_mT8_P12ihipStream_tbDpT10_ENKUlT_T0_E_clISt17integral_constantIbLb1EES19_IbLb0EEEEDaS15_S16_EUlS15_E_NS1_11comp_targetILNS1_3genE0ELNS1_11target_archE4294967295ELNS1_3gpuE0ELNS1_3repE0EEENS1_30default_config_static_selectorELNS0_4arch9wavefront6targetE1EEEvT1_
		.amdhsa_group_segment_fixed_size 0
		.amdhsa_private_segment_fixed_size 0
		.amdhsa_kernarg_size 120
		.amdhsa_user_sgpr_count 2
		.amdhsa_user_sgpr_dispatch_ptr 0
		.amdhsa_user_sgpr_queue_ptr 0
		.amdhsa_user_sgpr_kernarg_segment_ptr 1
		.amdhsa_user_sgpr_dispatch_id 0
		.amdhsa_user_sgpr_kernarg_preload_length 0
		.amdhsa_user_sgpr_kernarg_preload_offset 0
		.amdhsa_user_sgpr_private_segment_size 0
		.amdhsa_uses_dynamic_stack 0
		.amdhsa_enable_private_segment 0
		.amdhsa_system_sgpr_workgroup_id_x 1
		.amdhsa_system_sgpr_workgroup_id_y 0
		.amdhsa_system_sgpr_workgroup_id_z 0
		.amdhsa_system_sgpr_workgroup_info 0
		.amdhsa_system_vgpr_workitem_id 0
		.amdhsa_next_free_vgpr 1
		.amdhsa_next_free_sgpr 0
		.amdhsa_accum_offset 4
		.amdhsa_reserve_vcc 0
		.amdhsa_float_round_mode_32 0
		.amdhsa_float_round_mode_16_64 0
		.amdhsa_float_denorm_mode_32 3
		.amdhsa_float_denorm_mode_16_64 3
		.amdhsa_dx10_clamp 1
		.amdhsa_ieee_mode 1
		.amdhsa_fp16_overflow 0
		.amdhsa_tg_split 0
		.amdhsa_exception_fp_ieee_invalid_op 0
		.amdhsa_exception_fp_denorm_src 0
		.amdhsa_exception_fp_ieee_div_zero 0
		.amdhsa_exception_fp_ieee_overflow 0
		.amdhsa_exception_fp_ieee_underflow 0
		.amdhsa_exception_fp_ieee_inexact 0
		.amdhsa_exception_int_div_zero 0
	.end_amdhsa_kernel
	.section	.text._ZN7rocprim17ROCPRIM_400000_NS6detail17trampoline_kernelINS0_14default_configENS1_25partition_config_selectorILNS1_17partition_subalgoE9EllbEEZZNS1_14partition_implILS5_9ELb0ES3_jPlS8_PNS0_10empty_typeENS0_5tupleIJS8_S9_EEENSB_IJS8_SA_EEENS0_18inequality_wrapperIZN2at6native12_GLOBAL__N_124unique_dim_cuda_templateIlEESt5tupleIJNSF_6TensorESK_SK_EERKSK_lbbbEUlllE0_EEPmJS9_EEE10hipError_tPvRmT3_T4_T5_T6_T7_T9_mT8_P12ihipStream_tbDpT10_ENKUlT_T0_E_clISt17integral_constantIbLb1EES19_IbLb0EEEEDaS15_S16_EUlS15_E_NS1_11comp_targetILNS1_3genE0ELNS1_11target_archE4294967295ELNS1_3gpuE0ELNS1_3repE0EEENS1_30default_config_static_selectorELNS0_4arch9wavefront6targetE1EEEvT1_,"axG",@progbits,_ZN7rocprim17ROCPRIM_400000_NS6detail17trampoline_kernelINS0_14default_configENS1_25partition_config_selectorILNS1_17partition_subalgoE9EllbEEZZNS1_14partition_implILS5_9ELb0ES3_jPlS8_PNS0_10empty_typeENS0_5tupleIJS8_S9_EEENSB_IJS8_SA_EEENS0_18inequality_wrapperIZN2at6native12_GLOBAL__N_124unique_dim_cuda_templateIlEESt5tupleIJNSF_6TensorESK_SK_EERKSK_lbbbEUlllE0_EEPmJS9_EEE10hipError_tPvRmT3_T4_T5_T6_T7_T9_mT8_P12ihipStream_tbDpT10_ENKUlT_T0_E_clISt17integral_constantIbLb1EES19_IbLb0EEEEDaS15_S16_EUlS15_E_NS1_11comp_targetILNS1_3genE0ELNS1_11target_archE4294967295ELNS1_3gpuE0ELNS1_3repE0EEENS1_30default_config_static_selectorELNS0_4arch9wavefront6targetE1EEEvT1_,comdat
.Lfunc_end611:
	.size	_ZN7rocprim17ROCPRIM_400000_NS6detail17trampoline_kernelINS0_14default_configENS1_25partition_config_selectorILNS1_17partition_subalgoE9EllbEEZZNS1_14partition_implILS5_9ELb0ES3_jPlS8_PNS0_10empty_typeENS0_5tupleIJS8_S9_EEENSB_IJS8_SA_EEENS0_18inequality_wrapperIZN2at6native12_GLOBAL__N_124unique_dim_cuda_templateIlEESt5tupleIJNSF_6TensorESK_SK_EERKSK_lbbbEUlllE0_EEPmJS9_EEE10hipError_tPvRmT3_T4_T5_T6_T7_T9_mT8_P12ihipStream_tbDpT10_ENKUlT_T0_E_clISt17integral_constantIbLb1EES19_IbLb0EEEEDaS15_S16_EUlS15_E_NS1_11comp_targetILNS1_3genE0ELNS1_11target_archE4294967295ELNS1_3gpuE0ELNS1_3repE0EEENS1_30default_config_static_selectorELNS0_4arch9wavefront6targetE1EEEvT1_, .Lfunc_end611-_ZN7rocprim17ROCPRIM_400000_NS6detail17trampoline_kernelINS0_14default_configENS1_25partition_config_selectorILNS1_17partition_subalgoE9EllbEEZZNS1_14partition_implILS5_9ELb0ES3_jPlS8_PNS0_10empty_typeENS0_5tupleIJS8_S9_EEENSB_IJS8_SA_EEENS0_18inequality_wrapperIZN2at6native12_GLOBAL__N_124unique_dim_cuda_templateIlEESt5tupleIJNSF_6TensorESK_SK_EERKSK_lbbbEUlllE0_EEPmJS9_EEE10hipError_tPvRmT3_T4_T5_T6_T7_T9_mT8_P12ihipStream_tbDpT10_ENKUlT_T0_E_clISt17integral_constantIbLb1EES19_IbLb0EEEEDaS15_S16_EUlS15_E_NS1_11comp_targetILNS1_3genE0ELNS1_11target_archE4294967295ELNS1_3gpuE0ELNS1_3repE0EEENS1_30default_config_static_selectorELNS0_4arch9wavefront6targetE1EEEvT1_
                                        ; -- End function
	.set _ZN7rocprim17ROCPRIM_400000_NS6detail17trampoline_kernelINS0_14default_configENS1_25partition_config_selectorILNS1_17partition_subalgoE9EllbEEZZNS1_14partition_implILS5_9ELb0ES3_jPlS8_PNS0_10empty_typeENS0_5tupleIJS8_S9_EEENSB_IJS8_SA_EEENS0_18inequality_wrapperIZN2at6native12_GLOBAL__N_124unique_dim_cuda_templateIlEESt5tupleIJNSF_6TensorESK_SK_EERKSK_lbbbEUlllE0_EEPmJS9_EEE10hipError_tPvRmT3_T4_T5_T6_T7_T9_mT8_P12ihipStream_tbDpT10_ENKUlT_T0_E_clISt17integral_constantIbLb1EES19_IbLb0EEEEDaS15_S16_EUlS15_E_NS1_11comp_targetILNS1_3genE0ELNS1_11target_archE4294967295ELNS1_3gpuE0ELNS1_3repE0EEENS1_30default_config_static_selectorELNS0_4arch9wavefront6targetE1EEEvT1_.num_vgpr, 0
	.set _ZN7rocprim17ROCPRIM_400000_NS6detail17trampoline_kernelINS0_14default_configENS1_25partition_config_selectorILNS1_17partition_subalgoE9EllbEEZZNS1_14partition_implILS5_9ELb0ES3_jPlS8_PNS0_10empty_typeENS0_5tupleIJS8_S9_EEENSB_IJS8_SA_EEENS0_18inequality_wrapperIZN2at6native12_GLOBAL__N_124unique_dim_cuda_templateIlEESt5tupleIJNSF_6TensorESK_SK_EERKSK_lbbbEUlllE0_EEPmJS9_EEE10hipError_tPvRmT3_T4_T5_T6_T7_T9_mT8_P12ihipStream_tbDpT10_ENKUlT_T0_E_clISt17integral_constantIbLb1EES19_IbLb0EEEEDaS15_S16_EUlS15_E_NS1_11comp_targetILNS1_3genE0ELNS1_11target_archE4294967295ELNS1_3gpuE0ELNS1_3repE0EEENS1_30default_config_static_selectorELNS0_4arch9wavefront6targetE1EEEvT1_.num_agpr, 0
	.set _ZN7rocprim17ROCPRIM_400000_NS6detail17trampoline_kernelINS0_14default_configENS1_25partition_config_selectorILNS1_17partition_subalgoE9EllbEEZZNS1_14partition_implILS5_9ELb0ES3_jPlS8_PNS0_10empty_typeENS0_5tupleIJS8_S9_EEENSB_IJS8_SA_EEENS0_18inequality_wrapperIZN2at6native12_GLOBAL__N_124unique_dim_cuda_templateIlEESt5tupleIJNSF_6TensorESK_SK_EERKSK_lbbbEUlllE0_EEPmJS9_EEE10hipError_tPvRmT3_T4_T5_T6_T7_T9_mT8_P12ihipStream_tbDpT10_ENKUlT_T0_E_clISt17integral_constantIbLb1EES19_IbLb0EEEEDaS15_S16_EUlS15_E_NS1_11comp_targetILNS1_3genE0ELNS1_11target_archE4294967295ELNS1_3gpuE0ELNS1_3repE0EEENS1_30default_config_static_selectorELNS0_4arch9wavefront6targetE1EEEvT1_.numbered_sgpr, 0
	.set _ZN7rocprim17ROCPRIM_400000_NS6detail17trampoline_kernelINS0_14default_configENS1_25partition_config_selectorILNS1_17partition_subalgoE9EllbEEZZNS1_14partition_implILS5_9ELb0ES3_jPlS8_PNS0_10empty_typeENS0_5tupleIJS8_S9_EEENSB_IJS8_SA_EEENS0_18inequality_wrapperIZN2at6native12_GLOBAL__N_124unique_dim_cuda_templateIlEESt5tupleIJNSF_6TensorESK_SK_EERKSK_lbbbEUlllE0_EEPmJS9_EEE10hipError_tPvRmT3_T4_T5_T6_T7_T9_mT8_P12ihipStream_tbDpT10_ENKUlT_T0_E_clISt17integral_constantIbLb1EES19_IbLb0EEEEDaS15_S16_EUlS15_E_NS1_11comp_targetILNS1_3genE0ELNS1_11target_archE4294967295ELNS1_3gpuE0ELNS1_3repE0EEENS1_30default_config_static_selectorELNS0_4arch9wavefront6targetE1EEEvT1_.num_named_barrier, 0
	.set _ZN7rocprim17ROCPRIM_400000_NS6detail17trampoline_kernelINS0_14default_configENS1_25partition_config_selectorILNS1_17partition_subalgoE9EllbEEZZNS1_14partition_implILS5_9ELb0ES3_jPlS8_PNS0_10empty_typeENS0_5tupleIJS8_S9_EEENSB_IJS8_SA_EEENS0_18inequality_wrapperIZN2at6native12_GLOBAL__N_124unique_dim_cuda_templateIlEESt5tupleIJNSF_6TensorESK_SK_EERKSK_lbbbEUlllE0_EEPmJS9_EEE10hipError_tPvRmT3_T4_T5_T6_T7_T9_mT8_P12ihipStream_tbDpT10_ENKUlT_T0_E_clISt17integral_constantIbLb1EES19_IbLb0EEEEDaS15_S16_EUlS15_E_NS1_11comp_targetILNS1_3genE0ELNS1_11target_archE4294967295ELNS1_3gpuE0ELNS1_3repE0EEENS1_30default_config_static_selectorELNS0_4arch9wavefront6targetE1EEEvT1_.private_seg_size, 0
	.set _ZN7rocprim17ROCPRIM_400000_NS6detail17trampoline_kernelINS0_14default_configENS1_25partition_config_selectorILNS1_17partition_subalgoE9EllbEEZZNS1_14partition_implILS5_9ELb0ES3_jPlS8_PNS0_10empty_typeENS0_5tupleIJS8_S9_EEENSB_IJS8_SA_EEENS0_18inequality_wrapperIZN2at6native12_GLOBAL__N_124unique_dim_cuda_templateIlEESt5tupleIJNSF_6TensorESK_SK_EERKSK_lbbbEUlllE0_EEPmJS9_EEE10hipError_tPvRmT3_T4_T5_T6_T7_T9_mT8_P12ihipStream_tbDpT10_ENKUlT_T0_E_clISt17integral_constantIbLb1EES19_IbLb0EEEEDaS15_S16_EUlS15_E_NS1_11comp_targetILNS1_3genE0ELNS1_11target_archE4294967295ELNS1_3gpuE0ELNS1_3repE0EEENS1_30default_config_static_selectorELNS0_4arch9wavefront6targetE1EEEvT1_.uses_vcc, 0
	.set _ZN7rocprim17ROCPRIM_400000_NS6detail17trampoline_kernelINS0_14default_configENS1_25partition_config_selectorILNS1_17partition_subalgoE9EllbEEZZNS1_14partition_implILS5_9ELb0ES3_jPlS8_PNS0_10empty_typeENS0_5tupleIJS8_S9_EEENSB_IJS8_SA_EEENS0_18inequality_wrapperIZN2at6native12_GLOBAL__N_124unique_dim_cuda_templateIlEESt5tupleIJNSF_6TensorESK_SK_EERKSK_lbbbEUlllE0_EEPmJS9_EEE10hipError_tPvRmT3_T4_T5_T6_T7_T9_mT8_P12ihipStream_tbDpT10_ENKUlT_T0_E_clISt17integral_constantIbLb1EES19_IbLb0EEEEDaS15_S16_EUlS15_E_NS1_11comp_targetILNS1_3genE0ELNS1_11target_archE4294967295ELNS1_3gpuE0ELNS1_3repE0EEENS1_30default_config_static_selectorELNS0_4arch9wavefront6targetE1EEEvT1_.uses_flat_scratch, 0
	.set _ZN7rocprim17ROCPRIM_400000_NS6detail17trampoline_kernelINS0_14default_configENS1_25partition_config_selectorILNS1_17partition_subalgoE9EllbEEZZNS1_14partition_implILS5_9ELb0ES3_jPlS8_PNS0_10empty_typeENS0_5tupleIJS8_S9_EEENSB_IJS8_SA_EEENS0_18inequality_wrapperIZN2at6native12_GLOBAL__N_124unique_dim_cuda_templateIlEESt5tupleIJNSF_6TensorESK_SK_EERKSK_lbbbEUlllE0_EEPmJS9_EEE10hipError_tPvRmT3_T4_T5_T6_T7_T9_mT8_P12ihipStream_tbDpT10_ENKUlT_T0_E_clISt17integral_constantIbLb1EES19_IbLb0EEEEDaS15_S16_EUlS15_E_NS1_11comp_targetILNS1_3genE0ELNS1_11target_archE4294967295ELNS1_3gpuE0ELNS1_3repE0EEENS1_30default_config_static_selectorELNS0_4arch9wavefront6targetE1EEEvT1_.has_dyn_sized_stack, 0
	.set _ZN7rocprim17ROCPRIM_400000_NS6detail17trampoline_kernelINS0_14default_configENS1_25partition_config_selectorILNS1_17partition_subalgoE9EllbEEZZNS1_14partition_implILS5_9ELb0ES3_jPlS8_PNS0_10empty_typeENS0_5tupleIJS8_S9_EEENSB_IJS8_SA_EEENS0_18inequality_wrapperIZN2at6native12_GLOBAL__N_124unique_dim_cuda_templateIlEESt5tupleIJNSF_6TensorESK_SK_EERKSK_lbbbEUlllE0_EEPmJS9_EEE10hipError_tPvRmT3_T4_T5_T6_T7_T9_mT8_P12ihipStream_tbDpT10_ENKUlT_T0_E_clISt17integral_constantIbLb1EES19_IbLb0EEEEDaS15_S16_EUlS15_E_NS1_11comp_targetILNS1_3genE0ELNS1_11target_archE4294967295ELNS1_3gpuE0ELNS1_3repE0EEENS1_30default_config_static_selectorELNS0_4arch9wavefront6targetE1EEEvT1_.has_recursion, 0
	.set _ZN7rocprim17ROCPRIM_400000_NS6detail17trampoline_kernelINS0_14default_configENS1_25partition_config_selectorILNS1_17partition_subalgoE9EllbEEZZNS1_14partition_implILS5_9ELb0ES3_jPlS8_PNS0_10empty_typeENS0_5tupleIJS8_S9_EEENSB_IJS8_SA_EEENS0_18inequality_wrapperIZN2at6native12_GLOBAL__N_124unique_dim_cuda_templateIlEESt5tupleIJNSF_6TensorESK_SK_EERKSK_lbbbEUlllE0_EEPmJS9_EEE10hipError_tPvRmT3_T4_T5_T6_T7_T9_mT8_P12ihipStream_tbDpT10_ENKUlT_T0_E_clISt17integral_constantIbLb1EES19_IbLb0EEEEDaS15_S16_EUlS15_E_NS1_11comp_targetILNS1_3genE0ELNS1_11target_archE4294967295ELNS1_3gpuE0ELNS1_3repE0EEENS1_30default_config_static_selectorELNS0_4arch9wavefront6targetE1EEEvT1_.has_indirect_call, 0
	.section	.AMDGPU.csdata,"",@progbits
; Kernel info:
; codeLenInByte = 4
; TotalNumSgprs: 6
; NumVgprs: 0
; NumAgprs: 0
; TotalNumVgprs: 0
; ScratchSize: 0
; MemoryBound: 0
; FloatMode: 240
; IeeeMode: 1
; LDSByteSize: 0 bytes/workgroup (compile time only)
; SGPRBlocks: 0
; VGPRBlocks: 0
; NumSGPRsForWavesPerEU: 6
; NumVGPRsForWavesPerEU: 1
; AccumOffset: 4
; Occupancy: 8
; WaveLimiterHint : 0
; COMPUTE_PGM_RSRC2:SCRATCH_EN: 0
; COMPUTE_PGM_RSRC2:USER_SGPR: 2
; COMPUTE_PGM_RSRC2:TRAP_HANDLER: 0
; COMPUTE_PGM_RSRC2:TGID_X_EN: 1
; COMPUTE_PGM_RSRC2:TGID_Y_EN: 0
; COMPUTE_PGM_RSRC2:TGID_Z_EN: 0
; COMPUTE_PGM_RSRC2:TIDIG_COMP_CNT: 0
; COMPUTE_PGM_RSRC3_GFX90A:ACCUM_OFFSET: 0
; COMPUTE_PGM_RSRC3_GFX90A:TG_SPLIT: 0
	.section	.text._ZN7rocprim17ROCPRIM_400000_NS6detail17trampoline_kernelINS0_14default_configENS1_25partition_config_selectorILNS1_17partition_subalgoE9EllbEEZZNS1_14partition_implILS5_9ELb0ES3_jPlS8_PNS0_10empty_typeENS0_5tupleIJS8_S9_EEENSB_IJS8_SA_EEENS0_18inequality_wrapperIZN2at6native12_GLOBAL__N_124unique_dim_cuda_templateIlEESt5tupleIJNSF_6TensorESK_SK_EERKSK_lbbbEUlllE0_EEPmJS9_EEE10hipError_tPvRmT3_T4_T5_T6_T7_T9_mT8_P12ihipStream_tbDpT10_ENKUlT_T0_E_clISt17integral_constantIbLb1EES19_IbLb0EEEEDaS15_S16_EUlS15_E_NS1_11comp_targetILNS1_3genE5ELNS1_11target_archE942ELNS1_3gpuE9ELNS1_3repE0EEENS1_30default_config_static_selectorELNS0_4arch9wavefront6targetE1EEEvT1_,"axG",@progbits,_ZN7rocprim17ROCPRIM_400000_NS6detail17trampoline_kernelINS0_14default_configENS1_25partition_config_selectorILNS1_17partition_subalgoE9EllbEEZZNS1_14partition_implILS5_9ELb0ES3_jPlS8_PNS0_10empty_typeENS0_5tupleIJS8_S9_EEENSB_IJS8_SA_EEENS0_18inequality_wrapperIZN2at6native12_GLOBAL__N_124unique_dim_cuda_templateIlEESt5tupleIJNSF_6TensorESK_SK_EERKSK_lbbbEUlllE0_EEPmJS9_EEE10hipError_tPvRmT3_T4_T5_T6_T7_T9_mT8_P12ihipStream_tbDpT10_ENKUlT_T0_E_clISt17integral_constantIbLb1EES19_IbLb0EEEEDaS15_S16_EUlS15_E_NS1_11comp_targetILNS1_3genE5ELNS1_11target_archE942ELNS1_3gpuE9ELNS1_3repE0EEENS1_30default_config_static_selectorELNS0_4arch9wavefront6targetE1EEEvT1_,comdat
	.globl	_ZN7rocprim17ROCPRIM_400000_NS6detail17trampoline_kernelINS0_14default_configENS1_25partition_config_selectorILNS1_17partition_subalgoE9EllbEEZZNS1_14partition_implILS5_9ELb0ES3_jPlS8_PNS0_10empty_typeENS0_5tupleIJS8_S9_EEENSB_IJS8_SA_EEENS0_18inequality_wrapperIZN2at6native12_GLOBAL__N_124unique_dim_cuda_templateIlEESt5tupleIJNSF_6TensorESK_SK_EERKSK_lbbbEUlllE0_EEPmJS9_EEE10hipError_tPvRmT3_T4_T5_T6_T7_T9_mT8_P12ihipStream_tbDpT10_ENKUlT_T0_E_clISt17integral_constantIbLb1EES19_IbLb0EEEEDaS15_S16_EUlS15_E_NS1_11comp_targetILNS1_3genE5ELNS1_11target_archE942ELNS1_3gpuE9ELNS1_3repE0EEENS1_30default_config_static_selectorELNS0_4arch9wavefront6targetE1EEEvT1_ ; -- Begin function _ZN7rocprim17ROCPRIM_400000_NS6detail17trampoline_kernelINS0_14default_configENS1_25partition_config_selectorILNS1_17partition_subalgoE9EllbEEZZNS1_14partition_implILS5_9ELb0ES3_jPlS8_PNS0_10empty_typeENS0_5tupleIJS8_S9_EEENSB_IJS8_SA_EEENS0_18inequality_wrapperIZN2at6native12_GLOBAL__N_124unique_dim_cuda_templateIlEESt5tupleIJNSF_6TensorESK_SK_EERKSK_lbbbEUlllE0_EEPmJS9_EEE10hipError_tPvRmT3_T4_T5_T6_T7_T9_mT8_P12ihipStream_tbDpT10_ENKUlT_T0_E_clISt17integral_constantIbLb1EES19_IbLb0EEEEDaS15_S16_EUlS15_E_NS1_11comp_targetILNS1_3genE5ELNS1_11target_archE942ELNS1_3gpuE9ELNS1_3repE0EEENS1_30default_config_static_selectorELNS0_4arch9wavefront6targetE1EEEvT1_
	.p2align	8
	.type	_ZN7rocprim17ROCPRIM_400000_NS6detail17trampoline_kernelINS0_14default_configENS1_25partition_config_selectorILNS1_17partition_subalgoE9EllbEEZZNS1_14partition_implILS5_9ELb0ES3_jPlS8_PNS0_10empty_typeENS0_5tupleIJS8_S9_EEENSB_IJS8_SA_EEENS0_18inequality_wrapperIZN2at6native12_GLOBAL__N_124unique_dim_cuda_templateIlEESt5tupleIJNSF_6TensorESK_SK_EERKSK_lbbbEUlllE0_EEPmJS9_EEE10hipError_tPvRmT3_T4_T5_T6_T7_T9_mT8_P12ihipStream_tbDpT10_ENKUlT_T0_E_clISt17integral_constantIbLb1EES19_IbLb0EEEEDaS15_S16_EUlS15_E_NS1_11comp_targetILNS1_3genE5ELNS1_11target_archE942ELNS1_3gpuE9ELNS1_3repE0EEENS1_30default_config_static_selectorELNS0_4arch9wavefront6targetE1EEEvT1_,@function
_ZN7rocprim17ROCPRIM_400000_NS6detail17trampoline_kernelINS0_14default_configENS1_25partition_config_selectorILNS1_17partition_subalgoE9EllbEEZZNS1_14partition_implILS5_9ELb0ES3_jPlS8_PNS0_10empty_typeENS0_5tupleIJS8_S9_EEENSB_IJS8_SA_EEENS0_18inequality_wrapperIZN2at6native12_GLOBAL__N_124unique_dim_cuda_templateIlEESt5tupleIJNSF_6TensorESK_SK_EERKSK_lbbbEUlllE0_EEPmJS9_EEE10hipError_tPvRmT3_T4_T5_T6_T7_T9_mT8_P12ihipStream_tbDpT10_ENKUlT_T0_E_clISt17integral_constantIbLb1EES19_IbLb0EEEEDaS15_S16_EUlS15_E_NS1_11comp_targetILNS1_3genE5ELNS1_11target_archE942ELNS1_3gpuE9ELNS1_3repE0EEENS1_30default_config_static_selectorELNS0_4arch9wavefront6targetE1EEEvT1_: ; @_ZN7rocprim17ROCPRIM_400000_NS6detail17trampoline_kernelINS0_14default_configENS1_25partition_config_selectorILNS1_17partition_subalgoE9EllbEEZZNS1_14partition_implILS5_9ELb0ES3_jPlS8_PNS0_10empty_typeENS0_5tupleIJS8_S9_EEENSB_IJS8_SA_EEENS0_18inequality_wrapperIZN2at6native12_GLOBAL__N_124unique_dim_cuda_templateIlEESt5tupleIJNSF_6TensorESK_SK_EERKSK_lbbbEUlllE0_EEPmJS9_EEE10hipError_tPvRmT3_T4_T5_T6_T7_T9_mT8_P12ihipStream_tbDpT10_ENKUlT_T0_E_clISt17integral_constantIbLb1EES19_IbLb0EEEEDaS15_S16_EUlS15_E_NS1_11comp_targetILNS1_3genE5ELNS1_11target_archE942ELNS1_3gpuE9ELNS1_3repE0EEENS1_30default_config_static_selectorELNS0_4arch9wavefront6targetE1EEEvT1_
; %bb.0:
	.section	.rodata,"a",@progbits
	.p2align	6, 0x0
	.amdhsa_kernel _ZN7rocprim17ROCPRIM_400000_NS6detail17trampoline_kernelINS0_14default_configENS1_25partition_config_selectorILNS1_17partition_subalgoE9EllbEEZZNS1_14partition_implILS5_9ELb0ES3_jPlS8_PNS0_10empty_typeENS0_5tupleIJS8_S9_EEENSB_IJS8_SA_EEENS0_18inequality_wrapperIZN2at6native12_GLOBAL__N_124unique_dim_cuda_templateIlEESt5tupleIJNSF_6TensorESK_SK_EERKSK_lbbbEUlllE0_EEPmJS9_EEE10hipError_tPvRmT3_T4_T5_T6_T7_T9_mT8_P12ihipStream_tbDpT10_ENKUlT_T0_E_clISt17integral_constantIbLb1EES19_IbLb0EEEEDaS15_S16_EUlS15_E_NS1_11comp_targetILNS1_3genE5ELNS1_11target_archE942ELNS1_3gpuE9ELNS1_3repE0EEENS1_30default_config_static_selectorELNS0_4arch9wavefront6targetE1EEEvT1_
		.amdhsa_group_segment_fixed_size 0
		.amdhsa_private_segment_fixed_size 0
		.amdhsa_kernarg_size 120
		.amdhsa_user_sgpr_count 2
		.amdhsa_user_sgpr_dispatch_ptr 0
		.amdhsa_user_sgpr_queue_ptr 0
		.amdhsa_user_sgpr_kernarg_segment_ptr 1
		.amdhsa_user_sgpr_dispatch_id 0
		.amdhsa_user_sgpr_kernarg_preload_length 0
		.amdhsa_user_sgpr_kernarg_preload_offset 0
		.amdhsa_user_sgpr_private_segment_size 0
		.amdhsa_uses_dynamic_stack 0
		.amdhsa_enable_private_segment 0
		.amdhsa_system_sgpr_workgroup_id_x 1
		.amdhsa_system_sgpr_workgroup_id_y 0
		.amdhsa_system_sgpr_workgroup_id_z 0
		.amdhsa_system_sgpr_workgroup_info 0
		.amdhsa_system_vgpr_workitem_id 0
		.amdhsa_next_free_vgpr 1
		.amdhsa_next_free_sgpr 0
		.amdhsa_accum_offset 4
		.amdhsa_reserve_vcc 0
		.amdhsa_float_round_mode_32 0
		.amdhsa_float_round_mode_16_64 0
		.amdhsa_float_denorm_mode_32 3
		.amdhsa_float_denorm_mode_16_64 3
		.amdhsa_dx10_clamp 1
		.amdhsa_ieee_mode 1
		.amdhsa_fp16_overflow 0
		.amdhsa_tg_split 0
		.amdhsa_exception_fp_ieee_invalid_op 0
		.amdhsa_exception_fp_denorm_src 0
		.amdhsa_exception_fp_ieee_div_zero 0
		.amdhsa_exception_fp_ieee_overflow 0
		.amdhsa_exception_fp_ieee_underflow 0
		.amdhsa_exception_fp_ieee_inexact 0
		.amdhsa_exception_int_div_zero 0
	.end_amdhsa_kernel
	.section	.text._ZN7rocprim17ROCPRIM_400000_NS6detail17trampoline_kernelINS0_14default_configENS1_25partition_config_selectorILNS1_17partition_subalgoE9EllbEEZZNS1_14partition_implILS5_9ELb0ES3_jPlS8_PNS0_10empty_typeENS0_5tupleIJS8_S9_EEENSB_IJS8_SA_EEENS0_18inequality_wrapperIZN2at6native12_GLOBAL__N_124unique_dim_cuda_templateIlEESt5tupleIJNSF_6TensorESK_SK_EERKSK_lbbbEUlllE0_EEPmJS9_EEE10hipError_tPvRmT3_T4_T5_T6_T7_T9_mT8_P12ihipStream_tbDpT10_ENKUlT_T0_E_clISt17integral_constantIbLb1EES19_IbLb0EEEEDaS15_S16_EUlS15_E_NS1_11comp_targetILNS1_3genE5ELNS1_11target_archE942ELNS1_3gpuE9ELNS1_3repE0EEENS1_30default_config_static_selectorELNS0_4arch9wavefront6targetE1EEEvT1_,"axG",@progbits,_ZN7rocprim17ROCPRIM_400000_NS6detail17trampoline_kernelINS0_14default_configENS1_25partition_config_selectorILNS1_17partition_subalgoE9EllbEEZZNS1_14partition_implILS5_9ELb0ES3_jPlS8_PNS0_10empty_typeENS0_5tupleIJS8_S9_EEENSB_IJS8_SA_EEENS0_18inequality_wrapperIZN2at6native12_GLOBAL__N_124unique_dim_cuda_templateIlEESt5tupleIJNSF_6TensorESK_SK_EERKSK_lbbbEUlllE0_EEPmJS9_EEE10hipError_tPvRmT3_T4_T5_T6_T7_T9_mT8_P12ihipStream_tbDpT10_ENKUlT_T0_E_clISt17integral_constantIbLb1EES19_IbLb0EEEEDaS15_S16_EUlS15_E_NS1_11comp_targetILNS1_3genE5ELNS1_11target_archE942ELNS1_3gpuE9ELNS1_3repE0EEENS1_30default_config_static_selectorELNS0_4arch9wavefront6targetE1EEEvT1_,comdat
.Lfunc_end612:
	.size	_ZN7rocprim17ROCPRIM_400000_NS6detail17trampoline_kernelINS0_14default_configENS1_25partition_config_selectorILNS1_17partition_subalgoE9EllbEEZZNS1_14partition_implILS5_9ELb0ES3_jPlS8_PNS0_10empty_typeENS0_5tupleIJS8_S9_EEENSB_IJS8_SA_EEENS0_18inequality_wrapperIZN2at6native12_GLOBAL__N_124unique_dim_cuda_templateIlEESt5tupleIJNSF_6TensorESK_SK_EERKSK_lbbbEUlllE0_EEPmJS9_EEE10hipError_tPvRmT3_T4_T5_T6_T7_T9_mT8_P12ihipStream_tbDpT10_ENKUlT_T0_E_clISt17integral_constantIbLb1EES19_IbLb0EEEEDaS15_S16_EUlS15_E_NS1_11comp_targetILNS1_3genE5ELNS1_11target_archE942ELNS1_3gpuE9ELNS1_3repE0EEENS1_30default_config_static_selectorELNS0_4arch9wavefront6targetE1EEEvT1_, .Lfunc_end612-_ZN7rocprim17ROCPRIM_400000_NS6detail17trampoline_kernelINS0_14default_configENS1_25partition_config_selectorILNS1_17partition_subalgoE9EllbEEZZNS1_14partition_implILS5_9ELb0ES3_jPlS8_PNS0_10empty_typeENS0_5tupleIJS8_S9_EEENSB_IJS8_SA_EEENS0_18inequality_wrapperIZN2at6native12_GLOBAL__N_124unique_dim_cuda_templateIlEESt5tupleIJNSF_6TensorESK_SK_EERKSK_lbbbEUlllE0_EEPmJS9_EEE10hipError_tPvRmT3_T4_T5_T6_T7_T9_mT8_P12ihipStream_tbDpT10_ENKUlT_T0_E_clISt17integral_constantIbLb1EES19_IbLb0EEEEDaS15_S16_EUlS15_E_NS1_11comp_targetILNS1_3genE5ELNS1_11target_archE942ELNS1_3gpuE9ELNS1_3repE0EEENS1_30default_config_static_selectorELNS0_4arch9wavefront6targetE1EEEvT1_
                                        ; -- End function
	.set _ZN7rocprim17ROCPRIM_400000_NS6detail17trampoline_kernelINS0_14default_configENS1_25partition_config_selectorILNS1_17partition_subalgoE9EllbEEZZNS1_14partition_implILS5_9ELb0ES3_jPlS8_PNS0_10empty_typeENS0_5tupleIJS8_S9_EEENSB_IJS8_SA_EEENS0_18inequality_wrapperIZN2at6native12_GLOBAL__N_124unique_dim_cuda_templateIlEESt5tupleIJNSF_6TensorESK_SK_EERKSK_lbbbEUlllE0_EEPmJS9_EEE10hipError_tPvRmT3_T4_T5_T6_T7_T9_mT8_P12ihipStream_tbDpT10_ENKUlT_T0_E_clISt17integral_constantIbLb1EES19_IbLb0EEEEDaS15_S16_EUlS15_E_NS1_11comp_targetILNS1_3genE5ELNS1_11target_archE942ELNS1_3gpuE9ELNS1_3repE0EEENS1_30default_config_static_selectorELNS0_4arch9wavefront6targetE1EEEvT1_.num_vgpr, 0
	.set _ZN7rocprim17ROCPRIM_400000_NS6detail17trampoline_kernelINS0_14default_configENS1_25partition_config_selectorILNS1_17partition_subalgoE9EllbEEZZNS1_14partition_implILS5_9ELb0ES3_jPlS8_PNS0_10empty_typeENS0_5tupleIJS8_S9_EEENSB_IJS8_SA_EEENS0_18inequality_wrapperIZN2at6native12_GLOBAL__N_124unique_dim_cuda_templateIlEESt5tupleIJNSF_6TensorESK_SK_EERKSK_lbbbEUlllE0_EEPmJS9_EEE10hipError_tPvRmT3_T4_T5_T6_T7_T9_mT8_P12ihipStream_tbDpT10_ENKUlT_T0_E_clISt17integral_constantIbLb1EES19_IbLb0EEEEDaS15_S16_EUlS15_E_NS1_11comp_targetILNS1_3genE5ELNS1_11target_archE942ELNS1_3gpuE9ELNS1_3repE0EEENS1_30default_config_static_selectorELNS0_4arch9wavefront6targetE1EEEvT1_.num_agpr, 0
	.set _ZN7rocprim17ROCPRIM_400000_NS6detail17trampoline_kernelINS0_14default_configENS1_25partition_config_selectorILNS1_17partition_subalgoE9EllbEEZZNS1_14partition_implILS5_9ELb0ES3_jPlS8_PNS0_10empty_typeENS0_5tupleIJS8_S9_EEENSB_IJS8_SA_EEENS0_18inequality_wrapperIZN2at6native12_GLOBAL__N_124unique_dim_cuda_templateIlEESt5tupleIJNSF_6TensorESK_SK_EERKSK_lbbbEUlllE0_EEPmJS9_EEE10hipError_tPvRmT3_T4_T5_T6_T7_T9_mT8_P12ihipStream_tbDpT10_ENKUlT_T0_E_clISt17integral_constantIbLb1EES19_IbLb0EEEEDaS15_S16_EUlS15_E_NS1_11comp_targetILNS1_3genE5ELNS1_11target_archE942ELNS1_3gpuE9ELNS1_3repE0EEENS1_30default_config_static_selectorELNS0_4arch9wavefront6targetE1EEEvT1_.numbered_sgpr, 0
	.set _ZN7rocprim17ROCPRIM_400000_NS6detail17trampoline_kernelINS0_14default_configENS1_25partition_config_selectorILNS1_17partition_subalgoE9EllbEEZZNS1_14partition_implILS5_9ELb0ES3_jPlS8_PNS0_10empty_typeENS0_5tupleIJS8_S9_EEENSB_IJS8_SA_EEENS0_18inequality_wrapperIZN2at6native12_GLOBAL__N_124unique_dim_cuda_templateIlEESt5tupleIJNSF_6TensorESK_SK_EERKSK_lbbbEUlllE0_EEPmJS9_EEE10hipError_tPvRmT3_T4_T5_T6_T7_T9_mT8_P12ihipStream_tbDpT10_ENKUlT_T0_E_clISt17integral_constantIbLb1EES19_IbLb0EEEEDaS15_S16_EUlS15_E_NS1_11comp_targetILNS1_3genE5ELNS1_11target_archE942ELNS1_3gpuE9ELNS1_3repE0EEENS1_30default_config_static_selectorELNS0_4arch9wavefront6targetE1EEEvT1_.num_named_barrier, 0
	.set _ZN7rocprim17ROCPRIM_400000_NS6detail17trampoline_kernelINS0_14default_configENS1_25partition_config_selectorILNS1_17partition_subalgoE9EllbEEZZNS1_14partition_implILS5_9ELb0ES3_jPlS8_PNS0_10empty_typeENS0_5tupleIJS8_S9_EEENSB_IJS8_SA_EEENS0_18inequality_wrapperIZN2at6native12_GLOBAL__N_124unique_dim_cuda_templateIlEESt5tupleIJNSF_6TensorESK_SK_EERKSK_lbbbEUlllE0_EEPmJS9_EEE10hipError_tPvRmT3_T4_T5_T6_T7_T9_mT8_P12ihipStream_tbDpT10_ENKUlT_T0_E_clISt17integral_constantIbLb1EES19_IbLb0EEEEDaS15_S16_EUlS15_E_NS1_11comp_targetILNS1_3genE5ELNS1_11target_archE942ELNS1_3gpuE9ELNS1_3repE0EEENS1_30default_config_static_selectorELNS0_4arch9wavefront6targetE1EEEvT1_.private_seg_size, 0
	.set _ZN7rocprim17ROCPRIM_400000_NS6detail17trampoline_kernelINS0_14default_configENS1_25partition_config_selectorILNS1_17partition_subalgoE9EllbEEZZNS1_14partition_implILS5_9ELb0ES3_jPlS8_PNS0_10empty_typeENS0_5tupleIJS8_S9_EEENSB_IJS8_SA_EEENS0_18inequality_wrapperIZN2at6native12_GLOBAL__N_124unique_dim_cuda_templateIlEESt5tupleIJNSF_6TensorESK_SK_EERKSK_lbbbEUlllE0_EEPmJS9_EEE10hipError_tPvRmT3_T4_T5_T6_T7_T9_mT8_P12ihipStream_tbDpT10_ENKUlT_T0_E_clISt17integral_constantIbLb1EES19_IbLb0EEEEDaS15_S16_EUlS15_E_NS1_11comp_targetILNS1_3genE5ELNS1_11target_archE942ELNS1_3gpuE9ELNS1_3repE0EEENS1_30default_config_static_selectorELNS0_4arch9wavefront6targetE1EEEvT1_.uses_vcc, 0
	.set _ZN7rocprim17ROCPRIM_400000_NS6detail17trampoline_kernelINS0_14default_configENS1_25partition_config_selectorILNS1_17partition_subalgoE9EllbEEZZNS1_14partition_implILS5_9ELb0ES3_jPlS8_PNS0_10empty_typeENS0_5tupleIJS8_S9_EEENSB_IJS8_SA_EEENS0_18inequality_wrapperIZN2at6native12_GLOBAL__N_124unique_dim_cuda_templateIlEESt5tupleIJNSF_6TensorESK_SK_EERKSK_lbbbEUlllE0_EEPmJS9_EEE10hipError_tPvRmT3_T4_T5_T6_T7_T9_mT8_P12ihipStream_tbDpT10_ENKUlT_T0_E_clISt17integral_constantIbLb1EES19_IbLb0EEEEDaS15_S16_EUlS15_E_NS1_11comp_targetILNS1_3genE5ELNS1_11target_archE942ELNS1_3gpuE9ELNS1_3repE0EEENS1_30default_config_static_selectorELNS0_4arch9wavefront6targetE1EEEvT1_.uses_flat_scratch, 0
	.set _ZN7rocprim17ROCPRIM_400000_NS6detail17trampoline_kernelINS0_14default_configENS1_25partition_config_selectorILNS1_17partition_subalgoE9EllbEEZZNS1_14partition_implILS5_9ELb0ES3_jPlS8_PNS0_10empty_typeENS0_5tupleIJS8_S9_EEENSB_IJS8_SA_EEENS0_18inequality_wrapperIZN2at6native12_GLOBAL__N_124unique_dim_cuda_templateIlEESt5tupleIJNSF_6TensorESK_SK_EERKSK_lbbbEUlllE0_EEPmJS9_EEE10hipError_tPvRmT3_T4_T5_T6_T7_T9_mT8_P12ihipStream_tbDpT10_ENKUlT_T0_E_clISt17integral_constantIbLb1EES19_IbLb0EEEEDaS15_S16_EUlS15_E_NS1_11comp_targetILNS1_3genE5ELNS1_11target_archE942ELNS1_3gpuE9ELNS1_3repE0EEENS1_30default_config_static_selectorELNS0_4arch9wavefront6targetE1EEEvT1_.has_dyn_sized_stack, 0
	.set _ZN7rocprim17ROCPRIM_400000_NS6detail17trampoline_kernelINS0_14default_configENS1_25partition_config_selectorILNS1_17partition_subalgoE9EllbEEZZNS1_14partition_implILS5_9ELb0ES3_jPlS8_PNS0_10empty_typeENS0_5tupleIJS8_S9_EEENSB_IJS8_SA_EEENS0_18inequality_wrapperIZN2at6native12_GLOBAL__N_124unique_dim_cuda_templateIlEESt5tupleIJNSF_6TensorESK_SK_EERKSK_lbbbEUlllE0_EEPmJS9_EEE10hipError_tPvRmT3_T4_T5_T6_T7_T9_mT8_P12ihipStream_tbDpT10_ENKUlT_T0_E_clISt17integral_constantIbLb1EES19_IbLb0EEEEDaS15_S16_EUlS15_E_NS1_11comp_targetILNS1_3genE5ELNS1_11target_archE942ELNS1_3gpuE9ELNS1_3repE0EEENS1_30default_config_static_selectorELNS0_4arch9wavefront6targetE1EEEvT1_.has_recursion, 0
	.set _ZN7rocprim17ROCPRIM_400000_NS6detail17trampoline_kernelINS0_14default_configENS1_25partition_config_selectorILNS1_17partition_subalgoE9EllbEEZZNS1_14partition_implILS5_9ELb0ES3_jPlS8_PNS0_10empty_typeENS0_5tupleIJS8_S9_EEENSB_IJS8_SA_EEENS0_18inequality_wrapperIZN2at6native12_GLOBAL__N_124unique_dim_cuda_templateIlEESt5tupleIJNSF_6TensorESK_SK_EERKSK_lbbbEUlllE0_EEPmJS9_EEE10hipError_tPvRmT3_T4_T5_T6_T7_T9_mT8_P12ihipStream_tbDpT10_ENKUlT_T0_E_clISt17integral_constantIbLb1EES19_IbLb0EEEEDaS15_S16_EUlS15_E_NS1_11comp_targetILNS1_3genE5ELNS1_11target_archE942ELNS1_3gpuE9ELNS1_3repE0EEENS1_30default_config_static_selectorELNS0_4arch9wavefront6targetE1EEEvT1_.has_indirect_call, 0
	.section	.AMDGPU.csdata,"",@progbits
; Kernel info:
; codeLenInByte = 0
; TotalNumSgprs: 6
; NumVgprs: 0
; NumAgprs: 0
; TotalNumVgprs: 0
; ScratchSize: 0
; MemoryBound: 0
; FloatMode: 240
; IeeeMode: 1
; LDSByteSize: 0 bytes/workgroup (compile time only)
; SGPRBlocks: 0
; VGPRBlocks: 0
; NumSGPRsForWavesPerEU: 6
; NumVGPRsForWavesPerEU: 1
; AccumOffset: 4
; Occupancy: 8
; WaveLimiterHint : 0
; COMPUTE_PGM_RSRC2:SCRATCH_EN: 0
; COMPUTE_PGM_RSRC2:USER_SGPR: 2
; COMPUTE_PGM_RSRC2:TRAP_HANDLER: 0
; COMPUTE_PGM_RSRC2:TGID_X_EN: 1
; COMPUTE_PGM_RSRC2:TGID_Y_EN: 0
; COMPUTE_PGM_RSRC2:TGID_Z_EN: 0
; COMPUTE_PGM_RSRC2:TIDIG_COMP_CNT: 0
; COMPUTE_PGM_RSRC3_GFX90A:ACCUM_OFFSET: 0
; COMPUTE_PGM_RSRC3_GFX90A:TG_SPLIT: 0
	.section	.text._ZN7rocprim17ROCPRIM_400000_NS6detail17trampoline_kernelINS0_14default_configENS1_25partition_config_selectorILNS1_17partition_subalgoE9EllbEEZZNS1_14partition_implILS5_9ELb0ES3_jPlS8_PNS0_10empty_typeENS0_5tupleIJS8_S9_EEENSB_IJS8_SA_EEENS0_18inequality_wrapperIZN2at6native12_GLOBAL__N_124unique_dim_cuda_templateIlEESt5tupleIJNSF_6TensorESK_SK_EERKSK_lbbbEUlllE0_EEPmJS9_EEE10hipError_tPvRmT3_T4_T5_T6_T7_T9_mT8_P12ihipStream_tbDpT10_ENKUlT_T0_E_clISt17integral_constantIbLb1EES19_IbLb0EEEEDaS15_S16_EUlS15_E_NS1_11comp_targetILNS1_3genE4ELNS1_11target_archE910ELNS1_3gpuE8ELNS1_3repE0EEENS1_30default_config_static_selectorELNS0_4arch9wavefront6targetE1EEEvT1_,"axG",@progbits,_ZN7rocprim17ROCPRIM_400000_NS6detail17trampoline_kernelINS0_14default_configENS1_25partition_config_selectorILNS1_17partition_subalgoE9EllbEEZZNS1_14partition_implILS5_9ELb0ES3_jPlS8_PNS0_10empty_typeENS0_5tupleIJS8_S9_EEENSB_IJS8_SA_EEENS0_18inequality_wrapperIZN2at6native12_GLOBAL__N_124unique_dim_cuda_templateIlEESt5tupleIJNSF_6TensorESK_SK_EERKSK_lbbbEUlllE0_EEPmJS9_EEE10hipError_tPvRmT3_T4_T5_T6_T7_T9_mT8_P12ihipStream_tbDpT10_ENKUlT_T0_E_clISt17integral_constantIbLb1EES19_IbLb0EEEEDaS15_S16_EUlS15_E_NS1_11comp_targetILNS1_3genE4ELNS1_11target_archE910ELNS1_3gpuE8ELNS1_3repE0EEENS1_30default_config_static_selectorELNS0_4arch9wavefront6targetE1EEEvT1_,comdat
	.globl	_ZN7rocprim17ROCPRIM_400000_NS6detail17trampoline_kernelINS0_14default_configENS1_25partition_config_selectorILNS1_17partition_subalgoE9EllbEEZZNS1_14partition_implILS5_9ELb0ES3_jPlS8_PNS0_10empty_typeENS0_5tupleIJS8_S9_EEENSB_IJS8_SA_EEENS0_18inequality_wrapperIZN2at6native12_GLOBAL__N_124unique_dim_cuda_templateIlEESt5tupleIJNSF_6TensorESK_SK_EERKSK_lbbbEUlllE0_EEPmJS9_EEE10hipError_tPvRmT3_T4_T5_T6_T7_T9_mT8_P12ihipStream_tbDpT10_ENKUlT_T0_E_clISt17integral_constantIbLb1EES19_IbLb0EEEEDaS15_S16_EUlS15_E_NS1_11comp_targetILNS1_3genE4ELNS1_11target_archE910ELNS1_3gpuE8ELNS1_3repE0EEENS1_30default_config_static_selectorELNS0_4arch9wavefront6targetE1EEEvT1_ ; -- Begin function _ZN7rocprim17ROCPRIM_400000_NS6detail17trampoline_kernelINS0_14default_configENS1_25partition_config_selectorILNS1_17partition_subalgoE9EllbEEZZNS1_14partition_implILS5_9ELb0ES3_jPlS8_PNS0_10empty_typeENS0_5tupleIJS8_S9_EEENSB_IJS8_SA_EEENS0_18inequality_wrapperIZN2at6native12_GLOBAL__N_124unique_dim_cuda_templateIlEESt5tupleIJNSF_6TensorESK_SK_EERKSK_lbbbEUlllE0_EEPmJS9_EEE10hipError_tPvRmT3_T4_T5_T6_T7_T9_mT8_P12ihipStream_tbDpT10_ENKUlT_T0_E_clISt17integral_constantIbLb1EES19_IbLb0EEEEDaS15_S16_EUlS15_E_NS1_11comp_targetILNS1_3genE4ELNS1_11target_archE910ELNS1_3gpuE8ELNS1_3repE0EEENS1_30default_config_static_selectorELNS0_4arch9wavefront6targetE1EEEvT1_
	.p2align	8
	.type	_ZN7rocprim17ROCPRIM_400000_NS6detail17trampoline_kernelINS0_14default_configENS1_25partition_config_selectorILNS1_17partition_subalgoE9EllbEEZZNS1_14partition_implILS5_9ELb0ES3_jPlS8_PNS0_10empty_typeENS0_5tupleIJS8_S9_EEENSB_IJS8_SA_EEENS0_18inequality_wrapperIZN2at6native12_GLOBAL__N_124unique_dim_cuda_templateIlEESt5tupleIJNSF_6TensorESK_SK_EERKSK_lbbbEUlllE0_EEPmJS9_EEE10hipError_tPvRmT3_T4_T5_T6_T7_T9_mT8_P12ihipStream_tbDpT10_ENKUlT_T0_E_clISt17integral_constantIbLb1EES19_IbLb0EEEEDaS15_S16_EUlS15_E_NS1_11comp_targetILNS1_3genE4ELNS1_11target_archE910ELNS1_3gpuE8ELNS1_3repE0EEENS1_30default_config_static_selectorELNS0_4arch9wavefront6targetE1EEEvT1_,@function
_ZN7rocprim17ROCPRIM_400000_NS6detail17trampoline_kernelINS0_14default_configENS1_25partition_config_selectorILNS1_17partition_subalgoE9EllbEEZZNS1_14partition_implILS5_9ELb0ES3_jPlS8_PNS0_10empty_typeENS0_5tupleIJS8_S9_EEENSB_IJS8_SA_EEENS0_18inequality_wrapperIZN2at6native12_GLOBAL__N_124unique_dim_cuda_templateIlEESt5tupleIJNSF_6TensorESK_SK_EERKSK_lbbbEUlllE0_EEPmJS9_EEE10hipError_tPvRmT3_T4_T5_T6_T7_T9_mT8_P12ihipStream_tbDpT10_ENKUlT_T0_E_clISt17integral_constantIbLb1EES19_IbLb0EEEEDaS15_S16_EUlS15_E_NS1_11comp_targetILNS1_3genE4ELNS1_11target_archE910ELNS1_3gpuE8ELNS1_3repE0EEENS1_30default_config_static_selectorELNS0_4arch9wavefront6targetE1EEEvT1_: ; @_ZN7rocprim17ROCPRIM_400000_NS6detail17trampoline_kernelINS0_14default_configENS1_25partition_config_selectorILNS1_17partition_subalgoE9EllbEEZZNS1_14partition_implILS5_9ELb0ES3_jPlS8_PNS0_10empty_typeENS0_5tupleIJS8_S9_EEENSB_IJS8_SA_EEENS0_18inequality_wrapperIZN2at6native12_GLOBAL__N_124unique_dim_cuda_templateIlEESt5tupleIJNSF_6TensorESK_SK_EERKSK_lbbbEUlllE0_EEPmJS9_EEE10hipError_tPvRmT3_T4_T5_T6_T7_T9_mT8_P12ihipStream_tbDpT10_ENKUlT_T0_E_clISt17integral_constantIbLb1EES19_IbLb0EEEEDaS15_S16_EUlS15_E_NS1_11comp_targetILNS1_3genE4ELNS1_11target_archE910ELNS1_3gpuE8ELNS1_3repE0EEENS1_30default_config_static_selectorELNS0_4arch9wavefront6targetE1EEEvT1_
; %bb.0:
	.section	.rodata,"a",@progbits
	.p2align	6, 0x0
	.amdhsa_kernel _ZN7rocprim17ROCPRIM_400000_NS6detail17trampoline_kernelINS0_14default_configENS1_25partition_config_selectorILNS1_17partition_subalgoE9EllbEEZZNS1_14partition_implILS5_9ELb0ES3_jPlS8_PNS0_10empty_typeENS0_5tupleIJS8_S9_EEENSB_IJS8_SA_EEENS0_18inequality_wrapperIZN2at6native12_GLOBAL__N_124unique_dim_cuda_templateIlEESt5tupleIJNSF_6TensorESK_SK_EERKSK_lbbbEUlllE0_EEPmJS9_EEE10hipError_tPvRmT3_T4_T5_T6_T7_T9_mT8_P12ihipStream_tbDpT10_ENKUlT_T0_E_clISt17integral_constantIbLb1EES19_IbLb0EEEEDaS15_S16_EUlS15_E_NS1_11comp_targetILNS1_3genE4ELNS1_11target_archE910ELNS1_3gpuE8ELNS1_3repE0EEENS1_30default_config_static_selectorELNS0_4arch9wavefront6targetE1EEEvT1_
		.amdhsa_group_segment_fixed_size 0
		.amdhsa_private_segment_fixed_size 0
		.amdhsa_kernarg_size 120
		.amdhsa_user_sgpr_count 2
		.amdhsa_user_sgpr_dispatch_ptr 0
		.amdhsa_user_sgpr_queue_ptr 0
		.amdhsa_user_sgpr_kernarg_segment_ptr 1
		.amdhsa_user_sgpr_dispatch_id 0
		.amdhsa_user_sgpr_kernarg_preload_length 0
		.amdhsa_user_sgpr_kernarg_preload_offset 0
		.amdhsa_user_sgpr_private_segment_size 0
		.amdhsa_uses_dynamic_stack 0
		.amdhsa_enable_private_segment 0
		.amdhsa_system_sgpr_workgroup_id_x 1
		.amdhsa_system_sgpr_workgroup_id_y 0
		.amdhsa_system_sgpr_workgroup_id_z 0
		.amdhsa_system_sgpr_workgroup_info 0
		.amdhsa_system_vgpr_workitem_id 0
		.amdhsa_next_free_vgpr 1
		.amdhsa_next_free_sgpr 0
		.amdhsa_accum_offset 4
		.amdhsa_reserve_vcc 0
		.amdhsa_float_round_mode_32 0
		.amdhsa_float_round_mode_16_64 0
		.amdhsa_float_denorm_mode_32 3
		.amdhsa_float_denorm_mode_16_64 3
		.amdhsa_dx10_clamp 1
		.amdhsa_ieee_mode 1
		.amdhsa_fp16_overflow 0
		.amdhsa_tg_split 0
		.amdhsa_exception_fp_ieee_invalid_op 0
		.amdhsa_exception_fp_denorm_src 0
		.amdhsa_exception_fp_ieee_div_zero 0
		.amdhsa_exception_fp_ieee_overflow 0
		.amdhsa_exception_fp_ieee_underflow 0
		.amdhsa_exception_fp_ieee_inexact 0
		.amdhsa_exception_int_div_zero 0
	.end_amdhsa_kernel
	.section	.text._ZN7rocprim17ROCPRIM_400000_NS6detail17trampoline_kernelINS0_14default_configENS1_25partition_config_selectorILNS1_17partition_subalgoE9EllbEEZZNS1_14partition_implILS5_9ELb0ES3_jPlS8_PNS0_10empty_typeENS0_5tupleIJS8_S9_EEENSB_IJS8_SA_EEENS0_18inequality_wrapperIZN2at6native12_GLOBAL__N_124unique_dim_cuda_templateIlEESt5tupleIJNSF_6TensorESK_SK_EERKSK_lbbbEUlllE0_EEPmJS9_EEE10hipError_tPvRmT3_T4_T5_T6_T7_T9_mT8_P12ihipStream_tbDpT10_ENKUlT_T0_E_clISt17integral_constantIbLb1EES19_IbLb0EEEEDaS15_S16_EUlS15_E_NS1_11comp_targetILNS1_3genE4ELNS1_11target_archE910ELNS1_3gpuE8ELNS1_3repE0EEENS1_30default_config_static_selectorELNS0_4arch9wavefront6targetE1EEEvT1_,"axG",@progbits,_ZN7rocprim17ROCPRIM_400000_NS6detail17trampoline_kernelINS0_14default_configENS1_25partition_config_selectorILNS1_17partition_subalgoE9EllbEEZZNS1_14partition_implILS5_9ELb0ES3_jPlS8_PNS0_10empty_typeENS0_5tupleIJS8_S9_EEENSB_IJS8_SA_EEENS0_18inequality_wrapperIZN2at6native12_GLOBAL__N_124unique_dim_cuda_templateIlEESt5tupleIJNSF_6TensorESK_SK_EERKSK_lbbbEUlllE0_EEPmJS9_EEE10hipError_tPvRmT3_T4_T5_T6_T7_T9_mT8_P12ihipStream_tbDpT10_ENKUlT_T0_E_clISt17integral_constantIbLb1EES19_IbLb0EEEEDaS15_S16_EUlS15_E_NS1_11comp_targetILNS1_3genE4ELNS1_11target_archE910ELNS1_3gpuE8ELNS1_3repE0EEENS1_30default_config_static_selectorELNS0_4arch9wavefront6targetE1EEEvT1_,comdat
.Lfunc_end613:
	.size	_ZN7rocprim17ROCPRIM_400000_NS6detail17trampoline_kernelINS0_14default_configENS1_25partition_config_selectorILNS1_17partition_subalgoE9EllbEEZZNS1_14partition_implILS5_9ELb0ES3_jPlS8_PNS0_10empty_typeENS0_5tupleIJS8_S9_EEENSB_IJS8_SA_EEENS0_18inequality_wrapperIZN2at6native12_GLOBAL__N_124unique_dim_cuda_templateIlEESt5tupleIJNSF_6TensorESK_SK_EERKSK_lbbbEUlllE0_EEPmJS9_EEE10hipError_tPvRmT3_T4_T5_T6_T7_T9_mT8_P12ihipStream_tbDpT10_ENKUlT_T0_E_clISt17integral_constantIbLb1EES19_IbLb0EEEEDaS15_S16_EUlS15_E_NS1_11comp_targetILNS1_3genE4ELNS1_11target_archE910ELNS1_3gpuE8ELNS1_3repE0EEENS1_30default_config_static_selectorELNS0_4arch9wavefront6targetE1EEEvT1_, .Lfunc_end613-_ZN7rocprim17ROCPRIM_400000_NS6detail17trampoline_kernelINS0_14default_configENS1_25partition_config_selectorILNS1_17partition_subalgoE9EllbEEZZNS1_14partition_implILS5_9ELb0ES3_jPlS8_PNS0_10empty_typeENS0_5tupleIJS8_S9_EEENSB_IJS8_SA_EEENS0_18inequality_wrapperIZN2at6native12_GLOBAL__N_124unique_dim_cuda_templateIlEESt5tupleIJNSF_6TensorESK_SK_EERKSK_lbbbEUlllE0_EEPmJS9_EEE10hipError_tPvRmT3_T4_T5_T6_T7_T9_mT8_P12ihipStream_tbDpT10_ENKUlT_T0_E_clISt17integral_constantIbLb1EES19_IbLb0EEEEDaS15_S16_EUlS15_E_NS1_11comp_targetILNS1_3genE4ELNS1_11target_archE910ELNS1_3gpuE8ELNS1_3repE0EEENS1_30default_config_static_selectorELNS0_4arch9wavefront6targetE1EEEvT1_
                                        ; -- End function
	.set _ZN7rocprim17ROCPRIM_400000_NS6detail17trampoline_kernelINS0_14default_configENS1_25partition_config_selectorILNS1_17partition_subalgoE9EllbEEZZNS1_14partition_implILS5_9ELb0ES3_jPlS8_PNS0_10empty_typeENS0_5tupleIJS8_S9_EEENSB_IJS8_SA_EEENS0_18inequality_wrapperIZN2at6native12_GLOBAL__N_124unique_dim_cuda_templateIlEESt5tupleIJNSF_6TensorESK_SK_EERKSK_lbbbEUlllE0_EEPmJS9_EEE10hipError_tPvRmT3_T4_T5_T6_T7_T9_mT8_P12ihipStream_tbDpT10_ENKUlT_T0_E_clISt17integral_constantIbLb1EES19_IbLb0EEEEDaS15_S16_EUlS15_E_NS1_11comp_targetILNS1_3genE4ELNS1_11target_archE910ELNS1_3gpuE8ELNS1_3repE0EEENS1_30default_config_static_selectorELNS0_4arch9wavefront6targetE1EEEvT1_.num_vgpr, 0
	.set _ZN7rocprim17ROCPRIM_400000_NS6detail17trampoline_kernelINS0_14default_configENS1_25partition_config_selectorILNS1_17partition_subalgoE9EllbEEZZNS1_14partition_implILS5_9ELb0ES3_jPlS8_PNS0_10empty_typeENS0_5tupleIJS8_S9_EEENSB_IJS8_SA_EEENS0_18inequality_wrapperIZN2at6native12_GLOBAL__N_124unique_dim_cuda_templateIlEESt5tupleIJNSF_6TensorESK_SK_EERKSK_lbbbEUlllE0_EEPmJS9_EEE10hipError_tPvRmT3_T4_T5_T6_T7_T9_mT8_P12ihipStream_tbDpT10_ENKUlT_T0_E_clISt17integral_constantIbLb1EES19_IbLb0EEEEDaS15_S16_EUlS15_E_NS1_11comp_targetILNS1_3genE4ELNS1_11target_archE910ELNS1_3gpuE8ELNS1_3repE0EEENS1_30default_config_static_selectorELNS0_4arch9wavefront6targetE1EEEvT1_.num_agpr, 0
	.set _ZN7rocprim17ROCPRIM_400000_NS6detail17trampoline_kernelINS0_14default_configENS1_25partition_config_selectorILNS1_17partition_subalgoE9EllbEEZZNS1_14partition_implILS5_9ELb0ES3_jPlS8_PNS0_10empty_typeENS0_5tupleIJS8_S9_EEENSB_IJS8_SA_EEENS0_18inequality_wrapperIZN2at6native12_GLOBAL__N_124unique_dim_cuda_templateIlEESt5tupleIJNSF_6TensorESK_SK_EERKSK_lbbbEUlllE0_EEPmJS9_EEE10hipError_tPvRmT3_T4_T5_T6_T7_T9_mT8_P12ihipStream_tbDpT10_ENKUlT_T0_E_clISt17integral_constantIbLb1EES19_IbLb0EEEEDaS15_S16_EUlS15_E_NS1_11comp_targetILNS1_3genE4ELNS1_11target_archE910ELNS1_3gpuE8ELNS1_3repE0EEENS1_30default_config_static_selectorELNS0_4arch9wavefront6targetE1EEEvT1_.numbered_sgpr, 0
	.set _ZN7rocprim17ROCPRIM_400000_NS6detail17trampoline_kernelINS0_14default_configENS1_25partition_config_selectorILNS1_17partition_subalgoE9EllbEEZZNS1_14partition_implILS5_9ELb0ES3_jPlS8_PNS0_10empty_typeENS0_5tupleIJS8_S9_EEENSB_IJS8_SA_EEENS0_18inequality_wrapperIZN2at6native12_GLOBAL__N_124unique_dim_cuda_templateIlEESt5tupleIJNSF_6TensorESK_SK_EERKSK_lbbbEUlllE0_EEPmJS9_EEE10hipError_tPvRmT3_T4_T5_T6_T7_T9_mT8_P12ihipStream_tbDpT10_ENKUlT_T0_E_clISt17integral_constantIbLb1EES19_IbLb0EEEEDaS15_S16_EUlS15_E_NS1_11comp_targetILNS1_3genE4ELNS1_11target_archE910ELNS1_3gpuE8ELNS1_3repE0EEENS1_30default_config_static_selectorELNS0_4arch9wavefront6targetE1EEEvT1_.num_named_barrier, 0
	.set _ZN7rocprim17ROCPRIM_400000_NS6detail17trampoline_kernelINS0_14default_configENS1_25partition_config_selectorILNS1_17partition_subalgoE9EllbEEZZNS1_14partition_implILS5_9ELb0ES3_jPlS8_PNS0_10empty_typeENS0_5tupleIJS8_S9_EEENSB_IJS8_SA_EEENS0_18inequality_wrapperIZN2at6native12_GLOBAL__N_124unique_dim_cuda_templateIlEESt5tupleIJNSF_6TensorESK_SK_EERKSK_lbbbEUlllE0_EEPmJS9_EEE10hipError_tPvRmT3_T4_T5_T6_T7_T9_mT8_P12ihipStream_tbDpT10_ENKUlT_T0_E_clISt17integral_constantIbLb1EES19_IbLb0EEEEDaS15_S16_EUlS15_E_NS1_11comp_targetILNS1_3genE4ELNS1_11target_archE910ELNS1_3gpuE8ELNS1_3repE0EEENS1_30default_config_static_selectorELNS0_4arch9wavefront6targetE1EEEvT1_.private_seg_size, 0
	.set _ZN7rocprim17ROCPRIM_400000_NS6detail17trampoline_kernelINS0_14default_configENS1_25partition_config_selectorILNS1_17partition_subalgoE9EllbEEZZNS1_14partition_implILS5_9ELb0ES3_jPlS8_PNS0_10empty_typeENS0_5tupleIJS8_S9_EEENSB_IJS8_SA_EEENS0_18inequality_wrapperIZN2at6native12_GLOBAL__N_124unique_dim_cuda_templateIlEESt5tupleIJNSF_6TensorESK_SK_EERKSK_lbbbEUlllE0_EEPmJS9_EEE10hipError_tPvRmT3_T4_T5_T6_T7_T9_mT8_P12ihipStream_tbDpT10_ENKUlT_T0_E_clISt17integral_constantIbLb1EES19_IbLb0EEEEDaS15_S16_EUlS15_E_NS1_11comp_targetILNS1_3genE4ELNS1_11target_archE910ELNS1_3gpuE8ELNS1_3repE0EEENS1_30default_config_static_selectorELNS0_4arch9wavefront6targetE1EEEvT1_.uses_vcc, 0
	.set _ZN7rocprim17ROCPRIM_400000_NS6detail17trampoline_kernelINS0_14default_configENS1_25partition_config_selectorILNS1_17partition_subalgoE9EllbEEZZNS1_14partition_implILS5_9ELb0ES3_jPlS8_PNS0_10empty_typeENS0_5tupleIJS8_S9_EEENSB_IJS8_SA_EEENS0_18inequality_wrapperIZN2at6native12_GLOBAL__N_124unique_dim_cuda_templateIlEESt5tupleIJNSF_6TensorESK_SK_EERKSK_lbbbEUlllE0_EEPmJS9_EEE10hipError_tPvRmT3_T4_T5_T6_T7_T9_mT8_P12ihipStream_tbDpT10_ENKUlT_T0_E_clISt17integral_constantIbLb1EES19_IbLb0EEEEDaS15_S16_EUlS15_E_NS1_11comp_targetILNS1_3genE4ELNS1_11target_archE910ELNS1_3gpuE8ELNS1_3repE0EEENS1_30default_config_static_selectorELNS0_4arch9wavefront6targetE1EEEvT1_.uses_flat_scratch, 0
	.set _ZN7rocprim17ROCPRIM_400000_NS6detail17trampoline_kernelINS0_14default_configENS1_25partition_config_selectorILNS1_17partition_subalgoE9EllbEEZZNS1_14partition_implILS5_9ELb0ES3_jPlS8_PNS0_10empty_typeENS0_5tupleIJS8_S9_EEENSB_IJS8_SA_EEENS0_18inequality_wrapperIZN2at6native12_GLOBAL__N_124unique_dim_cuda_templateIlEESt5tupleIJNSF_6TensorESK_SK_EERKSK_lbbbEUlllE0_EEPmJS9_EEE10hipError_tPvRmT3_T4_T5_T6_T7_T9_mT8_P12ihipStream_tbDpT10_ENKUlT_T0_E_clISt17integral_constantIbLb1EES19_IbLb0EEEEDaS15_S16_EUlS15_E_NS1_11comp_targetILNS1_3genE4ELNS1_11target_archE910ELNS1_3gpuE8ELNS1_3repE0EEENS1_30default_config_static_selectorELNS0_4arch9wavefront6targetE1EEEvT1_.has_dyn_sized_stack, 0
	.set _ZN7rocprim17ROCPRIM_400000_NS6detail17trampoline_kernelINS0_14default_configENS1_25partition_config_selectorILNS1_17partition_subalgoE9EllbEEZZNS1_14partition_implILS5_9ELb0ES3_jPlS8_PNS0_10empty_typeENS0_5tupleIJS8_S9_EEENSB_IJS8_SA_EEENS0_18inequality_wrapperIZN2at6native12_GLOBAL__N_124unique_dim_cuda_templateIlEESt5tupleIJNSF_6TensorESK_SK_EERKSK_lbbbEUlllE0_EEPmJS9_EEE10hipError_tPvRmT3_T4_T5_T6_T7_T9_mT8_P12ihipStream_tbDpT10_ENKUlT_T0_E_clISt17integral_constantIbLb1EES19_IbLb0EEEEDaS15_S16_EUlS15_E_NS1_11comp_targetILNS1_3genE4ELNS1_11target_archE910ELNS1_3gpuE8ELNS1_3repE0EEENS1_30default_config_static_selectorELNS0_4arch9wavefront6targetE1EEEvT1_.has_recursion, 0
	.set _ZN7rocprim17ROCPRIM_400000_NS6detail17trampoline_kernelINS0_14default_configENS1_25partition_config_selectorILNS1_17partition_subalgoE9EllbEEZZNS1_14partition_implILS5_9ELb0ES3_jPlS8_PNS0_10empty_typeENS0_5tupleIJS8_S9_EEENSB_IJS8_SA_EEENS0_18inequality_wrapperIZN2at6native12_GLOBAL__N_124unique_dim_cuda_templateIlEESt5tupleIJNSF_6TensorESK_SK_EERKSK_lbbbEUlllE0_EEPmJS9_EEE10hipError_tPvRmT3_T4_T5_T6_T7_T9_mT8_P12ihipStream_tbDpT10_ENKUlT_T0_E_clISt17integral_constantIbLb1EES19_IbLb0EEEEDaS15_S16_EUlS15_E_NS1_11comp_targetILNS1_3genE4ELNS1_11target_archE910ELNS1_3gpuE8ELNS1_3repE0EEENS1_30default_config_static_selectorELNS0_4arch9wavefront6targetE1EEEvT1_.has_indirect_call, 0
	.section	.AMDGPU.csdata,"",@progbits
; Kernel info:
; codeLenInByte = 0
; TotalNumSgprs: 6
; NumVgprs: 0
; NumAgprs: 0
; TotalNumVgprs: 0
; ScratchSize: 0
; MemoryBound: 0
; FloatMode: 240
; IeeeMode: 1
; LDSByteSize: 0 bytes/workgroup (compile time only)
; SGPRBlocks: 0
; VGPRBlocks: 0
; NumSGPRsForWavesPerEU: 6
; NumVGPRsForWavesPerEU: 1
; AccumOffset: 4
; Occupancy: 8
; WaveLimiterHint : 0
; COMPUTE_PGM_RSRC2:SCRATCH_EN: 0
; COMPUTE_PGM_RSRC2:USER_SGPR: 2
; COMPUTE_PGM_RSRC2:TRAP_HANDLER: 0
; COMPUTE_PGM_RSRC2:TGID_X_EN: 1
; COMPUTE_PGM_RSRC2:TGID_Y_EN: 0
; COMPUTE_PGM_RSRC2:TGID_Z_EN: 0
; COMPUTE_PGM_RSRC2:TIDIG_COMP_CNT: 0
; COMPUTE_PGM_RSRC3_GFX90A:ACCUM_OFFSET: 0
; COMPUTE_PGM_RSRC3_GFX90A:TG_SPLIT: 0
	.section	.text._ZN7rocprim17ROCPRIM_400000_NS6detail17trampoline_kernelINS0_14default_configENS1_25partition_config_selectorILNS1_17partition_subalgoE9EllbEEZZNS1_14partition_implILS5_9ELb0ES3_jPlS8_PNS0_10empty_typeENS0_5tupleIJS8_S9_EEENSB_IJS8_SA_EEENS0_18inequality_wrapperIZN2at6native12_GLOBAL__N_124unique_dim_cuda_templateIlEESt5tupleIJNSF_6TensorESK_SK_EERKSK_lbbbEUlllE0_EEPmJS9_EEE10hipError_tPvRmT3_T4_T5_T6_T7_T9_mT8_P12ihipStream_tbDpT10_ENKUlT_T0_E_clISt17integral_constantIbLb1EES19_IbLb0EEEEDaS15_S16_EUlS15_E_NS1_11comp_targetILNS1_3genE3ELNS1_11target_archE908ELNS1_3gpuE7ELNS1_3repE0EEENS1_30default_config_static_selectorELNS0_4arch9wavefront6targetE1EEEvT1_,"axG",@progbits,_ZN7rocprim17ROCPRIM_400000_NS6detail17trampoline_kernelINS0_14default_configENS1_25partition_config_selectorILNS1_17partition_subalgoE9EllbEEZZNS1_14partition_implILS5_9ELb0ES3_jPlS8_PNS0_10empty_typeENS0_5tupleIJS8_S9_EEENSB_IJS8_SA_EEENS0_18inequality_wrapperIZN2at6native12_GLOBAL__N_124unique_dim_cuda_templateIlEESt5tupleIJNSF_6TensorESK_SK_EERKSK_lbbbEUlllE0_EEPmJS9_EEE10hipError_tPvRmT3_T4_T5_T6_T7_T9_mT8_P12ihipStream_tbDpT10_ENKUlT_T0_E_clISt17integral_constantIbLb1EES19_IbLb0EEEEDaS15_S16_EUlS15_E_NS1_11comp_targetILNS1_3genE3ELNS1_11target_archE908ELNS1_3gpuE7ELNS1_3repE0EEENS1_30default_config_static_selectorELNS0_4arch9wavefront6targetE1EEEvT1_,comdat
	.globl	_ZN7rocprim17ROCPRIM_400000_NS6detail17trampoline_kernelINS0_14default_configENS1_25partition_config_selectorILNS1_17partition_subalgoE9EllbEEZZNS1_14partition_implILS5_9ELb0ES3_jPlS8_PNS0_10empty_typeENS0_5tupleIJS8_S9_EEENSB_IJS8_SA_EEENS0_18inequality_wrapperIZN2at6native12_GLOBAL__N_124unique_dim_cuda_templateIlEESt5tupleIJNSF_6TensorESK_SK_EERKSK_lbbbEUlllE0_EEPmJS9_EEE10hipError_tPvRmT3_T4_T5_T6_T7_T9_mT8_P12ihipStream_tbDpT10_ENKUlT_T0_E_clISt17integral_constantIbLb1EES19_IbLb0EEEEDaS15_S16_EUlS15_E_NS1_11comp_targetILNS1_3genE3ELNS1_11target_archE908ELNS1_3gpuE7ELNS1_3repE0EEENS1_30default_config_static_selectorELNS0_4arch9wavefront6targetE1EEEvT1_ ; -- Begin function _ZN7rocprim17ROCPRIM_400000_NS6detail17trampoline_kernelINS0_14default_configENS1_25partition_config_selectorILNS1_17partition_subalgoE9EllbEEZZNS1_14partition_implILS5_9ELb0ES3_jPlS8_PNS0_10empty_typeENS0_5tupleIJS8_S9_EEENSB_IJS8_SA_EEENS0_18inequality_wrapperIZN2at6native12_GLOBAL__N_124unique_dim_cuda_templateIlEESt5tupleIJNSF_6TensorESK_SK_EERKSK_lbbbEUlllE0_EEPmJS9_EEE10hipError_tPvRmT3_T4_T5_T6_T7_T9_mT8_P12ihipStream_tbDpT10_ENKUlT_T0_E_clISt17integral_constantIbLb1EES19_IbLb0EEEEDaS15_S16_EUlS15_E_NS1_11comp_targetILNS1_3genE3ELNS1_11target_archE908ELNS1_3gpuE7ELNS1_3repE0EEENS1_30default_config_static_selectorELNS0_4arch9wavefront6targetE1EEEvT1_
	.p2align	8
	.type	_ZN7rocprim17ROCPRIM_400000_NS6detail17trampoline_kernelINS0_14default_configENS1_25partition_config_selectorILNS1_17partition_subalgoE9EllbEEZZNS1_14partition_implILS5_9ELb0ES3_jPlS8_PNS0_10empty_typeENS0_5tupleIJS8_S9_EEENSB_IJS8_SA_EEENS0_18inequality_wrapperIZN2at6native12_GLOBAL__N_124unique_dim_cuda_templateIlEESt5tupleIJNSF_6TensorESK_SK_EERKSK_lbbbEUlllE0_EEPmJS9_EEE10hipError_tPvRmT3_T4_T5_T6_T7_T9_mT8_P12ihipStream_tbDpT10_ENKUlT_T0_E_clISt17integral_constantIbLb1EES19_IbLb0EEEEDaS15_S16_EUlS15_E_NS1_11comp_targetILNS1_3genE3ELNS1_11target_archE908ELNS1_3gpuE7ELNS1_3repE0EEENS1_30default_config_static_selectorELNS0_4arch9wavefront6targetE1EEEvT1_,@function
_ZN7rocprim17ROCPRIM_400000_NS6detail17trampoline_kernelINS0_14default_configENS1_25partition_config_selectorILNS1_17partition_subalgoE9EllbEEZZNS1_14partition_implILS5_9ELb0ES3_jPlS8_PNS0_10empty_typeENS0_5tupleIJS8_S9_EEENSB_IJS8_SA_EEENS0_18inequality_wrapperIZN2at6native12_GLOBAL__N_124unique_dim_cuda_templateIlEESt5tupleIJNSF_6TensorESK_SK_EERKSK_lbbbEUlllE0_EEPmJS9_EEE10hipError_tPvRmT3_T4_T5_T6_T7_T9_mT8_P12ihipStream_tbDpT10_ENKUlT_T0_E_clISt17integral_constantIbLb1EES19_IbLb0EEEEDaS15_S16_EUlS15_E_NS1_11comp_targetILNS1_3genE3ELNS1_11target_archE908ELNS1_3gpuE7ELNS1_3repE0EEENS1_30default_config_static_selectorELNS0_4arch9wavefront6targetE1EEEvT1_: ; @_ZN7rocprim17ROCPRIM_400000_NS6detail17trampoline_kernelINS0_14default_configENS1_25partition_config_selectorILNS1_17partition_subalgoE9EllbEEZZNS1_14partition_implILS5_9ELb0ES3_jPlS8_PNS0_10empty_typeENS0_5tupleIJS8_S9_EEENSB_IJS8_SA_EEENS0_18inequality_wrapperIZN2at6native12_GLOBAL__N_124unique_dim_cuda_templateIlEESt5tupleIJNSF_6TensorESK_SK_EERKSK_lbbbEUlllE0_EEPmJS9_EEE10hipError_tPvRmT3_T4_T5_T6_T7_T9_mT8_P12ihipStream_tbDpT10_ENKUlT_T0_E_clISt17integral_constantIbLb1EES19_IbLb0EEEEDaS15_S16_EUlS15_E_NS1_11comp_targetILNS1_3genE3ELNS1_11target_archE908ELNS1_3gpuE7ELNS1_3repE0EEENS1_30default_config_static_selectorELNS0_4arch9wavefront6targetE1EEEvT1_
; %bb.0:
	.section	.rodata,"a",@progbits
	.p2align	6, 0x0
	.amdhsa_kernel _ZN7rocprim17ROCPRIM_400000_NS6detail17trampoline_kernelINS0_14default_configENS1_25partition_config_selectorILNS1_17partition_subalgoE9EllbEEZZNS1_14partition_implILS5_9ELb0ES3_jPlS8_PNS0_10empty_typeENS0_5tupleIJS8_S9_EEENSB_IJS8_SA_EEENS0_18inequality_wrapperIZN2at6native12_GLOBAL__N_124unique_dim_cuda_templateIlEESt5tupleIJNSF_6TensorESK_SK_EERKSK_lbbbEUlllE0_EEPmJS9_EEE10hipError_tPvRmT3_T4_T5_T6_T7_T9_mT8_P12ihipStream_tbDpT10_ENKUlT_T0_E_clISt17integral_constantIbLb1EES19_IbLb0EEEEDaS15_S16_EUlS15_E_NS1_11comp_targetILNS1_3genE3ELNS1_11target_archE908ELNS1_3gpuE7ELNS1_3repE0EEENS1_30default_config_static_selectorELNS0_4arch9wavefront6targetE1EEEvT1_
		.amdhsa_group_segment_fixed_size 0
		.amdhsa_private_segment_fixed_size 0
		.amdhsa_kernarg_size 120
		.amdhsa_user_sgpr_count 2
		.amdhsa_user_sgpr_dispatch_ptr 0
		.amdhsa_user_sgpr_queue_ptr 0
		.amdhsa_user_sgpr_kernarg_segment_ptr 1
		.amdhsa_user_sgpr_dispatch_id 0
		.amdhsa_user_sgpr_kernarg_preload_length 0
		.amdhsa_user_sgpr_kernarg_preload_offset 0
		.amdhsa_user_sgpr_private_segment_size 0
		.amdhsa_uses_dynamic_stack 0
		.amdhsa_enable_private_segment 0
		.amdhsa_system_sgpr_workgroup_id_x 1
		.amdhsa_system_sgpr_workgroup_id_y 0
		.amdhsa_system_sgpr_workgroup_id_z 0
		.amdhsa_system_sgpr_workgroup_info 0
		.amdhsa_system_vgpr_workitem_id 0
		.amdhsa_next_free_vgpr 1
		.amdhsa_next_free_sgpr 0
		.amdhsa_accum_offset 4
		.amdhsa_reserve_vcc 0
		.amdhsa_float_round_mode_32 0
		.amdhsa_float_round_mode_16_64 0
		.amdhsa_float_denorm_mode_32 3
		.amdhsa_float_denorm_mode_16_64 3
		.amdhsa_dx10_clamp 1
		.amdhsa_ieee_mode 1
		.amdhsa_fp16_overflow 0
		.amdhsa_tg_split 0
		.amdhsa_exception_fp_ieee_invalid_op 0
		.amdhsa_exception_fp_denorm_src 0
		.amdhsa_exception_fp_ieee_div_zero 0
		.amdhsa_exception_fp_ieee_overflow 0
		.amdhsa_exception_fp_ieee_underflow 0
		.amdhsa_exception_fp_ieee_inexact 0
		.amdhsa_exception_int_div_zero 0
	.end_amdhsa_kernel
	.section	.text._ZN7rocprim17ROCPRIM_400000_NS6detail17trampoline_kernelINS0_14default_configENS1_25partition_config_selectorILNS1_17partition_subalgoE9EllbEEZZNS1_14partition_implILS5_9ELb0ES3_jPlS8_PNS0_10empty_typeENS0_5tupleIJS8_S9_EEENSB_IJS8_SA_EEENS0_18inequality_wrapperIZN2at6native12_GLOBAL__N_124unique_dim_cuda_templateIlEESt5tupleIJNSF_6TensorESK_SK_EERKSK_lbbbEUlllE0_EEPmJS9_EEE10hipError_tPvRmT3_T4_T5_T6_T7_T9_mT8_P12ihipStream_tbDpT10_ENKUlT_T0_E_clISt17integral_constantIbLb1EES19_IbLb0EEEEDaS15_S16_EUlS15_E_NS1_11comp_targetILNS1_3genE3ELNS1_11target_archE908ELNS1_3gpuE7ELNS1_3repE0EEENS1_30default_config_static_selectorELNS0_4arch9wavefront6targetE1EEEvT1_,"axG",@progbits,_ZN7rocprim17ROCPRIM_400000_NS6detail17trampoline_kernelINS0_14default_configENS1_25partition_config_selectorILNS1_17partition_subalgoE9EllbEEZZNS1_14partition_implILS5_9ELb0ES3_jPlS8_PNS0_10empty_typeENS0_5tupleIJS8_S9_EEENSB_IJS8_SA_EEENS0_18inequality_wrapperIZN2at6native12_GLOBAL__N_124unique_dim_cuda_templateIlEESt5tupleIJNSF_6TensorESK_SK_EERKSK_lbbbEUlllE0_EEPmJS9_EEE10hipError_tPvRmT3_T4_T5_T6_T7_T9_mT8_P12ihipStream_tbDpT10_ENKUlT_T0_E_clISt17integral_constantIbLb1EES19_IbLb0EEEEDaS15_S16_EUlS15_E_NS1_11comp_targetILNS1_3genE3ELNS1_11target_archE908ELNS1_3gpuE7ELNS1_3repE0EEENS1_30default_config_static_selectorELNS0_4arch9wavefront6targetE1EEEvT1_,comdat
.Lfunc_end614:
	.size	_ZN7rocprim17ROCPRIM_400000_NS6detail17trampoline_kernelINS0_14default_configENS1_25partition_config_selectorILNS1_17partition_subalgoE9EllbEEZZNS1_14partition_implILS5_9ELb0ES3_jPlS8_PNS0_10empty_typeENS0_5tupleIJS8_S9_EEENSB_IJS8_SA_EEENS0_18inequality_wrapperIZN2at6native12_GLOBAL__N_124unique_dim_cuda_templateIlEESt5tupleIJNSF_6TensorESK_SK_EERKSK_lbbbEUlllE0_EEPmJS9_EEE10hipError_tPvRmT3_T4_T5_T6_T7_T9_mT8_P12ihipStream_tbDpT10_ENKUlT_T0_E_clISt17integral_constantIbLb1EES19_IbLb0EEEEDaS15_S16_EUlS15_E_NS1_11comp_targetILNS1_3genE3ELNS1_11target_archE908ELNS1_3gpuE7ELNS1_3repE0EEENS1_30default_config_static_selectorELNS0_4arch9wavefront6targetE1EEEvT1_, .Lfunc_end614-_ZN7rocprim17ROCPRIM_400000_NS6detail17trampoline_kernelINS0_14default_configENS1_25partition_config_selectorILNS1_17partition_subalgoE9EllbEEZZNS1_14partition_implILS5_9ELb0ES3_jPlS8_PNS0_10empty_typeENS0_5tupleIJS8_S9_EEENSB_IJS8_SA_EEENS0_18inequality_wrapperIZN2at6native12_GLOBAL__N_124unique_dim_cuda_templateIlEESt5tupleIJNSF_6TensorESK_SK_EERKSK_lbbbEUlllE0_EEPmJS9_EEE10hipError_tPvRmT3_T4_T5_T6_T7_T9_mT8_P12ihipStream_tbDpT10_ENKUlT_T0_E_clISt17integral_constantIbLb1EES19_IbLb0EEEEDaS15_S16_EUlS15_E_NS1_11comp_targetILNS1_3genE3ELNS1_11target_archE908ELNS1_3gpuE7ELNS1_3repE0EEENS1_30default_config_static_selectorELNS0_4arch9wavefront6targetE1EEEvT1_
                                        ; -- End function
	.set _ZN7rocprim17ROCPRIM_400000_NS6detail17trampoline_kernelINS0_14default_configENS1_25partition_config_selectorILNS1_17partition_subalgoE9EllbEEZZNS1_14partition_implILS5_9ELb0ES3_jPlS8_PNS0_10empty_typeENS0_5tupleIJS8_S9_EEENSB_IJS8_SA_EEENS0_18inequality_wrapperIZN2at6native12_GLOBAL__N_124unique_dim_cuda_templateIlEESt5tupleIJNSF_6TensorESK_SK_EERKSK_lbbbEUlllE0_EEPmJS9_EEE10hipError_tPvRmT3_T4_T5_T6_T7_T9_mT8_P12ihipStream_tbDpT10_ENKUlT_T0_E_clISt17integral_constantIbLb1EES19_IbLb0EEEEDaS15_S16_EUlS15_E_NS1_11comp_targetILNS1_3genE3ELNS1_11target_archE908ELNS1_3gpuE7ELNS1_3repE0EEENS1_30default_config_static_selectorELNS0_4arch9wavefront6targetE1EEEvT1_.num_vgpr, 0
	.set _ZN7rocprim17ROCPRIM_400000_NS6detail17trampoline_kernelINS0_14default_configENS1_25partition_config_selectorILNS1_17partition_subalgoE9EllbEEZZNS1_14partition_implILS5_9ELb0ES3_jPlS8_PNS0_10empty_typeENS0_5tupleIJS8_S9_EEENSB_IJS8_SA_EEENS0_18inequality_wrapperIZN2at6native12_GLOBAL__N_124unique_dim_cuda_templateIlEESt5tupleIJNSF_6TensorESK_SK_EERKSK_lbbbEUlllE0_EEPmJS9_EEE10hipError_tPvRmT3_T4_T5_T6_T7_T9_mT8_P12ihipStream_tbDpT10_ENKUlT_T0_E_clISt17integral_constantIbLb1EES19_IbLb0EEEEDaS15_S16_EUlS15_E_NS1_11comp_targetILNS1_3genE3ELNS1_11target_archE908ELNS1_3gpuE7ELNS1_3repE0EEENS1_30default_config_static_selectorELNS0_4arch9wavefront6targetE1EEEvT1_.num_agpr, 0
	.set _ZN7rocprim17ROCPRIM_400000_NS6detail17trampoline_kernelINS0_14default_configENS1_25partition_config_selectorILNS1_17partition_subalgoE9EllbEEZZNS1_14partition_implILS5_9ELb0ES3_jPlS8_PNS0_10empty_typeENS0_5tupleIJS8_S9_EEENSB_IJS8_SA_EEENS0_18inequality_wrapperIZN2at6native12_GLOBAL__N_124unique_dim_cuda_templateIlEESt5tupleIJNSF_6TensorESK_SK_EERKSK_lbbbEUlllE0_EEPmJS9_EEE10hipError_tPvRmT3_T4_T5_T6_T7_T9_mT8_P12ihipStream_tbDpT10_ENKUlT_T0_E_clISt17integral_constantIbLb1EES19_IbLb0EEEEDaS15_S16_EUlS15_E_NS1_11comp_targetILNS1_3genE3ELNS1_11target_archE908ELNS1_3gpuE7ELNS1_3repE0EEENS1_30default_config_static_selectorELNS0_4arch9wavefront6targetE1EEEvT1_.numbered_sgpr, 0
	.set _ZN7rocprim17ROCPRIM_400000_NS6detail17trampoline_kernelINS0_14default_configENS1_25partition_config_selectorILNS1_17partition_subalgoE9EllbEEZZNS1_14partition_implILS5_9ELb0ES3_jPlS8_PNS0_10empty_typeENS0_5tupleIJS8_S9_EEENSB_IJS8_SA_EEENS0_18inequality_wrapperIZN2at6native12_GLOBAL__N_124unique_dim_cuda_templateIlEESt5tupleIJNSF_6TensorESK_SK_EERKSK_lbbbEUlllE0_EEPmJS9_EEE10hipError_tPvRmT3_T4_T5_T6_T7_T9_mT8_P12ihipStream_tbDpT10_ENKUlT_T0_E_clISt17integral_constantIbLb1EES19_IbLb0EEEEDaS15_S16_EUlS15_E_NS1_11comp_targetILNS1_3genE3ELNS1_11target_archE908ELNS1_3gpuE7ELNS1_3repE0EEENS1_30default_config_static_selectorELNS0_4arch9wavefront6targetE1EEEvT1_.num_named_barrier, 0
	.set _ZN7rocprim17ROCPRIM_400000_NS6detail17trampoline_kernelINS0_14default_configENS1_25partition_config_selectorILNS1_17partition_subalgoE9EllbEEZZNS1_14partition_implILS5_9ELb0ES3_jPlS8_PNS0_10empty_typeENS0_5tupleIJS8_S9_EEENSB_IJS8_SA_EEENS0_18inequality_wrapperIZN2at6native12_GLOBAL__N_124unique_dim_cuda_templateIlEESt5tupleIJNSF_6TensorESK_SK_EERKSK_lbbbEUlllE0_EEPmJS9_EEE10hipError_tPvRmT3_T4_T5_T6_T7_T9_mT8_P12ihipStream_tbDpT10_ENKUlT_T0_E_clISt17integral_constantIbLb1EES19_IbLb0EEEEDaS15_S16_EUlS15_E_NS1_11comp_targetILNS1_3genE3ELNS1_11target_archE908ELNS1_3gpuE7ELNS1_3repE0EEENS1_30default_config_static_selectorELNS0_4arch9wavefront6targetE1EEEvT1_.private_seg_size, 0
	.set _ZN7rocprim17ROCPRIM_400000_NS6detail17trampoline_kernelINS0_14default_configENS1_25partition_config_selectorILNS1_17partition_subalgoE9EllbEEZZNS1_14partition_implILS5_9ELb0ES3_jPlS8_PNS0_10empty_typeENS0_5tupleIJS8_S9_EEENSB_IJS8_SA_EEENS0_18inequality_wrapperIZN2at6native12_GLOBAL__N_124unique_dim_cuda_templateIlEESt5tupleIJNSF_6TensorESK_SK_EERKSK_lbbbEUlllE0_EEPmJS9_EEE10hipError_tPvRmT3_T4_T5_T6_T7_T9_mT8_P12ihipStream_tbDpT10_ENKUlT_T0_E_clISt17integral_constantIbLb1EES19_IbLb0EEEEDaS15_S16_EUlS15_E_NS1_11comp_targetILNS1_3genE3ELNS1_11target_archE908ELNS1_3gpuE7ELNS1_3repE0EEENS1_30default_config_static_selectorELNS0_4arch9wavefront6targetE1EEEvT1_.uses_vcc, 0
	.set _ZN7rocprim17ROCPRIM_400000_NS6detail17trampoline_kernelINS0_14default_configENS1_25partition_config_selectorILNS1_17partition_subalgoE9EllbEEZZNS1_14partition_implILS5_9ELb0ES3_jPlS8_PNS0_10empty_typeENS0_5tupleIJS8_S9_EEENSB_IJS8_SA_EEENS0_18inequality_wrapperIZN2at6native12_GLOBAL__N_124unique_dim_cuda_templateIlEESt5tupleIJNSF_6TensorESK_SK_EERKSK_lbbbEUlllE0_EEPmJS9_EEE10hipError_tPvRmT3_T4_T5_T6_T7_T9_mT8_P12ihipStream_tbDpT10_ENKUlT_T0_E_clISt17integral_constantIbLb1EES19_IbLb0EEEEDaS15_S16_EUlS15_E_NS1_11comp_targetILNS1_3genE3ELNS1_11target_archE908ELNS1_3gpuE7ELNS1_3repE0EEENS1_30default_config_static_selectorELNS0_4arch9wavefront6targetE1EEEvT1_.uses_flat_scratch, 0
	.set _ZN7rocprim17ROCPRIM_400000_NS6detail17trampoline_kernelINS0_14default_configENS1_25partition_config_selectorILNS1_17partition_subalgoE9EllbEEZZNS1_14partition_implILS5_9ELb0ES3_jPlS8_PNS0_10empty_typeENS0_5tupleIJS8_S9_EEENSB_IJS8_SA_EEENS0_18inequality_wrapperIZN2at6native12_GLOBAL__N_124unique_dim_cuda_templateIlEESt5tupleIJNSF_6TensorESK_SK_EERKSK_lbbbEUlllE0_EEPmJS9_EEE10hipError_tPvRmT3_T4_T5_T6_T7_T9_mT8_P12ihipStream_tbDpT10_ENKUlT_T0_E_clISt17integral_constantIbLb1EES19_IbLb0EEEEDaS15_S16_EUlS15_E_NS1_11comp_targetILNS1_3genE3ELNS1_11target_archE908ELNS1_3gpuE7ELNS1_3repE0EEENS1_30default_config_static_selectorELNS0_4arch9wavefront6targetE1EEEvT1_.has_dyn_sized_stack, 0
	.set _ZN7rocprim17ROCPRIM_400000_NS6detail17trampoline_kernelINS0_14default_configENS1_25partition_config_selectorILNS1_17partition_subalgoE9EllbEEZZNS1_14partition_implILS5_9ELb0ES3_jPlS8_PNS0_10empty_typeENS0_5tupleIJS8_S9_EEENSB_IJS8_SA_EEENS0_18inequality_wrapperIZN2at6native12_GLOBAL__N_124unique_dim_cuda_templateIlEESt5tupleIJNSF_6TensorESK_SK_EERKSK_lbbbEUlllE0_EEPmJS9_EEE10hipError_tPvRmT3_T4_T5_T6_T7_T9_mT8_P12ihipStream_tbDpT10_ENKUlT_T0_E_clISt17integral_constantIbLb1EES19_IbLb0EEEEDaS15_S16_EUlS15_E_NS1_11comp_targetILNS1_3genE3ELNS1_11target_archE908ELNS1_3gpuE7ELNS1_3repE0EEENS1_30default_config_static_selectorELNS0_4arch9wavefront6targetE1EEEvT1_.has_recursion, 0
	.set _ZN7rocprim17ROCPRIM_400000_NS6detail17trampoline_kernelINS0_14default_configENS1_25partition_config_selectorILNS1_17partition_subalgoE9EllbEEZZNS1_14partition_implILS5_9ELb0ES3_jPlS8_PNS0_10empty_typeENS0_5tupleIJS8_S9_EEENSB_IJS8_SA_EEENS0_18inequality_wrapperIZN2at6native12_GLOBAL__N_124unique_dim_cuda_templateIlEESt5tupleIJNSF_6TensorESK_SK_EERKSK_lbbbEUlllE0_EEPmJS9_EEE10hipError_tPvRmT3_T4_T5_T6_T7_T9_mT8_P12ihipStream_tbDpT10_ENKUlT_T0_E_clISt17integral_constantIbLb1EES19_IbLb0EEEEDaS15_S16_EUlS15_E_NS1_11comp_targetILNS1_3genE3ELNS1_11target_archE908ELNS1_3gpuE7ELNS1_3repE0EEENS1_30default_config_static_selectorELNS0_4arch9wavefront6targetE1EEEvT1_.has_indirect_call, 0
	.section	.AMDGPU.csdata,"",@progbits
; Kernel info:
; codeLenInByte = 0
; TotalNumSgprs: 6
; NumVgprs: 0
; NumAgprs: 0
; TotalNumVgprs: 0
; ScratchSize: 0
; MemoryBound: 0
; FloatMode: 240
; IeeeMode: 1
; LDSByteSize: 0 bytes/workgroup (compile time only)
; SGPRBlocks: 0
; VGPRBlocks: 0
; NumSGPRsForWavesPerEU: 6
; NumVGPRsForWavesPerEU: 1
; AccumOffset: 4
; Occupancy: 8
; WaveLimiterHint : 0
; COMPUTE_PGM_RSRC2:SCRATCH_EN: 0
; COMPUTE_PGM_RSRC2:USER_SGPR: 2
; COMPUTE_PGM_RSRC2:TRAP_HANDLER: 0
; COMPUTE_PGM_RSRC2:TGID_X_EN: 1
; COMPUTE_PGM_RSRC2:TGID_Y_EN: 0
; COMPUTE_PGM_RSRC2:TGID_Z_EN: 0
; COMPUTE_PGM_RSRC2:TIDIG_COMP_CNT: 0
; COMPUTE_PGM_RSRC3_GFX90A:ACCUM_OFFSET: 0
; COMPUTE_PGM_RSRC3_GFX90A:TG_SPLIT: 0
	.section	.text._ZN7rocprim17ROCPRIM_400000_NS6detail17trampoline_kernelINS0_14default_configENS1_25partition_config_selectorILNS1_17partition_subalgoE9EllbEEZZNS1_14partition_implILS5_9ELb0ES3_jPlS8_PNS0_10empty_typeENS0_5tupleIJS8_S9_EEENSB_IJS8_SA_EEENS0_18inequality_wrapperIZN2at6native12_GLOBAL__N_124unique_dim_cuda_templateIlEESt5tupleIJNSF_6TensorESK_SK_EERKSK_lbbbEUlllE0_EEPmJS9_EEE10hipError_tPvRmT3_T4_T5_T6_T7_T9_mT8_P12ihipStream_tbDpT10_ENKUlT_T0_E_clISt17integral_constantIbLb1EES19_IbLb0EEEEDaS15_S16_EUlS15_E_NS1_11comp_targetILNS1_3genE2ELNS1_11target_archE906ELNS1_3gpuE6ELNS1_3repE0EEENS1_30default_config_static_selectorELNS0_4arch9wavefront6targetE1EEEvT1_,"axG",@progbits,_ZN7rocprim17ROCPRIM_400000_NS6detail17trampoline_kernelINS0_14default_configENS1_25partition_config_selectorILNS1_17partition_subalgoE9EllbEEZZNS1_14partition_implILS5_9ELb0ES3_jPlS8_PNS0_10empty_typeENS0_5tupleIJS8_S9_EEENSB_IJS8_SA_EEENS0_18inequality_wrapperIZN2at6native12_GLOBAL__N_124unique_dim_cuda_templateIlEESt5tupleIJNSF_6TensorESK_SK_EERKSK_lbbbEUlllE0_EEPmJS9_EEE10hipError_tPvRmT3_T4_T5_T6_T7_T9_mT8_P12ihipStream_tbDpT10_ENKUlT_T0_E_clISt17integral_constantIbLb1EES19_IbLb0EEEEDaS15_S16_EUlS15_E_NS1_11comp_targetILNS1_3genE2ELNS1_11target_archE906ELNS1_3gpuE6ELNS1_3repE0EEENS1_30default_config_static_selectorELNS0_4arch9wavefront6targetE1EEEvT1_,comdat
	.globl	_ZN7rocprim17ROCPRIM_400000_NS6detail17trampoline_kernelINS0_14default_configENS1_25partition_config_selectorILNS1_17partition_subalgoE9EllbEEZZNS1_14partition_implILS5_9ELb0ES3_jPlS8_PNS0_10empty_typeENS0_5tupleIJS8_S9_EEENSB_IJS8_SA_EEENS0_18inequality_wrapperIZN2at6native12_GLOBAL__N_124unique_dim_cuda_templateIlEESt5tupleIJNSF_6TensorESK_SK_EERKSK_lbbbEUlllE0_EEPmJS9_EEE10hipError_tPvRmT3_T4_T5_T6_T7_T9_mT8_P12ihipStream_tbDpT10_ENKUlT_T0_E_clISt17integral_constantIbLb1EES19_IbLb0EEEEDaS15_S16_EUlS15_E_NS1_11comp_targetILNS1_3genE2ELNS1_11target_archE906ELNS1_3gpuE6ELNS1_3repE0EEENS1_30default_config_static_selectorELNS0_4arch9wavefront6targetE1EEEvT1_ ; -- Begin function _ZN7rocprim17ROCPRIM_400000_NS6detail17trampoline_kernelINS0_14default_configENS1_25partition_config_selectorILNS1_17partition_subalgoE9EllbEEZZNS1_14partition_implILS5_9ELb0ES3_jPlS8_PNS0_10empty_typeENS0_5tupleIJS8_S9_EEENSB_IJS8_SA_EEENS0_18inequality_wrapperIZN2at6native12_GLOBAL__N_124unique_dim_cuda_templateIlEESt5tupleIJNSF_6TensorESK_SK_EERKSK_lbbbEUlllE0_EEPmJS9_EEE10hipError_tPvRmT3_T4_T5_T6_T7_T9_mT8_P12ihipStream_tbDpT10_ENKUlT_T0_E_clISt17integral_constantIbLb1EES19_IbLb0EEEEDaS15_S16_EUlS15_E_NS1_11comp_targetILNS1_3genE2ELNS1_11target_archE906ELNS1_3gpuE6ELNS1_3repE0EEENS1_30default_config_static_selectorELNS0_4arch9wavefront6targetE1EEEvT1_
	.p2align	8
	.type	_ZN7rocprim17ROCPRIM_400000_NS6detail17trampoline_kernelINS0_14default_configENS1_25partition_config_selectorILNS1_17partition_subalgoE9EllbEEZZNS1_14partition_implILS5_9ELb0ES3_jPlS8_PNS0_10empty_typeENS0_5tupleIJS8_S9_EEENSB_IJS8_SA_EEENS0_18inequality_wrapperIZN2at6native12_GLOBAL__N_124unique_dim_cuda_templateIlEESt5tupleIJNSF_6TensorESK_SK_EERKSK_lbbbEUlllE0_EEPmJS9_EEE10hipError_tPvRmT3_T4_T5_T6_T7_T9_mT8_P12ihipStream_tbDpT10_ENKUlT_T0_E_clISt17integral_constantIbLb1EES19_IbLb0EEEEDaS15_S16_EUlS15_E_NS1_11comp_targetILNS1_3genE2ELNS1_11target_archE906ELNS1_3gpuE6ELNS1_3repE0EEENS1_30default_config_static_selectorELNS0_4arch9wavefront6targetE1EEEvT1_,@function
_ZN7rocprim17ROCPRIM_400000_NS6detail17trampoline_kernelINS0_14default_configENS1_25partition_config_selectorILNS1_17partition_subalgoE9EllbEEZZNS1_14partition_implILS5_9ELb0ES3_jPlS8_PNS0_10empty_typeENS0_5tupleIJS8_S9_EEENSB_IJS8_SA_EEENS0_18inequality_wrapperIZN2at6native12_GLOBAL__N_124unique_dim_cuda_templateIlEESt5tupleIJNSF_6TensorESK_SK_EERKSK_lbbbEUlllE0_EEPmJS9_EEE10hipError_tPvRmT3_T4_T5_T6_T7_T9_mT8_P12ihipStream_tbDpT10_ENKUlT_T0_E_clISt17integral_constantIbLb1EES19_IbLb0EEEEDaS15_S16_EUlS15_E_NS1_11comp_targetILNS1_3genE2ELNS1_11target_archE906ELNS1_3gpuE6ELNS1_3repE0EEENS1_30default_config_static_selectorELNS0_4arch9wavefront6targetE1EEEvT1_: ; @_ZN7rocprim17ROCPRIM_400000_NS6detail17trampoline_kernelINS0_14default_configENS1_25partition_config_selectorILNS1_17partition_subalgoE9EllbEEZZNS1_14partition_implILS5_9ELb0ES3_jPlS8_PNS0_10empty_typeENS0_5tupleIJS8_S9_EEENSB_IJS8_SA_EEENS0_18inequality_wrapperIZN2at6native12_GLOBAL__N_124unique_dim_cuda_templateIlEESt5tupleIJNSF_6TensorESK_SK_EERKSK_lbbbEUlllE0_EEPmJS9_EEE10hipError_tPvRmT3_T4_T5_T6_T7_T9_mT8_P12ihipStream_tbDpT10_ENKUlT_T0_E_clISt17integral_constantIbLb1EES19_IbLb0EEEEDaS15_S16_EUlS15_E_NS1_11comp_targetILNS1_3genE2ELNS1_11target_archE906ELNS1_3gpuE6ELNS1_3repE0EEENS1_30default_config_static_selectorELNS0_4arch9wavefront6targetE1EEEvT1_
; %bb.0:
	.section	.rodata,"a",@progbits
	.p2align	6, 0x0
	.amdhsa_kernel _ZN7rocprim17ROCPRIM_400000_NS6detail17trampoline_kernelINS0_14default_configENS1_25partition_config_selectorILNS1_17partition_subalgoE9EllbEEZZNS1_14partition_implILS5_9ELb0ES3_jPlS8_PNS0_10empty_typeENS0_5tupleIJS8_S9_EEENSB_IJS8_SA_EEENS0_18inequality_wrapperIZN2at6native12_GLOBAL__N_124unique_dim_cuda_templateIlEESt5tupleIJNSF_6TensorESK_SK_EERKSK_lbbbEUlllE0_EEPmJS9_EEE10hipError_tPvRmT3_T4_T5_T6_T7_T9_mT8_P12ihipStream_tbDpT10_ENKUlT_T0_E_clISt17integral_constantIbLb1EES19_IbLb0EEEEDaS15_S16_EUlS15_E_NS1_11comp_targetILNS1_3genE2ELNS1_11target_archE906ELNS1_3gpuE6ELNS1_3repE0EEENS1_30default_config_static_selectorELNS0_4arch9wavefront6targetE1EEEvT1_
		.amdhsa_group_segment_fixed_size 0
		.amdhsa_private_segment_fixed_size 0
		.amdhsa_kernarg_size 120
		.amdhsa_user_sgpr_count 2
		.amdhsa_user_sgpr_dispatch_ptr 0
		.amdhsa_user_sgpr_queue_ptr 0
		.amdhsa_user_sgpr_kernarg_segment_ptr 1
		.amdhsa_user_sgpr_dispatch_id 0
		.amdhsa_user_sgpr_kernarg_preload_length 0
		.amdhsa_user_sgpr_kernarg_preload_offset 0
		.amdhsa_user_sgpr_private_segment_size 0
		.amdhsa_uses_dynamic_stack 0
		.amdhsa_enable_private_segment 0
		.amdhsa_system_sgpr_workgroup_id_x 1
		.amdhsa_system_sgpr_workgroup_id_y 0
		.amdhsa_system_sgpr_workgroup_id_z 0
		.amdhsa_system_sgpr_workgroup_info 0
		.amdhsa_system_vgpr_workitem_id 0
		.amdhsa_next_free_vgpr 1
		.amdhsa_next_free_sgpr 0
		.amdhsa_accum_offset 4
		.amdhsa_reserve_vcc 0
		.amdhsa_float_round_mode_32 0
		.amdhsa_float_round_mode_16_64 0
		.amdhsa_float_denorm_mode_32 3
		.amdhsa_float_denorm_mode_16_64 3
		.amdhsa_dx10_clamp 1
		.amdhsa_ieee_mode 1
		.amdhsa_fp16_overflow 0
		.amdhsa_tg_split 0
		.amdhsa_exception_fp_ieee_invalid_op 0
		.amdhsa_exception_fp_denorm_src 0
		.amdhsa_exception_fp_ieee_div_zero 0
		.amdhsa_exception_fp_ieee_overflow 0
		.amdhsa_exception_fp_ieee_underflow 0
		.amdhsa_exception_fp_ieee_inexact 0
		.amdhsa_exception_int_div_zero 0
	.end_amdhsa_kernel
	.section	.text._ZN7rocprim17ROCPRIM_400000_NS6detail17trampoline_kernelINS0_14default_configENS1_25partition_config_selectorILNS1_17partition_subalgoE9EllbEEZZNS1_14partition_implILS5_9ELb0ES3_jPlS8_PNS0_10empty_typeENS0_5tupleIJS8_S9_EEENSB_IJS8_SA_EEENS0_18inequality_wrapperIZN2at6native12_GLOBAL__N_124unique_dim_cuda_templateIlEESt5tupleIJNSF_6TensorESK_SK_EERKSK_lbbbEUlllE0_EEPmJS9_EEE10hipError_tPvRmT3_T4_T5_T6_T7_T9_mT8_P12ihipStream_tbDpT10_ENKUlT_T0_E_clISt17integral_constantIbLb1EES19_IbLb0EEEEDaS15_S16_EUlS15_E_NS1_11comp_targetILNS1_3genE2ELNS1_11target_archE906ELNS1_3gpuE6ELNS1_3repE0EEENS1_30default_config_static_selectorELNS0_4arch9wavefront6targetE1EEEvT1_,"axG",@progbits,_ZN7rocprim17ROCPRIM_400000_NS6detail17trampoline_kernelINS0_14default_configENS1_25partition_config_selectorILNS1_17partition_subalgoE9EllbEEZZNS1_14partition_implILS5_9ELb0ES3_jPlS8_PNS0_10empty_typeENS0_5tupleIJS8_S9_EEENSB_IJS8_SA_EEENS0_18inequality_wrapperIZN2at6native12_GLOBAL__N_124unique_dim_cuda_templateIlEESt5tupleIJNSF_6TensorESK_SK_EERKSK_lbbbEUlllE0_EEPmJS9_EEE10hipError_tPvRmT3_T4_T5_T6_T7_T9_mT8_P12ihipStream_tbDpT10_ENKUlT_T0_E_clISt17integral_constantIbLb1EES19_IbLb0EEEEDaS15_S16_EUlS15_E_NS1_11comp_targetILNS1_3genE2ELNS1_11target_archE906ELNS1_3gpuE6ELNS1_3repE0EEENS1_30default_config_static_selectorELNS0_4arch9wavefront6targetE1EEEvT1_,comdat
.Lfunc_end615:
	.size	_ZN7rocprim17ROCPRIM_400000_NS6detail17trampoline_kernelINS0_14default_configENS1_25partition_config_selectorILNS1_17partition_subalgoE9EllbEEZZNS1_14partition_implILS5_9ELb0ES3_jPlS8_PNS0_10empty_typeENS0_5tupleIJS8_S9_EEENSB_IJS8_SA_EEENS0_18inequality_wrapperIZN2at6native12_GLOBAL__N_124unique_dim_cuda_templateIlEESt5tupleIJNSF_6TensorESK_SK_EERKSK_lbbbEUlllE0_EEPmJS9_EEE10hipError_tPvRmT3_T4_T5_T6_T7_T9_mT8_P12ihipStream_tbDpT10_ENKUlT_T0_E_clISt17integral_constantIbLb1EES19_IbLb0EEEEDaS15_S16_EUlS15_E_NS1_11comp_targetILNS1_3genE2ELNS1_11target_archE906ELNS1_3gpuE6ELNS1_3repE0EEENS1_30default_config_static_selectorELNS0_4arch9wavefront6targetE1EEEvT1_, .Lfunc_end615-_ZN7rocprim17ROCPRIM_400000_NS6detail17trampoline_kernelINS0_14default_configENS1_25partition_config_selectorILNS1_17partition_subalgoE9EllbEEZZNS1_14partition_implILS5_9ELb0ES3_jPlS8_PNS0_10empty_typeENS0_5tupleIJS8_S9_EEENSB_IJS8_SA_EEENS0_18inequality_wrapperIZN2at6native12_GLOBAL__N_124unique_dim_cuda_templateIlEESt5tupleIJNSF_6TensorESK_SK_EERKSK_lbbbEUlllE0_EEPmJS9_EEE10hipError_tPvRmT3_T4_T5_T6_T7_T9_mT8_P12ihipStream_tbDpT10_ENKUlT_T0_E_clISt17integral_constantIbLb1EES19_IbLb0EEEEDaS15_S16_EUlS15_E_NS1_11comp_targetILNS1_3genE2ELNS1_11target_archE906ELNS1_3gpuE6ELNS1_3repE0EEENS1_30default_config_static_selectorELNS0_4arch9wavefront6targetE1EEEvT1_
                                        ; -- End function
	.set _ZN7rocprim17ROCPRIM_400000_NS6detail17trampoline_kernelINS0_14default_configENS1_25partition_config_selectorILNS1_17partition_subalgoE9EllbEEZZNS1_14partition_implILS5_9ELb0ES3_jPlS8_PNS0_10empty_typeENS0_5tupleIJS8_S9_EEENSB_IJS8_SA_EEENS0_18inequality_wrapperIZN2at6native12_GLOBAL__N_124unique_dim_cuda_templateIlEESt5tupleIJNSF_6TensorESK_SK_EERKSK_lbbbEUlllE0_EEPmJS9_EEE10hipError_tPvRmT3_T4_T5_T6_T7_T9_mT8_P12ihipStream_tbDpT10_ENKUlT_T0_E_clISt17integral_constantIbLb1EES19_IbLb0EEEEDaS15_S16_EUlS15_E_NS1_11comp_targetILNS1_3genE2ELNS1_11target_archE906ELNS1_3gpuE6ELNS1_3repE0EEENS1_30default_config_static_selectorELNS0_4arch9wavefront6targetE1EEEvT1_.num_vgpr, 0
	.set _ZN7rocprim17ROCPRIM_400000_NS6detail17trampoline_kernelINS0_14default_configENS1_25partition_config_selectorILNS1_17partition_subalgoE9EllbEEZZNS1_14partition_implILS5_9ELb0ES3_jPlS8_PNS0_10empty_typeENS0_5tupleIJS8_S9_EEENSB_IJS8_SA_EEENS0_18inequality_wrapperIZN2at6native12_GLOBAL__N_124unique_dim_cuda_templateIlEESt5tupleIJNSF_6TensorESK_SK_EERKSK_lbbbEUlllE0_EEPmJS9_EEE10hipError_tPvRmT3_T4_T5_T6_T7_T9_mT8_P12ihipStream_tbDpT10_ENKUlT_T0_E_clISt17integral_constantIbLb1EES19_IbLb0EEEEDaS15_S16_EUlS15_E_NS1_11comp_targetILNS1_3genE2ELNS1_11target_archE906ELNS1_3gpuE6ELNS1_3repE0EEENS1_30default_config_static_selectorELNS0_4arch9wavefront6targetE1EEEvT1_.num_agpr, 0
	.set _ZN7rocprim17ROCPRIM_400000_NS6detail17trampoline_kernelINS0_14default_configENS1_25partition_config_selectorILNS1_17partition_subalgoE9EllbEEZZNS1_14partition_implILS5_9ELb0ES3_jPlS8_PNS0_10empty_typeENS0_5tupleIJS8_S9_EEENSB_IJS8_SA_EEENS0_18inequality_wrapperIZN2at6native12_GLOBAL__N_124unique_dim_cuda_templateIlEESt5tupleIJNSF_6TensorESK_SK_EERKSK_lbbbEUlllE0_EEPmJS9_EEE10hipError_tPvRmT3_T4_T5_T6_T7_T9_mT8_P12ihipStream_tbDpT10_ENKUlT_T0_E_clISt17integral_constantIbLb1EES19_IbLb0EEEEDaS15_S16_EUlS15_E_NS1_11comp_targetILNS1_3genE2ELNS1_11target_archE906ELNS1_3gpuE6ELNS1_3repE0EEENS1_30default_config_static_selectorELNS0_4arch9wavefront6targetE1EEEvT1_.numbered_sgpr, 0
	.set _ZN7rocprim17ROCPRIM_400000_NS6detail17trampoline_kernelINS0_14default_configENS1_25partition_config_selectorILNS1_17partition_subalgoE9EllbEEZZNS1_14partition_implILS5_9ELb0ES3_jPlS8_PNS0_10empty_typeENS0_5tupleIJS8_S9_EEENSB_IJS8_SA_EEENS0_18inequality_wrapperIZN2at6native12_GLOBAL__N_124unique_dim_cuda_templateIlEESt5tupleIJNSF_6TensorESK_SK_EERKSK_lbbbEUlllE0_EEPmJS9_EEE10hipError_tPvRmT3_T4_T5_T6_T7_T9_mT8_P12ihipStream_tbDpT10_ENKUlT_T0_E_clISt17integral_constantIbLb1EES19_IbLb0EEEEDaS15_S16_EUlS15_E_NS1_11comp_targetILNS1_3genE2ELNS1_11target_archE906ELNS1_3gpuE6ELNS1_3repE0EEENS1_30default_config_static_selectorELNS0_4arch9wavefront6targetE1EEEvT1_.num_named_barrier, 0
	.set _ZN7rocprim17ROCPRIM_400000_NS6detail17trampoline_kernelINS0_14default_configENS1_25partition_config_selectorILNS1_17partition_subalgoE9EllbEEZZNS1_14partition_implILS5_9ELb0ES3_jPlS8_PNS0_10empty_typeENS0_5tupleIJS8_S9_EEENSB_IJS8_SA_EEENS0_18inequality_wrapperIZN2at6native12_GLOBAL__N_124unique_dim_cuda_templateIlEESt5tupleIJNSF_6TensorESK_SK_EERKSK_lbbbEUlllE0_EEPmJS9_EEE10hipError_tPvRmT3_T4_T5_T6_T7_T9_mT8_P12ihipStream_tbDpT10_ENKUlT_T0_E_clISt17integral_constantIbLb1EES19_IbLb0EEEEDaS15_S16_EUlS15_E_NS1_11comp_targetILNS1_3genE2ELNS1_11target_archE906ELNS1_3gpuE6ELNS1_3repE0EEENS1_30default_config_static_selectorELNS0_4arch9wavefront6targetE1EEEvT1_.private_seg_size, 0
	.set _ZN7rocprim17ROCPRIM_400000_NS6detail17trampoline_kernelINS0_14default_configENS1_25partition_config_selectorILNS1_17partition_subalgoE9EllbEEZZNS1_14partition_implILS5_9ELb0ES3_jPlS8_PNS0_10empty_typeENS0_5tupleIJS8_S9_EEENSB_IJS8_SA_EEENS0_18inequality_wrapperIZN2at6native12_GLOBAL__N_124unique_dim_cuda_templateIlEESt5tupleIJNSF_6TensorESK_SK_EERKSK_lbbbEUlllE0_EEPmJS9_EEE10hipError_tPvRmT3_T4_T5_T6_T7_T9_mT8_P12ihipStream_tbDpT10_ENKUlT_T0_E_clISt17integral_constantIbLb1EES19_IbLb0EEEEDaS15_S16_EUlS15_E_NS1_11comp_targetILNS1_3genE2ELNS1_11target_archE906ELNS1_3gpuE6ELNS1_3repE0EEENS1_30default_config_static_selectorELNS0_4arch9wavefront6targetE1EEEvT1_.uses_vcc, 0
	.set _ZN7rocprim17ROCPRIM_400000_NS6detail17trampoline_kernelINS0_14default_configENS1_25partition_config_selectorILNS1_17partition_subalgoE9EllbEEZZNS1_14partition_implILS5_9ELb0ES3_jPlS8_PNS0_10empty_typeENS0_5tupleIJS8_S9_EEENSB_IJS8_SA_EEENS0_18inequality_wrapperIZN2at6native12_GLOBAL__N_124unique_dim_cuda_templateIlEESt5tupleIJNSF_6TensorESK_SK_EERKSK_lbbbEUlllE0_EEPmJS9_EEE10hipError_tPvRmT3_T4_T5_T6_T7_T9_mT8_P12ihipStream_tbDpT10_ENKUlT_T0_E_clISt17integral_constantIbLb1EES19_IbLb0EEEEDaS15_S16_EUlS15_E_NS1_11comp_targetILNS1_3genE2ELNS1_11target_archE906ELNS1_3gpuE6ELNS1_3repE0EEENS1_30default_config_static_selectorELNS0_4arch9wavefront6targetE1EEEvT1_.uses_flat_scratch, 0
	.set _ZN7rocprim17ROCPRIM_400000_NS6detail17trampoline_kernelINS0_14default_configENS1_25partition_config_selectorILNS1_17partition_subalgoE9EllbEEZZNS1_14partition_implILS5_9ELb0ES3_jPlS8_PNS0_10empty_typeENS0_5tupleIJS8_S9_EEENSB_IJS8_SA_EEENS0_18inequality_wrapperIZN2at6native12_GLOBAL__N_124unique_dim_cuda_templateIlEESt5tupleIJNSF_6TensorESK_SK_EERKSK_lbbbEUlllE0_EEPmJS9_EEE10hipError_tPvRmT3_T4_T5_T6_T7_T9_mT8_P12ihipStream_tbDpT10_ENKUlT_T0_E_clISt17integral_constantIbLb1EES19_IbLb0EEEEDaS15_S16_EUlS15_E_NS1_11comp_targetILNS1_3genE2ELNS1_11target_archE906ELNS1_3gpuE6ELNS1_3repE0EEENS1_30default_config_static_selectorELNS0_4arch9wavefront6targetE1EEEvT1_.has_dyn_sized_stack, 0
	.set _ZN7rocprim17ROCPRIM_400000_NS6detail17trampoline_kernelINS0_14default_configENS1_25partition_config_selectorILNS1_17partition_subalgoE9EllbEEZZNS1_14partition_implILS5_9ELb0ES3_jPlS8_PNS0_10empty_typeENS0_5tupleIJS8_S9_EEENSB_IJS8_SA_EEENS0_18inequality_wrapperIZN2at6native12_GLOBAL__N_124unique_dim_cuda_templateIlEESt5tupleIJNSF_6TensorESK_SK_EERKSK_lbbbEUlllE0_EEPmJS9_EEE10hipError_tPvRmT3_T4_T5_T6_T7_T9_mT8_P12ihipStream_tbDpT10_ENKUlT_T0_E_clISt17integral_constantIbLb1EES19_IbLb0EEEEDaS15_S16_EUlS15_E_NS1_11comp_targetILNS1_3genE2ELNS1_11target_archE906ELNS1_3gpuE6ELNS1_3repE0EEENS1_30default_config_static_selectorELNS0_4arch9wavefront6targetE1EEEvT1_.has_recursion, 0
	.set _ZN7rocprim17ROCPRIM_400000_NS6detail17trampoline_kernelINS0_14default_configENS1_25partition_config_selectorILNS1_17partition_subalgoE9EllbEEZZNS1_14partition_implILS5_9ELb0ES3_jPlS8_PNS0_10empty_typeENS0_5tupleIJS8_S9_EEENSB_IJS8_SA_EEENS0_18inequality_wrapperIZN2at6native12_GLOBAL__N_124unique_dim_cuda_templateIlEESt5tupleIJNSF_6TensorESK_SK_EERKSK_lbbbEUlllE0_EEPmJS9_EEE10hipError_tPvRmT3_T4_T5_T6_T7_T9_mT8_P12ihipStream_tbDpT10_ENKUlT_T0_E_clISt17integral_constantIbLb1EES19_IbLb0EEEEDaS15_S16_EUlS15_E_NS1_11comp_targetILNS1_3genE2ELNS1_11target_archE906ELNS1_3gpuE6ELNS1_3repE0EEENS1_30default_config_static_selectorELNS0_4arch9wavefront6targetE1EEEvT1_.has_indirect_call, 0
	.section	.AMDGPU.csdata,"",@progbits
; Kernel info:
; codeLenInByte = 0
; TotalNumSgprs: 6
; NumVgprs: 0
; NumAgprs: 0
; TotalNumVgprs: 0
; ScratchSize: 0
; MemoryBound: 0
; FloatMode: 240
; IeeeMode: 1
; LDSByteSize: 0 bytes/workgroup (compile time only)
; SGPRBlocks: 0
; VGPRBlocks: 0
; NumSGPRsForWavesPerEU: 6
; NumVGPRsForWavesPerEU: 1
; AccumOffset: 4
; Occupancy: 8
; WaveLimiterHint : 0
; COMPUTE_PGM_RSRC2:SCRATCH_EN: 0
; COMPUTE_PGM_RSRC2:USER_SGPR: 2
; COMPUTE_PGM_RSRC2:TRAP_HANDLER: 0
; COMPUTE_PGM_RSRC2:TGID_X_EN: 1
; COMPUTE_PGM_RSRC2:TGID_Y_EN: 0
; COMPUTE_PGM_RSRC2:TGID_Z_EN: 0
; COMPUTE_PGM_RSRC2:TIDIG_COMP_CNT: 0
; COMPUTE_PGM_RSRC3_GFX90A:ACCUM_OFFSET: 0
; COMPUTE_PGM_RSRC3_GFX90A:TG_SPLIT: 0
	.section	.text._ZN7rocprim17ROCPRIM_400000_NS6detail17trampoline_kernelINS0_14default_configENS1_25partition_config_selectorILNS1_17partition_subalgoE9EllbEEZZNS1_14partition_implILS5_9ELb0ES3_jPlS8_PNS0_10empty_typeENS0_5tupleIJS8_S9_EEENSB_IJS8_SA_EEENS0_18inequality_wrapperIZN2at6native12_GLOBAL__N_124unique_dim_cuda_templateIlEESt5tupleIJNSF_6TensorESK_SK_EERKSK_lbbbEUlllE0_EEPmJS9_EEE10hipError_tPvRmT3_T4_T5_T6_T7_T9_mT8_P12ihipStream_tbDpT10_ENKUlT_T0_E_clISt17integral_constantIbLb1EES19_IbLb0EEEEDaS15_S16_EUlS15_E_NS1_11comp_targetILNS1_3genE10ELNS1_11target_archE1200ELNS1_3gpuE4ELNS1_3repE0EEENS1_30default_config_static_selectorELNS0_4arch9wavefront6targetE1EEEvT1_,"axG",@progbits,_ZN7rocprim17ROCPRIM_400000_NS6detail17trampoline_kernelINS0_14default_configENS1_25partition_config_selectorILNS1_17partition_subalgoE9EllbEEZZNS1_14partition_implILS5_9ELb0ES3_jPlS8_PNS0_10empty_typeENS0_5tupleIJS8_S9_EEENSB_IJS8_SA_EEENS0_18inequality_wrapperIZN2at6native12_GLOBAL__N_124unique_dim_cuda_templateIlEESt5tupleIJNSF_6TensorESK_SK_EERKSK_lbbbEUlllE0_EEPmJS9_EEE10hipError_tPvRmT3_T4_T5_T6_T7_T9_mT8_P12ihipStream_tbDpT10_ENKUlT_T0_E_clISt17integral_constantIbLb1EES19_IbLb0EEEEDaS15_S16_EUlS15_E_NS1_11comp_targetILNS1_3genE10ELNS1_11target_archE1200ELNS1_3gpuE4ELNS1_3repE0EEENS1_30default_config_static_selectorELNS0_4arch9wavefront6targetE1EEEvT1_,comdat
	.globl	_ZN7rocprim17ROCPRIM_400000_NS6detail17trampoline_kernelINS0_14default_configENS1_25partition_config_selectorILNS1_17partition_subalgoE9EllbEEZZNS1_14partition_implILS5_9ELb0ES3_jPlS8_PNS0_10empty_typeENS0_5tupleIJS8_S9_EEENSB_IJS8_SA_EEENS0_18inequality_wrapperIZN2at6native12_GLOBAL__N_124unique_dim_cuda_templateIlEESt5tupleIJNSF_6TensorESK_SK_EERKSK_lbbbEUlllE0_EEPmJS9_EEE10hipError_tPvRmT3_T4_T5_T6_T7_T9_mT8_P12ihipStream_tbDpT10_ENKUlT_T0_E_clISt17integral_constantIbLb1EES19_IbLb0EEEEDaS15_S16_EUlS15_E_NS1_11comp_targetILNS1_3genE10ELNS1_11target_archE1200ELNS1_3gpuE4ELNS1_3repE0EEENS1_30default_config_static_selectorELNS0_4arch9wavefront6targetE1EEEvT1_ ; -- Begin function _ZN7rocprim17ROCPRIM_400000_NS6detail17trampoline_kernelINS0_14default_configENS1_25partition_config_selectorILNS1_17partition_subalgoE9EllbEEZZNS1_14partition_implILS5_9ELb0ES3_jPlS8_PNS0_10empty_typeENS0_5tupleIJS8_S9_EEENSB_IJS8_SA_EEENS0_18inequality_wrapperIZN2at6native12_GLOBAL__N_124unique_dim_cuda_templateIlEESt5tupleIJNSF_6TensorESK_SK_EERKSK_lbbbEUlllE0_EEPmJS9_EEE10hipError_tPvRmT3_T4_T5_T6_T7_T9_mT8_P12ihipStream_tbDpT10_ENKUlT_T0_E_clISt17integral_constantIbLb1EES19_IbLb0EEEEDaS15_S16_EUlS15_E_NS1_11comp_targetILNS1_3genE10ELNS1_11target_archE1200ELNS1_3gpuE4ELNS1_3repE0EEENS1_30default_config_static_selectorELNS0_4arch9wavefront6targetE1EEEvT1_
	.p2align	8
	.type	_ZN7rocprim17ROCPRIM_400000_NS6detail17trampoline_kernelINS0_14default_configENS1_25partition_config_selectorILNS1_17partition_subalgoE9EllbEEZZNS1_14partition_implILS5_9ELb0ES3_jPlS8_PNS0_10empty_typeENS0_5tupleIJS8_S9_EEENSB_IJS8_SA_EEENS0_18inequality_wrapperIZN2at6native12_GLOBAL__N_124unique_dim_cuda_templateIlEESt5tupleIJNSF_6TensorESK_SK_EERKSK_lbbbEUlllE0_EEPmJS9_EEE10hipError_tPvRmT3_T4_T5_T6_T7_T9_mT8_P12ihipStream_tbDpT10_ENKUlT_T0_E_clISt17integral_constantIbLb1EES19_IbLb0EEEEDaS15_S16_EUlS15_E_NS1_11comp_targetILNS1_3genE10ELNS1_11target_archE1200ELNS1_3gpuE4ELNS1_3repE0EEENS1_30default_config_static_selectorELNS0_4arch9wavefront6targetE1EEEvT1_,@function
_ZN7rocprim17ROCPRIM_400000_NS6detail17trampoline_kernelINS0_14default_configENS1_25partition_config_selectorILNS1_17partition_subalgoE9EllbEEZZNS1_14partition_implILS5_9ELb0ES3_jPlS8_PNS0_10empty_typeENS0_5tupleIJS8_S9_EEENSB_IJS8_SA_EEENS0_18inequality_wrapperIZN2at6native12_GLOBAL__N_124unique_dim_cuda_templateIlEESt5tupleIJNSF_6TensorESK_SK_EERKSK_lbbbEUlllE0_EEPmJS9_EEE10hipError_tPvRmT3_T4_T5_T6_T7_T9_mT8_P12ihipStream_tbDpT10_ENKUlT_T0_E_clISt17integral_constantIbLb1EES19_IbLb0EEEEDaS15_S16_EUlS15_E_NS1_11comp_targetILNS1_3genE10ELNS1_11target_archE1200ELNS1_3gpuE4ELNS1_3repE0EEENS1_30default_config_static_selectorELNS0_4arch9wavefront6targetE1EEEvT1_: ; @_ZN7rocprim17ROCPRIM_400000_NS6detail17trampoline_kernelINS0_14default_configENS1_25partition_config_selectorILNS1_17partition_subalgoE9EllbEEZZNS1_14partition_implILS5_9ELb0ES3_jPlS8_PNS0_10empty_typeENS0_5tupleIJS8_S9_EEENSB_IJS8_SA_EEENS0_18inequality_wrapperIZN2at6native12_GLOBAL__N_124unique_dim_cuda_templateIlEESt5tupleIJNSF_6TensorESK_SK_EERKSK_lbbbEUlllE0_EEPmJS9_EEE10hipError_tPvRmT3_T4_T5_T6_T7_T9_mT8_P12ihipStream_tbDpT10_ENKUlT_T0_E_clISt17integral_constantIbLb1EES19_IbLb0EEEEDaS15_S16_EUlS15_E_NS1_11comp_targetILNS1_3genE10ELNS1_11target_archE1200ELNS1_3gpuE4ELNS1_3repE0EEENS1_30default_config_static_selectorELNS0_4arch9wavefront6targetE1EEEvT1_
; %bb.0:
	.section	.rodata,"a",@progbits
	.p2align	6, 0x0
	.amdhsa_kernel _ZN7rocprim17ROCPRIM_400000_NS6detail17trampoline_kernelINS0_14default_configENS1_25partition_config_selectorILNS1_17partition_subalgoE9EllbEEZZNS1_14partition_implILS5_9ELb0ES3_jPlS8_PNS0_10empty_typeENS0_5tupleIJS8_S9_EEENSB_IJS8_SA_EEENS0_18inequality_wrapperIZN2at6native12_GLOBAL__N_124unique_dim_cuda_templateIlEESt5tupleIJNSF_6TensorESK_SK_EERKSK_lbbbEUlllE0_EEPmJS9_EEE10hipError_tPvRmT3_T4_T5_T6_T7_T9_mT8_P12ihipStream_tbDpT10_ENKUlT_T0_E_clISt17integral_constantIbLb1EES19_IbLb0EEEEDaS15_S16_EUlS15_E_NS1_11comp_targetILNS1_3genE10ELNS1_11target_archE1200ELNS1_3gpuE4ELNS1_3repE0EEENS1_30default_config_static_selectorELNS0_4arch9wavefront6targetE1EEEvT1_
		.amdhsa_group_segment_fixed_size 0
		.amdhsa_private_segment_fixed_size 0
		.amdhsa_kernarg_size 120
		.amdhsa_user_sgpr_count 2
		.amdhsa_user_sgpr_dispatch_ptr 0
		.amdhsa_user_sgpr_queue_ptr 0
		.amdhsa_user_sgpr_kernarg_segment_ptr 1
		.amdhsa_user_sgpr_dispatch_id 0
		.amdhsa_user_sgpr_kernarg_preload_length 0
		.amdhsa_user_sgpr_kernarg_preload_offset 0
		.amdhsa_user_sgpr_private_segment_size 0
		.amdhsa_uses_dynamic_stack 0
		.amdhsa_enable_private_segment 0
		.amdhsa_system_sgpr_workgroup_id_x 1
		.amdhsa_system_sgpr_workgroup_id_y 0
		.amdhsa_system_sgpr_workgroup_id_z 0
		.amdhsa_system_sgpr_workgroup_info 0
		.amdhsa_system_vgpr_workitem_id 0
		.amdhsa_next_free_vgpr 1
		.amdhsa_next_free_sgpr 0
		.amdhsa_accum_offset 4
		.amdhsa_reserve_vcc 0
		.amdhsa_float_round_mode_32 0
		.amdhsa_float_round_mode_16_64 0
		.amdhsa_float_denorm_mode_32 3
		.amdhsa_float_denorm_mode_16_64 3
		.amdhsa_dx10_clamp 1
		.amdhsa_ieee_mode 1
		.amdhsa_fp16_overflow 0
		.amdhsa_tg_split 0
		.amdhsa_exception_fp_ieee_invalid_op 0
		.amdhsa_exception_fp_denorm_src 0
		.amdhsa_exception_fp_ieee_div_zero 0
		.amdhsa_exception_fp_ieee_overflow 0
		.amdhsa_exception_fp_ieee_underflow 0
		.amdhsa_exception_fp_ieee_inexact 0
		.amdhsa_exception_int_div_zero 0
	.end_amdhsa_kernel
	.section	.text._ZN7rocprim17ROCPRIM_400000_NS6detail17trampoline_kernelINS0_14default_configENS1_25partition_config_selectorILNS1_17partition_subalgoE9EllbEEZZNS1_14partition_implILS5_9ELb0ES3_jPlS8_PNS0_10empty_typeENS0_5tupleIJS8_S9_EEENSB_IJS8_SA_EEENS0_18inequality_wrapperIZN2at6native12_GLOBAL__N_124unique_dim_cuda_templateIlEESt5tupleIJNSF_6TensorESK_SK_EERKSK_lbbbEUlllE0_EEPmJS9_EEE10hipError_tPvRmT3_T4_T5_T6_T7_T9_mT8_P12ihipStream_tbDpT10_ENKUlT_T0_E_clISt17integral_constantIbLb1EES19_IbLb0EEEEDaS15_S16_EUlS15_E_NS1_11comp_targetILNS1_3genE10ELNS1_11target_archE1200ELNS1_3gpuE4ELNS1_3repE0EEENS1_30default_config_static_selectorELNS0_4arch9wavefront6targetE1EEEvT1_,"axG",@progbits,_ZN7rocprim17ROCPRIM_400000_NS6detail17trampoline_kernelINS0_14default_configENS1_25partition_config_selectorILNS1_17partition_subalgoE9EllbEEZZNS1_14partition_implILS5_9ELb0ES3_jPlS8_PNS0_10empty_typeENS0_5tupleIJS8_S9_EEENSB_IJS8_SA_EEENS0_18inequality_wrapperIZN2at6native12_GLOBAL__N_124unique_dim_cuda_templateIlEESt5tupleIJNSF_6TensorESK_SK_EERKSK_lbbbEUlllE0_EEPmJS9_EEE10hipError_tPvRmT3_T4_T5_T6_T7_T9_mT8_P12ihipStream_tbDpT10_ENKUlT_T0_E_clISt17integral_constantIbLb1EES19_IbLb0EEEEDaS15_S16_EUlS15_E_NS1_11comp_targetILNS1_3genE10ELNS1_11target_archE1200ELNS1_3gpuE4ELNS1_3repE0EEENS1_30default_config_static_selectorELNS0_4arch9wavefront6targetE1EEEvT1_,comdat
.Lfunc_end616:
	.size	_ZN7rocprim17ROCPRIM_400000_NS6detail17trampoline_kernelINS0_14default_configENS1_25partition_config_selectorILNS1_17partition_subalgoE9EllbEEZZNS1_14partition_implILS5_9ELb0ES3_jPlS8_PNS0_10empty_typeENS0_5tupleIJS8_S9_EEENSB_IJS8_SA_EEENS0_18inequality_wrapperIZN2at6native12_GLOBAL__N_124unique_dim_cuda_templateIlEESt5tupleIJNSF_6TensorESK_SK_EERKSK_lbbbEUlllE0_EEPmJS9_EEE10hipError_tPvRmT3_T4_T5_T6_T7_T9_mT8_P12ihipStream_tbDpT10_ENKUlT_T0_E_clISt17integral_constantIbLb1EES19_IbLb0EEEEDaS15_S16_EUlS15_E_NS1_11comp_targetILNS1_3genE10ELNS1_11target_archE1200ELNS1_3gpuE4ELNS1_3repE0EEENS1_30default_config_static_selectorELNS0_4arch9wavefront6targetE1EEEvT1_, .Lfunc_end616-_ZN7rocprim17ROCPRIM_400000_NS6detail17trampoline_kernelINS0_14default_configENS1_25partition_config_selectorILNS1_17partition_subalgoE9EllbEEZZNS1_14partition_implILS5_9ELb0ES3_jPlS8_PNS0_10empty_typeENS0_5tupleIJS8_S9_EEENSB_IJS8_SA_EEENS0_18inequality_wrapperIZN2at6native12_GLOBAL__N_124unique_dim_cuda_templateIlEESt5tupleIJNSF_6TensorESK_SK_EERKSK_lbbbEUlllE0_EEPmJS9_EEE10hipError_tPvRmT3_T4_T5_T6_T7_T9_mT8_P12ihipStream_tbDpT10_ENKUlT_T0_E_clISt17integral_constantIbLb1EES19_IbLb0EEEEDaS15_S16_EUlS15_E_NS1_11comp_targetILNS1_3genE10ELNS1_11target_archE1200ELNS1_3gpuE4ELNS1_3repE0EEENS1_30default_config_static_selectorELNS0_4arch9wavefront6targetE1EEEvT1_
                                        ; -- End function
	.set _ZN7rocprim17ROCPRIM_400000_NS6detail17trampoline_kernelINS0_14default_configENS1_25partition_config_selectorILNS1_17partition_subalgoE9EllbEEZZNS1_14partition_implILS5_9ELb0ES3_jPlS8_PNS0_10empty_typeENS0_5tupleIJS8_S9_EEENSB_IJS8_SA_EEENS0_18inequality_wrapperIZN2at6native12_GLOBAL__N_124unique_dim_cuda_templateIlEESt5tupleIJNSF_6TensorESK_SK_EERKSK_lbbbEUlllE0_EEPmJS9_EEE10hipError_tPvRmT3_T4_T5_T6_T7_T9_mT8_P12ihipStream_tbDpT10_ENKUlT_T0_E_clISt17integral_constantIbLb1EES19_IbLb0EEEEDaS15_S16_EUlS15_E_NS1_11comp_targetILNS1_3genE10ELNS1_11target_archE1200ELNS1_3gpuE4ELNS1_3repE0EEENS1_30default_config_static_selectorELNS0_4arch9wavefront6targetE1EEEvT1_.num_vgpr, 0
	.set _ZN7rocprim17ROCPRIM_400000_NS6detail17trampoline_kernelINS0_14default_configENS1_25partition_config_selectorILNS1_17partition_subalgoE9EllbEEZZNS1_14partition_implILS5_9ELb0ES3_jPlS8_PNS0_10empty_typeENS0_5tupleIJS8_S9_EEENSB_IJS8_SA_EEENS0_18inequality_wrapperIZN2at6native12_GLOBAL__N_124unique_dim_cuda_templateIlEESt5tupleIJNSF_6TensorESK_SK_EERKSK_lbbbEUlllE0_EEPmJS9_EEE10hipError_tPvRmT3_T4_T5_T6_T7_T9_mT8_P12ihipStream_tbDpT10_ENKUlT_T0_E_clISt17integral_constantIbLb1EES19_IbLb0EEEEDaS15_S16_EUlS15_E_NS1_11comp_targetILNS1_3genE10ELNS1_11target_archE1200ELNS1_3gpuE4ELNS1_3repE0EEENS1_30default_config_static_selectorELNS0_4arch9wavefront6targetE1EEEvT1_.num_agpr, 0
	.set _ZN7rocprim17ROCPRIM_400000_NS6detail17trampoline_kernelINS0_14default_configENS1_25partition_config_selectorILNS1_17partition_subalgoE9EllbEEZZNS1_14partition_implILS5_9ELb0ES3_jPlS8_PNS0_10empty_typeENS0_5tupleIJS8_S9_EEENSB_IJS8_SA_EEENS0_18inequality_wrapperIZN2at6native12_GLOBAL__N_124unique_dim_cuda_templateIlEESt5tupleIJNSF_6TensorESK_SK_EERKSK_lbbbEUlllE0_EEPmJS9_EEE10hipError_tPvRmT3_T4_T5_T6_T7_T9_mT8_P12ihipStream_tbDpT10_ENKUlT_T0_E_clISt17integral_constantIbLb1EES19_IbLb0EEEEDaS15_S16_EUlS15_E_NS1_11comp_targetILNS1_3genE10ELNS1_11target_archE1200ELNS1_3gpuE4ELNS1_3repE0EEENS1_30default_config_static_selectorELNS0_4arch9wavefront6targetE1EEEvT1_.numbered_sgpr, 0
	.set _ZN7rocprim17ROCPRIM_400000_NS6detail17trampoline_kernelINS0_14default_configENS1_25partition_config_selectorILNS1_17partition_subalgoE9EllbEEZZNS1_14partition_implILS5_9ELb0ES3_jPlS8_PNS0_10empty_typeENS0_5tupleIJS8_S9_EEENSB_IJS8_SA_EEENS0_18inequality_wrapperIZN2at6native12_GLOBAL__N_124unique_dim_cuda_templateIlEESt5tupleIJNSF_6TensorESK_SK_EERKSK_lbbbEUlllE0_EEPmJS9_EEE10hipError_tPvRmT3_T4_T5_T6_T7_T9_mT8_P12ihipStream_tbDpT10_ENKUlT_T0_E_clISt17integral_constantIbLb1EES19_IbLb0EEEEDaS15_S16_EUlS15_E_NS1_11comp_targetILNS1_3genE10ELNS1_11target_archE1200ELNS1_3gpuE4ELNS1_3repE0EEENS1_30default_config_static_selectorELNS0_4arch9wavefront6targetE1EEEvT1_.num_named_barrier, 0
	.set _ZN7rocprim17ROCPRIM_400000_NS6detail17trampoline_kernelINS0_14default_configENS1_25partition_config_selectorILNS1_17partition_subalgoE9EllbEEZZNS1_14partition_implILS5_9ELb0ES3_jPlS8_PNS0_10empty_typeENS0_5tupleIJS8_S9_EEENSB_IJS8_SA_EEENS0_18inequality_wrapperIZN2at6native12_GLOBAL__N_124unique_dim_cuda_templateIlEESt5tupleIJNSF_6TensorESK_SK_EERKSK_lbbbEUlllE0_EEPmJS9_EEE10hipError_tPvRmT3_T4_T5_T6_T7_T9_mT8_P12ihipStream_tbDpT10_ENKUlT_T0_E_clISt17integral_constantIbLb1EES19_IbLb0EEEEDaS15_S16_EUlS15_E_NS1_11comp_targetILNS1_3genE10ELNS1_11target_archE1200ELNS1_3gpuE4ELNS1_3repE0EEENS1_30default_config_static_selectorELNS0_4arch9wavefront6targetE1EEEvT1_.private_seg_size, 0
	.set _ZN7rocprim17ROCPRIM_400000_NS6detail17trampoline_kernelINS0_14default_configENS1_25partition_config_selectorILNS1_17partition_subalgoE9EllbEEZZNS1_14partition_implILS5_9ELb0ES3_jPlS8_PNS0_10empty_typeENS0_5tupleIJS8_S9_EEENSB_IJS8_SA_EEENS0_18inequality_wrapperIZN2at6native12_GLOBAL__N_124unique_dim_cuda_templateIlEESt5tupleIJNSF_6TensorESK_SK_EERKSK_lbbbEUlllE0_EEPmJS9_EEE10hipError_tPvRmT3_T4_T5_T6_T7_T9_mT8_P12ihipStream_tbDpT10_ENKUlT_T0_E_clISt17integral_constantIbLb1EES19_IbLb0EEEEDaS15_S16_EUlS15_E_NS1_11comp_targetILNS1_3genE10ELNS1_11target_archE1200ELNS1_3gpuE4ELNS1_3repE0EEENS1_30default_config_static_selectorELNS0_4arch9wavefront6targetE1EEEvT1_.uses_vcc, 0
	.set _ZN7rocprim17ROCPRIM_400000_NS6detail17trampoline_kernelINS0_14default_configENS1_25partition_config_selectorILNS1_17partition_subalgoE9EllbEEZZNS1_14partition_implILS5_9ELb0ES3_jPlS8_PNS0_10empty_typeENS0_5tupleIJS8_S9_EEENSB_IJS8_SA_EEENS0_18inequality_wrapperIZN2at6native12_GLOBAL__N_124unique_dim_cuda_templateIlEESt5tupleIJNSF_6TensorESK_SK_EERKSK_lbbbEUlllE0_EEPmJS9_EEE10hipError_tPvRmT3_T4_T5_T6_T7_T9_mT8_P12ihipStream_tbDpT10_ENKUlT_T0_E_clISt17integral_constantIbLb1EES19_IbLb0EEEEDaS15_S16_EUlS15_E_NS1_11comp_targetILNS1_3genE10ELNS1_11target_archE1200ELNS1_3gpuE4ELNS1_3repE0EEENS1_30default_config_static_selectorELNS0_4arch9wavefront6targetE1EEEvT1_.uses_flat_scratch, 0
	.set _ZN7rocprim17ROCPRIM_400000_NS6detail17trampoline_kernelINS0_14default_configENS1_25partition_config_selectorILNS1_17partition_subalgoE9EllbEEZZNS1_14partition_implILS5_9ELb0ES3_jPlS8_PNS0_10empty_typeENS0_5tupleIJS8_S9_EEENSB_IJS8_SA_EEENS0_18inequality_wrapperIZN2at6native12_GLOBAL__N_124unique_dim_cuda_templateIlEESt5tupleIJNSF_6TensorESK_SK_EERKSK_lbbbEUlllE0_EEPmJS9_EEE10hipError_tPvRmT3_T4_T5_T6_T7_T9_mT8_P12ihipStream_tbDpT10_ENKUlT_T0_E_clISt17integral_constantIbLb1EES19_IbLb0EEEEDaS15_S16_EUlS15_E_NS1_11comp_targetILNS1_3genE10ELNS1_11target_archE1200ELNS1_3gpuE4ELNS1_3repE0EEENS1_30default_config_static_selectorELNS0_4arch9wavefront6targetE1EEEvT1_.has_dyn_sized_stack, 0
	.set _ZN7rocprim17ROCPRIM_400000_NS6detail17trampoline_kernelINS0_14default_configENS1_25partition_config_selectorILNS1_17partition_subalgoE9EllbEEZZNS1_14partition_implILS5_9ELb0ES3_jPlS8_PNS0_10empty_typeENS0_5tupleIJS8_S9_EEENSB_IJS8_SA_EEENS0_18inequality_wrapperIZN2at6native12_GLOBAL__N_124unique_dim_cuda_templateIlEESt5tupleIJNSF_6TensorESK_SK_EERKSK_lbbbEUlllE0_EEPmJS9_EEE10hipError_tPvRmT3_T4_T5_T6_T7_T9_mT8_P12ihipStream_tbDpT10_ENKUlT_T0_E_clISt17integral_constantIbLb1EES19_IbLb0EEEEDaS15_S16_EUlS15_E_NS1_11comp_targetILNS1_3genE10ELNS1_11target_archE1200ELNS1_3gpuE4ELNS1_3repE0EEENS1_30default_config_static_selectorELNS0_4arch9wavefront6targetE1EEEvT1_.has_recursion, 0
	.set _ZN7rocprim17ROCPRIM_400000_NS6detail17trampoline_kernelINS0_14default_configENS1_25partition_config_selectorILNS1_17partition_subalgoE9EllbEEZZNS1_14partition_implILS5_9ELb0ES3_jPlS8_PNS0_10empty_typeENS0_5tupleIJS8_S9_EEENSB_IJS8_SA_EEENS0_18inequality_wrapperIZN2at6native12_GLOBAL__N_124unique_dim_cuda_templateIlEESt5tupleIJNSF_6TensorESK_SK_EERKSK_lbbbEUlllE0_EEPmJS9_EEE10hipError_tPvRmT3_T4_T5_T6_T7_T9_mT8_P12ihipStream_tbDpT10_ENKUlT_T0_E_clISt17integral_constantIbLb1EES19_IbLb0EEEEDaS15_S16_EUlS15_E_NS1_11comp_targetILNS1_3genE10ELNS1_11target_archE1200ELNS1_3gpuE4ELNS1_3repE0EEENS1_30default_config_static_selectorELNS0_4arch9wavefront6targetE1EEEvT1_.has_indirect_call, 0
	.section	.AMDGPU.csdata,"",@progbits
; Kernel info:
; codeLenInByte = 0
; TotalNumSgprs: 6
; NumVgprs: 0
; NumAgprs: 0
; TotalNumVgprs: 0
; ScratchSize: 0
; MemoryBound: 0
; FloatMode: 240
; IeeeMode: 1
; LDSByteSize: 0 bytes/workgroup (compile time only)
; SGPRBlocks: 0
; VGPRBlocks: 0
; NumSGPRsForWavesPerEU: 6
; NumVGPRsForWavesPerEU: 1
; AccumOffset: 4
; Occupancy: 8
; WaveLimiterHint : 0
; COMPUTE_PGM_RSRC2:SCRATCH_EN: 0
; COMPUTE_PGM_RSRC2:USER_SGPR: 2
; COMPUTE_PGM_RSRC2:TRAP_HANDLER: 0
; COMPUTE_PGM_RSRC2:TGID_X_EN: 1
; COMPUTE_PGM_RSRC2:TGID_Y_EN: 0
; COMPUTE_PGM_RSRC2:TGID_Z_EN: 0
; COMPUTE_PGM_RSRC2:TIDIG_COMP_CNT: 0
; COMPUTE_PGM_RSRC3_GFX90A:ACCUM_OFFSET: 0
; COMPUTE_PGM_RSRC3_GFX90A:TG_SPLIT: 0
	.section	.text._ZN7rocprim17ROCPRIM_400000_NS6detail17trampoline_kernelINS0_14default_configENS1_25partition_config_selectorILNS1_17partition_subalgoE9EllbEEZZNS1_14partition_implILS5_9ELb0ES3_jPlS8_PNS0_10empty_typeENS0_5tupleIJS8_S9_EEENSB_IJS8_SA_EEENS0_18inequality_wrapperIZN2at6native12_GLOBAL__N_124unique_dim_cuda_templateIlEESt5tupleIJNSF_6TensorESK_SK_EERKSK_lbbbEUlllE0_EEPmJS9_EEE10hipError_tPvRmT3_T4_T5_T6_T7_T9_mT8_P12ihipStream_tbDpT10_ENKUlT_T0_E_clISt17integral_constantIbLb1EES19_IbLb0EEEEDaS15_S16_EUlS15_E_NS1_11comp_targetILNS1_3genE9ELNS1_11target_archE1100ELNS1_3gpuE3ELNS1_3repE0EEENS1_30default_config_static_selectorELNS0_4arch9wavefront6targetE1EEEvT1_,"axG",@progbits,_ZN7rocprim17ROCPRIM_400000_NS6detail17trampoline_kernelINS0_14default_configENS1_25partition_config_selectorILNS1_17partition_subalgoE9EllbEEZZNS1_14partition_implILS5_9ELb0ES3_jPlS8_PNS0_10empty_typeENS0_5tupleIJS8_S9_EEENSB_IJS8_SA_EEENS0_18inequality_wrapperIZN2at6native12_GLOBAL__N_124unique_dim_cuda_templateIlEESt5tupleIJNSF_6TensorESK_SK_EERKSK_lbbbEUlllE0_EEPmJS9_EEE10hipError_tPvRmT3_T4_T5_T6_T7_T9_mT8_P12ihipStream_tbDpT10_ENKUlT_T0_E_clISt17integral_constantIbLb1EES19_IbLb0EEEEDaS15_S16_EUlS15_E_NS1_11comp_targetILNS1_3genE9ELNS1_11target_archE1100ELNS1_3gpuE3ELNS1_3repE0EEENS1_30default_config_static_selectorELNS0_4arch9wavefront6targetE1EEEvT1_,comdat
	.globl	_ZN7rocprim17ROCPRIM_400000_NS6detail17trampoline_kernelINS0_14default_configENS1_25partition_config_selectorILNS1_17partition_subalgoE9EllbEEZZNS1_14partition_implILS5_9ELb0ES3_jPlS8_PNS0_10empty_typeENS0_5tupleIJS8_S9_EEENSB_IJS8_SA_EEENS0_18inequality_wrapperIZN2at6native12_GLOBAL__N_124unique_dim_cuda_templateIlEESt5tupleIJNSF_6TensorESK_SK_EERKSK_lbbbEUlllE0_EEPmJS9_EEE10hipError_tPvRmT3_T4_T5_T6_T7_T9_mT8_P12ihipStream_tbDpT10_ENKUlT_T0_E_clISt17integral_constantIbLb1EES19_IbLb0EEEEDaS15_S16_EUlS15_E_NS1_11comp_targetILNS1_3genE9ELNS1_11target_archE1100ELNS1_3gpuE3ELNS1_3repE0EEENS1_30default_config_static_selectorELNS0_4arch9wavefront6targetE1EEEvT1_ ; -- Begin function _ZN7rocprim17ROCPRIM_400000_NS6detail17trampoline_kernelINS0_14default_configENS1_25partition_config_selectorILNS1_17partition_subalgoE9EllbEEZZNS1_14partition_implILS5_9ELb0ES3_jPlS8_PNS0_10empty_typeENS0_5tupleIJS8_S9_EEENSB_IJS8_SA_EEENS0_18inequality_wrapperIZN2at6native12_GLOBAL__N_124unique_dim_cuda_templateIlEESt5tupleIJNSF_6TensorESK_SK_EERKSK_lbbbEUlllE0_EEPmJS9_EEE10hipError_tPvRmT3_T4_T5_T6_T7_T9_mT8_P12ihipStream_tbDpT10_ENKUlT_T0_E_clISt17integral_constantIbLb1EES19_IbLb0EEEEDaS15_S16_EUlS15_E_NS1_11comp_targetILNS1_3genE9ELNS1_11target_archE1100ELNS1_3gpuE3ELNS1_3repE0EEENS1_30default_config_static_selectorELNS0_4arch9wavefront6targetE1EEEvT1_
	.p2align	8
	.type	_ZN7rocprim17ROCPRIM_400000_NS6detail17trampoline_kernelINS0_14default_configENS1_25partition_config_selectorILNS1_17partition_subalgoE9EllbEEZZNS1_14partition_implILS5_9ELb0ES3_jPlS8_PNS0_10empty_typeENS0_5tupleIJS8_S9_EEENSB_IJS8_SA_EEENS0_18inequality_wrapperIZN2at6native12_GLOBAL__N_124unique_dim_cuda_templateIlEESt5tupleIJNSF_6TensorESK_SK_EERKSK_lbbbEUlllE0_EEPmJS9_EEE10hipError_tPvRmT3_T4_T5_T6_T7_T9_mT8_P12ihipStream_tbDpT10_ENKUlT_T0_E_clISt17integral_constantIbLb1EES19_IbLb0EEEEDaS15_S16_EUlS15_E_NS1_11comp_targetILNS1_3genE9ELNS1_11target_archE1100ELNS1_3gpuE3ELNS1_3repE0EEENS1_30default_config_static_selectorELNS0_4arch9wavefront6targetE1EEEvT1_,@function
_ZN7rocprim17ROCPRIM_400000_NS6detail17trampoline_kernelINS0_14default_configENS1_25partition_config_selectorILNS1_17partition_subalgoE9EllbEEZZNS1_14partition_implILS5_9ELb0ES3_jPlS8_PNS0_10empty_typeENS0_5tupleIJS8_S9_EEENSB_IJS8_SA_EEENS0_18inequality_wrapperIZN2at6native12_GLOBAL__N_124unique_dim_cuda_templateIlEESt5tupleIJNSF_6TensorESK_SK_EERKSK_lbbbEUlllE0_EEPmJS9_EEE10hipError_tPvRmT3_T4_T5_T6_T7_T9_mT8_P12ihipStream_tbDpT10_ENKUlT_T0_E_clISt17integral_constantIbLb1EES19_IbLb0EEEEDaS15_S16_EUlS15_E_NS1_11comp_targetILNS1_3genE9ELNS1_11target_archE1100ELNS1_3gpuE3ELNS1_3repE0EEENS1_30default_config_static_selectorELNS0_4arch9wavefront6targetE1EEEvT1_: ; @_ZN7rocprim17ROCPRIM_400000_NS6detail17trampoline_kernelINS0_14default_configENS1_25partition_config_selectorILNS1_17partition_subalgoE9EllbEEZZNS1_14partition_implILS5_9ELb0ES3_jPlS8_PNS0_10empty_typeENS0_5tupleIJS8_S9_EEENSB_IJS8_SA_EEENS0_18inequality_wrapperIZN2at6native12_GLOBAL__N_124unique_dim_cuda_templateIlEESt5tupleIJNSF_6TensorESK_SK_EERKSK_lbbbEUlllE0_EEPmJS9_EEE10hipError_tPvRmT3_T4_T5_T6_T7_T9_mT8_P12ihipStream_tbDpT10_ENKUlT_T0_E_clISt17integral_constantIbLb1EES19_IbLb0EEEEDaS15_S16_EUlS15_E_NS1_11comp_targetILNS1_3genE9ELNS1_11target_archE1100ELNS1_3gpuE3ELNS1_3repE0EEENS1_30default_config_static_selectorELNS0_4arch9wavefront6targetE1EEEvT1_
; %bb.0:
	.section	.rodata,"a",@progbits
	.p2align	6, 0x0
	.amdhsa_kernel _ZN7rocprim17ROCPRIM_400000_NS6detail17trampoline_kernelINS0_14default_configENS1_25partition_config_selectorILNS1_17partition_subalgoE9EllbEEZZNS1_14partition_implILS5_9ELb0ES3_jPlS8_PNS0_10empty_typeENS0_5tupleIJS8_S9_EEENSB_IJS8_SA_EEENS0_18inequality_wrapperIZN2at6native12_GLOBAL__N_124unique_dim_cuda_templateIlEESt5tupleIJNSF_6TensorESK_SK_EERKSK_lbbbEUlllE0_EEPmJS9_EEE10hipError_tPvRmT3_T4_T5_T6_T7_T9_mT8_P12ihipStream_tbDpT10_ENKUlT_T0_E_clISt17integral_constantIbLb1EES19_IbLb0EEEEDaS15_S16_EUlS15_E_NS1_11comp_targetILNS1_3genE9ELNS1_11target_archE1100ELNS1_3gpuE3ELNS1_3repE0EEENS1_30default_config_static_selectorELNS0_4arch9wavefront6targetE1EEEvT1_
		.amdhsa_group_segment_fixed_size 0
		.amdhsa_private_segment_fixed_size 0
		.amdhsa_kernarg_size 120
		.amdhsa_user_sgpr_count 2
		.amdhsa_user_sgpr_dispatch_ptr 0
		.amdhsa_user_sgpr_queue_ptr 0
		.amdhsa_user_sgpr_kernarg_segment_ptr 1
		.amdhsa_user_sgpr_dispatch_id 0
		.amdhsa_user_sgpr_kernarg_preload_length 0
		.amdhsa_user_sgpr_kernarg_preload_offset 0
		.amdhsa_user_sgpr_private_segment_size 0
		.amdhsa_uses_dynamic_stack 0
		.amdhsa_enable_private_segment 0
		.amdhsa_system_sgpr_workgroup_id_x 1
		.amdhsa_system_sgpr_workgroup_id_y 0
		.amdhsa_system_sgpr_workgroup_id_z 0
		.amdhsa_system_sgpr_workgroup_info 0
		.amdhsa_system_vgpr_workitem_id 0
		.amdhsa_next_free_vgpr 1
		.amdhsa_next_free_sgpr 0
		.amdhsa_accum_offset 4
		.amdhsa_reserve_vcc 0
		.amdhsa_float_round_mode_32 0
		.amdhsa_float_round_mode_16_64 0
		.amdhsa_float_denorm_mode_32 3
		.amdhsa_float_denorm_mode_16_64 3
		.amdhsa_dx10_clamp 1
		.amdhsa_ieee_mode 1
		.amdhsa_fp16_overflow 0
		.amdhsa_tg_split 0
		.amdhsa_exception_fp_ieee_invalid_op 0
		.amdhsa_exception_fp_denorm_src 0
		.amdhsa_exception_fp_ieee_div_zero 0
		.amdhsa_exception_fp_ieee_overflow 0
		.amdhsa_exception_fp_ieee_underflow 0
		.amdhsa_exception_fp_ieee_inexact 0
		.amdhsa_exception_int_div_zero 0
	.end_amdhsa_kernel
	.section	.text._ZN7rocprim17ROCPRIM_400000_NS6detail17trampoline_kernelINS0_14default_configENS1_25partition_config_selectorILNS1_17partition_subalgoE9EllbEEZZNS1_14partition_implILS5_9ELb0ES3_jPlS8_PNS0_10empty_typeENS0_5tupleIJS8_S9_EEENSB_IJS8_SA_EEENS0_18inequality_wrapperIZN2at6native12_GLOBAL__N_124unique_dim_cuda_templateIlEESt5tupleIJNSF_6TensorESK_SK_EERKSK_lbbbEUlllE0_EEPmJS9_EEE10hipError_tPvRmT3_T4_T5_T6_T7_T9_mT8_P12ihipStream_tbDpT10_ENKUlT_T0_E_clISt17integral_constantIbLb1EES19_IbLb0EEEEDaS15_S16_EUlS15_E_NS1_11comp_targetILNS1_3genE9ELNS1_11target_archE1100ELNS1_3gpuE3ELNS1_3repE0EEENS1_30default_config_static_selectorELNS0_4arch9wavefront6targetE1EEEvT1_,"axG",@progbits,_ZN7rocprim17ROCPRIM_400000_NS6detail17trampoline_kernelINS0_14default_configENS1_25partition_config_selectorILNS1_17partition_subalgoE9EllbEEZZNS1_14partition_implILS5_9ELb0ES3_jPlS8_PNS0_10empty_typeENS0_5tupleIJS8_S9_EEENSB_IJS8_SA_EEENS0_18inequality_wrapperIZN2at6native12_GLOBAL__N_124unique_dim_cuda_templateIlEESt5tupleIJNSF_6TensorESK_SK_EERKSK_lbbbEUlllE0_EEPmJS9_EEE10hipError_tPvRmT3_T4_T5_T6_T7_T9_mT8_P12ihipStream_tbDpT10_ENKUlT_T0_E_clISt17integral_constantIbLb1EES19_IbLb0EEEEDaS15_S16_EUlS15_E_NS1_11comp_targetILNS1_3genE9ELNS1_11target_archE1100ELNS1_3gpuE3ELNS1_3repE0EEENS1_30default_config_static_selectorELNS0_4arch9wavefront6targetE1EEEvT1_,comdat
.Lfunc_end617:
	.size	_ZN7rocprim17ROCPRIM_400000_NS6detail17trampoline_kernelINS0_14default_configENS1_25partition_config_selectorILNS1_17partition_subalgoE9EllbEEZZNS1_14partition_implILS5_9ELb0ES3_jPlS8_PNS0_10empty_typeENS0_5tupleIJS8_S9_EEENSB_IJS8_SA_EEENS0_18inequality_wrapperIZN2at6native12_GLOBAL__N_124unique_dim_cuda_templateIlEESt5tupleIJNSF_6TensorESK_SK_EERKSK_lbbbEUlllE0_EEPmJS9_EEE10hipError_tPvRmT3_T4_T5_T6_T7_T9_mT8_P12ihipStream_tbDpT10_ENKUlT_T0_E_clISt17integral_constantIbLb1EES19_IbLb0EEEEDaS15_S16_EUlS15_E_NS1_11comp_targetILNS1_3genE9ELNS1_11target_archE1100ELNS1_3gpuE3ELNS1_3repE0EEENS1_30default_config_static_selectorELNS0_4arch9wavefront6targetE1EEEvT1_, .Lfunc_end617-_ZN7rocprim17ROCPRIM_400000_NS6detail17trampoline_kernelINS0_14default_configENS1_25partition_config_selectorILNS1_17partition_subalgoE9EllbEEZZNS1_14partition_implILS5_9ELb0ES3_jPlS8_PNS0_10empty_typeENS0_5tupleIJS8_S9_EEENSB_IJS8_SA_EEENS0_18inequality_wrapperIZN2at6native12_GLOBAL__N_124unique_dim_cuda_templateIlEESt5tupleIJNSF_6TensorESK_SK_EERKSK_lbbbEUlllE0_EEPmJS9_EEE10hipError_tPvRmT3_T4_T5_T6_T7_T9_mT8_P12ihipStream_tbDpT10_ENKUlT_T0_E_clISt17integral_constantIbLb1EES19_IbLb0EEEEDaS15_S16_EUlS15_E_NS1_11comp_targetILNS1_3genE9ELNS1_11target_archE1100ELNS1_3gpuE3ELNS1_3repE0EEENS1_30default_config_static_selectorELNS0_4arch9wavefront6targetE1EEEvT1_
                                        ; -- End function
	.set _ZN7rocprim17ROCPRIM_400000_NS6detail17trampoline_kernelINS0_14default_configENS1_25partition_config_selectorILNS1_17partition_subalgoE9EllbEEZZNS1_14partition_implILS5_9ELb0ES3_jPlS8_PNS0_10empty_typeENS0_5tupleIJS8_S9_EEENSB_IJS8_SA_EEENS0_18inequality_wrapperIZN2at6native12_GLOBAL__N_124unique_dim_cuda_templateIlEESt5tupleIJNSF_6TensorESK_SK_EERKSK_lbbbEUlllE0_EEPmJS9_EEE10hipError_tPvRmT3_T4_T5_T6_T7_T9_mT8_P12ihipStream_tbDpT10_ENKUlT_T0_E_clISt17integral_constantIbLb1EES19_IbLb0EEEEDaS15_S16_EUlS15_E_NS1_11comp_targetILNS1_3genE9ELNS1_11target_archE1100ELNS1_3gpuE3ELNS1_3repE0EEENS1_30default_config_static_selectorELNS0_4arch9wavefront6targetE1EEEvT1_.num_vgpr, 0
	.set _ZN7rocprim17ROCPRIM_400000_NS6detail17trampoline_kernelINS0_14default_configENS1_25partition_config_selectorILNS1_17partition_subalgoE9EllbEEZZNS1_14partition_implILS5_9ELb0ES3_jPlS8_PNS0_10empty_typeENS0_5tupleIJS8_S9_EEENSB_IJS8_SA_EEENS0_18inequality_wrapperIZN2at6native12_GLOBAL__N_124unique_dim_cuda_templateIlEESt5tupleIJNSF_6TensorESK_SK_EERKSK_lbbbEUlllE0_EEPmJS9_EEE10hipError_tPvRmT3_T4_T5_T6_T7_T9_mT8_P12ihipStream_tbDpT10_ENKUlT_T0_E_clISt17integral_constantIbLb1EES19_IbLb0EEEEDaS15_S16_EUlS15_E_NS1_11comp_targetILNS1_3genE9ELNS1_11target_archE1100ELNS1_3gpuE3ELNS1_3repE0EEENS1_30default_config_static_selectorELNS0_4arch9wavefront6targetE1EEEvT1_.num_agpr, 0
	.set _ZN7rocprim17ROCPRIM_400000_NS6detail17trampoline_kernelINS0_14default_configENS1_25partition_config_selectorILNS1_17partition_subalgoE9EllbEEZZNS1_14partition_implILS5_9ELb0ES3_jPlS8_PNS0_10empty_typeENS0_5tupleIJS8_S9_EEENSB_IJS8_SA_EEENS0_18inequality_wrapperIZN2at6native12_GLOBAL__N_124unique_dim_cuda_templateIlEESt5tupleIJNSF_6TensorESK_SK_EERKSK_lbbbEUlllE0_EEPmJS9_EEE10hipError_tPvRmT3_T4_T5_T6_T7_T9_mT8_P12ihipStream_tbDpT10_ENKUlT_T0_E_clISt17integral_constantIbLb1EES19_IbLb0EEEEDaS15_S16_EUlS15_E_NS1_11comp_targetILNS1_3genE9ELNS1_11target_archE1100ELNS1_3gpuE3ELNS1_3repE0EEENS1_30default_config_static_selectorELNS0_4arch9wavefront6targetE1EEEvT1_.numbered_sgpr, 0
	.set _ZN7rocprim17ROCPRIM_400000_NS6detail17trampoline_kernelINS0_14default_configENS1_25partition_config_selectorILNS1_17partition_subalgoE9EllbEEZZNS1_14partition_implILS5_9ELb0ES3_jPlS8_PNS0_10empty_typeENS0_5tupleIJS8_S9_EEENSB_IJS8_SA_EEENS0_18inequality_wrapperIZN2at6native12_GLOBAL__N_124unique_dim_cuda_templateIlEESt5tupleIJNSF_6TensorESK_SK_EERKSK_lbbbEUlllE0_EEPmJS9_EEE10hipError_tPvRmT3_T4_T5_T6_T7_T9_mT8_P12ihipStream_tbDpT10_ENKUlT_T0_E_clISt17integral_constantIbLb1EES19_IbLb0EEEEDaS15_S16_EUlS15_E_NS1_11comp_targetILNS1_3genE9ELNS1_11target_archE1100ELNS1_3gpuE3ELNS1_3repE0EEENS1_30default_config_static_selectorELNS0_4arch9wavefront6targetE1EEEvT1_.num_named_barrier, 0
	.set _ZN7rocprim17ROCPRIM_400000_NS6detail17trampoline_kernelINS0_14default_configENS1_25partition_config_selectorILNS1_17partition_subalgoE9EllbEEZZNS1_14partition_implILS5_9ELb0ES3_jPlS8_PNS0_10empty_typeENS0_5tupleIJS8_S9_EEENSB_IJS8_SA_EEENS0_18inequality_wrapperIZN2at6native12_GLOBAL__N_124unique_dim_cuda_templateIlEESt5tupleIJNSF_6TensorESK_SK_EERKSK_lbbbEUlllE0_EEPmJS9_EEE10hipError_tPvRmT3_T4_T5_T6_T7_T9_mT8_P12ihipStream_tbDpT10_ENKUlT_T0_E_clISt17integral_constantIbLb1EES19_IbLb0EEEEDaS15_S16_EUlS15_E_NS1_11comp_targetILNS1_3genE9ELNS1_11target_archE1100ELNS1_3gpuE3ELNS1_3repE0EEENS1_30default_config_static_selectorELNS0_4arch9wavefront6targetE1EEEvT1_.private_seg_size, 0
	.set _ZN7rocprim17ROCPRIM_400000_NS6detail17trampoline_kernelINS0_14default_configENS1_25partition_config_selectorILNS1_17partition_subalgoE9EllbEEZZNS1_14partition_implILS5_9ELb0ES3_jPlS8_PNS0_10empty_typeENS0_5tupleIJS8_S9_EEENSB_IJS8_SA_EEENS0_18inequality_wrapperIZN2at6native12_GLOBAL__N_124unique_dim_cuda_templateIlEESt5tupleIJNSF_6TensorESK_SK_EERKSK_lbbbEUlllE0_EEPmJS9_EEE10hipError_tPvRmT3_T4_T5_T6_T7_T9_mT8_P12ihipStream_tbDpT10_ENKUlT_T0_E_clISt17integral_constantIbLb1EES19_IbLb0EEEEDaS15_S16_EUlS15_E_NS1_11comp_targetILNS1_3genE9ELNS1_11target_archE1100ELNS1_3gpuE3ELNS1_3repE0EEENS1_30default_config_static_selectorELNS0_4arch9wavefront6targetE1EEEvT1_.uses_vcc, 0
	.set _ZN7rocprim17ROCPRIM_400000_NS6detail17trampoline_kernelINS0_14default_configENS1_25partition_config_selectorILNS1_17partition_subalgoE9EllbEEZZNS1_14partition_implILS5_9ELb0ES3_jPlS8_PNS0_10empty_typeENS0_5tupleIJS8_S9_EEENSB_IJS8_SA_EEENS0_18inequality_wrapperIZN2at6native12_GLOBAL__N_124unique_dim_cuda_templateIlEESt5tupleIJNSF_6TensorESK_SK_EERKSK_lbbbEUlllE0_EEPmJS9_EEE10hipError_tPvRmT3_T4_T5_T6_T7_T9_mT8_P12ihipStream_tbDpT10_ENKUlT_T0_E_clISt17integral_constantIbLb1EES19_IbLb0EEEEDaS15_S16_EUlS15_E_NS1_11comp_targetILNS1_3genE9ELNS1_11target_archE1100ELNS1_3gpuE3ELNS1_3repE0EEENS1_30default_config_static_selectorELNS0_4arch9wavefront6targetE1EEEvT1_.uses_flat_scratch, 0
	.set _ZN7rocprim17ROCPRIM_400000_NS6detail17trampoline_kernelINS0_14default_configENS1_25partition_config_selectorILNS1_17partition_subalgoE9EllbEEZZNS1_14partition_implILS5_9ELb0ES3_jPlS8_PNS0_10empty_typeENS0_5tupleIJS8_S9_EEENSB_IJS8_SA_EEENS0_18inequality_wrapperIZN2at6native12_GLOBAL__N_124unique_dim_cuda_templateIlEESt5tupleIJNSF_6TensorESK_SK_EERKSK_lbbbEUlllE0_EEPmJS9_EEE10hipError_tPvRmT3_T4_T5_T6_T7_T9_mT8_P12ihipStream_tbDpT10_ENKUlT_T0_E_clISt17integral_constantIbLb1EES19_IbLb0EEEEDaS15_S16_EUlS15_E_NS1_11comp_targetILNS1_3genE9ELNS1_11target_archE1100ELNS1_3gpuE3ELNS1_3repE0EEENS1_30default_config_static_selectorELNS0_4arch9wavefront6targetE1EEEvT1_.has_dyn_sized_stack, 0
	.set _ZN7rocprim17ROCPRIM_400000_NS6detail17trampoline_kernelINS0_14default_configENS1_25partition_config_selectorILNS1_17partition_subalgoE9EllbEEZZNS1_14partition_implILS5_9ELb0ES3_jPlS8_PNS0_10empty_typeENS0_5tupleIJS8_S9_EEENSB_IJS8_SA_EEENS0_18inequality_wrapperIZN2at6native12_GLOBAL__N_124unique_dim_cuda_templateIlEESt5tupleIJNSF_6TensorESK_SK_EERKSK_lbbbEUlllE0_EEPmJS9_EEE10hipError_tPvRmT3_T4_T5_T6_T7_T9_mT8_P12ihipStream_tbDpT10_ENKUlT_T0_E_clISt17integral_constantIbLb1EES19_IbLb0EEEEDaS15_S16_EUlS15_E_NS1_11comp_targetILNS1_3genE9ELNS1_11target_archE1100ELNS1_3gpuE3ELNS1_3repE0EEENS1_30default_config_static_selectorELNS0_4arch9wavefront6targetE1EEEvT1_.has_recursion, 0
	.set _ZN7rocprim17ROCPRIM_400000_NS6detail17trampoline_kernelINS0_14default_configENS1_25partition_config_selectorILNS1_17partition_subalgoE9EllbEEZZNS1_14partition_implILS5_9ELb0ES3_jPlS8_PNS0_10empty_typeENS0_5tupleIJS8_S9_EEENSB_IJS8_SA_EEENS0_18inequality_wrapperIZN2at6native12_GLOBAL__N_124unique_dim_cuda_templateIlEESt5tupleIJNSF_6TensorESK_SK_EERKSK_lbbbEUlllE0_EEPmJS9_EEE10hipError_tPvRmT3_T4_T5_T6_T7_T9_mT8_P12ihipStream_tbDpT10_ENKUlT_T0_E_clISt17integral_constantIbLb1EES19_IbLb0EEEEDaS15_S16_EUlS15_E_NS1_11comp_targetILNS1_3genE9ELNS1_11target_archE1100ELNS1_3gpuE3ELNS1_3repE0EEENS1_30default_config_static_selectorELNS0_4arch9wavefront6targetE1EEEvT1_.has_indirect_call, 0
	.section	.AMDGPU.csdata,"",@progbits
; Kernel info:
; codeLenInByte = 0
; TotalNumSgprs: 6
; NumVgprs: 0
; NumAgprs: 0
; TotalNumVgprs: 0
; ScratchSize: 0
; MemoryBound: 0
; FloatMode: 240
; IeeeMode: 1
; LDSByteSize: 0 bytes/workgroup (compile time only)
; SGPRBlocks: 0
; VGPRBlocks: 0
; NumSGPRsForWavesPerEU: 6
; NumVGPRsForWavesPerEU: 1
; AccumOffset: 4
; Occupancy: 8
; WaveLimiterHint : 0
; COMPUTE_PGM_RSRC2:SCRATCH_EN: 0
; COMPUTE_PGM_RSRC2:USER_SGPR: 2
; COMPUTE_PGM_RSRC2:TRAP_HANDLER: 0
; COMPUTE_PGM_RSRC2:TGID_X_EN: 1
; COMPUTE_PGM_RSRC2:TGID_Y_EN: 0
; COMPUTE_PGM_RSRC2:TGID_Z_EN: 0
; COMPUTE_PGM_RSRC2:TIDIG_COMP_CNT: 0
; COMPUTE_PGM_RSRC3_GFX90A:ACCUM_OFFSET: 0
; COMPUTE_PGM_RSRC3_GFX90A:TG_SPLIT: 0
	.section	.text._ZN7rocprim17ROCPRIM_400000_NS6detail17trampoline_kernelINS0_14default_configENS1_25partition_config_selectorILNS1_17partition_subalgoE9EllbEEZZNS1_14partition_implILS5_9ELb0ES3_jPlS8_PNS0_10empty_typeENS0_5tupleIJS8_S9_EEENSB_IJS8_SA_EEENS0_18inequality_wrapperIZN2at6native12_GLOBAL__N_124unique_dim_cuda_templateIlEESt5tupleIJNSF_6TensorESK_SK_EERKSK_lbbbEUlllE0_EEPmJS9_EEE10hipError_tPvRmT3_T4_T5_T6_T7_T9_mT8_P12ihipStream_tbDpT10_ENKUlT_T0_E_clISt17integral_constantIbLb1EES19_IbLb0EEEEDaS15_S16_EUlS15_E_NS1_11comp_targetILNS1_3genE8ELNS1_11target_archE1030ELNS1_3gpuE2ELNS1_3repE0EEENS1_30default_config_static_selectorELNS0_4arch9wavefront6targetE1EEEvT1_,"axG",@progbits,_ZN7rocprim17ROCPRIM_400000_NS6detail17trampoline_kernelINS0_14default_configENS1_25partition_config_selectorILNS1_17partition_subalgoE9EllbEEZZNS1_14partition_implILS5_9ELb0ES3_jPlS8_PNS0_10empty_typeENS0_5tupleIJS8_S9_EEENSB_IJS8_SA_EEENS0_18inequality_wrapperIZN2at6native12_GLOBAL__N_124unique_dim_cuda_templateIlEESt5tupleIJNSF_6TensorESK_SK_EERKSK_lbbbEUlllE0_EEPmJS9_EEE10hipError_tPvRmT3_T4_T5_T6_T7_T9_mT8_P12ihipStream_tbDpT10_ENKUlT_T0_E_clISt17integral_constantIbLb1EES19_IbLb0EEEEDaS15_S16_EUlS15_E_NS1_11comp_targetILNS1_3genE8ELNS1_11target_archE1030ELNS1_3gpuE2ELNS1_3repE0EEENS1_30default_config_static_selectorELNS0_4arch9wavefront6targetE1EEEvT1_,comdat
	.globl	_ZN7rocprim17ROCPRIM_400000_NS6detail17trampoline_kernelINS0_14default_configENS1_25partition_config_selectorILNS1_17partition_subalgoE9EllbEEZZNS1_14partition_implILS5_9ELb0ES3_jPlS8_PNS0_10empty_typeENS0_5tupleIJS8_S9_EEENSB_IJS8_SA_EEENS0_18inequality_wrapperIZN2at6native12_GLOBAL__N_124unique_dim_cuda_templateIlEESt5tupleIJNSF_6TensorESK_SK_EERKSK_lbbbEUlllE0_EEPmJS9_EEE10hipError_tPvRmT3_T4_T5_T6_T7_T9_mT8_P12ihipStream_tbDpT10_ENKUlT_T0_E_clISt17integral_constantIbLb1EES19_IbLb0EEEEDaS15_S16_EUlS15_E_NS1_11comp_targetILNS1_3genE8ELNS1_11target_archE1030ELNS1_3gpuE2ELNS1_3repE0EEENS1_30default_config_static_selectorELNS0_4arch9wavefront6targetE1EEEvT1_ ; -- Begin function _ZN7rocprim17ROCPRIM_400000_NS6detail17trampoline_kernelINS0_14default_configENS1_25partition_config_selectorILNS1_17partition_subalgoE9EllbEEZZNS1_14partition_implILS5_9ELb0ES3_jPlS8_PNS0_10empty_typeENS0_5tupleIJS8_S9_EEENSB_IJS8_SA_EEENS0_18inequality_wrapperIZN2at6native12_GLOBAL__N_124unique_dim_cuda_templateIlEESt5tupleIJNSF_6TensorESK_SK_EERKSK_lbbbEUlllE0_EEPmJS9_EEE10hipError_tPvRmT3_T4_T5_T6_T7_T9_mT8_P12ihipStream_tbDpT10_ENKUlT_T0_E_clISt17integral_constantIbLb1EES19_IbLb0EEEEDaS15_S16_EUlS15_E_NS1_11comp_targetILNS1_3genE8ELNS1_11target_archE1030ELNS1_3gpuE2ELNS1_3repE0EEENS1_30default_config_static_selectorELNS0_4arch9wavefront6targetE1EEEvT1_
	.p2align	8
	.type	_ZN7rocprim17ROCPRIM_400000_NS6detail17trampoline_kernelINS0_14default_configENS1_25partition_config_selectorILNS1_17partition_subalgoE9EllbEEZZNS1_14partition_implILS5_9ELb0ES3_jPlS8_PNS0_10empty_typeENS0_5tupleIJS8_S9_EEENSB_IJS8_SA_EEENS0_18inequality_wrapperIZN2at6native12_GLOBAL__N_124unique_dim_cuda_templateIlEESt5tupleIJNSF_6TensorESK_SK_EERKSK_lbbbEUlllE0_EEPmJS9_EEE10hipError_tPvRmT3_T4_T5_T6_T7_T9_mT8_P12ihipStream_tbDpT10_ENKUlT_T0_E_clISt17integral_constantIbLb1EES19_IbLb0EEEEDaS15_S16_EUlS15_E_NS1_11comp_targetILNS1_3genE8ELNS1_11target_archE1030ELNS1_3gpuE2ELNS1_3repE0EEENS1_30default_config_static_selectorELNS0_4arch9wavefront6targetE1EEEvT1_,@function
_ZN7rocprim17ROCPRIM_400000_NS6detail17trampoline_kernelINS0_14default_configENS1_25partition_config_selectorILNS1_17partition_subalgoE9EllbEEZZNS1_14partition_implILS5_9ELb0ES3_jPlS8_PNS0_10empty_typeENS0_5tupleIJS8_S9_EEENSB_IJS8_SA_EEENS0_18inequality_wrapperIZN2at6native12_GLOBAL__N_124unique_dim_cuda_templateIlEESt5tupleIJNSF_6TensorESK_SK_EERKSK_lbbbEUlllE0_EEPmJS9_EEE10hipError_tPvRmT3_T4_T5_T6_T7_T9_mT8_P12ihipStream_tbDpT10_ENKUlT_T0_E_clISt17integral_constantIbLb1EES19_IbLb0EEEEDaS15_S16_EUlS15_E_NS1_11comp_targetILNS1_3genE8ELNS1_11target_archE1030ELNS1_3gpuE2ELNS1_3repE0EEENS1_30default_config_static_selectorELNS0_4arch9wavefront6targetE1EEEvT1_: ; @_ZN7rocprim17ROCPRIM_400000_NS6detail17trampoline_kernelINS0_14default_configENS1_25partition_config_selectorILNS1_17partition_subalgoE9EllbEEZZNS1_14partition_implILS5_9ELb0ES3_jPlS8_PNS0_10empty_typeENS0_5tupleIJS8_S9_EEENSB_IJS8_SA_EEENS0_18inequality_wrapperIZN2at6native12_GLOBAL__N_124unique_dim_cuda_templateIlEESt5tupleIJNSF_6TensorESK_SK_EERKSK_lbbbEUlllE0_EEPmJS9_EEE10hipError_tPvRmT3_T4_T5_T6_T7_T9_mT8_P12ihipStream_tbDpT10_ENKUlT_T0_E_clISt17integral_constantIbLb1EES19_IbLb0EEEEDaS15_S16_EUlS15_E_NS1_11comp_targetILNS1_3genE8ELNS1_11target_archE1030ELNS1_3gpuE2ELNS1_3repE0EEENS1_30default_config_static_selectorELNS0_4arch9wavefront6targetE1EEEvT1_
; %bb.0:
	.section	.rodata,"a",@progbits
	.p2align	6, 0x0
	.amdhsa_kernel _ZN7rocprim17ROCPRIM_400000_NS6detail17trampoline_kernelINS0_14default_configENS1_25partition_config_selectorILNS1_17partition_subalgoE9EllbEEZZNS1_14partition_implILS5_9ELb0ES3_jPlS8_PNS0_10empty_typeENS0_5tupleIJS8_S9_EEENSB_IJS8_SA_EEENS0_18inequality_wrapperIZN2at6native12_GLOBAL__N_124unique_dim_cuda_templateIlEESt5tupleIJNSF_6TensorESK_SK_EERKSK_lbbbEUlllE0_EEPmJS9_EEE10hipError_tPvRmT3_T4_T5_T6_T7_T9_mT8_P12ihipStream_tbDpT10_ENKUlT_T0_E_clISt17integral_constantIbLb1EES19_IbLb0EEEEDaS15_S16_EUlS15_E_NS1_11comp_targetILNS1_3genE8ELNS1_11target_archE1030ELNS1_3gpuE2ELNS1_3repE0EEENS1_30default_config_static_selectorELNS0_4arch9wavefront6targetE1EEEvT1_
		.amdhsa_group_segment_fixed_size 0
		.amdhsa_private_segment_fixed_size 0
		.amdhsa_kernarg_size 120
		.amdhsa_user_sgpr_count 2
		.amdhsa_user_sgpr_dispatch_ptr 0
		.amdhsa_user_sgpr_queue_ptr 0
		.amdhsa_user_sgpr_kernarg_segment_ptr 1
		.amdhsa_user_sgpr_dispatch_id 0
		.amdhsa_user_sgpr_kernarg_preload_length 0
		.amdhsa_user_sgpr_kernarg_preload_offset 0
		.amdhsa_user_sgpr_private_segment_size 0
		.amdhsa_uses_dynamic_stack 0
		.amdhsa_enable_private_segment 0
		.amdhsa_system_sgpr_workgroup_id_x 1
		.amdhsa_system_sgpr_workgroup_id_y 0
		.amdhsa_system_sgpr_workgroup_id_z 0
		.amdhsa_system_sgpr_workgroup_info 0
		.amdhsa_system_vgpr_workitem_id 0
		.amdhsa_next_free_vgpr 1
		.amdhsa_next_free_sgpr 0
		.amdhsa_accum_offset 4
		.amdhsa_reserve_vcc 0
		.amdhsa_float_round_mode_32 0
		.amdhsa_float_round_mode_16_64 0
		.amdhsa_float_denorm_mode_32 3
		.amdhsa_float_denorm_mode_16_64 3
		.amdhsa_dx10_clamp 1
		.amdhsa_ieee_mode 1
		.amdhsa_fp16_overflow 0
		.amdhsa_tg_split 0
		.amdhsa_exception_fp_ieee_invalid_op 0
		.amdhsa_exception_fp_denorm_src 0
		.amdhsa_exception_fp_ieee_div_zero 0
		.amdhsa_exception_fp_ieee_overflow 0
		.amdhsa_exception_fp_ieee_underflow 0
		.amdhsa_exception_fp_ieee_inexact 0
		.amdhsa_exception_int_div_zero 0
	.end_amdhsa_kernel
	.section	.text._ZN7rocprim17ROCPRIM_400000_NS6detail17trampoline_kernelINS0_14default_configENS1_25partition_config_selectorILNS1_17partition_subalgoE9EllbEEZZNS1_14partition_implILS5_9ELb0ES3_jPlS8_PNS0_10empty_typeENS0_5tupleIJS8_S9_EEENSB_IJS8_SA_EEENS0_18inequality_wrapperIZN2at6native12_GLOBAL__N_124unique_dim_cuda_templateIlEESt5tupleIJNSF_6TensorESK_SK_EERKSK_lbbbEUlllE0_EEPmJS9_EEE10hipError_tPvRmT3_T4_T5_T6_T7_T9_mT8_P12ihipStream_tbDpT10_ENKUlT_T0_E_clISt17integral_constantIbLb1EES19_IbLb0EEEEDaS15_S16_EUlS15_E_NS1_11comp_targetILNS1_3genE8ELNS1_11target_archE1030ELNS1_3gpuE2ELNS1_3repE0EEENS1_30default_config_static_selectorELNS0_4arch9wavefront6targetE1EEEvT1_,"axG",@progbits,_ZN7rocprim17ROCPRIM_400000_NS6detail17trampoline_kernelINS0_14default_configENS1_25partition_config_selectorILNS1_17partition_subalgoE9EllbEEZZNS1_14partition_implILS5_9ELb0ES3_jPlS8_PNS0_10empty_typeENS0_5tupleIJS8_S9_EEENSB_IJS8_SA_EEENS0_18inequality_wrapperIZN2at6native12_GLOBAL__N_124unique_dim_cuda_templateIlEESt5tupleIJNSF_6TensorESK_SK_EERKSK_lbbbEUlllE0_EEPmJS9_EEE10hipError_tPvRmT3_T4_T5_T6_T7_T9_mT8_P12ihipStream_tbDpT10_ENKUlT_T0_E_clISt17integral_constantIbLb1EES19_IbLb0EEEEDaS15_S16_EUlS15_E_NS1_11comp_targetILNS1_3genE8ELNS1_11target_archE1030ELNS1_3gpuE2ELNS1_3repE0EEENS1_30default_config_static_selectorELNS0_4arch9wavefront6targetE1EEEvT1_,comdat
.Lfunc_end618:
	.size	_ZN7rocprim17ROCPRIM_400000_NS6detail17trampoline_kernelINS0_14default_configENS1_25partition_config_selectorILNS1_17partition_subalgoE9EllbEEZZNS1_14partition_implILS5_9ELb0ES3_jPlS8_PNS0_10empty_typeENS0_5tupleIJS8_S9_EEENSB_IJS8_SA_EEENS0_18inequality_wrapperIZN2at6native12_GLOBAL__N_124unique_dim_cuda_templateIlEESt5tupleIJNSF_6TensorESK_SK_EERKSK_lbbbEUlllE0_EEPmJS9_EEE10hipError_tPvRmT3_T4_T5_T6_T7_T9_mT8_P12ihipStream_tbDpT10_ENKUlT_T0_E_clISt17integral_constantIbLb1EES19_IbLb0EEEEDaS15_S16_EUlS15_E_NS1_11comp_targetILNS1_3genE8ELNS1_11target_archE1030ELNS1_3gpuE2ELNS1_3repE0EEENS1_30default_config_static_selectorELNS0_4arch9wavefront6targetE1EEEvT1_, .Lfunc_end618-_ZN7rocprim17ROCPRIM_400000_NS6detail17trampoline_kernelINS0_14default_configENS1_25partition_config_selectorILNS1_17partition_subalgoE9EllbEEZZNS1_14partition_implILS5_9ELb0ES3_jPlS8_PNS0_10empty_typeENS0_5tupleIJS8_S9_EEENSB_IJS8_SA_EEENS0_18inequality_wrapperIZN2at6native12_GLOBAL__N_124unique_dim_cuda_templateIlEESt5tupleIJNSF_6TensorESK_SK_EERKSK_lbbbEUlllE0_EEPmJS9_EEE10hipError_tPvRmT3_T4_T5_T6_T7_T9_mT8_P12ihipStream_tbDpT10_ENKUlT_T0_E_clISt17integral_constantIbLb1EES19_IbLb0EEEEDaS15_S16_EUlS15_E_NS1_11comp_targetILNS1_3genE8ELNS1_11target_archE1030ELNS1_3gpuE2ELNS1_3repE0EEENS1_30default_config_static_selectorELNS0_4arch9wavefront6targetE1EEEvT1_
                                        ; -- End function
	.set _ZN7rocprim17ROCPRIM_400000_NS6detail17trampoline_kernelINS0_14default_configENS1_25partition_config_selectorILNS1_17partition_subalgoE9EllbEEZZNS1_14partition_implILS5_9ELb0ES3_jPlS8_PNS0_10empty_typeENS0_5tupleIJS8_S9_EEENSB_IJS8_SA_EEENS0_18inequality_wrapperIZN2at6native12_GLOBAL__N_124unique_dim_cuda_templateIlEESt5tupleIJNSF_6TensorESK_SK_EERKSK_lbbbEUlllE0_EEPmJS9_EEE10hipError_tPvRmT3_T4_T5_T6_T7_T9_mT8_P12ihipStream_tbDpT10_ENKUlT_T0_E_clISt17integral_constantIbLb1EES19_IbLb0EEEEDaS15_S16_EUlS15_E_NS1_11comp_targetILNS1_3genE8ELNS1_11target_archE1030ELNS1_3gpuE2ELNS1_3repE0EEENS1_30default_config_static_selectorELNS0_4arch9wavefront6targetE1EEEvT1_.num_vgpr, 0
	.set _ZN7rocprim17ROCPRIM_400000_NS6detail17trampoline_kernelINS0_14default_configENS1_25partition_config_selectorILNS1_17partition_subalgoE9EllbEEZZNS1_14partition_implILS5_9ELb0ES3_jPlS8_PNS0_10empty_typeENS0_5tupleIJS8_S9_EEENSB_IJS8_SA_EEENS0_18inequality_wrapperIZN2at6native12_GLOBAL__N_124unique_dim_cuda_templateIlEESt5tupleIJNSF_6TensorESK_SK_EERKSK_lbbbEUlllE0_EEPmJS9_EEE10hipError_tPvRmT3_T4_T5_T6_T7_T9_mT8_P12ihipStream_tbDpT10_ENKUlT_T0_E_clISt17integral_constantIbLb1EES19_IbLb0EEEEDaS15_S16_EUlS15_E_NS1_11comp_targetILNS1_3genE8ELNS1_11target_archE1030ELNS1_3gpuE2ELNS1_3repE0EEENS1_30default_config_static_selectorELNS0_4arch9wavefront6targetE1EEEvT1_.num_agpr, 0
	.set _ZN7rocprim17ROCPRIM_400000_NS6detail17trampoline_kernelINS0_14default_configENS1_25partition_config_selectorILNS1_17partition_subalgoE9EllbEEZZNS1_14partition_implILS5_9ELb0ES3_jPlS8_PNS0_10empty_typeENS0_5tupleIJS8_S9_EEENSB_IJS8_SA_EEENS0_18inequality_wrapperIZN2at6native12_GLOBAL__N_124unique_dim_cuda_templateIlEESt5tupleIJNSF_6TensorESK_SK_EERKSK_lbbbEUlllE0_EEPmJS9_EEE10hipError_tPvRmT3_T4_T5_T6_T7_T9_mT8_P12ihipStream_tbDpT10_ENKUlT_T0_E_clISt17integral_constantIbLb1EES19_IbLb0EEEEDaS15_S16_EUlS15_E_NS1_11comp_targetILNS1_3genE8ELNS1_11target_archE1030ELNS1_3gpuE2ELNS1_3repE0EEENS1_30default_config_static_selectorELNS0_4arch9wavefront6targetE1EEEvT1_.numbered_sgpr, 0
	.set _ZN7rocprim17ROCPRIM_400000_NS6detail17trampoline_kernelINS0_14default_configENS1_25partition_config_selectorILNS1_17partition_subalgoE9EllbEEZZNS1_14partition_implILS5_9ELb0ES3_jPlS8_PNS0_10empty_typeENS0_5tupleIJS8_S9_EEENSB_IJS8_SA_EEENS0_18inequality_wrapperIZN2at6native12_GLOBAL__N_124unique_dim_cuda_templateIlEESt5tupleIJNSF_6TensorESK_SK_EERKSK_lbbbEUlllE0_EEPmJS9_EEE10hipError_tPvRmT3_T4_T5_T6_T7_T9_mT8_P12ihipStream_tbDpT10_ENKUlT_T0_E_clISt17integral_constantIbLb1EES19_IbLb0EEEEDaS15_S16_EUlS15_E_NS1_11comp_targetILNS1_3genE8ELNS1_11target_archE1030ELNS1_3gpuE2ELNS1_3repE0EEENS1_30default_config_static_selectorELNS0_4arch9wavefront6targetE1EEEvT1_.num_named_barrier, 0
	.set _ZN7rocprim17ROCPRIM_400000_NS6detail17trampoline_kernelINS0_14default_configENS1_25partition_config_selectorILNS1_17partition_subalgoE9EllbEEZZNS1_14partition_implILS5_9ELb0ES3_jPlS8_PNS0_10empty_typeENS0_5tupleIJS8_S9_EEENSB_IJS8_SA_EEENS0_18inequality_wrapperIZN2at6native12_GLOBAL__N_124unique_dim_cuda_templateIlEESt5tupleIJNSF_6TensorESK_SK_EERKSK_lbbbEUlllE0_EEPmJS9_EEE10hipError_tPvRmT3_T4_T5_T6_T7_T9_mT8_P12ihipStream_tbDpT10_ENKUlT_T0_E_clISt17integral_constantIbLb1EES19_IbLb0EEEEDaS15_S16_EUlS15_E_NS1_11comp_targetILNS1_3genE8ELNS1_11target_archE1030ELNS1_3gpuE2ELNS1_3repE0EEENS1_30default_config_static_selectorELNS0_4arch9wavefront6targetE1EEEvT1_.private_seg_size, 0
	.set _ZN7rocprim17ROCPRIM_400000_NS6detail17trampoline_kernelINS0_14default_configENS1_25partition_config_selectorILNS1_17partition_subalgoE9EllbEEZZNS1_14partition_implILS5_9ELb0ES3_jPlS8_PNS0_10empty_typeENS0_5tupleIJS8_S9_EEENSB_IJS8_SA_EEENS0_18inequality_wrapperIZN2at6native12_GLOBAL__N_124unique_dim_cuda_templateIlEESt5tupleIJNSF_6TensorESK_SK_EERKSK_lbbbEUlllE0_EEPmJS9_EEE10hipError_tPvRmT3_T4_T5_T6_T7_T9_mT8_P12ihipStream_tbDpT10_ENKUlT_T0_E_clISt17integral_constantIbLb1EES19_IbLb0EEEEDaS15_S16_EUlS15_E_NS1_11comp_targetILNS1_3genE8ELNS1_11target_archE1030ELNS1_3gpuE2ELNS1_3repE0EEENS1_30default_config_static_selectorELNS0_4arch9wavefront6targetE1EEEvT1_.uses_vcc, 0
	.set _ZN7rocprim17ROCPRIM_400000_NS6detail17trampoline_kernelINS0_14default_configENS1_25partition_config_selectorILNS1_17partition_subalgoE9EllbEEZZNS1_14partition_implILS5_9ELb0ES3_jPlS8_PNS0_10empty_typeENS0_5tupleIJS8_S9_EEENSB_IJS8_SA_EEENS0_18inequality_wrapperIZN2at6native12_GLOBAL__N_124unique_dim_cuda_templateIlEESt5tupleIJNSF_6TensorESK_SK_EERKSK_lbbbEUlllE0_EEPmJS9_EEE10hipError_tPvRmT3_T4_T5_T6_T7_T9_mT8_P12ihipStream_tbDpT10_ENKUlT_T0_E_clISt17integral_constantIbLb1EES19_IbLb0EEEEDaS15_S16_EUlS15_E_NS1_11comp_targetILNS1_3genE8ELNS1_11target_archE1030ELNS1_3gpuE2ELNS1_3repE0EEENS1_30default_config_static_selectorELNS0_4arch9wavefront6targetE1EEEvT1_.uses_flat_scratch, 0
	.set _ZN7rocprim17ROCPRIM_400000_NS6detail17trampoline_kernelINS0_14default_configENS1_25partition_config_selectorILNS1_17partition_subalgoE9EllbEEZZNS1_14partition_implILS5_9ELb0ES3_jPlS8_PNS0_10empty_typeENS0_5tupleIJS8_S9_EEENSB_IJS8_SA_EEENS0_18inequality_wrapperIZN2at6native12_GLOBAL__N_124unique_dim_cuda_templateIlEESt5tupleIJNSF_6TensorESK_SK_EERKSK_lbbbEUlllE0_EEPmJS9_EEE10hipError_tPvRmT3_T4_T5_T6_T7_T9_mT8_P12ihipStream_tbDpT10_ENKUlT_T0_E_clISt17integral_constantIbLb1EES19_IbLb0EEEEDaS15_S16_EUlS15_E_NS1_11comp_targetILNS1_3genE8ELNS1_11target_archE1030ELNS1_3gpuE2ELNS1_3repE0EEENS1_30default_config_static_selectorELNS0_4arch9wavefront6targetE1EEEvT1_.has_dyn_sized_stack, 0
	.set _ZN7rocprim17ROCPRIM_400000_NS6detail17trampoline_kernelINS0_14default_configENS1_25partition_config_selectorILNS1_17partition_subalgoE9EllbEEZZNS1_14partition_implILS5_9ELb0ES3_jPlS8_PNS0_10empty_typeENS0_5tupleIJS8_S9_EEENSB_IJS8_SA_EEENS0_18inequality_wrapperIZN2at6native12_GLOBAL__N_124unique_dim_cuda_templateIlEESt5tupleIJNSF_6TensorESK_SK_EERKSK_lbbbEUlllE0_EEPmJS9_EEE10hipError_tPvRmT3_T4_T5_T6_T7_T9_mT8_P12ihipStream_tbDpT10_ENKUlT_T0_E_clISt17integral_constantIbLb1EES19_IbLb0EEEEDaS15_S16_EUlS15_E_NS1_11comp_targetILNS1_3genE8ELNS1_11target_archE1030ELNS1_3gpuE2ELNS1_3repE0EEENS1_30default_config_static_selectorELNS0_4arch9wavefront6targetE1EEEvT1_.has_recursion, 0
	.set _ZN7rocprim17ROCPRIM_400000_NS6detail17trampoline_kernelINS0_14default_configENS1_25partition_config_selectorILNS1_17partition_subalgoE9EllbEEZZNS1_14partition_implILS5_9ELb0ES3_jPlS8_PNS0_10empty_typeENS0_5tupleIJS8_S9_EEENSB_IJS8_SA_EEENS0_18inequality_wrapperIZN2at6native12_GLOBAL__N_124unique_dim_cuda_templateIlEESt5tupleIJNSF_6TensorESK_SK_EERKSK_lbbbEUlllE0_EEPmJS9_EEE10hipError_tPvRmT3_T4_T5_T6_T7_T9_mT8_P12ihipStream_tbDpT10_ENKUlT_T0_E_clISt17integral_constantIbLb1EES19_IbLb0EEEEDaS15_S16_EUlS15_E_NS1_11comp_targetILNS1_3genE8ELNS1_11target_archE1030ELNS1_3gpuE2ELNS1_3repE0EEENS1_30default_config_static_selectorELNS0_4arch9wavefront6targetE1EEEvT1_.has_indirect_call, 0
	.section	.AMDGPU.csdata,"",@progbits
; Kernel info:
; codeLenInByte = 0
; TotalNumSgprs: 6
; NumVgprs: 0
; NumAgprs: 0
; TotalNumVgprs: 0
; ScratchSize: 0
; MemoryBound: 0
; FloatMode: 240
; IeeeMode: 1
; LDSByteSize: 0 bytes/workgroup (compile time only)
; SGPRBlocks: 0
; VGPRBlocks: 0
; NumSGPRsForWavesPerEU: 6
; NumVGPRsForWavesPerEU: 1
; AccumOffset: 4
; Occupancy: 8
; WaveLimiterHint : 0
; COMPUTE_PGM_RSRC2:SCRATCH_EN: 0
; COMPUTE_PGM_RSRC2:USER_SGPR: 2
; COMPUTE_PGM_RSRC2:TRAP_HANDLER: 0
; COMPUTE_PGM_RSRC2:TGID_X_EN: 1
; COMPUTE_PGM_RSRC2:TGID_Y_EN: 0
; COMPUTE_PGM_RSRC2:TGID_Z_EN: 0
; COMPUTE_PGM_RSRC2:TIDIG_COMP_CNT: 0
; COMPUTE_PGM_RSRC3_GFX90A:ACCUM_OFFSET: 0
; COMPUTE_PGM_RSRC3_GFX90A:TG_SPLIT: 0
	.section	.text._ZN7rocprim17ROCPRIM_400000_NS6detail17trampoline_kernelINS0_14default_configENS1_25partition_config_selectorILNS1_17partition_subalgoE9EllbEEZZNS1_14partition_implILS5_9ELb0ES3_jPlS8_PNS0_10empty_typeENS0_5tupleIJS8_S9_EEENSB_IJS8_SA_EEENS0_18inequality_wrapperIZN2at6native12_GLOBAL__N_124unique_dim_cuda_templateIlEESt5tupleIJNSF_6TensorESK_SK_EERKSK_lbbbEUlllE0_EEPmJS9_EEE10hipError_tPvRmT3_T4_T5_T6_T7_T9_mT8_P12ihipStream_tbDpT10_ENKUlT_T0_E_clISt17integral_constantIbLb0EES19_IbLb1EEEEDaS15_S16_EUlS15_E_NS1_11comp_targetILNS1_3genE0ELNS1_11target_archE4294967295ELNS1_3gpuE0ELNS1_3repE0EEENS1_30default_config_static_selectorELNS0_4arch9wavefront6targetE1EEEvT1_,"axG",@progbits,_ZN7rocprim17ROCPRIM_400000_NS6detail17trampoline_kernelINS0_14default_configENS1_25partition_config_selectorILNS1_17partition_subalgoE9EllbEEZZNS1_14partition_implILS5_9ELb0ES3_jPlS8_PNS0_10empty_typeENS0_5tupleIJS8_S9_EEENSB_IJS8_SA_EEENS0_18inequality_wrapperIZN2at6native12_GLOBAL__N_124unique_dim_cuda_templateIlEESt5tupleIJNSF_6TensorESK_SK_EERKSK_lbbbEUlllE0_EEPmJS9_EEE10hipError_tPvRmT3_T4_T5_T6_T7_T9_mT8_P12ihipStream_tbDpT10_ENKUlT_T0_E_clISt17integral_constantIbLb0EES19_IbLb1EEEEDaS15_S16_EUlS15_E_NS1_11comp_targetILNS1_3genE0ELNS1_11target_archE4294967295ELNS1_3gpuE0ELNS1_3repE0EEENS1_30default_config_static_selectorELNS0_4arch9wavefront6targetE1EEEvT1_,comdat
	.globl	_ZN7rocprim17ROCPRIM_400000_NS6detail17trampoline_kernelINS0_14default_configENS1_25partition_config_selectorILNS1_17partition_subalgoE9EllbEEZZNS1_14partition_implILS5_9ELb0ES3_jPlS8_PNS0_10empty_typeENS0_5tupleIJS8_S9_EEENSB_IJS8_SA_EEENS0_18inequality_wrapperIZN2at6native12_GLOBAL__N_124unique_dim_cuda_templateIlEESt5tupleIJNSF_6TensorESK_SK_EERKSK_lbbbEUlllE0_EEPmJS9_EEE10hipError_tPvRmT3_T4_T5_T6_T7_T9_mT8_P12ihipStream_tbDpT10_ENKUlT_T0_E_clISt17integral_constantIbLb0EES19_IbLb1EEEEDaS15_S16_EUlS15_E_NS1_11comp_targetILNS1_3genE0ELNS1_11target_archE4294967295ELNS1_3gpuE0ELNS1_3repE0EEENS1_30default_config_static_selectorELNS0_4arch9wavefront6targetE1EEEvT1_ ; -- Begin function _ZN7rocprim17ROCPRIM_400000_NS6detail17trampoline_kernelINS0_14default_configENS1_25partition_config_selectorILNS1_17partition_subalgoE9EllbEEZZNS1_14partition_implILS5_9ELb0ES3_jPlS8_PNS0_10empty_typeENS0_5tupleIJS8_S9_EEENSB_IJS8_SA_EEENS0_18inequality_wrapperIZN2at6native12_GLOBAL__N_124unique_dim_cuda_templateIlEESt5tupleIJNSF_6TensorESK_SK_EERKSK_lbbbEUlllE0_EEPmJS9_EEE10hipError_tPvRmT3_T4_T5_T6_T7_T9_mT8_P12ihipStream_tbDpT10_ENKUlT_T0_E_clISt17integral_constantIbLb0EES19_IbLb1EEEEDaS15_S16_EUlS15_E_NS1_11comp_targetILNS1_3genE0ELNS1_11target_archE4294967295ELNS1_3gpuE0ELNS1_3repE0EEENS1_30default_config_static_selectorELNS0_4arch9wavefront6targetE1EEEvT1_
	.p2align	8
	.type	_ZN7rocprim17ROCPRIM_400000_NS6detail17trampoline_kernelINS0_14default_configENS1_25partition_config_selectorILNS1_17partition_subalgoE9EllbEEZZNS1_14partition_implILS5_9ELb0ES3_jPlS8_PNS0_10empty_typeENS0_5tupleIJS8_S9_EEENSB_IJS8_SA_EEENS0_18inequality_wrapperIZN2at6native12_GLOBAL__N_124unique_dim_cuda_templateIlEESt5tupleIJNSF_6TensorESK_SK_EERKSK_lbbbEUlllE0_EEPmJS9_EEE10hipError_tPvRmT3_T4_T5_T6_T7_T9_mT8_P12ihipStream_tbDpT10_ENKUlT_T0_E_clISt17integral_constantIbLb0EES19_IbLb1EEEEDaS15_S16_EUlS15_E_NS1_11comp_targetILNS1_3genE0ELNS1_11target_archE4294967295ELNS1_3gpuE0ELNS1_3repE0EEENS1_30default_config_static_selectorELNS0_4arch9wavefront6targetE1EEEvT1_,@function
_ZN7rocprim17ROCPRIM_400000_NS6detail17trampoline_kernelINS0_14default_configENS1_25partition_config_selectorILNS1_17partition_subalgoE9EllbEEZZNS1_14partition_implILS5_9ELb0ES3_jPlS8_PNS0_10empty_typeENS0_5tupleIJS8_S9_EEENSB_IJS8_SA_EEENS0_18inequality_wrapperIZN2at6native12_GLOBAL__N_124unique_dim_cuda_templateIlEESt5tupleIJNSF_6TensorESK_SK_EERKSK_lbbbEUlllE0_EEPmJS9_EEE10hipError_tPvRmT3_T4_T5_T6_T7_T9_mT8_P12ihipStream_tbDpT10_ENKUlT_T0_E_clISt17integral_constantIbLb0EES19_IbLb1EEEEDaS15_S16_EUlS15_E_NS1_11comp_targetILNS1_3genE0ELNS1_11target_archE4294967295ELNS1_3gpuE0ELNS1_3repE0EEENS1_30default_config_static_selectorELNS0_4arch9wavefront6targetE1EEEvT1_: ; @_ZN7rocprim17ROCPRIM_400000_NS6detail17trampoline_kernelINS0_14default_configENS1_25partition_config_selectorILNS1_17partition_subalgoE9EllbEEZZNS1_14partition_implILS5_9ELb0ES3_jPlS8_PNS0_10empty_typeENS0_5tupleIJS8_S9_EEENSB_IJS8_SA_EEENS0_18inequality_wrapperIZN2at6native12_GLOBAL__N_124unique_dim_cuda_templateIlEESt5tupleIJNSF_6TensorESK_SK_EERKSK_lbbbEUlllE0_EEPmJS9_EEE10hipError_tPvRmT3_T4_T5_T6_T7_T9_mT8_P12ihipStream_tbDpT10_ENKUlT_T0_E_clISt17integral_constantIbLb0EES19_IbLb1EEEEDaS15_S16_EUlS15_E_NS1_11comp_targetILNS1_3genE0ELNS1_11target_archE4294967295ELNS1_3gpuE0ELNS1_3repE0EEENS1_30default_config_static_selectorELNS0_4arch9wavefront6targetE1EEEvT1_
; %bb.0:
	s_load_dwordx4 s[4:7], s[0:1], 0x8
	s_load_dwordx2 s[10:11], s[0:1], 0x18
	s_load_dwordx8 s[20:27], s[0:1], 0x40
	s_load_dwordx4 s[36:39], s[0:1], 0x60
	v_cmp_ne_u32_e64 s[2:3], 0, v0
	v_cmp_eq_u32_e64 s[18:19], 0, v0
	s_and_saveexec_b64 s[8:9], s[18:19]
	s_cbranch_execz .LBB619_4
; %bb.1:
	s_mov_b64 s[14:15], exec
	v_mbcnt_lo_u32_b32 v1, s14, 0
	v_mbcnt_hi_u32_b32 v1, s15, v1
	v_cmp_eq_u32_e32 vcc, 0, v1
                                        ; implicit-def: $vgpr2
	s_and_saveexec_b64 s[12:13], vcc
	s_cbranch_execz .LBB619_3
; %bb.2:
	s_load_dwordx2 s[16:17], s[0:1], 0x78
	s_bcnt1_i32_b64 s14, s[14:15]
	v_mov_b32_e32 v2, 0
	v_mov_b32_e32 v3, s14
	s_waitcnt lgkmcnt(0)
	global_atomic_add v2, v2, v3, s[16:17] sc0
.LBB619_3:
	s_or_b64 exec, exec, s[12:13]
	s_waitcnt vmcnt(0)
	v_readfirstlane_b32 s12, v2
	v_mov_b32_e32 v2, 0
	s_nop 0
	v_add_u32_e32 v1, s12, v1
	ds_write_b32 v2, v1
.LBB619_4:
	s_or_b64 exec, exec, s[8:9]
	v_mov_b32_e32 v3, 0
	s_load_dwordx4 s[28:31], s[0:1], 0x28
	s_load_dword s8, s[0:1], 0x70
	s_waitcnt lgkmcnt(0)
	s_barrier
	ds_read_b32 v1, v3
	s_waitcnt lgkmcnt(0)
	s_barrier
	global_load_dwordx2 v[4:5], v3, s[22:23]
	s_lshl_b64 s[12:13], s[6:7], 3
	s_mul_i32 s14, s8, 0x280
	s_add_u32 s16, s4, s12
	s_addc_u32 s17, s5, s13
	s_add_i32 s4, s14, s6
	s_sub_i32 s48, s24, s4
	s_add_i32 s15, s8, -1
	s_addk_i32 s48, 0x280
	s_add_u32 s4, s6, s14
	v_readfirstlane_b32 s33, v1
	s_addc_u32 s5, s7, 0
	v_mov_b64_e32 v[6:7], s[4:5]
	s_cmp_eq_u32 s33, s15
	s_mov_b32 s9, 0
	s_mul_i32 s8, s33, 0x280
	v_cmp_le_u64_e32 vcc, s[24:25], v[6:7]
	s_cselect_b64 s[24:25], -1, 0
	s_lshl_b64 s[14:15], s[8:9], 3
	s_and_b64 s[8:9], vcc, s[24:25]
	s_xor_b64 s[34:35], s[8:9], -1
	s_add_u32 s4, s16, s14
	s_mov_b64 s[0:1], -1
	v_lshlrev_b32_e32 v32, 3, v0
	s_addc_u32 s5, s17, s15
	s_and_b64 vcc, exec, s[34:35]
	s_waitcnt vmcnt(0)
	v_readfirstlane_b32 s22, v4
	v_readfirstlane_b32 s23, v5
	s_cbranch_vccz .LBB619_6
; %bb.5:
	v_lshlrev_b32_e32 v2, 3, v0
	v_lshl_add_u64 v[4:5], s[4:5], 0, v[2:3]
	v_add_co_u32_e32 v4, vcc, 0x1000, v4
	global_load_dwordx2 v[6:7], v2, s[4:5] offset:3072
	s_nop 0
	v_addc_co_u32_e32 v5, vcc, 0, v5, vcc
	global_load_dwordx2 v[8:9], v2, s[4:5]
	global_load_dwordx2 v[10:11], v2, s[4:5] offset:1024
	global_load_dwordx2 v[12:13], v2, s[4:5] offset:2048
	global_load_dwordx2 v[14:15], v[4:5], off
	s_mov_b64 s[0:1], 0
	s_waitcnt vmcnt(2)
	ds_write2st64_b64 v2, v[8:9], v[10:11] offset1:2
	s_waitcnt vmcnt(1)
	ds_write2st64_b64 v2, v[12:13], v[6:7] offset0:4 offset1:6
	s_waitcnt vmcnt(0)
	ds_write_b64 v2, v[14:15] offset:4096
	s_waitcnt lgkmcnt(0)
	s_barrier
.LBB619_6:
	s_andn2_b64 vcc, exec, s[0:1]
	v_cmp_gt_u32_e64 s[0:1], s48, v0
	s_cbranch_vccnz .LBB619_18
; %bb.7:
	v_mov_b32_e32 v2, 0
	v_mov_b32_e32 v3, v2
	;; [unrolled: 1-line block ×10, first 2 shown]
	s_and_saveexec_b64 s[16:17], s[0:1]
	s_cbranch_execz .LBB619_9
; %bb.8:
	v_lshlrev_b32_e32 v1, 3, v0
	global_load_dwordx2 v[4:5], v1, s[4:5]
	v_mov_b32_e32 v6, v2
	v_mov_b32_e32 v7, v2
	;; [unrolled: 1-line block ×8, first 2 shown]
	s_waitcnt vmcnt(0)
	v_mov_b64_e32 v[2:3], v[4:5]
	v_mov_b64_e32 v[4:5], v[6:7]
	;; [unrolled: 1-line block ×8, first 2 shown]
.LBB619_9:
	s_or_b64 exec, exec, s[16:17]
	v_or_b32_e32 v1, 0x80, v0
	v_cmp_gt_u32_e32 vcc, s48, v1
	s_and_saveexec_b64 s[0:1], vcc
	s_cbranch_execz .LBB619_11
; %bb.10:
	v_lshlrev_b32_e32 v1, 3, v0
	global_load_dwordx2 v[4:5], v1, s[4:5] offset:1024
.LBB619_11:
	s_or_b64 exec, exec, s[0:1]
	v_or_b32_e32 v1, 0x100, v0
	v_cmp_gt_u32_e32 vcc, s48, v1
	s_and_saveexec_b64 s[0:1], vcc
	s_cbranch_execz .LBB619_13
; %bb.12:
	v_lshlrev_b32_e32 v1, 3, v0
	global_load_dwordx2 v[6:7], v1, s[4:5] offset:2048
.LBB619_13:
	s_or_b64 exec, exec, s[0:1]
	v_or_b32_e32 v1, 0x180, v0
	v_cmp_gt_u32_e32 vcc, s48, v1
	s_and_saveexec_b64 s[0:1], vcc
	s_cbranch_execz .LBB619_15
; %bb.14:
	v_lshlrev_b32_e32 v1, 3, v0
	global_load_dwordx2 v[8:9], v1, s[4:5] offset:3072
.LBB619_15:
	s_or_b64 exec, exec, s[0:1]
	v_or_b32_e32 v1, 0x200, v0
	v_cmp_gt_u32_e32 vcc, s48, v1
	s_and_saveexec_b64 s[0:1], vcc
	s_cbranch_execz .LBB619_17
; %bb.16:
	v_lshlrev_b32_e32 v1, 3, v1
	global_load_dwordx2 v[10:11], v1, s[4:5]
.LBB619_17:
	s_or_b64 exec, exec, s[0:1]
	v_lshlrev_b32_e32 v1, 3, v0
	s_waitcnt vmcnt(0)
	ds_write2st64_b64 v1, v[2:3], v[4:5] offset1:2
	ds_write2st64_b64 v1, v[6:7], v[8:9] offset0:4 offset1:6
	ds_write_b64 v1, v[10:11] offset:4096
	s_waitcnt lgkmcnt(0)
	s_barrier
.LBB619_18:
	v_mul_u32_u24_e32 v1, 5, v0
	v_lshlrev_b32_e32 v22, 3, v1
	ds_read2_b64 v[6:9], v22 offset1:1
	ds_read2_b64 v[2:5], v22 offset0:2 offset1:3
	ds_read_b64 v[12:13], v22 offset:32
	s_add_u32 s0, s10, s12
	s_addc_u32 s1, s11, s13
	s_add_u32 s0, s0, s14
	s_addc_u32 s1, s1, s15
	s_mov_b64 s[10:11], -1
	s_and_b64 vcc, exec, s[34:35]
	s_waitcnt lgkmcnt(0)
	s_barrier
	s_cbranch_vccz .LBB619_20
; %bb.19:
	v_lshlrev_b32_e32 v10, 3, v0
	v_mov_b32_e32 v11, 0
	v_lshl_add_u64 v[14:15], s[0:1], 0, v[10:11]
	v_add_co_u32_e32 v14, vcc, 0x1000, v14
	global_load_dwordx2 v[16:17], v10, s[0:1] offset:3072
	s_nop 0
	v_addc_co_u32_e32 v15, vcc, 0, v15, vcc
	global_load_dwordx2 v[18:19], v10, s[0:1]
	global_load_dwordx2 v[20:21], v10, s[0:1] offset:1024
	global_load_dwordx2 v[24:25], v10, s[0:1] offset:2048
	global_load_dwordx2 v[26:27], v[14:15], off
	s_mov_b64 s[10:11], 0
	s_waitcnt vmcnt(2)
	ds_write2st64_b64 v10, v[18:19], v[20:21] offset1:2
	s_waitcnt vmcnt(1)
	ds_write2st64_b64 v10, v[24:25], v[16:17] offset0:4 offset1:6
	s_waitcnt vmcnt(0)
	ds_write_b64 v10, v[26:27] offset:4096
	s_waitcnt lgkmcnt(0)
	s_barrier
.LBB619_20:
	s_andn2_b64 vcc, exec, s[10:11]
	s_cbranch_vccnz .LBB619_32
; %bb.21:
	v_cmp_gt_u32_e32 vcc, s48, v0
                                        ; implicit-def: $vgpr10_vgpr11
	s_and_saveexec_b64 s[10:11], vcc
	s_cbranch_execz .LBB619_23
; %bb.22:
	v_lshlrev_b32_e32 v10, 3, v0
	global_load_dwordx2 v[10:11], v10, s[0:1]
.LBB619_23:
	s_or_b64 exec, exec, s[10:11]
	v_or_b32_e32 v14, 0x80, v0
	v_cmp_gt_u32_e32 vcc, s48, v14
                                        ; implicit-def: $vgpr14_vgpr15
	s_and_saveexec_b64 s[10:11], vcc
	s_cbranch_execz .LBB619_25
; %bb.24:
	v_lshlrev_b32_e32 v14, 3, v0
	global_load_dwordx2 v[14:15], v14, s[0:1] offset:1024
.LBB619_25:
	s_or_b64 exec, exec, s[10:11]
	v_or_b32_e32 v16, 0x100, v0
	v_cmp_gt_u32_e32 vcc, s48, v16
                                        ; implicit-def: $vgpr16_vgpr17
	s_and_saveexec_b64 s[10:11], vcc
	s_cbranch_execz .LBB619_27
; %bb.26:
	v_lshlrev_b32_e32 v16, 3, v0
	global_load_dwordx2 v[16:17], v16, s[0:1] offset:2048
.LBB619_27:
	s_or_b64 exec, exec, s[10:11]
	v_or_b32_e32 v18, 0x180, v0
	v_cmp_gt_u32_e32 vcc, s48, v18
                                        ; implicit-def: $vgpr18_vgpr19
	s_and_saveexec_b64 s[10:11], vcc
	s_cbranch_execz .LBB619_29
; %bb.28:
	v_lshlrev_b32_e32 v18, 3, v0
	global_load_dwordx2 v[18:19], v18, s[0:1] offset:3072
.LBB619_29:
	s_or_b64 exec, exec, s[10:11]
	v_or_b32_e32 v20, 0x200, v0
	v_cmp_gt_u32_e32 vcc, s48, v20
                                        ; implicit-def: $vgpr24_vgpr25
	s_and_saveexec_b64 s[10:11], vcc
	s_cbranch_execz .LBB619_31
; %bb.30:
	v_lshlrev_b32_e32 v20, 3, v20
	global_load_dwordx2 v[24:25], v20, s[0:1]
.LBB619_31:
	s_or_b64 exec, exec, s[10:11]
	v_lshlrev_b32_e32 v20, 5, v0
	v_sub_u32_e32 v20, v22, v20
	s_waitcnt vmcnt(0)
	ds_write2st64_b64 v20, v[10:11], v[14:15] offset1:2
	ds_write2st64_b64 v20, v[16:17], v[18:19] offset0:4 offset1:6
	ds_write_b64 v20, v[24:25] offset:4096
	s_waitcnt lgkmcnt(0)
	s_barrier
.LBB619_32:
	ds_read_b64 v[10:11], v22 offset:32
	ds_read2_b64 v[52:55], v22 offset0:2 offset1:3
	ds_read2_b64 v[56:59], v22 offset1:1
	s_cmp_lg_u32 s33, 0
	s_cselect_b64 s[16:17], -1, 0
	s_cmp_lg_u64 s[6:7], 0
	s_cselect_b64 s[0:1], -1, 0
	s_or_b64 s[0:1], s[0:1], s[16:17]
	s_mov_b64 s[10:11], 0
	s_and_b64 vcc, exec, s[0:1]
	v_cmp_gt_i64_e64 s[6:7], s[26:27], 0
	s_waitcnt lgkmcnt(0)
	s_barrier
	s_cbranch_vccz .LBB619_51
; %bb.33:
	v_mov_b32_e32 v18, 0
	global_load_dwordx2 v[14:15], v18, s[4:5] offset:-8
	v_cndmask_b32_e64 v16, 0, 1, s[6:7]
	v_lshlrev_b32_e32 v23, 3, v0
	s_mov_b64 s[0:1], 0
	s_and_b64 vcc, exec, s[34:35]
	v_cmp_ne_u32_e64 s[4:5], 1, v16
	ds_write_b64 v23, v[12:13]
	s_cbranch_vccz .LBB619_53
; %bb.34:
	s_and_b64 vcc, exec, s[4:5]
	v_mov_b32_e32 v33, 0
	s_cbranch_vccnz .LBB619_44
; %bb.35:
	v_mul_lo_u32 v18, v5, s26
	v_mul_lo_u32 v19, v4, s27
	v_mad_u64_u32 v[16:17], s[0:1], v4, s26, 0
	v_add3_u32 v17, v17, v19, v18
	v_mul_lo_u32 v20, v13, s26
	v_mul_lo_u32 v21, v12, s27
	v_mad_u64_u32 v[18:19], s[0:1], v12, s26, 0
	s_add_u32 s10, s26, -1
	v_lshl_add_u64 v[16:17], v[16:17], 3, s[36:37]
	v_add3_u32 v19, v19, v21, v20
	s_addc_u32 s11, s27, -1
	v_lshl_add_u64 v[18:19], v[18:19], 3, s[36:37]
	s_mov_b64 s[12:13], 0
	s_mov_b64 s[14:15], s[10:11]
	v_mov_b64_e32 v[20:21], v[16:17]
                                        ; implicit-def: $sgpr6_sgpr7
.LBB619_36:                             ; =>This Inner Loop Header: Depth=1
	global_load_dwordx2 v[24:25], v[20:21], off
	global_load_dwordx2 v[26:27], v[18:19], off
	s_add_u32 s0, s14, -1
	s_addc_u32 s1, s15, -1
	s_cmp_eq_u64 s[14:15], 0
	s_mov_b64 s[14:15], s[0:1]
	s_cselect_b64 s[40:41], -1, 0
	v_lshl_add_u64 v[20:21], v[20:21], 0, 8
	v_lshl_add_u64 v[18:19], v[18:19], 0, 8
	s_waitcnt vmcnt(0)
	v_cmp_ne_u64_e64 s[0:1], v[24:25], v[26:27]
	s_or_b64 s[0:1], s[0:1], s[40:41]
	s_and_b64 s[0:1], exec, s[0:1]
	v_cmp_eq_u64_e32 vcc, v[24:25], v[26:27]
	s_or_b64 s[12:13], s[0:1], s[12:13]
	s_andn2_b64 s[0:1], s[6:7], exec
	s_and_b64 s[6:7], vcc, exec
	s_or_b64 s[6:7], s[0:1], s[6:7]
	s_andn2_b64 exec, exec, s[12:13]
	s_cbranch_execnz .LBB619_36
; %bb.37:
	s_or_b64 exec, exec, s[12:13]
	v_mul_lo_u32 v20, v3, s26
	v_mul_lo_u32 v21, v2, s27
	v_mad_u64_u32 v[18:19], s[0:1], v2, s26, 0
	v_add3_u32 v19, v19, v21, v20
	v_lshl_add_u64 v[18:19], v[18:19], 3, s[36:37]
	s_mov_b64 s[14:15], 0
	s_mov_b64 s[40:41], s[10:11]
	v_mov_b64_e32 v[20:21], v[18:19]
                                        ; implicit-def: $sgpr12_sgpr13
.LBB619_38:                             ; =>This Inner Loop Header: Depth=1
	global_load_dwordx2 v[24:25], v[20:21], off
	global_load_dwordx2 v[26:27], v[16:17], off
	s_add_u32 s0, s40, -1
	s_addc_u32 s1, s41, -1
	s_cmp_eq_u64 s[40:41], 0
	s_mov_b64 s[40:41], s[0:1]
	s_cselect_b64 s[42:43], -1, 0
	v_lshl_add_u64 v[20:21], v[20:21], 0, 8
	v_lshl_add_u64 v[16:17], v[16:17], 0, 8
	s_waitcnt vmcnt(0)
	v_cmp_ne_u64_e64 s[0:1], v[24:25], v[26:27]
	s_or_b64 s[0:1], s[0:1], s[42:43]
	s_and_b64 s[0:1], exec, s[0:1]
	v_cmp_eq_u64_e32 vcc, v[24:25], v[26:27]
	s_or_b64 s[14:15], s[0:1], s[14:15]
	s_andn2_b64 s[0:1], s[12:13], exec
	s_and_b64 s[12:13], vcc, exec
	s_or_b64 s[12:13], s[0:1], s[12:13]
	s_andn2_b64 exec, exec, s[14:15]
	s_cbranch_execnz .LBB619_38
; %bb.39:
	s_or_b64 exec, exec, s[14:15]
	v_mul_lo_u32 v20, v9, s26
	v_mul_lo_u32 v21, v8, s27
	v_mad_u64_u32 v[16:17], s[0:1], v8, s26, 0
	v_add3_u32 v17, v17, v21, v20
	v_lshl_add_u64 v[16:17], v[16:17], 3, s[36:37]
	s_mov_b64 s[40:41], 0
	s_mov_b64 s[42:43], s[10:11]
	v_mov_b64_e32 v[20:21], v[16:17]
                                        ; implicit-def: $sgpr14_sgpr15
.LBB619_40:                             ; =>This Inner Loop Header: Depth=1
	global_load_dwordx2 v[24:25], v[20:21], off
	global_load_dwordx2 v[26:27], v[18:19], off
	s_add_u32 s0, s42, -1
	s_addc_u32 s1, s43, -1
	s_cmp_eq_u64 s[42:43], 0
	s_mov_b64 s[42:43], s[0:1]
	s_cselect_b64 s[44:45], -1, 0
	v_lshl_add_u64 v[20:21], v[20:21], 0, 8
	v_lshl_add_u64 v[18:19], v[18:19], 0, 8
	s_waitcnt vmcnt(0)
	v_cmp_ne_u64_e64 s[0:1], v[24:25], v[26:27]
	s_or_b64 s[0:1], s[0:1], s[44:45]
	s_and_b64 s[0:1], exec, s[0:1]
	v_cmp_eq_u64_e32 vcc, v[24:25], v[26:27]
	s_or_b64 s[40:41], s[0:1], s[40:41]
	s_andn2_b64 s[0:1], s[14:15], exec
	s_and_b64 s[14:15], vcc, exec
	s_or_b64 s[14:15], s[0:1], s[14:15]
	s_andn2_b64 exec, exec, s[40:41]
	s_cbranch_execnz .LBB619_40
; %bb.41:
	s_or_b64 exec, exec, s[40:41]
	v_mul_lo_u32 v20, v7, s26
	v_mul_lo_u32 v21, v6, s27
	v_mad_u64_u32 v[18:19], s[0:1], v6, s26, 0
	v_add3_u32 v19, v19, v21, v20
	v_lshl_add_u64 v[18:19], v[18:19], 3, s[36:37]
	s_mov_b64 s[42:43], 0
                                        ; implicit-def: $sgpr40_sgpr41
.LBB619_42:                             ; =>This Inner Loop Header: Depth=1
	global_load_dwordx2 v[20:21], v[18:19], off
	global_load_dwordx2 v[24:25], v[16:17], off
	s_add_u32 s0, s10, -1
	s_addc_u32 s1, s11, -1
	s_cmp_eq_u64 s[10:11], 0
	s_mov_b64 s[10:11], s[0:1]
	s_cselect_b64 s[44:45], -1, 0
	v_lshl_add_u64 v[18:19], v[18:19], 0, 8
	v_lshl_add_u64 v[16:17], v[16:17], 0, 8
	s_waitcnt vmcnt(0)
	v_cmp_ne_u64_e64 s[0:1], v[20:21], v[24:25]
	s_or_b64 s[0:1], s[0:1], s[44:45]
	s_and_b64 s[0:1], exec, s[0:1]
	v_cmp_eq_u64_e32 vcc, v[20:21], v[24:25]
	s_or_b64 s[42:43], s[0:1], s[42:43]
	s_andn2_b64 s[0:1], s[40:41], exec
	s_and_b64 s[40:41], vcc, exec
	s_or_b64 s[40:41], s[0:1], s[40:41]
	s_andn2_b64 exec, exec, s[42:43]
	s_cbranch_execnz .LBB619_42
; %bb.43:
	s_or_b64 exec, exec, s[42:43]
	s_xor_b64 s[0:1], s[6:7], -1
	v_cndmask_b32_e64 v33, 0, 1, s[0:1]
	s_xor_b64 s[0:1], s[12:13], -1
	v_cndmask_b32_e64 v16, 0, 1, s[0:1]
	v_lshlrev_b16_e32 v16, 8, v16
	v_mov_b32_e32 v17, 8
	s_xor_b64 s[6:7], s[14:15], -1
	v_lshrrev_b32_sdwa v16, v17, v16 dst_sel:BYTE_1 dst_unused:UNUSED_PAD src0_sel:DWORD src1_sel:DWORD
	v_cndmask_b32_e64 v17, 0, 1, s[6:7]
	s_xor_b64 s[0:1], s[40:41], -1
	v_or_b32_sdwa v18, v17, v16 dst_sel:WORD_1 dst_unused:UNUSED_PAD src0_sel:DWORD src1_sel:DWORD
.LBB619_44:
	s_waitcnt vmcnt(0)
	v_mov_b64_e32 v[16:17], v[14:15]
	s_waitcnt lgkmcnt(0)
	s_barrier
	s_and_saveexec_b64 s[6:7], s[2:3]
; %bb.45:
	v_add_u32_e32 v16, -8, v23
	ds_read_b64 v[16:17], v16
; %bb.46:
	s_or_b64 exec, exec, s[6:7]
	v_cndmask_b32_e64 v19, 0, 1, s[0:1]
	v_lshrrev_b32_e32 v20, 16, v18
	s_mov_b32 s0, 0xc0c0304
	v_perm_b32 v20, v20, v18, s0
	v_lshlrev_b16_e32 v19, 8, v19
	s_movk_i32 s0, 0xff
	v_bitop3_b16 v18, v18, v19, s0 bitop3:0xec
	v_and_b32_e32 v21, 0xffff, v18
	s_mov_b64 s[6:7], 0
	s_and_b64 vcc, exec, s[4:5]
	s_mov_b64 s[0:1], 0
	s_cbranch_vccnz .LBB619_50
; %bb.47:
	s_waitcnt lgkmcnt(0)
	v_mul_lo_u32 v18, v17, s26
	v_mul_lo_u32 v19, v16, s27
	v_mad_u64_u32 v[16:17], s[0:1], v16, s26, 0
	v_add3_u32 v17, v17, v19, v18
	v_mul_lo_u32 v24, v7, s26
	v_mul_lo_u32 v25, v6, s27
	v_mad_u64_u32 v[18:19], s[0:1], v6, s26, 0
	v_add3_u32 v19, v19, v25, v24
	s_add_u32 s14, s26, -1
	v_lshl_add_u64 v[16:17], v[16:17], 3, s[36:37]
	v_lshl_add_u64 v[18:19], v[18:19], 3, s[36:37]
	s_addc_u32 s15, s27, -1
	s_mov_b64 s[10:11], 0
                                        ; implicit-def: $sgpr12_sgpr13
.LBB619_48:                             ; =>This Inner Loop Header: Depth=1
	global_load_dwordx2 v[24:25], v[16:17], off
	global_load_dwordx2 v[26:27], v[18:19], off
	s_add_u32 s0, s14, -1
	s_addc_u32 s1, s15, -1
	s_cmp_eq_u64 s[14:15], 0
	s_mov_b64 s[14:15], s[0:1]
	s_cselect_b64 s[40:41], -1, 0
	v_lshl_add_u64 v[16:17], v[16:17], 0, 8
	v_lshl_add_u64 v[18:19], v[18:19], 0, 8
	s_waitcnt vmcnt(0)
	v_cmp_ne_u64_e64 s[0:1], v[24:25], v[26:27]
	s_or_b64 s[0:1], s[0:1], s[40:41]
	s_and_b64 s[0:1], exec, s[0:1]
	v_cmp_eq_u64_e32 vcc, v[24:25], v[26:27]
	s_or_b64 s[10:11], s[0:1], s[10:11]
	s_andn2_b64 s[0:1], s[12:13], exec
	s_and_b64 s[12:13], vcc, exec
	s_or_b64 s[12:13], s[0:1], s[12:13]
	s_andn2_b64 exec, exec, s[10:11]
	s_cbranch_execnz .LBB619_48
; %bb.49:
	s_or_b64 exec, exec, s[10:11]
	s_xor_b64 s[0:1], s[12:13], -1
.LBB619_50:
	s_waitcnt lgkmcnt(0)
	v_lshl_or_b32 v17, v20, 16, v21
	s_and_b64 vcc, exec, s[6:7]
	s_cbranch_vccnz .LBB619_54
	s_branch .LBB619_87
.LBB619_51:
                                        ; implicit-def: $sgpr0_sgpr1
                                        ; implicit-def: $vgpr33
                                        ; implicit-def: $vgpr17
	s_branch .LBB619_88
.LBB619_52:
                                        ; implicit-def: $vgpr16
                                        ; implicit-def: $vgpr35
                                        ; implicit-def: $vgpr34
                                        ; implicit-def: $vgpr14
	s_branch .LBB619_141
.LBB619_53:
                                        ; implicit-def: $sgpr0_sgpr1
                                        ; implicit-def: $vgpr33
                                        ; implicit-def: $vgpr17
	s_cbranch_execz .LBB619_87
.LBB619_54:
	v_add_u32_e32 v16, 4, v1
	v_cmp_gt_u32_e32 vcc, s48, v16
	s_mov_b64 s[10:11], 0
	s_mov_b64 s[6:7], 0
	s_and_saveexec_b64 s[12:13], vcc
	s_cbranch_execz .LBB619_60
; %bb.55:
	s_and_b64 vcc, exec, s[4:5]
	s_mov_b64 s[0:1], 0
	s_cbranch_vccnz .LBB619_59
; %bb.56:
	v_mul_lo_u32 v18, v5, s26
	v_mul_lo_u32 v19, v4, s27
	v_mad_u64_u32 v[16:17], s[0:1], v4, s26, 0
	v_add3_u32 v17, v17, v19, v18
	v_mul_lo_u32 v20, v13, s26
	v_mul_lo_u32 v21, v12, s27
	v_mad_u64_u32 v[18:19], s[0:1], v12, s26, 0
	v_add3_u32 v19, v19, v21, v20
	s_add_u32 s40, s26, -1
	v_lshl_add_u64 v[16:17], v[16:17], 3, s[36:37]
	v_lshl_add_u64 v[18:19], v[18:19], 3, s[36:37]
	s_addc_u32 s41, s27, -1
                                        ; implicit-def: $sgpr14_sgpr15
.LBB619_57:                             ; =>This Inner Loop Header: Depth=1
	global_load_dwordx2 v[20:21], v[16:17], off
	global_load_dwordx2 v[24:25], v[18:19], off
	s_add_u32 s0, s40, -1
	s_addc_u32 s1, s41, -1
	s_cmp_eq_u64 s[40:41], 0
	s_mov_b64 s[40:41], s[0:1]
	s_cselect_b64 s[42:43], -1, 0
	v_lshl_add_u64 v[16:17], v[16:17], 0, 8
	v_lshl_add_u64 v[18:19], v[18:19], 0, 8
	s_waitcnt vmcnt(0)
	v_cmp_ne_u64_e64 s[0:1], v[20:21], v[24:25]
	s_or_b64 s[0:1], s[0:1], s[42:43]
	s_and_b64 s[0:1], exec, s[0:1]
	v_cmp_eq_u64_e32 vcc, v[20:21], v[24:25]
	s_or_b64 s[6:7], s[0:1], s[6:7]
	s_andn2_b64 s[0:1], s[14:15], exec
	s_and_b64 s[14:15], vcc, exec
	s_or_b64 s[14:15], s[0:1], s[14:15]
	s_andn2_b64 exec, exec, s[6:7]
	s_cbranch_execnz .LBB619_57
; %bb.58:
	s_or_b64 exec, exec, s[6:7]
	s_xor_b64 s[0:1], s[14:15], -1
.LBB619_59:
	s_and_b64 s[6:7], s[0:1], exec
.LBB619_60:
	s_or_b64 exec, exec, s[12:13]
	v_add_u32_e32 v16, 3, v1
	v_cmp_gt_u32_e32 vcc, s48, v16
	s_and_saveexec_b64 s[12:13], vcc
	s_cbranch_execz .LBB619_66
; %bb.61:
	s_and_b64 vcc, exec, s[4:5]
	s_mov_b64 s[0:1], 0
	s_cbranch_vccnz .LBB619_65
; %bb.62:
	v_mul_lo_u32 v18, v3, s26
	v_mul_lo_u32 v19, v2, s27
	v_mad_u64_u32 v[16:17], s[0:1], v2, s26, 0
	v_add3_u32 v17, v17, v19, v18
	v_mul_lo_u32 v20, v5, s26
	v_mul_lo_u32 v21, v4, s27
	v_mad_u64_u32 v[18:19], s[0:1], v4, s26, 0
	v_add3_u32 v19, v19, v21, v20
	s_add_u32 s40, s26, -1
	v_lshl_add_u64 v[16:17], v[16:17], 3, s[36:37]
	v_lshl_add_u64 v[18:19], v[18:19], 3, s[36:37]
	s_addc_u32 s41, s27, -1
	s_mov_b64 s[10:11], 0
                                        ; implicit-def: $sgpr14_sgpr15
.LBB619_63:                             ; =>This Inner Loop Header: Depth=1
	global_load_dwordx2 v[20:21], v[16:17], off
	global_load_dwordx2 v[24:25], v[18:19], off
	s_add_u32 s0, s40, -1
	s_addc_u32 s1, s41, -1
	s_cmp_eq_u64 s[40:41], 0
	s_mov_b64 s[40:41], s[0:1]
	s_cselect_b64 s[42:43], -1, 0
	v_lshl_add_u64 v[16:17], v[16:17], 0, 8
	v_lshl_add_u64 v[18:19], v[18:19], 0, 8
	s_waitcnt vmcnt(0)
	v_cmp_ne_u64_e64 s[0:1], v[20:21], v[24:25]
	s_or_b64 s[0:1], s[0:1], s[42:43]
	s_and_b64 s[0:1], exec, s[0:1]
	v_cmp_eq_u64_e32 vcc, v[20:21], v[24:25]
	s_or_b64 s[10:11], s[0:1], s[10:11]
	s_andn2_b64 s[0:1], s[14:15], exec
	s_and_b64 s[14:15], vcc, exec
	s_or_b64 s[14:15], s[0:1], s[14:15]
	s_andn2_b64 exec, exec, s[10:11]
	s_cbranch_execnz .LBB619_63
; %bb.64:
	s_or_b64 exec, exec, s[10:11]
	s_xor_b64 s[0:1], s[14:15], -1
.LBB619_65:
	s_and_b64 s[10:11], s[0:1], exec
.LBB619_66:
	s_or_b64 exec, exec, s[12:13]
	v_add_u32_e32 v16, 2, v1
	v_cmp_gt_u32_e32 vcc, s48, v16
	s_mov_b64 s[12:13], 0
	s_mov_b64 s[14:15], 0
	s_and_saveexec_b64 s[40:41], vcc
	s_cbranch_execz .LBB619_72
; %bb.67:
	s_and_b64 vcc, exec, s[4:5]
	s_mov_b64 s[0:1], 0
	s_cbranch_vccnz .LBB619_71
; %bb.68:
	v_mul_lo_u32 v18, v9, s26
	v_mul_lo_u32 v19, v8, s27
	v_mad_u64_u32 v[16:17], s[0:1], v8, s26, 0
	v_add3_u32 v17, v17, v19, v18
	v_mul_lo_u32 v20, v3, s26
	v_mul_lo_u32 v21, v2, s27
	v_mad_u64_u32 v[18:19], s[0:1], v2, s26, 0
	v_add3_u32 v19, v19, v21, v20
	s_add_u32 s44, s26, -1
	v_lshl_add_u64 v[16:17], v[16:17], 3, s[36:37]
	v_lshl_add_u64 v[18:19], v[18:19], 3, s[36:37]
	s_addc_u32 s45, s27, -1
                                        ; implicit-def: $sgpr42_sgpr43
.LBB619_69:                             ; =>This Inner Loop Header: Depth=1
	global_load_dwordx2 v[20:21], v[16:17], off
	global_load_dwordx2 v[24:25], v[18:19], off
	s_add_u32 s0, s44, -1
	s_addc_u32 s1, s45, -1
	s_cmp_eq_u64 s[44:45], 0
	s_mov_b64 s[44:45], s[0:1]
	s_cselect_b64 s[46:47], -1, 0
	v_lshl_add_u64 v[16:17], v[16:17], 0, 8
	v_lshl_add_u64 v[18:19], v[18:19], 0, 8
	s_waitcnt vmcnt(0)
	v_cmp_ne_u64_e64 s[0:1], v[20:21], v[24:25]
	s_or_b64 s[0:1], s[0:1], s[46:47]
	s_and_b64 s[0:1], exec, s[0:1]
	v_cmp_eq_u64_e32 vcc, v[20:21], v[24:25]
	s_or_b64 s[14:15], s[0:1], s[14:15]
	s_andn2_b64 s[0:1], s[42:43], exec
	s_and_b64 s[42:43], vcc, exec
	s_or_b64 s[42:43], s[0:1], s[42:43]
	s_andn2_b64 exec, exec, s[14:15]
	s_cbranch_execnz .LBB619_69
; %bb.70:
	s_or_b64 exec, exec, s[14:15]
	s_xor_b64 s[0:1], s[42:43], -1
.LBB619_71:
	s_and_b64 s[14:15], s[0:1], exec
.LBB619_72:
	s_or_b64 exec, exec, s[40:41]
	v_add_u32_e32 v16, 1, v1
	v_cmp_gt_u32_e32 vcc, s48, v16
	s_and_saveexec_b64 s[40:41], vcc
	s_cbranch_execz .LBB619_78
; %bb.73:
	s_and_b64 vcc, exec, s[4:5]
	s_mov_b64 s[0:1], 0
	s_cbranch_vccnz .LBB619_77
; %bb.74:
	v_mul_lo_u32 v18, v7, s26
	v_mul_lo_u32 v19, v6, s27
	v_mad_u64_u32 v[16:17], s[0:1], v6, s26, 0
	v_add3_u32 v17, v17, v19, v18
	v_mul_lo_u32 v20, v9, s26
	v_mul_lo_u32 v21, v8, s27
	v_mad_u64_u32 v[18:19], s[0:1], v8, s26, 0
	v_add3_u32 v19, v19, v21, v20
	s_add_u32 s44, s26, -1
	v_lshl_add_u64 v[16:17], v[16:17], 3, s[36:37]
	v_lshl_add_u64 v[18:19], v[18:19], 3, s[36:37]
	s_addc_u32 s45, s27, -1
	s_mov_b64 s[12:13], 0
                                        ; implicit-def: $sgpr42_sgpr43
.LBB619_75:                             ; =>This Inner Loop Header: Depth=1
	global_load_dwordx2 v[20:21], v[16:17], off
	global_load_dwordx2 v[24:25], v[18:19], off
	s_add_u32 s0, s44, -1
	s_addc_u32 s1, s45, -1
	s_cmp_eq_u64 s[44:45], 0
	s_mov_b64 s[44:45], s[0:1]
	s_cselect_b64 s[46:47], -1, 0
	v_lshl_add_u64 v[16:17], v[16:17], 0, 8
	v_lshl_add_u64 v[18:19], v[18:19], 0, 8
	s_waitcnt vmcnt(0)
	v_cmp_ne_u64_e64 s[0:1], v[20:21], v[24:25]
	s_or_b64 s[0:1], s[0:1], s[46:47]
	s_and_b64 s[0:1], exec, s[0:1]
	v_cmp_eq_u64_e32 vcc, v[20:21], v[24:25]
	s_or_b64 s[12:13], s[0:1], s[12:13]
	s_andn2_b64 s[0:1], s[42:43], exec
	s_and_b64 s[42:43], vcc, exec
	s_or_b64 s[42:43], s[0:1], s[42:43]
	s_andn2_b64 exec, exec, s[12:13]
	s_cbranch_execnz .LBB619_75
; %bb.76:
	s_or_b64 exec, exec, s[12:13]
	s_xor_b64 s[0:1], s[42:43], -1
.LBB619_77:
	s_and_b64 s[12:13], s[0:1], exec
.LBB619_78:
	s_or_b64 exec, exec, s[40:41]
	s_waitcnt lgkmcnt(0)
	s_barrier
	s_and_saveexec_b64 s[0:1], s[2:3]
	s_cbranch_execz .LBB619_80
; %bb.79:
	s_waitcnt vmcnt(0)
	v_add_u32_e32 v14, -8, v23
	ds_read_b64 v[14:15], v14
.LBB619_80:
	s_or_b64 exec, exec, s[0:1]
	v_cndmask_b32_e64 v17, 0, 1, s[10:11]
	v_cndmask_b32_e64 v16, 0, 1, s[14:15]
	;; [unrolled: 1-line block ×3, first 2 shown]
	v_lshlrev_b16_e32 v17, 8, v17
	v_cmp_gt_u32_e32 vcc, s48, v1
	v_lshlrev_b16_e32 v18, 8, v18
	v_or_b32_sdwa v19, v16, v17 dst_sel:WORD_1 dst_unused:UNUSED_PAD src0_sel:DWORD src1_sel:DWORD
	s_mov_b64 s[0:1], 0
	s_and_saveexec_b64 s[10:11], vcc
	s_cbranch_execz .LBB619_86
; %bb.81:
	s_and_b64 vcc, exec, s[4:5]
	s_cbranch_vccnz .LBB619_85
; %bb.82:
	s_waitcnt vmcnt(0) lgkmcnt(0)
	v_mul_lo_u32 v16, v15, s26
	v_mul_lo_u32 v17, v14, s27
	v_mad_u64_u32 v[14:15], s[0:1], v14, s26, 0
	v_add3_u32 v15, v15, v17, v16
	v_mul_lo_u32 v20, v7, s26
	v_mul_lo_u32 v21, v6, s27
	v_mad_u64_u32 v[16:17], s[0:1], v6, s26, 0
	v_add3_u32 v17, v17, v21, v20
	s_add_u32 s14, s26, -1
	v_lshl_add_u64 v[14:15], v[14:15], 3, s[36:37]
	v_lshl_add_u64 v[16:17], v[16:17], 3, s[36:37]
	s_addc_u32 s15, s27, -1
	s_mov_b64 s[4:5], 0
                                        ; implicit-def: $sgpr12_sgpr13
.LBB619_83:                             ; =>This Inner Loop Header: Depth=1
	global_load_dwordx2 v[20:21], v[14:15], off
	global_load_dwordx2 v[24:25], v[16:17], off
	s_add_u32 s0, s14, -1
	s_addc_u32 s1, s15, -1
	s_cmp_eq_u64 s[14:15], 0
	s_mov_b64 s[14:15], s[0:1]
	s_cselect_b64 s[40:41], -1, 0
	v_lshl_add_u64 v[14:15], v[14:15], 0, 8
	v_lshl_add_u64 v[16:17], v[16:17], 0, 8
	s_waitcnt vmcnt(0)
	v_cmp_ne_u64_e64 s[0:1], v[20:21], v[24:25]
	s_or_b64 s[0:1], s[0:1], s[40:41]
	s_and_b64 s[0:1], exec, s[0:1]
	v_cmp_eq_u64_e32 vcc, v[20:21], v[24:25]
	s_or_b64 s[4:5], s[0:1], s[4:5]
	s_andn2_b64 s[0:1], s[12:13], exec
	s_and_b64 s[12:13], vcc, exec
	s_or_b64 s[12:13], s[0:1], s[12:13]
	s_andn2_b64 exec, exec, s[4:5]
	s_cbranch_execnz .LBB619_83
; %bb.84:
	s_or_b64 exec, exec, s[4:5]
	s_xor_b64 s[0:1], s[12:13], -1
.LBB619_85:
	s_and_b64 s[0:1], s[0:1], exec
.LBB619_86:
	s_or_b64 exec, exec, s[10:11]
	v_cndmask_b32_e64 v33, 0, 1, s[6:7]
	v_or_b32_e32 v17, v18, v19
.LBB619_87:
	s_mov_b64 s[10:11], -1
	s_cbranch_execnz .LBB619_52
.LBB619_88:
	s_waitcnt vmcnt(0) lgkmcnt(0)
	v_lshlrev_b32_e32 v14, 5, v0
	v_sub_u32_e32 v22, v22, v14
	s_mov_b64 s[0:1], 0
	v_cmp_gt_i64_e64 s[6:7], s[26:27], 0
	s_and_b64 vcc, exec, s[34:35]
	ds_write_b64 v22, v[12:13]
	s_cbranch_vccz .LBB619_99
; %bb.89:
	v_cndmask_b32_e64 v14, 0, 1, s[6:7]
	v_cmp_ne_u32_e64 s[4:5], 1, v14
	s_andn2_b64 vcc, exec, s[6:7]
	s_cbranch_vccnz .LBB619_100
; %bb.90:
	v_mul_lo_u32 v16, v5, s26
	v_mul_lo_u32 v17, v4, s27
	v_mad_u64_u32 v[14:15], s[0:1], v4, s26, 0
	v_add3_u32 v15, v15, v17, v16
	v_mul_lo_u32 v18, v13, s26
	v_mul_lo_u32 v19, v12, s27
	v_mad_u64_u32 v[16:17], s[0:1], v12, s26, 0
	s_add_u32 s14, s26, -1
	v_lshl_add_u64 v[14:15], v[14:15], 3, s[36:37]
	v_add3_u32 v17, v17, v19, v18
	s_addc_u32 s15, s27, -1
	v_lshl_add_u64 v[16:17], v[16:17], 3, s[36:37]
	s_mov_b64 s[40:41], 0
	s_mov_b64 s[42:43], s[14:15]
	v_mov_b64_e32 v[18:19], v[14:15]
                                        ; implicit-def: $sgpr12_sgpr13
.LBB619_91:                             ; =>This Inner Loop Header: Depth=1
	global_load_dwordx2 v[20:21], v[18:19], off
	global_load_dwordx2 v[24:25], v[16:17], off
	s_add_u32 s0, s42, -1
	s_addc_u32 s1, s43, -1
	s_cmp_eq_u64 s[42:43], 0
	s_mov_b64 s[42:43], s[0:1]
	s_cselect_b64 s[44:45], -1, 0
	v_lshl_add_u64 v[18:19], v[18:19], 0, 8
	v_lshl_add_u64 v[16:17], v[16:17], 0, 8
	s_waitcnt vmcnt(0)
	v_cmp_ne_u64_e64 s[0:1], v[20:21], v[24:25]
	s_or_b64 s[0:1], s[0:1], s[44:45]
	s_and_b64 s[0:1], exec, s[0:1]
	v_cmp_eq_u64_e32 vcc, v[20:21], v[24:25]
	s_or_b64 s[40:41], s[0:1], s[40:41]
	s_andn2_b64 s[0:1], s[12:13], exec
	s_and_b64 s[12:13], vcc, exec
	s_or_b64 s[12:13], s[0:1], s[12:13]
	s_andn2_b64 exec, exec, s[40:41]
	s_cbranch_execnz .LBB619_91
; %bb.92:
	s_or_b64 exec, exec, s[40:41]
	v_mul_lo_u32 v18, v3, s26
	v_mul_lo_u32 v19, v2, s27
	v_mad_u64_u32 v[16:17], s[0:1], v2, s26, 0
	v_add3_u32 v17, v17, v19, v18
	v_lshl_add_u64 v[16:17], v[16:17], 3, s[36:37]
	s_mov_b64 s[42:43], 0
	s_mov_b64 s[44:45], s[14:15]
	v_mov_b64_e32 v[18:19], v[16:17]
                                        ; implicit-def: $sgpr40_sgpr41
.LBB619_93:                             ; =>This Inner Loop Header: Depth=1
	global_load_dwordx2 v[20:21], v[18:19], off
	global_load_dwordx2 v[24:25], v[14:15], off
	s_add_u32 s0, s44, -1
	s_addc_u32 s1, s45, -1
	s_cmp_eq_u64 s[44:45], 0
	s_mov_b64 s[44:45], s[0:1]
	s_cselect_b64 s[46:47], -1, 0
	v_lshl_add_u64 v[18:19], v[18:19], 0, 8
	v_lshl_add_u64 v[14:15], v[14:15], 0, 8
	s_waitcnt vmcnt(0)
	v_cmp_ne_u64_e64 s[0:1], v[20:21], v[24:25]
	s_or_b64 s[0:1], s[0:1], s[46:47]
	s_and_b64 s[0:1], exec, s[0:1]
	v_cmp_eq_u64_e32 vcc, v[20:21], v[24:25]
	s_or_b64 s[42:43], s[0:1], s[42:43]
	s_andn2_b64 s[0:1], s[40:41], exec
	s_and_b64 s[40:41], vcc, exec
	s_or_b64 s[40:41], s[0:1], s[40:41]
	s_andn2_b64 exec, exec, s[42:43]
	s_cbranch_execnz .LBB619_93
; %bb.94:
	s_or_b64 exec, exec, s[42:43]
	v_mul_lo_u32 v18, v9, s26
	v_mul_lo_u32 v19, v8, s27
	v_mad_u64_u32 v[14:15], s[0:1], v8, s26, 0
	v_add3_u32 v15, v15, v19, v18
	v_lshl_add_u64 v[14:15], v[14:15], 3, s[36:37]
	s_mov_b64 s[44:45], 0
	s_mov_b64 s[46:47], s[14:15]
	v_mov_b64_e32 v[18:19], v[14:15]
                                        ; implicit-def: $sgpr42_sgpr43
.LBB619_95:                             ; =>This Inner Loop Header: Depth=1
	global_load_dwordx2 v[20:21], v[18:19], off
	global_load_dwordx2 v[24:25], v[16:17], off
	s_add_u32 s0, s46, -1
	s_addc_u32 s1, s47, -1
	s_cmp_eq_u64 s[46:47], 0
	s_mov_b64 s[46:47], s[0:1]
	s_cselect_b64 s[50:51], -1, 0
	v_lshl_add_u64 v[18:19], v[18:19], 0, 8
	v_lshl_add_u64 v[16:17], v[16:17], 0, 8
	s_waitcnt vmcnt(0)
	v_cmp_ne_u64_e64 s[0:1], v[20:21], v[24:25]
	s_or_b64 s[0:1], s[0:1], s[50:51]
	s_and_b64 s[0:1], exec, s[0:1]
	v_cmp_eq_u64_e32 vcc, v[20:21], v[24:25]
	s_or_b64 s[44:45], s[0:1], s[44:45]
	s_andn2_b64 s[0:1], s[42:43], exec
	s_and_b64 s[42:43], vcc, exec
	s_or_b64 s[42:43], s[0:1], s[42:43]
	s_andn2_b64 exec, exec, s[44:45]
	s_cbranch_execnz .LBB619_95
; %bb.96:
	s_or_b64 exec, exec, s[44:45]
	v_mul_lo_u32 v18, v7, s26
	v_mul_lo_u32 v19, v6, s27
	v_mad_u64_u32 v[16:17], s[0:1], v6, s26, 0
	v_add3_u32 v17, v17, v19, v18
	v_lshl_add_u64 v[16:17], v[16:17], 3, s[36:37]
	s_mov_b64 s[46:47], 0
                                        ; implicit-def: $sgpr44_sgpr45
.LBB619_97:                             ; =>This Inner Loop Header: Depth=1
	global_load_dwordx2 v[18:19], v[16:17], off
	global_load_dwordx2 v[20:21], v[14:15], off
	s_add_u32 s0, s14, -1
	s_addc_u32 s1, s15, -1
	s_cmp_eq_u64 s[14:15], 0
	s_mov_b64 s[14:15], s[0:1]
	s_cselect_b64 s[50:51], -1, 0
	v_lshl_add_u64 v[16:17], v[16:17], 0, 8
	v_lshl_add_u64 v[14:15], v[14:15], 0, 8
	s_waitcnt vmcnt(0)
	v_cmp_ne_u64_e64 s[0:1], v[18:19], v[20:21]
	s_or_b64 s[0:1], s[0:1], s[50:51]
	s_and_b64 s[0:1], exec, s[0:1]
	v_cmp_eq_u64_e32 vcc, v[18:19], v[20:21]
	s_or_b64 s[46:47], s[0:1], s[46:47]
	s_andn2_b64 s[0:1], s[44:45], exec
	s_and_b64 s[44:45], vcc, exec
	s_or_b64 s[44:45], s[0:1], s[44:45]
	s_andn2_b64 exec, exec, s[46:47]
	s_cbranch_execnz .LBB619_97
; %bb.98:
	s_or_b64 exec, exec, s[46:47]
	s_xor_b64 s[0:1], s[12:13], -1
	v_cndmask_b32_e64 v33, 0, 1, s[0:1]
	s_xor_b64 s[0:1], s[40:41], -1
	v_cndmask_b32_e64 v14, 0, 1, s[0:1]
	v_lshlrev_b16_e32 v14, 8, v14
	v_mov_b32_e32 v15, 8
	s_xor_b64 s[12:13], s[42:43], -1
	v_lshrrev_b32_sdwa v14, v15, v14 dst_sel:BYTE_1 dst_unused:UNUSED_PAD src0_sel:DWORD src1_sel:DWORD
	v_cndmask_b32_e64 v15, 0, 1, s[12:13]
	s_xor_b64 s[0:1], s[44:45], -1
	v_or_b32_sdwa v14, v15, v14 dst_sel:WORD_1 dst_unused:UNUSED_PAD src0_sel:DWORD src1_sel:DWORD
	s_branch .LBB619_101
.LBB619_99:
                                        ; implicit-def: $sgpr0_sgpr1
                                        ; implicit-def: $vgpr33
                                        ; implicit-def: $vgpr17
                                        ; implicit-def: $vgpr16
                                        ; implicit-def: $vgpr35
                                        ; implicit-def: $vgpr34
                                        ; implicit-def: $vgpr14
	s_cbranch_execnz .LBB619_108
	s_branch .LBB619_141
.LBB619_100:
	v_mov_b32_e32 v14, 0
	v_mov_b32_e32 v33, 0
.LBB619_101:
	v_lshrrev_b32_e32 v34, 16, v14
	v_lshrrev_b32_e32 v14, 24, v14
	v_cndmask_b32_e64 v35, 0, 1, s[0:1]
	v_mov_b32_e32 v16, 1
	s_waitcnt lgkmcnt(0)
	s_barrier
                                        ; implicit-def: $sgpr0_sgpr1
                                        ; implicit-def: $vgpr17
	s_and_saveexec_b64 s[12:13], s[2:3]
	s_xor_b64 s[12:13], exec, s[12:13]
	s_cbranch_execz .LBB619_107
; %bb.102:
	v_lshlrev_b16_e32 v15, 8, v14
	s_movk_i32 s0, 0xff
	v_bitop3_b16 v15, v34, v15, s0 bitop3:0xec
	v_lshlrev_b16_e32 v17, 8, v35
	v_lshlrev_b32_e32 v15, 16, v15
	v_or_b32_e32 v17, 1, v17
	v_or_b32_sdwa v15, v17, v15 dst_sel:DWORD dst_unused:UNUSED_PAD src0_sel:WORD_0 src1_sel:DWORD
	s_mov_b32 s42, 0x3020104
	s_and_b64 vcc, exec, s[4:5]
	s_mov_b64 s[0:1], 0
	s_cbranch_vccnz .LBB619_106
; %bb.103:
	v_add_u32_e32 v17, -8, v22
	ds_read_b64 v[18:19], v17
	v_mul_lo_u32 v17, v7, s26
	v_mul_lo_u32 v23, v6, s27
	s_add_u32 s40, s26, -1
	s_addc_u32 s41, s27, -1
	s_waitcnt lgkmcnt(0)
	v_mul_lo_u32 v20, v19, s26
	v_mul_lo_u32 v21, v18, s27
	v_mad_u64_u32 v[18:19], s[0:1], v18, s26, 0
	v_add3_u32 v19, v19, v21, v20
	v_mad_u64_u32 v[20:21], s[0:1], v6, s26, 0
	v_add3_u32 v21, v21, v23, v17
	v_lshl_add_u64 v[18:19], v[18:19], 3, s[36:37]
	v_lshl_add_u64 v[20:21], v[20:21], 3, s[36:37]
	s_mov_b64 s[4:5], 0
                                        ; implicit-def: $sgpr14_sgpr15
.LBB619_104:                            ; =>This Inner Loop Header: Depth=1
	global_load_dwordx2 v[24:25], v[18:19], off
	global_load_dwordx2 v[26:27], v[20:21], off
	s_add_u32 s0, s40, -1
	s_addc_u32 s1, s41, -1
	s_cmp_eq_u64 s[40:41], 0
	s_mov_b64 s[40:41], s[0:1]
	s_cselect_b64 s[44:45], -1, 0
	v_lshl_add_u64 v[18:19], v[18:19], 0, 8
	v_lshl_add_u64 v[20:21], v[20:21], 0, 8
	s_waitcnt vmcnt(0)
	v_cmp_ne_u64_e64 s[0:1], v[24:25], v[26:27]
	s_or_b64 s[0:1], s[0:1], s[44:45]
	s_and_b64 s[0:1], exec, s[0:1]
	v_cmp_eq_u64_e32 vcc, v[24:25], v[26:27]
	s_or_b64 s[4:5], s[0:1], s[4:5]
	s_andn2_b64 s[0:1], s[14:15], exec
	s_and_b64 s[14:15], vcc, exec
	s_or_b64 s[14:15], s[0:1], s[14:15]
	s_andn2_b64 exec, exec, s[4:5]
	s_cbranch_execnz .LBB619_104
; %bb.105:
	s_or_b64 exec, exec, s[4:5]
	s_xor_b64 s[0:1], s[14:15], -1
.LBB619_106:
	v_perm_b32 v17, v15, v15, s42
	s_or_b64 s[10:11], s[10:11], exec
.LBB619_107:
	s_or_b64 exec, exec, s[12:13]
	s_branch .LBB619_141
.LBB619_108:
	v_add_u32_e32 v14, 4, v1
	v_cmp_gt_u32_e32 vcc, s48, v14
	s_mov_b64 s[4:5], 0
	s_mov_b64 s[12:13], 0
	s_and_saveexec_b64 s[14:15], vcc
	s_cbranch_execz .LBB619_114
; %bb.109:
	s_andn2_b64 vcc, exec, s[6:7]
	s_mov_b64 s[0:1], 0
	s_cbranch_vccnz .LBB619_113
; %bb.110:
	v_mul_lo_u32 v16, v5, s26
	v_mul_lo_u32 v17, v4, s27
	v_mad_u64_u32 v[14:15], s[0:1], v4, s26, 0
	v_add3_u32 v15, v15, v17, v16
	v_mul_lo_u32 v18, v13, s26
	v_mul_lo_u32 v19, v12, s27
	v_mad_u64_u32 v[16:17], s[0:1], v12, s26, 0
	v_add3_u32 v17, v17, v19, v18
	s_add_u32 s42, s26, -1
	v_lshl_add_u64 v[14:15], v[14:15], 3, s[36:37]
	v_lshl_add_u64 v[16:17], v[16:17], 3, s[36:37]
	s_addc_u32 s43, s27, -1
                                        ; implicit-def: $sgpr40_sgpr41
.LBB619_111:                            ; =>This Inner Loop Header: Depth=1
	global_load_dwordx2 v[18:19], v[14:15], off
	global_load_dwordx2 v[20:21], v[16:17], off
	s_add_u32 s0, s42, -1
	s_addc_u32 s1, s43, -1
	s_cmp_eq_u64 s[42:43], 0
	s_mov_b64 s[42:43], s[0:1]
	s_cselect_b64 s[44:45], -1, 0
	v_lshl_add_u64 v[14:15], v[14:15], 0, 8
	v_lshl_add_u64 v[16:17], v[16:17], 0, 8
	s_waitcnt vmcnt(0)
	v_cmp_ne_u64_e64 s[0:1], v[18:19], v[20:21]
	s_or_b64 s[0:1], s[0:1], s[44:45]
	s_and_b64 s[0:1], exec, s[0:1]
	v_cmp_eq_u64_e32 vcc, v[18:19], v[20:21]
	s_or_b64 s[12:13], s[0:1], s[12:13]
	s_andn2_b64 s[0:1], s[40:41], exec
	s_and_b64 s[40:41], vcc, exec
	s_or_b64 s[40:41], s[0:1], s[40:41]
	s_andn2_b64 exec, exec, s[12:13]
	s_cbranch_execnz .LBB619_111
; %bb.112:
	s_or_b64 exec, exec, s[12:13]
	s_xor_b64 s[0:1], s[40:41], -1
.LBB619_113:
	s_and_b64 s[12:13], s[0:1], exec
.LBB619_114:
	s_or_b64 exec, exec, s[14:15]
	v_add_u32_e32 v14, 3, v1
	v_cmp_gt_u32_e32 vcc, s48, v14
	s_and_saveexec_b64 s[14:15], vcc
	s_cbranch_execz .LBB619_120
; %bb.115:
	s_andn2_b64 vcc, exec, s[6:7]
	s_mov_b64 s[0:1], 0
	s_cbranch_vccnz .LBB619_119
; %bb.116:
	v_mul_lo_u32 v16, v3, s26
	v_mul_lo_u32 v17, v2, s27
	v_mad_u64_u32 v[14:15], s[0:1], v2, s26, 0
	v_add3_u32 v15, v15, v17, v16
	v_mul_lo_u32 v18, v5, s26
	v_mul_lo_u32 v19, v4, s27
	v_mad_u64_u32 v[16:17], s[0:1], v4, s26, 0
	v_add3_u32 v17, v17, v19, v18
	s_add_u32 s42, s26, -1
	v_lshl_add_u64 v[14:15], v[14:15], 3, s[36:37]
	v_lshl_add_u64 v[16:17], v[16:17], 3, s[36:37]
	s_addc_u32 s43, s27, -1
	s_mov_b64 s[4:5], 0
                                        ; implicit-def: $sgpr40_sgpr41
.LBB619_117:                            ; =>This Inner Loop Header: Depth=1
	global_load_dwordx2 v[18:19], v[14:15], off
	global_load_dwordx2 v[20:21], v[16:17], off
	s_add_u32 s0, s42, -1
	s_addc_u32 s1, s43, -1
	s_cmp_eq_u64 s[42:43], 0
	s_mov_b64 s[42:43], s[0:1]
	s_cselect_b64 s[44:45], -1, 0
	v_lshl_add_u64 v[14:15], v[14:15], 0, 8
	v_lshl_add_u64 v[16:17], v[16:17], 0, 8
	s_waitcnt vmcnt(0)
	v_cmp_ne_u64_e64 s[0:1], v[18:19], v[20:21]
	s_or_b64 s[0:1], s[0:1], s[44:45]
	s_and_b64 s[0:1], exec, s[0:1]
	v_cmp_eq_u64_e32 vcc, v[18:19], v[20:21]
	s_or_b64 s[4:5], s[0:1], s[4:5]
	s_andn2_b64 s[0:1], s[40:41], exec
	s_and_b64 s[40:41], vcc, exec
	s_or_b64 s[40:41], s[0:1], s[40:41]
	s_andn2_b64 exec, exec, s[4:5]
	s_cbranch_execnz .LBB619_117
; %bb.118:
	s_or_b64 exec, exec, s[4:5]
	s_xor_b64 s[0:1], s[40:41], -1
.LBB619_119:
	s_and_b64 s[4:5], s[0:1], exec
.LBB619_120:
	s_or_b64 exec, exec, s[14:15]
	v_add_u32_e32 v14, 2, v1
	v_cmp_gt_u32_e32 vcc, s48, v14
	s_mov_b64 s[14:15], 0
	s_mov_b64 s[40:41], 0
	s_and_saveexec_b64 s[42:43], vcc
	s_cbranch_execz .LBB619_126
; %bb.121:
	s_andn2_b64 vcc, exec, s[6:7]
	s_mov_b64 s[0:1], 0
	s_cbranch_vccnz .LBB619_125
; %bb.122:
	v_mul_lo_u32 v16, v9, s26
	v_mul_lo_u32 v17, v8, s27
	v_mad_u64_u32 v[14:15], s[0:1], v8, s26, 0
	v_add3_u32 v15, v15, v17, v16
	v_mul_lo_u32 v18, v3, s26
	v_mul_lo_u32 v19, v2, s27
	v_mad_u64_u32 v[16:17], s[0:1], v2, s26, 0
	v_add3_u32 v17, v17, v19, v18
	s_add_u32 s46, s26, -1
	v_lshl_add_u64 v[14:15], v[14:15], 3, s[36:37]
	v_lshl_add_u64 v[16:17], v[16:17], 3, s[36:37]
	s_addc_u32 s47, s27, -1
                                        ; implicit-def: $sgpr44_sgpr45
.LBB619_123:                            ; =>This Inner Loop Header: Depth=1
	global_load_dwordx2 v[18:19], v[14:15], off
	global_load_dwordx2 v[20:21], v[16:17], off
	s_add_u32 s0, s46, -1
	s_addc_u32 s1, s47, -1
	s_cmp_eq_u64 s[46:47], 0
	s_mov_b64 s[46:47], s[0:1]
	s_cselect_b64 s[50:51], -1, 0
	v_lshl_add_u64 v[14:15], v[14:15], 0, 8
	v_lshl_add_u64 v[16:17], v[16:17], 0, 8
	s_waitcnt vmcnt(0)
	v_cmp_ne_u64_e64 s[0:1], v[18:19], v[20:21]
	s_or_b64 s[0:1], s[0:1], s[50:51]
	s_and_b64 s[0:1], exec, s[0:1]
	v_cmp_eq_u64_e32 vcc, v[18:19], v[20:21]
	s_or_b64 s[40:41], s[0:1], s[40:41]
	s_andn2_b64 s[0:1], s[44:45], exec
	s_and_b64 s[44:45], vcc, exec
	s_or_b64 s[44:45], s[0:1], s[44:45]
	s_andn2_b64 exec, exec, s[40:41]
	s_cbranch_execnz .LBB619_123
; %bb.124:
	s_or_b64 exec, exec, s[40:41]
	s_xor_b64 s[0:1], s[44:45], -1
.LBB619_125:
	s_and_b64 s[40:41], s[0:1], exec
.LBB619_126:
	s_or_b64 exec, exec, s[42:43]
	v_add_u32_e32 v14, 1, v1
	v_cmp_gt_u32_e32 vcc, s48, v14
	s_and_saveexec_b64 s[42:43], vcc
	s_cbranch_execz .LBB619_132
; %bb.127:
	s_andn2_b64 vcc, exec, s[6:7]
	s_mov_b64 s[0:1], 0
	s_cbranch_vccnz .LBB619_131
; %bb.128:
	v_mul_lo_u32 v16, v7, s26
	v_mul_lo_u32 v17, v6, s27
	v_mad_u64_u32 v[14:15], s[0:1], v6, s26, 0
	v_add3_u32 v15, v15, v17, v16
	v_mul_lo_u32 v18, v9, s26
	v_mul_lo_u32 v19, v8, s27
	v_mad_u64_u32 v[16:17], s[0:1], v8, s26, 0
	v_add3_u32 v17, v17, v19, v18
	s_add_u32 s46, s26, -1
	v_lshl_add_u64 v[14:15], v[14:15], 3, s[36:37]
	v_lshl_add_u64 v[16:17], v[16:17], 3, s[36:37]
	s_addc_u32 s47, s27, -1
	s_mov_b64 s[14:15], 0
                                        ; implicit-def: $sgpr44_sgpr45
.LBB619_129:                            ; =>This Inner Loop Header: Depth=1
	global_load_dwordx2 v[18:19], v[14:15], off
	global_load_dwordx2 v[20:21], v[16:17], off
	s_add_u32 s0, s46, -1
	s_addc_u32 s1, s47, -1
	s_cmp_eq_u64 s[46:47], 0
	s_mov_b64 s[46:47], s[0:1]
	s_cselect_b64 s[50:51], -1, 0
	v_lshl_add_u64 v[14:15], v[14:15], 0, 8
	v_lshl_add_u64 v[16:17], v[16:17], 0, 8
	s_waitcnt vmcnt(0)
	v_cmp_ne_u64_e64 s[0:1], v[18:19], v[20:21]
	s_or_b64 s[0:1], s[0:1], s[50:51]
	s_and_b64 s[0:1], exec, s[0:1]
	v_cmp_eq_u64_e32 vcc, v[18:19], v[20:21]
	s_or_b64 s[14:15], s[0:1], s[14:15]
	s_andn2_b64 s[0:1], s[44:45], exec
	s_and_b64 s[44:45], vcc, exec
	s_or_b64 s[44:45], s[0:1], s[44:45]
	s_andn2_b64 exec, exec, s[14:15]
	s_cbranch_execnz .LBB619_129
; %bb.130:
	s_or_b64 exec, exec, s[14:15]
	s_xor_b64 s[0:1], s[44:45], -1
.LBB619_131:
	s_and_b64 s[14:15], s[0:1], exec
.LBB619_132:
	s_or_b64 exec, exec, s[42:43]
	v_cndmask_b32_e64 v33, 0, 1, s[12:13]
	v_cndmask_b32_e64 v34, 0, 1, s[40:41]
	;; [unrolled: 1-line block ×4, first 2 shown]
	v_mov_b32_e32 v16, 1
	s_waitcnt lgkmcnt(0)
	s_barrier
                                        ; implicit-def: $sgpr0_sgpr1
                                        ; implicit-def: $vgpr17
	s_and_saveexec_b64 s[4:5], s[2:3]
	s_cbranch_execz .LBB619_140
; %bb.133:
	v_lshlrev_b16_e32 v15, 8, v35
	v_lshlrev_b16_e32 v17, 8, v14
	v_or_b32_e32 v15, 1, v15
	v_or_b32_sdwa v17, v34, v17 dst_sel:WORD_1 dst_unused:UNUSED_PAD src0_sel:DWORD src1_sel:DWORD
	v_cmp_gt_u32_e32 vcc, s48, v1
	v_or_b32_sdwa v15, v15, v17 dst_sel:DWORD dst_unused:UNUSED_PAD src0_sel:WORD_0 src1_sel:DWORD
	s_mov_b32 s40, 0x3020104
	s_mov_b64 s[0:1], 0
	s_and_saveexec_b64 s[2:3], vcc
	s_cbranch_execz .LBB619_139
; %bb.134:
	s_andn2_b64 vcc, exec, s[6:7]
	s_cbranch_vccnz .LBB619_138
; %bb.135:
	v_add_u32_e32 v17, -8, v22
	ds_read_b64 v[18:19], v17
	v_mul_lo_u32 v17, v7, s26
	v_mul_lo_u32 v22, v6, s27
	s_add_u32 s14, s26, -1
	s_addc_u32 s15, s27, -1
	s_waitcnt lgkmcnt(0)
	v_mul_lo_u32 v20, v19, s26
	v_mul_lo_u32 v21, v18, s27
	v_mad_u64_u32 v[18:19], s[0:1], v18, s26, 0
	v_add3_u32 v19, v19, v21, v20
	v_mad_u64_u32 v[20:21], s[0:1], v6, s26, 0
	v_add3_u32 v21, v21, v22, v17
	v_lshl_add_u64 v[18:19], v[18:19], 3, s[36:37]
	v_lshl_add_u64 v[20:21], v[20:21], 3, s[36:37]
	s_mov_b64 s[6:7], 0
                                        ; implicit-def: $sgpr12_sgpr13
.LBB619_136:                            ; =>This Inner Loop Header: Depth=1
	global_load_dwordx2 v[22:23], v[18:19], off
	global_load_dwordx2 v[24:25], v[20:21], off
	s_add_u32 s0, s14, -1
	s_addc_u32 s1, s15, -1
	s_cmp_eq_u64 s[14:15], 0
	s_mov_b64 s[14:15], s[0:1]
	s_cselect_b64 s[26:27], -1, 0
	v_lshl_add_u64 v[18:19], v[18:19], 0, 8
	v_lshl_add_u64 v[20:21], v[20:21], 0, 8
	s_waitcnt vmcnt(0)
	v_cmp_ne_u64_e64 s[0:1], v[22:23], v[24:25]
	s_or_b64 s[0:1], s[0:1], s[26:27]
	s_and_b64 s[0:1], exec, s[0:1]
	v_cmp_eq_u64_e32 vcc, v[22:23], v[24:25]
	s_or_b64 s[6:7], s[0:1], s[6:7]
	s_andn2_b64 s[0:1], s[12:13], exec
	s_and_b64 s[12:13], vcc, exec
	s_or_b64 s[12:13], s[0:1], s[12:13]
	s_andn2_b64 exec, exec, s[6:7]
	s_cbranch_execnz .LBB619_136
; %bb.137:
	s_or_b64 exec, exec, s[6:7]
	s_xor_b64 s[0:1], s[12:13], -1
.LBB619_138:
	s_and_b64 s[0:1], s[0:1], exec
.LBB619_139:
	s_or_b64 exec, exec, s[2:3]
	v_perm_b32 v17, v15, v15, s40
	s_or_b64 s[10:11], s[10:11], exec
.LBB619_140:
	s_or_b64 exec, exec, s[4:5]
.LBB619_141:
	s_and_saveexec_b64 s[2:3], s[10:11]
	s_cbranch_execz .LBB619_143
; %bb.142:
	s_waitcnt vmcnt(0) lgkmcnt(0)
	v_lshrrev_b32_e32 v14, 24, v17
	v_lshrrev_b32_e32 v34, 16, v17
	;; [unrolled: 1-line block ×3, first 2 shown]
	v_cndmask_b32_e64 v16, 0, 1, s[0:1]
.LBB619_143:
	s_or_b64 exec, exec, s[2:3]
	s_andn2_b64 vcc, exec, s[8:9]
	s_cbranch_vccnz .LBB619_147
; %bb.144:
	s_mov_b32 s0, 0xc0c0004
	s_waitcnt vmcnt(0) lgkmcnt(0)
	v_perm_b32 v14, v34, v14, s0
	v_perm_b32 v15, v16, v35, s0
	v_lshlrev_b32_e32 v14, 16, v14
	v_or_b32_e32 v15, v15, v14
	v_cmp_gt_u32_e32 vcc, s48, v1
	v_add_u32_e32 v16, 1, v1
	s_mov_b32 s0, 0x40c0100
	v_cndmask_b32_e32 v14, v14, v15, vcc
	v_and_b32_e32 v14, 0xffff00ff, v14
	v_cmp_gt_u32_e32 vcc, s48, v16
	v_add_u32_e32 v16, 2, v1
	v_and_b32_e32 v33, 0xff, v33
	v_cndmask_b32_e32 v14, v14, v15, vcc
	v_lshrrev_b32_e32 v18, 24, v14
	v_perm_b32 v14, v18, v14, s0
	v_cmp_gt_u32_e32 vcc, s48, v16
	v_add_u32_e32 v16, 3, v1
	v_and_b32_e32 v17, 0xffff, v33
	v_cndmask_b32_e32 v14, v14, v15, vcc
	v_and_b32_e32 v14, 0xffffff, v14
	v_cmp_gt_u32_e32 vcc, s48, v16
	v_add_u32_e32 v1, 4, v1
	s_nop 0
	v_cndmask_b32_e32 v16, v14, v15, vcc
	v_lshrrev_b32_e32 v34, 16, v16
	v_lshrrev_b32_e32 v35, 8, v16
	v_lshrrev_b64 v[14:15], 24, v[16:17]
	v_cmp_le_u32_e32 vcc, s48, v1
	s_and_saveexec_b64 s[0:1], vcc
; %bb.145:
	v_mov_b32_e32 v33, 0
; %bb.146:
	s_or_b64 exec, exec, s[0:1]
.LBB619_147:
	v_and_b32_e32 v1, 0xff, v16
	s_waitcnt vmcnt(0) lgkmcnt(0)
	v_and_b32_e32 v15, 0xff, v35
	v_and_b32_e32 v17, 0xff, v34
	;; [unrolled: 1-line block ×4, first 2 shown]
	v_add3_u32 v19, v15, v1, v17
	v_add3_u32 v37, v19, v29, v18
	v_mbcnt_lo_u32_b32 v18, -1, 0
	v_mbcnt_hi_u32_b32 v31, -1, v18
	v_and_b32_e32 v18, 15, v31
	v_cmp_eq_u32_e64 s[14:15], 0, v18
	v_cmp_lt_u32_e64 s[12:13], 1, v18
	v_cmp_lt_u32_e64 s[10:11], 3, v18
	;; [unrolled: 1-line block ×3, first 2 shown]
	v_and_b32_e32 v18, 16, v31
	v_cmp_eq_u32_e64 s[6:7], 0, v18
	v_or_b32_e32 v18, 63, v0
	v_cmp_lt_u32_e64 s[2:3], 31, v31
	v_lshrrev_b32_e32 v36, 6, v0
	v_cmp_eq_u32_e64 s[4:5], v0, v18
	s_and_b64 vcc, exec, s[16:17]
	s_barrier
	s_cbranch_vccz .LBB619_169
; %bb.148:
	v_mov_b32_dpp v18, v37 row_shr:1 row_mask:0xf bank_mask:0xf
	v_cndmask_b32_e64 v18, v18, 0, s[14:15]
	v_add_u32_e32 v18, v18, v37
	s_nop 1
	v_mov_b32_dpp v19, v18 row_shr:2 row_mask:0xf bank_mask:0xf
	v_cndmask_b32_e64 v19, 0, v19, s[12:13]
	v_add_u32_e32 v18, v18, v19
	s_nop 1
	;; [unrolled: 4-line block ×4, first 2 shown]
	v_mov_b32_dpp v19, v18 row_bcast:15 row_mask:0xf bank_mask:0xf
	v_cndmask_b32_e64 v19, v19, 0, s[6:7]
	v_add_u32_e32 v18, v18, v19
	s_nop 1
	v_mov_b32_dpp v19, v18 row_bcast:31 row_mask:0xf bank_mask:0xf
	v_cndmask_b32_e64 v19, 0, v19, s[2:3]
	v_add_u32_e32 v18, v18, v19
	s_and_saveexec_b64 s[0:1], s[4:5]
; %bb.149:
	v_lshlrev_b32_e32 v19, 2, v36
	ds_write_b32 v19, v18
; %bb.150:
	s_or_b64 exec, exec, s[0:1]
	v_cmp_gt_u32_e32 vcc, 2, v0
	s_waitcnt lgkmcnt(0)
	s_barrier
	s_and_saveexec_b64 s[0:1], vcc
	s_cbranch_execz .LBB619_152
; %bb.151:
	v_lshlrev_b32_e32 v19, 2, v0
	ds_read_b32 v20, v19
	v_bfe_i32 v21, v31, 0, 1
	s_waitcnt lgkmcnt(0)
	v_mov_b32_dpp v22, v20 row_shr:1 row_mask:0xf bank_mask:0xf
	v_and_b32_e32 v21, v21, v22
	v_add_u32_e32 v20, v21, v20
	ds_write_b32 v19, v20
.LBB619_152:
	s_or_b64 exec, exec, s[0:1]
	v_cmp_gt_u32_e32 vcc, 64, v0
	v_cmp_lt_u32_e64 s[0:1], 63, v0
	s_waitcnt lgkmcnt(0)
	s_barrier
                                        ; implicit-def: $vgpr28
	s_and_saveexec_b64 s[16:17], s[0:1]
	s_cbranch_execz .LBB619_154
; %bb.153:
	v_lshl_add_u32 v19, v36, 2, -4
	ds_read_b32 v28, v19
	s_waitcnt lgkmcnt(0)
	v_add_u32_e32 v18, v28, v18
.LBB619_154:
	s_or_b64 exec, exec, s[16:17]
	v_subrev_co_u32_e64 v19, s[16:17], 1, v31
	v_and_b32_e32 v20, 64, v31
	v_cmp_lt_i32_e64 s[0:1], v19, v20
	s_nop 1
	v_cndmask_b32_e64 v19, v19, v31, s[0:1]
	v_lshlrev_b32_e32 v19, 2, v19
	ds_bpermute_b32 v30, v19, v18
	s_and_saveexec_b64 s[0:1], vcc
	s_cbranch_execz .LBB619_174
; %bb.155:
	v_mov_b32_e32 v25, 0
	ds_read_b32 v18, v25 offset:4
	s_and_saveexec_b64 s[26:27], s[16:17]
	s_cbranch_execz .LBB619_157
; %bb.156:
	s_add_i32 s36, s33, 64
	s_mov_b32 s37, 0
	s_lshl_b64 s[36:37], s[36:37], 3
	s_add_u32 s36, s38, s36
	v_mov_b32_e32 v19, 1
	s_addc_u32 s37, s39, s37
	s_waitcnt lgkmcnt(0)
	global_store_dwordx2 v25, v[18:19], s[36:37] sc1
.LBB619_157:
	s_or_b64 exec, exec, s[26:27]
	v_xad_u32 v20, v31, -1, s33
	v_add_u32_e32 v24, 64, v20
	v_lshl_add_u64 v[26:27], v[24:25], 3, s[38:39]
	global_load_dwordx2 v[22:23], v[26:27], off sc1
	s_waitcnt vmcnt(0)
	v_cmp_eq_u16_sdwa s[36:37], v23, v25 src0_sel:BYTE_0 src1_sel:DWORD
	s_and_saveexec_b64 s[26:27], s[36:37]
	s_cbranch_execz .LBB619_161
; %bb.158:
	s_mov_b64 s[36:37], 0
	v_mov_b32_e32 v19, 0
.LBB619_159:                            ; =>This Inner Loop Header: Depth=1
	global_load_dwordx2 v[22:23], v[26:27], off sc1
	s_waitcnt vmcnt(0)
	v_cmp_ne_u16_sdwa s[40:41], v23, v19 src0_sel:BYTE_0 src1_sel:DWORD
	s_or_b64 s[36:37], s[40:41], s[36:37]
	s_andn2_b64 exec, exec, s[36:37]
	s_cbranch_execnz .LBB619_159
; %bb.160:
	s_or_b64 exec, exec, s[36:37]
.LBB619_161:
	s_or_b64 exec, exec, s[26:27]
	v_and_b32_e32 v39, 63, v31
	v_mov_b32_e32 v38, 2
	v_cmp_ne_u32_e32 vcc, 63, v39
	v_cmp_eq_u16_sdwa s[26:27], v23, v38 src0_sel:BYTE_0 src1_sel:DWORD
	v_lshlrev_b64 v[24:25], v31, -1
	v_addc_co_u32_e32 v26, vcc, 0, v31, vcc
	v_and_b32_e32 v19, s27, v25
	v_lshlrev_b32_e32 v40, 2, v26
	v_or_b32_e32 v19, 0x80000000, v19
	ds_bpermute_b32 v26, v40, v22
	v_and_b32_e32 v21, s26, v24
	v_ffbl_b32_e32 v19, v19
	v_add_u32_e32 v19, 32, v19
	v_ffbl_b32_e32 v21, v21
	v_min_u32_e32 v19, v21, v19
	v_cmp_lt_u32_e32 vcc, v39, v19
	v_add_u32_e32 v42, 2, v39
	v_add_u32_e32 v44, 4, v39
	s_waitcnt lgkmcnt(0)
	v_cndmask_b32_e32 v21, 0, v26, vcc
	v_cmp_gt_u32_e32 vcc, 62, v39
	v_add_u32_e32 v21, v21, v22
	v_add_u32_e32 v46, 8, v39
	v_cndmask_b32_e64 v22, 0, 2, vcc
	v_add_lshl_u32 v41, v22, v31, 2
	ds_bpermute_b32 v22, v41, v21
	v_cmp_le_u32_e32 vcc, v42, v19
	v_add_u32_e32 v48, 16, v39
	v_add_u32_e32 v50, 32, v39
	s_waitcnt lgkmcnt(0)
	v_cndmask_b32_e32 v22, 0, v22, vcc
	v_cmp_gt_u32_e32 vcc, 60, v39
	v_add_u32_e32 v21, v21, v22
	s_nop 0
	v_cndmask_b32_e64 v22, 0, 4, vcc
	v_add_lshl_u32 v43, v22, v31, 2
	ds_bpermute_b32 v22, v43, v21
	v_cmp_le_u32_e32 vcc, v44, v19
	s_waitcnt lgkmcnt(0)
	s_nop 0
	v_cndmask_b32_e32 v22, 0, v22, vcc
	v_cmp_gt_u32_e32 vcc, 56, v39
	v_add_u32_e32 v21, v21, v22
	s_nop 0
	v_cndmask_b32_e64 v22, 0, 8, vcc
	v_add_lshl_u32 v45, v22, v31, 2
	ds_bpermute_b32 v22, v45, v21
	v_cmp_le_u32_e32 vcc, v46, v19
	s_waitcnt lgkmcnt(0)
	s_nop 0
	;; [unrolled: 10-line block ×3, first 2 shown]
	v_cndmask_b32_e32 v22, 0, v22, vcc
	v_add_u32_e32 v21, v21, v22
	v_mov_b32_e32 v22, 0x80
	v_lshl_or_b32 v49, v31, 2, v22
	ds_bpermute_b32 v22, v49, v21
	v_cmp_le_u32_e32 vcc, v50, v19
	s_waitcnt lgkmcnt(0)
	s_nop 0
	v_cndmask_b32_e32 v19, 0, v22, vcc
	v_add_u32_e32 v22, v21, v19
	v_mov_b32_e32 v21, 0
	s_branch .LBB619_164
.LBB619_162:                            ;   in Loop: Header=BB619_164 Depth=1
	s_or_b64 exec, exec, s[26:27]
	v_cmp_eq_u16_sdwa s[26:27], v23, v38 src0_sel:BYTE_0 src1_sel:DWORD
	ds_bpermute_b32 v51, v40, v22
	v_subrev_u32_e32 v20, 64, v20
	v_and_b32_e32 v26, s27, v25
	v_or_b32_e32 v26, 0x80000000, v26
	v_and_b32_e32 v27, s26, v24
	v_ffbl_b32_e32 v26, v26
	v_add_u32_e32 v26, 32, v26
	v_ffbl_b32_e32 v27, v27
	v_min_u32_e32 v26, v27, v26
	v_cmp_lt_u32_e32 vcc, v39, v26
	s_mov_b64 s[26:27], 0
	s_waitcnt lgkmcnt(0)
	v_cndmask_b32_e32 v27, 0, v51, vcc
	v_add_u32_e32 v22, v27, v22
	ds_bpermute_b32 v27, v41, v22
	v_cmp_le_u32_e32 vcc, v42, v26
	s_waitcnt lgkmcnt(0)
	s_nop 0
	v_cndmask_b32_e32 v27, 0, v27, vcc
	v_add_u32_e32 v22, v22, v27
	ds_bpermute_b32 v27, v43, v22
	v_cmp_le_u32_e32 vcc, v44, v26
	s_waitcnt lgkmcnt(0)
	s_nop 0
	;; [unrolled: 6-line block ×5, first 2 shown]
	v_cndmask_b32_e32 v26, 0, v27, vcc
	v_add3_u32 v22, v26, v19, v22
.LBB619_163:                            ;   in Loop: Header=BB619_164 Depth=1
	s_and_b64 vcc, exec, s[26:27]
	s_cbranch_vccnz .LBB619_170
.LBB619_164:                            ; =>This Loop Header: Depth=1
                                        ;     Child Loop BB619_167 Depth 2
	v_cmp_ne_u16_sdwa s[26:27], v23, v38 src0_sel:BYTE_0 src1_sel:DWORD
	v_mov_b32_e32 v19, v22
	s_cmp_lg_u64 s[26:27], exec
	s_mov_b64 s[26:27], -1
                                        ; implicit-def: $vgpr22
                                        ; implicit-def: $vgpr23
	s_cbranch_scc1 .LBB619_163
; %bb.165:                              ;   in Loop: Header=BB619_164 Depth=1
	v_lshl_add_u64 v[26:27], v[20:21], 3, s[38:39]
	global_load_dwordx2 v[22:23], v[26:27], off sc1
	s_waitcnt vmcnt(0)
	v_cmp_eq_u16_sdwa s[36:37], v23, v21 src0_sel:BYTE_0 src1_sel:DWORD
	s_and_saveexec_b64 s[26:27], s[36:37]
	s_cbranch_execz .LBB619_162
; %bb.166:                              ;   in Loop: Header=BB619_164 Depth=1
	s_mov_b64 s[36:37], 0
.LBB619_167:                            ;   Parent Loop BB619_164 Depth=1
                                        ; =>  This Inner Loop Header: Depth=2
	global_load_dwordx2 v[22:23], v[26:27], off sc1
	s_waitcnt vmcnt(0)
	v_cmp_ne_u16_sdwa s[40:41], v23, v21 src0_sel:BYTE_0 src1_sel:DWORD
	s_or_b64 s[36:37], s[40:41], s[36:37]
	s_andn2_b64 exec, exec, s[36:37]
	s_cbranch_execnz .LBB619_167
; %bb.168:                              ;   in Loop: Header=BB619_164 Depth=1
	s_or_b64 exec, exec, s[36:37]
	s_branch .LBB619_162
.LBB619_169:
                                        ; implicit-def: $vgpr22
                                        ; implicit-def: $vgpr24
                                        ; implicit-def: $vgpr26
                                        ; implicit-def: $vgpr28
                                        ; implicit-def: $vgpr30
                                        ; implicit-def: $vgpr20
                                        ; implicit-def: $vgpr18
	s_cbranch_execnz .LBB619_175
	s_branch .LBB619_184
.LBB619_170:
	s_and_saveexec_b64 s[26:27], s[16:17]
	s_cbranch_execz .LBB619_172
; %bb.171:
	s_add_i32 s36, s33, 64
	s_mov_b32 s37, 0
	s_lshl_b64 s[36:37], s[36:37], 3
	s_add_u32 s36, s38, s36
	v_add_u32_e32 v20, v19, v18
	v_mov_b32_e32 v21, 2
	s_addc_u32 s37, s39, s37
	v_mov_b32_e32 v22, 0
	global_store_dwordx2 v22, v[20:21], s[36:37] sc1
	ds_write_b64 v22, v[18:19] offset:5120
.LBB619_172:
	s_or_b64 exec, exec, s[26:27]
	s_and_b64 exec, exec, s[18:19]
; %bb.173:
	v_mov_b32_e32 v18, 0
	ds_write_b32 v18, v19 offset:4
.LBB619_174:
	s_or_b64 exec, exec, s[0:1]
	v_mov_b32_e32 v18, 0
	s_waitcnt lgkmcnt(0)
	s_barrier
	ds_read_b32 v19, v18 offset:4
	v_cndmask_b32_e64 v20, v30, v28, s[16:17]
	v_cndmask_b32_e64 v20, v20, 0, s[18:19]
	s_waitcnt lgkmcnt(0)
	s_barrier
	v_add_u32_e32 v30, v19, v20
	ds_read_b64 v[18:19], v18 offset:5120
	v_add_u32_e32 v28, v30, v1
	v_add_u32_e32 v26, v28, v15
	;; [unrolled: 1-line block ×4, first 2 shown]
	s_waitcnt lgkmcnt(0)
	v_mov_b32_e32 v20, v19
	s_branch .LBB619_184
.LBB619_175:
	v_mov_b32_dpp v18, v37 row_shr:1 row_mask:0xf bank_mask:0xf
	v_cndmask_b32_e64 v18, v18, 0, s[14:15]
	v_add_u32_e32 v18, v18, v37
	s_nop 1
	v_mov_b32_dpp v19, v18 row_shr:2 row_mask:0xf bank_mask:0xf
	v_cndmask_b32_e64 v19, 0, v19, s[12:13]
	v_add_u32_e32 v18, v18, v19
	s_nop 1
	;; [unrolled: 4-line block ×4, first 2 shown]
	v_mov_b32_dpp v19, v18 row_bcast:15 row_mask:0xf bank_mask:0xf
	v_cndmask_b32_e64 v19, v19, 0, s[6:7]
	v_add_u32_e32 v18, v18, v19
	s_nop 1
	v_mov_b32_dpp v19, v18 row_bcast:31 row_mask:0xf bank_mask:0xf
	v_cndmask_b32_e64 v19, 0, v19, s[2:3]
	v_add_u32_e32 v18, v18, v19
	s_and_saveexec_b64 s[0:1], s[4:5]
; %bb.176:
	v_lshlrev_b32_e32 v19, 2, v36
	ds_write_b32 v19, v18
; %bb.177:
	s_or_b64 exec, exec, s[0:1]
	v_cmp_gt_u32_e32 vcc, 2, v0
	s_waitcnt lgkmcnt(0)
	s_barrier
	s_and_saveexec_b64 s[0:1], vcc
	s_cbranch_execz .LBB619_179
; %bb.178:
	v_lshlrev_b32_e32 v19, 2, v0
	ds_read_b32 v20, v19
	v_bfe_i32 v21, v31, 0, 1
	s_waitcnt lgkmcnt(0)
	v_mov_b32_dpp v22, v20 row_shr:1 row_mask:0xf bank_mask:0xf
	v_and_b32_e32 v21, v21, v22
	v_add_u32_e32 v20, v21, v20
	ds_write_b32 v19, v20
.LBB619_179:
	s_or_b64 exec, exec, s[0:1]
	v_cmp_lt_u32_e32 vcc, 63, v0
	v_mov_b32_e32 v19, 0
	v_mov_b32_e32 v20, 0
	s_waitcnt lgkmcnt(0)
	s_barrier
	s_and_saveexec_b64 s[0:1], vcc
; %bb.180:
	v_lshl_add_u32 v20, v36, 2, -4
	ds_read_b32 v20, v20
; %bb.181:
	s_or_b64 exec, exec, s[0:1]
	v_subrev_co_u32_e32 v21, vcc, 1, v31
	v_and_b32_e32 v22, 64, v31
	v_cmp_lt_i32_e64 s[0:1], v21, v22
	s_waitcnt lgkmcnt(0)
	v_add_u32_e32 v18, v20, v18
	v_cndmask_b32_e64 v21, v21, v31, s[0:1]
	v_lshlrev_b32_e32 v21, 2, v21
	ds_bpermute_b32 v21, v21, v18
	ds_read_b32 v18, v19 offset:4
	s_and_saveexec_b64 s[0:1], s[18:19]
	s_cbranch_execz .LBB619_183
; %bb.182:
	v_mov_b32_e32 v22, 0
	v_mov_b32_e32 v19, 2
	s_waitcnt lgkmcnt(0)
	global_store_dwordx2 v22, v[18:19], s[38:39] offset:512 sc1
.LBB619_183:
	s_or_b64 exec, exec, s[0:1]
	s_waitcnt lgkmcnt(1)
	v_cndmask_b32_e32 v19, v21, v20, vcc
	v_cndmask_b32_e64 v30, v19, 0, s[18:19]
	v_add_u32_e32 v28, v30, v1
	v_add_u32_e32 v26, v28, v15
	v_add_u32_e32 v24, v26, v17
	v_add_u32_e32 v22, v24, v29
	s_waitcnt lgkmcnt(0)
	s_barrier
	v_mov_b32_e32 v20, 0
.LBB619_184:
	s_movk_i32 s0, 0x81
	v_cmp_gt_u32_e64 s[2:3], s0, v18
	v_add_u32_e32 v15, v20, v18
	v_and_b32_e32 v1, 1, v16
	s_mov_b64 s[6:7], -1
	s_and_b64 vcc, exec, s[2:3]
	v_cmp_lt_u32_e64 s[0:1], v30, v15
	v_cmp_eq_u32_e64 s[4:5], 1, v1
	s_cbranch_vccz .LBB619_196
; %bb.185:
	s_or_b64 s[0:1], s[34:35], s[0:1]
	s_and_b64 s[4:5], s[0:1], s[4:5]
	s_and_saveexec_b64 s[0:1], s[4:5]
	s_cbranch_execz .LBB619_187
; %bb.186:
	s_lshl_b64 s[4:5], s[22:23], 3
	s_add_u32 s4, s28, s4
	s_addc_u32 s5, s29, s5
	v_mov_b32_e32 v31, 0
	v_lshl_add_u64 v[16:17], v[30:31], 3, s[4:5]
	global_store_dwordx2 v[16:17], v[6:7], off
.LBB619_187:
	s_or_b64 exec, exec, s[0:1]
	v_cmp_lt_u32_e32 vcc, v28, v15
	v_and_b32_e32 v16, 1, v35
	s_or_b64 s[0:1], s[34:35], vcc
	v_cmp_eq_u32_e32 vcc, 1, v16
	s_and_b64 s[4:5], s[0:1], vcc
	s_and_saveexec_b64 s[0:1], s[4:5]
	s_cbranch_execz .LBB619_189
; %bb.188:
	s_lshl_b64 s[4:5], s[22:23], 3
	s_add_u32 s4, s28, s4
	s_addc_u32 s5, s29, s5
	v_mov_b32_e32 v29, 0
	v_lshl_add_u64 v[16:17], v[28:29], 3, s[4:5]
	global_store_dwordx2 v[16:17], v[8:9], off
.LBB619_189:
	s_or_b64 exec, exec, s[0:1]
	v_cmp_lt_u32_e32 vcc, v26, v15
	v_and_b32_e32 v16, 1, v34
	s_or_b64 s[0:1], s[34:35], vcc
	v_cmp_eq_u32_e32 vcc, 1, v16
	s_and_b64 s[4:5], s[0:1], vcc
	;; [unrolled: 16-line block ×4, first 2 shown]
	s_and_saveexec_b64 s[0:1], s[4:5]
	s_cbranch_execz .LBB619_195
; %bb.194:
	s_lshl_b64 s[4:5], s[22:23], 3
	s_add_u32 s4, s28, s4
	s_addc_u32 s5, s29, s5
	v_mov_b32_e32 v23, 0
	v_lshl_add_u64 v[16:17], v[22:23], 3, s[4:5]
	global_store_dwordx2 v[16:17], v[12:13], off
.LBB619_195:
	s_or_b64 exec, exec, s[0:1]
	s_mov_b64 s[6:7], 0
.LBB619_196:
	s_and_b64 vcc, exec, s[6:7]
	s_cbranch_vccz .LBB619_210
; %bb.197:
	v_cmp_eq_u32_e32 vcc, 1, v1
	s_and_saveexec_b64 s[0:1], vcc
; %bb.198:
	v_sub_u32_e32 v16, v30, v20
	v_lshlrev_b32_e32 v16, 3, v16
	ds_write_b64 v16, v[6:7]
; %bb.199:
	s_or_b64 exec, exec, s[0:1]
	v_and_b32_e32 v6, 1, v35
	v_cmp_eq_u32_e32 vcc, 1, v6
	s_and_saveexec_b64 s[0:1], vcc
; %bb.200:
	v_sub_u32_e32 v6, v28, v20
	v_lshlrev_b32_e32 v6, 3, v6
	ds_write_b64 v6, v[8:9]
; %bb.201:
	s_or_b64 exec, exec, s[0:1]
	v_and_b32_e32 v6, 1, v34
	;; [unrolled: 9-line block ×4, first 2 shown]
	v_cmp_eq_u32_e32 vcc, 1, v2
	s_and_saveexec_b64 s[0:1], vcc
; %bb.206:
	v_sub_u32_e32 v2, v22, v20
	v_lshlrev_b32_e32 v2, 3, v2
	ds_write_b64 v2, v[12:13]
; %bb.207:
	s_or_b64 exec, exec, s[0:1]
	v_mov_b32_e32 v3, 0
	v_mov_b32_e32 v21, v3
	v_lshlrev_b64 v[4:5], 3, v[20:21]
	v_lshl_add_u64 v[4:5], s[28:29], 0, v[4:5]
	s_lshl_b64 s[0:1], s[22:23], 3
	v_lshl_add_u64 v[4:5], v[4:5], 0, s[0:1]
	v_lshlrev_b32_e32 v6, 3, v0
	s_mov_b64 s[0:1], 0
	v_mov_b32_e32 v2, v0
	s_waitcnt lgkmcnt(0)
	s_barrier
.LBB619_208:                            ; =>This Inner Loop Header: Depth=1
	ds_read_b64 v[8:9], v6
	v_lshl_add_u64 v[12:13], v[2:3], 3, v[4:5]
	v_add_u32_e32 v2, 0x80, v2
	v_cmp_ge_u32_e32 vcc, v2, v18
	v_add_u32_e32 v6, 0x400, v6
	s_or_b64 s[0:1], vcc, s[0:1]
	s_waitcnt lgkmcnt(0)
	global_store_dwordx2 v[12:13], v[8:9], off
	s_andn2_b64 exec, exec, s[0:1]
	s_cbranch_execnz .LBB619_208
; %bb.209:
	s_or_b64 exec, exec, s[0:1]
.LBB619_210:
	s_mov_b64 s[0:1], -1
	s_and_b64 vcc, exec, s[2:3]
	s_barrier
	s_cbranch_vccnz .LBB619_214
; %bb.211:
	s_and_b64 vcc, exec, s[0:1]
	s_cbranch_vccnz .LBB619_225
.LBB619_212:
	s_and_b64 s[0:1], s[18:19], s[24:25]
	s_and_saveexec_b64 s[2:3], s[0:1]
	s_cbranch_execnz .LBB619_238
.LBB619_213:
	s_endpgm
.LBB619_214:
	v_cmp_lt_u32_e32 vcc, v30, v15
	s_or_b64 s[0:1], s[34:35], vcc
	v_cmp_eq_u32_e32 vcc, 1, v1
	s_and_b64 s[2:3], s[0:1], vcc
	s_and_saveexec_b64 s[0:1], s[2:3]
	s_cbranch_execz .LBB619_216
; %bb.215:
	s_lshl_b64 s[2:3], s[22:23], 3
	s_add_u32 s2, s30, s2
	s_addc_u32 s3, s31, s3
	v_mov_b32_e32 v31, 0
	v_lshl_add_u64 v[2:3], v[30:31], 3, s[2:3]
	global_store_dwordx2 v[2:3], v[56:57], off
.LBB619_216:
	s_or_b64 exec, exec, s[0:1]
	v_cmp_lt_u32_e32 vcc, v28, v15
	v_and_b32_e32 v2, 1, v35
	s_or_b64 s[0:1], s[34:35], vcc
	v_cmp_eq_u32_e32 vcc, 1, v2
	s_and_b64 s[2:3], s[0:1], vcc
	s_and_saveexec_b64 s[0:1], s[2:3]
	s_cbranch_execz .LBB619_218
; %bb.217:
	s_lshl_b64 s[2:3], s[22:23], 3
	s_add_u32 s2, s30, s2
	s_addc_u32 s3, s31, s3
	v_mov_b32_e32 v29, 0
	v_lshl_add_u64 v[2:3], v[28:29], 3, s[2:3]
	global_store_dwordx2 v[2:3], v[58:59], off
.LBB619_218:
	s_or_b64 exec, exec, s[0:1]
	v_cmp_lt_u32_e32 vcc, v26, v15
	v_and_b32_e32 v2, 1, v34
	;; [unrolled: 16-line block ×4, first 2 shown]
	s_or_b64 s[0:1], s[34:35], vcc
	v_cmp_eq_u32_e32 vcc, 1, v2
	s_and_b64 s[2:3], s[0:1], vcc
	s_and_saveexec_b64 s[0:1], s[2:3]
	s_cbranch_execz .LBB619_224
; %bb.223:
	s_lshl_b64 s[2:3], s[22:23], 3
	s_add_u32 s2, s30, s2
	s_addc_u32 s3, s31, s3
	v_mov_b32_e32 v23, 0
	v_lshl_add_u64 v[2:3], v[22:23], 3, s[2:3]
	global_store_dwordx2 v[2:3], v[10:11], off
.LBB619_224:
	s_or_b64 exec, exec, s[0:1]
	s_branch .LBB619_212
.LBB619_225:
	v_cmp_eq_u32_e32 vcc, 1, v1
	s_and_saveexec_b64 s[0:1], vcc
; %bb.226:
	v_sub_u32_e32 v1, v30, v20
	v_lshlrev_b32_e32 v1, 3, v1
	ds_write_b64 v1, v[56:57]
; %bb.227:
	s_or_b64 exec, exec, s[0:1]
	v_and_b32_e32 v1, 1, v35
	v_cmp_eq_u32_e32 vcc, 1, v1
	s_and_saveexec_b64 s[0:1], vcc
; %bb.228:
	v_sub_u32_e32 v1, v28, v20
	v_lshlrev_b32_e32 v1, 3, v1
	ds_write_b64 v1, v[58:59]
; %bb.229:
	s_or_b64 exec, exec, s[0:1]
	v_and_b32_e32 v1, 1, v34
	;; [unrolled: 9-line block ×4, first 2 shown]
	v_cmp_eq_u32_e32 vcc, 1, v1
	s_and_saveexec_b64 s[0:1], vcc
; %bb.234:
	v_sub_u32_e32 v1, v22, v20
	v_lshlrev_b32_e32 v1, 3, v1
	ds_write_b64 v1, v[10:11]
; %bb.235:
	s_or_b64 exec, exec, s[0:1]
	v_mov_b32_e32 v1, 0
	v_mov_b32_e32 v21, v1
	v_lshlrev_b64 v[2:3], 3, v[20:21]
	v_lshl_add_u64 v[2:3], s[30:31], 0, v[2:3]
	s_lshl_b64 s[0:1], s[22:23], 3
	v_lshl_add_u64 v[2:3], v[2:3], 0, s[0:1]
	s_mov_b64 s[0:1], 0
	s_waitcnt lgkmcnt(0)
	s_barrier
.LBB619_236:                            ; =>This Inner Loop Header: Depth=1
	ds_read_b64 v[4:5], v32
	v_lshl_add_u64 v[6:7], v[0:1], 3, v[2:3]
	v_add_u32_e32 v0, 0x80, v0
	v_cmp_ge_u32_e32 vcc, v0, v18
	v_add_u32_e32 v32, 0x400, v32
	s_or_b64 s[0:1], vcc, s[0:1]
	s_waitcnt lgkmcnt(0)
	global_store_dwordx2 v[6:7], v[4:5], off
	s_andn2_b64 exec, exec, s[0:1]
	s_cbranch_execnz .LBB619_236
; %bb.237:
	s_or_b64 exec, exec, s[0:1]
	s_and_b64 s[0:1], s[18:19], s[24:25]
	s_and_saveexec_b64 s[2:3], s[0:1]
	s_cbranch_execz .LBB619_213
.LBB619_238:
	v_mov_b32_e32 v19, 0
	v_lshl_add_u64 v[0:1], s[22:23], 0, v[18:19]
	v_mov_b32_e32 v21, v19
	v_lshl_add_u64 v[0:1], v[0:1], 0, v[20:21]
	global_store_dwordx2 v19, v[0:1], s[20:21]
	s_endpgm
	.section	.rodata,"a",@progbits
	.p2align	6, 0x0
	.amdhsa_kernel _ZN7rocprim17ROCPRIM_400000_NS6detail17trampoline_kernelINS0_14default_configENS1_25partition_config_selectorILNS1_17partition_subalgoE9EllbEEZZNS1_14partition_implILS5_9ELb0ES3_jPlS8_PNS0_10empty_typeENS0_5tupleIJS8_S9_EEENSB_IJS8_SA_EEENS0_18inequality_wrapperIZN2at6native12_GLOBAL__N_124unique_dim_cuda_templateIlEESt5tupleIJNSF_6TensorESK_SK_EERKSK_lbbbEUlllE0_EEPmJS9_EEE10hipError_tPvRmT3_T4_T5_T6_T7_T9_mT8_P12ihipStream_tbDpT10_ENKUlT_T0_E_clISt17integral_constantIbLb0EES19_IbLb1EEEEDaS15_S16_EUlS15_E_NS1_11comp_targetILNS1_3genE0ELNS1_11target_archE4294967295ELNS1_3gpuE0ELNS1_3repE0EEENS1_30default_config_static_selectorELNS0_4arch9wavefront6targetE1EEEvT1_
		.amdhsa_group_segment_fixed_size 5128
		.amdhsa_private_segment_fixed_size 0
		.amdhsa_kernarg_size 136
		.amdhsa_user_sgpr_count 2
		.amdhsa_user_sgpr_dispatch_ptr 0
		.amdhsa_user_sgpr_queue_ptr 0
		.amdhsa_user_sgpr_kernarg_segment_ptr 1
		.amdhsa_user_sgpr_dispatch_id 0
		.amdhsa_user_sgpr_kernarg_preload_length 0
		.amdhsa_user_sgpr_kernarg_preload_offset 0
		.amdhsa_user_sgpr_private_segment_size 0
		.amdhsa_uses_dynamic_stack 0
		.amdhsa_enable_private_segment 0
		.amdhsa_system_sgpr_workgroup_id_x 1
		.amdhsa_system_sgpr_workgroup_id_y 0
		.amdhsa_system_sgpr_workgroup_id_z 0
		.amdhsa_system_sgpr_workgroup_info 0
		.amdhsa_system_vgpr_workitem_id 0
		.amdhsa_next_free_vgpr 60
		.amdhsa_next_free_sgpr 52
		.amdhsa_accum_offset 60
		.amdhsa_reserve_vcc 1
		.amdhsa_float_round_mode_32 0
		.amdhsa_float_round_mode_16_64 0
		.amdhsa_float_denorm_mode_32 3
		.amdhsa_float_denorm_mode_16_64 3
		.amdhsa_dx10_clamp 1
		.amdhsa_ieee_mode 1
		.amdhsa_fp16_overflow 0
		.amdhsa_tg_split 0
		.amdhsa_exception_fp_ieee_invalid_op 0
		.amdhsa_exception_fp_denorm_src 0
		.amdhsa_exception_fp_ieee_div_zero 0
		.amdhsa_exception_fp_ieee_overflow 0
		.amdhsa_exception_fp_ieee_underflow 0
		.amdhsa_exception_fp_ieee_inexact 0
		.amdhsa_exception_int_div_zero 0
	.end_amdhsa_kernel
	.section	.text._ZN7rocprim17ROCPRIM_400000_NS6detail17trampoline_kernelINS0_14default_configENS1_25partition_config_selectorILNS1_17partition_subalgoE9EllbEEZZNS1_14partition_implILS5_9ELb0ES3_jPlS8_PNS0_10empty_typeENS0_5tupleIJS8_S9_EEENSB_IJS8_SA_EEENS0_18inequality_wrapperIZN2at6native12_GLOBAL__N_124unique_dim_cuda_templateIlEESt5tupleIJNSF_6TensorESK_SK_EERKSK_lbbbEUlllE0_EEPmJS9_EEE10hipError_tPvRmT3_T4_T5_T6_T7_T9_mT8_P12ihipStream_tbDpT10_ENKUlT_T0_E_clISt17integral_constantIbLb0EES19_IbLb1EEEEDaS15_S16_EUlS15_E_NS1_11comp_targetILNS1_3genE0ELNS1_11target_archE4294967295ELNS1_3gpuE0ELNS1_3repE0EEENS1_30default_config_static_selectorELNS0_4arch9wavefront6targetE1EEEvT1_,"axG",@progbits,_ZN7rocprim17ROCPRIM_400000_NS6detail17trampoline_kernelINS0_14default_configENS1_25partition_config_selectorILNS1_17partition_subalgoE9EllbEEZZNS1_14partition_implILS5_9ELb0ES3_jPlS8_PNS0_10empty_typeENS0_5tupleIJS8_S9_EEENSB_IJS8_SA_EEENS0_18inequality_wrapperIZN2at6native12_GLOBAL__N_124unique_dim_cuda_templateIlEESt5tupleIJNSF_6TensorESK_SK_EERKSK_lbbbEUlllE0_EEPmJS9_EEE10hipError_tPvRmT3_T4_T5_T6_T7_T9_mT8_P12ihipStream_tbDpT10_ENKUlT_T0_E_clISt17integral_constantIbLb0EES19_IbLb1EEEEDaS15_S16_EUlS15_E_NS1_11comp_targetILNS1_3genE0ELNS1_11target_archE4294967295ELNS1_3gpuE0ELNS1_3repE0EEENS1_30default_config_static_selectorELNS0_4arch9wavefront6targetE1EEEvT1_,comdat
.Lfunc_end619:
	.size	_ZN7rocprim17ROCPRIM_400000_NS6detail17trampoline_kernelINS0_14default_configENS1_25partition_config_selectorILNS1_17partition_subalgoE9EllbEEZZNS1_14partition_implILS5_9ELb0ES3_jPlS8_PNS0_10empty_typeENS0_5tupleIJS8_S9_EEENSB_IJS8_SA_EEENS0_18inequality_wrapperIZN2at6native12_GLOBAL__N_124unique_dim_cuda_templateIlEESt5tupleIJNSF_6TensorESK_SK_EERKSK_lbbbEUlllE0_EEPmJS9_EEE10hipError_tPvRmT3_T4_T5_T6_T7_T9_mT8_P12ihipStream_tbDpT10_ENKUlT_T0_E_clISt17integral_constantIbLb0EES19_IbLb1EEEEDaS15_S16_EUlS15_E_NS1_11comp_targetILNS1_3genE0ELNS1_11target_archE4294967295ELNS1_3gpuE0ELNS1_3repE0EEENS1_30default_config_static_selectorELNS0_4arch9wavefront6targetE1EEEvT1_, .Lfunc_end619-_ZN7rocprim17ROCPRIM_400000_NS6detail17trampoline_kernelINS0_14default_configENS1_25partition_config_selectorILNS1_17partition_subalgoE9EllbEEZZNS1_14partition_implILS5_9ELb0ES3_jPlS8_PNS0_10empty_typeENS0_5tupleIJS8_S9_EEENSB_IJS8_SA_EEENS0_18inequality_wrapperIZN2at6native12_GLOBAL__N_124unique_dim_cuda_templateIlEESt5tupleIJNSF_6TensorESK_SK_EERKSK_lbbbEUlllE0_EEPmJS9_EEE10hipError_tPvRmT3_T4_T5_T6_T7_T9_mT8_P12ihipStream_tbDpT10_ENKUlT_T0_E_clISt17integral_constantIbLb0EES19_IbLb1EEEEDaS15_S16_EUlS15_E_NS1_11comp_targetILNS1_3genE0ELNS1_11target_archE4294967295ELNS1_3gpuE0ELNS1_3repE0EEENS1_30default_config_static_selectorELNS0_4arch9wavefront6targetE1EEEvT1_
                                        ; -- End function
	.set _ZN7rocprim17ROCPRIM_400000_NS6detail17trampoline_kernelINS0_14default_configENS1_25partition_config_selectorILNS1_17partition_subalgoE9EllbEEZZNS1_14partition_implILS5_9ELb0ES3_jPlS8_PNS0_10empty_typeENS0_5tupleIJS8_S9_EEENSB_IJS8_SA_EEENS0_18inequality_wrapperIZN2at6native12_GLOBAL__N_124unique_dim_cuda_templateIlEESt5tupleIJNSF_6TensorESK_SK_EERKSK_lbbbEUlllE0_EEPmJS9_EEE10hipError_tPvRmT3_T4_T5_T6_T7_T9_mT8_P12ihipStream_tbDpT10_ENKUlT_T0_E_clISt17integral_constantIbLb0EES19_IbLb1EEEEDaS15_S16_EUlS15_E_NS1_11comp_targetILNS1_3genE0ELNS1_11target_archE4294967295ELNS1_3gpuE0ELNS1_3repE0EEENS1_30default_config_static_selectorELNS0_4arch9wavefront6targetE1EEEvT1_.num_vgpr, 60
	.set _ZN7rocprim17ROCPRIM_400000_NS6detail17trampoline_kernelINS0_14default_configENS1_25partition_config_selectorILNS1_17partition_subalgoE9EllbEEZZNS1_14partition_implILS5_9ELb0ES3_jPlS8_PNS0_10empty_typeENS0_5tupleIJS8_S9_EEENSB_IJS8_SA_EEENS0_18inequality_wrapperIZN2at6native12_GLOBAL__N_124unique_dim_cuda_templateIlEESt5tupleIJNSF_6TensorESK_SK_EERKSK_lbbbEUlllE0_EEPmJS9_EEE10hipError_tPvRmT3_T4_T5_T6_T7_T9_mT8_P12ihipStream_tbDpT10_ENKUlT_T0_E_clISt17integral_constantIbLb0EES19_IbLb1EEEEDaS15_S16_EUlS15_E_NS1_11comp_targetILNS1_3genE0ELNS1_11target_archE4294967295ELNS1_3gpuE0ELNS1_3repE0EEENS1_30default_config_static_selectorELNS0_4arch9wavefront6targetE1EEEvT1_.num_agpr, 0
	.set _ZN7rocprim17ROCPRIM_400000_NS6detail17trampoline_kernelINS0_14default_configENS1_25partition_config_selectorILNS1_17partition_subalgoE9EllbEEZZNS1_14partition_implILS5_9ELb0ES3_jPlS8_PNS0_10empty_typeENS0_5tupleIJS8_S9_EEENSB_IJS8_SA_EEENS0_18inequality_wrapperIZN2at6native12_GLOBAL__N_124unique_dim_cuda_templateIlEESt5tupleIJNSF_6TensorESK_SK_EERKSK_lbbbEUlllE0_EEPmJS9_EEE10hipError_tPvRmT3_T4_T5_T6_T7_T9_mT8_P12ihipStream_tbDpT10_ENKUlT_T0_E_clISt17integral_constantIbLb0EES19_IbLb1EEEEDaS15_S16_EUlS15_E_NS1_11comp_targetILNS1_3genE0ELNS1_11target_archE4294967295ELNS1_3gpuE0ELNS1_3repE0EEENS1_30default_config_static_selectorELNS0_4arch9wavefront6targetE1EEEvT1_.numbered_sgpr, 52
	.set _ZN7rocprim17ROCPRIM_400000_NS6detail17trampoline_kernelINS0_14default_configENS1_25partition_config_selectorILNS1_17partition_subalgoE9EllbEEZZNS1_14partition_implILS5_9ELb0ES3_jPlS8_PNS0_10empty_typeENS0_5tupleIJS8_S9_EEENSB_IJS8_SA_EEENS0_18inequality_wrapperIZN2at6native12_GLOBAL__N_124unique_dim_cuda_templateIlEESt5tupleIJNSF_6TensorESK_SK_EERKSK_lbbbEUlllE0_EEPmJS9_EEE10hipError_tPvRmT3_T4_T5_T6_T7_T9_mT8_P12ihipStream_tbDpT10_ENKUlT_T0_E_clISt17integral_constantIbLb0EES19_IbLb1EEEEDaS15_S16_EUlS15_E_NS1_11comp_targetILNS1_3genE0ELNS1_11target_archE4294967295ELNS1_3gpuE0ELNS1_3repE0EEENS1_30default_config_static_selectorELNS0_4arch9wavefront6targetE1EEEvT1_.num_named_barrier, 0
	.set _ZN7rocprim17ROCPRIM_400000_NS6detail17trampoline_kernelINS0_14default_configENS1_25partition_config_selectorILNS1_17partition_subalgoE9EllbEEZZNS1_14partition_implILS5_9ELb0ES3_jPlS8_PNS0_10empty_typeENS0_5tupleIJS8_S9_EEENSB_IJS8_SA_EEENS0_18inequality_wrapperIZN2at6native12_GLOBAL__N_124unique_dim_cuda_templateIlEESt5tupleIJNSF_6TensorESK_SK_EERKSK_lbbbEUlllE0_EEPmJS9_EEE10hipError_tPvRmT3_T4_T5_T6_T7_T9_mT8_P12ihipStream_tbDpT10_ENKUlT_T0_E_clISt17integral_constantIbLb0EES19_IbLb1EEEEDaS15_S16_EUlS15_E_NS1_11comp_targetILNS1_3genE0ELNS1_11target_archE4294967295ELNS1_3gpuE0ELNS1_3repE0EEENS1_30default_config_static_selectorELNS0_4arch9wavefront6targetE1EEEvT1_.private_seg_size, 0
	.set _ZN7rocprim17ROCPRIM_400000_NS6detail17trampoline_kernelINS0_14default_configENS1_25partition_config_selectorILNS1_17partition_subalgoE9EllbEEZZNS1_14partition_implILS5_9ELb0ES3_jPlS8_PNS0_10empty_typeENS0_5tupleIJS8_S9_EEENSB_IJS8_SA_EEENS0_18inequality_wrapperIZN2at6native12_GLOBAL__N_124unique_dim_cuda_templateIlEESt5tupleIJNSF_6TensorESK_SK_EERKSK_lbbbEUlllE0_EEPmJS9_EEE10hipError_tPvRmT3_T4_T5_T6_T7_T9_mT8_P12ihipStream_tbDpT10_ENKUlT_T0_E_clISt17integral_constantIbLb0EES19_IbLb1EEEEDaS15_S16_EUlS15_E_NS1_11comp_targetILNS1_3genE0ELNS1_11target_archE4294967295ELNS1_3gpuE0ELNS1_3repE0EEENS1_30default_config_static_selectorELNS0_4arch9wavefront6targetE1EEEvT1_.uses_vcc, 1
	.set _ZN7rocprim17ROCPRIM_400000_NS6detail17trampoline_kernelINS0_14default_configENS1_25partition_config_selectorILNS1_17partition_subalgoE9EllbEEZZNS1_14partition_implILS5_9ELb0ES3_jPlS8_PNS0_10empty_typeENS0_5tupleIJS8_S9_EEENSB_IJS8_SA_EEENS0_18inequality_wrapperIZN2at6native12_GLOBAL__N_124unique_dim_cuda_templateIlEESt5tupleIJNSF_6TensorESK_SK_EERKSK_lbbbEUlllE0_EEPmJS9_EEE10hipError_tPvRmT3_T4_T5_T6_T7_T9_mT8_P12ihipStream_tbDpT10_ENKUlT_T0_E_clISt17integral_constantIbLb0EES19_IbLb1EEEEDaS15_S16_EUlS15_E_NS1_11comp_targetILNS1_3genE0ELNS1_11target_archE4294967295ELNS1_3gpuE0ELNS1_3repE0EEENS1_30default_config_static_selectorELNS0_4arch9wavefront6targetE1EEEvT1_.uses_flat_scratch, 0
	.set _ZN7rocprim17ROCPRIM_400000_NS6detail17trampoline_kernelINS0_14default_configENS1_25partition_config_selectorILNS1_17partition_subalgoE9EllbEEZZNS1_14partition_implILS5_9ELb0ES3_jPlS8_PNS0_10empty_typeENS0_5tupleIJS8_S9_EEENSB_IJS8_SA_EEENS0_18inequality_wrapperIZN2at6native12_GLOBAL__N_124unique_dim_cuda_templateIlEESt5tupleIJNSF_6TensorESK_SK_EERKSK_lbbbEUlllE0_EEPmJS9_EEE10hipError_tPvRmT3_T4_T5_T6_T7_T9_mT8_P12ihipStream_tbDpT10_ENKUlT_T0_E_clISt17integral_constantIbLb0EES19_IbLb1EEEEDaS15_S16_EUlS15_E_NS1_11comp_targetILNS1_3genE0ELNS1_11target_archE4294967295ELNS1_3gpuE0ELNS1_3repE0EEENS1_30default_config_static_selectorELNS0_4arch9wavefront6targetE1EEEvT1_.has_dyn_sized_stack, 0
	.set _ZN7rocprim17ROCPRIM_400000_NS6detail17trampoline_kernelINS0_14default_configENS1_25partition_config_selectorILNS1_17partition_subalgoE9EllbEEZZNS1_14partition_implILS5_9ELb0ES3_jPlS8_PNS0_10empty_typeENS0_5tupleIJS8_S9_EEENSB_IJS8_SA_EEENS0_18inequality_wrapperIZN2at6native12_GLOBAL__N_124unique_dim_cuda_templateIlEESt5tupleIJNSF_6TensorESK_SK_EERKSK_lbbbEUlllE0_EEPmJS9_EEE10hipError_tPvRmT3_T4_T5_T6_T7_T9_mT8_P12ihipStream_tbDpT10_ENKUlT_T0_E_clISt17integral_constantIbLb0EES19_IbLb1EEEEDaS15_S16_EUlS15_E_NS1_11comp_targetILNS1_3genE0ELNS1_11target_archE4294967295ELNS1_3gpuE0ELNS1_3repE0EEENS1_30default_config_static_selectorELNS0_4arch9wavefront6targetE1EEEvT1_.has_recursion, 0
	.set _ZN7rocprim17ROCPRIM_400000_NS6detail17trampoline_kernelINS0_14default_configENS1_25partition_config_selectorILNS1_17partition_subalgoE9EllbEEZZNS1_14partition_implILS5_9ELb0ES3_jPlS8_PNS0_10empty_typeENS0_5tupleIJS8_S9_EEENSB_IJS8_SA_EEENS0_18inequality_wrapperIZN2at6native12_GLOBAL__N_124unique_dim_cuda_templateIlEESt5tupleIJNSF_6TensorESK_SK_EERKSK_lbbbEUlllE0_EEPmJS9_EEE10hipError_tPvRmT3_T4_T5_T6_T7_T9_mT8_P12ihipStream_tbDpT10_ENKUlT_T0_E_clISt17integral_constantIbLb0EES19_IbLb1EEEEDaS15_S16_EUlS15_E_NS1_11comp_targetILNS1_3genE0ELNS1_11target_archE4294967295ELNS1_3gpuE0ELNS1_3repE0EEENS1_30default_config_static_selectorELNS0_4arch9wavefront6targetE1EEEvT1_.has_indirect_call, 0
	.section	.AMDGPU.csdata,"",@progbits
; Kernel info:
; codeLenInByte = 9596
; TotalNumSgprs: 58
; NumVgprs: 60
; NumAgprs: 0
; TotalNumVgprs: 60
; ScratchSize: 0
; MemoryBound: 0
; FloatMode: 240
; IeeeMode: 1
; LDSByteSize: 5128 bytes/workgroup (compile time only)
; SGPRBlocks: 7
; VGPRBlocks: 7
; NumSGPRsForWavesPerEU: 58
; NumVGPRsForWavesPerEU: 60
; AccumOffset: 60
; Occupancy: 8
; WaveLimiterHint : 1
; COMPUTE_PGM_RSRC2:SCRATCH_EN: 0
; COMPUTE_PGM_RSRC2:USER_SGPR: 2
; COMPUTE_PGM_RSRC2:TRAP_HANDLER: 0
; COMPUTE_PGM_RSRC2:TGID_X_EN: 1
; COMPUTE_PGM_RSRC2:TGID_Y_EN: 0
; COMPUTE_PGM_RSRC2:TGID_Z_EN: 0
; COMPUTE_PGM_RSRC2:TIDIG_COMP_CNT: 0
; COMPUTE_PGM_RSRC3_GFX90A:ACCUM_OFFSET: 14
; COMPUTE_PGM_RSRC3_GFX90A:TG_SPLIT: 0
	.section	.text._ZN7rocprim17ROCPRIM_400000_NS6detail17trampoline_kernelINS0_14default_configENS1_25partition_config_selectorILNS1_17partition_subalgoE9EllbEEZZNS1_14partition_implILS5_9ELb0ES3_jPlS8_PNS0_10empty_typeENS0_5tupleIJS8_S9_EEENSB_IJS8_SA_EEENS0_18inequality_wrapperIZN2at6native12_GLOBAL__N_124unique_dim_cuda_templateIlEESt5tupleIJNSF_6TensorESK_SK_EERKSK_lbbbEUlllE0_EEPmJS9_EEE10hipError_tPvRmT3_T4_T5_T6_T7_T9_mT8_P12ihipStream_tbDpT10_ENKUlT_T0_E_clISt17integral_constantIbLb0EES19_IbLb1EEEEDaS15_S16_EUlS15_E_NS1_11comp_targetILNS1_3genE5ELNS1_11target_archE942ELNS1_3gpuE9ELNS1_3repE0EEENS1_30default_config_static_selectorELNS0_4arch9wavefront6targetE1EEEvT1_,"axG",@progbits,_ZN7rocprim17ROCPRIM_400000_NS6detail17trampoline_kernelINS0_14default_configENS1_25partition_config_selectorILNS1_17partition_subalgoE9EllbEEZZNS1_14partition_implILS5_9ELb0ES3_jPlS8_PNS0_10empty_typeENS0_5tupleIJS8_S9_EEENSB_IJS8_SA_EEENS0_18inequality_wrapperIZN2at6native12_GLOBAL__N_124unique_dim_cuda_templateIlEESt5tupleIJNSF_6TensorESK_SK_EERKSK_lbbbEUlllE0_EEPmJS9_EEE10hipError_tPvRmT3_T4_T5_T6_T7_T9_mT8_P12ihipStream_tbDpT10_ENKUlT_T0_E_clISt17integral_constantIbLb0EES19_IbLb1EEEEDaS15_S16_EUlS15_E_NS1_11comp_targetILNS1_3genE5ELNS1_11target_archE942ELNS1_3gpuE9ELNS1_3repE0EEENS1_30default_config_static_selectorELNS0_4arch9wavefront6targetE1EEEvT1_,comdat
	.globl	_ZN7rocprim17ROCPRIM_400000_NS6detail17trampoline_kernelINS0_14default_configENS1_25partition_config_selectorILNS1_17partition_subalgoE9EllbEEZZNS1_14partition_implILS5_9ELb0ES3_jPlS8_PNS0_10empty_typeENS0_5tupleIJS8_S9_EEENSB_IJS8_SA_EEENS0_18inequality_wrapperIZN2at6native12_GLOBAL__N_124unique_dim_cuda_templateIlEESt5tupleIJNSF_6TensorESK_SK_EERKSK_lbbbEUlllE0_EEPmJS9_EEE10hipError_tPvRmT3_T4_T5_T6_T7_T9_mT8_P12ihipStream_tbDpT10_ENKUlT_T0_E_clISt17integral_constantIbLb0EES19_IbLb1EEEEDaS15_S16_EUlS15_E_NS1_11comp_targetILNS1_3genE5ELNS1_11target_archE942ELNS1_3gpuE9ELNS1_3repE0EEENS1_30default_config_static_selectorELNS0_4arch9wavefront6targetE1EEEvT1_ ; -- Begin function _ZN7rocprim17ROCPRIM_400000_NS6detail17trampoline_kernelINS0_14default_configENS1_25partition_config_selectorILNS1_17partition_subalgoE9EllbEEZZNS1_14partition_implILS5_9ELb0ES3_jPlS8_PNS0_10empty_typeENS0_5tupleIJS8_S9_EEENSB_IJS8_SA_EEENS0_18inequality_wrapperIZN2at6native12_GLOBAL__N_124unique_dim_cuda_templateIlEESt5tupleIJNSF_6TensorESK_SK_EERKSK_lbbbEUlllE0_EEPmJS9_EEE10hipError_tPvRmT3_T4_T5_T6_T7_T9_mT8_P12ihipStream_tbDpT10_ENKUlT_T0_E_clISt17integral_constantIbLb0EES19_IbLb1EEEEDaS15_S16_EUlS15_E_NS1_11comp_targetILNS1_3genE5ELNS1_11target_archE942ELNS1_3gpuE9ELNS1_3repE0EEENS1_30default_config_static_selectorELNS0_4arch9wavefront6targetE1EEEvT1_
	.p2align	8
	.type	_ZN7rocprim17ROCPRIM_400000_NS6detail17trampoline_kernelINS0_14default_configENS1_25partition_config_selectorILNS1_17partition_subalgoE9EllbEEZZNS1_14partition_implILS5_9ELb0ES3_jPlS8_PNS0_10empty_typeENS0_5tupleIJS8_S9_EEENSB_IJS8_SA_EEENS0_18inequality_wrapperIZN2at6native12_GLOBAL__N_124unique_dim_cuda_templateIlEESt5tupleIJNSF_6TensorESK_SK_EERKSK_lbbbEUlllE0_EEPmJS9_EEE10hipError_tPvRmT3_T4_T5_T6_T7_T9_mT8_P12ihipStream_tbDpT10_ENKUlT_T0_E_clISt17integral_constantIbLb0EES19_IbLb1EEEEDaS15_S16_EUlS15_E_NS1_11comp_targetILNS1_3genE5ELNS1_11target_archE942ELNS1_3gpuE9ELNS1_3repE0EEENS1_30default_config_static_selectorELNS0_4arch9wavefront6targetE1EEEvT1_,@function
_ZN7rocprim17ROCPRIM_400000_NS6detail17trampoline_kernelINS0_14default_configENS1_25partition_config_selectorILNS1_17partition_subalgoE9EllbEEZZNS1_14partition_implILS5_9ELb0ES3_jPlS8_PNS0_10empty_typeENS0_5tupleIJS8_S9_EEENSB_IJS8_SA_EEENS0_18inequality_wrapperIZN2at6native12_GLOBAL__N_124unique_dim_cuda_templateIlEESt5tupleIJNSF_6TensorESK_SK_EERKSK_lbbbEUlllE0_EEPmJS9_EEE10hipError_tPvRmT3_T4_T5_T6_T7_T9_mT8_P12ihipStream_tbDpT10_ENKUlT_T0_E_clISt17integral_constantIbLb0EES19_IbLb1EEEEDaS15_S16_EUlS15_E_NS1_11comp_targetILNS1_3genE5ELNS1_11target_archE942ELNS1_3gpuE9ELNS1_3repE0EEENS1_30default_config_static_selectorELNS0_4arch9wavefront6targetE1EEEvT1_: ; @_ZN7rocprim17ROCPRIM_400000_NS6detail17trampoline_kernelINS0_14default_configENS1_25partition_config_selectorILNS1_17partition_subalgoE9EllbEEZZNS1_14partition_implILS5_9ELb0ES3_jPlS8_PNS0_10empty_typeENS0_5tupleIJS8_S9_EEENSB_IJS8_SA_EEENS0_18inequality_wrapperIZN2at6native12_GLOBAL__N_124unique_dim_cuda_templateIlEESt5tupleIJNSF_6TensorESK_SK_EERKSK_lbbbEUlllE0_EEPmJS9_EEE10hipError_tPvRmT3_T4_T5_T6_T7_T9_mT8_P12ihipStream_tbDpT10_ENKUlT_T0_E_clISt17integral_constantIbLb0EES19_IbLb1EEEEDaS15_S16_EUlS15_E_NS1_11comp_targetILNS1_3genE5ELNS1_11target_archE942ELNS1_3gpuE9ELNS1_3repE0EEENS1_30default_config_static_selectorELNS0_4arch9wavefront6targetE1EEEvT1_
; %bb.0:
	.section	.rodata,"a",@progbits
	.p2align	6, 0x0
	.amdhsa_kernel _ZN7rocprim17ROCPRIM_400000_NS6detail17trampoline_kernelINS0_14default_configENS1_25partition_config_selectorILNS1_17partition_subalgoE9EllbEEZZNS1_14partition_implILS5_9ELb0ES3_jPlS8_PNS0_10empty_typeENS0_5tupleIJS8_S9_EEENSB_IJS8_SA_EEENS0_18inequality_wrapperIZN2at6native12_GLOBAL__N_124unique_dim_cuda_templateIlEESt5tupleIJNSF_6TensorESK_SK_EERKSK_lbbbEUlllE0_EEPmJS9_EEE10hipError_tPvRmT3_T4_T5_T6_T7_T9_mT8_P12ihipStream_tbDpT10_ENKUlT_T0_E_clISt17integral_constantIbLb0EES19_IbLb1EEEEDaS15_S16_EUlS15_E_NS1_11comp_targetILNS1_3genE5ELNS1_11target_archE942ELNS1_3gpuE9ELNS1_3repE0EEENS1_30default_config_static_selectorELNS0_4arch9wavefront6targetE1EEEvT1_
		.amdhsa_group_segment_fixed_size 0
		.amdhsa_private_segment_fixed_size 0
		.amdhsa_kernarg_size 136
		.amdhsa_user_sgpr_count 2
		.amdhsa_user_sgpr_dispatch_ptr 0
		.amdhsa_user_sgpr_queue_ptr 0
		.amdhsa_user_sgpr_kernarg_segment_ptr 1
		.amdhsa_user_sgpr_dispatch_id 0
		.amdhsa_user_sgpr_kernarg_preload_length 0
		.amdhsa_user_sgpr_kernarg_preload_offset 0
		.amdhsa_user_sgpr_private_segment_size 0
		.amdhsa_uses_dynamic_stack 0
		.amdhsa_enable_private_segment 0
		.amdhsa_system_sgpr_workgroup_id_x 1
		.amdhsa_system_sgpr_workgroup_id_y 0
		.amdhsa_system_sgpr_workgroup_id_z 0
		.amdhsa_system_sgpr_workgroup_info 0
		.amdhsa_system_vgpr_workitem_id 0
		.amdhsa_next_free_vgpr 1
		.amdhsa_next_free_sgpr 0
		.amdhsa_accum_offset 4
		.amdhsa_reserve_vcc 0
		.amdhsa_float_round_mode_32 0
		.amdhsa_float_round_mode_16_64 0
		.amdhsa_float_denorm_mode_32 3
		.amdhsa_float_denorm_mode_16_64 3
		.amdhsa_dx10_clamp 1
		.amdhsa_ieee_mode 1
		.amdhsa_fp16_overflow 0
		.amdhsa_tg_split 0
		.amdhsa_exception_fp_ieee_invalid_op 0
		.amdhsa_exception_fp_denorm_src 0
		.amdhsa_exception_fp_ieee_div_zero 0
		.amdhsa_exception_fp_ieee_overflow 0
		.amdhsa_exception_fp_ieee_underflow 0
		.amdhsa_exception_fp_ieee_inexact 0
		.amdhsa_exception_int_div_zero 0
	.end_amdhsa_kernel
	.section	.text._ZN7rocprim17ROCPRIM_400000_NS6detail17trampoline_kernelINS0_14default_configENS1_25partition_config_selectorILNS1_17partition_subalgoE9EllbEEZZNS1_14partition_implILS5_9ELb0ES3_jPlS8_PNS0_10empty_typeENS0_5tupleIJS8_S9_EEENSB_IJS8_SA_EEENS0_18inequality_wrapperIZN2at6native12_GLOBAL__N_124unique_dim_cuda_templateIlEESt5tupleIJNSF_6TensorESK_SK_EERKSK_lbbbEUlllE0_EEPmJS9_EEE10hipError_tPvRmT3_T4_T5_T6_T7_T9_mT8_P12ihipStream_tbDpT10_ENKUlT_T0_E_clISt17integral_constantIbLb0EES19_IbLb1EEEEDaS15_S16_EUlS15_E_NS1_11comp_targetILNS1_3genE5ELNS1_11target_archE942ELNS1_3gpuE9ELNS1_3repE0EEENS1_30default_config_static_selectorELNS0_4arch9wavefront6targetE1EEEvT1_,"axG",@progbits,_ZN7rocprim17ROCPRIM_400000_NS6detail17trampoline_kernelINS0_14default_configENS1_25partition_config_selectorILNS1_17partition_subalgoE9EllbEEZZNS1_14partition_implILS5_9ELb0ES3_jPlS8_PNS0_10empty_typeENS0_5tupleIJS8_S9_EEENSB_IJS8_SA_EEENS0_18inequality_wrapperIZN2at6native12_GLOBAL__N_124unique_dim_cuda_templateIlEESt5tupleIJNSF_6TensorESK_SK_EERKSK_lbbbEUlllE0_EEPmJS9_EEE10hipError_tPvRmT3_T4_T5_T6_T7_T9_mT8_P12ihipStream_tbDpT10_ENKUlT_T0_E_clISt17integral_constantIbLb0EES19_IbLb1EEEEDaS15_S16_EUlS15_E_NS1_11comp_targetILNS1_3genE5ELNS1_11target_archE942ELNS1_3gpuE9ELNS1_3repE0EEENS1_30default_config_static_selectorELNS0_4arch9wavefront6targetE1EEEvT1_,comdat
.Lfunc_end620:
	.size	_ZN7rocprim17ROCPRIM_400000_NS6detail17trampoline_kernelINS0_14default_configENS1_25partition_config_selectorILNS1_17partition_subalgoE9EllbEEZZNS1_14partition_implILS5_9ELb0ES3_jPlS8_PNS0_10empty_typeENS0_5tupleIJS8_S9_EEENSB_IJS8_SA_EEENS0_18inequality_wrapperIZN2at6native12_GLOBAL__N_124unique_dim_cuda_templateIlEESt5tupleIJNSF_6TensorESK_SK_EERKSK_lbbbEUlllE0_EEPmJS9_EEE10hipError_tPvRmT3_T4_T5_T6_T7_T9_mT8_P12ihipStream_tbDpT10_ENKUlT_T0_E_clISt17integral_constantIbLb0EES19_IbLb1EEEEDaS15_S16_EUlS15_E_NS1_11comp_targetILNS1_3genE5ELNS1_11target_archE942ELNS1_3gpuE9ELNS1_3repE0EEENS1_30default_config_static_selectorELNS0_4arch9wavefront6targetE1EEEvT1_, .Lfunc_end620-_ZN7rocprim17ROCPRIM_400000_NS6detail17trampoline_kernelINS0_14default_configENS1_25partition_config_selectorILNS1_17partition_subalgoE9EllbEEZZNS1_14partition_implILS5_9ELb0ES3_jPlS8_PNS0_10empty_typeENS0_5tupleIJS8_S9_EEENSB_IJS8_SA_EEENS0_18inequality_wrapperIZN2at6native12_GLOBAL__N_124unique_dim_cuda_templateIlEESt5tupleIJNSF_6TensorESK_SK_EERKSK_lbbbEUlllE0_EEPmJS9_EEE10hipError_tPvRmT3_T4_T5_T6_T7_T9_mT8_P12ihipStream_tbDpT10_ENKUlT_T0_E_clISt17integral_constantIbLb0EES19_IbLb1EEEEDaS15_S16_EUlS15_E_NS1_11comp_targetILNS1_3genE5ELNS1_11target_archE942ELNS1_3gpuE9ELNS1_3repE0EEENS1_30default_config_static_selectorELNS0_4arch9wavefront6targetE1EEEvT1_
                                        ; -- End function
	.set _ZN7rocprim17ROCPRIM_400000_NS6detail17trampoline_kernelINS0_14default_configENS1_25partition_config_selectorILNS1_17partition_subalgoE9EllbEEZZNS1_14partition_implILS5_9ELb0ES3_jPlS8_PNS0_10empty_typeENS0_5tupleIJS8_S9_EEENSB_IJS8_SA_EEENS0_18inequality_wrapperIZN2at6native12_GLOBAL__N_124unique_dim_cuda_templateIlEESt5tupleIJNSF_6TensorESK_SK_EERKSK_lbbbEUlllE0_EEPmJS9_EEE10hipError_tPvRmT3_T4_T5_T6_T7_T9_mT8_P12ihipStream_tbDpT10_ENKUlT_T0_E_clISt17integral_constantIbLb0EES19_IbLb1EEEEDaS15_S16_EUlS15_E_NS1_11comp_targetILNS1_3genE5ELNS1_11target_archE942ELNS1_3gpuE9ELNS1_3repE0EEENS1_30default_config_static_selectorELNS0_4arch9wavefront6targetE1EEEvT1_.num_vgpr, 0
	.set _ZN7rocprim17ROCPRIM_400000_NS6detail17trampoline_kernelINS0_14default_configENS1_25partition_config_selectorILNS1_17partition_subalgoE9EllbEEZZNS1_14partition_implILS5_9ELb0ES3_jPlS8_PNS0_10empty_typeENS0_5tupleIJS8_S9_EEENSB_IJS8_SA_EEENS0_18inequality_wrapperIZN2at6native12_GLOBAL__N_124unique_dim_cuda_templateIlEESt5tupleIJNSF_6TensorESK_SK_EERKSK_lbbbEUlllE0_EEPmJS9_EEE10hipError_tPvRmT3_T4_T5_T6_T7_T9_mT8_P12ihipStream_tbDpT10_ENKUlT_T0_E_clISt17integral_constantIbLb0EES19_IbLb1EEEEDaS15_S16_EUlS15_E_NS1_11comp_targetILNS1_3genE5ELNS1_11target_archE942ELNS1_3gpuE9ELNS1_3repE0EEENS1_30default_config_static_selectorELNS0_4arch9wavefront6targetE1EEEvT1_.num_agpr, 0
	.set _ZN7rocprim17ROCPRIM_400000_NS6detail17trampoline_kernelINS0_14default_configENS1_25partition_config_selectorILNS1_17partition_subalgoE9EllbEEZZNS1_14partition_implILS5_9ELb0ES3_jPlS8_PNS0_10empty_typeENS0_5tupleIJS8_S9_EEENSB_IJS8_SA_EEENS0_18inequality_wrapperIZN2at6native12_GLOBAL__N_124unique_dim_cuda_templateIlEESt5tupleIJNSF_6TensorESK_SK_EERKSK_lbbbEUlllE0_EEPmJS9_EEE10hipError_tPvRmT3_T4_T5_T6_T7_T9_mT8_P12ihipStream_tbDpT10_ENKUlT_T0_E_clISt17integral_constantIbLb0EES19_IbLb1EEEEDaS15_S16_EUlS15_E_NS1_11comp_targetILNS1_3genE5ELNS1_11target_archE942ELNS1_3gpuE9ELNS1_3repE0EEENS1_30default_config_static_selectorELNS0_4arch9wavefront6targetE1EEEvT1_.numbered_sgpr, 0
	.set _ZN7rocprim17ROCPRIM_400000_NS6detail17trampoline_kernelINS0_14default_configENS1_25partition_config_selectorILNS1_17partition_subalgoE9EllbEEZZNS1_14partition_implILS5_9ELb0ES3_jPlS8_PNS0_10empty_typeENS0_5tupleIJS8_S9_EEENSB_IJS8_SA_EEENS0_18inequality_wrapperIZN2at6native12_GLOBAL__N_124unique_dim_cuda_templateIlEESt5tupleIJNSF_6TensorESK_SK_EERKSK_lbbbEUlllE0_EEPmJS9_EEE10hipError_tPvRmT3_T4_T5_T6_T7_T9_mT8_P12ihipStream_tbDpT10_ENKUlT_T0_E_clISt17integral_constantIbLb0EES19_IbLb1EEEEDaS15_S16_EUlS15_E_NS1_11comp_targetILNS1_3genE5ELNS1_11target_archE942ELNS1_3gpuE9ELNS1_3repE0EEENS1_30default_config_static_selectorELNS0_4arch9wavefront6targetE1EEEvT1_.num_named_barrier, 0
	.set _ZN7rocprim17ROCPRIM_400000_NS6detail17trampoline_kernelINS0_14default_configENS1_25partition_config_selectorILNS1_17partition_subalgoE9EllbEEZZNS1_14partition_implILS5_9ELb0ES3_jPlS8_PNS0_10empty_typeENS0_5tupleIJS8_S9_EEENSB_IJS8_SA_EEENS0_18inequality_wrapperIZN2at6native12_GLOBAL__N_124unique_dim_cuda_templateIlEESt5tupleIJNSF_6TensorESK_SK_EERKSK_lbbbEUlllE0_EEPmJS9_EEE10hipError_tPvRmT3_T4_T5_T6_T7_T9_mT8_P12ihipStream_tbDpT10_ENKUlT_T0_E_clISt17integral_constantIbLb0EES19_IbLb1EEEEDaS15_S16_EUlS15_E_NS1_11comp_targetILNS1_3genE5ELNS1_11target_archE942ELNS1_3gpuE9ELNS1_3repE0EEENS1_30default_config_static_selectorELNS0_4arch9wavefront6targetE1EEEvT1_.private_seg_size, 0
	.set _ZN7rocprim17ROCPRIM_400000_NS6detail17trampoline_kernelINS0_14default_configENS1_25partition_config_selectorILNS1_17partition_subalgoE9EllbEEZZNS1_14partition_implILS5_9ELb0ES3_jPlS8_PNS0_10empty_typeENS0_5tupleIJS8_S9_EEENSB_IJS8_SA_EEENS0_18inequality_wrapperIZN2at6native12_GLOBAL__N_124unique_dim_cuda_templateIlEESt5tupleIJNSF_6TensorESK_SK_EERKSK_lbbbEUlllE0_EEPmJS9_EEE10hipError_tPvRmT3_T4_T5_T6_T7_T9_mT8_P12ihipStream_tbDpT10_ENKUlT_T0_E_clISt17integral_constantIbLb0EES19_IbLb1EEEEDaS15_S16_EUlS15_E_NS1_11comp_targetILNS1_3genE5ELNS1_11target_archE942ELNS1_3gpuE9ELNS1_3repE0EEENS1_30default_config_static_selectorELNS0_4arch9wavefront6targetE1EEEvT1_.uses_vcc, 0
	.set _ZN7rocprim17ROCPRIM_400000_NS6detail17trampoline_kernelINS0_14default_configENS1_25partition_config_selectorILNS1_17partition_subalgoE9EllbEEZZNS1_14partition_implILS5_9ELb0ES3_jPlS8_PNS0_10empty_typeENS0_5tupleIJS8_S9_EEENSB_IJS8_SA_EEENS0_18inequality_wrapperIZN2at6native12_GLOBAL__N_124unique_dim_cuda_templateIlEESt5tupleIJNSF_6TensorESK_SK_EERKSK_lbbbEUlllE0_EEPmJS9_EEE10hipError_tPvRmT3_T4_T5_T6_T7_T9_mT8_P12ihipStream_tbDpT10_ENKUlT_T0_E_clISt17integral_constantIbLb0EES19_IbLb1EEEEDaS15_S16_EUlS15_E_NS1_11comp_targetILNS1_3genE5ELNS1_11target_archE942ELNS1_3gpuE9ELNS1_3repE0EEENS1_30default_config_static_selectorELNS0_4arch9wavefront6targetE1EEEvT1_.uses_flat_scratch, 0
	.set _ZN7rocprim17ROCPRIM_400000_NS6detail17trampoline_kernelINS0_14default_configENS1_25partition_config_selectorILNS1_17partition_subalgoE9EllbEEZZNS1_14partition_implILS5_9ELb0ES3_jPlS8_PNS0_10empty_typeENS0_5tupleIJS8_S9_EEENSB_IJS8_SA_EEENS0_18inequality_wrapperIZN2at6native12_GLOBAL__N_124unique_dim_cuda_templateIlEESt5tupleIJNSF_6TensorESK_SK_EERKSK_lbbbEUlllE0_EEPmJS9_EEE10hipError_tPvRmT3_T4_T5_T6_T7_T9_mT8_P12ihipStream_tbDpT10_ENKUlT_T0_E_clISt17integral_constantIbLb0EES19_IbLb1EEEEDaS15_S16_EUlS15_E_NS1_11comp_targetILNS1_3genE5ELNS1_11target_archE942ELNS1_3gpuE9ELNS1_3repE0EEENS1_30default_config_static_selectorELNS0_4arch9wavefront6targetE1EEEvT1_.has_dyn_sized_stack, 0
	.set _ZN7rocprim17ROCPRIM_400000_NS6detail17trampoline_kernelINS0_14default_configENS1_25partition_config_selectorILNS1_17partition_subalgoE9EllbEEZZNS1_14partition_implILS5_9ELb0ES3_jPlS8_PNS0_10empty_typeENS0_5tupleIJS8_S9_EEENSB_IJS8_SA_EEENS0_18inequality_wrapperIZN2at6native12_GLOBAL__N_124unique_dim_cuda_templateIlEESt5tupleIJNSF_6TensorESK_SK_EERKSK_lbbbEUlllE0_EEPmJS9_EEE10hipError_tPvRmT3_T4_T5_T6_T7_T9_mT8_P12ihipStream_tbDpT10_ENKUlT_T0_E_clISt17integral_constantIbLb0EES19_IbLb1EEEEDaS15_S16_EUlS15_E_NS1_11comp_targetILNS1_3genE5ELNS1_11target_archE942ELNS1_3gpuE9ELNS1_3repE0EEENS1_30default_config_static_selectorELNS0_4arch9wavefront6targetE1EEEvT1_.has_recursion, 0
	.set _ZN7rocprim17ROCPRIM_400000_NS6detail17trampoline_kernelINS0_14default_configENS1_25partition_config_selectorILNS1_17partition_subalgoE9EllbEEZZNS1_14partition_implILS5_9ELb0ES3_jPlS8_PNS0_10empty_typeENS0_5tupleIJS8_S9_EEENSB_IJS8_SA_EEENS0_18inequality_wrapperIZN2at6native12_GLOBAL__N_124unique_dim_cuda_templateIlEESt5tupleIJNSF_6TensorESK_SK_EERKSK_lbbbEUlllE0_EEPmJS9_EEE10hipError_tPvRmT3_T4_T5_T6_T7_T9_mT8_P12ihipStream_tbDpT10_ENKUlT_T0_E_clISt17integral_constantIbLb0EES19_IbLb1EEEEDaS15_S16_EUlS15_E_NS1_11comp_targetILNS1_3genE5ELNS1_11target_archE942ELNS1_3gpuE9ELNS1_3repE0EEENS1_30default_config_static_selectorELNS0_4arch9wavefront6targetE1EEEvT1_.has_indirect_call, 0
	.section	.AMDGPU.csdata,"",@progbits
; Kernel info:
; codeLenInByte = 0
; TotalNumSgprs: 6
; NumVgprs: 0
; NumAgprs: 0
; TotalNumVgprs: 0
; ScratchSize: 0
; MemoryBound: 0
; FloatMode: 240
; IeeeMode: 1
; LDSByteSize: 0 bytes/workgroup (compile time only)
; SGPRBlocks: 0
; VGPRBlocks: 0
; NumSGPRsForWavesPerEU: 6
; NumVGPRsForWavesPerEU: 1
; AccumOffset: 4
; Occupancy: 8
; WaveLimiterHint : 0
; COMPUTE_PGM_RSRC2:SCRATCH_EN: 0
; COMPUTE_PGM_RSRC2:USER_SGPR: 2
; COMPUTE_PGM_RSRC2:TRAP_HANDLER: 0
; COMPUTE_PGM_RSRC2:TGID_X_EN: 1
; COMPUTE_PGM_RSRC2:TGID_Y_EN: 0
; COMPUTE_PGM_RSRC2:TGID_Z_EN: 0
; COMPUTE_PGM_RSRC2:TIDIG_COMP_CNT: 0
; COMPUTE_PGM_RSRC3_GFX90A:ACCUM_OFFSET: 0
; COMPUTE_PGM_RSRC3_GFX90A:TG_SPLIT: 0
	.section	.text._ZN7rocprim17ROCPRIM_400000_NS6detail17trampoline_kernelINS0_14default_configENS1_25partition_config_selectorILNS1_17partition_subalgoE9EllbEEZZNS1_14partition_implILS5_9ELb0ES3_jPlS8_PNS0_10empty_typeENS0_5tupleIJS8_S9_EEENSB_IJS8_SA_EEENS0_18inequality_wrapperIZN2at6native12_GLOBAL__N_124unique_dim_cuda_templateIlEESt5tupleIJNSF_6TensorESK_SK_EERKSK_lbbbEUlllE0_EEPmJS9_EEE10hipError_tPvRmT3_T4_T5_T6_T7_T9_mT8_P12ihipStream_tbDpT10_ENKUlT_T0_E_clISt17integral_constantIbLb0EES19_IbLb1EEEEDaS15_S16_EUlS15_E_NS1_11comp_targetILNS1_3genE4ELNS1_11target_archE910ELNS1_3gpuE8ELNS1_3repE0EEENS1_30default_config_static_selectorELNS0_4arch9wavefront6targetE1EEEvT1_,"axG",@progbits,_ZN7rocprim17ROCPRIM_400000_NS6detail17trampoline_kernelINS0_14default_configENS1_25partition_config_selectorILNS1_17partition_subalgoE9EllbEEZZNS1_14partition_implILS5_9ELb0ES3_jPlS8_PNS0_10empty_typeENS0_5tupleIJS8_S9_EEENSB_IJS8_SA_EEENS0_18inequality_wrapperIZN2at6native12_GLOBAL__N_124unique_dim_cuda_templateIlEESt5tupleIJNSF_6TensorESK_SK_EERKSK_lbbbEUlllE0_EEPmJS9_EEE10hipError_tPvRmT3_T4_T5_T6_T7_T9_mT8_P12ihipStream_tbDpT10_ENKUlT_T0_E_clISt17integral_constantIbLb0EES19_IbLb1EEEEDaS15_S16_EUlS15_E_NS1_11comp_targetILNS1_3genE4ELNS1_11target_archE910ELNS1_3gpuE8ELNS1_3repE0EEENS1_30default_config_static_selectorELNS0_4arch9wavefront6targetE1EEEvT1_,comdat
	.globl	_ZN7rocprim17ROCPRIM_400000_NS6detail17trampoline_kernelINS0_14default_configENS1_25partition_config_selectorILNS1_17partition_subalgoE9EllbEEZZNS1_14partition_implILS5_9ELb0ES3_jPlS8_PNS0_10empty_typeENS0_5tupleIJS8_S9_EEENSB_IJS8_SA_EEENS0_18inequality_wrapperIZN2at6native12_GLOBAL__N_124unique_dim_cuda_templateIlEESt5tupleIJNSF_6TensorESK_SK_EERKSK_lbbbEUlllE0_EEPmJS9_EEE10hipError_tPvRmT3_T4_T5_T6_T7_T9_mT8_P12ihipStream_tbDpT10_ENKUlT_T0_E_clISt17integral_constantIbLb0EES19_IbLb1EEEEDaS15_S16_EUlS15_E_NS1_11comp_targetILNS1_3genE4ELNS1_11target_archE910ELNS1_3gpuE8ELNS1_3repE0EEENS1_30default_config_static_selectorELNS0_4arch9wavefront6targetE1EEEvT1_ ; -- Begin function _ZN7rocprim17ROCPRIM_400000_NS6detail17trampoline_kernelINS0_14default_configENS1_25partition_config_selectorILNS1_17partition_subalgoE9EllbEEZZNS1_14partition_implILS5_9ELb0ES3_jPlS8_PNS0_10empty_typeENS0_5tupleIJS8_S9_EEENSB_IJS8_SA_EEENS0_18inequality_wrapperIZN2at6native12_GLOBAL__N_124unique_dim_cuda_templateIlEESt5tupleIJNSF_6TensorESK_SK_EERKSK_lbbbEUlllE0_EEPmJS9_EEE10hipError_tPvRmT3_T4_T5_T6_T7_T9_mT8_P12ihipStream_tbDpT10_ENKUlT_T0_E_clISt17integral_constantIbLb0EES19_IbLb1EEEEDaS15_S16_EUlS15_E_NS1_11comp_targetILNS1_3genE4ELNS1_11target_archE910ELNS1_3gpuE8ELNS1_3repE0EEENS1_30default_config_static_selectorELNS0_4arch9wavefront6targetE1EEEvT1_
	.p2align	8
	.type	_ZN7rocprim17ROCPRIM_400000_NS6detail17trampoline_kernelINS0_14default_configENS1_25partition_config_selectorILNS1_17partition_subalgoE9EllbEEZZNS1_14partition_implILS5_9ELb0ES3_jPlS8_PNS0_10empty_typeENS0_5tupleIJS8_S9_EEENSB_IJS8_SA_EEENS0_18inequality_wrapperIZN2at6native12_GLOBAL__N_124unique_dim_cuda_templateIlEESt5tupleIJNSF_6TensorESK_SK_EERKSK_lbbbEUlllE0_EEPmJS9_EEE10hipError_tPvRmT3_T4_T5_T6_T7_T9_mT8_P12ihipStream_tbDpT10_ENKUlT_T0_E_clISt17integral_constantIbLb0EES19_IbLb1EEEEDaS15_S16_EUlS15_E_NS1_11comp_targetILNS1_3genE4ELNS1_11target_archE910ELNS1_3gpuE8ELNS1_3repE0EEENS1_30default_config_static_selectorELNS0_4arch9wavefront6targetE1EEEvT1_,@function
_ZN7rocprim17ROCPRIM_400000_NS6detail17trampoline_kernelINS0_14default_configENS1_25partition_config_selectorILNS1_17partition_subalgoE9EllbEEZZNS1_14partition_implILS5_9ELb0ES3_jPlS8_PNS0_10empty_typeENS0_5tupleIJS8_S9_EEENSB_IJS8_SA_EEENS0_18inequality_wrapperIZN2at6native12_GLOBAL__N_124unique_dim_cuda_templateIlEESt5tupleIJNSF_6TensorESK_SK_EERKSK_lbbbEUlllE0_EEPmJS9_EEE10hipError_tPvRmT3_T4_T5_T6_T7_T9_mT8_P12ihipStream_tbDpT10_ENKUlT_T0_E_clISt17integral_constantIbLb0EES19_IbLb1EEEEDaS15_S16_EUlS15_E_NS1_11comp_targetILNS1_3genE4ELNS1_11target_archE910ELNS1_3gpuE8ELNS1_3repE0EEENS1_30default_config_static_selectorELNS0_4arch9wavefront6targetE1EEEvT1_: ; @_ZN7rocprim17ROCPRIM_400000_NS6detail17trampoline_kernelINS0_14default_configENS1_25partition_config_selectorILNS1_17partition_subalgoE9EllbEEZZNS1_14partition_implILS5_9ELb0ES3_jPlS8_PNS0_10empty_typeENS0_5tupleIJS8_S9_EEENSB_IJS8_SA_EEENS0_18inequality_wrapperIZN2at6native12_GLOBAL__N_124unique_dim_cuda_templateIlEESt5tupleIJNSF_6TensorESK_SK_EERKSK_lbbbEUlllE0_EEPmJS9_EEE10hipError_tPvRmT3_T4_T5_T6_T7_T9_mT8_P12ihipStream_tbDpT10_ENKUlT_T0_E_clISt17integral_constantIbLb0EES19_IbLb1EEEEDaS15_S16_EUlS15_E_NS1_11comp_targetILNS1_3genE4ELNS1_11target_archE910ELNS1_3gpuE8ELNS1_3repE0EEENS1_30default_config_static_selectorELNS0_4arch9wavefront6targetE1EEEvT1_
; %bb.0:
	.section	.rodata,"a",@progbits
	.p2align	6, 0x0
	.amdhsa_kernel _ZN7rocprim17ROCPRIM_400000_NS6detail17trampoline_kernelINS0_14default_configENS1_25partition_config_selectorILNS1_17partition_subalgoE9EllbEEZZNS1_14partition_implILS5_9ELb0ES3_jPlS8_PNS0_10empty_typeENS0_5tupleIJS8_S9_EEENSB_IJS8_SA_EEENS0_18inequality_wrapperIZN2at6native12_GLOBAL__N_124unique_dim_cuda_templateIlEESt5tupleIJNSF_6TensorESK_SK_EERKSK_lbbbEUlllE0_EEPmJS9_EEE10hipError_tPvRmT3_T4_T5_T6_T7_T9_mT8_P12ihipStream_tbDpT10_ENKUlT_T0_E_clISt17integral_constantIbLb0EES19_IbLb1EEEEDaS15_S16_EUlS15_E_NS1_11comp_targetILNS1_3genE4ELNS1_11target_archE910ELNS1_3gpuE8ELNS1_3repE0EEENS1_30default_config_static_selectorELNS0_4arch9wavefront6targetE1EEEvT1_
		.amdhsa_group_segment_fixed_size 0
		.amdhsa_private_segment_fixed_size 0
		.amdhsa_kernarg_size 136
		.amdhsa_user_sgpr_count 2
		.amdhsa_user_sgpr_dispatch_ptr 0
		.amdhsa_user_sgpr_queue_ptr 0
		.amdhsa_user_sgpr_kernarg_segment_ptr 1
		.amdhsa_user_sgpr_dispatch_id 0
		.amdhsa_user_sgpr_kernarg_preload_length 0
		.amdhsa_user_sgpr_kernarg_preload_offset 0
		.amdhsa_user_sgpr_private_segment_size 0
		.amdhsa_uses_dynamic_stack 0
		.amdhsa_enable_private_segment 0
		.amdhsa_system_sgpr_workgroup_id_x 1
		.amdhsa_system_sgpr_workgroup_id_y 0
		.amdhsa_system_sgpr_workgroup_id_z 0
		.amdhsa_system_sgpr_workgroup_info 0
		.amdhsa_system_vgpr_workitem_id 0
		.amdhsa_next_free_vgpr 1
		.amdhsa_next_free_sgpr 0
		.amdhsa_accum_offset 4
		.amdhsa_reserve_vcc 0
		.amdhsa_float_round_mode_32 0
		.amdhsa_float_round_mode_16_64 0
		.amdhsa_float_denorm_mode_32 3
		.amdhsa_float_denorm_mode_16_64 3
		.amdhsa_dx10_clamp 1
		.amdhsa_ieee_mode 1
		.amdhsa_fp16_overflow 0
		.amdhsa_tg_split 0
		.amdhsa_exception_fp_ieee_invalid_op 0
		.amdhsa_exception_fp_denorm_src 0
		.amdhsa_exception_fp_ieee_div_zero 0
		.amdhsa_exception_fp_ieee_overflow 0
		.amdhsa_exception_fp_ieee_underflow 0
		.amdhsa_exception_fp_ieee_inexact 0
		.amdhsa_exception_int_div_zero 0
	.end_amdhsa_kernel
	.section	.text._ZN7rocprim17ROCPRIM_400000_NS6detail17trampoline_kernelINS0_14default_configENS1_25partition_config_selectorILNS1_17partition_subalgoE9EllbEEZZNS1_14partition_implILS5_9ELb0ES3_jPlS8_PNS0_10empty_typeENS0_5tupleIJS8_S9_EEENSB_IJS8_SA_EEENS0_18inequality_wrapperIZN2at6native12_GLOBAL__N_124unique_dim_cuda_templateIlEESt5tupleIJNSF_6TensorESK_SK_EERKSK_lbbbEUlllE0_EEPmJS9_EEE10hipError_tPvRmT3_T4_T5_T6_T7_T9_mT8_P12ihipStream_tbDpT10_ENKUlT_T0_E_clISt17integral_constantIbLb0EES19_IbLb1EEEEDaS15_S16_EUlS15_E_NS1_11comp_targetILNS1_3genE4ELNS1_11target_archE910ELNS1_3gpuE8ELNS1_3repE0EEENS1_30default_config_static_selectorELNS0_4arch9wavefront6targetE1EEEvT1_,"axG",@progbits,_ZN7rocprim17ROCPRIM_400000_NS6detail17trampoline_kernelINS0_14default_configENS1_25partition_config_selectorILNS1_17partition_subalgoE9EllbEEZZNS1_14partition_implILS5_9ELb0ES3_jPlS8_PNS0_10empty_typeENS0_5tupleIJS8_S9_EEENSB_IJS8_SA_EEENS0_18inequality_wrapperIZN2at6native12_GLOBAL__N_124unique_dim_cuda_templateIlEESt5tupleIJNSF_6TensorESK_SK_EERKSK_lbbbEUlllE0_EEPmJS9_EEE10hipError_tPvRmT3_T4_T5_T6_T7_T9_mT8_P12ihipStream_tbDpT10_ENKUlT_T0_E_clISt17integral_constantIbLb0EES19_IbLb1EEEEDaS15_S16_EUlS15_E_NS1_11comp_targetILNS1_3genE4ELNS1_11target_archE910ELNS1_3gpuE8ELNS1_3repE0EEENS1_30default_config_static_selectorELNS0_4arch9wavefront6targetE1EEEvT1_,comdat
.Lfunc_end621:
	.size	_ZN7rocprim17ROCPRIM_400000_NS6detail17trampoline_kernelINS0_14default_configENS1_25partition_config_selectorILNS1_17partition_subalgoE9EllbEEZZNS1_14partition_implILS5_9ELb0ES3_jPlS8_PNS0_10empty_typeENS0_5tupleIJS8_S9_EEENSB_IJS8_SA_EEENS0_18inequality_wrapperIZN2at6native12_GLOBAL__N_124unique_dim_cuda_templateIlEESt5tupleIJNSF_6TensorESK_SK_EERKSK_lbbbEUlllE0_EEPmJS9_EEE10hipError_tPvRmT3_T4_T5_T6_T7_T9_mT8_P12ihipStream_tbDpT10_ENKUlT_T0_E_clISt17integral_constantIbLb0EES19_IbLb1EEEEDaS15_S16_EUlS15_E_NS1_11comp_targetILNS1_3genE4ELNS1_11target_archE910ELNS1_3gpuE8ELNS1_3repE0EEENS1_30default_config_static_selectorELNS0_4arch9wavefront6targetE1EEEvT1_, .Lfunc_end621-_ZN7rocprim17ROCPRIM_400000_NS6detail17trampoline_kernelINS0_14default_configENS1_25partition_config_selectorILNS1_17partition_subalgoE9EllbEEZZNS1_14partition_implILS5_9ELb0ES3_jPlS8_PNS0_10empty_typeENS0_5tupleIJS8_S9_EEENSB_IJS8_SA_EEENS0_18inequality_wrapperIZN2at6native12_GLOBAL__N_124unique_dim_cuda_templateIlEESt5tupleIJNSF_6TensorESK_SK_EERKSK_lbbbEUlllE0_EEPmJS9_EEE10hipError_tPvRmT3_T4_T5_T6_T7_T9_mT8_P12ihipStream_tbDpT10_ENKUlT_T0_E_clISt17integral_constantIbLb0EES19_IbLb1EEEEDaS15_S16_EUlS15_E_NS1_11comp_targetILNS1_3genE4ELNS1_11target_archE910ELNS1_3gpuE8ELNS1_3repE0EEENS1_30default_config_static_selectorELNS0_4arch9wavefront6targetE1EEEvT1_
                                        ; -- End function
	.set _ZN7rocprim17ROCPRIM_400000_NS6detail17trampoline_kernelINS0_14default_configENS1_25partition_config_selectorILNS1_17partition_subalgoE9EllbEEZZNS1_14partition_implILS5_9ELb0ES3_jPlS8_PNS0_10empty_typeENS0_5tupleIJS8_S9_EEENSB_IJS8_SA_EEENS0_18inequality_wrapperIZN2at6native12_GLOBAL__N_124unique_dim_cuda_templateIlEESt5tupleIJNSF_6TensorESK_SK_EERKSK_lbbbEUlllE0_EEPmJS9_EEE10hipError_tPvRmT3_T4_T5_T6_T7_T9_mT8_P12ihipStream_tbDpT10_ENKUlT_T0_E_clISt17integral_constantIbLb0EES19_IbLb1EEEEDaS15_S16_EUlS15_E_NS1_11comp_targetILNS1_3genE4ELNS1_11target_archE910ELNS1_3gpuE8ELNS1_3repE0EEENS1_30default_config_static_selectorELNS0_4arch9wavefront6targetE1EEEvT1_.num_vgpr, 0
	.set _ZN7rocprim17ROCPRIM_400000_NS6detail17trampoline_kernelINS0_14default_configENS1_25partition_config_selectorILNS1_17partition_subalgoE9EllbEEZZNS1_14partition_implILS5_9ELb0ES3_jPlS8_PNS0_10empty_typeENS0_5tupleIJS8_S9_EEENSB_IJS8_SA_EEENS0_18inequality_wrapperIZN2at6native12_GLOBAL__N_124unique_dim_cuda_templateIlEESt5tupleIJNSF_6TensorESK_SK_EERKSK_lbbbEUlllE0_EEPmJS9_EEE10hipError_tPvRmT3_T4_T5_T6_T7_T9_mT8_P12ihipStream_tbDpT10_ENKUlT_T0_E_clISt17integral_constantIbLb0EES19_IbLb1EEEEDaS15_S16_EUlS15_E_NS1_11comp_targetILNS1_3genE4ELNS1_11target_archE910ELNS1_3gpuE8ELNS1_3repE0EEENS1_30default_config_static_selectorELNS0_4arch9wavefront6targetE1EEEvT1_.num_agpr, 0
	.set _ZN7rocprim17ROCPRIM_400000_NS6detail17trampoline_kernelINS0_14default_configENS1_25partition_config_selectorILNS1_17partition_subalgoE9EllbEEZZNS1_14partition_implILS5_9ELb0ES3_jPlS8_PNS0_10empty_typeENS0_5tupleIJS8_S9_EEENSB_IJS8_SA_EEENS0_18inequality_wrapperIZN2at6native12_GLOBAL__N_124unique_dim_cuda_templateIlEESt5tupleIJNSF_6TensorESK_SK_EERKSK_lbbbEUlllE0_EEPmJS9_EEE10hipError_tPvRmT3_T4_T5_T6_T7_T9_mT8_P12ihipStream_tbDpT10_ENKUlT_T0_E_clISt17integral_constantIbLb0EES19_IbLb1EEEEDaS15_S16_EUlS15_E_NS1_11comp_targetILNS1_3genE4ELNS1_11target_archE910ELNS1_3gpuE8ELNS1_3repE0EEENS1_30default_config_static_selectorELNS0_4arch9wavefront6targetE1EEEvT1_.numbered_sgpr, 0
	.set _ZN7rocprim17ROCPRIM_400000_NS6detail17trampoline_kernelINS0_14default_configENS1_25partition_config_selectorILNS1_17partition_subalgoE9EllbEEZZNS1_14partition_implILS5_9ELb0ES3_jPlS8_PNS0_10empty_typeENS0_5tupleIJS8_S9_EEENSB_IJS8_SA_EEENS0_18inequality_wrapperIZN2at6native12_GLOBAL__N_124unique_dim_cuda_templateIlEESt5tupleIJNSF_6TensorESK_SK_EERKSK_lbbbEUlllE0_EEPmJS9_EEE10hipError_tPvRmT3_T4_T5_T6_T7_T9_mT8_P12ihipStream_tbDpT10_ENKUlT_T0_E_clISt17integral_constantIbLb0EES19_IbLb1EEEEDaS15_S16_EUlS15_E_NS1_11comp_targetILNS1_3genE4ELNS1_11target_archE910ELNS1_3gpuE8ELNS1_3repE0EEENS1_30default_config_static_selectorELNS0_4arch9wavefront6targetE1EEEvT1_.num_named_barrier, 0
	.set _ZN7rocprim17ROCPRIM_400000_NS6detail17trampoline_kernelINS0_14default_configENS1_25partition_config_selectorILNS1_17partition_subalgoE9EllbEEZZNS1_14partition_implILS5_9ELb0ES3_jPlS8_PNS0_10empty_typeENS0_5tupleIJS8_S9_EEENSB_IJS8_SA_EEENS0_18inequality_wrapperIZN2at6native12_GLOBAL__N_124unique_dim_cuda_templateIlEESt5tupleIJNSF_6TensorESK_SK_EERKSK_lbbbEUlllE0_EEPmJS9_EEE10hipError_tPvRmT3_T4_T5_T6_T7_T9_mT8_P12ihipStream_tbDpT10_ENKUlT_T0_E_clISt17integral_constantIbLb0EES19_IbLb1EEEEDaS15_S16_EUlS15_E_NS1_11comp_targetILNS1_3genE4ELNS1_11target_archE910ELNS1_3gpuE8ELNS1_3repE0EEENS1_30default_config_static_selectorELNS0_4arch9wavefront6targetE1EEEvT1_.private_seg_size, 0
	.set _ZN7rocprim17ROCPRIM_400000_NS6detail17trampoline_kernelINS0_14default_configENS1_25partition_config_selectorILNS1_17partition_subalgoE9EllbEEZZNS1_14partition_implILS5_9ELb0ES3_jPlS8_PNS0_10empty_typeENS0_5tupleIJS8_S9_EEENSB_IJS8_SA_EEENS0_18inequality_wrapperIZN2at6native12_GLOBAL__N_124unique_dim_cuda_templateIlEESt5tupleIJNSF_6TensorESK_SK_EERKSK_lbbbEUlllE0_EEPmJS9_EEE10hipError_tPvRmT3_T4_T5_T6_T7_T9_mT8_P12ihipStream_tbDpT10_ENKUlT_T0_E_clISt17integral_constantIbLb0EES19_IbLb1EEEEDaS15_S16_EUlS15_E_NS1_11comp_targetILNS1_3genE4ELNS1_11target_archE910ELNS1_3gpuE8ELNS1_3repE0EEENS1_30default_config_static_selectorELNS0_4arch9wavefront6targetE1EEEvT1_.uses_vcc, 0
	.set _ZN7rocprim17ROCPRIM_400000_NS6detail17trampoline_kernelINS0_14default_configENS1_25partition_config_selectorILNS1_17partition_subalgoE9EllbEEZZNS1_14partition_implILS5_9ELb0ES3_jPlS8_PNS0_10empty_typeENS0_5tupleIJS8_S9_EEENSB_IJS8_SA_EEENS0_18inequality_wrapperIZN2at6native12_GLOBAL__N_124unique_dim_cuda_templateIlEESt5tupleIJNSF_6TensorESK_SK_EERKSK_lbbbEUlllE0_EEPmJS9_EEE10hipError_tPvRmT3_T4_T5_T6_T7_T9_mT8_P12ihipStream_tbDpT10_ENKUlT_T0_E_clISt17integral_constantIbLb0EES19_IbLb1EEEEDaS15_S16_EUlS15_E_NS1_11comp_targetILNS1_3genE4ELNS1_11target_archE910ELNS1_3gpuE8ELNS1_3repE0EEENS1_30default_config_static_selectorELNS0_4arch9wavefront6targetE1EEEvT1_.uses_flat_scratch, 0
	.set _ZN7rocprim17ROCPRIM_400000_NS6detail17trampoline_kernelINS0_14default_configENS1_25partition_config_selectorILNS1_17partition_subalgoE9EllbEEZZNS1_14partition_implILS5_9ELb0ES3_jPlS8_PNS0_10empty_typeENS0_5tupleIJS8_S9_EEENSB_IJS8_SA_EEENS0_18inequality_wrapperIZN2at6native12_GLOBAL__N_124unique_dim_cuda_templateIlEESt5tupleIJNSF_6TensorESK_SK_EERKSK_lbbbEUlllE0_EEPmJS9_EEE10hipError_tPvRmT3_T4_T5_T6_T7_T9_mT8_P12ihipStream_tbDpT10_ENKUlT_T0_E_clISt17integral_constantIbLb0EES19_IbLb1EEEEDaS15_S16_EUlS15_E_NS1_11comp_targetILNS1_3genE4ELNS1_11target_archE910ELNS1_3gpuE8ELNS1_3repE0EEENS1_30default_config_static_selectorELNS0_4arch9wavefront6targetE1EEEvT1_.has_dyn_sized_stack, 0
	.set _ZN7rocprim17ROCPRIM_400000_NS6detail17trampoline_kernelINS0_14default_configENS1_25partition_config_selectorILNS1_17partition_subalgoE9EllbEEZZNS1_14partition_implILS5_9ELb0ES3_jPlS8_PNS0_10empty_typeENS0_5tupleIJS8_S9_EEENSB_IJS8_SA_EEENS0_18inequality_wrapperIZN2at6native12_GLOBAL__N_124unique_dim_cuda_templateIlEESt5tupleIJNSF_6TensorESK_SK_EERKSK_lbbbEUlllE0_EEPmJS9_EEE10hipError_tPvRmT3_T4_T5_T6_T7_T9_mT8_P12ihipStream_tbDpT10_ENKUlT_T0_E_clISt17integral_constantIbLb0EES19_IbLb1EEEEDaS15_S16_EUlS15_E_NS1_11comp_targetILNS1_3genE4ELNS1_11target_archE910ELNS1_3gpuE8ELNS1_3repE0EEENS1_30default_config_static_selectorELNS0_4arch9wavefront6targetE1EEEvT1_.has_recursion, 0
	.set _ZN7rocprim17ROCPRIM_400000_NS6detail17trampoline_kernelINS0_14default_configENS1_25partition_config_selectorILNS1_17partition_subalgoE9EllbEEZZNS1_14partition_implILS5_9ELb0ES3_jPlS8_PNS0_10empty_typeENS0_5tupleIJS8_S9_EEENSB_IJS8_SA_EEENS0_18inequality_wrapperIZN2at6native12_GLOBAL__N_124unique_dim_cuda_templateIlEESt5tupleIJNSF_6TensorESK_SK_EERKSK_lbbbEUlllE0_EEPmJS9_EEE10hipError_tPvRmT3_T4_T5_T6_T7_T9_mT8_P12ihipStream_tbDpT10_ENKUlT_T0_E_clISt17integral_constantIbLb0EES19_IbLb1EEEEDaS15_S16_EUlS15_E_NS1_11comp_targetILNS1_3genE4ELNS1_11target_archE910ELNS1_3gpuE8ELNS1_3repE0EEENS1_30default_config_static_selectorELNS0_4arch9wavefront6targetE1EEEvT1_.has_indirect_call, 0
	.section	.AMDGPU.csdata,"",@progbits
; Kernel info:
; codeLenInByte = 0
; TotalNumSgprs: 6
; NumVgprs: 0
; NumAgprs: 0
; TotalNumVgprs: 0
; ScratchSize: 0
; MemoryBound: 0
; FloatMode: 240
; IeeeMode: 1
; LDSByteSize: 0 bytes/workgroup (compile time only)
; SGPRBlocks: 0
; VGPRBlocks: 0
; NumSGPRsForWavesPerEU: 6
; NumVGPRsForWavesPerEU: 1
; AccumOffset: 4
; Occupancy: 8
; WaveLimiterHint : 0
; COMPUTE_PGM_RSRC2:SCRATCH_EN: 0
; COMPUTE_PGM_RSRC2:USER_SGPR: 2
; COMPUTE_PGM_RSRC2:TRAP_HANDLER: 0
; COMPUTE_PGM_RSRC2:TGID_X_EN: 1
; COMPUTE_PGM_RSRC2:TGID_Y_EN: 0
; COMPUTE_PGM_RSRC2:TGID_Z_EN: 0
; COMPUTE_PGM_RSRC2:TIDIG_COMP_CNT: 0
; COMPUTE_PGM_RSRC3_GFX90A:ACCUM_OFFSET: 0
; COMPUTE_PGM_RSRC3_GFX90A:TG_SPLIT: 0
	.section	.text._ZN7rocprim17ROCPRIM_400000_NS6detail17trampoline_kernelINS0_14default_configENS1_25partition_config_selectorILNS1_17partition_subalgoE9EllbEEZZNS1_14partition_implILS5_9ELb0ES3_jPlS8_PNS0_10empty_typeENS0_5tupleIJS8_S9_EEENSB_IJS8_SA_EEENS0_18inequality_wrapperIZN2at6native12_GLOBAL__N_124unique_dim_cuda_templateIlEESt5tupleIJNSF_6TensorESK_SK_EERKSK_lbbbEUlllE0_EEPmJS9_EEE10hipError_tPvRmT3_T4_T5_T6_T7_T9_mT8_P12ihipStream_tbDpT10_ENKUlT_T0_E_clISt17integral_constantIbLb0EES19_IbLb1EEEEDaS15_S16_EUlS15_E_NS1_11comp_targetILNS1_3genE3ELNS1_11target_archE908ELNS1_3gpuE7ELNS1_3repE0EEENS1_30default_config_static_selectorELNS0_4arch9wavefront6targetE1EEEvT1_,"axG",@progbits,_ZN7rocprim17ROCPRIM_400000_NS6detail17trampoline_kernelINS0_14default_configENS1_25partition_config_selectorILNS1_17partition_subalgoE9EllbEEZZNS1_14partition_implILS5_9ELb0ES3_jPlS8_PNS0_10empty_typeENS0_5tupleIJS8_S9_EEENSB_IJS8_SA_EEENS0_18inequality_wrapperIZN2at6native12_GLOBAL__N_124unique_dim_cuda_templateIlEESt5tupleIJNSF_6TensorESK_SK_EERKSK_lbbbEUlllE0_EEPmJS9_EEE10hipError_tPvRmT3_T4_T5_T6_T7_T9_mT8_P12ihipStream_tbDpT10_ENKUlT_T0_E_clISt17integral_constantIbLb0EES19_IbLb1EEEEDaS15_S16_EUlS15_E_NS1_11comp_targetILNS1_3genE3ELNS1_11target_archE908ELNS1_3gpuE7ELNS1_3repE0EEENS1_30default_config_static_selectorELNS0_4arch9wavefront6targetE1EEEvT1_,comdat
	.globl	_ZN7rocprim17ROCPRIM_400000_NS6detail17trampoline_kernelINS0_14default_configENS1_25partition_config_selectorILNS1_17partition_subalgoE9EllbEEZZNS1_14partition_implILS5_9ELb0ES3_jPlS8_PNS0_10empty_typeENS0_5tupleIJS8_S9_EEENSB_IJS8_SA_EEENS0_18inequality_wrapperIZN2at6native12_GLOBAL__N_124unique_dim_cuda_templateIlEESt5tupleIJNSF_6TensorESK_SK_EERKSK_lbbbEUlllE0_EEPmJS9_EEE10hipError_tPvRmT3_T4_T5_T6_T7_T9_mT8_P12ihipStream_tbDpT10_ENKUlT_T0_E_clISt17integral_constantIbLb0EES19_IbLb1EEEEDaS15_S16_EUlS15_E_NS1_11comp_targetILNS1_3genE3ELNS1_11target_archE908ELNS1_3gpuE7ELNS1_3repE0EEENS1_30default_config_static_selectorELNS0_4arch9wavefront6targetE1EEEvT1_ ; -- Begin function _ZN7rocprim17ROCPRIM_400000_NS6detail17trampoline_kernelINS0_14default_configENS1_25partition_config_selectorILNS1_17partition_subalgoE9EllbEEZZNS1_14partition_implILS5_9ELb0ES3_jPlS8_PNS0_10empty_typeENS0_5tupleIJS8_S9_EEENSB_IJS8_SA_EEENS0_18inequality_wrapperIZN2at6native12_GLOBAL__N_124unique_dim_cuda_templateIlEESt5tupleIJNSF_6TensorESK_SK_EERKSK_lbbbEUlllE0_EEPmJS9_EEE10hipError_tPvRmT3_T4_T5_T6_T7_T9_mT8_P12ihipStream_tbDpT10_ENKUlT_T0_E_clISt17integral_constantIbLb0EES19_IbLb1EEEEDaS15_S16_EUlS15_E_NS1_11comp_targetILNS1_3genE3ELNS1_11target_archE908ELNS1_3gpuE7ELNS1_3repE0EEENS1_30default_config_static_selectorELNS0_4arch9wavefront6targetE1EEEvT1_
	.p2align	8
	.type	_ZN7rocprim17ROCPRIM_400000_NS6detail17trampoline_kernelINS0_14default_configENS1_25partition_config_selectorILNS1_17partition_subalgoE9EllbEEZZNS1_14partition_implILS5_9ELb0ES3_jPlS8_PNS0_10empty_typeENS0_5tupleIJS8_S9_EEENSB_IJS8_SA_EEENS0_18inequality_wrapperIZN2at6native12_GLOBAL__N_124unique_dim_cuda_templateIlEESt5tupleIJNSF_6TensorESK_SK_EERKSK_lbbbEUlllE0_EEPmJS9_EEE10hipError_tPvRmT3_T4_T5_T6_T7_T9_mT8_P12ihipStream_tbDpT10_ENKUlT_T0_E_clISt17integral_constantIbLb0EES19_IbLb1EEEEDaS15_S16_EUlS15_E_NS1_11comp_targetILNS1_3genE3ELNS1_11target_archE908ELNS1_3gpuE7ELNS1_3repE0EEENS1_30default_config_static_selectorELNS0_4arch9wavefront6targetE1EEEvT1_,@function
_ZN7rocprim17ROCPRIM_400000_NS6detail17trampoline_kernelINS0_14default_configENS1_25partition_config_selectorILNS1_17partition_subalgoE9EllbEEZZNS1_14partition_implILS5_9ELb0ES3_jPlS8_PNS0_10empty_typeENS0_5tupleIJS8_S9_EEENSB_IJS8_SA_EEENS0_18inequality_wrapperIZN2at6native12_GLOBAL__N_124unique_dim_cuda_templateIlEESt5tupleIJNSF_6TensorESK_SK_EERKSK_lbbbEUlllE0_EEPmJS9_EEE10hipError_tPvRmT3_T4_T5_T6_T7_T9_mT8_P12ihipStream_tbDpT10_ENKUlT_T0_E_clISt17integral_constantIbLb0EES19_IbLb1EEEEDaS15_S16_EUlS15_E_NS1_11comp_targetILNS1_3genE3ELNS1_11target_archE908ELNS1_3gpuE7ELNS1_3repE0EEENS1_30default_config_static_selectorELNS0_4arch9wavefront6targetE1EEEvT1_: ; @_ZN7rocprim17ROCPRIM_400000_NS6detail17trampoline_kernelINS0_14default_configENS1_25partition_config_selectorILNS1_17partition_subalgoE9EllbEEZZNS1_14partition_implILS5_9ELb0ES3_jPlS8_PNS0_10empty_typeENS0_5tupleIJS8_S9_EEENSB_IJS8_SA_EEENS0_18inequality_wrapperIZN2at6native12_GLOBAL__N_124unique_dim_cuda_templateIlEESt5tupleIJNSF_6TensorESK_SK_EERKSK_lbbbEUlllE0_EEPmJS9_EEE10hipError_tPvRmT3_T4_T5_T6_T7_T9_mT8_P12ihipStream_tbDpT10_ENKUlT_T0_E_clISt17integral_constantIbLb0EES19_IbLb1EEEEDaS15_S16_EUlS15_E_NS1_11comp_targetILNS1_3genE3ELNS1_11target_archE908ELNS1_3gpuE7ELNS1_3repE0EEENS1_30default_config_static_selectorELNS0_4arch9wavefront6targetE1EEEvT1_
; %bb.0:
	.section	.rodata,"a",@progbits
	.p2align	6, 0x0
	.amdhsa_kernel _ZN7rocprim17ROCPRIM_400000_NS6detail17trampoline_kernelINS0_14default_configENS1_25partition_config_selectorILNS1_17partition_subalgoE9EllbEEZZNS1_14partition_implILS5_9ELb0ES3_jPlS8_PNS0_10empty_typeENS0_5tupleIJS8_S9_EEENSB_IJS8_SA_EEENS0_18inequality_wrapperIZN2at6native12_GLOBAL__N_124unique_dim_cuda_templateIlEESt5tupleIJNSF_6TensorESK_SK_EERKSK_lbbbEUlllE0_EEPmJS9_EEE10hipError_tPvRmT3_T4_T5_T6_T7_T9_mT8_P12ihipStream_tbDpT10_ENKUlT_T0_E_clISt17integral_constantIbLb0EES19_IbLb1EEEEDaS15_S16_EUlS15_E_NS1_11comp_targetILNS1_3genE3ELNS1_11target_archE908ELNS1_3gpuE7ELNS1_3repE0EEENS1_30default_config_static_selectorELNS0_4arch9wavefront6targetE1EEEvT1_
		.amdhsa_group_segment_fixed_size 0
		.amdhsa_private_segment_fixed_size 0
		.amdhsa_kernarg_size 136
		.amdhsa_user_sgpr_count 2
		.amdhsa_user_sgpr_dispatch_ptr 0
		.amdhsa_user_sgpr_queue_ptr 0
		.amdhsa_user_sgpr_kernarg_segment_ptr 1
		.amdhsa_user_sgpr_dispatch_id 0
		.amdhsa_user_sgpr_kernarg_preload_length 0
		.amdhsa_user_sgpr_kernarg_preload_offset 0
		.amdhsa_user_sgpr_private_segment_size 0
		.amdhsa_uses_dynamic_stack 0
		.amdhsa_enable_private_segment 0
		.amdhsa_system_sgpr_workgroup_id_x 1
		.amdhsa_system_sgpr_workgroup_id_y 0
		.amdhsa_system_sgpr_workgroup_id_z 0
		.amdhsa_system_sgpr_workgroup_info 0
		.amdhsa_system_vgpr_workitem_id 0
		.amdhsa_next_free_vgpr 1
		.amdhsa_next_free_sgpr 0
		.amdhsa_accum_offset 4
		.amdhsa_reserve_vcc 0
		.amdhsa_float_round_mode_32 0
		.amdhsa_float_round_mode_16_64 0
		.amdhsa_float_denorm_mode_32 3
		.amdhsa_float_denorm_mode_16_64 3
		.amdhsa_dx10_clamp 1
		.amdhsa_ieee_mode 1
		.amdhsa_fp16_overflow 0
		.amdhsa_tg_split 0
		.amdhsa_exception_fp_ieee_invalid_op 0
		.amdhsa_exception_fp_denorm_src 0
		.amdhsa_exception_fp_ieee_div_zero 0
		.amdhsa_exception_fp_ieee_overflow 0
		.amdhsa_exception_fp_ieee_underflow 0
		.amdhsa_exception_fp_ieee_inexact 0
		.amdhsa_exception_int_div_zero 0
	.end_amdhsa_kernel
	.section	.text._ZN7rocprim17ROCPRIM_400000_NS6detail17trampoline_kernelINS0_14default_configENS1_25partition_config_selectorILNS1_17partition_subalgoE9EllbEEZZNS1_14partition_implILS5_9ELb0ES3_jPlS8_PNS0_10empty_typeENS0_5tupleIJS8_S9_EEENSB_IJS8_SA_EEENS0_18inequality_wrapperIZN2at6native12_GLOBAL__N_124unique_dim_cuda_templateIlEESt5tupleIJNSF_6TensorESK_SK_EERKSK_lbbbEUlllE0_EEPmJS9_EEE10hipError_tPvRmT3_T4_T5_T6_T7_T9_mT8_P12ihipStream_tbDpT10_ENKUlT_T0_E_clISt17integral_constantIbLb0EES19_IbLb1EEEEDaS15_S16_EUlS15_E_NS1_11comp_targetILNS1_3genE3ELNS1_11target_archE908ELNS1_3gpuE7ELNS1_3repE0EEENS1_30default_config_static_selectorELNS0_4arch9wavefront6targetE1EEEvT1_,"axG",@progbits,_ZN7rocprim17ROCPRIM_400000_NS6detail17trampoline_kernelINS0_14default_configENS1_25partition_config_selectorILNS1_17partition_subalgoE9EllbEEZZNS1_14partition_implILS5_9ELb0ES3_jPlS8_PNS0_10empty_typeENS0_5tupleIJS8_S9_EEENSB_IJS8_SA_EEENS0_18inequality_wrapperIZN2at6native12_GLOBAL__N_124unique_dim_cuda_templateIlEESt5tupleIJNSF_6TensorESK_SK_EERKSK_lbbbEUlllE0_EEPmJS9_EEE10hipError_tPvRmT3_T4_T5_T6_T7_T9_mT8_P12ihipStream_tbDpT10_ENKUlT_T0_E_clISt17integral_constantIbLb0EES19_IbLb1EEEEDaS15_S16_EUlS15_E_NS1_11comp_targetILNS1_3genE3ELNS1_11target_archE908ELNS1_3gpuE7ELNS1_3repE0EEENS1_30default_config_static_selectorELNS0_4arch9wavefront6targetE1EEEvT1_,comdat
.Lfunc_end622:
	.size	_ZN7rocprim17ROCPRIM_400000_NS6detail17trampoline_kernelINS0_14default_configENS1_25partition_config_selectorILNS1_17partition_subalgoE9EllbEEZZNS1_14partition_implILS5_9ELb0ES3_jPlS8_PNS0_10empty_typeENS0_5tupleIJS8_S9_EEENSB_IJS8_SA_EEENS0_18inequality_wrapperIZN2at6native12_GLOBAL__N_124unique_dim_cuda_templateIlEESt5tupleIJNSF_6TensorESK_SK_EERKSK_lbbbEUlllE0_EEPmJS9_EEE10hipError_tPvRmT3_T4_T5_T6_T7_T9_mT8_P12ihipStream_tbDpT10_ENKUlT_T0_E_clISt17integral_constantIbLb0EES19_IbLb1EEEEDaS15_S16_EUlS15_E_NS1_11comp_targetILNS1_3genE3ELNS1_11target_archE908ELNS1_3gpuE7ELNS1_3repE0EEENS1_30default_config_static_selectorELNS0_4arch9wavefront6targetE1EEEvT1_, .Lfunc_end622-_ZN7rocprim17ROCPRIM_400000_NS6detail17trampoline_kernelINS0_14default_configENS1_25partition_config_selectorILNS1_17partition_subalgoE9EllbEEZZNS1_14partition_implILS5_9ELb0ES3_jPlS8_PNS0_10empty_typeENS0_5tupleIJS8_S9_EEENSB_IJS8_SA_EEENS0_18inequality_wrapperIZN2at6native12_GLOBAL__N_124unique_dim_cuda_templateIlEESt5tupleIJNSF_6TensorESK_SK_EERKSK_lbbbEUlllE0_EEPmJS9_EEE10hipError_tPvRmT3_T4_T5_T6_T7_T9_mT8_P12ihipStream_tbDpT10_ENKUlT_T0_E_clISt17integral_constantIbLb0EES19_IbLb1EEEEDaS15_S16_EUlS15_E_NS1_11comp_targetILNS1_3genE3ELNS1_11target_archE908ELNS1_3gpuE7ELNS1_3repE0EEENS1_30default_config_static_selectorELNS0_4arch9wavefront6targetE1EEEvT1_
                                        ; -- End function
	.set _ZN7rocprim17ROCPRIM_400000_NS6detail17trampoline_kernelINS0_14default_configENS1_25partition_config_selectorILNS1_17partition_subalgoE9EllbEEZZNS1_14partition_implILS5_9ELb0ES3_jPlS8_PNS0_10empty_typeENS0_5tupleIJS8_S9_EEENSB_IJS8_SA_EEENS0_18inequality_wrapperIZN2at6native12_GLOBAL__N_124unique_dim_cuda_templateIlEESt5tupleIJNSF_6TensorESK_SK_EERKSK_lbbbEUlllE0_EEPmJS9_EEE10hipError_tPvRmT3_T4_T5_T6_T7_T9_mT8_P12ihipStream_tbDpT10_ENKUlT_T0_E_clISt17integral_constantIbLb0EES19_IbLb1EEEEDaS15_S16_EUlS15_E_NS1_11comp_targetILNS1_3genE3ELNS1_11target_archE908ELNS1_3gpuE7ELNS1_3repE0EEENS1_30default_config_static_selectorELNS0_4arch9wavefront6targetE1EEEvT1_.num_vgpr, 0
	.set _ZN7rocprim17ROCPRIM_400000_NS6detail17trampoline_kernelINS0_14default_configENS1_25partition_config_selectorILNS1_17partition_subalgoE9EllbEEZZNS1_14partition_implILS5_9ELb0ES3_jPlS8_PNS0_10empty_typeENS0_5tupleIJS8_S9_EEENSB_IJS8_SA_EEENS0_18inequality_wrapperIZN2at6native12_GLOBAL__N_124unique_dim_cuda_templateIlEESt5tupleIJNSF_6TensorESK_SK_EERKSK_lbbbEUlllE0_EEPmJS9_EEE10hipError_tPvRmT3_T4_T5_T6_T7_T9_mT8_P12ihipStream_tbDpT10_ENKUlT_T0_E_clISt17integral_constantIbLb0EES19_IbLb1EEEEDaS15_S16_EUlS15_E_NS1_11comp_targetILNS1_3genE3ELNS1_11target_archE908ELNS1_3gpuE7ELNS1_3repE0EEENS1_30default_config_static_selectorELNS0_4arch9wavefront6targetE1EEEvT1_.num_agpr, 0
	.set _ZN7rocprim17ROCPRIM_400000_NS6detail17trampoline_kernelINS0_14default_configENS1_25partition_config_selectorILNS1_17partition_subalgoE9EllbEEZZNS1_14partition_implILS5_9ELb0ES3_jPlS8_PNS0_10empty_typeENS0_5tupleIJS8_S9_EEENSB_IJS8_SA_EEENS0_18inequality_wrapperIZN2at6native12_GLOBAL__N_124unique_dim_cuda_templateIlEESt5tupleIJNSF_6TensorESK_SK_EERKSK_lbbbEUlllE0_EEPmJS9_EEE10hipError_tPvRmT3_T4_T5_T6_T7_T9_mT8_P12ihipStream_tbDpT10_ENKUlT_T0_E_clISt17integral_constantIbLb0EES19_IbLb1EEEEDaS15_S16_EUlS15_E_NS1_11comp_targetILNS1_3genE3ELNS1_11target_archE908ELNS1_3gpuE7ELNS1_3repE0EEENS1_30default_config_static_selectorELNS0_4arch9wavefront6targetE1EEEvT1_.numbered_sgpr, 0
	.set _ZN7rocprim17ROCPRIM_400000_NS6detail17trampoline_kernelINS0_14default_configENS1_25partition_config_selectorILNS1_17partition_subalgoE9EllbEEZZNS1_14partition_implILS5_9ELb0ES3_jPlS8_PNS0_10empty_typeENS0_5tupleIJS8_S9_EEENSB_IJS8_SA_EEENS0_18inequality_wrapperIZN2at6native12_GLOBAL__N_124unique_dim_cuda_templateIlEESt5tupleIJNSF_6TensorESK_SK_EERKSK_lbbbEUlllE0_EEPmJS9_EEE10hipError_tPvRmT3_T4_T5_T6_T7_T9_mT8_P12ihipStream_tbDpT10_ENKUlT_T0_E_clISt17integral_constantIbLb0EES19_IbLb1EEEEDaS15_S16_EUlS15_E_NS1_11comp_targetILNS1_3genE3ELNS1_11target_archE908ELNS1_3gpuE7ELNS1_3repE0EEENS1_30default_config_static_selectorELNS0_4arch9wavefront6targetE1EEEvT1_.num_named_barrier, 0
	.set _ZN7rocprim17ROCPRIM_400000_NS6detail17trampoline_kernelINS0_14default_configENS1_25partition_config_selectorILNS1_17partition_subalgoE9EllbEEZZNS1_14partition_implILS5_9ELb0ES3_jPlS8_PNS0_10empty_typeENS0_5tupleIJS8_S9_EEENSB_IJS8_SA_EEENS0_18inequality_wrapperIZN2at6native12_GLOBAL__N_124unique_dim_cuda_templateIlEESt5tupleIJNSF_6TensorESK_SK_EERKSK_lbbbEUlllE0_EEPmJS9_EEE10hipError_tPvRmT3_T4_T5_T6_T7_T9_mT8_P12ihipStream_tbDpT10_ENKUlT_T0_E_clISt17integral_constantIbLb0EES19_IbLb1EEEEDaS15_S16_EUlS15_E_NS1_11comp_targetILNS1_3genE3ELNS1_11target_archE908ELNS1_3gpuE7ELNS1_3repE0EEENS1_30default_config_static_selectorELNS0_4arch9wavefront6targetE1EEEvT1_.private_seg_size, 0
	.set _ZN7rocprim17ROCPRIM_400000_NS6detail17trampoline_kernelINS0_14default_configENS1_25partition_config_selectorILNS1_17partition_subalgoE9EllbEEZZNS1_14partition_implILS5_9ELb0ES3_jPlS8_PNS0_10empty_typeENS0_5tupleIJS8_S9_EEENSB_IJS8_SA_EEENS0_18inequality_wrapperIZN2at6native12_GLOBAL__N_124unique_dim_cuda_templateIlEESt5tupleIJNSF_6TensorESK_SK_EERKSK_lbbbEUlllE0_EEPmJS9_EEE10hipError_tPvRmT3_T4_T5_T6_T7_T9_mT8_P12ihipStream_tbDpT10_ENKUlT_T0_E_clISt17integral_constantIbLb0EES19_IbLb1EEEEDaS15_S16_EUlS15_E_NS1_11comp_targetILNS1_3genE3ELNS1_11target_archE908ELNS1_3gpuE7ELNS1_3repE0EEENS1_30default_config_static_selectorELNS0_4arch9wavefront6targetE1EEEvT1_.uses_vcc, 0
	.set _ZN7rocprim17ROCPRIM_400000_NS6detail17trampoline_kernelINS0_14default_configENS1_25partition_config_selectorILNS1_17partition_subalgoE9EllbEEZZNS1_14partition_implILS5_9ELb0ES3_jPlS8_PNS0_10empty_typeENS0_5tupleIJS8_S9_EEENSB_IJS8_SA_EEENS0_18inequality_wrapperIZN2at6native12_GLOBAL__N_124unique_dim_cuda_templateIlEESt5tupleIJNSF_6TensorESK_SK_EERKSK_lbbbEUlllE0_EEPmJS9_EEE10hipError_tPvRmT3_T4_T5_T6_T7_T9_mT8_P12ihipStream_tbDpT10_ENKUlT_T0_E_clISt17integral_constantIbLb0EES19_IbLb1EEEEDaS15_S16_EUlS15_E_NS1_11comp_targetILNS1_3genE3ELNS1_11target_archE908ELNS1_3gpuE7ELNS1_3repE0EEENS1_30default_config_static_selectorELNS0_4arch9wavefront6targetE1EEEvT1_.uses_flat_scratch, 0
	.set _ZN7rocprim17ROCPRIM_400000_NS6detail17trampoline_kernelINS0_14default_configENS1_25partition_config_selectorILNS1_17partition_subalgoE9EllbEEZZNS1_14partition_implILS5_9ELb0ES3_jPlS8_PNS0_10empty_typeENS0_5tupleIJS8_S9_EEENSB_IJS8_SA_EEENS0_18inequality_wrapperIZN2at6native12_GLOBAL__N_124unique_dim_cuda_templateIlEESt5tupleIJNSF_6TensorESK_SK_EERKSK_lbbbEUlllE0_EEPmJS9_EEE10hipError_tPvRmT3_T4_T5_T6_T7_T9_mT8_P12ihipStream_tbDpT10_ENKUlT_T0_E_clISt17integral_constantIbLb0EES19_IbLb1EEEEDaS15_S16_EUlS15_E_NS1_11comp_targetILNS1_3genE3ELNS1_11target_archE908ELNS1_3gpuE7ELNS1_3repE0EEENS1_30default_config_static_selectorELNS0_4arch9wavefront6targetE1EEEvT1_.has_dyn_sized_stack, 0
	.set _ZN7rocprim17ROCPRIM_400000_NS6detail17trampoline_kernelINS0_14default_configENS1_25partition_config_selectorILNS1_17partition_subalgoE9EllbEEZZNS1_14partition_implILS5_9ELb0ES3_jPlS8_PNS0_10empty_typeENS0_5tupleIJS8_S9_EEENSB_IJS8_SA_EEENS0_18inequality_wrapperIZN2at6native12_GLOBAL__N_124unique_dim_cuda_templateIlEESt5tupleIJNSF_6TensorESK_SK_EERKSK_lbbbEUlllE0_EEPmJS9_EEE10hipError_tPvRmT3_T4_T5_T6_T7_T9_mT8_P12ihipStream_tbDpT10_ENKUlT_T0_E_clISt17integral_constantIbLb0EES19_IbLb1EEEEDaS15_S16_EUlS15_E_NS1_11comp_targetILNS1_3genE3ELNS1_11target_archE908ELNS1_3gpuE7ELNS1_3repE0EEENS1_30default_config_static_selectorELNS0_4arch9wavefront6targetE1EEEvT1_.has_recursion, 0
	.set _ZN7rocprim17ROCPRIM_400000_NS6detail17trampoline_kernelINS0_14default_configENS1_25partition_config_selectorILNS1_17partition_subalgoE9EllbEEZZNS1_14partition_implILS5_9ELb0ES3_jPlS8_PNS0_10empty_typeENS0_5tupleIJS8_S9_EEENSB_IJS8_SA_EEENS0_18inequality_wrapperIZN2at6native12_GLOBAL__N_124unique_dim_cuda_templateIlEESt5tupleIJNSF_6TensorESK_SK_EERKSK_lbbbEUlllE0_EEPmJS9_EEE10hipError_tPvRmT3_T4_T5_T6_T7_T9_mT8_P12ihipStream_tbDpT10_ENKUlT_T0_E_clISt17integral_constantIbLb0EES19_IbLb1EEEEDaS15_S16_EUlS15_E_NS1_11comp_targetILNS1_3genE3ELNS1_11target_archE908ELNS1_3gpuE7ELNS1_3repE0EEENS1_30default_config_static_selectorELNS0_4arch9wavefront6targetE1EEEvT1_.has_indirect_call, 0
	.section	.AMDGPU.csdata,"",@progbits
; Kernel info:
; codeLenInByte = 0
; TotalNumSgprs: 6
; NumVgprs: 0
; NumAgprs: 0
; TotalNumVgprs: 0
; ScratchSize: 0
; MemoryBound: 0
; FloatMode: 240
; IeeeMode: 1
; LDSByteSize: 0 bytes/workgroup (compile time only)
; SGPRBlocks: 0
; VGPRBlocks: 0
; NumSGPRsForWavesPerEU: 6
; NumVGPRsForWavesPerEU: 1
; AccumOffset: 4
; Occupancy: 8
; WaveLimiterHint : 0
; COMPUTE_PGM_RSRC2:SCRATCH_EN: 0
; COMPUTE_PGM_RSRC2:USER_SGPR: 2
; COMPUTE_PGM_RSRC2:TRAP_HANDLER: 0
; COMPUTE_PGM_RSRC2:TGID_X_EN: 1
; COMPUTE_PGM_RSRC2:TGID_Y_EN: 0
; COMPUTE_PGM_RSRC2:TGID_Z_EN: 0
; COMPUTE_PGM_RSRC2:TIDIG_COMP_CNT: 0
; COMPUTE_PGM_RSRC3_GFX90A:ACCUM_OFFSET: 0
; COMPUTE_PGM_RSRC3_GFX90A:TG_SPLIT: 0
	.section	.text._ZN7rocprim17ROCPRIM_400000_NS6detail17trampoline_kernelINS0_14default_configENS1_25partition_config_selectorILNS1_17partition_subalgoE9EllbEEZZNS1_14partition_implILS5_9ELb0ES3_jPlS8_PNS0_10empty_typeENS0_5tupleIJS8_S9_EEENSB_IJS8_SA_EEENS0_18inequality_wrapperIZN2at6native12_GLOBAL__N_124unique_dim_cuda_templateIlEESt5tupleIJNSF_6TensorESK_SK_EERKSK_lbbbEUlllE0_EEPmJS9_EEE10hipError_tPvRmT3_T4_T5_T6_T7_T9_mT8_P12ihipStream_tbDpT10_ENKUlT_T0_E_clISt17integral_constantIbLb0EES19_IbLb1EEEEDaS15_S16_EUlS15_E_NS1_11comp_targetILNS1_3genE2ELNS1_11target_archE906ELNS1_3gpuE6ELNS1_3repE0EEENS1_30default_config_static_selectorELNS0_4arch9wavefront6targetE1EEEvT1_,"axG",@progbits,_ZN7rocprim17ROCPRIM_400000_NS6detail17trampoline_kernelINS0_14default_configENS1_25partition_config_selectorILNS1_17partition_subalgoE9EllbEEZZNS1_14partition_implILS5_9ELb0ES3_jPlS8_PNS0_10empty_typeENS0_5tupleIJS8_S9_EEENSB_IJS8_SA_EEENS0_18inequality_wrapperIZN2at6native12_GLOBAL__N_124unique_dim_cuda_templateIlEESt5tupleIJNSF_6TensorESK_SK_EERKSK_lbbbEUlllE0_EEPmJS9_EEE10hipError_tPvRmT3_T4_T5_T6_T7_T9_mT8_P12ihipStream_tbDpT10_ENKUlT_T0_E_clISt17integral_constantIbLb0EES19_IbLb1EEEEDaS15_S16_EUlS15_E_NS1_11comp_targetILNS1_3genE2ELNS1_11target_archE906ELNS1_3gpuE6ELNS1_3repE0EEENS1_30default_config_static_selectorELNS0_4arch9wavefront6targetE1EEEvT1_,comdat
	.globl	_ZN7rocprim17ROCPRIM_400000_NS6detail17trampoline_kernelINS0_14default_configENS1_25partition_config_selectorILNS1_17partition_subalgoE9EllbEEZZNS1_14partition_implILS5_9ELb0ES3_jPlS8_PNS0_10empty_typeENS0_5tupleIJS8_S9_EEENSB_IJS8_SA_EEENS0_18inequality_wrapperIZN2at6native12_GLOBAL__N_124unique_dim_cuda_templateIlEESt5tupleIJNSF_6TensorESK_SK_EERKSK_lbbbEUlllE0_EEPmJS9_EEE10hipError_tPvRmT3_T4_T5_T6_T7_T9_mT8_P12ihipStream_tbDpT10_ENKUlT_T0_E_clISt17integral_constantIbLb0EES19_IbLb1EEEEDaS15_S16_EUlS15_E_NS1_11comp_targetILNS1_3genE2ELNS1_11target_archE906ELNS1_3gpuE6ELNS1_3repE0EEENS1_30default_config_static_selectorELNS0_4arch9wavefront6targetE1EEEvT1_ ; -- Begin function _ZN7rocprim17ROCPRIM_400000_NS6detail17trampoline_kernelINS0_14default_configENS1_25partition_config_selectorILNS1_17partition_subalgoE9EllbEEZZNS1_14partition_implILS5_9ELb0ES3_jPlS8_PNS0_10empty_typeENS0_5tupleIJS8_S9_EEENSB_IJS8_SA_EEENS0_18inequality_wrapperIZN2at6native12_GLOBAL__N_124unique_dim_cuda_templateIlEESt5tupleIJNSF_6TensorESK_SK_EERKSK_lbbbEUlllE0_EEPmJS9_EEE10hipError_tPvRmT3_T4_T5_T6_T7_T9_mT8_P12ihipStream_tbDpT10_ENKUlT_T0_E_clISt17integral_constantIbLb0EES19_IbLb1EEEEDaS15_S16_EUlS15_E_NS1_11comp_targetILNS1_3genE2ELNS1_11target_archE906ELNS1_3gpuE6ELNS1_3repE0EEENS1_30default_config_static_selectorELNS0_4arch9wavefront6targetE1EEEvT1_
	.p2align	8
	.type	_ZN7rocprim17ROCPRIM_400000_NS6detail17trampoline_kernelINS0_14default_configENS1_25partition_config_selectorILNS1_17partition_subalgoE9EllbEEZZNS1_14partition_implILS5_9ELb0ES3_jPlS8_PNS0_10empty_typeENS0_5tupleIJS8_S9_EEENSB_IJS8_SA_EEENS0_18inequality_wrapperIZN2at6native12_GLOBAL__N_124unique_dim_cuda_templateIlEESt5tupleIJNSF_6TensorESK_SK_EERKSK_lbbbEUlllE0_EEPmJS9_EEE10hipError_tPvRmT3_T4_T5_T6_T7_T9_mT8_P12ihipStream_tbDpT10_ENKUlT_T0_E_clISt17integral_constantIbLb0EES19_IbLb1EEEEDaS15_S16_EUlS15_E_NS1_11comp_targetILNS1_3genE2ELNS1_11target_archE906ELNS1_3gpuE6ELNS1_3repE0EEENS1_30default_config_static_selectorELNS0_4arch9wavefront6targetE1EEEvT1_,@function
_ZN7rocprim17ROCPRIM_400000_NS6detail17trampoline_kernelINS0_14default_configENS1_25partition_config_selectorILNS1_17partition_subalgoE9EllbEEZZNS1_14partition_implILS5_9ELb0ES3_jPlS8_PNS0_10empty_typeENS0_5tupleIJS8_S9_EEENSB_IJS8_SA_EEENS0_18inequality_wrapperIZN2at6native12_GLOBAL__N_124unique_dim_cuda_templateIlEESt5tupleIJNSF_6TensorESK_SK_EERKSK_lbbbEUlllE0_EEPmJS9_EEE10hipError_tPvRmT3_T4_T5_T6_T7_T9_mT8_P12ihipStream_tbDpT10_ENKUlT_T0_E_clISt17integral_constantIbLb0EES19_IbLb1EEEEDaS15_S16_EUlS15_E_NS1_11comp_targetILNS1_3genE2ELNS1_11target_archE906ELNS1_3gpuE6ELNS1_3repE0EEENS1_30default_config_static_selectorELNS0_4arch9wavefront6targetE1EEEvT1_: ; @_ZN7rocprim17ROCPRIM_400000_NS6detail17trampoline_kernelINS0_14default_configENS1_25partition_config_selectorILNS1_17partition_subalgoE9EllbEEZZNS1_14partition_implILS5_9ELb0ES3_jPlS8_PNS0_10empty_typeENS0_5tupleIJS8_S9_EEENSB_IJS8_SA_EEENS0_18inequality_wrapperIZN2at6native12_GLOBAL__N_124unique_dim_cuda_templateIlEESt5tupleIJNSF_6TensorESK_SK_EERKSK_lbbbEUlllE0_EEPmJS9_EEE10hipError_tPvRmT3_T4_T5_T6_T7_T9_mT8_P12ihipStream_tbDpT10_ENKUlT_T0_E_clISt17integral_constantIbLb0EES19_IbLb1EEEEDaS15_S16_EUlS15_E_NS1_11comp_targetILNS1_3genE2ELNS1_11target_archE906ELNS1_3gpuE6ELNS1_3repE0EEENS1_30default_config_static_selectorELNS0_4arch9wavefront6targetE1EEEvT1_
; %bb.0:
	.section	.rodata,"a",@progbits
	.p2align	6, 0x0
	.amdhsa_kernel _ZN7rocprim17ROCPRIM_400000_NS6detail17trampoline_kernelINS0_14default_configENS1_25partition_config_selectorILNS1_17partition_subalgoE9EllbEEZZNS1_14partition_implILS5_9ELb0ES3_jPlS8_PNS0_10empty_typeENS0_5tupleIJS8_S9_EEENSB_IJS8_SA_EEENS0_18inequality_wrapperIZN2at6native12_GLOBAL__N_124unique_dim_cuda_templateIlEESt5tupleIJNSF_6TensorESK_SK_EERKSK_lbbbEUlllE0_EEPmJS9_EEE10hipError_tPvRmT3_T4_T5_T6_T7_T9_mT8_P12ihipStream_tbDpT10_ENKUlT_T0_E_clISt17integral_constantIbLb0EES19_IbLb1EEEEDaS15_S16_EUlS15_E_NS1_11comp_targetILNS1_3genE2ELNS1_11target_archE906ELNS1_3gpuE6ELNS1_3repE0EEENS1_30default_config_static_selectorELNS0_4arch9wavefront6targetE1EEEvT1_
		.amdhsa_group_segment_fixed_size 0
		.amdhsa_private_segment_fixed_size 0
		.amdhsa_kernarg_size 136
		.amdhsa_user_sgpr_count 2
		.amdhsa_user_sgpr_dispatch_ptr 0
		.amdhsa_user_sgpr_queue_ptr 0
		.amdhsa_user_sgpr_kernarg_segment_ptr 1
		.amdhsa_user_sgpr_dispatch_id 0
		.amdhsa_user_sgpr_kernarg_preload_length 0
		.amdhsa_user_sgpr_kernarg_preload_offset 0
		.amdhsa_user_sgpr_private_segment_size 0
		.amdhsa_uses_dynamic_stack 0
		.amdhsa_enable_private_segment 0
		.amdhsa_system_sgpr_workgroup_id_x 1
		.amdhsa_system_sgpr_workgroup_id_y 0
		.amdhsa_system_sgpr_workgroup_id_z 0
		.amdhsa_system_sgpr_workgroup_info 0
		.amdhsa_system_vgpr_workitem_id 0
		.amdhsa_next_free_vgpr 1
		.amdhsa_next_free_sgpr 0
		.amdhsa_accum_offset 4
		.amdhsa_reserve_vcc 0
		.amdhsa_float_round_mode_32 0
		.amdhsa_float_round_mode_16_64 0
		.amdhsa_float_denorm_mode_32 3
		.amdhsa_float_denorm_mode_16_64 3
		.amdhsa_dx10_clamp 1
		.amdhsa_ieee_mode 1
		.amdhsa_fp16_overflow 0
		.amdhsa_tg_split 0
		.amdhsa_exception_fp_ieee_invalid_op 0
		.amdhsa_exception_fp_denorm_src 0
		.amdhsa_exception_fp_ieee_div_zero 0
		.amdhsa_exception_fp_ieee_overflow 0
		.amdhsa_exception_fp_ieee_underflow 0
		.amdhsa_exception_fp_ieee_inexact 0
		.amdhsa_exception_int_div_zero 0
	.end_amdhsa_kernel
	.section	.text._ZN7rocprim17ROCPRIM_400000_NS6detail17trampoline_kernelINS0_14default_configENS1_25partition_config_selectorILNS1_17partition_subalgoE9EllbEEZZNS1_14partition_implILS5_9ELb0ES3_jPlS8_PNS0_10empty_typeENS0_5tupleIJS8_S9_EEENSB_IJS8_SA_EEENS0_18inequality_wrapperIZN2at6native12_GLOBAL__N_124unique_dim_cuda_templateIlEESt5tupleIJNSF_6TensorESK_SK_EERKSK_lbbbEUlllE0_EEPmJS9_EEE10hipError_tPvRmT3_T4_T5_T6_T7_T9_mT8_P12ihipStream_tbDpT10_ENKUlT_T0_E_clISt17integral_constantIbLb0EES19_IbLb1EEEEDaS15_S16_EUlS15_E_NS1_11comp_targetILNS1_3genE2ELNS1_11target_archE906ELNS1_3gpuE6ELNS1_3repE0EEENS1_30default_config_static_selectorELNS0_4arch9wavefront6targetE1EEEvT1_,"axG",@progbits,_ZN7rocprim17ROCPRIM_400000_NS6detail17trampoline_kernelINS0_14default_configENS1_25partition_config_selectorILNS1_17partition_subalgoE9EllbEEZZNS1_14partition_implILS5_9ELb0ES3_jPlS8_PNS0_10empty_typeENS0_5tupleIJS8_S9_EEENSB_IJS8_SA_EEENS0_18inequality_wrapperIZN2at6native12_GLOBAL__N_124unique_dim_cuda_templateIlEESt5tupleIJNSF_6TensorESK_SK_EERKSK_lbbbEUlllE0_EEPmJS9_EEE10hipError_tPvRmT3_T4_T5_T6_T7_T9_mT8_P12ihipStream_tbDpT10_ENKUlT_T0_E_clISt17integral_constantIbLb0EES19_IbLb1EEEEDaS15_S16_EUlS15_E_NS1_11comp_targetILNS1_3genE2ELNS1_11target_archE906ELNS1_3gpuE6ELNS1_3repE0EEENS1_30default_config_static_selectorELNS0_4arch9wavefront6targetE1EEEvT1_,comdat
.Lfunc_end623:
	.size	_ZN7rocprim17ROCPRIM_400000_NS6detail17trampoline_kernelINS0_14default_configENS1_25partition_config_selectorILNS1_17partition_subalgoE9EllbEEZZNS1_14partition_implILS5_9ELb0ES3_jPlS8_PNS0_10empty_typeENS0_5tupleIJS8_S9_EEENSB_IJS8_SA_EEENS0_18inequality_wrapperIZN2at6native12_GLOBAL__N_124unique_dim_cuda_templateIlEESt5tupleIJNSF_6TensorESK_SK_EERKSK_lbbbEUlllE0_EEPmJS9_EEE10hipError_tPvRmT3_T4_T5_T6_T7_T9_mT8_P12ihipStream_tbDpT10_ENKUlT_T0_E_clISt17integral_constantIbLb0EES19_IbLb1EEEEDaS15_S16_EUlS15_E_NS1_11comp_targetILNS1_3genE2ELNS1_11target_archE906ELNS1_3gpuE6ELNS1_3repE0EEENS1_30default_config_static_selectorELNS0_4arch9wavefront6targetE1EEEvT1_, .Lfunc_end623-_ZN7rocprim17ROCPRIM_400000_NS6detail17trampoline_kernelINS0_14default_configENS1_25partition_config_selectorILNS1_17partition_subalgoE9EllbEEZZNS1_14partition_implILS5_9ELb0ES3_jPlS8_PNS0_10empty_typeENS0_5tupleIJS8_S9_EEENSB_IJS8_SA_EEENS0_18inequality_wrapperIZN2at6native12_GLOBAL__N_124unique_dim_cuda_templateIlEESt5tupleIJNSF_6TensorESK_SK_EERKSK_lbbbEUlllE0_EEPmJS9_EEE10hipError_tPvRmT3_T4_T5_T6_T7_T9_mT8_P12ihipStream_tbDpT10_ENKUlT_T0_E_clISt17integral_constantIbLb0EES19_IbLb1EEEEDaS15_S16_EUlS15_E_NS1_11comp_targetILNS1_3genE2ELNS1_11target_archE906ELNS1_3gpuE6ELNS1_3repE0EEENS1_30default_config_static_selectorELNS0_4arch9wavefront6targetE1EEEvT1_
                                        ; -- End function
	.set _ZN7rocprim17ROCPRIM_400000_NS6detail17trampoline_kernelINS0_14default_configENS1_25partition_config_selectorILNS1_17partition_subalgoE9EllbEEZZNS1_14partition_implILS5_9ELb0ES3_jPlS8_PNS0_10empty_typeENS0_5tupleIJS8_S9_EEENSB_IJS8_SA_EEENS0_18inequality_wrapperIZN2at6native12_GLOBAL__N_124unique_dim_cuda_templateIlEESt5tupleIJNSF_6TensorESK_SK_EERKSK_lbbbEUlllE0_EEPmJS9_EEE10hipError_tPvRmT3_T4_T5_T6_T7_T9_mT8_P12ihipStream_tbDpT10_ENKUlT_T0_E_clISt17integral_constantIbLb0EES19_IbLb1EEEEDaS15_S16_EUlS15_E_NS1_11comp_targetILNS1_3genE2ELNS1_11target_archE906ELNS1_3gpuE6ELNS1_3repE0EEENS1_30default_config_static_selectorELNS0_4arch9wavefront6targetE1EEEvT1_.num_vgpr, 0
	.set _ZN7rocprim17ROCPRIM_400000_NS6detail17trampoline_kernelINS0_14default_configENS1_25partition_config_selectorILNS1_17partition_subalgoE9EllbEEZZNS1_14partition_implILS5_9ELb0ES3_jPlS8_PNS0_10empty_typeENS0_5tupleIJS8_S9_EEENSB_IJS8_SA_EEENS0_18inequality_wrapperIZN2at6native12_GLOBAL__N_124unique_dim_cuda_templateIlEESt5tupleIJNSF_6TensorESK_SK_EERKSK_lbbbEUlllE0_EEPmJS9_EEE10hipError_tPvRmT3_T4_T5_T6_T7_T9_mT8_P12ihipStream_tbDpT10_ENKUlT_T0_E_clISt17integral_constantIbLb0EES19_IbLb1EEEEDaS15_S16_EUlS15_E_NS1_11comp_targetILNS1_3genE2ELNS1_11target_archE906ELNS1_3gpuE6ELNS1_3repE0EEENS1_30default_config_static_selectorELNS0_4arch9wavefront6targetE1EEEvT1_.num_agpr, 0
	.set _ZN7rocprim17ROCPRIM_400000_NS6detail17trampoline_kernelINS0_14default_configENS1_25partition_config_selectorILNS1_17partition_subalgoE9EllbEEZZNS1_14partition_implILS5_9ELb0ES3_jPlS8_PNS0_10empty_typeENS0_5tupleIJS8_S9_EEENSB_IJS8_SA_EEENS0_18inequality_wrapperIZN2at6native12_GLOBAL__N_124unique_dim_cuda_templateIlEESt5tupleIJNSF_6TensorESK_SK_EERKSK_lbbbEUlllE0_EEPmJS9_EEE10hipError_tPvRmT3_T4_T5_T6_T7_T9_mT8_P12ihipStream_tbDpT10_ENKUlT_T0_E_clISt17integral_constantIbLb0EES19_IbLb1EEEEDaS15_S16_EUlS15_E_NS1_11comp_targetILNS1_3genE2ELNS1_11target_archE906ELNS1_3gpuE6ELNS1_3repE0EEENS1_30default_config_static_selectorELNS0_4arch9wavefront6targetE1EEEvT1_.numbered_sgpr, 0
	.set _ZN7rocprim17ROCPRIM_400000_NS6detail17trampoline_kernelINS0_14default_configENS1_25partition_config_selectorILNS1_17partition_subalgoE9EllbEEZZNS1_14partition_implILS5_9ELb0ES3_jPlS8_PNS0_10empty_typeENS0_5tupleIJS8_S9_EEENSB_IJS8_SA_EEENS0_18inequality_wrapperIZN2at6native12_GLOBAL__N_124unique_dim_cuda_templateIlEESt5tupleIJNSF_6TensorESK_SK_EERKSK_lbbbEUlllE0_EEPmJS9_EEE10hipError_tPvRmT3_T4_T5_T6_T7_T9_mT8_P12ihipStream_tbDpT10_ENKUlT_T0_E_clISt17integral_constantIbLb0EES19_IbLb1EEEEDaS15_S16_EUlS15_E_NS1_11comp_targetILNS1_3genE2ELNS1_11target_archE906ELNS1_3gpuE6ELNS1_3repE0EEENS1_30default_config_static_selectorELNS0_4arch9wavefront6targetE1EEEvT1_.num_named_barrier, 0
	.set _ZN7rocprim17ROCPRIM_400000_NS6detail17trampoline_kernelINS0_14default_configENS1_25partition_config_selectorILNS1_17partition_subalgoE9EllbEEZZNS1_14partition_implILS5_9ELb0ES3_jPlS8_PNS0_10empty_typeENS0_5tupleIJS8_S9_EEENSB_IJS8_SA_EEENS0_18inequality_wrapperIZN2at6native12_GLOBAL__N_124unique_dim_cuda_templateIlEESt5tupleIJNSF_6TensorESK_SK_EERKSK_lbbbEUlllE0_EEPmJS9_EEE10hipError_tPvRmT3_T4_T5_T6_T7_T9_mT8_P12ihipStream_tbDpT10_ENKUlT_T0_E_clISt17integral_constantIbLb0EES19_IbLb1EEEEDaS15_S16_EUlS15_E_NS1_11comp_targetILNS1_3genE2ELNS1_11target_archE906ELNS1_3gpuE6ELNS1_3repE0EEENS1_30default_config_static_selectorELNS0_4arch9wavefront6targetE1EEEvT1_.private_seg_size, 0
	.set _ZN7rocprim17ROCPRIM_400000_NS6detail17trampoline_kernelINS0_14default_configENS1_25partition_config_selectorILNS1_17partition_subalgoE9EllbEEZZNS1_14partition_implILS5_9ELb0ES3_jPlS8_PNS0_10empty_typeENS0_5tupleIJS8_S9_EEENSB_IJS8_SA_EEENS0_18inequality_wrapperIZN2at6native12_GLOBAL__N_124unique_dim_cuda_templateIlEESt5tupleIJNSF_6TensorESK_SK_EERKSK_lbbbEUlllE0_EEPmJS9_EEE10hipError_tPvRmT3_T4_T5_T6_T7_T9_mT8_P12ihipStream_tbDpT10_ENKUlT_T0_E_clISt17integral_constantIbLb0EES19_IbLb1EEEEDaS15_S16_EUlS15_E_NS1_11comp_targetILNS1_3genE2ELNS1_11target_archE906ELNS1_3gpuE6ELNS1_3repE0EEENS1_30default_config_static_selectorELNS0_4arch9wavefront6targetE1EEEvT1_.uses_vcc, 0
	.set _ZN7rocprim17ROCPRIM_400000_NS6detail17trampoline_kernelINS0_14default_configENS1_25partition_config_selectorILNS1_17partition_subalgoE9EllbEEZZNS1_14partition_implILS5_9ELb0ES3_jPlS8_PNS0_10empty_typeENS0_5tupleIJS8_S9_EEENSB_IJS8_SA_EEENS0_18inequality_wrapperIZN2at6native12_GLOBAL__N_124unique_dim_cuda_templateIlEESt5tupleIJNSF_6TensorESK_SK_EERKSK_lbbbEUlllE0_EEPmJS9_EEE10hipError_tPvRmT3_T4_T5_T6_T7_T9_mT8_P12ihipStream_tbDpT10_ENKUlT_T0_E_clISt17integral_constantIbLb0EES19_IbLb1EEEEDaS15_S16_EUlS15_E_NS1_11comp_targetILNS1_3genE2ELNS1_11target_archE906ELNS1_3gpuE6ELNS1_3repE0EEENS1_30default_config_static_selectorELNS0_4arch9wavefront6targetE1EEEvT1_.uses_flat_scratch, 0
	.set _ZN7rocprim17ROCPRIM_400000_NS6detail17trampoline_kernelINS0_14default_configENS1_25partition_config_selectorILNS1_17partition_subalgoE9EllbEEZZNS1_14partition_implILS5_9ELb0ES3_jPlS8_PNS0_10empty_typeENS0_5tupleIJS8_S9_EEENSB_IJS8_SA_EEENS0_18inequality_wrapperIZN2at6native12_GLOBAL__N_124unique_dim_cuda_templateIlEESt5tupleIJNSF_6TensorESK_SK_EERKSK_lbbbEUlllE0_EEPmJS9_EEE10hipError_tPvRmT3_T4_T5_T6_T7_T9_mT8_P12ihipStream_tbDpT10_ENKUlT_T0_E_clISt17integral_constantIbLb0EES19_IbLb1EEEEDaS15_S16_EUlS15_E_NS1_11comp_targetILNS1_3genE2ELNS1_11target_archE906ELNS1_3gpuE6ELNS1_3repE0EEENS1_30default_config_static_selectorELNS0_4arch9wavefront6targetE1EEEvT1_.has_dyn_sized_stack, 0
	.set _ZN7rocprim17ROCPRIM_400000_NS6detail17trampoline_kernelINS0_14default_configENS1_25partition_config_selectorILNS1_17partition_subalgoE9EllbEEZZNS1_14partition_implILS5_9ELb0ES3_jPlS8_PNS0_10empty_typeENS0_5tupleIJS8_S9_EEENSB_IJS8_SA_EEENS0_18inequality_wrapperIZN2at6native12_GLOBAL__N_124unique_dim_cuda_templateIlEESt5tupleIJNSF_6TensorESK_SK_EERKSK_lbbbEUlllE0_EEPmJS9_EEE10hipError_tPvRmT3_T4_T5_T6_T7_T9_mT8_P12ihipStream_tbDpT10_ENKUlT_T0_E_clISt17integral_constantIbLb0EES19_IbLb1EEEEDaS15_S16_EUlS15_E_NS1_11comp_targetILNS1_3genE2ELNS1_11target_archE906ELNS1_3gpuE6ELNS1_3repE0EEENS1_30default_config_static_selectorELNS0_4arch9wavefront6targetE1EEEvT1_.has_recursion, 0
	.set _ZN7rocprim17ROCPRIM_400000_NS6detail17trampoline_kernelINS0_14default_configENS1_25partition_config_selectorILNS1_17partition_subalgoE9EllbEEZZNS1_14partition_implILS5_9ELb0ES3_jPlS8_PNS0_10empty_typeENS0_5tupleIJS8_S9_EEENSB_IJS8_SA_EEENS0_18inequality_wrapperIZN2at6native12_GLOBAL__N_124unique_dim_cuda_templateIlEESt5tupleIJNSF_6TensorESK_SK_EERKSK_lbbbEUlllE0_EEPmJS9_EEE10hipError_tPvRmT3_T4_T5_T6_T7_T9_mT8_P12ihipStream_tbDpT10_ENKUlT_T0_E_clISt17integral_constantIbLb0EES19_IbLb1EEEEDaS15_S16_EUlS15_E_NS1_11comp_targetILNS1_3genE2ELNS1_11target_archE906ELNS1_3gpuE6ELNS1_3repE0EEENS1_30default_config_static_selectorELNS0_4arch9wavefront6targetE1EEEvT1_.has_indirect_call, 0
	.section	.AMDGPU.csdata,"",@progbits
; Kernel info:
; codeLenInByte = 0
; TotalNumSgprs: 6
; NumVgprs: 0
; NumAgprs: 0
; TotalNumVgprs: 0
; ScratchSize: 0
; MemoryBound: 0
; FloatMode: 240
; IeeeMode: 1
; LDSByteSize: 0 bytes/workgroup (compile time only)
; SGPRBlocks: 0
; VGPRBlocks: 0
; NumSGPRsForWavesPerEU: 6
; NumVGPRsForWavesPerEU: 1
; AccumOffset: 4
; Occupancy: 8
; WaveLimiterHint : 0
; COMPUTE_PGM_RSRC2:SCRATCH_EN: 0
; COMPUTE_PGM_RSRC2:USER_SGPR: 2
; COMPUTE_PGM_RSRC2:TRAP_HANDLER: 0
; COMPUTE_PGM_RSRC2:TGID_X_EN: 1
; COMPUTE_PGM_RSRC2:TGID_Y_EN: 0
; COMPUTE_PGM_RSRC2:TGID_Z_EN: 0
; COMPUTE_PGM_RSRC2:TIDIG_COMP_CNT: 0
; COMPUTE_PGM_RSRC3_GFX90A:ACCUM_OFFSET: 0
; COMPUTE_PGM_RSRC3_GFX90A:TG_SPLIT: 0
	.section	.text._ZN7rocprim17ROCPRIM_400000_NS6detail17trampoline_kernelINS0_14default_configENS1_25partition_config_selectorILNS1_17partition_subalgoE9EllbEEZZNS1_14partition_implILS5_9ELb0ES3_jPlS8_PNS0_10empty_typeENS0_5tupleIJS8_S9_EEENSB_IJS8_SA_EEENS0_18inequality_wrapperIZN2at6native12_GLOBAL__N_124unique_dim_cuda_templateIlEESt5tupleIJNSF_6TensorESK_SK_EERKSK_lbbbEUlllE0_EEPmJS9_EEE10hipError_tPvRmT3_T4_T5_T6_T7_T9_mT8_P12ihipStream_tbDpT10_ENKUlT_T0_E_clISt17integral_constantIbLb0EES19_IbLb1EEEEDaS15_S16_EUlS15_E_NS1_11comp_targetILNS1_3genE10ELNS1_11target_archE1200ELNS1_3gpuE4ELNS1_3repE0EEENS1_30default_config_static_selectorELNS0_4arch9wavefront6targetE1EEEvT1_,"axG",@progbits,_ZN7rocprim17ROCPRIM_400000_NS6detail17trampoline_kernelINS0_14default_configENS1_25partition_config_selectorILNS1_17partition_subalgoE9EllbEEZZNS1_14partition_implILS5_9ELb0ES3_jPlS8_PNS0_10empty_typeENS0_5tupleIJS8_S9_EEENSB_IJS8_SA_EEENS0_18inequality_wrapperIZN2at6native12_GLOBAL__N_124unique_dim_cuda_templateIlEESt5tupleIJNSF_6TensorESK_SK_EERKSK_lbbbEUlllE0_EEPmJS9_EEE10hipError_tPvRmT3_T4_T5_T6_T7_T9_mT8_P12ihipStream_tbDpT10_ENKUlT_T0_E_clISt17integral_constantIbLb0EES19_IbLb1EEEEDaS15_S16_EUlS15_E_NS1_11comp_targetILNS1_3genE10ELNS1_11target_archE1200ELNS1_3gpuE4ELNS1_3repE0EEENS1_30default_config_static_selectorELNS0_4arch9wavefront6targetE1EEEvT1_,comdat
	.globl	_ZN7rocprim17ROCPRIM_400000_NS6detail17trampoline_kernelINS0_14default_configENS1_25partition_config_selectorILNS1_17partition_subalgoE9EllbEEZZNS1_14partition_implILS5_9ELb0ES3_jPlS8_PNS0_10empty_typeENS0_5tupleIJS8_S9_EEENSB_IJS8_SA_EEENS0_18inequality_wrapperIZN2at6native12_GLOBAL__N_124unique_dim_cuda_templateIlEESt5tupleIJNSF_6TensorESK_SK_EERKSK_lbbbEUlllE0_EEPmJS9_EEE10hipError_tPvRmT3_T4_T5_T6_T7_T9_mT8_P12ihipStream_tbDpT10_ENKUlT_T0_E_clISt17integral_constantIbLb0EES19_IbLb1EEEEDaS15_S16_EUlS15_E_NS1_11comp_targetILNS1_3genE10ELNS1_11target_archE1200ELNS1_3gpuE4ELNS1_3repE0EEENS1_30default_config_static_selectorELNS0_4arch9wavefront6targetE1EEEvT1_ ; -- Begin function _ZN7rocprim17ROCPRIM_400000_NS6detail17trampoline_kernelINS0_14default_configENS1_25partition_config_selectorILNS1_17partition_subalgoE9EllbEEZZNS1_14partition_implILS5_9ELb0ES3_jPlS8_PNS0_10empty_typeENS0_5tupleIJS8_S9_EEENSB_IJS8_SA_EEENS0_18inequality_wrapperIZN2at6native12_GLOBAL__N_124unique_dim_cuda_templateIlEESt5tupleIJNSF_6TensorESK_SK_EERKSK_lbbbEUlllE0_EEPmJS9_EEE10hipError_tPvRmT3_T4_T5_T6_T7_T9_mT8_P12ihipStream_tbDpT10_ENKUlT_T0_E_clISt17integral_constantIbLb0EES19_IbLb1EEEEDaS15_S16_EUlS15_E_NS1_11comp_targetILNS1_3genE10ELNS1_11target_archE1200ELNS1_3gpuE4ELNS1_3repE0EEENS1_30default_config_static_selectorELNS0_4arch9wavefront6targetE1EEEvT1_
	.p2align	8
	.type	_ZN7rocprim17ROCPRIM_400000_NS6detail17trampoline_kernelINS0_14default_configENS1_25partition_config_selectorILNS1_17partition_subalgoE9EllbEEZZNS1_14partition_implILS5_9ELb0ES3_jPlS8_PNS0_10empty_typeENS0_5tupleIJS8_S9_EEENSB_IJS8_SA_EEENS0_18inequality_wrapperIZN2at6native12_GLOBAL__N_124unique_dim_cuda_templateIlEESt5tupleIJNSF_6TensorESK_SK_EERKSK_lbbbEUlllE0_EEPmJS9_EEE10hipError_tPvRmT3_T4_T5_T6_T7_T9_mT8_P12ihipStream_tbDpT10_ENKUlT_T0_E_clISt17integral_constantIbLb0EES19_IbLb1EEEEDaS15_S16_EUlS15_E_NS1_11comp_targetILNS1_3genE10ELNS1_11target_archE1200ELNS1_3gpuE4ELNS1_3repE0EEENS1_30default_config_static_selectorELNS0_4arch9wavefront6targetE1EEEvT1_,@function
_ZN7rocprim17ROCPRIM_400000_NS6detail17trampoline_kernelINS0_14default_configENS1_25partition_config_selectorILNS1_17partition_subalgoE9EllbEEZZNS1_14partition_implILS5_9ELb0ES3_jPlS8_PNS0_10empty_typeENS0_5tupleIJS8_S9_EEENSB_IJS8_SA_EEENS0_18inequality_wrapperIZN2at6native12_GLOBAL__N_124unique_dim_cuda_templateIlEESt5tupleIJNSF_6TensorESK_SK_EERKSK_lbbbEUlllE0_EEPmJS9_EEE10hipError_tPvRmT3_T4_T5_T6_T7_T9_mT8_P12ihipStream_tbDpT10_ENKUlT_T0_E_clISt17integral_constantIbLb0EES19_IbLb1EEEEDaS15_S16_EUlS15_E_NS1_11comp_targetILNS1_3genE10ELNS1_11target_archE1200ELNS1_3gpuE4ELNS1_3repE0EEENS1_30default_config_static_selectorELNS0_4arch9wavefront6targetE1EEEvT1_: ; @_ZN7rocprim17ROCPRIM_400000_NS6detail17trampoline_kernelINS0_14default_configENS1_25partition_config_selectorILNS1_17partition_subalgoE9EllbEEZZNS1_14partition_implILS5_9ELb0ES3_jPlS8_PNS0_10empty_typeENS0_5tupleIJS8_S9_EEENSB_IJS8_SA_EEENS0_18inequality_wrapperIZN2at6native12_GLOBAL__N_124unique_dim_cuda_templateIlEESt5tupleIJNSF_6TensorESK_SK_EERKSK_lbbbEUlllE0_EEPmJS9_EEE10hipError_tPvRmT3_T4_T5_T6_T7_T9_mT8_P12ihipStream_tbDpT10_ENKUlT_T0_E_clISt17integral_constantIbLb0EES19_IbLb1EEEEDaS15_S16_EUlS15_E_NS1_11comp_targetILNS1_3genE10ELNS1_11target_archE1200ELNS1_3gpuE4ELNS1_3repE0EEENS1_30default_config_static_selectorELNS0_4arch9wavefront6targetE1EEEvT1_
; %bb.0:
	.section	.rodata,"a",@progbits
	.p2align	6, 0x0
	.amdhsa_kernel _ZN7rocprim17ROCPRIM_400000_NS6detail17trampoline_kernelINS0_14default_configENS1_25partition_config_selectorILNS1_17partition_subalgoE9EllbEEZZNS1_14partition_implILS5_9ELb0ES3_jPlS8_PNS0_10empty_typeENS0_5tupleIJS8_S9_EEENSB_IJS8_SA_EEENS0_18inequality_wrapperIZN2at6native12_GLOBAL__N_124unique_dim_cuda_templateIlEESt5tupleIJNSF_6TensorESK_SK_EERKSK_lbbbEUlllE0_EEPmJS9_EEE10hipError_tPvRmT3_T4_T5_T6_T7_T9_mT8_P12ihipStream_tbDpT10_ENKUlT_T0_E_clISt17integral_constantIbLb0EES19_IbLb1EEEEDaS15_S16_EUlS15_E_NS1_11comp_targetILNS1_3genE10ELNS1_11target_archE1200ELNS1_3gpuE4ELNS1_3repE0EEENS1_30default_config_static_selectorELNS0_4arch9wavefront6targetE1EEEvT1_
		.amdhsa_group_segment_fixed_size 0
		.amdhsa_private_segment_fixed_size 0
		.amdhsa_kernarg_size 136
		.amdhsa_user_sgpr_count 2
		.amdhsa_user_sgpr_dispatch_ptr 0
		.amdhsa_user_sgpr_queue_ptr 0
		.amdhsa_user_sgpr_kernarg_segment_ptr 1
		.amdhsa_user_sgpr_dispatch_id 0
		.amdhsa_user_sgpr_kernarg_preload_length 0
		.amdhsa_user_sgpr_kernarg_preload_offset 0
		.amdhsa_user_sgpr_private_segment_size 0
		.amdhsa_uses_dynamic_stack 0
		.amdhsa_enable_private_segment 0
		.amdhsa_system_sgpr_workgroup_id_x 1
		.amdhsa_system_sgpr_workgroup_id_y 0
		.amdhsa_system_sgpr_workgroup_id_z 0
		.amdhsa_system_sgpr_workgroup_info 0
		.amdhsa_system_vgpr_workitem_id 0
		.amdhsa_next_free_vgpr 1
		.amdhsa_next_free_sgpr 0
		.amdhsa_accum_offset 4
		.amdhsa_reserve_vcc 0
		.amdhsa_float_round_mode_32 0
		.amdhsa_float_round_mode_16_64 0
		.amdhsa_float_denorm_mode_32 3
		.amdhsa_float_denorm_mode_16_64 3
		.amdhsa_dx10_clamp 1
		.amdhsa_ieee_mode 1
		.amdhsa_fp16_overflow 0
		.amdhsa_tg_split 0
		.amdhsa_exception_fp_ieee_invalid_op 0
		.amdhsa_exception_fp_denorm_src 0
		.amdhsa_exception_fp_ieee_div_zero 0
		.amdhsa_exception_fp_ieee_overflow 0
		.amdhsa_exception_fp_ieee_underflow 0
		.amdhsa_exception_fp_ieee_inexact 0
		.amdhsa_exception_int_div_zero 0
	.end_amdhsa_kernel
	.section	.text._ZN7rocprim17ROCPRIM_400000_NS6detail17trampoline_kernelINS0_14default_configENS1_25partition_config_selectorILNS1_17partition_subalgoE9EllbEEZZNS1_14partition_implILS5_9ELb0ES3_jPlS8_PNS0_10empty_typeENS0_5tupleIJS8_S9_EEENSB_IJS8_SA_EEENS0_18inequality_wrapperIZN2at6native12_GLOBAL__N_124unique_dim_cuda_templateIlEESt5tupleIJNSF_6TensorESK_SK_EERKSK_lbbbEUlllE0_EEPmJS9_EEE10hipError_tPvRmT3_T4_T5_T6_T7_T9_mT8_P12ihipStream_tbDpT10_ENKUlT_T0_E_clISt17integral_constantIbLb0EES19_IbLb1EEEEDaS15_S16_EUlS15_E_NS1_11comp_targetILNS1_3genE10ELNS1_11target_archE1200ELNS1_3gpuE4ELNS1_3repE0EEENS1_30default_config_static_selectorELNS0_4arch9wavefront6targetE1EEEvT1_,"axG",@progbits,_ZN7rocprim17ROCPRIM_400000_NS6detail17trampoline_kernelINS0_14default_configENS1_25partition_config_selectorILNS1_17partition_subalgoE9EllbEEZZNS1_14partition_implILS5_9ELb0ES3_jPlS8_PNS0_10empty_typeENS0_5tupleIJS8_S9_EEENSB_IJS8_SA_EEENS0_18inequality_wrapperIZN2at6native12_GLOBAL__N_124unique_dim_cuda_templateIlEESt5tupleIJNSF_6TensorESK_SK_EERKSK_lbbbEUlllE0_EEPmJS9_EEE10hipError_tPvRmT3_T4_T5_T6_T7_T9_mT8_P12ihipStream_tbDpT10_ENKUlT_T0_E_clISt17integral_constantIbLb0EES19_IbLb1EEEEDaS15_S16_EUlS15_E_NS1_11comp_targetILNS1_3genE10ELNS1_11target_archE1200ELNS1_3gpuE4ELNS1_3repE0EEENS1_30default_config_static_selectorELNS0_4arch9wavefront6targetE1EEEvT1_,comdat
.Lfunc_end624:
	.size	_ZN7rocprim17ROCPRIM_400000_NS6detail17trampoline_kernelINS0_14default_configENS1_25partition_config_selectorILNS1_17partition_subalgoE9EllbEEZZNS1_14partition_implILS5_9ELb0ES3_jPlS8_PNS0_10empty_typeENS0_5tupleIJS8_S9_EEENSB_IJS8_SA_EEENS0_18inequality_wrapperIZN2at6native12_GLOBAL__N_124unique_dim_cuda_templateIlEESt5tupleIJNSF_6TensorESK_SK_EERKSK_lbbbEUlllE0_EEPmJS9_EEE10hipError_tPvRmT3_T4_T5_T6_T7_T9_mT8_P12ihipStream_tbDpT10_ENKUlT_T0_E_clISt17integral_constantIbLb0EES19_IbLb1EEEEDaS15_S16_EUlS15_E_NS1_11comp_targetILNS1_3genE10ELNS1_11target_archE1200ELNS1_3gpuE4ELNS1_3repE0EEENS1_30default_config_static_selectorELNS0_4arch9wavefront6targetE1EEEvT1_, .Lfunc_end624-_ZN7rocprim17ROCPRIM_400000_NS6detail17trampoline_kernelINS0_14default_configENS1_25partition_config_selectorILNS1_17partition_subalgoE9EllbEEZZNS1_14partition_implILS5_9ELb0ES3_jPlS8_PNS0_10empty_typeENS0_5tupleIJS8_S9_EEENSB_IJS8_SA_EEENS0_18inequality_wrapperIZN2at6native12_GLOBAL__N_124unique_dim_cuda_templateIlEESt5tupleIJNSF_6TensorESK_SK_EERKSK_lbbbEUlllE0_EEPmJS9_EEE10hipError_tPvRmT3_T4_T5_T6_T7_T9_mT8_P12ihipStream_tbDpT10_ENKUlT_T0_E_clISt17integral_constantIbLb0EES19_IbLb1EEEEDaS15_S16_EUlS15_E_NS1_11comp_targetILNS1_3genE10ELNS1_11target_archE1200ELNS1_3gpuE4ELNS1_3repE0EEENS1_30default_config_static_selectorELNS0_4arch9wavefront6targetE1EEEvT1_
                                        ; -- End function
	.set _ZN7rocprim17ROCPRIM_400000_NS6detail17trampoline_kernelINS0_14default_configENS1_25partition_config_selectorILNS1_17partition_subalgoE9EllbEEZZNS1_14partition_implILS5_9ELb0ES3_jPlS8_PNS0_10empty_typeENS0_5tupleIJS8_S9_EEENSB_IJS8_SA_EEENS0_18inequality_wrapperIZN2at6native12_GLOBAL__N_124unique_dim_cuda_templateIlEESt5tupleIJNSF_6TensorESK_SK_EERKSK_lbbbEUlllE0_EEPmJS9_EEE10hipError_tPvRmT3_T4_T5_T6_T7_T9_mT8_P12ihipStream_tbDpT10_ENKUlT_T0_E_clISt17integral_constantIbLb0EES19_IbLb1EEEEDaS15_S16_EUlS15_E_NS1_11comp_targetILNS1_3genE10ELNS1_11target_archE1200ELNS1_3gpuE4ELNS1_3repE0EEENS1_30default_config_static_selectorELNS0_4arch9wavefront6targetE1EEEvT1_.num_vgpr, 0
	.set _ZN7rocprim17ROCPRIM_400000_NS6detail17trampoline_kernelINS0_14default_configENS1_25partition_config_selectorILNS1_17partition_subalgoE9EllbEEZZNS1_14partition_implILS5_9ELb0ES3_jPlS8_PNS0_10empty_typeENS0_5tupleIJS8_S9_EEENSB_IJS8_SA_EEENS0_18inequality_wrapperIZN2at6native12_GLOBAL__N_124unique_dim_cuda_templateIlEESt5tupleIJNSF_6TensorESK_SK_EERKSK_lbbbEUlllE0_EEPmJS9_EEE10hipError_tPvRmT3_T4_T5_T6_T7_T9_mT8_P12ihipStream_tbDpT10_ENKUlT_T0_E_clISt17integral_constantIbLb0EES19_IbLb1EEEEDaS15_S16_EUlS15_E_NS1_11comp_targetILNS1_3genE10ELNS1_11target_archE1200ELNS1_3gpuE4ELNS1_3repE0EEENS1_30default_config_static_selectorELNS0_4arch9wavefront6targetE1EEEvT1_.num_agpr, 0
	.set _ZN7rocprim17ROCPRIM_400000_NS6detail17trampoline_kernelINS0_14default_configENS1_25partition_config_selectorILNS1_17partition_subalgoE9EllbEEZZNS1_14partition_implILS5_9ELb0ES3_jPlS8_PNS0_10empty_typeENS0_5tupleIJS8_S9_EEENSB_IJS8_SA_EEENS0_18inequality_wrapperIZN2at6native12_GLOBAL__N_124unique_dim_cuda_templateIlEESt5tupleIJNSF_6TensorESK_SK_EERKSK_lbbbEUlllE0_EEPmJS9_EEE10hipError_tPvRmT3_T4_T5_T6_T7_T9_mT8_P12ihipStream_tbDpT10_ENKUlT_T0_E_clISt17integral_constantIbLb0EES19_IbLb1EEEEDaS15_S16_EUlS15_E_NS1_11comp_targetILNS1_3genE10ELNS1_11target_archE1200ELNS1_3gpuE4ELNS1_3repE0EEENS1_30default_config_static_selectorELNS0_4arch9wavefront6targetE1EEEvT1_.numbered_sgpr, 0
	.set _ZN7rocprim17ROCPRIM_400000_NS6detail17trampoline_kernelINS0_14default_configENS1_25partition_config_selectorILNS1_17partition_subalgoE9EllbEEZZNS1_14partition_implILS5_9ELb0ES3_jPlS8_PNS0_10empty_typeENS0_5tupleIJS8_S9_EEENSB_IJS8_SA_EEENS0_18inequality_wrapperIZN2at6native12_GLOBAL__N_124unique_dim_cuda_templateIlEESt5tupleIJNSF_6TensorESK_SK_EERKSK_lbbbEUlllE0_EEPmJS9_EEE10hipError_tPvRmT3_T4_T5_T6_T7_T9_mT8_P12ihipStream_tbDpT10_ENKUlT_T0_E_clISt17integral_constantIbLb0EES19_IbLb1EEEEDaS15_S16_EUlS15_E_NS1_11comp_targetILNS1_3genE10ELNS1_11target_archE1200ELNS1_3gpuE4ELNS1_3repE0EEENS1_30default_config_static_selectorELNS0_4arch9wavefront6targetE1EEEvT1_.num_named_barrier, 0
	.set _ZN7rocprim17ROCPRIM_400000_NS6detail17trampoline_kernelINS0_14default_configENS1_25partition_config_selectorILNS1_17partition_subalgoE9EllbEEZZNS1_14partition_implILS5_9ELb0ES3_jPlS8_PNS0_10empty_typeENS0_5tupleIJS8_S9_EEENSB_IJS8_SA_EEENS0_18inequality_wrapperIZN2at6native12_GLOBAL__N_124unique_dim_cuda_templateIlEESt5tupleIJNSF_6TensorESK_SK_EERKSK_lbbbEUlllE0_EEPmJS9_EEE10hipError_tPvRmT3_T4_T5_T6_T7_T9_mT8_P12ihipStream_tbDpT10_ENKUlT_T0_E_clISt17integral_constantIbLb0EES19_IbLb1EEEEDaS15_S16_EUlS15_E_NS1_11comp_targetILNS1_3genE10ELNS1_11target_archE1200ELNS1_3gpuE4ELNS1_3repE0EEENS1_30default_config_static_selectorELNS0_4arch9wavefront6targetE1EEEvT1_.private_seg_size, 0
	.set _ZN7rocprim17ROCPRIM_400000_NS6detail17trampoline_kernelINS0_14default_configENS1_25partition_config_selectorILNS1_17partition_subalgoE9EllbEEZZNS1_14partition_implILS5_9ELb0ES3_jPlS8_PNS0_10empty_typeENS0_5tupleIJS8_S9_EEENSB_IJS8_SA_EEENS0_18inequality_wrapperIZN2at6native12_GLOBAL__N_124unique_dim_cuda_templateIlEESt5tupleIJNSF_6TensorESK_SK_EERKSK_lbbbEUlllE0_EEPmJS9_EEE10hipError_tPvRmT3_T4_T5_T6_T7_T9_mT8_P12ihipStream_tbDpT10_ENKUlT_T0_E_clISt17integral_constantIbLb0EES19_IbLb1EEEEDaS15_S16_EUlS15_E_NS1_11comp_targetILNS1_3genE10ELNS1_11target_archE1200ELNS1_3gpuE4ELNS1_3repE0EEENS1_30default_config_static_selectorELNS0_4arch9wavefront6targetE1EEEvT1_.uses_vcc, 0
	.set _ZN7rocprim17ROCPRIM_400000_NS6detail17trampoline_kernelINS0_14default_configENS1_25partition_config_selectorILNS1_17partition_subalgoE9EllbEEZZNS1_14partition_implILS5_9ELb0ES3_jPlS8_PNS0_10empty_typeENS0_5tupleIJS8_S9_EEENSB_IJS8_SA_EEENS0_18inequality_wrapperIZN2at6native12_GLOBAL__N_124unique_dim_cuda_templateIlEESt5tupleIJNSF_6TensorESK_SK_EERKSK_lbbbEUlllE0_EEPmJS9_EEE10hipError_tPvRmT3_T4_T5_T6_T7_T9_mT8_P12ihipStream_tbDpT10_ENKUlT_T0_E_clISt17integral_constantIbLb0EES19_IbLb1EEEEDaS15_S16_EUlS15_E_NS1_11comp_targetILNS1_3genE10ELNS1_11target_archE1200ELNS1_3gpuE4ELNS1_3repE0EEENS1_30default_config_static_selectorELNS0_4arch9wavefront6targetE1EEEvT1_.uses_flat_scratch, 0
	.set _ZN7rocprim17ROCPRIM_400000_NS6detail17trampoline_kernelINS0_14default_configENS1_25partition_config_selectorILNS1_17partition_subalgoE9EllbEEZZNS1_14partition_implILS5_9ELb0ES3_jPlS8_PNS0_10empty_typeENS0_5tupleIJS8_S9_EEENSB_IJS8_SA_EEENS0_18inequality_wrapperIZN2at6native12_GLOBAL__N_124unique_dim_cuda_templateIlEESt5tupleIJNSF_6TensorESK_SK_EERKSK_lbbbEUlllE0_EEPmJS9_EEE10hipError_tPvRmT3_T4_T5_T6_T7_T9_mT8_P12ihipStream_tbDpT10_ENKUlT_T0_E_clISt17integral_constantIbLb0EES19_IbLb1EEEEDaS15_S16_EUlS15_E_NS1_11comp_targetILNS1_3genE10ELNS1_11target_archE1200ELNS1_3gpuE4ELNS1_3repE0EEENS1_30default_config_static_selectorELNS0_4arch9wavefront6targetE1EEEvT1_.has_dyn_sized_stack, 0
	.set _ZN7rocprim17ROCPRIM_400000_NS6detail17trampoline_kernelINS0_14default_configENS1_25partition_config_selectorILNS1_17partition_subalgoE9EllbEEZZNS1_14partition_implILS5_9ELb0ES3_jPlS8_PNS0_10empty_typeENS0_5tupleIJS8_S9_EEENSB_IJS8_SA_EEENS0_18inequality_wrapperIZN2at6native12_GLOBAL__N_124unique_dim_cuda_templateIlEESt5tupleIJNSF_6TensorESK_SK_EERKSK_lbbbEUlllE0_EEPmJS9_EEE10hipError_tPvRmT3_T4_T5_T6_T7_T9_mT8_P12ihipStream_tbDpT10_ENKUlT_T0_E_clISt17integral_constantIbLb0EES19_IbLb1EEEEDaS15_S16_EUlS15_E_NS1_11comp_targetILNS1_3genE10ELNS1_11target_archE1200ELNS1_3gpuE4ELNS1_3repE0EEENS1_30default_config_static_selectorELNS0_4arch9wavefront6targetE1EEEvT1_.has_recursion, 0
	.set _ZN7rocprim17ROCPRIM_400000_NS6detail17trampoline_kernelINS0_14default_configENS1_25partition_config_selectorILNS1_17partition_subalgoE9EllbEEZZNS1_14partition_implILS5_9ELb0ES3_jPlS8_PNS0_10empty_typeENS0_5tupleIJS8_S9_EEENSB_IJS8_SA_EEENS0_18inequality_wrapperIZN2at6native12_GLOBAL__N_124unique_dim_cuda_templateIlEESt5tupleIJNSF_6TensorESK_SK_EERKSK_lbbbEUlllE0_EEPmJS9_EEE10hipError_tPvRmT3_T4_T5_T6_T7_T9_mT8_P12ihipStream_tbDpT10_ENKUlT_T0_E_clISt17integral_constantIbLb0EES19_IbLb1EEEEDaS15_S16_EUlS15_E_NS1_11comp_targetILNS1_3genE10ELNS1_11target_archE1200ELNS1_3gpuE4ELNS1_3repE0EEENS1_30default_config_static_selectorELNS0_4arch9wavefront6targetE1EEEvT1_.has_indirect_call, 0
	.section	.AMDGPU.csdata,"",@progbits
; Kernel info:
; codeLenInByte = 0
; TotalNumSgprs: 6
; NumVgprs: 0
; NumAgprs: 0
; TotalNumVgprs: 0
; ScratchSize: 0
; MemoryBound: 0
; FloatMode: 240
; IeeeMode: 1
; LDSByteSize: 0 bytes/workgroup (compile time only)
; SGPRBlocks: 0
; VGPRBlocks: 0
; NumSGPRsForWavesPerEU: 6
; NumVGPRsForWavesPerEU: 1
; AccumOffset: 4
; Occupancy: 8
; WaveLimiterHint : 0
; COMPUTE_PGM_RSRC2:SCRATCH_EN: 0
; COMPUTE_PGM_RSRC2:USER_SGPR: 2
; COMPUTE_PGM_RSRC2:TRAP_HANDLER: 0
; COMPUTE_PGM_RSRC2:TGID_X_EN: 1
; COMPUTE_PGM_RSRC2:TGID_Y_EN: 0
; COMPUTE_PGM_RSRC2:TGID_Z_EN: 0
; COMPUTE_PGM_RSRC2:TIDIG_COMP_CNT: 0
; COMPUTE_PGM_RSRC3_GFX90A:ACCUM_OFFSET: 0
; COMPUTE_PGM_RSRC3_GFX90A:TG_SPLIT: 0
	.section	.text._ZN7rocprim17ROCPRIM_400000_NS6detail17trampoline_kernelINS0_14default_configENS1_25partition_config_selectorILNS1_17partition_subalgoE9EllbEEZZNS1_14partition_implILS5_9ELb0ES3_jPlS8_PNS0_10empty_typeENS0_5tupleIJS8_S9_EEENSB_IJS8_SA_EEENS0_18inequality_wrapperIZN2at6native12_GLOBAL__N_124unique_dim_cuda_templateIlEESt5tupleIJNSF_6TensorESK_SK_EERKSK_lbbbEUlllE0_EEPmJS9_EEE10hipError_tPvRmT3_T4_T5_T6_T7_T9_mT8_P12ihipStream_tbDpT10_ENKUlT_T0_E_clISt17integral_constantIbLb0EES19_IbLb1EEEEDaS15_S16_EUlS15_E_NS1_11comp_targetILNS1_3genE9ELNS1_11target_archE1100ELNS1_3gpuE3ELNS1_3repE0EEENS1_30default_config_static_selectorELNS0_4arch9wavefront6targetE1EEEvT1_,"axG",@progbits,_ZN7rocprim17ROCPRIM_400000_NS6detail17trampoline_kernelINS0_14default_configENS1_25partition_config_selectorILNS1_17partition_subalgoE9EllbEEZZNS1_14partition_implILS5_9ELb0ES3_jPlS8_PNS0_10empty_typeENS0_5tupleIJS8_S9_EEENSB_IJS8_SA_EEENS0_18inequality_wrapperIZN2at6native12_GLOBAL__N_124unique_dim_cuda_templateIlEESt5tupleIJNSF_6TensorESK_SK_EERKSK_lbbbEUlllE0_EEPmJS9_EEE10hipError_tPvRmT3_T4_T5_T6_T7_T9_mT8_P12ihipStream_tbDpT10_ENKUlT_T0_E_clISt17integral_constantIbLb0EES19_IbLb1EEEEDaS15_S16_EUlS15_E_NS1_11comp_targetILNS1_3genE9ELNS1_11target_archE1100ELNS1_3gpuE3ELNS1_3repE0EEENS1_30default_config_static_selectorELNS0_4arch9wavefront6targetE1EEEvT1_,comdat
	.globl	_ZN7rocprim17ROCPRIM_400000_NS6detail17trampoline_kernelINS0_14default_configENS1_25partition_config_selectorILNS1_17partition_subalgoE9EllbEEZZNS1_14partition_implILS5_9ELb0ES3_jPlS8_PNS0_10empty_typeENS0_5tupleIJS8_S9_EEENSB_IJS8_SA_EEENS0_18inequality_wrapperIZN2at6native12_GLOBAL__N_124unique_dim_cuda_templateIlEESt5tupleIJNSF_6TensorESK_SK_EERKSK_lbbbEUlllE0_EEPmJS9_EEE10hipError_tPvRmT3_T4_T5_T6_T7_T9_mT8_P12ihipStream_tbDpT10_ENKUlT_T0_E_clISt17integral_constantIbLb0EES19_IbLb1EEEEDaS15_S16_EUlS15_E_NS1_11comp_targetILNS1_3genE9ELNS1_11target_archE1100ELNS1_3gpuE3ELNS1_3repE0EEENS1_30default_config_static_selectorELNS0_4arch9wavefront6targetE1EEEvT1_ ; -- Begin function _ZN7rocprim17ROCPRIM_400000_NS6detail17trampoline_kernelINS0_14default_configENS1_25partition_config_selectorILNS1_17partition_subalgoE9EllbEEZZNS1_14partition_implILS5_9ELb0ES3_jPlS8_PNS0_10empty_typeENS0_5tupleIJS8_S9_EEENSB_IJS8_SA_EEENS0_18inequality_wrapperIZN2at6native12_GLOBAL__N_124unique_dim_cuda_templateIlEESt5tupleIJNSF_6TensorESK_SK_EERKSK_lbbbEUlllE0_EEPmJS9_EEE10hipError_tPvRmT3_T4_T5_T6_T7_T9_mT8_P12ihipStream_tbDpT10_ENKUlT_T0_E_clISt17integral_constantIbLb0EES19_IbLb1EEEEDaS15_S16_EUlS15_E_NS1_11comp_targetILNS1_3genE9ELNS1_11target_archE1100ELNS1_3gpuE3ELNS1_3repE0EEENS1_30default_config_static_selectorELNS0_4arch9wavefront6targetE1EEEvT1_
	.p2align	8
	.type	_ZN7rocprim17ROCPRIM_400000_NS6detail17trampoline_kernelINS0_14default_configENS1_25partition_config_selectorILNS1_17partition_subalgoE9EllbEEZZNS1_14partition_implILS5_9ELb0ES3_jPlS8_PNS0_10empty_typeENS0_5tupleIJS8_S9_EEENSB_IJS8_SA_EEENS0_18inequality_wrapperIZN2at6native12_GLOBAL__N_124unique_dim_cuda_templateIlEESt5tupleIJNSF_6TensorESK_SK_EERKSK_lbbbEUlllE0_EEPmJS9_EEE10hipError_tPvRmT3_T4_T5_T6_T7_T9_mT8_P12ihipStream_tbDpT10_ENKUlT_T0_E_clISt17integral_constantIbLb0EES19_IbLb1EEEEDaS15_S16_EUlS15_E_NS1_11comp_targetILNS1_3genE9ELNS1_11target_archE1100ELNS1_3gpuE3ELNS1_3repE0EEENS1_30default_config_static_selectorELNS0_4arch9wavefront6targetE1EEEvT1_,@function
_ZN7rocprim17ROCPRIM_400000_NS6detail17trampoline_kernelINS0_14default_configENS1_25partition_config_selectorILNS1_17partition_subalgoE9EllbEEZZNS1_14partition_implILS5_9ELb0ES3_jPlS8_PNS0_10empty_typeENS0_5tupleIJS8_S9_EEENSB_IJS8_SA_EEENS0_18inequality_wrapperIZN2at6native12_GLOBAL__N_124unique_dim_cuda_templateIlEESt5tupleIJNSF_6TensorESK_SK_EERKSK_lbbbEUlllE0_EEPmJS9_EEE10hipError_tPvRmT3_T4_T5_T6_T7_T9_mT8_P12ihipStream_tbDpT10_ENKUlT_T0_E_clISt17integral_constantIbLb0EES19_IbLb1EEEEDaS15_S16_EUlS15_E_NS1_11comp_targetILNS1_3genE9ELNS1_11target_archE1100ELNS1_3gpuE3ELNS1_3repE0EEENS1_30default_config_static_selectorELNS0_4arch9wavefront6targetE1EEEvT1_: ; @_ZN7rocprim17ROCPRIM_400000_NS6detail17trampoline_kernelINS0_14default_configENS1_25partition_config_selectorILNS1_17partition_subalgoE9EllbEEZZNS1_14partition_implILS5_9ELb0ES3_jPlS8_PNS0_10empty_typeENS0_5tupleIJS8_S9_EEENSB_IJS8_SA_EEENS0_18inequality_wrapperIZN2at6native12_GLOBAL__N_124unique_dim_cuda_templateIlEESt5tupleIJNSF_6TensorESK_SK_EERKSK_lbbbEUlllE0_EEPmJS9_EEE10hipError_tPvRmT3_T4_T5_T6_T7_T9_mT8_P12ihipStream_tbDpT10_ENKUlT_T0_E_clISt17integral_constantIbLb0EES19_IbLb1EEEEDaS15_S16_EUlS15_E_NS1_11comp_targetILNS1_3genE9ELNS1_11target_archE1100ELNS1_3gpuE3ELNS1_3repE0EEENS1_30default_config_static_selectorELNS0_4arch9wavefront6targetE1EEEvT1_
; %bb.0:
	.section	.rodata,"a",@progbits
	.p2align	6, 0x0
	.amdhsa_kernel _ZN7rocprim17ROCPRIM_400000_NS6detail17trampoline_kernelINS0_14default_configENS1_25partition_config_selectorILNS1_17partition_subalgoE9EllbEEZZNS1_14partition_implILS5_9ELb0ES3_jPlS8_PNS0_10empty_typeENS0_5tupleIJS8_S9_EEENSB_IJS8_SA_EEENS0_18inequality_wrapperIZN2at6native12_GLOBAL__N_124unique_dim_cuda_templateIlEESt5tupleIJNSF_6TensorESK_SK_EERKSK_lbbbEUlllE0_EEPmJS9_EEE10hipError_tPvRmT3_T4_T5_T6_T7_T9_mT8_P12ihipStream_tbDpT10_ENKUlT_T0_E_clISt17integral_constantIbLb0EES19_IbLb1EEEEDaS15_S16_EUlS15_E_NS1_11comp_targetILNS1_3genE9ELNS1_11target_archE1100ELNS1_3gpuE3ELNS1_3repE0EEENS1_30default_config_static_selectorELNS0_4arch9wavefront6targetE1EEEvT1_
		.amdhsa_group_segment_fixed_size 0
		.amdhsa_private_segment_fixed_size 0
		.amdhsa_kernarg_size 136
		.amdhsa_user_sgpr_count 2
		.amdhsa_user_sgpr_dispatch_ptr 0
		.amdhsa_user_sgpr_queue_ptr 0
		.amdhsa_user_sgpr_kernarg_segment_ptr 1
		.amdhsa_user_sgpr_dispatch_id 0
		.amdhsa_user_sgpr_kernarg_preload_length 0
		.amdhsa_user_sgpr_kernarg_preload_offset 0
		.amdhsa_user_sgpr_private_segment_size 0
		.amdhsa_uses_dynamic_stack 0
		.amdhsa_enable_private_segment 0
		.amdhsa_system_sgpr_workgroup_id_x 1
		.amdhsa_system_sgpr_workgroup_id_y 0
		.amdhsa_system_sgpr_workgroup_id_z 0
		.amdhsa_system_sgpr_workgroup_info 0
		.amdhsa_system_vgpr_workitem_id 0
		.amdhsa_next_free_vgpr 1
		.amdhsa_next_free_sgpr 0
		.amdhsa_accum_offset 4
		.amdhsa_reserve_vcc 0
		.amdhsa_float_round_mode_32 0
		.amdhsa_float_round_mode_16_64 0
		.amdhsa_float_denorm_mode_32 3
		.amdhsa_float_denorm_mode_16_64 3
		.amdhsa_dx10_clamp 1
		.amdhsa_ieee_mode 1
		.amdhsa_fp16_overflow 0
		.amdhsa_tg_split 0
		.amdhsa_exception_fp_ieee_invalid_op 0
		.amdhsa_exception_fp_denorm_src 0
		.amdhsa_exception_fp_ieee_div_zero 0
		.amdhsa_exception_fp_ieee_overflow 0
		.amdhsa_exception_fp_ieee_underflow 0
		.amdhsa_exception_fp_ieee_inexact 0
		.amdhsa_exception_int_div_zero 0
	.end_amdhsa_kernel
	.section	.text._ZN7rocprim17ROCPRIM_400000_NS6detail17trampoline_kernelINS0_14default_configENS1_25partition_config_selectorILNS1_17partition_subalgoE9EllbEEZZNS1_14partition_implILS5_9ELb0ES3_jPlS8_PNS0_10empty_typeENS0_5tupleIJS8_S9_EEENSB_IJS8_SA_EEENS0_18inequality_wrapperIZN2at6native12_GLOBAL__N_124unique_dim_cuda_templateIlEESt5tupleIJNSF_6TensorESK_SK_EERKSK_lbbbEUlllE0_EEPmJS9_EEE10hipError_tPvRmT3_T4_T5_T6_T7_T9_mT8_P12ihipStream_tbDpT10_ENKUlT_T0_E_clISt17integral_constantIbLb0EES19_IbLb1EEEEDaS15_S16_EUlS15_E_NS1_11comp_targetILNS1_3genE9ELNS1_11target_archE1100ELNS1_3gpuE3ELNS1_3repE0EEENS1_30default_config_static_selectorELNS0_4arch9wavefront6targetE1EEEvT1_,"axG",@progbits,_ZN7rocprim17ROCPRIM_400000_NS6detail17trampoline_kernelINS0_14default_configENS1_25partition_config_selectorILNS1_17partition_subalgoE9EllbEEZZNS1_14partition_implILS5_9ELb0ES3_jPlS8_PNS0_10empty_typeENS0_5tupleIJS8_S9_EEENSB_IJS8_SA_EEENS0_18inequality_wrapperIZN2at6native12_GLOBAL__N_124unique_dim_cuda_templateIlEESt5tupleIJNSF_6TensorESK_SK_EERKSK_lbbbEUlllE0_EEPmJS9_EEE10hipError_tPvRmT3_T4_T5_T6_T7_T9_mT8_P12ihipStream_tbDpT10_ENKUlT_T0_E_clISt17integral_constantIbLb0EES19_IbLb1EEEEDaS15_S16_EUlS15_E_NS1_11comp_targetILNS1_3genE9ELNS1_11target_archE1100ELNS1_3gpuE3ELNS1_3repE0EEENS1_30default_config_static_selectorELNS0_4arch9wavefront6targetE1EEEvT1_,comdat
.Lfunc_end625:
	.size	_ZN7rocprim17ROCPRIM_400000_NS6detail17trampoline_kernelINS0_14default_configENS1_25partition_config_selectorILNS1_17partition_subalgoE9EllbEEZZNS1_14partition_implILS5_9ELb0ES3_jPlS8_PNS0_10empty_typeENS0_5tupleIJS8_S9_EEENSB_IJS8_SA_EEENS0_18inequality_wrapperIZN2at6native12_GLOBAL__N_124unique_dim_cuda_templateIlEESt5tupleIJNSF_6TensorESK_SK_EERKSK_lbbbEUlllE0_EEPmJS9_EEE10hipError_tPvRmT3_T4_T5_T6_T7_T9_mT8_P12ihipStream_tbDpT10_ENKUlT_T0_E_clISt17integral_constantIbLb0EES19_IbLb1EEEEDaS15_S16_EUlS15_E_NS1_11comp_targetILNS1_3genE9ELNS1_11target_archE1100ELNS1_3gpuE3ELNS1_3repE0EEENS1_30default_config_static_selectorELNS0_4arch9wavefront6targetE1EEEvT1_, .Lfunc_end625-_ZN7rocprim17ROCPRIM_400000_NS6detail17trampoline_kernelINS0_14default_configENS1_25partition_config_selectorILNS1_17partition_subalgoE9EllbEEZZNS1_14partition_implILS5_9ELb0ES3_jPlS8_PNS0_10empty_typeENS0_5tupleIJS8_S9_EEENSB_IJS8_SA_EEENS0_18inequality_wrapperIZN2at6native12_GLOBAL__N_124unique_dim_cuda_templateIlEESt5tupleIJNSF_6TensorESK_SK_EERKSK_lbbbEUlllE0_EEPmJS9_EEE10hipError_tPvRmT3_T4_T5_T6_T7_T9_mT8_P12ihipStream_tbDpT10_ENKUlT_T0_E_clISt17integral_constantIbLb0EES19_IbLb1EEEEDaS15_S16_EUlS15_E_NS1_11comp_targetILNS1_3genE9ELNS1_11target_archE1100ELNS1_3gpuE3ELNS1_3repE0EEENS1_30default_config_static_selectorELNS0_4arch9wavefront6targetE1EEEvT1_
                                        ; -- End function
	.set _ZN7rocprim17ROCPRIM_400000_NS6detail17trampoline_kernelINS0_14default_configENS1_25partition_config_selectorILNS1_17partition_subalgoE9EllbEEZZNS1_14partition_implILS5_9ELb0ES3_jPlS8_PNS0_10empty_typeENS0_5tupleIJS8_S9_EEENSB_IJS8_SA_EEENS0_18inequality_wrapperIZN2at6native12_GLOBAL__N_124unique_dim_cuda_templateIlEESt5tupleIJNSF_6TensorESK_SK_EERKSK_lbbbEUlllE0_EEPmJS9_EEE10hipError_tPvRmT3_T4_T5_T6_T7_T9_mT8_P12ihipStream_tbDpT10_ENKUlT_T0_E_clISt17integral_constantIbLb0EES19_IbLb1EEEEDaS15_S16_EUlS15_E_NS1_11comp_targetILNS1_3genE9ELNS1_11target_archE1100ELNS1_3gpuE3ELNS1_3repE0EEENS1_30default_config_static_selectorELNS0_4arch9wavefront6targetE1EEEvT1_.num_vgpr, 0
	.set _ZN7rocprim17ROCPRIM_400000_NS6detail17trampoline_kernelINS0_14default_configENS1_25partition_config_selectorILNS1_17partition_subalgoE9EllbEEZZNS1_14partition_implILS5_9ELb0ES3_jPlS8_PNS0_10empty_typeENS0_5tupleIJS8_S9_EEENSB_IJS8_SA_EEENS0_18inequality_wrapperIZN2at6native12_GLOBAL__N_124unique_dim_cuda_templateIlEESt5tupleIJNSF_6TensorESK_SK_EERKSK_lbbbEUlllE0_EEPmJS9_EEE10hipError_tPvRmT3_T4_T5_T6_T7_T9_mT8_P12ihipStream_tbDpT10_ENKUlT_T0_E_clISt17integral_constantIbLb0EES19_IbLb1EEEEDaS15_S16_EUlS15_E_NS1_11comp_targetILNS1_3genE9ELNS1_11target_archE1100ELNS1_3gpuE3ELNS1_3repE0EEENS1_30default_config_static_selectorELNS0_4arch9wavefront6targetE1EEEvT1_.num_agpr, 0
	.set _ZN7rocprim17ROCPRIM_400000_NS6detail17trampoline_kernelINS0_14default_configENS1_25partition_config_selectorILNS1_17partition_subalgoE9EllbEEZZNS1_14partition_implILS5_9ELb0ES3_jPlS8_PNS0_10empty_typeENS0_5tupleIJS8_S9_EEENSB_IJS8_SA_EEENS0_18inequality_wrapperIZN2at6native12_GLOBAL__N_124unique_dim_cuda_templateIlEESt5tupleIJNSF_6TensorESK_SK_EERKSK_lbbbEUlllE0_EEPmJS9_EEE10hipError_tPvRmT3_T4_T5_T6_T7_T9_mT8_P12ihipStream_tbDpT10_ENKUlT_T0_E_clISt17integral_constantIbLb0EES19_IbLb1EEEEDaS15_S16_EUlS15_E_NS1_11comp_targetILNS1_3genE9ELNS1_11target_archE1100ELNS1_3gpuE3ELNS1_3repE0EEENS1_30default_config_static_selectorELNS0_4arch9wavefront6targetE1EEEvT1_.numbered_sgpr, 0
	.set _ZN7rocprim17ROCPRIM_400000_NS6detail17trampoline_kernelINS0_14default_configENS1_25partition_config_selectorILNS1_17partition_subalgoE9EllbEEZZNS1_14partition_implILS5_9ELb0ES3_jPlS8_PNS0_10empty_typeENS0_5tupleIJS8_S9_EEENSB_IJS8_SA_EEENS0_18inequality_wrapperIZN2at6native12_GLOBAL__N_124unique_dim_cuda_templateIlEESt5tupleIJNSF_6TensorESK_SK_EERKSK_lbbbEUlllE0_EEPmJS9_EEE10hipError_tPvRmT3_T4_T5_T6_T7_T9_mT8_P12ihipStream_tbDpT10_ENKUlT_T0_E_clISt17integral_constantIbLb0EES19_IbLb1EEEEDaS15_S16_EUlS15_E_NS1_11comp_targetILNS1_3genE9ELNS1_11target_archE1100ELNS1_3gpuE3ELNS1_3repE0EEENS1_30default_config_static_selectorELNS0_4arch9wavefront6targetE1EEEvT1_.num_named_barrier, 0
	.set _ZN7rocprim17ROCPRIM_400000_NS6detail17trampoline_kernelINS0_14default_configENS1_25partition_config_selectorILNS1_17partition_subalgoE9EllbEEZZNS1_14partition_implILS5_9ELb0ES3_jPlS8_PNS0_10empty_typeENS0_5tupleIJS8_S9_EEENSB_IJS8_SA_EEENS0_18inequality_wrapperIZN2at6native12_GLOBAL__N_124unique_dim_cuda_templateIlEESt5tupleIJNSF_6TensorESK_SK_EERKSK_lbbbEUlllE0_EEPmJS9_EEE10hipError_tPvRmT3_T4_T5_T6_T7_T9_mT8_P12ihipStream_tbDpT10_ENKUlT_T0_E_clISt17integral_constantIbLb0EES19_IbLb1EEEEDaS15_S16_EUlS15_E_NS1_11comp_targetILNS1_3genE9ELNS1_11target_archE1100ELNS1_3gpuE3ELNS1_3repE0EEENS1_30default_config_static_selectorELNS0_4arch9wavefront6targetE1EEEvT1_.private_seg_size, 0
	.set _ZN7rocprim17ROCPRIM_400000_NS6detail17trampoline_kernelINS0_14default_configENS1_25partition_config_selectorILNS1_17partition_subalgoE9EllbEEZZNS1_14partition_implILS5_9ELb0ES3_jPlS8_PNS0_10empty_typeENS0_5tupleIJS8_S9_EEENSB_IJS8_SA_EEENS0_18inequality_wrapperIZN2at6native12_GLOBAL__N_124unique_dim_cuda_templateIlEESt5tupleIJNSF_6TensorESK_SK_EERKSK_lbbbEUlllE0_EEPmJS9_EEE10hipError_tPvRmT3_T4_T5_T6_T7_T9_mT8_P12ihipStream_tbDpT10_ENKUlT_T0_E_clISt17integral_constantIbLb0EES19_IbLb1EEEEDaS15_S16_EUlS15_E_NS1_11comp_targetILNS1_3genE9ELNS1_11target_archE1100ELNS1_3gpuE3ELNS1_3repE0EEENS1_30default_config_static_selectorELNS0_4arch9wavefront6targetE1EEEvT1_.uses_vcc, 0
	.set _ZN7rocprim17ROCPRIM_400000_NS6detail17trampoline_kernelINS0_14default_configENS1_25partition_config_selectorILNS1_17partition_subalgoE9EllbEEZZNS1_14partition_implILS5_9ELb0ES3_jPlS8_PNS0_10empty_typeENS0_5tupleIJS8_S9_EEENSB_IJS8_SA_EEENS0_18inequality_wrapperIZN2at6native12_GLOBAL__N_124unique_dim_cuda_templateIlEESt5tupleIJNSF_6TensorESK_SK_EERKSK_lbbbEUlllE0_EEPmJS9_EEE10hipError_tPvRmT3_T4_T5_T6_T7_T9_mT8_P12ihipStream_tbDpT10_ENKUlT_T0_E_clISt17integral_constantIbLb0EES19_IbLb1EEEEDaS15_S16_EUlS15_E_NS1_11comp_targetILNS1_3genE9ELNS1_11target_archE1100ELNS1_3gpuE3ELNS1_3repE0EEENS1_30default_config_static_selectorELNS0_4arch9wavefront6targetE1EEEvT1_.uses_flat_scratch, 0
	.set _ZN7rocprim17ROCPRIM_400000_NS6detail17trampoline_kernelINS0_14default_configENS1_25partition_config_selectorILNS1_17partition_subalgoE9EllbEEZZNS1_14partition_implILS5_9ELb0ES3_jPlS8_PNS0_10empty_typeENS0_5tupleIJS8_S9_EEENSB_IJS8_SA_EEENS0_18inequality_wrapperIZN2at6native12_GLOBAL__N_124unique_dim_cuda_templateIlEESt5tupleIJNSF_6TensorESK_SK_EERKSK_lbbbEUlllE0_EEPmJS9_EEE10hipError_tPvRmT3_T4_T5_T6_T7_T9_mT8_P12ihipStream_tbDpT10_ENKUlT_T0_E_clISt17integral_constantIbLb0EES19_IbLb1EEEEDaS15_S16_EUlS15_E_NS1_11comp_targetILNS1_3genE9ELNS1_11target_archE1100ELNS1_3gpuE3ELNS1_3repE0EEENS1_30default_config_static_selectorELNS0_4arch9wavefront6targetE1EEEvT1_.has_dyn_sized_stack, 0
	.set _ZN7rocprim17ROCPRIM_400000_NS6detail17trampoline_kernelINS0_14default_configENS1_25partition_config_selectorILNS1_17partition_subalgoE9EllbEEZZNS1_14partition_implILS5_9ELb0ES3_jPlS8_PNS0_10empty_typeENS0_5tupleIJS8_S9_EEENSB_IJS8_SA_EEENS0_18inequality_wrapperIZN2at6native12_GLOBAL__N_124unique_dim_cuda_templateIlEESt5tupleIJNSF_6TensorESK_SK_EERKSK_lbbbEUlllE0_EEPmJS9_EEE10hipError_tPvRmT3_T4_T5_T6_T7_T9_mT8_P12ihipStream_tbDpT10_ENKUlT_T0_E_clISt17integral_constantIbLb0EES19_IbLb1EEEEDaS15_S16_EUlS15_E_NS1_11comp_targetILNS1_3genE9ELNS1_11target_archE1100ELNS1_3gpuE3ELNS1_3repE0EEENS1_30default_config_static_selectorELNS0_4arch9wavefront6targetE1EEEvT1_.has_recursion, 0
	.set _ZN7rocprim17ROCPRIM_400000_NS6detail17trampoline_kernelINS0_14default_configENS1_25partition_config_selectorILNS1_17partition_subalgoE9EllbEEZZNS1_14partition_implILS5_9ELb0ES3_jPlS8_PNS0_10empty_typeENS0_5tupleIJS8_S9_EEENSB_IJS8_SA_EEENS0_18inequality_wrapperIZN2at6native12_GLOBAL__N_124unique_dim_cuda_templateIlEESt5tupleIJNSF_6TensorESK_SK_EERKSK_lbbbEUlllE0_EEPmJS9_EEE10hipError_tPvRmT3_T4_T5_T6_T7_T9_mT8_P12ihipStream_tbDpT10_ENKUlT_T0_E_clISt17integral_constantIbLb0EES19_IbLb1EEEEDaS15_S16_EUlS15_E_NS1_11comp_targetILNS1_3genE9ELNS1_11target_archE1100ELNS1_3gpuE3ELNS1_3repE0EEENS1_30default_config_static_selectorELNS0_4arch9wavefront6targetE1EEEvT1_.has_indirect_call, 0
	.section	.AMDGPU.csdata,"",@progbits
; Kernel info:
; codeLenInByte = 0
; TotalNumSgprs: 6
; NumVgprs: 0
; NumAgprs: 0
; TotalNumVgprs: 0
; ScratchSize: 0
; MemoryBound: 0
; FloatMode: 240
; IeeeMode: 1
; LDSByteSize: 0 bytes/workgroup (compile time only)
; SGPRBlocks: 0
; VGPRBlocks: 0
; NumSGPRsForWavesPerEU: 6
; NumVGPRsForWavesPerEU: 1
; AccumOffset: 4
; Occupancy: 8
; WaveLimiterHint : 0
; COMPUTE_PGM_RSRC2:SCRATCH_EN: 0
; COMPUTE_PGM_RSRC2:USER_SGPR: 2
; COMPUTE_PGM_RSRC2:TRAP_HANDLER: 0
; COMPUTE_PGM_RSRC2:TGID_X_EN: 1
; COMPUTE_PGM_RSRC2:TGID_Y_EN: 0
; COMPUTE_PGM_RSRC2:TGID_Z_EN: 0
; COMPUTE_PGM_RSRC2:TIDIG_COMP_CNT: 0
; COMPUTE_PGM_RSRC3_GFX90A:ACCUM_OFFSET: 0
; COMPUTE_PGM_RSRC3_GFX90A:TG_SPLIT: 0
	.section	.text._ZN7rocprim17ROCPRIM_400000_NS6detail17trampoline_kernelINS0_14default_configENS1_25partition_config_selectorILNS1_17partition_subalgoE9EllbEEZZNS1_14partition_implILS5_9ELb0ES3_jPlS8_PNS0_10empty_typeENS0_5tupleIJS8_S9_EEENSB_IJS8_SA_EEENS0_18inequality_wrapperIZN2at6native12_GLOBAL__N_124unique_dim_cuda_templateIlEESt5tupleIJNSF_6TensorESK_SK_EERKSK_lbbbEUlllE0_EEPmJS9_EEE10hipError_tPvRmT3_T4_T5_T6_T7_T9_mT8_P12ihipStream_tbDpT10_ENKUlT_T0_E_clISt17integral_constantIbLb0EES19_IbLb1EEEEDaS15_S16_EUlS15_E_NS1_11comp_targetILNS1_3genE8ELNS1_11target_archE1030ELNS1_3gpuE2ELNS1_3repE0EEENS1_30default_config_static_selectorELNS0_4arch9wavefront6targetE1EEEvT1_,"axG",@progbits,_ZN7rocprim17ROCPRIM_400000_NS6detail17trampoline_kernelINS0_14default_configENS1_25partition_config_selectorILNS1_17partition_subalgoE9EllbEEZZNS1_14partition_implILS5_9ELb0ES3_jPlS8_PNS0_10empty_typeENS0_5tupleIJS8_S9_EEENSB_IJS8_SA_EEENS0_18inequality_wrapperIZN2at6native12_GLOBAL__N_124unique_dim_cuda_templateIlEESt5tupleIJNSF_6TensorESK_SK_EERKSK_lbbbEUlllE0_EEPmJS9_EEE10hipError_tPvRmT3_T4_T5_T6_T7_T9_mT8_P12ihipStream_tbDpT10_ENKUlT_T0_E_clISt17integral_constantIbLb0EES19_IbLb1EEEEDaS15_S16_EUlS15_E_NS1_11comp_targetILNS1_3genE8ELNS1_11target_archE1030ELNS1_3gpuE2ELNS1_3repE0EEENS1_30default_config_static_selectorELNS0_4arch9wavefront6targetE1EEEvT1_,comdat
	.globl	_ZN7rocprim17ROCPRIM_400000_NS6detail17trampoline_kernelINS0_14default_configENS1_25partition_config_selectorILNS1_17partition_subalgoE9EllbEEZZNS1_14partition_implILS5_9ELb0ES3_jPlS8_PNS0_10empty_typeENS0_5tupleIJS8_S9_EEENSB_IJS8_SA_EEENS0_18inequality_wrapperIZN2at6native12_GLOBAL__N_124unique_dim_cuda_templateIlEESt5tupleIJNSF_6TensorESK_SK_EERKSK_lbbbEUlllE0_EEPmJS9_EEE10hipError_tPvRmT3_T4_T5_T6_T7_T9_mT8_P12ihipStream_tbDpT10_ENKUlT_T0_E_clISt17integral_constantIbLb0EES19_IbLb1EEEEDaS15_S16_EUlS15_E_NS1_11comp_targetILNS1_3genE8ELNS1_11target_archE1030ELNS1_3gpuE2ELNS1_3repE0EEENS1_30default_config_static_selectorELNS0_4arch9wavefront6targetE1EEEvT1_ ; -- Begin function _ZN7rocprim17ROCPRIM_400000_NS6detail17trampoline_kernelINS0_14default_configENS1_25partition_config_selectorILNS1_17partition_subalgoE9EllbEEZZNS1_14partition_implILS5_9ELb0ES3_jPlS8_PNS0_10empty_typeENS0_5tupleIJS8_S9_EEENSB_IJS8_SA_EEENS0_18inequality_wrapperIZN2at6native12_GLOBAL__N_124unique_dim_cuda_templateIlEESt5tupleIJNSF_6TensorESK_SK_EERKSK_lbbbEUlllE0_EEPmJS9_EEE10hipError_tPvRmT3_T4_T5_T6_T7_T9_mT8_P12ihipStream_tbDpT10_ENKUlT_T0_E_clISt17integral_constantIbLb0EES19_IbLb1EEEEDaS15_S16_EUlS15_E_NS1_11comp_targetILNS1_3genE8ELNS1_11target_archE1030ELNS1_3gpuE2ELNS1_3repE0EEENS1_30default_config_static_selectorELNS0_4arch9wavefront6targetE1EEEvT1_
	.p2align	8
	.type	_ZN7rocprim17ROCPRIM_400000_NS6detail17trampoline_kernelINS0_14default_configENS1_25partition_config_selectorILNS1_17partition_subalgoE9EllbEEZZNS1_14partition_implILS5_9ELb0ES3_jPlS8_PNS0_10empty_typeENS0_5tupleIJS8_S9_EEENSB_IJS8_SA_EEENS0_18inequality_wrapperIZN2at6native12_GLOBAL__N_124unique_dim_cuda_templateIlEESt5tupleIJNSF_6TensorESK_SK_EERKSK_lbbbEUlllE0_EEPmJS9_EEE10hipError_tPvRmT3_T4_T5_T6_T7_T9_mT8_P12ihipStream_tbDpT10_ENKUlT_T0_E_clISt17integral_constantIbLb0EES19_IbLb1EEEEDaS15_S16_EUlS15_E_NS1_11comp_targetILNS1_3genE8ELNS1_11target_archE1030ELNS1_3gpuE2ELNS1_3repE0EEENS1_30default_config_static_selectorELNS0_4arch9wavefront6targetE1EEEvT1_,@function
_ZN7rocprim17ROCPRIM_400000_NS6detail17trampoline_kernelINS0_14default_configENS1_25partition_config_selectorILNS1_17partition_subalgoE9EllbEEZZNS1_14partition_implILS5_9ELb0ES3_jPlS8_PNS0_10empty_typeENS0_5tupleIJS8_S9_EEENSB_IJS8_SA_EEENS0_18inequality_wrapperIZN2at6native12_GLOBAL__N_124unique_dim_cuda_templateIlEESt5tupleIJNSF_6TensorESK_SK_EERKSK_lbbbEUlllE0_EEPmJS9_EEE10hipError_tPvRmT3_T4_T5_T6_T7_T9_mT8_P12ihipStream_tbDpT10_ENKUlT_T0_E_clISt17integral_constantIbLb0EES19_IbLb1EEEEDaS15_S16_EUlS15_E_NS1_11comp_targetILNS1_3genE8ELNS1_11target_archE1030ELNS1_3gpuE2ELNS1_3repE0EEENS1_30default_config_static_selectorELNS0_4arch9wavefront6targetE1EEEvT1_: ; @_ZN7rocprim17ROCPRIM_400000_NS6detail17trampoline_kernelINS0_14default_configENS1_25partition_config_selectorILNS1_17partition_subalgoE9EllbEEZZNS1_14partition_implILS5_9ELb0ES3_jPlS8_PNS0_10empty_typeENS0_5tupleIJS8_S9_EEENSB_IJS8_SA_EEENS0_18inequality_wrapperIZN2at6native12_GLOBAL__N_124unique_dim_cuda_templateIlEESt5tupleIJNSF_6TensorESK_SK_EERKSK_lbbbEUlllE0_EEPmJS9_EEE10hipError_tPvRmT3_T4_T5_T6_T7_T9_mT8_P12ihipStream_tbDpT10_ENKUlT_T0_E_clISt17integral_constantIbLb0EES19_IbLb1EEEEDaS15_S16_EUlS15_E_NS1_11comp_targetILNS1_3genE8ELNS1_11target_archE1030ELNS1_3gpuE2ELNS1_3repE0EEENS1_30default_config_static_selectorELNS0_4arch9wavefront6targetE1EEEvT1_
; %bb.0:
	.section	.rodata,"a",@progbits
	.p2align	6, 0x0
	.amdhsa_kernel _ZN7rocprim17ROCPRIM_400000_NS6detail17trampoline_kernelINS0_14default_configENS1_25partition_config_selectorILNS1_17partition_subalgoE9EllbEEZZNS1_14partition_implILS5_9ELb0ES3_jPlS8_PNS0_10empty_typeENS0_5tupleIJS8_S9_EEENSB_IJS8_SA_EEENS0_18inequality_wrapperIZN2at6native12_GLOBAL__N_124unique_dim_cuda_templateIlEESt5tupleIJNSF_6TensorESK_SK_EERKSK_lbbbEUlllE0_EEPmJS9_EEE10hipError_tPvRmT3_T4_T5_T6_T7_T9_mT8_P12ihipStream_tbDpT10_ENKUlT_T0_E_clISt17integral_constantIbLb0EES19_IbLb1EEEEDaS15_S16_EUlS15_E_NS1_11comp_targetILNS1_3genE8ELNS1_11target_archE1030ELNS1_3gpuE2ELNS1_3repE0EEENS1_30default_config_static_selectorELNS0_4arch9wavefront6targetE1EEEvT1_
		.amdhsa_group_segment_fixed_size 0
		.amdhsa_private_segment_fixed_size 0
		.amdhsa_kernarg_size 136
		.amdhsa_user_sgpr_count 2
		.amdhsa_user_sgpr_dispatch_ptr 0
		.amdhsa_user_sgpr_queue_ptr 0
		.amdhsa_user_sgpr_kernarg_segment_ptr 1
		.amdhsa_user_sgpr_dispatch_id 0
		.amdhsa_user_sgpr_kernarg_preload_length 0
		.amdhsa_user_sgpr_kernarg_preload_offset 0
		.amdhsa_user_sgpr_private_segment_size 0
		.amdhsa_uses_dynamic_stack 0
		.amdhsa_enable_private_segment 0
		.amdhsa_system_sgpr_workgroup_id_x 1
		.amdhsa_system_sgpr_workgroup_id_y 0
		.amdhsa_system_sgpr_workgroup_id_z 0
		.amdhsa_system_sgpr_workgroup_info 0
		.amdhsa_system_vgpr_workitem_id 0
		.amdhsa_next_free_vgpr 1
		.amdhsa_next_free_sgpr 0
		.amdhsa_accum_offset 4
		.amdhsa_reserve_vcc 0
		.amdhsa_float_round_mode_32 0
		.amdhsa_float_round_mode_16_64 0
		.amdhsa_float_denorm_mode_32 3
		.amdhsa_float_denorm_mode_16_64 3
		.amdhsa_dx10_clamp 1
		.amdhsa_ieee_mode 1
		.amdhsa_fp16_overflow 0
		.amdhsa_tg_split 0
		.amdhsa_exception_fp_ieee_invalid_op 0
		.amdhsa_exception_fp_denorm_src 0
		.amdhsa_exception_fp_ieee_div_zero 0
		.amdhsa_exception_fp_ieee_overflow 0
		.amdhsa_exception_fp_ieee_underflow 0
		.amdhsa_exception_fp_ieee_inexact 0
		.amdhsa_exception_int_div_zero 0
	.end_amdhsa_kernel
	.section	.text._ZN7rocprim17ROCPRIM_400000_NS6detail17trampoline_kernelINS0_14default_configENS1_25partition_config_selectorILNS1_17partition_subalgoE9EllbEEZZNS1_14partition_implILS5_9ELb0ES3_jPlS8_PNS0_10empty_typeENS0_5tupleIJS8_S9_EEENSB_IJS8_SA_EEENS0_18inequality_wrapperIZN2at6native12_GLOBAL__N_124unique_dim_cuda_templateIlEESt5tupleIJNSF_6TensorESK_SK_EERKSK_lbbbEUlllE0_EEPmJS9_EEE10hipError_tPvRmT3_T4_T5_T6_T7_T9_mT8_P12ihipStream_tbDpT10_ENKUlT_T0_E_clISt17integral_constantIbLb0EES19_IbLb1EEEEDaS15_S16_EUlS15_E_NS1_11comp_targetILNS1_3genE8ELNS1_11target_archE1030ELNS1_3gpuE2ELNS1_3repE0EEENS1_30default_config_static_selectorELNS0_4arch9wavefront6targetE1EEEvT1_,"axG",@progbits,_ZN7rocprim17ROCPRIM_400000_NS6detail17trampoline_kernelINS0_14default_configENS1_25partition_config_selectorILNS1_17partition_subalgoE9EllbEEZZNS1_14partition_implILS5_9ELb0ES3_jPlS8_PNS0_10empty_typeENS0_5tupleIJS8_S9_EEENSB_IJS8_SA_EEENS0_18inequality_wrapperIZN2at6native12_GLOBAL__N_124unique_dim_cuda_templateIlEESt5tupleIJNSF_6TensorESK_SK_EERKSK_lbbbEUlllE0_EEPmJS9_EEE10hipError_tPvRmT3_T4_T5_T6_T7_T9_mT8_P12ihipStream_tbDpT10_ENKUlT_T0_E_clISt17integral_constantIbLb0EES19_IbLb1EEEEDaS15_S16_EUlS15_E_NS1_11comp_targetILNS1_3genE8ELNS1_11target_archE1030ELNS1_3gpuE2ELNS1_3repE0EEENS1_30default_config_static_selectorELNS0_4arch9wavefront6targetE1EEEvT1_,comdat
.Lfunc_end626:
	.size	_ZN7rocprim17ROCPRIM_400000_NS6detail17trampoline_kernelINS0_14default_configENS1_25partition_config_selectorILNS1_17partition_subalgoE9EllbEEZZNS1_14partition_implILS5_9ELb0ES3_jPlS8_PNS0_10empty_typeENS0_5tupleIJS8_S9_EEENSB_IJS8_SA_EEENS0_18inequality_wrapperIZN2at6native12_GLOBAL__N_124unique_dim_cuda_templateIlEESt5tupleIJNSF_6TensorESK_SK_EERKSK_lbbbEUlllE0_EEPmJS9_EEE10hipError_tPvRmT3_T4_T5_T6_T7_T9_mT8_P12ihipStream_tbDpT10_ENKUlT_T0_E_clISt17integral_constantIbLb0EES19_IbLb1EEEEDaS15_S16_EUlS15_E_NS1_11comp_targetILNS1_3genE8ELNS1_11target_archE1030ELNS1_3gpuE2ELNS1_3repE0EEENS1_30default_config_static_selectorELNS0_4arch9wavefront6targetE1EEEvT1_, .Lfunc_end626-_ZN7rocprim17ROCPRIM_400000_NS6detail17trampoline_kernelINS0_14default_configENS1_25partition_config_selectorILNS1_17partition_subalgoE9EllbEEZZNS1_14partition_implILS5_9ELb0ES3_jPlS8_PNS0_10empty_typeENS0_5tupleIJS8_S9_EEENSB_IJS8_SA_EEENS0_18inequality_wrapperIZN2at6native12_GLOBAL__N_124unique_dim_cuda_templateIlEESt5tupleIJNSF_6TensorESK_SK_EERKSK_lbbbEUlllE0_EEPmJS9_EEE10hipError_tPvRmT3_T4_T5_T6_T7_T9_mT8_P12ihipStream_tbDpT10_ENKUlT_T0_E_clISt17integral_constantIbLb0EES19_IbLb1EEEEDaS15_S16_EUlS15_E_NS1_11comp_targetILNS1_3genE8ELNS1_11target_archE1030ELNS1_3gpuE2ELNS1_3repE0EEENS1_30default_config_static_selectorELNS0_4arch9wavefront6targetE1EEEvT1_
                                        ; -- End function
	.set _ZN7rocprim17ROCPRIM_400000_NS6detail17trampoline_kernelINS0_14default_configENS1_25partition_config_selectorILNS1_17partition_subalgoE9EllbEEZZNS1_14partition_implILS5_9ELb0ES3_jPlS8_PNS0_10empty_typeENS0_5tupleIJS8_S9_EEENSB_IJS8_SA_EEENS0_18inequality_wrapperIZN2at6native12_GLOBAL__N_124unique_dim_cuda_templateIlEESt5tupleIJNSF_6TensorESK_SK_EERKSK_lbbbEUlllE0_EEPmJS9_EEE10hipError_tPvRmT3_T4_T5_T6_T7_T9_mT8_P12ihipStream_tbDpT10_ENKUlT_T0_E_clISt17integral_constantIbLb0EES19_IbLb1EEEEDaS15_S16_EUlS15_E_NS1_11comp_targetILNS1_3genE8ELNS1_11target_archE1030ELNS1_3gpuE2ELNS1_3repE0EEENS1_30default_config_static_selectorELNS0_4arch9wavefront6targetE1EEEvT1_.num_vgpr, 0
	.set _ZN7rocprim17ROCPRIM_400000_NS6detail17trampoline_kernelINS0_14default_configENS1_25partition_config_selectorILNS1_17partition_subalgoE9EllbEEZZNS1_14partition_implILS5_9ELb0ES3_jPlS8_PNS0_10empty_typeENS0_5tupleIJS8_S9_EEENSB_IJS8_SA_EEENS0_18inequality_wrapperIZN2at6native12_GLOBAL__N_124unique_dim_cuda_templateIlEESt5tupleIJNSF_6TensorESK_SK_EERKSK_lbbbEUlllE0_EEPmJS9_EEE10hipError_tPvRmT3_T4_T5_T6_T7_T9_mT8_P12ihipStream_tbDpT10_ENKUlT_T0_E_clISt17integral_constantIbLb0EES19_IbLb1EEEEDaS15_S16_EUlS15_E_NS1_11comp_targetILNS1_3genE8ELNS1_11target_archE1030ELNS1_3gpuE2ELNS1_3repE0EEENS1_30default_config_static_selectorELNS0_4arch9wavefront6targetE1EEEvT1_.num_agpr, 0
	.set _ZN7rocprim17ROCPRIM_400000_NS6detail17trampoline_kernelINS0_14default_configENS1_25partition_config_selectorILNS1_17partition_subalgoE9EllbEEZZNS1_14partition_implILS5_9ELb0ES3_jPlS8_PNS0_10empty_typeENS0_5tupleIJS8_S9_EEENSB_IJS8_SA_EEENS0_18inequality_wrapperIZN2at6native12_GLOBAL__N_124unique_dim_cuda_templateIlEESt5tupleIJNSF_6TensorESK_SK_EERKSK_lbbbEUlllE0_EEPmJS9_EEE10hipError_tPvRmT3_T4_T5_T6_T7_T9_mT8_P12ihipStream_tbDpT10_ENKUlT_T0_E_clISt17integral_constantIbLb0EES19_IbLb1EEEEDaS15_S16_EUlS15_E_NS1_11comp_targetILNS1_3genE8ELNS1_11target_archE1030ELNS1_3gpuE2ELNS1_3repE0EEENS1_30default_config_static_selectorELNS0_4arch9wavefront6targetE1EEEvT1_.numbered_sgpr, 0
	.set _ZN7rocprim17ROCPRIM_400000_NS6detail17trampoline_kernelINS0_14default_configENS1_25partition_config_selectorILNS1_17partition_subalgoE9EllbEEZZNS1_14partition_implILS5_9ELb0ES3_jPlS8_PNS0_10empty_typeENS0_5tupleIJS8_S9_EEENSB_IJS8_SA_EEENS0_18inequality_wrapperIZN2at6native12_GLOBAL__N_124unique_dim_cuda_templateIlEESt5tupleIJNSF_6TensorESK_SK_EERKSK_lbbbEUlllE0_EEPmJS9_EEE10hipError_tPvRmT3_T4_T5_T6_T7_T9_mT8_P12ihipStream_tbDpT10_ENKUlT_T0_E_clISt17integral_constantIbLb0EES19_IbLb1EEEEDaS15_S16_EUlS15_E_NS1_11comp_targetILNS1_3genE8ELNS1_11target_archE1030ELNS1_3gpuE2ELNS1_3repE0EEENS1_30default_config_static_selectorELNS0_4arch9wavefront6targetE1EEEvT1_.num_named_barrier, 0
	.set _ZN7rocprim17ROCPRIM_400000_NS6detail17trampoline_kernelINS0_14default_configENS1_25partition_config_selectorILNS1_17partition_subalgoE9EllbEEZZNS1_14partition_implILS5_9ELb0ES3_jPlS8_PNS0_10empty_typeENS0_5tupleIJS8_S9_EEENSB_IJS8_SA_EEENS0_18inequality_wrapperIZN2at6native12_GLOBAL__N_124unique_dim_cuda_templateIlEESt5tupleIJNSF_6TensorESK_SK_EERKSK_lbbbEUlllE0_EEPmJS9_EEE10hipError_tPvRmT3_T4_T5_T6_T7_T9_mT8_P12ihipStream_tbDpT10_ENKUlT_T0_E_clISt17integral_constantIbLb0EES19_IbLb1EEEEDaS15_S16_EUlS15_E_NS1_11comp_targetILNS1_3genE8ELNS1_11target_archE1030ELNS1_3gpuE2ELNS1_3repE0EEENS1_30default_config_static_selectorELNS0_4arch9wavefront6targetE1EEEvT1_.private_seg_size, 0
	.set _ZN7rocprim17ROCPRIM_400000_NS6detail17trampoline_kernelINS0_14default_configENS1_25partition_config_selectorILNS1_17partition_subalgoE9EllbEEZZNS1_14partition_implILS5_9ELb0ES3_jPlS8_PNS0_10empty_typeENS0_5tupleIJS8_S9_EEENSB_IJS8_SA_EEENS0_18inequality_wrapperIZN2at6native12_GLOBAL__N_124unique_dim_cuda_templateIlEESt5tupleIJNSF_6TensorESK_SK_EERKSK_lbbbEUlllE0_EEPmJS9_EEE10hipError_tPvRmT3_T4_T5_T6_T7_T9_mT8_P12ihipStream_tbDpT10_ENKUlT_T0_E_clISt17integral_constantIbLb0EES19_IbLb1EEEEDaS15_S16_EUlS15_E_NS1_11comp_targetILNS1_3genE8ELNS1_11target_archE1030ELNS1_3gpuE2ELNS1_3repE0EEENS1_30default_config_static_selectorELNS0_4arch9wavefront6targetE1EEEvT1_.uses_vcc, 0
	.set _ZN7rocprim17ROCPRIM_400000_NS6detail17trampoline_kernelINS0_14default_configENS1_25partition_config_selectorILNS1_17partition_subalgoE9EllbEEZZNS1_14partition_implILS5_9ELb0ES3_jPlS8_PNS0_10empty_typeENS0_5tupleIJS8_S9_EEENSB_IJS8_SA_EEENS0_18inequality_wrapperIZN2at6native12_GLOBAL__N_124unique_dim_cuda_templateIlEESt5tupleIJNSF_6TensorESK_SK_EERKSK_lbbbEUlllE0_EEPmJS9_EEE10hipError_tPvRmT3_T4_T5_T6_T7_T9_mT8_P12ihipStream_tbDpT10_ENKUlT_T0_E_clISt17integral_constantIbLb0EES19_IbLb1EEEEDaS15_S16_EUlS15_E_NS1_11comp_targetILNS1_3genE8ELNS1_11target_archE1030ELNS1_3gpuE2ELNS1_3repE0EEENS1_30default_config_static_selectorELNS0_4arch9wavefront6targetE1EEEvT1_.uses_flat_scratch, 0
	.set _ZN7rocprim17ROCPRIM_400000_NS6detail17trampoline_kernelINS0_14default_configENS1_25partition_config_selectorILNS1_17partition_subalgoE9EllbEEZZNS1_14partition_implILS5_9ELb0ES3_jPlS8_PNS0_10empty_typeENS0_5tupleIJS8_S9_EEENSB_IJS8_SA_EEENS0_18inequality_wrapperIZN2at6native12_GLOBAL__N_124unique_dim_cuda_templateIlEESt5tupleIJNSF_6TensorESK_SK_EERKSK_lbbbEUlllE0_EEPmJS9_EEE10hipError_tPvRmT3_T4_T5_T6_T7_T9_mT8_P12ihipStream_tbDpT10_ENKUlT_T0_E_clISt17integral_constantIbLb0EES19_IbLb1EEEEDaS15_S16_EUlS15_E_NS1_11comp_targetILNS1_3genE8ELNS1_11target_archE1030ELNS1_3gpuE2ELNS1_3repE0EEENS1_30default_config_static_selectorELNS0_4arch9wavefront6targetE1EEEvT1_.has_dyn_sized_stack, 0
	.set _ZN7rocprim17ROCPRIM_400000_NS6detail17trampoline_kernelINS0_14default_configENS1_25partition_config_selectorILNS1_17partition_subalgoE9EllbEEZZNS1_14partition_implILS5_9ELb0ES3_jPlS8_PNS0_10empty_typeENS0_5tupleIJS8_S9_EEENSB_IJS8_SA_EEENS0_18inequality_wrapperIZN2at6native12_GLOBAL__N_124unique_dim_cuda_templateIlEESt5tupleIJNSF_6TensorESK_SK_EERKSK_lbbbEUlllE0_EEPmJS9_EEE10hipError_tPvRmT3_T4_T5_T6_T7_T9_mT8_P12ihipStream_tbDpT10_ENKUlT_T0_E_clISt17integral_constantIbLb0EES19_IbLb1EEEEDaS15_S16_EUlS15_E_NS1_11comp_targetILNS1_3genE8ELNS1_11target_archE1030ELNS1_3gpuE2ELNS1_3repE0EEENS1_30default_config_static_selectorELNS0_4arch9wavefront6targetE1EEEvT1_.has_recursion, 0
	.set _ZN7rocprim17ROCPRIM_400000_NS6detail17trampoline_kernelINS0_14default_configENS1_25partition_config_selectorILNS1_17partition_subalgoE9EllbEEZZNS1_14partition_implILS5_9ELb0ES3_jPlS8_PNS0_10empty_typeENS0_5tupleIJS8_S9_EEENSB_IJS8_SA_EEENS0_18inequality_wrapperIZN2at6native12_GLOBAL__N_124unique_dim_cuda_templateIlEESt5tupleIJNSF_6TensorESK_SK_EERKSK_lbbbEUlllE0_EEPmJS9_EEE10hipError_tPvRmT3_T4_T5_T6_T7_T9_mT8_P12ihipStream_tbDpT10_ENKUlT_T0_E_clISt17integral_constantIbLb0EES19_IbLb1EEEEDaS15_S16_EUlS15_E_NS1_11comp_targetILNS1_3genE8ELNS1_11target_archE1030ELNS1_3gpuE2ELNS1_3repE0EEENS1_30default_config_static_selectorELNS0_4arch9wavefront6targetE1EEEvT1_.has_indirect_call, 0
	.section	.AMDGPU.csdata,"",@progbits
; Kernel info:
; codeLenInByte = 0
; TotalNumSgprs: 6
; NumVgprs: 0
; NumAgprs: 0
; TotalNumVgprs: 0
; ScratchSize: 0
; MemoryBound: 0
; FloatMode: 240
; IeeeMode: 1
; LDSByteSize: 0 bytes/workgroup (compile time only)
; SGPRBlocks: 0
; VGPRBlocks: 0
; NumSGPRsForWavesPerEU: 6
; NumVGPRsForWavesPerEU: 1
; AccumOffset: 4
; Occupancy: 8
; WaveLimiterHint : 0
; COMPUTE_PGM_RSRC2:SCRATCH_EN: 0
; COMPUTE_PGM_RSRC2:USER_SGPR: 2
; COMPUTE_PGM_RSRC2:TRAP_HANDLER: 0
; COMPUTE_PGM_RSRC2:TGID_X_EN: 1
; COMPUTE_PGM_RSRC2:TGID_Y_EN: 0
; COMPUTE_PGM_RSRC2:TGID_Z_EN: 0
; COMPUTE_PGM_RSRC2:TIDIG_COMP_CNT: 0
; COMPUTE_PGM_RSRC3_GFX90A:ACCUM_OFFSET: 0
; COMPUTE_PGM_RSRC3_GFX90A:TG_SPLIT: 0
	.section	.text._ZN7rocprim17ROCPRIM_400000_NS6detail17trampoline_kernelINS0_14default_configENS1_37merge_sort_block_sort_config_selectorIlNS0_10empty_typeEEEZNS1_21merge_sort_block_sortIS3_PlS8_PS5_S9_ZN2at6native12_GLOBAL__N_124unique_dim_cuda_templateIsEESt5tupleIJNSA_6TensorESF_SF_EERKSF_lbbbEUlllE_EE10hipError_tT0_T1_T2_T3_mRjT4_P12ihipStream_tbNS1_7vsmem_tEEUlT_E_NS1_11comp_targetILNS1_3genE0ELNS1_11target_archE4294967295ELNS1_3gpuE0ELNS1_3repE0EEENS1_30default_config_static_selectorELNS0_4arch9wavefront6targetE1EEEvSM_,"axG",@progbits,_ZN7rocprim17ROCPRIM_400000_NS6detail17trampoline_kernelINS0_14default_configENS1_37merge_sort_block_sort_config_selectorIlNS0_10empty_typeEEEZNS1_21merge_sort_block_sortIS3_PlS8_PS5_S9_ZN2at6native12_GLOBAL__N_124unique_dim_cuda_templateIsEESt5tupleIJNSA_6TensorESF_SF_EERKSF_lbbbEUlllE_EE10hipError_tT0_T1_T2_T3_mRjT4_P12ihipStream_tbNS1_7vsmem_tEEUlT_E_NS1_11comp_targetILNS1_3genE0ELNS1_11target_archE4294967295ELNS1_3gpuE0ELNS1_3repE0EEENS1_30default_config_static_selectorELNS0_4arch9wavefront6targetE1EEEvSM_,comdat
	.globl	_ZN7rocprim17ROCPRIM_400000_NS6detail17trampoline_kernelINS0_14default_configENS1_37merge_sort_block_sort_config_selectorIlNS0_10empty_typeEEEZNS1_21merge_sort_block_sortIS3_PlS8_PS5_S9_ZN2at6native12_GLOBAL__N_124unique_dim_cuda_templateIsEESt5tupleIJNSA_6TensorESF_SF_EERKSF_lbbbEUlllE_EE10hipError_tT0_T1_T2_T3_mRjT4_P12ihipStream_tbNS1_7vsmem_tEEUlT_E_NS1_11comp_targetILNS1_3genE0ELNS1_11target_archE4294967295ELNS1_3gpuE0ELNS1_3repE0EEENS1_30default_config_static_selectorELNS0_4arch9wavefront6targetE1EEEvSM_ ; -- Begin function _ZN7rocprim17ROCPRIM_400000_NS6detail17trampoline_kernelINS0_14default_configENS1_37merge_sort_block_sort_config_selectorIlNS0_10empty_typeEEEZNS1_21merge_sort_block_sortIS3_PlS8_PS5_S9_ZN2at6native12_GLOBAL__N_124unique_dim_cuda_templateIsEESt5tupleIJNSA_6TensorESF_SF_EERKSF_lbbbEUlllE_EE10hipError_tT0_T1_T2_T3_mRjT4_P12ihipStream_tbNS1_7vsmem_tEEUlT_E_NS1_11comp_targetILNS1_3genE0ELNS1_11target_archE4294967295ELNS1_3gpuE0ELNS1_3repE0EEENS1_30default_config_static_selectorELNS0_4arch9wavefront6targetE1EEEvSM_
	.p2align	8
	.type	_ZN7rocprim17ROCPRIM_400000_NS6detail17trampoline_kernelINS0_14default_configENS1_37merge_sort_block_sort_config_selectorIlNS0_10empty_typeEEEZNS1_21merge_sort_block_sortIS3_PlS8_PS5_S9_ZN2at6native12_GLOBAL__N_124unique_dim_cuda_templateIsEESt5tupleIJNSA_6TensorESF_SF_EERKSF_lbbbEUlllE_EE10hipError_tT0_T1_T2_T3_mRjT4_P12ihipStream_tbNS1_7vsmem_tEEUlT_E_NS1_11comp_targetILNS1_3genE0ELNS1_11target_archE4294967295ELNS1_3gpuE0ELNS1_3repE0EEENS1_30default_config_static_selectorELNS0_4arch9wavefront6targetE1EEEvSM_,@function
_ZN7rocprim17ROCPRIM_400000_NS6detail17trampoline_kernelINS0_14default_configENS1_37merge_sort_block_sort_config_selectorIlNS0_10empty_typeEEEZNS1_21merge_sort_block_sortIS3_PlS8_PS5_S9_ZN2at6native12_GLOBAL__N_124unique_dim_cuda_templateIsEESt5tupleIJNSA_6TensorESF_SF_EERKSF_lbbbEUlllE_EE10hipError_tT0_T1_T2_T3_mRjT4_P12ihipStream_tbNS1_7vsmem_tEEUlT_E_NS1_11comp_targetILNS1_3genE0ELNS1_11target_archE4294967295ELNS1_3gpuE0ELNS1_3repE0EEENS1_30default_config_static_selectorELNS0_4arch9wavefront6targetE1EEEvSM_: ; @_ZN7rocprim17ROCPRIM_400000_NS6detail17trampoline_kernelINS0_14default_configENS1_37merge_sort_block_sort_config_selectorIlNS0_10empty_typeEEEZNS1_21merge_sort_block_sortIS3_PlS8_PS5_S9_ZN2at6native12_GLOBAL__N_124unique_dim_cuda_templateIsEESt5tupleIJNSA_6TensorESF_SF_EERKSF_lbbbEUlllE_EE10hipError_tT0_T1_T2_T3_mRjT4_P12ihipStream_tbNS1_7vsmem_tEEUlT_E_NS1_11comp_targetILNS1_3genE0ELNS1_11target_archE4294967295ELNS1_3gpuE0ELNS1_3repE0EEENS1_30default_config_static_selectorELNS0_4arch9wavefront6targetE1EEEvSM_
; %bb.0:
	s_mov_b32 s14, s2
	s_load_dwordx2 s[18:19], s[0:1], 0x48
	s_load_dword s2, s[0:1], 0x0
	s_add_u32 s16, s0, 0x48
	s_addc_u32 s17, s1, 0
	s_waitcnt lgkmcnt(0)
	s_mul_i32 s4, s19, s4
	s_add_i32 s3, s4, s3
	s_mul_i32 s3, s3, s18
	s_add_i32 s6, s3, s14
	s_cmp_ge_u32 s6, s2
	s_cbranch_scc1 .LBB627_1484
; %bb.1:
	s_load_dwordx2 s[8:9], s[0:1], 0x8
	s_load_dwordx4 s[20:23], s[0:1], 0x18
	s_load_dwordx4 s[36:39], s[0:1], 0x38
	s_mov_b32 s7, 0
	s_lshl_b64 s[2:3], s[6:7], 14
	s_waitcnt lgkmcnt(0)
	s_lshr_b64 s[0:1], s[8:9], 11
	s_add_u32 s20, s20, s2
	s_addc_u32 s21, s21, s3
	s_add_u32 s34, s22, s2
	s_addc_u32 s35, s23, s3
	s_cmp_lg_u64 s[0:1], s[6:7]
	v_and_b32_e32 v18, 0x3ff, v0
	s_cbranch_scc0 .LBB627_8
; %bb.2:
	v_mov_b32_e32 v19, 0
	v_lshlrev_b32_e32 v20, 3, v18
	v_mov_b32_e32 v21, v19
	v_lshl_add_u64 v[2:3], s[20:21], 0, v[20:21]
	v_add_co_u32_e32 v8, vcc, 0x1000, v2
	global_load_dwordx2 v[4:5], v20, s[20:21]
	global_load_dwordx2 v[6:7], v20, s[20:21] offset:2048
	v_addc_co_u32_e32 v9, vcc, 0, v3, vcc
	v_add_co_u32_e32 v10, vcc, 0x2000, v2
	v_lshrrev_b32_e32 v1, 2, v18
	s_nop 0
	v_addc_co_u32_e32 v11, vcc, 0, v3, vcc
	v_add_co_u32_e32 v2, vcc, 0x3000, v2
	global_load_dwordx2 v[12:13], v[8:9], off
	global_load_dwordx2 v[14:15], v[8:9], off offset:2048
	global_load_dwordx2 v[16:17], v[10:11], off
	global_load_dwordx2 v[22:23], v[10:11], off offset:2048
	v_addc_co_u32_e32 v3, vcc, 0, v3, vcc
	global_load_dwordx2 v[8:9], v[2:3], off
	global_load_dwordx2 v[10:11], v[2:3], off offset:2048
	v_add_u32_e32 v2, 0x100, v18
	v_add_u32_e32 v3, 0x200, v18
	;; [unrolled: 1-line block ×3, first 2 shown]
	v_or_b32_e32 v24, 0x400, v18
	v_add_u32_e32 v25, 0x500, v18
	v_add_u32_e32 v26, 0x600, v18
	;; [unrolled: 1-line block ×3, first 2 shown]
	v_lshlrev_b32_e32 v28, 1, v18
	v_and_b32_e32 v1, 0xf8, v1
	v_lshrrev_b32_e32 v2, 2, v2
	v_lshrrev_b32_e32 v3, 2, v3
	;; [unrolled: 1-line block ×7, first 2 shown]
	v_and_b32_e32 v28, 0x7f8, v28
	v_add_u32_e32 v1, v1, v20
	v_and_b32_e32 v2, 0x1f8, v2
	v_and_b32_e32 v3, 0x1f8, v3
	;; [unrolled: 1-line block ×7, first 2 shown]
	v_lshl_add_u32 v34, v18, 6, v28
	v_add_u32_e32 v21, v2, v20
	v_add_u32_e32 v28, v3, v20
	;; [unrolled: 1-line block ×7, first 2 shown]
	v_bfe_u32 v24, v0, 20, 10
	v_cmp_gt_i64_e64 s[12:13], s[36:37], 0
	s_waitcnt vmcnt(7)
	ds_write_b64 v1, v[4:5]
	s_waitcnt vmcnt(6)
	ds_write_b64 v21, v[6:7] offset:2048
	s_waitcnt vmcnt(5)
	ds_write_b64 v28, v[12:13] offset:4096
	s_waitcnt vmcnt(4)
	ds_write_b64 v29, v[14:15] offset:6144
	s_waitcnt vmcnt(3)
	ds_write_b64 v30, v[16:17] offset:8192
	s_waitcnt vmcnt(2)
	ds_write_b64 v31, v[22:23] offset:10240
	s_waitcnt vmcnt(1)
	ds_write_b64 v32, v[8:9] offset:12288
	s_waitcnt vmcnt(0)
	ds_write_b64 v33, v[10:11] offset:14336
	s_waitcnt lgkmcnt(0)
	s_barrier
	ds_read2_b64 v[14:17], v34 offset1:1
	ds_read2_b64 v[10:13], v34 offset0:2 offset1:3
	ds_read2_b64 v[6:9], v34 offset0:4 offset1:5
	;; [unrolled: 1-line block ×3, first 2 shown]
	s_waitcnt lgkmcnt(0)
	s_barrier
	s_load_dword s0, s[16:17], 0xc
	v_bfe_u32 v23, v0, 10, 10
	v_cndmask_b32_e64 v25, 0, 1, s[12:13]
	s_waitcnt lgkmcnt(0)
	s_lshr_b32 s2, s0, 16
	s_cmp_lt_u32 s14, s18
	s_cselect_b32 s0, 12, 18
	s_add_u32 s0, s16, s0
	s_addc_u32 s1, s17, 0
	global_load_ushort v22, v19, s[0:1]
	v_mad_u32_u24 v23, v24, s2, v23
	s_movk_i32 s0, 0x800
	s_waitcnt vmcnt(0)
	v_mul_lo_u32 v22, v23, v22
	v_add_lshl_u32 v26, v22, v18, 3
	v_cmp_gt_u32_e32 vcc, s0, v26
	v_cmp_ne_u32_e64 s[0:1], 1, v25
	s_and_saveexec_b64 s[10:11], vcc
	s_cbranch_execz .LBB627_188
; %bb.3:
	s_and_b64 vcc, exec, s[0:1]
	s_cbranch_vccnz .LBB627_18
; %bb.4:
	v_mul_lo_u32 v24, v17, s36
	v_mul_lo_u32 v25, v16, s37
	v_mad_u64_u32 v[22:23], s[2:3], v16, s36, 0
	v_add3_u32 v23, v23, v25, v24
	v_mul_lo_u32 v27, v15, s36
	v_mul_lo_u32 v35, v14, s37
	v_mad_u64_u32 v[24:25], s[2:3], v14, s36, 0
	v_add3_u32 v25, v25, v35, v27
	v_lshl_add_u64 v[22:23], v[22:23], 1, s[38:39]
	v_lshl_add_u64 v[24:25], v[24:25], 1, s[38:39]
	s_mov_b64 s[24:25], 0
	s_mov_b64 s[42:43], s[36:37]
                                        ; implicit-def: $sgpr22_sgpr23
                                        ; implicit-def: $sgpr26_sgpr27
                                        ; implicit-def: $sgpr30_sgpr31
                                        ; implicit-def: $sgpr28_sgpr29
                                        ; implicit-def: $sgpr40_sgpr41
	s_branch .LBB627_6
.LBB627_5:                              ;   in Loop: Header=BB627_6 Depth=1
	s_or_b64 exec, exec, s[44:45]
	s_and_b64 s[2:3], s[2:3], s[40:41]
	s_or_b64 s[2:3], vcc, s[2:3]
	s_and_b64 s[4:5], exec, s[30:31]
	s_or_b64 s[24:25], s[4:5], s[24:25]
	s_andn2_b64 s[4:5], s[40:41], exec
	s_and_b64 s[2:3], s[2:3], exec
	s_or_b64 s[40:41], s[4:5], s[2:3]
	s_andn2_b64 s[4:5], s[26:27], exec
	s_and_b64 s[26:27], s[28:29], exec
	s_or_b64 s[26:27], s[4:5], s[26:27]
	s_andn2_b64 s[4:5], s[22:23], exec
	s_or_b64 s[22:23], s[4:5], s[2:3]
	s_andn2_b64 exec, exec, s[24:25]
	s_cbranch_execz .LBB627_9
.LBB627_6:                              ; =>This Inner Loop Header: Depth=1
	global_load_ushort v27, v[22:23], off
	global_load_ushort v35, v[24:25], off
	s_or_b64 s[28:29], s[28:29], exec
	s_or_b64 s[30:31], s[30:31], exec
	s_waitcnt vmcnt(0)
	v_cmp_lt_i16_e32 vcc, v27, v35
	v_cmp_le_i16_e64 s[2:3], v27, v35
	v_cmp_eq_u16_e64 s[4:5], v27, v35
	s_and_saveexec_b64 s[44:45], s[4:5]
	s_cbranch_execz .LBB627_5
; %bb.7:                                ;   in Loop: Header=BB627_6 Depth=1
	s_add_u32 s42, s42, -1
	s_addc_u32 s43, s43, -1
	s_cmp_eq_u64 s[42:43], 0
	s_cselect_b64 s[4:5], -1, 0
	s_andn2_b64 s[30:31], s[30:31], exec
	s_and_b64 s[4:5], s[4:5], exec
	v_lshl_add_u64 v[22:23], v[22:23], 0, 2
	v_lshl_add_u64 v[24:25], v[24:25], 0, 2
	s_andn2_b64 s[28:29], s[28:29], exec
	s_or_b64 s[30:31], s[30:31], s[4:5]
	s_branch .LBB627_5
.LBB627_8:
	s_mov_b64 s[40:41], 0
                                        ; implicit-def: $vgpr14_vgpr15
	s_cbranch_execnz .LBB627_697
	s_branch .LBB627_1482
.LBB627_9:
	s_or_b64 exec, exec, s[24:25]
	s_and_saveexec_b64 s[2:3], s[26:27]
	s_xor_b64 s[2:3], exec, s[2:3]
; %bb.10:
	v_cndmask_b32_e64 v23, v17, v15, s[22:23]
	v_cndmask_b32_e64 v22, v16, v14, s[22:23]
	;; [unrolled: 1-line block ×4, first 2 shown]
	v_mov_b64_e32 v[16:17], v[22:23]
; %bb.11:
	s_or_b64 exec, exec, s[2:3]
	v_mul_lo_u32 v24, v13, s36
	v_mul_lo_u32 v25, v12, s37
	v_mad_u64_u32 v[22:23], s[2:3], v12, s36, 0
	v_add3_u32 v23, v23, v25, v24
	v_mul_lo_u32 v27, v11, s36
	v_mul_lo_u32 v35, v10, s37
	v_mad_u64_u32 v[24:25], s[2:3], v10, s36, 0
	v_add3_u32 v25, v25, v35, v27
	v_lshl_add_u64 v[22:23], v[22:23], 1, s[38:39]
	v_lshl_add_u64 v[24:25], v[24:25], 1, s[38:39]
	s_mov_b64 s[26:27], 0
	s_mov_b64 s[42:43], s[36:37]
                                        ; implicit-def: $sgpr22_sgpr23
                                        ; implicit-def: $sgpr24_sgpr25
                                        ; implicit-def: $sgpr30_sgpr31
                                        ; implicit-def: $sgpr28_sgpr29
                                        ; implicit-def: $sgpr40_sgpr41
	s_branch .LBB627_13
.LBB627_12:                             ;   in Loop: Header=BB627_13 Depth=1
	s_or_b64 exec, exec, s[44:45]
	s_and_b64 s[2:3], s[2:3], s[40:41]
	s_or_b64 s[2:3], vcc, s[2:3]
	s_and_b64 s[4:5], exec, s[30:31]
	s_or_b64 s[26:27], s[4:5], s[26:27]
	s_andn2_b64 s[4:5], s[40:41], exec
	s_and_b64 s[2:3], s[2:3], exec
	s_or_b64 s[40:41], s[4:5], s[2:3]
	s_andn2_b64 s[4:5], s[24:25], exec
	s_and_b64 s[24:25], s[28:29], exec
	s_or_b64 s[24:25], s[4:5], s[24:25]
	s_andn2_b64 s[4:5], s[22:23], exec
	s_or_b64 s[22:23], s[4:5], s[2:3]
	s_andn2_b64 exec, exec, s[26:27]
	s_cbranch_execz .LBB627_15
.LBB627_13:                             ; =>This Inner Loop Header: Depth=1
	global_load_ushort v27, v[22:23], off
	global_load_ushort v35, v[24:25], off
	s_or_b64 s[28:29], s[28:29], exec
	s_or_b64 s[30:31], s[30:31], exec
	s_waitcnt vmcnt(0)
	v_cmp_lt_i16_e32 vcc, v27, v35
	v_cmp_le_i16_e64 s[2:3], v27, v35
	v_cmp_eq_u16_e64 s[4:5], v27, v35
	s_and_saveexec_b64 s[44:45], s[4:5]
	s_cbranch_execz .LBB627_12
; %bb.14:                               ;   in Loop: Header=BB627_13 Depth=1
	s_add_u32 s42, s42, -1
	s_addc_u32 s43, s43, -1
	s_cmp_eq_u64 s[42:43], 0
	s_cselect_b64 s[4:5], -1, 0
	s_andn2_b64 s[30:31], s[30:31], exec
	s_and_b64 s[4:5], s[4:5], exec
	v_lshl_add_u64 v[22:23], v[22:23], 0, 2
	v_lshl_add_u64 v[24:25], v[24:25], 0, 2
	s_andn2_b64 s[28:29], s[28:29], exec
	s_or_b64 s[30:31], s[30:31], s[4:5]
	s_branch .LBB627_12
.LBB627_15:
	s_or_b64 exec, exec, s[26:27]
	s_and_saveexec_b64 s[2:3], s[24:25]
	s_xor_b64 s[2:3], exec, s[2:3]
; %bb.16:
	v_cndmask_b32_e64 v23, v11, v13, s[22:23]
	v_cndmask_b32_e64 v22, v10, v12, s[22:23]
	;; [unrolled: 1-line block ×4, first 2 shown]
	v_mov_b64_e32 v[10:11], v[22:23]
; %bb.17:
	s_or_b64 exec, exec, s[2:3]
.LBB627_18:
	s_and_b64 vcc, exec, s[0:1]
	s_cbranch_vccnz .LBB627_32
; %bb.19:
	v_mul_lo_u32 v24, v9, s36
	v_mul_lo_u32 v25, v8, s37
	v_mad_u64_u32 v[22:23], s[2:3], v8, s36, 0
	v_add3_u32 v23, v23, v25, v24
	v_mul_lo_u32 v27, v7, s36
	v_mul_lo_u32 v35, v6, s37
	v_mad_u64_u32 v[24:25], s[2:3], v6, s36, 0
	v_add3_u32 v25, v25, v35, v27
	v_lshl_add_u64 v[22:23], v[22:23], 1, s[38:39]
	v_lshl_add_u64 v[24:25], v[24:25], 1, s[38:39]
	s_mov_b64 s[24:25], 0
	s_mov_b64 s[42:43], s[36:37]
                                        ; implicit-def: $sgpr22_sgpr23
                                        ; implicit-def: $sgpr26_sgpr27
                                        ; implicit-def: $sgpr30_sgpr31
                                        ; implicit-def: $sgpr28_sgpr29
                                        ; implicit-def: $sgpr40_sgpr41
	s_branch .LBB627_21
.LBB627_20:                             ;   in Loop: Header=BB627_21 Depth=1
	s_or_b64 exec, exec, s[44:45]
	s_and_b64 s[2:3], s[2:3], s[40:41]
	s_or_b64 s[2:3], vcc, s[2:3]
	s_and_b64 s[4:5], exec, s[30:31]
	s_or_b64 s[24:25], s[4:5], s[24:25]
	s_andn2_b64 s[4:5], s[40:41], exec
	s_and_b64 s[2:3], s[2:3], exec
	s_or_b64 s[40:41], s[4:5], s[2:3]
	s_andn2_b64 s[4:5], s[26:27], exec
	s_and_b64 s[26:27], s[28:29], exec
	s_or_b64 s[26:27], s[4:5], s[26:27]
	s_andn2_b64 s[4:5], s[22:23], exec
	s_or_b64 s[22:23], s[4:5], s[2:3]
	s_andn2_b64 exec, exec, s[24:25]
	s_cbranch_execz .LBB627_23
.LBB627_21:                             ; =>This Inner Loop Header: Depth=1
	global_load_ushort v27, v[22:23], off
	global_load_ushort v35, v[24:25], off
	s_or_b64 s[28:29], s[28:29], exec
	s_or_b64 s[30:31], s[30:31], exec
	s_waitcnt vmcnt(0)
	v_cmp_lt_i16_e32 vcc, v27, v35
	v_cmp_le_i16_e64 s[2:3], v27, v35
	v_cmp_eq_u16_e64 s[4:5], v27, v35
	s_and_saveexec_b64 s[44:45], s[4:5]
	s_cbranch_execz .LBB627_20
; %bb.22:                               ;   in Loop: Header=BB627_21 Depth=1
	s_add_u32 s42, s42, -1
	s_addc_u32 s43, s43, -1
	s_cmp_eq_u64 s[42:43], 0
	s_cselect_b64 s[4:5], -1, 0
	s_andn2_b64 s[30:31], s[30:31], exec
	s_and_b64 s[4:5], s[4:5], exec
	v_lshl_add_u64 v[22:23], v[22:23], 0, 2
	v_lshl_add_u64 v[24:25], v[24:25], 0, 2
	s_andn2_b64 s[28:29], s[28:29], exec
	s_or_b64 s[30:31], s[30:31], s[4:5]
	s_branch .LBB627_20
.LBB627_23:
	s_or_b64 exec, exec, s[24:25]
	s_and_saveexec_b64 s[2:3], s[26:27]
	s_xor_b64 s[2:3], exec, s[2:3]
; %bb.24:
	v_cndmask_b32_e64 v23, v7, v9, s[22:23]
	v_cndmask_b32_e64 v22, v6, v8, s[22:23]
	;; [unrolled: 1-line block ×4, first 2 shown]
	v_mov_b64_e32 v[6:7], v[22:23]
; %bb.25:
	s_or_b64 exec, exec, s[2:3]
	v_mul_lo_u32 v24, v5, s36
	v_mul_lo_u32 v25, v4, s37
	v_mad_u64_u32 v[22:23], s[2:3], v4, s36, 0
	v_add3_u32 v23, v23, v25, v24
	v_mul_lo_u32 v27, v3, s36
	v_mul_lo_u32 v35, v2, s37
	v_mad_u64_u32 v[24:25], s[2:3], v2, s36, 0
	v_add3_u32 v25, v25, v35, v27
	v_lshl_add_u64 v[22:23], v[22:23], 1, s[38:39]
	v_lshl_add_u64 v[24:25], v[24:25], 1, s[38:39]
	s_mov_b64 s[26:27], 0
	s_mov_b64 s[42:43], s[36:37]
                                        ; implicit-def: $sgpr22_sgpr23
                                        ; implicit-def: $sgpr24_sgpr25
                                        ; implicit-def: $sgpr30_sgpr31
                                        ; implicit-def: $sgpr28_sgpr29
                                        ; implicit-def: $sgpr40_sgpr41
	s_branch .LBB627_27
.LBB627_26:                             ;   in Loop: Header=BB627_27 Depth=1
	s_or_b64 exec, exec, s[44:45]
	s_and_b64 s[2:3], s[2:3], s[40:41]
	s_or_b64 s[2:3], vcc, s[2:3]
	s_and_b64 s[4:5], exec, s[30:31]
	s_or_b64 s[26:27], s[4:5], s[26:27]
	s_andn2_b64 s[4:5], s[40:41], exec
	s_and_b64 s[2:3], s[2:3], exec
	s_or_b64 s[40:41], s[4:5], s[2:3]
	s_andn2_b64 s[4:5], s[24:25], exec
	s_and_b64 s[24:25], s[28:29], exec
	s_or_b64 s[24:25], s[4:5], s[24:25]
	s_andn2_b64 s[4:5], s[22:23], exec
	s_or_b64 s[22:23], s[4:5], s[2:3]
	s_andn2_b64 exec, exec, s[26:27]
	s_cbranch_execz .LBB627_29
.LBB627_27:                             ; =>This Inner Loop Header: Depth=1
	global_load_ushort v27, v[22:23], off
	global_load_ushort v35, v[24:25], off
	s_or_b64 s[28:29], s[28:29], exec
	s_or_b64 s[30:31], s[30:31], exec
	s_waitcnt vmcnt(0)
	v_cmp_lt_i16_e32 vcc, v27, v35
	v_cmp_le_i16_e64 s[2:3], v27, v35
	v_cmp_eq_u16_e64 s[4:5], v27, v35
	s_and_saveexec_b64 s[44:45], s[4:5]
	s_cbranch_execz .LBB627_26
; %bb.28:                               ;   in Loop: Header=BB627_27 Depth=1
	s_add_u32 s42, s42, -1
	s_addc_u32 s43, s43, -1
	s_cmp_eq_u64 s[42:43], 0
	s_cselect_b64 s[4:5], -1, 0
	s_andn2_b64 s[30:31], s[30:31], exec
	s_and_b64 s[4:5], s[4:5], exec
	v_lshl_add_u64 v[22:23], v[22:23], 0, 2
	v_lshl_add_u64 v[24:25], v[24:25], 0, 2
	s_andn2_b64 s[28:29], s[28:29], exec
	s_or_b64 s[30:31], s[30:31], s[4:5]
	s_branch .LBB627_26
.LBB627_29:
	s_or_b64 exec, exec, s[26:27]
	s_and_saveexec_b64 s[2:3], s[24:25]
	s_xor_b64 s[2:3], exec, s[2:3]
; %bb.30:
	v_cndmask_b32_e64 v23, v3, v5, s[22:23]
	v_cndmask_b32_e64 v22, v2, v4, s[22:23]
	;; [unrolled: 1-line block ×4, first 2 shown]
	v_mov_b64_e32 v[2:3], v[22:23]
; %bb.31:
	s_or_b64 exec, exec, s[2:3]
.LBB627_32:
	s_and_b64 vcc, exec, s[12:13]
	s_cbranch_vccz .LBB627_46
; %bb.33:
	v_mul_lo_u32 v24, v11, s36
	v_mul_lo_u32 v25, v10, s37
	v_mad_u64_u32 v[22:23], s[2:3], v10, s36, 0
	v_add3_u32 v23, v23, v25, v24
	v_mul_lo_u32 v27, v17, s36
	v_mul_lo_u32 v35, v16, s37
	v_mad_u64_u32 v[24:25], s[2:3], v16, s36, 0
	v_add3_u32 v25, v25, v35, v27
	v_lshl_add_u64 v[22:23], v[22:23], 1, s[38:39]
	v_lshl_add_u64 v[24:25], v[24:25], 1, s[38:39]
	s_mov_b64 s[22:23], 0
	s_mov_b64 s[40:41], s[36:37]
                                        ; implicit-def: $sgpr12_sgpr13
                                        ; implicit-def: $sgpr24_sgpr25
                                        ; implicit-def: $sgpr28_sgpr29
                                        ; implicit-def: $sgpr26_sgpr27
                                        ; implicit-def: $sgpr30_sgpr31
	s_branch .LBB627_35
.LBB627_34:                             ;   in Loop: Header=BB627_35 Depth=1
	s_or_b64 exec, exec, s[42:43]
	s_and_b64 s[2:3], s[2:3], s[30:31]
	s_or_b64 s[2:3], vcc, s[2:3]
	s_and_b64 s[4:5], exec, s[28:29]
	s_or_b64 s[22:23], s[4:5], s[22:23]
	s_andn2_b64 s[4:5], s[30:31], exec
	s_and_b64 s[2:3], s[2:3], exec
	s_or_b64 s[30:31], s[4:5], s[2:3]
	s_andn2_b64 s[4:5], s[24:25], exec
	s_and_b64 s[24:25], s[26:27], exec
	s_or_b64 s[24:25], s[4:5], s[24:25]
	s_andn2_b64 s[4:5], s[12:13], exec
	s_or_b64 s[12:13], s[4:5], s[2:3]
	s_andn2_b64 exec, exec, s[22:23]
	s_cbranch_execz .LBB627_37
.LBB627_35:                             ; =>This Inner Loop Header: Depth=1
	global_load_ushort v27, v[22:23], off
	global_load_ushort v35, v[24:25], off
	s_or_b64 s[26:27], s[26:27], exec
	s_or_b64 s[28:29], s[28:29], exec
	s_waitcnt vmcnt(0)
	v_cmp_lt_i16_e32 vcc, v27, v35
	v_cmp_le_i16_e64 s[2:3], v27, v35
	v_cmp_eq_u16_e64 s[4:5], v27, v35
	s_and_saveexec_b64 s[42:43], s[4:5]
	s_cbranch_execz .LBB627_34
; %bb.36:                               ;   in Loop: Header=BB627_35 Depth=1
	s_add_u32 s40, s40, -1
	s_addc_u32 s41, s41, -1
	s_cmp_eq_u64 s[40:41], 0
	s_cselect_b64 s[4:5], -1, 0
	s_andn2_b64 s[28:29], s[28:29], exec
	s_and_b64 s[4:5], s[4:5], exec
	v_lshl_add_u64 v[22:23], v[22:23], 0, 2
	v_lshl_add_u64 v[24:25], v[24:25], 0, 2
	s_andn2_b64 s[26:27], s[26:27], exec
	s_or_b64 s[28:29], s[28:29], s[4:5]
	s_branch .LBB627_34
.LBB627_37:
	s_or_b64 exec, exec, s[22:23]
	s_and_saveexec_b64 s[2:3], s[24:25]
	s_xor_b64 s[2:3], exec, s[2:3]
; %bb.38:
	v_cndmask_b32_e64 v23, v17, v11, s[12:13]
	v_cndmask_b32_e64 v22, v16, v10, s[12:13]
	;; [unrolled: 1-line block ×4, first 2 shown]
	v_mov_b64_e32 v[16:17], v[22:23]
; %bb.39:
	s_or_b64 exec, exec, s[2:3]
	v_mul_lo_u32 v24, v7, s36
	v_mul_lo_u32 v25, v6, s37
	v_mad_u64_u32 v[22:23], s[2:3], v6, s36, 0
	v_add3_u32 v23, v23, v25, v24
	v_mul_lo_u32 v27, v13, s36
	v_mul_lo_u32 v35, v12, s37
	v_mad_u64_u32 v[24:25], s[2:3], v12, s36, 0
	v_add3_u32 v25, v25, v35, v27
	v_lshl_add_u64 v[22:23], v[22:23], 1, s[38:39]
	v_lshl_add_u64 v[24:25], v[24:25], 1, s[38:39]
	s_mov_b64 s[24:25], 0
	s_mov_b64 s[40:41], s[36:37]
                                        ; implicit-def: $sgpr12_sgpr13
                                        ; implicit-def: $sgpr22_sgpr23
                                        ; implicit-def: $sgpr28_sgpr29
                                        ; implicit-def: $sgpr26_sgpr27
                                        ; implicit-def: $sgpr30_sgpr31
	s_branch .LBB627_41
.LBB627_40:                             ;   in Loop: Header=BB627_41 Depth=1
	s_or_b64 exec, exec, s[42:43]
	s_and_b64 s[2:3], s[2:3], s[30:31]
	s_or_b64 s[2:3], vcc, s[2:3]
	s_and_b64 s[4:5], exec, s[28:29]
	s_or_b64 s[24:25], s[4:5], s[24:25]
	s_andn2_b64 s[4:5], s[30:31], exec
	s_and_b64 s[2:3], s[2:3], exec
	s_or_b64 s[30:31], s[4:5], s[2:3]
	s_andn2_b64 s[4:5], s[22:23], exec
	s_and_b64 s[22:23], s[26:27], exec
	s_or_b64 s[22:23], s[4:5], s[22:23]
	s_andn2_b64 s[4:5], s[12:13], exec
	s_or_b64 s[12:13], s[4:5], s[2:3]
	s_andn2_b64 exec, exec, s[24:25]
	s_cbranch_execz .LBB627_43
.LBB627_41:                             ; =>This Inner Loop Header: Depth=1
	global_load_ushort v27, v[22:23], off
	global_load_ushort v35, v[24:25], off
	s_or_b64 s[26:27], s[26:27], exec
	s_or_b64 s[28:29], s[28:29], exec
	s_waitcnt vmcnt(0)
	v_cmp_lt_i16_e32 vcc, v27, v35
	v_cmp_le_i16_e64 s[2:3], v27, v35
	v_cmp_eq_u16_e64 s[4:5], v27, v35
	s_and_saveexec_b64 s[42:43], s[4:5]
	s_cbranch_execz .LBB627_40
; %bb.42:                               ;   in Loop: Header=BB627_41 Depth=1
	s_add_u32 s40, s40, -1
	s_addc_u32 s41, s41, -1
	s_cmp_eq_u64 s[40:41], 0
	s_cselect_b64 s[4:5], -1, 0
	s_andn2_b64 s[28:29], s[28:29], exec
	s_and_b64 s[4:5], s[4:5], exec
	v_lshl_add_u64 v[22:23], v[22:23], 0, 2
	v_lshl_add_u64 v[24:25], v[24:25], 0, 2
	s_andn2_b64 s[26:27], s[26:27], exec
	s_or_b64 s[28:29], s[28:29], s[4:5]
	s_branch .LBB627_40
.LBB627_43:
	s_or_b64 exec, exec, s[24:25]
	s_and_saveexec_b64 s[2:3], s[22:23]
	s_xor_b64 s[2:3], exec, s[2:3]
; %bb.44:
	v_cndmask_b32_e64 v23, v13, v7, s[12:13]
	v_cndmask_b32_e64 v22, v12, v6, s[12:13]
	;; [unrolled: 1-line block ×4, first 2 shown]
	v_mov_b64_e32 v[12:13], v[22:23]
; %bb.45:
	s_or_b64 exec, exec, s[2:3]
.LBB627_46:
	s_and_b64 vcc, exec, s[0:1]
	s_cbranch_vccnz .LBB627_72
; %bb.47:
	v_mul_lo_u32 v24, v3, s36
	v_mul_lo_u32 v25, v2, s37
	v_mad_u64_u32 v[22:23], s[2:3], v2, s36, 0
	v_add3_u32 v23, v23, v25, v24
	v_mul_lo_u32 v27, v9, s36
	v_mul_lo_u32 v35, v8, s37
	v_mad_u64_u32 v[24:25], s[2:3], v8, s36, 0
	v_add3_u32 v25, v25, v35, v27
	v_lshl_add_u64 v[22:23], v[22:23], 1, s[38:39]
	v_lshl_add_u64 v[24:25], v[24:25], 1, s[38:39]
	s_mov_b64 s[22:23], 0
	s_mov_b64 s[40:41], s[36:37]
                                        ; implicit-def: $sgpr12_sgpr13
                                        ; implicit-def: $sgpr24_sgpr25
                                        ; implicit-def: $sgpr28_sgpr29
                                        ; implicit-def: $sgpr26_sgpr27
                                        ; implicit-def: $sgpr30_sgpr31
	s_branch .LBB627_49
.LBB627_48:                             ;   in Loop: Header=BB627_49 Depth=1
	s_or_b64 exec, exec, s[42:43]
	s_and_b64 s[2:3], s[2:3], s[30:31]
	s_or_b64 s[2:3], vcc, s[2:3]
	s_and_b64 s[4:5], exec, s[28:29]
	s_or_b64 s[22:23], s[4:5], s[22:23]
	s_andn2_b64 s[4:5], s[30:31], exec
	s_and_b64 s[2:3], s[2:3], exec
	s_or_b64 s[30:31], s[4:5], s[2:3]
	s_andn2_b64 s[4:5], s[24:25], exec
	s_and_b64 s[24:25], s[26:27], exec
	s_or_b64 s[24:25], s[4:5], s[24:25]
	s_andn2_b64 s[4:5], s[12:13], exec
	s_or_b64 s[12:13], s[4:5], s[2:3]
	s_andn2_b64 exec, exec, s[22:23]
	s_cbranch_execz .LBB627_51
.LBB627_49:                             ; =>This Inner Loop Header: Depth=1
	global_load_ushort v27, v[22:23], off
	global_load_ushort v35, v[24:25], off
	s_or_b64 s[26:27], s[26:27], exec
	s_or_b64 s[28:29], s[28:29], exec
	s_waitcnt vmcnt(0)
	v_cmp_lt_i16_e32 vcc, v27, v35
	v_cmp_le_i16_e64 s[2:3], v27, v35
	v_cmp_eq_u16_e64 s[4:5], v27, v35
	s_and_saveexec_b64 s[42:43], s[4:5]
	s_cbranch_execz .LBB627_48
; %bb.50:                               ;   in Loop: Header=BB627_49 Depth=1
	s_add_u32 s40, s40, -1
	s_addc_u32 s41, s41, -1
	s_cmp_eq_u64 s[40:41], 0
	s_cselect_b64 s[4:5], -1, 0
	s_andn2_b64 s[28:29], s[28:29], exec
	s_and_b64 s[4:5], s[4:5], exec
	v_lshl_add_u64 v[22:23], v[22:23], 0, 2
	v_lshl_add_u64 v[24:25], v[24:25], 0, 2
	s_andn2_b64 s[26:27], s[26:27], exec
	s_or_b64 s[28:29], s[28:29], s[4:5]
	s_branch .LBB627_48
.LBB627_51:
	s_or_b64 exec, exec, s[22:23]
	s_and_saveexec_b64 s[2:3], s[24:25]
	s_xor_b64 s[2:3], exec, s[2:3]
; %bb.52:
	v_cndmask_b32_e64 v23, v9, v3, s[12:13]
	v_cndmask_b32_e64 v22, v8, v2, s[12:13]
	;; [unrolled: 1-line block ×4, first 2 shown]
	v_mov_b64_e32 v[8:9], v[22:23]
; %bb.53:
	s_or_b64 exec, exec, s[2:3]
	v_mul_lo_u32 v24, v17, s36
	v_mul_lo_u32 v25, v16, s37
	v_mad_u64_u32 v[22:23], s[2:3], v16, s36, 0
	v_add3_u32 v23, v23, v25, v24
	v_mul_lo_u32 v27, v15, s36
	v_mul_lo_u32 v35, v14, s37
	v_mad_u64_u32 v[24:25], s[2:3], v14, s36, 0
	v_add3_u32 v25, v25, v35, v27
	v_lshl_add_u64 v[22:23], v[22:23], 1, s[38:39]
	v_lshl_add_u64 v[24:25], v[24:25], 1, s[38:39]
	s_mov_b64 s[22:23], 0
	s_mov_b64 s[40:41], s[36:37]
                                        ; implicit-def: $sgpr12_sgpr13
                                        ; implicit-def: $sgpr24_sgpr25
                                        ; implicit-def: $sgpr28_sgpr29
                                        ; implicit-def: $sgpr26_sgpr27
                                        ; implicit-def: $sgpr30_sgpr31
	s_branch .LBB627_55
.LBB627_54:                             ;   in Loop: Header=BB627_55 Depth=1
	s_or_b64 exec, exec, s[42:43]
	s_and_b64 s[2:3], s[2:3], s[30:31]
	s_or_b64 s[2:3], vcc, s[2:3]
	s_and_b64 s[4:5], exec, s[28:29]
	s_or_b64 s[22:23], s[4:5], s[22:23]
	s_andn2_b64 s[4:5], s[30:31], exec
	s_and_b64 s[2:3], s[2:3], exec
	s_or_b64 s[30:31], s[4:5], s[2:3]
	s_andn2_b64 s[4:5], s[24:25], exec
	s_and_b64 s[24:25], s[26:27], exec
	s_or_b64 s[24:25], s[4:5], s[24:25]
	s_andn2_b64 s[4:5], s[12:13], exec
	s_or_b64 s[12:13], s[4:5], s[2:3]
	s_andn2_b64 exec, exec, s[22:23]
	s_cbranch_execz .LBB627_57
.LBB627_55:                             ; =>This Inner Loop Header: Depth=1
	global_load_ushort v27, v[22:23], off
	global_load_ushort v35, v[24:25], off
	s_or_b64 s[26:27], s[26:27], exec
	s_or_b64 s[28:29], s[28:29], exec
	s_waitcnt vmcnt(0)
	v_cmp_lt_i16_e32 vcc, v27, v35
	v_cmp_le_i16_e64 s[2:3], v27, v35
	v_cmp_eq_u16_e64 s[4:5], v27, v35
	s_and_saveexec_b64 s[42:43], s[4:5]
	s_cbranch_execz .LBB627_54
; %bb.56:                               ;   in Loop: Header=BB627_55 Depth=1
	s_add_u32 s40, s40, -1
	s_addc_u32 s41, s41, -1
	s_cmp_eq_u64 s[40:41], 0
	s_cselect_b64 s[4:5], -1, 0
	s_andn2_b64 s[28:29], s[28:29], exec
	s_and_b64 s[4:5], s[4:5], exec
	v_lshl_add_u64 v[22:23], v[22:23], 0, 2
	v_lshl_add_u64 v[24:25], v[24:25], 0, 2
	s_andn2_b64 s[26:27], s[26:27], exec
	s_or_b64 s[28:29], s[28:29], s[4:5]
	s_branch .LBB627_54
.LBB627_57:
	s_or_b64 exec, exec, s[22:23]
	s_and_saveexec_b64 s[2:3], s[24:25]
	s_xor_b64 s[2:3], exec, s[2:3]
; %bb.58:
	v_cndmask_b32_e64 v23, v17, v15, s[12:13]
	v_cndmask_b32_e64 v22, v16, v14, s[12:13]
	;; [unrolled: 1-line block ×4, first 2 shown]
	v_mov_b64_e32 v[16:17], v[22:23]
; %bb.59:
	s_or_b64 exec, exec, s[2:3]
	v_mul_lo_u32 v24, v13, s36
	v_mul_lo_u32 v25, v12, s37
	v_mad_u64_u32 v[22:23], s[2:3], v12, s36, 0
	v_add3_u32 v23, v23, v25, v24
	v_mul_lo_u32 v27, v11, s36
	v_mul_lo_u32 v35, v10, s37
	v_mad_u64_u32 v[24:25], s[2:3], v10, s36, 0
	v_add3_u32 v25, v25, v35, v27
	v_lshl_add_u64 v[22:23], v[22:23], 1, s[38:39]
	v_lshl_add_u64 v[24:25], v[24:25], 1, s[38:39]
	s_mov_b64 s[22:23], 0
	s_mov_b64 s[40:41], s[36:37]
                                        ; implicit-def: $sgpr12_sgpr13
                                        ; implicit-def: $sgpr24_sgpr25
                                        ; implicit-def: $sgpr28_sgpr29
                                        ; implicit-def: $sgpr26_sgpr27
                                        ; implicit-def: $sgpr30_sgpr31
	s_branch .LBB627_61
.LBB627_60:                             ;   in Loop: Header=BB627_61 Depth=1
	s_or_b64 exec, exec, s[42:43]
	s_and_b64 s[2:3], s[2:3], s[30:31]
	s_or_b64 s[2:3], vcc, s[2:3]
	s_and_b64 s[4:5], exec, s[28:29]
	s_or_b64 s[22:23], s[4:5], s[22:23]
	s_andn2_b64 s[4:5], s[30:31], exec
	s_and_b64 s[2:3], s[2:3], exec
	s_or_b64 s[30:31], s[4:5], s[2:3]
	s_andn2_b64 s[4:5], s[24:25], exec
	s_and_b64 s[24:25], s[26:27], exec
	s_or_b64 s[24:25], s[4:5], s[24:25]
	s_andn2_b64 s[4:5], s[12:13], exec
	s_or_b64 s[12:13], s[4:5], s[2:3]
	s_andn2_b64 exec, exec, s[22:23]
	s_cbranch_execz .LBB627_63
.LBB627_61:                             ; =>This Inner Loop Header: Depth=1
	global_load_ushort v27, v[22:23], off
	global_load_ushort v35, v[24:25], off
	s_or_b64 s[26:27], s[26:27], exec
	s_or_b64 s[28:29], s[28:29], exec
	s_waitcnt vmcnt(0)
	v_cmp_lt_i16_e32 vcc, v27, v35
	v_cmp_le_i16_e64 s[2:3], v27, v35
	v_cmp_eq_u16_e64 s[4:5], v27, v35
	s_and_saveexec_b64 s[42:43], s[4:5]
	s_cbranch_execz .LBB627_60
; %bb.62:                               ;   in Loop: Header=BB627_61 Depth=1
	s_add_u32 s40, s40, -1
	s_addc_u32 s41, s41, -1
	s_cmp_eq_u64 s[40:41], 0
	s_cselect_b64 s[4:5], -1, 0
	s_andn2_b64 s[28:29], s[28:29], exec
	s_and_b64 s[4:5], s[4:5], exec
	v_lshl_add_u64 v[22:23], v[22:23], 0, 2
	v_lshl_add_u64 v[24:25], v[24:25], 0, 2
	s_andn2_b64 s[26:27], s[26:27], exec
	s_or_b64 s[28:29], s[28:29], s[4:5]
	s_branch .LBB627_60
.LBB627_63:
	s_or_b64 exec, exec, s[22:23]
	s_and_saveexec_b64 s[2:3], s[24:25]
	s_xor_b64 s[2:3], exec, s[2:3]
; %bb.64:
	v_cndmask_b32_e64 v23, v11, v13, s[12:13]
	v_cndmask_b32_e64 v22, v10, v12, s[12:13]
	;; [unrolled: 1-line block ×4, first 2 shown]
	v_mov_b64_e32 v[10:11], v[22:23]
; %bb.65:
	s_or_b64 exec, exec, s[2:3]
	v_mul_lo_u32 v24, v9, s36
	v_mul_lo_u32 v25, v8, s37
	v_mad_u64_u32 v[22:23], s[2:3], v8, s36, 0
	v_add3_u32 v23, v23, v25, v24
	v_mul_lo_u32 v27, v7, s36
	v_mul_lo_u32 v35, v6, s37
	v_mad_u64_u32 v[24:25], s[2:3], v6, s36, 0
	v_add3_u32 v25, v25, v35, v27
	v_lshl_add_u64 v[22:23], v[22:23], 1, s[38:39]
	v_lshl_add_u64 v[24:25], v[24:25], 1, s[38:39]
	s_mov_b64 s[24:25], 0
	s_mov_b64 s[40:41], s[36:37]
                                        ; implicit-def: $sgpr12_sgpr13
                                        ; implicit-def: $sgpr22_sgpr23
                                        ; implicit-def: $sgpr28_sgpr29
                                        ; implicit-def: $sgpr26_sgpr27
                                        ; implicit-def: $sgpr30_sgpr31
	s_branch .LBB627_67
.LBB627_66:                             ;   in Loop: Header=BB627_67 Depth=1
	s_or_b64 exec, exec, s[42:43]
	s_and_b64 s[2:3], s[2:3], s[30:31]
	s_or_b64 s[2:3], vcc, s[2:3]
	s_and_b64 s[4:5], exec, s[28:29]
	s_or_b64 s[24:25], s[4:5], s[24:25]
	s_andn2_b64 s[4:5], s[30:31], exec
	s_and_b64 s[2:3], s[2:3], exec
	s_or_b64 s[30:31], s[4:5], s[2:3]
	s_andn2_b64 s[4:5], s[22:23], exec
	s_and_b64 s[22:23], s[26:27], exec
	s_or_b64 s[22:23], s[4:5], s[22:23]
	s_andn2_b64 s[4:5], s[12:13], exec
	s_or_b64 s[12:13], s[4:5], s[2:3]
	s_andn2_b64 exec, exec, s[24:25]
	s_cbranch_execz .LBB627_69
.LBB627_67:                             ; =>This Inner Loop Header: Depth=1
	global_load_ushort v27, v[22:23], off
	global_load_ushort v35, v[24:25], off
	s_or_b64 s[26:27], s[26:27], exec
	s_or_b64 s[28:29], s[28:29], exec
	s_waitcnt vmcnt(0)
	v_cmp_lt_i16_e32 vcc, v27, v35
	v_cmp_le_i16_e64 s[2:3], v27, v35
	v_cmp_eq_u16_e64 s[4:5], v27, v35
	s_and_saveexec_b64 s[42:43], s[4:5]
	s_cbranch_execz .LBB627_66
; %bb.68:                               ;   in Loop: Header=BB627_67 Depth=1
	s_add_u32 s40, s40, -1
	s_addc_u32 s41, s41, -1
	s_cmp_eq_u64 s[40:41], 0
	s_cselect_b64 s[4:5], -1, 0
	s_andn2_b64 s[28:29], s[28:29], exec
	s_and_b64 s[4:5], s[4:5], exec
	v_lshl_add_u64 v[22:23], v[22:23], 0, 2
	v_lshl_add_u64 v[24:25], v[24:25], 0, 2
	s_andn2_b64 s[26:27], s[26:27], exec
	s_or_b64 s[28:29], s[28:29], s[4:5]
	s_branch .LBB627_66
.LBB627_69:
	s_or_b64 exec, exec, s[24:25]
	s_and_saveexec_b64 s[2:3], s[22:23]
	s_xor_b64 s[2:3], exec, s[2:3]
; %bb.70:
	v_cndmask_b32_e64 v23, v7, v9, s[12:13]
	v_cndmask_b32_e64 v22, v6, v8, s[12:13]
	;; [unrolled: 1-line block ×4, first 2 shown]
	v_mov_b64_e32 v[6:7], v[22:23]
; %bb.71:
	s_or_b64 exec, exec, s[2:3]
.LBB627_72:
	s_and_b64 vcc, exec, s[0:1]
	s_cbranch_vccnz .LBB627_86
; %bb.73:
	v_mul_lo_u32 v24, v5, s36
	v_mul_lo_u32 v25, v4, s37
	v_mad_u64_u32 v[22:23], s[2:3], v4, s36, 0
	v_add3_u32 v23, v23, v25, v24
	v_mul_lo_u32 v27, v3, s36
	v_mul_lo_u32 v35, v2, s37
	v_mad_u64_u32 v[24:25], s[2:3], v2, s36, 0
	v_add3_u32 v25, v25, v35, v27
	v_lshl_add_u64 v[22:23], v[22:23], 1, s[38:39]
	v_lshl_add_u64 v[24:25], v[24:25], 1, s[38:39]
	s_mov_b64 s[22:23], 0
	s_mov_b64 s[40:41], s[36:37]
                                        ; implicit-def: $sgpr12_sgpr13
                                        ; implicit-def: $sgpr24_sgpr25
                                        ; implicit-def: $sgpr28_sgpr29
                                        ; implicit-def: $sgpr26_sgpr27
                                        ; implicit-def: $sgpr30_sgpr31
	s_branch .LBB627_75
.LBB627_74:                             ;   in Loop: Header=BB627_75 Depth=1
	s_or_b64 exec, exec, s[42:43]
	s_and_b64 s[2:3], s[2:3], s[30:31]
	s_or_b64 s[2:3], vcc, s[2:3]
	s_and_b64 s[4:5], exec, s[28:29]
	s_or_b64 s[22:23], s[4:5], s[22:23]
	s_andn2_b64 s[4:5], s[30:31], exec
	s_and_b64 s[2:3], s[2:3], exec
	s_or_b64 s[30:31], s[4:5], s[2:3]
	s_andn2_b64 s[4:5], s[24:25], exec
	s_and_b64 s[24:25], s[26:27], exec
	s_or_b64 s[24:25], s[4:5], s[24:25]
	s_andn2_b64 s[4:5], s[12:13], exec
	s_or_b64 s[12:13], s[4:5], s[2:3]
	s_andn2_b64 exec, exec, s[22:23]
	s_cbranch_execz .LBB627_77
.LBB627_75:                             ; =>This Inner Loop Header: Depth=1
	global_load_ushort v27, v[22:23], off
	global_load_ushort v35, v[24:25], off
	s_or_b64 s[26:27], s[26:27], exec
	s_or_b64 s[28:29], s[28:29], exec
	s_waitcnt vmcnt(0)
	v_cmp_lt_i16_e32 vcc, v27, v35
	v_cmp_le_i16_e64 s[2:3], v27, v35
	v_cmp_eq_u16_e64 s[4:5], v27, v35
	s_and_saveexec_b64 s[42:43], s[4:5]
	s_cbranch_execz .LBB627_74
; %bb.76:                               ;   in Loop: Header=BB627_75 Depth=1
	s_add_u32 s40, s40, -1
	s_addc_u32 s41, s41, -1
	s_cmp_eq_u64 s[40:41], 0
	s_cselect_b64 s[4:5], -1, 0
	s_andn2_b64 s[28:29], s[28:29], exec
	s_and_b64 s[4:5], s[4:5], exec
	v_lshl_add_u64 v[22:23], v[22:23], 0, 2
	v_lshl_add_u64 v[24:25], v[24:25], 0, 2
	s_andn2_b64 s[26:27], s[26:27], exec
	s_or_b64 s[28:29], s[28:29], s[4:5]
	s_branch .LBB627_74
.LBB627_77:
	s_or_b64 exec, exec, s[22:23]
	s_and_saveexec_b64 s[2:3], s[24:25]
	s_xor_b64 s[2:3], exec, s[2:3]
; %bb.78:
	v_cndmask_b32_e64 v23, v3, v5, s[12:13]
	v_cndmask_b32_e64 v22, v2, v4, s[12:13]
	v_cndmask_b32_e64 v5, v5, v3, s[12:13]
	v_cndmask_b32_e64 v4, v4, v2, s[12:13]
	v_mov_b64_e32 v[2:3], v[22:23]
; %bb.79:
	s_or_b64 exec, exec, s[2:3]
	v_mul_lo_u32 v24, v11, s36
	v_mul_lo_u32 v25, v10, s37
	v_mad_u64_u32 v[22:23], s[2:3], v10, s36, 0
	v_add3_u32 v23, v23, v25, v24
	v_mul_lo_u32 v27, v17, s36
	v_mul_lo_u32 v35, v16, s37
	v_mad_u64_u32 v[24:25], s[2:3], v16, s36, 0
	v_add3_u32 v25, v25, v35, v27
	v_lshl_add_u64 v[22:23], v[22:23], 1, s[38:39]
	v_lshl_add_u64 v[24:25], v[24:25], 1, s[38:39]
	s_mov_b64 s[24:25], 0
	s_mov_b64 s[40:41], s[36:37]
                                        ; implicit-def: $sgpr12_sgpr13
                                        ; implicit-def: $sgpr22_sgpr23
                                        ; implicit-def: $sgpr28_sgpr29
                                        ; implicit-def: $sgpr26_sgpr27
                                        ; implicit-def: $sgpr30_sgpr31
	s_branch .LBB627_81
.LBB627_80:                             ;   in Loop: Header=BB627_81 Depth=1
	s_or_b64 exec, exec, s[42:43]
	s_and_b64 s[2:3], s[2:3], s[30:31]
	s_or_b64 s[2:3], vcc, s[2:3]
	s_and_b64 s[4:5], exec, s[28:29]
	s_or_b64 s[24:25], s[4:5], s[24:25]
	s_andn2_b64 s[4:5], s[30:31], exec
	s_and_b64 s[2:3], s[2:3], exec
	s_or_b64 s[30:31], s[4:5], s[2:3]
	s_andn2_b64 s[4:5], s[22:23], exec
	s_and_b64 s[22:23], s[26:27], exec
	s_or_b64 s[22:23], s[4:5], s[22:23]
	s_andn2_b64 s[4:5], s[12:13], exec
	s_or_b64 s[12:13], s[4:5], s[2:3]
	s_andn2_b64 exec, exec, s[24:25]
	s_cbranch_execz .LBB627_83
.LBB627_81:                             ; =>This Inner Loop Header: Depth=1
	global_load_ushort v27, v[22:23], off
	global_load_ushort v35, v[24:25], off
	s_or_b64 s[26:27], s[26:27], exec
	s_or_b64 s[28:29], s[28:29], exec
	s_waitcnt vmcnt(0)
	v_cmp_lt_i16_e32 vcc, v27, v35
	v_cmp_le_i16_e64 s[2:3], v27, v35
	v_cmp_eq_u16_e64 s[4:5], v27, v35
	s_and_saveexec_b64 s[42:43], s[4:5]
	s_cbranch_execz .LBB627_80
; %bb.82:                               ;   in Loop: Header=BB627_81 Depth=1
	s_add_u32 s40, s40, -1
	s_addc_u32 s41, s41, -1
	s_cmp_eq_u64 s[40:41], 0
	s_cselect_b64 s[4:5], -1, 0
	s_andn2_b64 s[28:29], s[28:29], exec
	s_and_b64 s[4:5], s[4:5], exec
	v_lshl_add_u64 v[22:23], v[22:23], 0, 2
	v_lshl_add_u64 v[24:25], v[24:25], 0, 2
	s_andn2_b64 s[26:27], s[26:27], exec
	s_or_b64 s[28:29], s[28:29], s[4:5]
	s_branch .LBB627_80
.LBB627_83:
	s_or_b64 exec, exec, s[24:25]
	s_and_saveexec_b64 s[2:3], s[22:23]
	s_xor_b64 s[2:3], exec, s[2:3]
; %bb.84:
	v_cndmask_b32_e64 v23, v17, v11, s[12:13]
	v_cndmask_b32_e64 v22, v16, v10, s[12:13]
	;; [unrolled: 1-line block ×4, first 2 shown]
	v_mov_b64_e32 v[16:17], v[22:23]
; %bb.85:
	s_or_b64 exec, exec, s[2:3]
.LBB627_86:
	s_and_b64 vcc, exec, s[0:1]
	s_cbranch_vccnz .LBB627_100
; %bb.87:
	v_mul_lo_u32 v24, v7, s36
	v_mul_lo_u32 v25, v6, s37
	v_mad_u64_u32 v[22:23], s[2:3], v6, s36, 0
	v_add3_u32 v23, v23, v25, v24
	v_mul_lo_u32 v27, v13, s36
	v_mul_lo_u32 v35, v12, s37
	v_mad_u64_u32 v[24:25], s[2:3], v12, s36, 0
	v_add3_u32 v25, v25, v35, v27
	v_lshl_add_u64 v[22:23], v[22:23], 1, s[38:39]
	v_lshl_add_u64 v[24:25], v[24:25], 1, s[38:39]
	s_mov_b64 s[22:23], 0
	s_mov_b64 s[40:41], s[36:37]
                                        ; implicit-def: $sgpr12_sgpr13
                                        ; implicit-def: $sgpr24_sgpr25
                                        ; implicit-def: $sgpr28_sgpr29
                                        ; implicit-def: $sgpr26_sgpr27
                                        ; implicit-def: $sgpr30_sgpr31
	s_branch .LBB627_89
.LBB627_88:                             ;   in Loop: Header=BB627_89 Depth=1
	s_or_b64 exec, exec, s[42:43]
	s_and_b64 s[2:3], s[2:3], s[30:31]
	s_or_b64 s[2:3], vcc, s[2:3]
	s_and_b64 s[4:5], exec, s[28:29]
	s_or_b64 s[22:23], s[4:5], s[22:23]
	s_andn2_b64 s[4:5], s[30:31], exec
	s_and_b64 s[2:3], s[2:3], exec
	s_or_b64 s[30:31], s[4:5], s[2:3]
	s_andn2_b64 s[4:5], s[24:25], exec
	s_and_b64 s[24:25], s[26:27], exec
	s_or_b64 s[24:25], s[4:5], s[24:25]
	s_andn2_b64 s[4:5], s[12:13], exec
	s_or_b64 s[12:13], s[4:5], s[2:3]
	s_andn2_b64 exec, exec, s[22:23]
	s_cbranch_execz .LBB627_91
.LBB627_89:                             ; =>This Inner Loop Header: Depth=1
	global_load_ushort v27, v[22:23], off
	global_load_ushort v35, v[24:25], off
	s_or_b64 s[26:27], s[26:27], exec
	s_or_b64 s[28:29], s[28:29], exec
	s_waitcnt vmcnt(0)
	v_cmp_lt_i16_e32 vcc, v27, v35
	v_cmp_le_i16_e64 s[2:3], v27, v35
	v_cmp_eq_u16_e64 s[4:5], v27, v35
	s_and_saveexec_b64 s[42:43], s[4:5]
	s_cbranch_execz .LBB627_88
; %bb.90:                               ;   in Loop: Header=BB627_89 Depth=1
	s_add_u32 s40, s40, -1
	s_addc_u32 s41, s41, -1
	s_cmp_eq_u64 s[40:41], 0
	s_cselect_b64 s[4:5], -1, 0
	s_andn2_b64 s[28:29], s[28:29], exec
	s_and_b64 s[4:5], s[4:5], exec
	v_lshl_add_u64 v[22:23], v[22:23], 0, 2
	v_lshl_add_u64 v[24:25], v[24:25], 0, 2
	s_andn2_b64 s[26:27], s[26:27], exec
	s_or_b64 s[28:29], s[28:29], s[4:5]
	s_branch .LBB627_88
.LBB627_91:
	s_or_b64 exec, exec, s[22:23]
	s_and_saveexec_b64 s[2:3], s[24:25]
	s_xor_b64 s[2:3], exec, s[2:3]
; %bb.92:
	v_cndmask_b32_e64 v23, v13, v7, s[12:13]
	v_cndmask_b32_e64 v22, v12, v6, s[12:13]
	;; [unrolled: 1-line block ×4, first 2 shown]
	v_mov_b64_e32 v[12:13], v[22:23]
; %bb.93:
	s_or_b64 exec, exec, s[2:3]
	v_mul_lo_u32 v24, v3, s36
	v_mul_lo_u32 v25, v2, s37
	v_mad_u64_u32 v[22:23], s[2:3], v2, s36, 0
	v_add3_u32 v23, v23, v25, v24
	v_mul_lo_u32 v27, v9, s36
	v_mul_lo_u32 v35, v8, s37
	v_mad_u64_u32 v[24:25], s[2:3], v8, s36, 0
	v_add3_u32 v25, v25, v35, v27
	v_lshl_add_u64 v[22:23], v[22:23], 1, s[38:39]
	v_lshl_add_u64 v[24:25], v[24:25], 1, s[38:39]
	s_mov_b64 s[24:25], 0
	s_mov_b64 s[40:41], s[36:37]
                                        ; implicit-def: $sgpr12_sgpr13
                                        ; implicit-def: $sgpr22_sgpr23
                                        ; implicit-def: $sgpr28_sgpr29
                                        ; implicit-def: $sgpr26_sgpr27
                                        ; implicit-def: $sgpr30_sgpr31
	s_branch .LBB627_95
.LBB627_94:                             ;   in Loop: Header=BB627_95 Depth=1
	s_or_b64 exec, exec, s[42:43]
	s_and_b64 s[2:3], s[2:3], s[30:31]
	s_or_b64 s[2:3], vcc, s[2:3]
	s_and_b64 s[4:5], exec, s[28:29]
	s_or_b64 s[24:25], s[4:5], s[24:25]
	s_andn2_b64 s[4:5], s[30:31], exec
	s_and_b64 s[2:3], s[2:3], exec
	s_or_b64 s[30:31], s[4:5], s[2:3]
	s_andn2_b64 s[4:5], s[22:23], exec
	s_and_b64 s[22:23], s[26:27], exec
	s_or_b64 s[22:23], s[4:5], s[22:23]
	s_andn2_b64 s[4:5], s[12:13], exec
	s_or_b64 s[12:13], s[4:5], s[2:3]
	s_andn2_b64 exec, exec, s[24:25]
	s_cbranch_execz .LBB627_97
.LBB627_95:                             ; =>This Inner Loop Header: Depth=1
	global_load_ushort v27, v[22:23], off
	global_load_ushort v35, v[24:25], off
	s_or_b64 s[26:27], s[26:27], exec
	s_or_b64 s[28:29], s[28:29], exec
	s_waitcnt vmcnt(0)
	v_cmp_lt_i16_e32 vcc, v27, v35
	v_cmp_le_i16_e64 s[2:3], v27, v35
	v_cmp_eq_u16_e64 s[4:5], v27, v35
	s_and_saveexec_b64 s[42:43], s[4:5]
	s_cbranch_execz .LBB627_94
; %bb.96:                               ;   in Loop: Header=BB627_95 Depth=1
	s_add_u32 s40, s40, -1
	s_addc_u32 s41, s41, -1
	s_cmp_eq_u64 s[40:41], 0
	s_cselect_b64 s[4:5], -1, 0
	s_andn2_b64 s[28:29], s[28:29], exec
	s_and_b64 s[4:5], s[4:5], exec
	v_lshl_add_u64 v[22:23], v[22:23], 0, 2
	v_lshl_add_u64 v[24:25], v[24:25], 0, 2
	s_andn2_b64 s[26:27], s[26:27], exec
	s_or_b64 s[28:29], s[28:29], s[4:5]
	s_branch .LBB627_94
.LBB627_97:
	s_or_b64 exec, exec, s[24:25]
	s_and_saveexec_b64 s[2:3], s[22:23]
	s_xor_b64 s[2:3], exec, s[2:3]
; %bb.98:
	v_cndmask_b32_e64 v23, v9, v3, s[12:13]
	v_cndmask_b32_e64 v22, v8, v2, s[12:13]
	;; [unrolled: 1-line block ×4, first 2 shown]
	v_mov_b64_e32 v[8:9], v[22:23]
; %bb.99:
	s_or_b64 exec, exec, s[2:3]
.LBB627_100:
	s_and_b64 vcc, exec, s[0:1]
	s_cbranch_vccnz .LBB627_114
; %bb.101:
	v_mul_lo_u32 v24, v17, s36
	v_mul_lo_u32 v25, v16, s37
	v_mad_u64_u32 v[22:23], s[2:3], v16, s36, 0
	v_add3_u32 v23, v23, v25, v24
	v_mul_lo_u32 v27, v15, s36
	v_mul_lo_u32 v35, v14, s37
	v_mad_u64_u32 v[24:25], s[2:3], v14, s36, 0
	v_add3_u32 v25, v25, v35, v27
	v_lshl_add_u64 v[22:23], v[22:23], 1, s[38:39]
	v_lshl_add_u64 v[24:25], v[24:25], 1, s[38:39]
	s_mov_b64 s[22:23], 0
	s_mov_b64 s[40:41], s[36:37]
                                        ; implicit-def: $sgpr12_sgpr13
                                        ; implicit-def: $sgpr24_sgpr25
                                        ; implicit-def: $sgpr28_sgpr29
                                        ; implicit-def: $sgpr26_sgpr27
                                        ; implicit-def: $sgpr30_sgpr31
	s_branch .LBB627_103
.LBB627_102:                            ;   in Loop: Header=BB627_103 Depth=1
	s_or_b64 exec, exec, s[42:43]
	s_and_b64 s[2:3], s[2:3], s[30:31]
	s_or_b64 s[2:3], vcc, s[2:3]
	s_and_b64 s[4:5], exec, s[28:29]
	s_or_b64 s[22:23], s[4:5], s[22:23]
	s_andn2_b64 s[4:5], s[30:31], exec
	s_and_b64 s[2:3], s[2:3], exec
	s_or_b64 s[30:31], s[4:5], s[2:3]
	s_andn2_b64 s[4:5], s[24:25], exec
	s_and_b64 s[24:25], s[26:27], exec
	s_or_b64 s[24:25], s[4:5], s[24:25]
	s_andn2_b64 s[4:5], s[12:13], exec
	s_or_b64 s[12:13], s[4:5], s[2:3]
	s_andn2_b64 exec, exec, s[22:23]
	s_cbranch_execz .LBB627_105
.LBB627_103:                            ; =>This Inner Loop Header: Depth=1
	global_load_ushort v27, v[22:23], off
	global_load_ushort v35, v[24:25], off
	s_or_b64 s[26:27], s[26:27], exec
	s_or_b64 s[28:29], s[28:29], exec
	s_waitcnt vmcnt(0)
	v_cmp_lt_i16_e32 vcc, v27, v35
	v_cmp_le_i16_e64 s[2:3], v27, v35
	v_cmp_eq_u16_e64 s[4:5], v27, v35
	s_and_saveexec_b64 s[42:43], s[4:5]
	s_cbranch_execz .LBB627_102
; %bb.104:                              ;   in Loop: Header=BB627_103 Depth=1
	s_add_u32 s40, s40, -1
	s_addc_u32 s41, s41, -1
	s_cmp_eq_u64 s[40:41], 0
	s_cselect_b64 s[4:5], -1, 0
	s_andn2_b64 s[28:29], s[28:29], exec
	s_and_b64 s[4:5], s[4:5], exec
	v_lshl_add_u64 v[22:23], v[22:23], 0, 2
	v_lshl_add_u64 v[24:25], v[24:25], 0, 2
	s_andn2_b64 s[26:27], s[26:27], exec
	s_or_b64 s[28:29], s[28:29], s[4:5]
	s_branch .LBB627_102
.LBB627_105:
	s_or_b64 exec, exec, s[22:23]
	s_and_saveexec_b64 s[2:3], s[24:25]
	s_xor_b64 s[2:3], exec, s[2:3]
; %bb.106:
	v_cndmask_b32_e64 v23, v17, v15, s[12:13]
	v_cndmask_b32_e64 v22, v16, v14, s[12:13]
	;; [unrolled: 1-line block ×4, first 2 shown]
	v_mov_b64_e32 v[16:17], v[22:23]
; %bb.107:
	s_or_b64 exec, exec, s[2:3]
	v_mul_lo_u32 v24, v13, s36
	v_mul_lo_u32 v25, v12, s37
	v_mad_u64_u32 v[22:23], s[2:3], v12, s36, 0
	v_add3_u32 v23, v23, v25, v24
	v_mul_lo_u32 v27, v11, s36
	v_mul_lo_u32 v35, v10, s37
	v_mad_u64_u32 v[24:25], s[2:3], v10, s36, 0
	v_add3_u32 v25, v25, v35, v27
	v_lshl_add_u64 v[22:23], v[22:23], 1, s[38:39]
	v_lshl_add_u64 v[24:25], v[24:25], 1, s[38:39]
	s_mov_b64 s[24:25], 0
	s_mov_b64 s[40:41], s[36:37]
                                        ; implicit-def: $sgpr12_sgpr13
                                        ; implicit-def: $sgpr22_sgpr23
                                        ; implicit-def: $sgpr28_sgpr29
                                        ; implicit-def: $sgpr26_sgpr27
                                        ; implicit-def: $sgpr30_sgpr31
	s_branch .LBB627_109
.LBB627_108:                            ;   in Loop: Header=BB627_109 Depth=1
	s_or_b64 exec, exec, s[42:43]
	s_and_b64 s[2:3], s[2:3], s[30:31]
	s_or_b64 s[2:3], vcc, s[2:3]
	s_and_b64 s[4:5], exec, s[28:29]
	s_or_b64 s[24:25], s[4:5], s[24:25]
	s_andn2_b64 s[4:5], s[30:31], exec
	s_and_b64 s[2:3], s[2:3], exec
	s_or_b64 s[30:31], s[4:5], s[2:3]
	s_andn2_b64 s[4:5], s[22:23], exec
	s_and_b64 s[22:23], s[26:27], exec
	s_or_b64 s[22:23], s[4:5], s[22:23]
	s_andn2_b64 s[4:5], s[12:13], exec
	s_or_b64 s[12:13], s[4:5], s[2:3]
	s_andn2_b64 exec, exec, s[24:25]
	s_cbranch_execz .LBB627_111
.LBB627_109:                            ; =>This Inner Loop Header: Depth=1
	global_load_ushort v27, v[22:23], off
	global_load_ushort v35, v[24:25], off
	s_or_b64 s[26:27], s[26:27], exec
	s_or_b64 s[28:29], s[28:29], exec
	s_waitcnt vmcnt(0)
	v_cmp_lt_i16_e32 vcc, v27, v35
	v_cmp_le_i16_e64 s[2:3], v27, v35
	v_cmp_eq_u16_e64 s[4:5], v27, v35
	s_and_saveexec_b64 s[42:43], s[4:5]
	s_cbranch_execz .LBB627_108
; %bb.110:                              ;   in Loop: Header=BB627_109 Depth=1
	s_add_u32 s40, s40, -1
	s_addc_u32 s41, s41, -1
	s_cmp_eq_u64 s[40:41], 0
	s_cselect_b64 s[4:5], -1, 0
	s_andn2_b64 s[28:29], s[28:29], exec
	s_and_b64 s[4:5], s[4:5], exec
	v_lshl_add_u64 v[22:23], v[22:23], 0, 2
	v_lshl_add_u64 v[24:25], v[24:25], 0, 2
	s_andn2_b64 s[26:27], s[26:27], exec
	s_or_b64 s[28:29], s[28:29], s[4:5]
	s_branch .LBB627_108
.LBB627_111:
	s_or_b64 exec, exec, s[24:25]
	s_and_saveexec_b64 s[2:3], s[22:23]
	s_xor_b64 s[2:3], exec, s[2:3]
; %bb.112:
	v_cndmask_b32_e64 v23, v11, v13, s[12:13]
	v_cndmask_b32_e64 v22, v10, v12, s[12:13]
	;; [unrolled: 1-line block ×4, first 2 shown]
	v_mov_b64_e32 v[10:11], v[22:23]
; %bb.113:
	s_or_b64 exec, exec, s[2:3]
.LBB627_114:
	s_and_b64 vcc, exec, s[0:1]
	s_cbranch_vccnz .LBB627_188
; %bb.115:
	v_mul_lo_u32 v24, v9, s36
	v_mul_lo_u32 v25, v8, s37
	v_mad_u64_u32 v[22:23], s[2:3], v8, s36, 0
	v_add3_u32 v23, v23, v25, v24
	v_mul_lo_u32 v27, v7, s36
	v_mul_lo_u32 v35, v6, s37
	v_mad_u64_u32 v[24:25], s[2:3], v6, s36, 0
	v_add3_u32 v25, v25, v35, v27
	v_lshl_add_u64 v[22:23], v[22:23], 1, s[38:39]
	v_lshl_add_u64 v[24:25], v[24:25], 1, s[38:39]
	s_mov_b64 s[22:23], 0
	s_mov_b64 s[40:41], s[36:37]
                                        ; implicit-def: $sgpr12_sgpr13
                                        ; implicit-def: $sgpr24_sgpr25
                                        ; implicit-def: $sgpr28_sgpr29
                                        ; implicit-def: $sgpr26_sgpr27
                                        ; implicit-def: $sgpr30_sgpr31
	s_branch .LBB627_117
.LBB627_116:                            ;   in Loop: Header=BB627_117 Depth=1
	s_or_b64 exec, exec, s[42:43]
	s_and_b64 s[2:3], s[2:3], s[30:31]
	s_or_b64 s[2:3], vcc, s[2:3]
	s_and_b64 s[4:5], exec, s[28:29]
	s_or_b64 s[22:23], s[4:5], s[22:23]
	s_andn2_b64 s[4:5], s[30:31], exec
	s_and_b64 s[2:3], s[2:3], exec
	s_or_b64 s[30:31], s[4:5], s[2:3]
	s_andn2_b64 s[4:5], s[24:25], exec
	s_and_b64 s[24:25], s[26:27], exec
	s_or_b64 s[24:25], s[4:5], s[24:25]
	s_andn2_b64 s[4:5], s[12:13], exec
	s_or_b64 s[12:13], s[4:5], s[2:3]
	s_andn2_b64 exec, exec, s[22:23]
	s_cbranch_execz .LBB627_119
.LBB627_117:                            ; =>This Inner Loop Header: Depth=1
	global_load_ushort v27, v[22:23], off
	global_load_ushort v35, v[24:25], off
	s_or_b64 s[26:27], s[26:27], exec
	s_or_b64 s[28:29], s[28:29], exec
	s_waitcnt vmcnt(0)
	v_cmp_lt_i16_e32 vcc, v27, v35
	v_cmp_le_i16_e64 s[2:3], v27, v35
	v_cmp_eq_u16_e64 s[4:5], v27, v35
	s_and_saveexec_b64 s[42:43], s[4:5]
	s_cbranch_execz .LBB627_116
; %bb.118:                              ;   in Loop: Header=BB627_117 Depth=1
	s_add_u32 s40, s40, -1
	s_addc_u32 s41, s41, -1
	s_cmp_eq_u64 s[40:41], 0
	s_cselect_b64 s[4:5], -1, 0
	s_andn2_b64 s[28:29], s[28:29], exec
	s_and_b64 s[4:5], s[4:5], exec
	v_lshl_add_u64 v[22:23], v[22:23], 0, 2
	v_lshl_add_u64 v[24:25], v[24:25], 0, 2
	s_andn2_b64 s[26:27], s[26:27], exec
	s_or_b64 s[28:29], s[28:29], s[4:5]
	s_branch .LBB627_116
.LBB627_119:
	s_or_b64 exec, exec, s[22:23]
	s_and_saveexec_b64 s[2:3], s[24:25]
	s_xor_b64 s[2:3], exec, s[2:3]
; %bb.120:
	v_cndmask_b32_e64 v23, v7, v9, s[12:13]
	v_cndmask_b32_e64 v22, v6, v8, s[12:13]
	;; [unrolled: 1-line block ×4, first 2 shown]
	v_mov_b64_e32 v[6:7], v[22:23]
; %bb.121:
	s_or_b64 exec, exec, s[2:3]
	v_mul_lo_u32 v24, v5, s36
	v_mul_lo_u32 v25, v4, s37
	v_mad_u64_u32 v[22:23], s[2:3], v4, s36, 0
	v_add3_u32 v23, v23, v25, v24
	v_mul_lo_u32 v27, v3, s36
	v_mul_lo_u32 v35, v2, s37
	v_mad_u64_u32 v[24:25], s[2:3], v2, s36, 0
	v_add3_u32 v25, v25, v35, v27
	v_lshl_add_u64 v[22:23], v[22:23], 1, s[38:39]
	v_lshl_add_u64 v[24:25], v[24:25], 1, s[38:39]
	s_mov_b64 s[22:23], 0
	s_mov_b64 s[40:41], s[36:37]
                                        ; implicit-def: $sgpr12_sgpr13
                                        ; implicit-def: $sgpr24_sgpr25
                                        ; implicit-def: $sgpr28_sgpr29
                                        ; implicit-def: $sgpr26_sgpr27
                                        ; implicit-def: $sgpr30_sgpr31
	s_branch .LBB627_123
.LBB627_122:                            ;   in Loop: Header=BB627_123 Depth=1
	s_or_b64 exec, exec, s[42:43]
	s_and_b64 s[2:3], s[2:3], s[30:31]
	s_or_b64 s[2:3], vcc, s[2:3]
	s_and_b64 s[4:5], exec, s[28:29]
	s_or_b64 s[22:23], s[4:5], s[22:23]
	s_andn2_b64 s[4:5], s[30:31], exec
	s_and_b64 s[2:3], s[2:3], exec
	s_or_b64 s[30:31], s[4:5], s[2:3]
	s_andn2_b64 s[4:5], s[24:25], exec
	s_and_b64 s[24:25], s[26:27], exec
	s_or_b64 s[24:25], s[4:5], s[24:25]
	s_andn2_b64 s[4:5], s[12:13], exec
	s_or_b64 s[12:13], s[4:5], s[2:3]
	s_andn2_b64 exec, exec, s[22:23]
	s_cbranch_execz .LBB627_125
.LBB627_123:                            ; =>This Inner Loop Header: Depth=1
	global_load_ushort v27, v[22:23], off
	global_load_ushort v35, v[24:25], off
	s_or_b64 s[26:27], s[26:27], exec
	s_or_b64 s[28:29], s[28:29], exec
	s_waitcnt vmcnt(0)
	v_cmp_lt_i16_e32 vcc, v27, v35
	v_cmp_le_i16_e64 s[2:3], v27, v35
	v_cmp_eq_u16_e64 s[4:5], v27, v35
	s_and_saveexec_b64 s[42:43], s[4:5]
	s_cbranch_execz .LBB627_122
; %bb.124:                              ;   in Loop: Header=BB627_123 Depth=1
	s_add_u32 s40, s40, -1
	s_addc_u32 s41, s41, -1
	s_cmp_eq_u64 s[40:41], 0
	s_cselect_b64 s[4:5], -1, 0
	s_andn2_b64 s[28:29], s[28:29], exec
	s_and_b64 s[4:5], s[4:5], exec
	v_lshl_add_u64 v[22:23], v[22:23], 0, 2
	v_lshl_add_u64 v[24:25], v[24:25], 0, 2
	s_andn2_b64 s[26:27], s[26:27], exec
	s_or_b64 s[28:29], s[28:29], s[4:5]
	s_branch .LBB627_122
.LBB627_125:
	s_or_b64 exec, exec, s[22:23]
	s_and_saveexec_b64 s[2:3], s[24:25]
	s_xor_b64 s[2:3], exec, s[2:3]
; %bb.126:
	v_cndmask_b32_e64 v23, v3, v5, s[12:13]
	v_cndmask_b32_e64 v22, v2, v4, s[12:13]
	;; [unrolled: 1-line block ×4, first 2 shown]
	v_mov_b64_e32 v[2:3], v[22:23]
; %bb.127:
	s_or_b64 exec, exec, s[2:3]
	v_mul_lo_u32 v24, v11, s36
	v_mul_lo_u32 v25, v10, s37
	v_mad_u64_u32 v[22:23], s[2:3], v10, s36, 0
	v_add3_u32 v23, v23, v25, v24
	v_mul_lo_u32 v27, v17, s36
	v_mul_lo_u32 v35, v16, s37
	v_mad_u64_u32 v[24:25], s[2:3], v16, s36, 0
	v_add3_u32 v25, v25, v35, v27
	v_lshl_add_u64 v[22:23], v[22:23], 1, s[38:39]
	v_lshl_add_u64 v[24:25], v[24:25], 1, s[38:39]
	s_mov_b64 s[22:23], 0
	s_mov_b64 s[40:41], s[36:37]
                                        ; implicit-def: $sgpr12_sgpr13
                                        ; implicit-def: $sgpr24_sgpr25
                                        ; implicit-def: $sgpr28_sgpr29
                                        ; implicit-def: $sgpr26_sgpr27
                                        ; implicit-def: $sgpr30_sgpr31
	s_branch .LBB627_129
.LBB627_128:                            ;   in Loop: Header=BB627_129 Depth=1
	s_or_b64 exec, exec, s[42:43]
	s_and_b64 s[2:3], s[2:3], s[30:31]
	s_or_b64 s[2:3], vcc, s[2:3]
	s_and_b64 s[4:5], exec, s[28:29]
	s_or_b64 s[22:23], s[4:5], s[22:23]
	s_andn2_b64 s[4:5], s[30:31], exec
	s_and_b64 s[2:3], s[2:3], exec
	s_or_b64 s[30:31], s[4:5], s[2:3]
	s_andn2_b64 s[4:5], s[24:25], exec
	s_and_b64 s[24:25], s[26:27], exec
	s_or_b64 s[24:25], s[4:5], s[24:25]
	s_andn2_b64 s[4:5], s[12:13], exec
	s_or_b64 s[12:13], s[4:5], s[2:3]
	s_andn2_b64 exec, exec, s[22:23]
	s_cbranch_execz .LBB627_131
.LBB627_129:                            ; =>This Inner Loop Header: Depth=1
	global_load_ushort v27, v[22:23], off
	global_load_ushort v35, v[24:25], off
	s_or_b64 s[26:27], s[26:27], exec
	s_or_b64 s[28:29], s[28:29], exec
	s_waitcnt vmcnt(0)
	v_cmp_lt_i16_e32 vcc, v27, v35
	v_cmp_le_i16_e64 s[2:3], v27, v35
	v_cmp_eq_u16_e64 s[4:5], v27, v35
	s_and_saveexec_b64 s[42:43], s[4:5]
	s_cbranch_execz .LBB627_128
; %bb.130:                              ;   in Loop: Header=BB627_129 Depth=1
	s_add_u32 s40, s40, -1
	s_addc_u32 s41, s41, -1
	s_cmp_eq_u64 s[40:41], 0
	s_cselect_b64 s[4:5], -1, 0
	s_andn2_b64 s[28:29], s[28:29], exec
	s_and_b64 s[4:5], s[4:5], exec
	v_lshl_add_u64 v[22:23], v[22:23], 0, 2
	v_lshl_add_u64 v[24:25], v[24:25], 0, 2
	s_andn2_b64 s[26:27], s[26:27], exec
	s_or_b64 s[28:29], s[28:29], s[4:5]
	s_branch .LBB627_128
.LBB627_131:
	s_or_b64 exec, exec, s[22:23]
	s_and_saveexec_b64 s[2:3], s[24:25]
	s_xor_b64 s[2:3], exec, s[2:3]
; %bb.132:
	v_cndmask_b32_e64 v23, v17, v11, s[12:13]
	v_cndmask_b32_e64 v22, v16, v10, s[12:13]
	;; [unrolled: 1-line block ×4, first 2 shown]
	v_mov_b64_e32 v[16:17], v[22:23]
; %bb.133:
	s_or_b64 exec, exec, s[2:3]
	v_mul_lo_u32 v24, v7, s36
	v_mul_lo_u32 v25, v6, s37
	v_mad_u64_u32 v[22:23], s[2:3], v6, s36, 0
	v_add3_u32 v23, v23, v25, v24
	v_mul_lo_u32 v27, v13, s36
	v_mul_lo_u32 v35, v12, s37
	v_mad_u64_u32 v[24:25], s[2:3], v12, s36, 0
	v_add3_u32 v25, v25, v35, v27
	v_lshl_add_u64 v[22:23], v[22:23], 1, s[38:39]
	v_lshl_add_u64 v[24:25], v[24:25], 1, s[38:39]
	s_mov_b64 s[22:23], 0
	s_mov_b64 s[40:41], s[36:37]
                                        ; implicit-def: $sgpr12_sgpr13
                                        ; implicit-def: $sgpr24_sgpr25
                                        ; implicit-def: $sgpr28_sgpr29
                                        ; implicit-def: $sgpr26_sgpr27
                                        ; implicit-def: $sgpr30_sgpr31
	s_branch .LBB627_135
.LBB627_134:                            ;   in Loop: Header=BB627_135 Depth=1
	s_or_b64 exec, exec, s[42:43]
	s_and_b64 s[2:3], s[2:3], s[30:31]
	s_or_b64 s[2:3], vcc, s[2:3]
	s_and_b64 s[4:5], exec, s[28:29]
	s_or_b64 s[22:23], s[4:5], s[22:23]
	s_andn2_b64 s[4:5], s[30:31], exec
	s_and_b64 s[2:3], s[2:3], exec
	s_or_b64 s[30:31], s[4:5], s[2:3]
	s_andn2_b64 s[4:5], s[24:25], exec
	s_and_b64 s[24:25], s[26:27], exec
	s_or_b64 s[24:25], s[4:5], s[24:25]
	s_andn2_b64 s[4:5], s[12:13], exec
	s_or_b64 s[12:13], s[4:5], s[2:3]
	s_andn2_b64 exec, exec, s[22:23]
	s_cbranch_execz .LBB627_137
.LBB627_135:                            ; =>This Inner Loop Header: Depth=1
	global_load_ushort v27, v[22:23], off
	global_load_ushort v35, v[24:25], off
	s_or_b64 s[26:27], s[26:27], exec
	s_or_b64 s[28:29], s[28:29], exec
	s_waitcnt vmcnt(0)
	v_cmp_lt_i16_e32 vcc, v27, v35
	v_cmp_le_i16_e64 s[2:3], v27, v35
	v_cmp_eq_u16_e64 s[4:5], v27, v35
	s_and_saveexec_b64 s[42:43], s[4:5]
	s_cbranch_execz .LBB627_134
; %bb.136:                              ;   in Loop: Header=BB627_135 Depth=1
	s_add_u32 s40, s40, -1
	s_addc_u32 s41, s41, -1
	s_cmp_eq_u64 s[40:41], 0
	s_cselect_b64 s[4:5], -1, 0
	s_andn2_b64 s[28:29], s[28:29], exec
	s_and_b64 s[4:5], s[4:5], exec
	v_lshl_add_u64 v[22:23], v[22:23], 0, 2
	v_lshl_add_u64 v[24:25], v[24:25], 0, 2
	s_andn2_b64 s[26:27], s[26:27], exec
	s_or_b64 s[28:29], s[28:29], s[4:5]
	s_branch .LBB627_134
.LBB627_137:
	s_or_b64 exec, exec, s[22:23]
	s_and_saveexec_b64 s[2:3], s[24:25]
	s_xor_b64 s[2:3], exec, s[2:3]
; %bb.138:
	v_cndmask_b32_e64 v23, v13, v7, s[12:13]
	v_cndmask_b32_e64 v22, v12, v6, s[12:13]
	;; [unrolled: 1-line block ×4, first 2 shown]
	v_mov_b64_e32 v[12:13], v[22:23]
; %bb.139:
	s_or_b64 exec, exec, s[2:3]
	v_mul_lo_u32 v24, v3, s36
	v_mul_lo_u32 v25, v2, s37
	v_mad_u64_u32 v[22:23], s[2:3], v2, s36, 0
	v_add3_u32 v23, v23, v25, v24
	v_mul_lo_u32 v27, v9, s36
	v_mul_lo_u32 v35, v8, s37
	v_mad_u64_u32 v[24:25], s[2:3], v8, s36, 0
	v_add3_u32 v25, v25, v35, v27
	v_lshl_add_u64 v[22:23], v[22:23], 1, s[38:39]
	v_lshl_add_u64 v[24:25], v[24:25], 1, s[38:39]
	s_mov_b64 s[22:23], 0
	s_mov_b64 s[40:41], s[36:37]
                                        ; implicit-def: $sgpr12_sgpr13
                                        ; implicit-def: $sgpr24_sgpr25
                                        ; implicit-def: $sgpr28_sgpr29
                                        ; implicit-def: $sgpr26_sgpr27
                                        ; implicit-def: $sgpr30_sgpr31
	s_branch .LBB627_141
.LBB627_140:                            ;   in Loop: Header=BB627_141 Depth=1
	s_or_b64 exec, exec, s[42:43]
	s_and_b64 s[2:3], s[2:3], s[30:31]
	s_or_b64 s[2:3], vcc, s[2:3]
	s_and_b64 s[4:5], exec, s[28:29]
	s_or_b64 s[22:23], s[4:5], s[22:23]
	s_andn2_b64 s[4:5], s[30:31], exec
	s_and_b64 s[2:3], s[2:3], exec
	s_or_b64 s[30:31], s[4:5], s[2:3]
	s_andn2_b64 s[4:5], s[24:25], exec
	s_and_b64 s[24:25], s[26:27], exec
	s_or_b64 s[24:25], s[4:5], s[24:25]
	s_andn2_b64 s[4:5], s[12:13], exec
	s_or_b64 s[12:13], s[4:5], s[2:3]
	s_andn2_b64 exec, exec, s[22:23]
	s_cbranch_execz .LBB627_143
.LBB627_141:                            ; =>This Inner Loop Header: Depth=1
	global_load_ushort v27, v[22:23], off
	global_load_ushort v35, v[24:25], off
	s_or_b64 s[26:27], s[26:27], exec
	s_or_b64 s[28:29], s[28:29], exec
	s_waitcnt vmcnt(0)
	v_cmp_lt_i16_e32 vcc, v27, v35
	v_cmp_le_i16_e64 s[2:3], v27, v35
	v_cmp_eq_u16_e64 s[4:5], v27, v35
	s_and_saveexec_b64 s[42:43], s[4:5]
	s_cbranch_execz .LBB627_140
; %bb.142:                              ;   in Loop: Header=BB627_141 Depth=1
	s_add_u32 s40, s40, -1
	s_addc_u32 s41, s41, -1
	s_cmp_eq_u64 s[40:41], 0
	s_cselect_b64 s[4:5], -1, 0
	s_andn2_b64 s[28:29], s[28:29], exec
	s_and_b64 s[4:5], s[4:5], exec
	v_lshl_add_u64 v[22:23], v[22:23], 0, 2
	v_lshl_add_u64 v[24:25], v[24:25], 0, 2
	s_andn2_b64 s[26:27], s[26:27], exec
	s_or_b64 s[28:29], s[28:29], s[4:5]
	s_branch .LBB627_140
.LBB627_143:
	s_or_b64 exec, exec, s[22:23]
	s_and_saveexec_b64 s[2:3], s[24:25]
	s_xor_b64 s[2:3], exec, s[2:3]
; %bb.144:
	v_cndmask_b32_e64 v23, v9, v3, s[12:13]
	v_cndmask_b32_e64 v22, v8, v2, s[12:13]
	;; [unrolled: 1-line block ×4, first 2 shown]
	v_mov_b64_e32 v[8:9], v[22:23]
; %bb.145:
	s_or_b64 exec, exec, s[2:3]
	v_mul_lo_u32 v24, v17, s36
	v_mul_lo_u32 v25, v16, s37
	v_mad_u64_u32 v[22:23], s[2:3], v16, s36, 0
	v_add3_u32 v23, v23, v25, v24
	v_mul_lo_u32 v27, v15, s36
	v_mul_lo_u32 v35, v14, s37
	v_mad_u64_u32 v[24:25], s[2:3], v14, s36, 0
	v_add3_u32 v25, v25, v35, v27
	v_lshl_add_u64 v[22:23], v[22:23], 1, s[38:39]
	v_lshl_add_u64 v[24:25], v[24:25], 1, s[38:39]
	s_mov_b64 s[22:23], 0
	s_mov_b64 s[40:41], s[36:37]
                                        ; implicit-def: $sgpr12_sgpr13
                                        ; implicit-def: $sgpr24_sgpr25
                                        ; implicit-def: $sgpr28_sgpr29
                                        ; implicit-def: $sgpr26_sgpr27
                                        ; implicit-def: $sgpr30_sgpr31
	s_branch .LBB627_147
.LBB627_146:                            ;   in Loop: Header=BB627_147 Depth=1
	s_or_b64 exec, exec, s[42:43]
	s_and_b64 s[2:3], s[2:3], s[30:31]
	s_or_b64 s[2:3], vcc, s[2:3]
	s_and_b64 s[4:5], exec, s[28:29]
	s_or_b64 s[22:23], s[4:5], s[22:23]
	s_andn2_b64 s[4:5], s[30:31], exec
	s_and_b64 s[2:3], s[2:3], exec
	s_or_b64 s[30:31], s[4:5], s[2:3]
	s_andn2_b64 s[4:5], s[24:25], exec
	s_and_b64 s[24:25], s[26:27], exec
	s_or_b64 s[24:25], s[4:5], s[24:25]
	s_andn2_b64 s[4:5], s[12:13], exec
	s_or_b64 s[12:13], s[4:5], s[2:3]
	s_andn2_b64 exec, exec, s[22:23]
	s_cbranch_execz .LBB627_149
.LBB627_147:                            ; =>This Inner Loop Header: Depth=1
	global_load_ushort v27, v[22:23], off
	global_load_ushort v35, v[24:25], off
	s_or_b64 s[26:27], s[26:27], exec
	s_or_b64 s[28:29], s[28:29], exec
	s_waitcnt vmcnt(0)
	v_cmp_lt_i16_e32 vcc, v27, v35
	v_cmp_le_i16_e64 s[2:3], v27, v35
	v_cmp_eq_u16_e64 s[4:5], v27, v35
	s_and_saveexec_b64 s[42:43], s[4:5]
	s_cbranch_execz .LBB627_146
; %bb.148:                              ;   in Loop: Header=BB627_147 Depth=1
	s_add_u32 s40, s40, -1
	s_addc_u32 s41, s41, -1
	s_cmp_eq_u64 s[40:41], 0
	s_cselect_b64 s[4:5], -1, 0
	s_andn2_b64 s[28:29], s[28:29], exec
	s_and_b64 s[4:5], s[4:5], exec
	v_lshl_add_u64 v[22:23], v[22:23], 0, 2
	v_lshl_add_u64 v[24:25], v[24:25], 0, 2
	s_andn2_b64 s[26:27], s[26:27], exec
	s_or_b64 s[28:29], s[28:29], s[4:5]
	s_branch .LBB627_146
.LBB627_149:
	s_or_b64 exec, exec, s[22:23]
	s_and_saveexec_b64 s[2:3], s[24:25]
	s_xor_b64 s[2:3], exec, s[2:3]
; %bb.150:
	v_cndmask_b32_e64 v23, v17, v15, s[12:13]
	v_cndmask_b32_e64 v22, v16, v14, s[12:13]
	;; [unrolled: 1-line block ×4, first 2 shown]
	v_mov_b64_e32 v[16:17], v[22:23]
; %bb.151:
	s_or_b64 exec, exec, s[2:3]
	v_mul_lo_u32 v24, v13, s36
	v_mul_lo_u32 v25, v12, s37
	v_mad_u64_u32 v[22:23], s[2:3], v12, s36, 0
	v_add3_u32 v23, v23, v25, v24
	v_mul_lo_u32 v27, v11, s36
	v_mul_lo_u32 v35, v10, s37
	v_mad_u64_u32 v[24:25], s[2:3], v10, s36, 0
	v_add3_u32 v25, v25, v35, v27
	v_lshl_add_u64 v[22:23], v[22:23], 1, s[38:39]
	v_lshl_add_u64 v[24:25], v[24:25], 1, s[38:39]
	s_mov_b64 s[22:23], 0
	s_mov_b64 s[40:41], s[36:37]
                                        ; implicit-def: $sgpr12_sgpr13
                                        ; implicit-def: $sgpr24_sgpr25
                                        ; implicit-def: $sgpr28_sgpr29
                                        ; implicit-def: $sgpr26_sgpr27
                                        ; implicit-def: $sgpr30_sgpr31
	s_branch .LBB627_153
.LBB627_152:                            ;   in Loop: Header=BB627_153 Depth=1
	s_or_b64 exec, exec, s[42:43]
	s_and_b64 s[2:3], s[2:3], s[30:31]
	s_or_b64 s[2:3], vcc, s[2:3]
	s_and_b64 s[4:5], exec, s[28:29]
	s_or_b64 s[22:23], s[4:5], s[22:23]
	s_andn2_b64 s[4:5], s[30:31], exec
	s_and_b64 s[2:3], s[2:3], exec
	s_or_b64 s[30:31], s[4:5], s[2:3]
	s_andn2_b64 s[4:5], s[24:25], exec
	s_and_b64 s[24:25], s[26:27], exec
	s_or_b64 s[24:25], s[4:5], s[24:25]
	s_andn2_b64 s[4:5], s[12:13], exec
	s_or_b64 s[12:13], s[4:5], s[2:3]
	s_andn2_b64 exec, exec, s[22:23]
	s_cbranch_execz .LBB627_155
.LBB627_153:                            ; =>This Inner Loop Header: Depth=1
	global_load_ushort v27, v[22:23], off
	global_load_ushort v35, v[24:25], off
	s_or_b64 s[26:27], s[26:27], exec
	s_or_b64 s[28:29], s[28:29], exec
	s_waitcnt vmcnt(0)
	v_cmp_lt_i16_e32 vcc, v27, v35
	v_cmp_le_i16_e64 s[2:3], v27, v35
	v_cmp_eq_u16_e64 s[4:5], v27, v35
	s_and_saveexec_b64 s[42:43], s[4:5]
	s_cbranch_execz .LBB627_152
; %bb.154:                              ;   in Loop: Header=BB627_153 Depth=1
	s_add_u32 s40, s40, -1
	s_addc_u32 s41, s41, -1
	s_cmp_eq_u64 s[40:41], 0
	s_cselect_b64 s[4:5], -1, 0
	s_andn2_b64 s[28:29], s[28:29], exec
	s_and_b64 s[4:5], s[4:5], exec
	v_lshl_add_u64 v[22:23], v[22:23], 0, 2
	v_lshl_add_u64 v[24:25], v[24:25], 0, 2
	s_andn2_b64 s[26:27], s[26:27], exec
	s_or_b64 s[28:29], s[28:29], s[4:5]
	s_branch .LBB627_152
.LBB627_155:
	s_or_b64 exec, exec, s[22:23]
	s_and_saveexec_b64 s[2:3], s[24:25]
	s_xor_b64 s[2:3], exec, s[2:3]
; %bb.156:
	v_cndmask_b32_e64 v23, v11, v13, s[12:13]
	v_cndmask_b32_e64 v22, v10, v12, s[12:13]
	;; [unrolled: 1-line block ×4, first 2 shown]
	v_mov_b64_e32 v[10:11], v[22:23]
; %bb.157:
	s_or_b64 exec, exec, s[2:3]
	v_mul_lo_u32 v24, v9, s36
	v_mul_lo_u32 v25, v8, s37
	v_mad_u64_u32 v[22:23], s[2:3], v8, s36, 0
	v_add3_u32 v23, v23, v25, v24
	v_mul_lo_u32 v27, v7, s36
	v_mul_lo_u32 v35, v6, s37
	v_mad_u64_u32 v[24:25], s[2:3], v6, s36, 0
	v_add3_u32 v25, v25, v35, v27
	v_lshl_add_u64 v[22:23], v[22:23], 1, s[38:39]
	v_lshl_add_u64 v[24:25], v[24:25], 1, s[38:39]
	s_mov_b64 s[22:23], 0
	s_mov_b64 s[40:41], s[36:37]
                                        ; implicit-def: $sgpr12_sgpr13
                                        ; implicit-def: $sgpr24_sgpr25
                                        ; implicit-def: $sgpr28_sgpr29
                                        ; implicit-def: $sgpr26_sgpr27
                                        ; implicit-def: $sgpr30_sgpr31
	s_branch .LBB627_159
.LBB627_158:                            ;   in Loop: Header=BB627_159 Depth=1
	s_or_b64 exec, exec, s[42:43]
	s_and_b64 s[2:3], s[2:3], s[30:31]
	s_or_b64 s[2:3], vcc, s[2:3]
	s_and_b64 s[4:5], exec, s[28:29]
	s_or_b64 s[22:23], s[4:5], s[22:23]
	s_andn2_b64 s[4:5], s[30:31], exec
	s_and_b64 s[2:3], s[2:3], exec
	s_or_b64 s[30:31], s[4:5], s[2:3]
	s_andn2_b64 s[4:5], s[24:25], exec
	s_and_b64 s[24:25], s[26:27], exec
	s_or_b64 s[24:25], s[4:5], s[24:25]
	s_andn2_b64 s[4:5], s[12:13], exec
	s_or_b64 s[12:13], s[4:5], s[2:3]
	s_andn2_b64 exec, exec, s[22:23]
	s_cbranch_execz .LBB627_161
.LBB627_159:                            ; =>This Inner Loop Header: Depth=1
	global_load_ushort v27, v[22:23], off
	global_load_ushort v35, v[24:25], off
	s_or_b64 s[26:27], s[26:27], exec
	s_or_b64 s[28:29], s[28:29], exec
	s_waitcnt vmcnt(0)
	v_cmp_lt_i16_e32 vcc, v27, v35
	v_cmp_le_i16_e64 s[2:3], v27, v35
	v_cmp_eq_u16_e64 s[4:5], v27, v35
	s_and_saveexec_b64 s[42:43], s[4:5]
	s_cbranch_execz .LBB627_158
; %bb.160:                              ;   in Loop: Header=BB627_159 Depth=1
	s_add_u32 s40, s40, -1
	s_addc_u32 s41, s41, -1
	s_cmp_eq_u64 s[40:41], 0
	s_cselect_b64 s[4:5], -1, 0
	s_andn2_b64 s[28:29], s[28:29], exec
	s_and_b64 s[4:5], s[4:5], exec
	v_lshl_add_u64 v[22:23], v[22:23], 0, 2
	v_lshl_add_u64 v[24:25], v[24:25], 0, 2
	s_andn2_b64 s[26:27], s[26:27], exec
	s_or_b64 s[28:29], s[28:29], s[4:5]
	s_branch .LBB627_158
.LBB627_161:
	s_or_b64 exec, exec, s[22:23]
	s_and_saveexec_b64 s[2:3], s[24:25]
	s_xor_b64 s[2:3], exec, s[2:3]
; %bb.162:
	v_cndmask_b32_e64 v23, v7, v9, s[12:13]
	v_cndmask_b32_e64 v22, v6, v8, s[12:13]
	;; [unrolled: 1-line block ×4, first 2 shown]
	v_mov_b64_e32 v[6:7], v[22:23]
; %bb.163:
	s_or_b64 exec, exec, s[2:3]
	v_mul_lo_u32 v24, v5, s36
	v_mul_lo_u32 v25, v4, s37
	v_mad_u64_u32 v[22:23], s[2:3], v4, s36, 0
	v_add3_u32 v23, v23, v25, v24
	v_mul_lo_u32 v27, v3, s36
	v_mul_lo_u32 v35, v2, s37
	v_mad_u64_u32 v[24:25], s[2:3], v2, s36, 0
	v_add3_u32 v25, v25, v35, v27
	v_lshl_add_u64 v[22:23], v[22:23], 1, s[38:39]
	v_lshl_add_u64 v[24:25], v[24:25], 1, s[38:39]
	s_mov_b64 s[22:23], 0
	s_mov_b64 s[40:41], s[36:37]
                                        ; implicit-def: $sgpr12_sgpr13
                                        ; implicit-def: $sgpr24_sgpr25
                                        ; implicit-def: $sgpr28_sgpr29
                                        ; implicit-def: $sgpr26_sgpr27
                                        ; implicit-def: $sgpr30_sgpr31
	s_branch .LBB627_165
.LBB627_164:                            ;   in Loop: Header=BB627_165 Depth=1
	s_or_b64 exec, exec, s[42:43]
	s_and_b64 s[2:3], s[2:3], s[30:31]
	s_or_b64 s[2:3], vcc, s[2:3]
	s_and_b64 s[4:5], exec, s[28:29]
	s_or_b64 s[22:23], s[4:5], s[22:23]
	s_andn2_b64 s[4:5], s[30:31], exec
	s_and_b64 s[2:3], s[2:3], exec
	s_or_b64 s[30:31], s[4:5], s[2:3]
	s_andn2_b64 s[4:5], s[24:25], exec
	s_and_b64 s[24:25], s[26:27], exec
	s_or_b64 s[24:25], s[4:5], s[24:25]
	s_andn2_b64 s[4:5], s[12:13], exec
	s_or_b64 s[12:13], s[4:5], s[2:3]
	s_andn2_b64 exec, exec, s[22:23]
	s_cbranch_execz .LBB627_167
.LBB627_165:                            ; =>This Inner Loop Header: Depth=1
	global_load_ushort v27, v[22:23], off
	global_load_ushort v35, v[24:25], off
	s_or_b64 s[26:27], s[26:27], exec
	s_or_b64 s[28:29], s[28:29], exec
	s_waitcnt vmcnt(0)
	v_cmp_lt_i16_e32 vcc, v27, v35
	v_cmp_le_i16_e64 s[2:3], v27, v35
	v_cmp_eq_u16_e64 s[4:5], v27, v35
	s_and_saveexec_b64 s[42:43], s[4:5]
	s_cbranch_execz .LBB627_164
; %bb.166:                              ;   in Loop: Header=BB627_165 Depth=1
	s_add_u32 s40, s40, -1
	s_addc_u32 s41, s41, -1
	s_cmp_eq_u64 s[40:41], 0
	s_cselect_b64 s[4:5], -1, 0
	s_andn2_b64 s[28:29], s[28:29], exec
	s_and_b64 s[4:5], s[4:5], exec
	v_lshl_add_u64 v[22:23], v[22:23], 0, 2
	v_lshl_add_u64 v[24:25], v[24:25], 0, 2
	s_andn2_b64 s[26:27], s[26:27], exec
	s_or_b64 s[28:29], s[28:29], s[4:5]
	s_branch .LBB627_164
.LBB627_167:
	s_or_b64 exec, exec, s[22:23]
	s_and_saveexec_b64 s[2:3], s[24:25]
	s_xor_b64 s[2:3], exec, s[2:3]
; %bb.168:
	v_cndmask_b32_e64 v23, v3, v5, s[12:13]
	v_cndmask_b32_e64 v22, v2, v4, s[12:13]
	;; [unrolled: 1-line block ×4, first 2 shown]
	v_mov_b64_e32 v[2:3], v[22:23]
; %bb.169:
	s_or_b64 exec, exec, s[2:3]
	v_mul_lo_u32 v24, v11, s36
	v_mul_lo_u32 v25, v10, s37
	v_mad_u64_u32 v[22:23], s[2:3], v10, s36, 0
	v_add3_u32 v23, v23, v25, v24
	v_mul_lo_u32 v27, v17, s36
	v_mul_lo_u32 v35, v16, s37
	v_mad_u64_u32 v[24:25], s[2:3], v16, s36, 0
	v_add3_u32 v25, v25, v35, v27
	v_lshl_add_u64 v[22:23], v[22:23], 1, s[38:39]
	v_lshl_add_u64 v[24:25], v[24:25], 1, s[38:39]
	s_mov_b64 s[22:23], 0
	s_mov_b64 s[40:41], s[36:37]
                                        ; implicit-def: $sgpr12_sgpr13
                                        ; implicit-def: $sgpr24_sgpr25
                                        ; implicit-def: $sgpr28_sgpr29
                                        ; implicit-def: $sgpr26_sgpr27
                                        ; implicit-def: $sgpr30_sgpr31
	s_branch .LBB627_171
.LBB627_170:                            ;   in Loop: Header=BB627_171 Depth=1
	s_or_b64 exec, exec, s[42:43]
	s_and_b64 s[2:3], s[2:3], s[30:31]
	s_or_b64 s[2:3], vcc, s[2:3]
	s_and_b64 s[4:5], exec, s[28:29]
	s_or_b64 s[22:23], s[4:5], s[22:23]
	s_andn2_b64 s[4:5], s[30:31], exec
	s_and_b64 s[2:3], s[2:3], exec
	s_or_b64 s[30:31], s[4:5], s[2:3]
	s_andn2_b64 s[4:5], s[24:25], exec
	s_and_b64 s[24:25], s[26:27], exec
	s_or_b64 s[24:25], s[4:5], s[24:25]
	s_andn2_b64 s[4:5], s[12:13], exec
	s_or_b64 s[12:13], s[4:5], s[2:3]
	s_andn2_b64 exec, exec, s[22:23]
	s_cbranch_execz .LBB627_173
.LBB627_171:                            ; =>This Inner Loop Header: Depth=1
	global_load_ushort v27, v[22:23], off
	global_load_ushort v35, v[24:25], off
	s_or_b64 s[26:27], s[26:27], exec
	s_or_b64 s[28:29], s[28:29], exec
	s_waitcnt vmcnt(0)
	v_cmp_lt_i16_e32 vcc, v27, v35
	v_cmp_le_i16_e64 s[2:3], v27, v35
	v_cmp_eq_u16_e64 s[4:5], v27, v35
	s_and_saveexec_b64 s[42:43], s[4:5]
	s_cbranch_execz .LBB627_170
; %bb.172:                              ;   in Loop: Header=BB627_171 Depth=1
	s_add_u32 s40, s40, -1
	s_addc_u32 s41, s41, -1
	s_cmp_eq_u64 s[40:41], 0
	s_cselect_b64 s[4:5], -1, 0
	s_andn2_b64 s[28:29], s[28:29], exec
	s_and_b64 s[4:5], s[4:5], exec
	v_lshl_add_u64 v[22:23], v[22:23], 0, 2
	v_lshl_add_u64 v[24:25], v[24:25], 0, 2
	s_andn2_b64 s[26:27], s[26:27], exec
	s_or_b64 s[28:29], s[28:29], s[4:5]
	s_branch .LBB627_170
.LBB627_173:
	s_or_b64 exec, exec, s[22:23]
	s_and_saveexec_b64 s[2:3], s[24:25]
	s_xor_b64 s[2:3], exec, s[2:3]
; %bb.174:
	v_cndmask_b32_e64 v23, v17, v11, s[12:13]
	v_cndmask_b32_e64 v22, v16, v10, s[12:13]
	;; [unrolled: 1-line block ×4, first 2 shown]
	v_mov_b64_e32 v[16:17], v[22:23]
; %bb.175:
	s_or_b64 exec, exec, s[2:3]
	v_mul_lo_u32 v24, v7, s36
	v_mul_lo_u32 v25, v6, s37
	v_mad_u64_u32 v[22:23], s[2:3], v6, s36, 0
	v_add3_u32 v23, v23, v25, v24
	v_mul_lo_u32 v27, v13, s36
	v_mul_lo_u32 v35, v12, s37
	v_mad_u64_u32 v[24:25], s[2:3], v12, s36, 0
	v_add3_u32 v25, v25, v35, v27
	v_lshl_add_u64 v[22:23], v[22:23], 1, s[38:39]
	v_lshl_add_u64 v[24:25], v[24:25], 1, s[38:39]
	s_mov_b64 s[22:23], 0
	s_mov_b64 s[40:41], s[36:37]
                                        ; implicit-def: $sgpr12_sgpr13
                                        ; implicit-def: $sgpr24_sgpr25
                                        ; implicit-def: $sgpr28_sgpr29
                                        ; implicit-def: $sgpr26_sgpr27
                                        ; implicit-def: $sgpr30_sgpr31
	s_branch .LBB627_177
.LBB627_176:                            ;   in Loop: Header=BB627_177 Depth=1
	s_or_b64 exec, exec, s[42:43]
	s_and_b64 s[2:3], s[2:3], s[30:31]
	s_or_b64 s[2:3], vcc, s[2:3]
	s_and_b64 s[4:5], exec, s[28:29]
	s_or_b64 s[22:23], s[4:5], s[22:23]
	s_andn2_b64 s[4:5], s[30:31], exec
	s_and_b64 s[2:3], s[2:3], exec
	s_or_b64 s[30:31], s[4:5], s[2:3]
	s_andn2_b64 s[4:5], s[24:25], exec
	s_and_b64 s[24:25], s[26:27], exec
	s_or_b64 s[24:25], s[4:5], s[24:25]
	s_andn2_b64 s[4:5], s[12:13], exec
	s_or_b64 s[12:13], s[4:5], s[2:3]
	s_andn2_b64 exec, exec, s[22:23]
	s_cbranch_execz .LBB627_179
.LBB627_177:                            ; =>This Inner Loop Header: Depth=1
	global_load_ushort v27, v[22:23], off
	global_load_ushort v35, v[24:25], off
	s_or_b64 s[26:27], s[26:27], exec
	s_or_b64 s[28:29], s[28:29], exec
	s_waitcnt vmcnt(0)
	v_cmp_lt_i16_e32 vcc, v27, v35
	v_cmp_le_i16_e64 s[2:3], v27, v35
	v_cmp_eq_u16_e64 s[4:5], v27, v35
	s_and_saveexec_b64 s[42:43], s[4:5]
	s_cbranch_execz .LBB627_176
; %bb.178:                              ;   in Loop: Header=BB627_177 Depth=1
	s_add_u32 s40, s40, -1
	s_addc_u32 s41, s41, -1
	s_cmp_eq_u64 s[40:41], 0
	s_cselect_b64 s[4:5], -1, 0
	s_andn2_b64 s[28:29], s[28:29], exec
	s_and_b64 s[4:5], s[4:5], exec
	v_lshl_add_u64 v[22:23], v[22:23], 0, 2
	v_lshl_add_u64 v[24:25], v[24:25], 0, 2
	s_andn2_b64 s[26:27], s[26:27], exec
	s_or_b64 s[28:29], s[28:29], s[4:5]
	s_branch .LBB627_176
.LBB627_179:
	s_or_b64 exec, exec, s[22:23]
	s_and_saveexec_b64 s[2:3], s[24:25]
	s_xor_b64 s[2:3], exec, s[2:3]
; %bb.180:
	v_cndmask_b32_e64 v23, v13, v7, s[12:13]
	v_cndmask_b32_e64 v22, v12, v6, s[12:13]
	;; [unrolled: 1-line block ×4, first 2 shown]
	v_mov_b64_e32 v[12:13], v[22:23]
; %bb.181:
	s_or_b64 exec, exec, s[2:3]
	v_mul_lo_u32 v24, v3, s36
	v_mul_lo_u32 v25, v2, s37
	v_mad_u64_u32 v[22:23], s[2:3], v2, s36, 0
	v_add3_u32 v23, v23, v25, v24
	v_mul_lo_u32 v27, v9, s36
	v_mul_lo_u32 v35, v8, s37
	v_mad_u64_u32 v[24:25], s[2:3], v8, s36, 0
	v_add3_u32 v25, v25, v35, v27
	v_lshl_add_u64 v[22:23], v[22:23], 1, s[38:39]
	v_lshl_add_u64 v[24:25], v[24:25], 1, s[38:39]
	s_mov_b64 s[24:25], 0
	s_mov_b64 s[40:41], s[36:37]
                                        ; implicit-def: $sgpr12_sgpr13
                                        ; implicit-def: $sgpr22_sgpr23
                                        ; implicit-def: $sgpr28_sgpr29
                                        ; implicit-def: $sgpr26_sgpr27
                                        ; implicit-def: $sgpr30_sgpr31
	s_branch .LBB627_183
.LBB627_182:                            ;   in Loop: Header=BB627_183 Depth=1
	s_or_b64 exec, exec, s[42:43]
	s_and_b64 s[2:3], s[2:3], s[30:31]
	s_or_b64 s[2:3], vcc, s[2:3]
	s_and_b64 s[4:5], exec, s[28:29]
	s_or_b64 s[24:25], s[4:5], s[24:25]
	s_andn2_b64 s[4:5], s[30:31], exec
	s_and_b64 s[2:3], s[2:3], exec
	s_or_b64 s[30:31], s[4:5], s[2:3]
	s_andn2_b64 s[4:5], s[22:23], exec
	s_and_b64 s[22:23], s[26:27], exec
	s_or_b64 s[22:23], s[4:5], s[22:23]
	s_andn2_b64 s[4:5], s[12:13], exec
	s_or_b64 s[12:13], s[4:5], s[2:3]
	s_andn2_b64 exec, exec, s[24:25]
	s_cbranch_execz .LBB627_185
.LBB627_183:                            ; =>This Inner Loop Header: Depth=1
	global_load_ushort v27, v[22:23], off
	global_load_ushort v35, v[24:25], off
	s_or_b64 s[26:27], s[26:27], exec
	s_or_b64 s[28:29], s[28:29], exec
	s_waitcnt vmcnt(0)
	v_cmp_lt_i16_e32 vcc, v27, v35
	v_cmp_le_i16_e64 s[2:3], v27, v35
	v_cmp_eq_u16_e64 s[4:5], v27, v35
	s_and_saveexec_b64 s[42:43], s[4:5]
	s_cbranch_execz .LBB627_182
; %bb.184:                              ;   in Loop: Header=BB627_183 Depth=1
	s_add_u32 s40, s40, -1
	s_addc_u32 s41, s41, -1
	s_cmp_eq_u64 s[40:41], 0
	s_cselect_b64 s[4:5], -1, 0
	s_andn2_b64 s[28:29], s[28:29], exec
	s_and_b64 s[4:5], s[4:5], exec
	v_lshl_add_u64 v[22:23], v[22:23], 0, 2
	v_lshl_add_u64 v[24:25], v[24:25], 0, 2
	s_andn2_b64 s[26:27], s[26:27], exec
	s_or_b64 s[28:29], s[28:29], s[4:5]
	s_branch .LBB627_182
.LBB627_185:
	s_or_b64 exec, exec, s[24:25]
	s_and_saveexec_b64 s[2:3], s[22:23]
	s_xor_b64 s[2:3], exec, s[2:3]
; %bb.186:
	v_cndmask_b32_e64 v23, v9, v3, s[12:13]
	v_cndmask_b32_e64 v22, v8, v2, s[12:13]
	;; [unrolled: 1-line block ×4, first 2 shown]
	v_mov_b64_e32 v[8:9], v[22:23]
; %bb.187:
	s_or_b64 exec, exec, s[2:3]
.LBB627_188:
	s_or_b64 exec, exec, s[10:11]
	v_mbcnt_lo_u32_b32 v22, -1, 0
	v_mbcnt_hi_u32_b32 v22, -1, v22
	v_and_b32_e32 v23, 0xfffffe00, v26
	s_movk_i32 s2, 0x800
	v_lshlrev_b32_e32 v35, 3, v23
	v_lshlrev_b32_e32 v37, 3, v22
	v_sub_u32_e64 v36, s2, v23 clamp
	v_lshl_add_u32 v38, v22, 6, v35
	v_or_b32_e32 v22, 8, v37
	v_min_u32_e32 v26, v36, v22
	v_add_u32_e32 v22, 8, v26
	v_and_b32_e32 v41, 0x3f0, v37
	v_min_u32_e32 v27, v36, v22
	v_and_b32_e32 v22, 8, v37
	v_min_u32_e32 v42, v36, v22
	v_sub_u32_e32 v22, v26, v41
	v_sub_u32_e32 v23, v27, v26
	v_sub_u32_e64 v40, v42, v23 clamp
	v_min_u32_e32 v43, v42, v22
	v_lshl_add_u32 v39, v41, 3, v35
	v_cmp_lt_u32_e32 vcc, v40, v43
	ds_write_b128 v38, v[14:17]
	ds_write_b128 v38, v[10:13] offset:16
	ds_write_b128 v38, v[6:9] offset:32
	;; [unrolled: 1-line block ×3, first 2 shown]
	; wave barrier
	s_and_saveexec_b64 s[10:11], vcc
	s_cbranch_execz .LBB627_198
; %bb.189:
	v_lshlrev_b32_e32 v22, 3, v26
	v_lshlrev_b32_e32 v23, 3, v42
	v_add3_u32 v44, v35, v22, v23
	s_lshl_b64 s[22:23], s[36:37], 1
	s_mov_b64 s[12:13], 0
	s_branch .LBB627_192
.LBB627_190:                            ;   in Loop: Header=BB627_192 Depth=1
	s_or_b64 exec, exec, s[26:27]
.LBB627_191:                            ;   in Loop: Header=BB627_192 Depth=1
	v_add_u32_e32 v22, 1, v45
	v_cndmask_b32_e64 v43, v43, v45, s[24:25]
	v_cndmask_b32_e64 v40, v22, v40, s[24:25]
	v_cmp_ge_u32_e32 vcc, v40, v43
	s_or_b64 s[12:13], vcc, s[12:13]
	s_andn2_b64 exec, exec, s[12:13]
	s_cbranch_execz .LBB627_197
.LBB627_192:                            ; =>This Loop Header: Depth=1
                                        ;     Child Loop BB627_195 Depth 2
	v_add_u32_e32 v22, v43, v40
	v_lshrrev_b32_e32 v45, 1, v22
	s_and_b64 vcc, exec, s[0:1]
	s_mov_b64 s[24:25], 0
	s_cbranch_vccnz .LBB627_191
; %bb.193:                              ;   in Loop: Header=BB627_192 Depth=1
	v_not_b32_e32 v22, v45
	v_lshl_add_u32 v22, v22, 3, v44
	ds_read_b64 v[22:23], v22
	v_lshl_add_u32 v46, v45, 3, v39
	ds_read_b64 v[46:47], v46
	v_mov_b64_e32 v[24:25], s[38:39]
	s_mov_b64 s[26:27], 0
	s_waitcnt lgkmcnt(1)
	v_mul_lo_u32 v48, s22, v23
	v_mul_lo_u32 v49, s23, v22
	v_mad_u64_u32 v[22:23], s[2:3], s22, v22, v[24:25]
	v_add3_u32 v23, v49, v23, v48
	s_waitcnt lgkmcnt(0)
	v_mul_lo_u32 v47, s22, v47
	v_mul_lo_u32 v48, s23, v46
	v_mad_u64_u32 v[24:25], s[2:3], s22, v46, v[24:25]
	v_add3_u32 v25, v48, v25, v47
	s_mov_b64 s[30:31], s[36:37]
                                        ; implicit-def: $sgpr24_sgpr25
                                        ; implicit-def: $sgpr28_sgpr29
                                        ; implicit-def: $sgpr2_sgpr3
                                        ; implicit-def: $sgpr40_sgpr41
	s_branch .LBB627_195
.LBB627_194:                            ;   in Loop: Header=BB627_195 Depth=2
	s_or_b64 exec, exec, s[44:45]
	s_and_b64 s[4:5], exec, s[28:29]
	s_or_b64 s[26:27], s[4:5], s[26:27]
	s_andn2_b64 s[4:5], s[40:41], exec
	s_and_b64 s[40:41], s[42:43], exec
	s_or_b64 s[40:41], s[4:5], s[40:41]
	s_andn2_b64 s[4:5], s[24:25], exec
	s_and_b64 s[24:25], s[2:3], exec
	s_or_b64 s[24:25], s[4:5], s[24:25]
	s_andn2_b64 exec, exec, s[26:27]
	s_cbranch_execz .LBB627_190
.LBB627_195:                            ;   Parent Loop BB627_192 Depth=1
                                        ; =>  This Inner Loop Header: Depth=2
	global_load_ushort v46, v[22:23], off
	global_load_ushort v47, v[24:25], off
	s_andn2_b64 s[44:45], s[2:3], exec
	s_or_b64 s[28:29], s[28:29], exec
	s_waitcnt vmcnt(0)
	v_cmp_le_i16_e64 s[2:3], v46, v47
	v_cmp_lt_i16_e32 vcc, v46, v47
	s_and_b64 s[2:3], s[2:3], s[40:41]
	s_or_b64 s[42:43], vcc, s[2:3]
	s_and_b64 s[2:3], s[42:43], exec
	v_cmp_eq_u16_e64 s[4:5], v46, v47
	s_or_b64 s[2:3], s[44:45], s[2:3]
	s_and_saveexec_b64 s[44:45], s[4:5]
	s_cbranch_execz .LBB627_194
; %bb.196:                              ;   in Loop: Header=BB627_195 Depth=2
	s_add_u32 s30, s30, -1
	s_addc_u32 s31, s31, -1
	s_cmp_eq_u64 s[30:31], 0
	s_cselect_b64 s[4:5], -1, 0
	s_andn2_b64 s[28:29], s[28:29], exec
	s_and_b64 s[4:5], s[4:5], exec
	v_lshl_add_u64 v[22:23], v[22:23], 0, 2
	v_lshl_add_u64 v[24:25], v[24:25], 0, 2
	s_andn2_b64 s[2:3], s[2:3], exec
	s_or_b64 s[28:29], s[28:29], s[4:5]
                                        ; implicit-def: $sgpr40_sgpr41
	s_branch .LBB627_194
.LBB627_197:
	s_or_b64 exec, exec, s[12:13]
.LBB627_198:
	s_or_b64 exec, exec, s[10:11]
	v_add_u32_e32 v22, v26, v42
	v_add_u32_e32 v23, v40, v41
	v_sub_u32_e32 v24, v22, v40
	v_cmp_le_u32_e32 vcc, v23, v26
	v_cmp_le_u32_e64 s[2:3], v24, v27
	s_or_b64 s[2:3], vcc, s[2:3]
	s_and_saveexec_b64 s[10:11], s[2:3]
	s_cbranch_execz .LBB627_289
; %bb.199:
	v_cmp_ge_u32_e32 vcc, v23, v26
	v_cmp_lt_u32_e64 s[2:3], v23, v26
                                        ; implicit-def: $vgpr2_vgpr3
	s_and_saveexec_b64 s[4:5], s[2:3]
; %bb.200:
	v_lshl_add_u32 v2, v40, 3, v39
	ds_read_b64 v[2:3], v2
; %bb.201:
	s_or_b64 exec, exec, s[4:5]
	v_cmp_ge_u32_e64 s[12:13], v24, v27
	v_cmp_lt_u32_e64 s[2:3], v24, v27
                                        ; implicit-def: $vgpr4_vgpr5
	s_and_saveexec_b64 s[4:5], s[2:3]
; %bb.202:
	v_lshl_add_u32 v4, v24, 3, v35
	ds_read_b64 v[4:5], v4
; %bb.203:
	s_or_b64 exec, exec, s[4:5]
	s_nor_b64 s[2:3], vcc, s[12:13]
	s_and_saveexec_b64 s[22:23], s[2:3]
	s_cbranch_execz .LBB627_212
; %bb.204:
	s_and_b64 vcc, exec, s[0:1]
	s_cbranch_vccnz .LBB627_210
; %bb.205:
	s_waitcnt lgkmcnt(0)
	v_mul_lo_u32 v8, v5, s36
	v_mul_lo_u32 v9, v4, s37
	v_mad_u64_u32 v[6:7], s[2:3], v4, s36, 0
	v_add3_u32 v7, v7, v9, v8
	v_mul_lo_u32 v10, v3, s36
	v_mul_lo_u32 v11, v2, s37
	v_mad_u64_u32 v[8:9], s[2:3], v2, s36, 0
	v_add3_u32 v9, v9, v11, v10
	v_lshl_add_u64 v[6:7], v[6:7], 1, s[38:39]
	v_lshl_add_u64 v[8:9], v[8:9], 1, s[38:39]
	s_mov_b64 s[24:25], 0
	s_mov_b64 s[30:31], s[36:37]
                                        ; implicit-def: $sgpr26_sgpr27
                                        ; implicit-def: $sgpr28_sgpr29
                                        ; implicit-def: $sgpr2_sgpr3
                                        ; implicit-def: $sgpr40_sgpr41
	s_branch .LBB627_207
.LBB627_206:                            ;   in Loop: Header=BB627_207 Depth=1
	s_or_b64 exec, exec, s[44:45]
	s_and_b64 s[4:5], exec, s[28:29]
	s_or_b64 s[24:25], s[4:5], s[24:25]
	s_andn2_b64 s[4:5], s[40:41], exec
	s_and_b64 s[40:41], s[42:43], exec
	s_or_b64 s[40:41], s[4:5], s[40:41]
	s_andn2_b64 s[4:5], s[26:27], exec
	s_and_b64 s[26:27], s[2:3], exec
	s_or_b64 s[26:27], s[4:5], s[26:27]
	s_andn2_b64 exec, exec, s[24:25]
	s_cbranch_execz .LBB627_209
.LBB627_207:                            ; =>This Inner Loop Header: Depth=1
	global_load_ushort v10, v[6:7], off
	global_load_ushort v11, v[8:9], off
	s_andn2_b64 s[44:45], s[2:3], exec
	s_or_b64 s[28:29], s[28:29], exec
	s_waitcnt vmcnt(0)
	v_cmp_le_i16_e64 s[2:3], v10, v11
	v_cmp_lt_i16_e32 vcc, v10, v11
	s_and_b64 s[2:3], s[2:3], s[40:41]
	s_or_b64 s[42:43], vcc, s[2:3]
	s_and_b64 s[2:3], s[42:43], exec
	v_cmp_eq_u16_e64 s[4:5], v10, v11
	s_or_b64 s[2:3], s[44:45], s[2:3]
	s_and_saveexec_b64 s[44:45], s[4:5]
	s_cbranch_execz .LBB627_206
; %bb.208:                              ;   in Loop: Header=BB627_207 Depth=1
	s_add_u32 s30, s30, -1
	s_addc_u32 s31, s31, -1
	s_cmp_eq_u64 s[30:31], 0
	s_cselect_b64 s[4:5], -1, 0
	s_andn2_b64 s[28:29], s[28:29], exec
	s_and_b64 s[4:5], s[4:5], exec
	v_lshl_add_u64 v[6:7], v[6:7], 0, 2
	v_lshl_add_u64 v[8:9], v[8:9], 0, 2
	s_andn2_b64 s[2:3], s[2:3], exec
	s_or_b64 s[28:29], s[28:29], s[4:5]
                                        ; implicit-def: $sgpr40_sgpr41
	s_branch .LBB627_206
.LBB627_209:
	s_or_b64 exec, exec, s[24:25]
	s_xor_b64 s[2:3], s[26:27], -1
	s_branch .LBB627_211
.LBB627_210:
	s_mov_b64 s[2:3], -1
.LBB627_211:
	s_andn2_b64 s[4:5], s[12:13], exec
	s_and_b64 s[2:3], s[2:3], exec
	s_or_b64 s[12:13], s[4:5], s[2:3]
.LBB627_212:
	s_or_b64 exec, exec, s[22:23]
	v_cndmask_b32_e64 v6, v24, v23, s[12:13]
	v_cndmask_b32_e64 v7, v27, v26, s[12:13]
	v_add_u32_e32 v8, 1, v6
	v_add_u32_e32 v6, -1, v7
	v_min_u32_e32 v6, v8, v6
	v_lshl_add_u32 v6, v6, 3, v35
	ds_read_b64 v[6:7], v6
	v_cndmask_b32_e64 v12, v8, v24, s[12:13]
	v_cndmask_b32_e64 v13, v23, v8, s[12:13]
	v_cmp_lt_u32_e32 vcc, v12, v27
	s_mov_b64 s[24:25], -1
	s_waitcnt lgkmcnt(0)
	v_cndmask_b32_e64 v14, v7, v5, s[12:13]
	v_cndmask_b32_e64 v15, v6, v4, s[12:13]
	;; [unrolled: 1-line block ×4, first 2 shown]
	s_mov_b64 s[22:23], -1
	s_and_saveexec_b64 s[26:27], vcc
	s_cbranch_execz .LBB627_223
; %bb.213:
	v_cmp_lt_u32_e32 vcc, v13, v26
	s_mov_b64 s[2:3], 0
	s_and_saveexec_b64 s[22:23], vcc
	s_cbranch_execz .LBB627_222
; %bb.214:
	s_and_b64 vcc, exec, s[0:1]
	s_cbranch_vccnz .LBB627_220
; %bb.215:
	v_mul_lo_u32 v8, v14, s36
	v_mul_lo_u32 v9, v15, s37
	v_mad_u64_u32 v[6:7], s[2:3], v15, s36, 0
	v_add3_u32 v7, v7, v9, v8
	v_mul_lo_u32 v10, v16, s36
	v_mul_lo_u32 v11, v22, s37
	v_mad_u64_u32 v[8:9], s[2:3], v22, s36, 0
	v_add3_u32 v9, v9, v11, v10
	v_lshl_add_u64 v[6:7], v[6:7], 1, s[38:39]
	v_lshl_add_u64 v[8:9], v[8:9], 1, s[38:39]
	s_mov_b64 s[28:29], 0
	s_mov_b64 s[42:43], s[36:37]
                                        ; implicit-def: $sgpr30_sgpr31
                                        ; implicit-def: $sgpr40_sgpr41
                                        ; implicit-def: $sgpr2_sgpr3
                                        ; implicit-def: $sgpr44_sgpr45
	s_branch .LBB627_217
.LBB627_216:                            ;   in Loop: Header=BB627_217 Depth=1
	s_or_b64 exec, exec, s[48:49]
	s_and_b64 s[4:5], exec, s[40:41]
	s_or_b64 s[28:29], s[4:5], s[28:29]
	s_andn2_b64 s[4:5], s[44:45], exec
	s_and_b64 s[44:45], s[46:47], exec
	s_or_b64 s[44:45], s[4:5], s[44:45]
	s_andn2_b64 s[4:5], s[30:31], exec
	s_and_b64 s[30:31], s[2:3], exec
	s_or_b64 s[30:31], s[4:5], s[30:31]
	s_andn2_b64 exec, exec, s[28:29]
	s_cbranch_execz .LBB627_219
.LBB627_217:                            ; =>This Inner Loop Header: Depth=1
	global_load_ushort v10, v[6:7], off
	global_load_ushort v11, v[8:9], off
	s_andn2_b64 s[48:49], s[2:3], exec
	s_or_b64 s[40:41], s[40:41], exec
	s_waitcnt vmcnt(0)
	v_cmp_le_i16_e64 s[2:3], v10, v11
	v_cmp_lt_i16_e32 vcc, v10, v11
	s_and_b64 s[2:3], s[2:3], s[44:45]
	s_or_b64 s[46:47], vcc, s[2:3]
	s_and_b64 s[2:3], s[46:47], exec
	v_cmp_eq_u16_e64 s[4:5], v10, v11
	s_or_b64 s[2:3], s[48:49], s[2:3]
	s_and_saveexec_b64 s[48:49], s[4:5]
	s_cbranch_execz .LBB627_216
; %bb.218:                              ;   in Loop: Header=BB627_217 Depth=1
	s_add_u32 s42, s42, -1
	s_addc_u32 s43, s43, -1
	s_cmp_eq_u64 s[42:43], 0
	s_cselect_b64 s[4:5], -1, 0
	s_andn2_b64 s[40:41], s[40:41], exec
	s_and_b64 s[4:5], s[4:5], exec
	v_lshl_add_u64 v[6:7], v[6:7], 0, 2
	v_lshl_add_u64 v[8:9], v[8:9], 0, 2
	s_andn2_b64 s[2:3], s[2:3], exec
	s_or_b64 s[40:41], s[40:41], s[4:5]
                                        ; implicit-def: $sgpr44_sgpr45
	s_branch .LBB627_216
.LBB627_219:
	s_or_b64 exec, exec, s[28:29]
	s_xor_b64 s[2:3], s[30:31], -1
	s_branch .LBB627_221
.LBB627_220:
	s_mov_b64 s[2:3], -1
.LBB627_221:
	s_and_b64 s[2:3], s[2:3], exec
.LBB627_222:
	s_or_b64 exec, exec, s[22:23]
	s_orn2_b64 s[22:23], s[2:3], exec
.LBB627_223:
	s_or_b64 exec, exec, s[26:27]
	v_cndmask_b32_e64 v6, v12, v13, s[22:23]
	v_cndmask_b32_e64 v7, v27, v26, s[22:23]
	v_add_u32_e32 v8, 1, v6
	v_add_u32_e32 v6, -1, v7
	v_min_u32_e32 v6, v8, v6
	v_lshl_add_u32 v6, v6, 3, v35
	ds_read_b64 v[6:7], v6
	v_cndmask_b32_e64 v39, v8, v12, s[22:23]
	v_cndmask_b32_e64 v40, v13, v8, s[22:23]
	v_cmp_lt_u32_e32 vcc, v39, v27
	s_waitcnt lgkmcnt(0)
	v_cndmask_b32_e64 v10, v7, v14, s[22:23]
	v_cndmask_b32_e64 v17, v6, v15, s[22:23]
	;; [unrolled: 1-line block ×4, first 2 shown]
	s_and_saveexec_b64 s[26:27], vcc
	s_cbranch_execz .LBB627_234
; %bb.224:
	v_cmp_lt_u32_e32 vcc, v40, v26
	s_mov_b64 s[2:3], 0
	s_and_saveexec_b64 s[24:25], vcc
	s_cbranch_execz .LBB627_233
; %bb.225:
	s_and_b64 vcc, exec, s[0:1]
	s_cbranch_vccnz .LBB627_231
; %bb.226:
	v_mul_lo_u32 v8, v10, s36
	v_mul_lo_u32 v9, v17, s37
	v_mad_u64_u32 v[6:7], s[2:3], v17, s36, 0
	v_add3_u32 v7, v7, v9, v8
	v_mul_lo_u32 v12, v11, s36
	v_mul_lo_u32 v13, v23, s37
	v_mad_u64_u32 v[8:9], s[2:3], v23, s36, 0
	v_add3_u32 v9, v9, v13, v12
	v_lshl_add_u64 v[6:7], v[6:7], 1, s[38:39]
	v_lshl_add_u64 v[8:9], v[8:9], 1, s[38:39]
	s_mov_b64 s[28:29], 0
	s_mov_b64 s[42:43], s[36:37]
                                        ; implicit-def: $sgpr30_sgpr31
                                        ; implicit-def: $sgpr40_sgpr41
                                        ; implicit-def: $sgpr2_sgpr3
                                        ; implicit-def: $sgpr44_sgpr45
	s_branch .LBB627_228
.LBB627_227:                            ;   in Loop: Header=BB627_228 Depth=1
	s_or_b64 exec, exec, s[48:49]
	s_and_b64 s[4:5], exec, s[40:41]
	s_or_b64 s[28:29], s[4:5], s[28:29]
	s_andn2_b64 s[4:5], s[44:45], exec
	s_and_b64 s[44:45], s[46:47], exec
	s_or_b64 s[44:45], s[4:5], s[44:45]
	s_andn2_b64 s[4:5], s[30:31], exec
	s_and_b64 s[30:31], s[2:3], exec
	s_or_b64 s[30:31], s[4:5], s[30:31]
	s_andn2_b64 exec, exec, s[28:29]
	s_cbranch_execz .LBB627_230
.LBB627_228:                            ; =>This Inner Loop Header: Depth=1
	global_load_ushort v12, v[6:7], off
	global_load_ushort v13, v[8:9], off
	s_andn2_b64 s[48:49], s[2:3], exec
	s_or_b64 s[40:41], s[40:41], exec
	s_waitcnt vmcnt(0)
	v_cmp_le_i16_e64 s[2:3], v12, v13
	v_cmp_lt_i16_e32 vcc, v12, v13
	s_and_b64 s[2:3], s[2:3], s[44:45]
	s_or_b64 s[46:47], vcc, s[2:3]
	s_and_b64 s[2:3], s[46:47], exec
	v_cmp_eq_u16_e64 s[4:5], v12, v13
	s_or_b64 s[2:3], s[48:49], s[2:3]
	s_and_saveexec_b64 s[48:49], s[4:5]
	s_cbranch_execz .LBB627_227
; %bb.229:                              ;   in Loop: Header=BB627_228 Depth=1
	s_add_u32 s42, s42, -1
	s_addc_u32 s43, s43, -1
	s_cmp_eq_u64 s[42:43], 0
	s_cselect_b64 s[4:5], -1, 0
	s_andn2_b64 s[40:41], s[40:41], exec
	s_and_b64 s[4:5], s[4:5], exec
	v_lshl_add_u64 v[6:7], v[6:7], 0, 2
	v_lshl_add_u64 v[8:9], v[8:9], 0, 2
	s_andn2_b64 s[2:3], s[2:3], exec
	s_or_b64 s[40:41], s[40:41], s[4:5]
                                        ; implicit-def: $sgpr44_sgpr45
	s_branch .LBB627_227
.LBB627_230:
	s_or_b64 exec, exec, s[28:29]
	s_xor_b64 s[2:3], s[30:31], -1
	s_branch .LBB627_232
.LBB627_231:
	s_mov_b64 s[2:3], -1
.LBB627_232:
	s_and_b64 s[2:3], s[2:3], exec
.LBB627_233:
	s_or_b64 exec, exec, s[24:25]
	s_orn2_b64 s[24:25], s[2:3], exec
.LBB627_234:
	s_or_b64 exec, exec, s[26:27]
	v_cndmask_b32_e64 v6, v39, v40, s[24:25]
	v_cndmask_b32_e64 v7, v27, v26, s[24:25]
	v_add_u32_e32 v8, 1, v6
	v_add_u32_e32 v6, -1, v7
	v_min_u32_e32 v6, v8, v6
	v_lshl_add_u32 v6, v6, 3, v35
	ds_read_b64 v[6:7], v6
	v_cndmask_b32_e64 v43, v8, v39, s[24:25]
	v_cndmask_b32_e64 v44, v40, v8, s[24:25]
	v_cmp_lt_u32_e32 vcc, v43, v27
	s_mov_b64 s[28:29], -1
	s_waitcnt lgkmcnt(0)
	v_cndmask_b32_e64 v12, v7, v10, s[24:25]
	v_cndmask_b32_e64 v24, v6, v17, s[24:25]
	;; [unrolled: 1-line block ×4, first 2 shown]
	s_mov_b64 s[26:27], -1
	s_and_saveexec_b64 s[30:31], vcc
	s_cbranch_execz .LBB627_245
; %bb.235:
	v_cmp_lt_u32_e32 vcc, v44, v26
	s_mov_b64 s[2:3], 0
	s_and_saveexec_b64 s[26:27], vcc
	s_cbranch_execz .LBB627_244
; %bb.236:
	s_and_b64 vcc, exec, s[0:1]
	s_cbranch_vccnz .LBB627_242
; %bb.237:
	v_mul_lo_u32 v8, v12, s36
	v_mul_lo_u32 v9, v24, s37
	v_mad_u64_u32 v[6:7], s[2:3], v24, s36, 0
	v_add3_u32 v7, v7, v9, v8
	v_mul_lo_u32 v39, v13, s36
	v_mul_lo_u32 v40, v25, s37
	v_mad_u64_u32 v[8:9], s[2:3], v25, s36, 0
	v_add3_u32 v9, v9, v40, v39
	v_lshl_add_u64 v[6:7], v[6:7], 1, s[38:39]
	v_lshl_add_u64 v[8:9], v[8:9], 1, s[38:39]
	s_mov_b64 s[40:41], 0
	s_mov_b64 s[46:47], s[36:37]
                                        ; implicit-def: $sgpr42_sgpr43
                                        ; implicit-def: $sgpr44_sgpr45
                                        ; implicit-def: $sgpr2_sgpr3
                                        ; implicit-def: $sgpr48_sgpr49
	s_branch .LBB627_239
.LBB627_238:                            ;   in Loop: Header=BB627_239 Depth=1
	s_or_b64 exec, exec, s[52:53]
	s_and_b64 s[4:5], exec, s[44:45]
	s_or_b64 s[40:41], s[4:5], s[40:41]
	s_andn2_b64 s[4:5], s[48:49], exec
	s_and_b64 s[48:49], s[50:51], exec
	s_or_b64 s[48:49], s[4:5], s[48:49]
	s_andn2_b64 s[4:5], s[42:43], exec
	s_and_b64 s[42:43], s[2:3], exec
	s_or_b64 s[42:43], s[4:5], s[42:43]
	s_andn2_b64 exec, exec, s[40:41]
	s_cbranch_execz .LBB627_241
.LBB627_239:                            ; =>This Inner Loop Header: Depth=1
	global_load_ushort v39, v[6:7], off
	global_load_ushort v40, v[8:9], off
	s_andn2_b64 s[52:53], s[2:3], exec
	s_or_b64 s[44:45], s[44:45], exec
	s_waitcnt vmcnt(0)
	v_cmp_le_i16_e64 s[2:3], v39, v40
	v_cmp_lt_i16_e32 vcc, v39, v40
	s_and_b64 s[2:3], s[2:3], s[48:49]
	s_or_b64 s[50:51], vcc, s[2:3]
	s_and_b64 s[2:3], s[50:51], exec
	v_cmp_eq_u16_e64 s[4:5], v39, v40
	s_or_b64 s[2:3], s[52:53], s[2:3]
	s_and_saveexec_b64 s[52:53], s[4:5]
	s_cbranch_execz .LBB627_238
; %bb.240:                              ;   in Loop: Header=BB627_239 Depth=1
	s_add_u32 s46, s46, -1
	s_addc_u32 s47, s47, -1
	s_cmp_eq_u64 s[46:47], 0
	s_cselect_b64 s[4:5], -1, 0
	s_andn2_b64 s[44:45], s[44:45], exec
	s_and_b64 s[4:5], s[4:5], exec
	v_lshl_add_u64 v[6:7], v[6:7], 0, 2
	v_lshl_add_u64 v[8:9], v[8:9], 0, 2
	s_andn2_b64 s[2:3], s[2:3], exec
	s_or_b64 s[44:45], s[44:45], s[4:5]
                                        ; implicit-def: $sgpr48_sgpr49
	s_branch .LBB627_238
.LBB627_241:
	s_or_b64 exec, exec, s[40:41]
	s_xor_b64 s[2:3], s[42:43], -1
	s_branch .LBB627_243
.LBB627_242:
	s_mov_b64 s[2:3], -1
.LBB627_243:
	s_and_b64 s[2:3], s[2:3], exec
.LBB627_244:
	s_or_b64 exec, exec, s[26:27]
	s_orn2_b64 s[26:27], s[2:3], exec
.LBB627_245:
	s_or_b64 exec, exec, s[30:31]
	v_cndmask_b32_e64 v6, v43, v44, s[26:27]
	v_cndmask_b32_e64 v7, v27, v26, s[26:27]
	v_add_u32_e32 v8, 1, v6
	v_add_u32_e32 v6, -1, v7
	v_min_u32_e32 v6, v8, v6
	v_lshl_add_u32 v6, v6, 3, v35
	ds_read_b64 v[6:7], v6
	v_cndmask_b32_e64 v47, v8, v43, s[26:27]
	v_cndmask_b32_e64 v48, v44, v8, s[26:27]
	v_cmp_lt_u32_e32 vcc, v47, v27
	s_waitcnt lgkmcnt(0)
	v_cndmask_b32_e64 v39, v7, v12, s[26:27]
	v_cndmask_b32_e64 v40, v6, v24, s[26:27]
	v_cndmask_b32_e64 v41, v13, v7, s[26:27]
	v_cndmask_b32_e64 v42, v25, v6, s[26:27]
	s_and_saveexec_b64 s[30:31], vcc
	s_cbranch_execz .LBB627_256
; %bb.246:
	v_cmp_lt_u32_e32 vcc, v48, v26
	s_mov_b64 s[2:3], 0
	s_and_saveexec_b64 s[28:29], vcc
	s_cbranch_execz .LBB627_255
; %bb.247:
	s_and_b64 vcc, exec, s[0:1]
	s_cbranch_vccnz .LBB627_253
; %bb.248:
	v_mul_lo_u32 v8, v39, s36
	v_mul_lo_u32 v9, v40, s37
	v_mad_u64_u32 v[6:7], s[2:3], v40, s36, 0
	v_add3_u32 v7, v7, v9, v8
	v_mul_lo_u32 v43, v41, s36
	v_mul_lo_u32 v44, v42, s37
	v_mad_u64_u32 v[8:9], s[2:3], v42, s36, 0
	v_add3_u32 v9, v9, v44, v43
	v_lshl_add_u64 v[6:7], v[6:7], 1, s[38:39]
	v_lshl_add_u64 v[8:9], v[8:9], 1, s[38:39]
	s_mov_b64 s[40:41], 0
	s_mov_b64 s[46:47], s[36:37]
                                        ; implicit-def: $sgpr42_sgpr43
                                        ; implicit-def: $sgpr44_sgpr45
                                        ; implicit-def: $sgpr2_sgpr3
                                        ; implicit-def: $sgpr48_sgpr49
	s_branch .LBB627_250
.LBB627_249:                            ;   in Loop: Header=BB627_250 Depth=1
	s_or_b64 exec, exec, s[52:53]
	s_and_b64 s[4:5], exec, s[44:45]
	s_or_b64 s[40:41], s[4:5], s[40:41]
	s_andn2_b64 s[4:5], s[48:49], exec
	s_and_b64 s[48:49], s[50:51], exec
	s_or_b64 s[48:49], s[4:5], s[48:49]
	s_andn2_b64 s[4:5], s[42:43], exec
	s_and_b64 s[42:43], s[2:3], exec
	s_or_b64 s[42:43], s[4:5], s[42:43]
	s_andn2_b64 exec, exec, s[40:41]
	s_cbranch_execz .LBB627_252
.LBB627_250:                            ; =>This Inner Loop Header: Depth=1
	global_load_ushort v43, v[6:7], off
	global_load_ushort v44, v[8:9], off
	s_andn2_b64 s[52:53], s[2:3], exec
	s_or_b64 s[44:45], s[44:45], exec
	s_waitcnt vmcnt(0)
	v_cmp_le_i16_e64 s[2:3], v43, v44
	v_cmp_lt_i16_e32 vcc, v43, v44
	s_and_b64 s[2:3], s[2:3], s[48:49]
	s_or_b64 s[50:51], vcc, s[2:3]
	s_and_b64 s[2:3], s[50:51], exec
	v_cmp_eq_u16_e64 s[4:5], v43, v44
	s_or_b64 s[2:3], s[52:53], s[2:3]
	s_and_saveexec_b64 s[52:53], s[4:5]
	s_cbranch_execz .LBB627_249
; %bb.251:                              ;   in Loop: Header=BB627_250 Depth=1
	s_add_u32 s46, s46, -1
	s_addc_u32 s47, s47, -1
	s_cmp_eq_u64 s[46:47], 0
	s_cselect_b64 s[4:5], -1, 0
	s_andn2_b64 s[44:45], s[44:45], exec
	s_and_b64 s[4:5], s[4:5], exec
	v_lshl_add_u64 v[6:7], v[6:7], 0, 2
	v_lshl_add_u64 v[8:9], v[8:9], 0, 2
	s_andn2_b64 s[2:3], s[2:3], exec
	s_or_b64 s[44:45], s[44:45], s[4:5]
                                        ; implicit-def: $sgpr48_sgpr49
	s_branch .LBB627_249
.LBB627_252:
	s_or_b64 exec, exec, s[40:41]
	s_xor_b64 s[2:3], s[42:43], -1
	s_branch .LBB627_254
.LBB627_253:
	s_mov_b64 s[2:3], -1
.LBB627_254:
	s_and_b64 s[2:3], s[2:3], exec
.LBB627_255:
	s_or_b64 exec, exec, s[28:29]
	s_orn2_b64 s[28:29], s[2:3], exec
.LBB627_256:
	s_or_b64 exec, exec, s[30:31]
	v_cndmask_b32_e64 v6, v47, v48, s[28:29]
	v_cndmask_b32_e64 v7, v27, v26, s[28:29]
	v_add_u32_e32 v8, 1, v6
	v_add_u32_e32 v6, -1, v7
	v_min_u32_e32 v6, v8, v6
	v_lshl_add_u32 v6, v6, 3, v35
	ds_read_b64 v[6:7], v6
	v_cndmask_b32_e64 v49, v8, v47, s[28:29]
	v_cndmask_b32_e64 v53, v48, v8, s[28:29]
	v_cmp_lt_u32_e32 vcc, v49, v27
	s_mov_b64 s[30:31], -1
	s_waitcnt lgkmcnt(0)
	v_cndmask_b32_e64 v43, v7, v39, s[28:29]
	v_cndmask_b32_e64 v44, v6, v40, s[28:29]
	;; [unrolled: 1-line block ×4, first 2 shown]
	s_mov_b64 s[40:41], -1
	s_and_saveexec_b64 s[42:43], vcc
	s_cbranch_execz .LBB627_267
; %bb.257:
	v_cmp_lt_u32_e32 vcc, v53, v26
	s_mov_b64 s[2:3], 0
	s_and_saveexec_b64 s[40:41], vcc
	s_cbranch_execz .LBB627_266
; %bb.258:
	s_and_b64 vcc, exec, s[0:1]
	s_cbranch_vccnz .LBB627_264
; %bb.259:
	v_mul_lo_u32 v8, v43, s36
	v_mul_lo_u32 v9, v44, s37
	v_mad_u64_u32 v[6:7], s[2:3], v44, s36, 0
	v_add3_u32 v7, v7, v9, v8
	v_mul_lo_u32 v47, v45, s36
	v_mul_lo_u32 v48, v46, s37
	v_mad_u64_u32 v[8:9], s[2:3], v46, s36, 0
	v_add3_u32 v9, v9, v48, v47
	v_lshl_add_u64 v[6:7], v[6:7], 1, s[38:39]
	v_lshl_add_u64 v[8:9], v[8:9], 1, s[38:39]
	s_mov_b64 s[44:45], 0
	s_mov_b64 s[50:51], s[36:37]
                                        ; implicit-def: $sgpr46_sgpr47
                                        ; implicit-def: $sgpr48_sgpr49
                                        ; implicit-def: $sgpr2_sgpr3
                                        ; implicit-def: $sgpr52_sgpr53
	s_branch .LBB627_261
.LBB627_260:                            ;   in Loop: Header=BB627_261 Depth=1
	s_or_b64 exec, exec, s[56:57]
	s_and_b64 s[4:5], exec, s[48:49]
	s_or_b64 s[44:45], s[4:5], s[44:45]
	s_andn2_b64 s[4:5], s[52:53], exec
	s_and_b64 s[52:53], s[54:55], exec
	s_or_b64 s[52:53], s[4:5], s[52:53]
	s_andn2_b64 s[4:5], s[46:47], exec
	s_and_b64 s[46:47], s[2:3], exec
	s_or_b64 s[46:47], s[4:5], s[46:47]
	s_andn2_b64 exec, exec, s[44:45]
	s_cbranch_execz .LBB627_263
.LBB627_261:                            ; =>This Inner Loop Header: Depth=1
	global_load_ushort v47, v[6:7], off
	global_load_ushort v48, v[8:9], off
	s_andn2_b64 s[56:57], s[2:3], exec
	s_or_b64 s[48:49], s[48:49], exec
	s_waitcnt vmcnt(0)
	v_cmp_le_i16_e64 s[2:3], v47, v48
	v_cmp_lt_i16_e32 vcc, v47, v48
	s_and_b64 s[2:3], s[2:3], s[52:53]
	s_or_b64 s[54:55], vcc, s[2:3]
	s_and_b64 s[2:3], s[54:55], exec
	v_cmp_eq_u16_e64 s[4:5], v47, v48
	s_or_b64 s[2:3], s[56:57], s[2:3]
	s_and_saveexec_b64 s[56:57], s[4:5]
	s_cbranch_execz .LBB627_260
; %bb.262:                              ;   in Loop: Header=BB627_261 Depth=1
	s_add_u32 s50, s50, -1
	s_addc_u32 s51, s51, -1
	s_cmp_eq_u64 s[50:51], 0
	s_cselect_b64 s[4:5], -1, 0
	s_andn2_b64 s[48:49], s[48:49], exec
	s_and_b64 s[4:5], s[4:5], exec
	v_lshl_add_u64 v[6:7], v[6:7], 0, 2
	v_lshl_add_u64 v[8:9], v[8:9], 0, 2
	s_andn2_b64 s[2:3], s[2:3], exec
	s_or_b64 s[48:49], s[48:49], s[4:5]
                                        ; implicit-def: $sgpr52_sgpr53
	s_branch .LBB627_260
.LBB627_263:
	s_or_b64 exec, exec, s[44:45]
	s_xor_b64 s[2:3], s[46:47], -1
	s_branch .LBB627_265
.LBB627_264:
	s_mov_b64 s[2:3], -1
.LBB627_265:
	s_and_b64 s[2:3], s[2:3], exec
.LBB627_266:
	s_or_b64 exec, exec, s[40:41]
	s_orn2_b64 s[40:41], s[2:3], exec
.LBB627_267:
	s_or_b64 exec, exec, s[42:43]
	v_cndmask_b32_e64 v6, v49, v53, s[40:41]
	v_cndmask_b32_e64 v7, v27, v26, s[40:41]
	v_add_u32_e32 v8, 1, v6
	v_add_u32_e32 v6, -1, v7
	v_min_u32_e32 v6, v8, v6
	v_lshl_add_u32 v6, v6, 3, v35
	ds_read_b64 v[6:7], v6
	v_cndmask_b32_e64 v50, v8, v49, s[40:41]
	v_cndmask_b32_e64 v49, v53, v8, s[40:41]
	v_cmp_lt_u32_e32 vcc, v50, v27
	s_waitcnt lgkmcnt(0)
	v_cndmask_b32_e64 v47, v7, v43, s[40:41]
	v_cndmask_b32_e64 v48, v6, v44, s[40:41]
	;; [unrolled: 1-line block ×4, first 2 shown]
	s_and_saveexec_b64 s[42:43], vcc
	s_cbranch_execz .LBB627_278
; %bb.268:
	v_cmp_lt_u32_e32 vcc, v49, v26
	s_mov_b64 s[2:3], 0
	s_and_saveexec_b64 s[30:31], vcc
	s_cbranch_execz .LBB627_277
; %bb.269:
	s_and_b64 vcc, exec, s[0:1]
	s_cbranch_vccnz .LBB627_275
; %bb.270:
	v_mul_lo_u32 v8, v47, s36
	v_mul_lo_u32 v9, v48, s37
	v_mad_u64_u32 v[6:7], s[2:3], v48, s36, 0
	v_add3_u32 v7, v7, v9, v8
	v_mul_lo_u32 v53, v51, s36
	v_mul_lo_u32 v54, v52, s37
	v_mad_u64_u32 v[8:9], s[2:3], v52, s36, 0
	v_add3_u32 v9, v9, v54, v53
	v_lshl_add_u64 v[6:7], v[6:7], 1, s[38:39]
	v_lshl_add_u64 v[8:9], v[8:9], 1, s[38:39]
	s_mov_b64 s[44:45], 0
	s_mov_b64 s[50:51], s[36:37]
                                        ; implicit-def: $sgpr46_sgpr47
                                        ; implicit-def: $sgpr48_sgpr49
                                        ; implicit-def: $sgpr2_sgpr3
                                        ; implicit-def: $sgpr52_sgpr53
	s_branch .LBB627_272
.LBB627_271:                            ;   in Loop: Header=BB627_272 Depth=1
	s_or_b64 exec, exec, s[56:57]
	s_and_b64 s[4:5], exec, s[48:49]
	s_or_b64 s[44:45], s[4:5], s[44:45]
	s_andn2_b64 s[4:5], s[52:53], exec
	s_and_b64 s[52:53], s[54:55], exec
	s_or_b64 s[52:53], s[4:5], s[52:53]
	s_andn2_b64 s[4:5], s[46:47], exec
	s_and_b64 s[46:47], s[2:3], exec
	s_or_b64 s[46:47], s[4:5], s[46:47]
	s_andn2_b64 exec, exec, s[44:45]
	s_cbranch_execz .LBB627_274
.LBB627_272:                            ; =>This Inner Loop Header: Depth=1
	global_load_ushort v53, v[6:7], off
	global_load_ushort v54, v[8:9], off
	s_andn2_b64 s[56:57], s[2:3], exec
	s_or_b64 s[48:49], s[48:49], exec
	s_waitcnt vmcnt(0)
	v_cmp_le_i16_e64 s[2:3], v53, v54
	v_cmp_lt_i16_e32 vcc, v53, v54
	s_and_b64 s[2:3], s[2:3], s[52:53]
	s_or_b64 s[54:55], vcc, s[2:3]
	s_and_b64 s[2:3], s[54:55], exec
	v_cmp_eq_u16_e64 s[4:5], v53, v54
	s_or_b64 s[2:3], s[56:57], s[2:3]
	s_and_saveexec_b64 s[56:57], s[4:5]
	s_cbranch_execz .LBB627_271
; %bb.273:                              ;   in Loop: Header=BB627_272 Depth=1
	s_add_u32 s50, s50, -1
	s_addc_u32 s51, s51, -1
	s_cmp_eq_u64 s[50:51], 0
	s_cselect_b64 s[4:5], -1, 0
	s_andn2_b64 s[48:49], s[48:49], exec
	s_and_b64 s[4:5], s[4:5], exec
	v_lshl_add_u64 v[6:7], v[6:7], 0, 2
	v_lshl_add_u64 v[8:9], v[8:9], 0, 2
	s_andn2_b64 s[2:3], s[2:3], exec
	s_or_b64 s[48:49], s[48:49], s[4:5]
                                        ; implicit-def: $sgpr52_sgpr53
	s_branch .LBB627_271
.LBB627_274:
	s_or_b64 exec, exec, s[44:45]
	s_xor_b64 s[2:3], s[46:47], -1
	s_branch .LBB627_276
.LBB627_275:
	s_mov_b64 s[2:3], -1
.LBB627_276:
	s_and_b64 s[2:3], s[2:3], exec
.LBB627_277:
	s_or_b64 exec, exec, s[30:31]
	s_orn2_b64 s[30:31], s[2:3], exec
.LBB627_278:
	s_or_b64 exec, exec, s[42:43]
	v_cndmask_b32_e64 v11, v10, v11, s[24:25]
	v_cndmask_b32_e64 v10, v17, v23, s[24:25]
	;; [unrolled: 1-line block ×8, first 2 shown]
	v_add_u32_e32 v24, 1, v14
	v_add_u32_e32 v14, -1, v15
	v_min_u32_e32 v14, v24, v14
	v_lshl_add_u32 v14, v14, 3, v35
	ds_read_b64 v[22:23], v14
	v_cndmask_b32_e64 v25, v24, v50, s[30:31]
	v_cndmask_b32_e64 v9, v43, v45, s[40:41]
	;; [unrolled: 1-line block ×9, first 2 shown]
	s_waitcnt lgkmcnt(0)
	v_cndmask_b32_e64 v5, v51, v23, s[30:31]
	v_cndmask_b32_e64 v4, v52, v22, s[30:31]
	v_cmp_lt_u32_e32 vcc, v25, v27
	s_and_saveexec_b64 s[12:13], vcc
	s_cbranch_execz .LBB627_288
; %bb.279:
	v_cndmask_b32_e64 v24, v49, v24, s[30:31]
	v_cndmask_b32_e64 v23, v23, v47, s[30:31]
	;; [unrolled: 1-line block ×3, first 2 shown]
	v_cmp_lt_u32_e32 vcc, v24, v26
	s_and_saveexec_b64 s[22:23], vcc
	s_cbranch_execz .LBB627_287
; %bb.280:
	s_and_b64 vcc, exec, s[0:1]
	s_cbranch_vccnz .LBB627_286
; %bb.281:
	v_mul_lo_u32 v26, v23, s36
	v_mul_lo_u32 v27, v22, s37
	v_mad_u64_u32 v[24:25], s[2:3], v22, s36, 0
	v_add3_u32 v25, v25, v27, v26
	v_mul_lo_u32 v39, v5, s36
	v_mul_lo_u32 v40, v4, s37
	v_mad_u64_u32 v[26:27], s[2:3], v4, s36, 0
	v_add3_u32 v27, v27, v40, v39
	v_lshl_add_u64 v[24:25], v[24:25], 1, s[38:39]
	v_lshl_add_u64 v[26:27], v[26:27], 1, s[38:39]
	s_mov_b64 s[24:25], 0
	s_mov_b64 s[30:31], s[36:37]
                                        ; implicit-def: $sgpr26_sgpr27
                                        ; implicit-def: $sgpr28_sgpr29
                                        ; implicit-def: $sgpr2_sgpr3
                                        ; implicit-def: $sgpr40_sgpr41
	s_branch .LBB627_283
.LBB627_282:                            ;   in Loop: Header=BB627_283 Depth=1
	s_or_b64 exec, exec, s[44:45]
	s_and_b64 s[4:5], exec, s[28:29]
	s_or_b64 s[24:25], s[4:5], s[24:25]
	s_andn2_b64 s[4:5], s[40:41], exec
	s_and_b64 s[40:41], s[42:43], exec
	s_or_b64 s[40:41], s[4:5], s[40:41]
	s_andn2_b64 s[4:5], s[26:27], exec
	s_and_b64 s[26:27], s[2:3], exec
	s_or_b64 s[26:27], s[4:5], s[26:27]
	s_andn2_b64 exec, exec, s[24:25]
	s_cbranch_execz .LBB627_285
.LBB627_283:                            ; =>This Inner Loop Header: Depth=1
	global_load_ushort v39, v[24:25], off
	global_load_ushort v40, v[26:27], off
	s_andn2_b64 s[44:45], s[2:3], exec
	s_or_b64 s[28:29], s[28:29], exec
	s_waitcnt vmcnt(0)
	v_cmp_le_i16_e64 s[2:3], v39, v40
	v_cmp_lt_i16_e32 vcc, v39, v40
	s_and_b64 s[2:3], s[2:3], s[40:41]
	s_or_b64 s[42:43], vcc, s[2:3]
	s_and_b64 s[2:3], s[42:43], exec
	v_cmp_eq_u16_e64 s[4:5], v39, v40
	s_or_b64 s[2:3], s[44:45], s[2:3]
	s_and_saveexec_b64 s[44:45], s[4:5]
	s_cbranch_execz .LBB627_282
; %bb.284:                              ;   in Loop: Header=BB627_283 Depth=1
	s_add_u32 s30, s30, -1
	s_addc_u32 s31, s31, -1
	s_cmp_eq_u64 s[30:31], 0
	s_cselect_b64 s[4:5], -1, 0
	s_andn2_b64 s[28:29], s[28:29], exec
	s_and_b64 s[4:5], s[4:5], exec
	v_lshl_add_u64 v[24:25], v[24:25], 0, 2
	v_lshl_add_u64 v[26:27], v[26:27], 0, 2
	s_andn2_b64 s[2:3], s[2:3], exec
	s_or_b64 s[28:29], s[28:29], s[4:5]
                                        ; implicit-def: $sgpr40_sgpr41
	s_branch .LBB627_282
.LBB627_285:
	s_or_b64 exec, exec, s[24:25]
	v_cndmask_b32_e64 v5, v5, v23, s[26:27]
	v_cndmask_b32_e64 v4, v4, v22, s[26:27]
.LBB627_286:
	v_mov_b64_e32 v[22:23], v[4:5]
.LBB627_287:
	s_or_b64 exec, exec, s[22:23]
	v_mov_b64_e32 v[4:5], v[22:23]
.LBB627_288:
	s_or_b64 exec, exec, s[12:13]
.LBB627_289:
	s_or_b64 exec, exec, s[10:11]
	v_and_b32_e32 v41, 0x3e0, v37
	v_or_b32_e32 v22, 16, v41
	v_min_u32_e32 v26, v36, v22
	v_add_u32_e32 v22, 16, v26
	v_min_u32_e32 v27, v36, v22
	v_and_b32_e32 v22, 24, v37
	v_min_u32_e32 v42, v36, v22
	v_sub_u32_e32 v22, v26, v41
	v_sub_u32_e32 v23, v27, v26
	v_sub_u32_e64 v40, v42, v23 clamp
	v_min_u32_e32 v43, v42, v22
	v_lshl_add_u32 v39, v41, 3, v35
	v_cmp_lt_u32_e32 vcc, v40, v43
	; wave barrier
	ds_write_b128 v38, v[14:17]
	ds_write_b128 v38, v[10:13] offset:16
	ds_write_b128 v38, v[6:9] offset:32
	;; [unrolled: 1-line block ×3, first 2 shown]
	; wave barrier
	s_and_saveexec_b64 s[10:11], vcc
	s_cbranch_execz .LBB627_299
; %bb.290:
	v_lshlrev_b32_e32 v22, 3, v26
	v_lshlrev_b32_e32 v23, 3, v42
	v_add3_u32 v44, v35, v22, v23
	s_lshl_b64 s[22:23], s[36:37], 1
	s_mov_b64 s[12:13], 0
	s_branch .LBB627_293
.LBB627_291:                            ;   in Loop: Header=BB627_293 Depth=1
	s_or_b64 exec, exec, s[26:27]
.LBB627_292:                            ;   in Loop: Header=BB627_293 Depth=1
	v_add_u32_e32 v22, 1, v45
	v_cndmask_b32_e64 v43, v43, v45, s[24:25]
	v_cndmask_b32_e64 v40, v22, v40, s[24:25]
	v_cmp_ge_u32_e32 vcc, v40, v43
	s_or_b64 s[12:13], vcc, s[12:13]
	s_andn2_b64 exec, exec, s[12:13]
	s_cbranch_execz .LBB627_298
.LBB627_293:                            ; =>This Loop Header: Depth=1
                                        ;     Child Loop BB627_296 Depth 2
	v_add_u32_e32 v22, v43, v40
	v_lshrrev_b32_e32 v45, 1, v22
	s_and_b64 vcc, exec, s[0:1]
	s_mov_b64 s[24:25], 0
	s_cbranch_vccnz .LBB627_292
; %bb.294:                              ;   in Loop: Header=BB627_293 Depth=1
	v_not_b32_e32 v22, v45
	v_lshl_add_u32 v22, v22, 3, v44
	ds_read_b64 v[22:23], v22
	v_lshl_add_u32 v46, v45, 3, v39
	ds_read_b64 v[46:47], v46
	v_mov_b64_e32 v[24:25], s[38:39]
	s_mov_b64 s[26:27], 0
	s_waitcnt lgkmcnt(1)
	v_mul_lo_u32 v48, s22, v23
	v_mul_lo_u32 v49, s23, v22
	v_mad_u64_u32 v[22:23], s[2:3], s22, v22, v[24:25]
	v_add3_u32 v23, v49, v23, v48
	s_waitcnt lgkmcnt(0)
	v_mul_lo_u32 v47, s22, v47
	v_mul_lo_u32 v48, s23, v46
	v_mad_u64_u32 v[24:25], s[2:3], s22, v46, v[24:25]
	v_add3_u32 v25, v48, v25, v47
	s_mov_b64 s[30:31], s[36:37]
                                        ; implicit-def: $sgpr24_sgpr25
                                        ; implicit-def: $sgpr28_sgpr29
                                        ; implicit-def: $sgpr2_sgpr3
                                        ; implicit-def: $sgpr40_sgpr41
	s_branch .LBB627_296
.LBB627_295:                            ;   in Loop: Header=BB627_296 Depth=2
	s_or_b64 exec, exec, s[44:45]
	s_and_b64 s[4:5], exec, s[28:29]
	s_or_b64 s[26:27], s[4:5], s[26:27]
	s_andn2_b64 s[4:5], s[40:41], exec
	s_and_b64 s[40:41], s[42:43], exec
	s_or_b64 s[40:41], s[4:5], s[40:41]
	s_andn2_b64 s[4:5], s[24:25], exec
	s_and_b64 s[24:25], s[2:3], exec
	s_or_b64 s[24:25], s[4:5], s[24:25]
	s_andn2_b64 exec, exec, s[26:27]
	s_cbranch_execz .LBB627_291
.LBB627_296:                            ;   Parent Loop BB627_293 Depth=1
                                        ; =>  This Inner Loop Header: Depth=2
	global_load_ushort v46, v[22:23], off
	global_load_ushort v47, v[24:25], off
	s_andn2_b64 s[44:45], s[2:3], exec
	s_or_b64 s[28:29], s[28:29], exec
	s_waitcnt vmcnt(0)
	v_cmp_le_i16_e64 s[2:3], v46, v47
	v_cmp_lt_i16_e32 vcc, v46, v47
	s_and_b64 s[2:3], s[2:3], s[40:41]
	s_or_b64 s[42:43], vcc, s[2:3]
	s_and_b64 s[2:3], s[42:43], exec
	v_cmp_eq_u16_e64 s[4:5], v46, v47
	s_or_b64 s[2:3], s[44:45], s[2:3]
	s_and_saveexec_b64 s[44:45], s[4:5]
	s_cbranch_execz .LBB627_295
; %bb.297:                              ;   in Loop: Header=BB627_296 Depth=2
	s_add_u32 s30, s30, -1
	s_addc_u32 s31, s31, -1
	s_cmp_eq_u64 s[30:31], 0
	s_cselect_b64 s[4:5], -1, 0
	s_andn2_b64 s[28:29], s[28:29], exec
	s_and_b64 s[4:5], s[4:5], exec
	v_lshl_add_u64 v[22:23], v[22:23], 0, 2
	v_lshl_add_u64 v[24:25], v[24:25], 0, 2
	s_andn2_b64 s[2:3], s[2:3], exec
	s_or_b64 s[28:29], s[28:29], s[4:5]
                                        ; implicit-def: $sgpr40_sgpr41
	s_branch .LBB627_295
.LBB627_298:
	s_or_b64 exec, exec, s[12:13]
.LBB627_299:
	s_or_b64 exec, exec, s[10:11]
	v_add_u32_e32 v22, v26, v42
	v_add_u32_e32 v23, v40, v41
	v_sub_u32_e32 v24, v22, v40
	v_cmp_le_u32_e32 vcc, v23, v26
	v_cmp_le_u32_e64 s[2:3], v24, v27
	s_or_b64 s[2:3], vcc, s[2:3]
	s_and_saveexec_b64 s[10:11], s[2:3]
	s_cbranch_execz .LBB627_390
; %bb.300:
	v_cmp_ge_u32_e32 vcc, v23, v26
	v_cmp_lt_u32_e64 s[2:3], v23, v26
                                        ; implicit-def: $vgpr2_vgpr3
	s_and_saveexec_b64 s[4:5], s[2:3]
; %bb.301:
	v_lshl_add_u32 v2, v40, 3, v39
	ds_read_b64 v[2:3], v2
; %bb.302:
	s_or_b64 exec, exec, s[4:5]
	v_cmp_ge_u32_e64 s[12:13], v24, v27
	v_cmp_lt_u32_e64 s[2:3], v24, v27
                                        ; implicit-def: $vgpr4_vgpr5
	s_and_saveexec_b64 s[4:5], s[2:3]
; %bb.303:
	v_lshl_add_u32 v4, v24, 3, v35
	ds_read_b64 v[4:5], v4
; %bb.304:
	s_or_b64 exec, exec, s[4:5]
	s_nor_b64 s[2:3], vcc, s[12:13]
	s_and_saveexec_b64 s[22:23], s[2:3]
	s_cbranch_execz .LBB627_313
; %bb.305:
	s_and_b64 vcc, exec, s[0:1]
	s_cbranch_vccnz .LBB627_311
; %bb.306:
	s_waitcnt lgkmcnt(0)
	v_mul_lo_u32 v8, v5, s36
	v_mul_lo_u32 v9, v4, s37
	v_mad_u64_u32 v[6:7], s[2:3], v4, s36, 0
	v_add3_u32 v7, v7, v9, v8
	v_mul_lo_u32 v10, v3, s36
	v_mul_lo_u32 v11, v2, s37
	v_mad_u64_u32 v[8:9], s[2:3], v2, s36, 0
	v_add3_u32 v9, v9, v11, v10
	v_lshl_add_u64 v[6:7], v[6:7], 1, s[38:39]
	v_lshl_add_u64 v[8:9], v[8:9], 1, s[38:39]
	s_mov_b64 s[24:25], 0
	s_mov_b64 s[30:31], s[36:37]
                                        ; implicit-def: $sgpr26_sgpr27
                                        ; implicit-def: $sgpr28_sgpr29
                                        ; implicit-def: $sgpr2_sgpr3
                                        ; implicit-def: $sgpr40_sgpr41
	s_branch .LBB627_308
.LBB627_307:                            ;   in Loop: Header=BB627_308 Depth=1
	s_or_b64 exec, exec, s[44:45]
	s_and_b64 s[4:5], exec, s[28:29]
	s_or_b64 s[24:25], s[4:5], s[24:25]
	s_andn2_b64 s[4:5], s[40:41], exec
	s_and_b64 s[40:41], s[42:43], exec
	s_or_b64 s[40:41], s[4:5], s[40:41]
	s_andn2_b64 s[4:5], s[26:27], exec
	s_and_b64 s[26:27], s[2:3], exec
	s_or_b64 s[26:27], s[4:5], s[26:27]
	s_andn2_b64 exec, exec, s[24:25]
	s_cbranch_execz .LBB627_310
.LBB627_308:                            ; =>This Inner Loop Header: Depth=1
	global_load_ushort v10, v[6:7], off
	global_load_ushort v11, v[8:9], off
	s_andn2_b64 s[44:45], s[2:3], exec
	s_or_b64 s[28:29], s[28:29], exec
	s_waitcnt vmcnt(0)
	v_cmp_le_i16_e64 s[2:3], v10, v11
	v_cmp_lt_i16_e32 vcc, v10, v11
	s_and_b64 s[2:3], s[2:3], s[40:41]
	s_or_b64 s[42:43], vcc, s[2:3]
	s_and_b64 s[2:3], s[42:43], exec
	v_cmp_eq_u16_e64 s[4:5], v10, v11
	s_or_b64 s[2:3], s[44:45], s[2:3]
	s_and_saveexec_b64 s[44:45], s[4:5]
	s_cbranch_execz .LBB627_307
; %bb.309:                              ;   in Loop: Header=BB627_308 Depth=1
	s_add_u32 s30, s30, -1
	s_addc_u32 s31, s31, -1
	s_cmp_eq_u64 s[30:31], 0
	s_cselect_b64 s[4:5], -1, 0
	s_andn2_b64 s[28:29], s[28:29], exec
	s_and_b64 s[4:5], s[4:5], exec
	v_lshl_add_u64 v[6:7], v[6:7], 0, 2
	v_lshl_add_u64 v[8:9], v[8:9], 0, 2
	s_andn2_b64 s[2:3], s[2:3], exec
	s_or_b64 s[28:29], s[28:29], s[4:5]
                                        ; implicit-def: $sgpr40_sgpr41
	s_branch .LBB627_307
.LBB627_310:
	s_or_b64 exec, exec, s[24:25]
	s_xor_b64 s[2:3], s[26:27], -1
	s_branch .LBB627_312
.LBB627_311:
	s_mov_b64 s[2:3], -1
.LBB627_312:
	s_andn2_b64 s[4:5], s[12:13], exec
	s_and_b64 s[2:3], s[2:3], exec
	s_or_b64 s[12:13], s[4:5], s[2:3]
.LBB627_313:
	s_or_b64 exec, exec, s[22:23]
	v_cndmask_b32_e64 v6, v24, v23, s[12:13]
	v_cndmask_b32_e64 v7, v27, v26, s[12:13]
	v_add_u32_e32 v8, 1, v6
	v_add_u32_e32 v6, -1, v7
	v_min_u32_e32 v6, v8, v6
	v_lshl_add_u32 v6, v6, 3, v35
	ds_read_b64 v[6:7], v6
	v_cndmask_b32_e64 v12, v8, v24, s[12:13]
	v_cndmask_b32_e64 v13, v23, v8, s[12:13]
	v_cmp_lt_u32_e32 vcc, v12, v27
	s_mov_b64 s[24:25], -1
	s_waitcnt lgkmcnt(0)
	v_cndmask_b32_e64 v14, v7, v5, s[12:13]
	v_cndmask_b32_e64 v15, v6, v4, s[12:13]
	;; [unrolled: 1-line block ×4, first 2 shown]
	s_mov_b64 s[22:23], -1
	s_and_saveexec_b64 s[26:27], vcc
	s_cbranch_execz .LBB627_324
; %bb.314:
	v_cmp_lt_u32_e32 vcc, v13, v26
	s_mov_b64 s[2:3], 0
	s_and_saveexec_b64 s[22:23], vcc
	s_cbranch_execz .LBB627_323
; %bb.315:
	s_and_b64 vcc, exec, s[0:1]
	s_cbranch_vccnz .LBB627_321
; %bb.316:
	v_mul_lo_u32 v8, v14, s36
	v_mul_lo_u32 v9, v15, s37
	v_mad_u64_u32 v[6:7], s[2:3], v15, s36, 0
	v_add3_u32 v7, v7, v9, v8
	v_mul_lo_u32 v10, v16, s36
	v_mul_lo_u32 v11, v22, s37
	v_mad_u64_u32 v[8:9], s[2:3], v22, s36, 0
	v_add3_u32 v9, v9, v11, v10
	v_lshl_add_u64 v[6:7], v[6:7], 1, s[38:39]
	v_lshl_add_u64 v[8:9], v[8:9], 1, s[38:39]
	s_mov_b64 s[28:29], 0
	s_mov_b64 s[42:43], s[36:37]
                                        ; implicit-def: $sgpr30_sgpr31
                                        ; implicit-def: $sgpr40_sgpr41
                                        ; implicit-def: $sgpr2_sgpr3
                                        ; implicit-def: $sgpr44_sgpr45
	s_branch .LBB627_318
.LBB627_317:                            ;   in Loop: Header=BB627_318 Depth=1
	s_or_b64 exec, exec, s[48:49]
	s_and_b64 s[4:5], exec, s[40:41]
	s_or_b64 s[28:29], s[4:5], s[28:29]
	s_andn2_b64 s[4:5], s[44:45], exec
	s_and_b64 s[44:45], s[46:47], exec
	s_or_b64 s[44:45], s[4:5], s[44:45]
	s_andn2_b64 s[4:5], s[30:31], exec
	s_and_b64 s[30:31], s[2:3], exec
	s_or_b64 s[30:31], s[4:5], s[30:31]
	s_andn2_b64 exec, exec, s[28:29]
	s_cbranch_execz .LBB627_320
.LBB627_318:                            ; =>This Inner Loop Header: Depth=1
	global_load_ushort v10, v[6:7], off
	global_load_ushort v11, v[8:9], off
	s_andn2_b64 s[48:49], s[2:3], exec
	s_or_b64 s[40:41], s[40:41], exec
	s_waitcnt vmcnt(0)
	v_cmp_le_i16_e64 s[2:3], v10, v11
	v_cmp_lt_i16_e32 vcc, v10, v11
	s_and_b64 s[2:3], s[2:3], s[44:45]
	s_or_b64 s[46:47], vcc, s[2:3]
	s_and_b64 s[2:3], s[46:47], exec
	v_cmp_eq_u16_e64 s[4:5], v10, v11
	s_or_b64 s[2:3], s[48:49], s[2:3]
	s_and_saveexec_b64 s[48:49], s[4:5]
	s_cbranch_execz .LBB627_317
; %bb.319:                              ;   in Loop: Header=BB627_318 Depth=1
	s_add_u32 s42, s42, -1
	s_addc_u32 s43, s43, -1
	s_cmp_eq_u64 s[42:43], 0
	s_cselect_b64 s[4:5], -1, 0
	s_andn2_b64 s[40:41], s[40:41], exec
	s_and_b64 s[4:5], s[4:5], exec
	v_lshl_add_u64 v[6:7], v[6:7], 0, 2
	v_lshl_add_u64 v[8:9], v[8:9], 0, 2
	s_andn2_b64 s[2:3], s[2:3], exec
	s_or_b64 s[40:41], s[40:41], s[4:5]
                                        ; implicit-def: $sgpr44_sgpr45
	s_branch .LBB627_317
.LBB627_320:
	s_or_b64 exec, exec, s[28:29]
	s_xor_b64 s[2:3], s[30:31], -1
	s_branch .LBB627_322
.LBB627_321:
	s_mov_b64 s[2:3], -1
.LBB627_322:
	s_and_b64 s[2:3], s[2:3], exec
.LBB627_323:
	s_or_b64 exec, exec, s[22:23]
	s_orn2_b64 s[22:23], s[2:3], exec
.LBB627_324:
	s_or_b64 exec, exec, s[26:27]
	v_cndmask_b32_e64 v6, v12, v13, s[22:23]
	v_cndmask_b32_e64 v7, v27, v26, s[22:23]
	v_add_u32_e32 v8, 1, v6
	v_add_u32_e32 v6, -1, v7
	v_min_u32_e32 v6, v8, v6
	v_lshl_add_u32 v6, v6, 3, v35
	ds_read_b64 v[6:7], v6
	v_cndmask_b32_e64 v39, v8, v12, s[22:23]
	v_cndmask_b32_e64 v40, v13, v8, s[22:23]
	v_cmp_lt_u32_e32 vcc, v39, v27
	s_waitcnt lgkmcnt(0)
	v_cndmask_b32_e64 v10, v7, v14, s[22:23]
	v_cndmask_b32_e64 v17, v6, v15, s[22:23]
	;; [unrolled: 1-line block ×4, first 2 shown]
	s_and_saveexec_b64 s[26:27], vcc
	s_cbranch_execz .LBB627_335
; %bb.325:
	v_cmp_lt_u32_e32 vcc, v40, v26
	s_mov_b64 s[2:3], 0
	s_and_saveexec_b64 s[24:25], vcc
	s_cbranch_execz .LBB627_334
; %bb.326:
	s_and_b64 vcc, exec, s[0:1]
	s_cbranch_vccnz .LBB627_332
; %bb.327:
	v_mul_lo_u32 v8, v10, s36
	v_mul_lo_u32 v9, v17, s37
	v_mad_u64_u32 v[6:7], s[2:3], v17, s36, 0
	v_add3_u32 v7, v7, v9, v8
	v_mul_lo_u32 v12, v11, s36
	v_mul_lo_u32 v13, v23, s37
	v_mad_u64_u32 v[8:9], s[2:3], v23, s36, 0
	v_add3_u32 v9, v9, v13, v12
	v_lshl_add_u64 v[6:7], v[6:7], 1, s[38:39]
	v_lshl_add_u64 v[8:9], v[8:9], 1, s[38:39]
	s_mov_b64 s[28:29], 0
	s_mov_b64 s[42:43], s[36:37]
                                        ; implicit-def: $sgpr30_sgpr31
                                        ; implicit-def: $sgpr40_sgpr41
                                        ; implicit-def: $sgpr2_sgpr3
                                        ; implicit-def: $sgpr44_sgpr45
	s_branch .LBB627_329
.LBB627_328:                            ;   in Loop: Header=BB627_329 Depth=1
	s_or_b64 exec, exec, s[48:49]
	s_and_b64 s[4:5], exec, s[40:41]
	s_or_b64 s[28:29], s[4:5], s[28:29]
	s_andn2_b64 s[4:5], s[44:45], exec
	s_and_b64 s[44:45], s[46:47], exec
	s_or_b64 s[44:45], s[4:5], s[44:45]
	s_andn2_b64 s[4:5], s[30:31], exec
	s_and_b64 s[30:31], s[2:3], exec
	s_or_b64 s[30:31], s[4:5], s[30:31]
	s_andn2_b64 exec, exec, s[28:29]
	s_cbranch_execz .LBB627_331
.LBB627_329:                            ; =>This Inner Loop Header: Depth=1
	global_load_ushort v12, v[6:7], off
	global_load_ushort v13, v[8:9], off
	s_andn2_b64 s[48:49], s[2:3], exec
	s_or_b64 s[40:41], s[40:41], exec
	s_waitcnt vmcnt(0)
	v_cmp_le_i16_e64 s[2:3], v12, v13
	v_cmp_lt_i16_e32 vcc, v12, v13
	s_and_b64 s[2:3], s[2:3], s[44:45]
	s_or_b64 s[46:47], vcc, s[2:3]
	s_and_b64 s[2:3], s[46:47], exec
	v_cmp_eq_u16_e64 s[4:5], v12, v13
	s_or_b64 s[2:3], s[48:49], s[2:3]
	s_and_saveexec_b64 s[48:49], s[4:5]
	s_cbranch_execz .LBB627_328
; %bb.330:                              ;   in Loop: Header=BB627_329 Depth=1
	s_add_u32 s42, s42, -1
	s_addc_u32 s43, s43, -1
	s_cmp_eq_u64 s[42:43], 0
	s_cselect_b64 s[4:5], -1, 0
	s_andn2_b64 s[40:41], s[40:41], exec
	s_and_b64 s[4:5], s[4:5], exec
	v_lshl_add_u64 v[6:7], v[6:7], 0, 2
	v_lshl_add_u64 v[8:9], v[8:9], 0, 2
	s_andn2_b64 s[2:3], s[2:3], exec
	s_or_b64 s[40:41], s[40:41], s[4:5]
                                        ; implicit-def: $sgpr44_sgpr45
	s_branch .LBB627_328
.LBB627_331:
	s_or_b64 exec, exec, s[28:29]
	s_xor_b64 s[2:3], s[30:31], -1
	s_branch .LBB627_333
.LBB627_332:
	s_mov_b64 s[2:3], -1
.LBB627_333:
	s_and_b64 s[2:3], s[2:3], exec
.LBB627_334:
	s_or_b64 exec, exec, s[24:25]
	s_orn2_b64 s[24:25], s[2:3], exec
.LBB627_335:
	s_or_b64 exec, exec, s[26:27]
	v_cndmask_b32_e64 v6, v39, v40, s[24:25]
	v_cndmask_b32_e64 v7, v27, v26, s[24:25]
	v_add_u32_e32 v8, 1, v6
	v_add_u32_e32 v6, -1, v7
	v_min_u32_e32 v6, v8, v6
	v_lshl_add_u32 v6, v6, 3, v35
	ds_read_b64 v[6:7], v6
	v_cndmask_b32_e64 v43, v8, v39, s[24:25]
	v_cndmask_b32_e64 v44, v40, v8, s[24:25]
	v_cmp_lt_u32_e32 vcc, v43, v27
	s_mov_b64 s[28:29], -1
	s_waitcnt lgkmcnt(0)
	v_cndmask_b32_e64 v12, v7, v10, s[24:25]
	v_cndmask_b32_e64 v24, v6, v17, s[24:25]
	;; [unrolled: 1-line block ×4, first 2 shown]
	s_mov_b64 s[26:27], -1
	s_and_saveexec_b64 s[30:31], vcc
	s_cbranch_execz .LBB627_346
; %bb.336:
	v_cmp_lt_u32_e32 vcc, v44, v26
	s_mov_b64 s[2:3], 0
	s_and_saveexec_b64 s[26:27], vcc
	s_cbranch_execz .LBB627_345
; %bb.337:
	s_and_b64 vcc, exec, s[0:1]
	s_cbranch_vccnz .LBB627_343
; %bb.338:
	v_mul_lo_u32 v8, v12, s36
	v_mul_lo_u32 v9, v24, s37
	v_mad_u64_u32 v[6:7], s[2:3], v24, s36, 0
	v_add3_u32 v7, v7, v9, v8
	v_mul_lo_u32 v39, v13, s36
	v_mul_lo_u32 v40, v25, s37
	v_mad_u64_u32 v[8:9], s[2:3], v25, s36, 0
	v_add3_u32 v9, v9, v40, v39
	v_lshl_add_u64 v[6:7], v[6:7], 1, s[38:39]
	v_lshl_add_u64 v[8:9], v[8:9], 1, s[38:39]
	s_mov_b64 s[40:41], 0
	s_mov_b64 s[46:47], s[36:37]
                                        ; implicit-def: $sgpr42_sgpr43
                                        ; implicit-def: $sgpr44_sgpr45
                                        ; implicit-def: $sgpr2_sgpr3
                                        ; implicit-def: $sgpr48_sgpr49
	s_branch .LBB627_340
.LBB627_339:                            ;   in Loop: Header=BB627_340 Depth=1
	s_or_b64 exec, exec, s[52:53]
	s_and_b64 s[4:5], exec, s[44:45]
	s_or_b64 s[40:41], s[4:5], s[40:41]
	s_andn2_b64 s[4:5], s[48:49], exec
	s_and_b64 s[48:49], s[50:51], exec
	s_or_b64 s[48:49], s[4:5], s[48:49]
	s_andn2_b64 s[4:5], s[42:43], exec
	s_and_b64 s[42:43], s[2:3], exec
	s_or_b64 s[42:43], s[4:5], s[42:43]
	s_andn2_b64 exec, exec, s[40:41]
	s_cbranch_execz .LBB627_342
.LBB627_340:                            ; =>This Inner Loop Header: Depth=1
	global_load_ushort v39, v[6:7], off
	global_load_ushort v40, v[8:9], off
	s_andn2_b64 s[52:53], s[2:3], exec
	s_or_b64 s[44:45], s[44:45], exec
	s_waitcnt vmcnt(0)
	v_cmp_le_i16_e64 s[2:3], v39, v40
	v_cmp_lt_i16_e32 vcc, v39, v40
	s_and_b64 s[2:3], s[2:3], s[48:49]
	s_or_b64 s[50:51], vcc, s[2:3]
	s_and_b64 s[2:3], s[50:51], exec
	v_cmp_eq_u16_e64 s[4:5], v39, v40
	s_or_b64 s[2:3], s[52:53], s[2:3]
	s_and_saveexec_b64 s[52:53], s[4:5]
	s_cbranch_execz .LBB627_339
; %bb.341:                              ;   in Loop: Header=BB627_340 Depth=1
	s_add_u32 s46, s46, -1
	s_addc_u32 s47, s47, -1
	s_cmp_eq_u64 s[46:47], 0
	s_cselect_b64 s[4:5], -1, 0
	s_andn2_b64 s[44:45], s[44:45], exec
	s_and_b64 s[4:5], s[4:5], exec
	v_lshl_add_u64 v[6:7], v[6:7], 0, 2
	v_lshl_add_u64 v[8:9], v[8:9], 0, 2
	s_andn2_b64 s[2:3], s[2:3], exec
	s_or_b64 s[44:45], s[44:45], s[4:5]
                                        ; implicit-def: $sgpr48_sgpr49
	s_branch .LBB627_339
.LBB627_342:
	s_or_b64 exec, exec, s[40:41]
	s_xor_b64 s[2:3], s[42:43], -1
	s_branch .LBB627_344
.LBB627_343:
	s_mov_b64 s[2:3], -1
.LBB627_344:
	s_and_b64 s[2:3], s[2:3], exec
.LBB627_345:
	s_or_b64 exec, exec, s[26:27]
	s_orn2_b64 s[26:27], s[2:3], exec
.LBB627_346:
	s_or_b64 exec, exec, s[30:31]
	v_cndmask_b32_e64 v6, v43, v44, s[26:27]
	v_cndmask_b32_e64 v7, v27, v26, s[26:27]
	v_add_u32_e32 v8, 1, v6
	v_add_u32_e32 v6, -1, v7
	v_min_u32_e32 v6, v8, v6
	v_lshl_add_u32 v6, v6, 3, v35
	ds_read_b64 v[6:7], v6
	v_cndmask_b32_e64 v47, v8, v43, s[26:27]
	v_cndmask_b32_e64 v48, v44, v8, s[26:27]
	v_cmp_lt_u32_e32 vcc, v47, v27
	s_waitcnt lgkmcnt(0)
	v_cndmask_b32_e64 v39, v7, v12, s[26:27]
	v_cndmask_b32_e64 v40, v6, v24, s[26:27]
	;; [unrolled: 1-line block ×4, first 2 shown]
	s_and_saveexec_b64 s[30:31], vcc
	s_cbranch_execz .LBB627_357
; %bb.347:
	v_cmp_lt_u32_e32 vcc, v48, v26
	s_mov_b64 s[2:3], 0
	s_and_saveexec_b64 s[28:29], vcc
	s_cbranch_execz .LBB627_356
; %bb.348:
	s_and_b64 vcc, exec, s[0:1]
	s_cbranch_vccnz .LBB627_354
; %bb.349:
	v_mul_lo_u32 v8, v39, s36
	v_mul_lo_u32 v9, v40, s37
	v_mad_u64_u32 v[6:7], s[2:3], v40, s36, 0
	v_add3_u32 v7, v7, v9, v8
	v_mul_lo_u32 v43, v41, s36
	v_mul_lo_u32 v44, v42, s37
	v_mad_u64_u32 v[8:9], s[2:3], v42, s36, 0
	v_add3_u32 v9, v9, v44, v43
	v_lshl_add_u64 v[6:7], v[6:7], 1, s[38:39]
	v_lshl_add_u64 v[8:9], v[8:9], 1, s[38:39]
	s_mov_b64 s[40:41], 0
	s_mov_b64 s[46:47], s[36:37]
                                        ; implicit-def: $sgpr42_sgpr43
                                        ; implicit-def: $sgpr44_sgpr45
                                        ; implicit-def: $sgpr2_sgpr3
                                        ; implicit-def: $sgpr48_sgpr49
	s_branch .LBB627_351
.LBB627_350:                            ;   in Loop: Header=BB627_351 Depth=1
	s_or_b64 exec, exec, s[52:53]
	s_and_b64 s[4:5], exec, s[44:45]
	s_or_b64 s[40:41], s[4:5], s[40:41]
	s_andn2_b64 s[4:5], s[48:49], exec
	s_and_b64 s[48:49], s[50:51], exec
	s_or_b64 s[48:49], s[4:5], s[48:49]
	s_andn2_b64 s[4:5], s[42:43], exec
	s_and_b64 s[42:43], s[2:3], exec
	s_or_b64 s[42:43], s[4:5], s[42:43]
	s_andn2_b64 exec, exec, s[40:41]
	s_cbranch_execz .LBB627_353
.LBB627_351:                            ; =>This Inner Loop Header: Depth=1
	global_load_ushort v43, v[6:7], off
	global_load_ushort v44, v[8:9], off
	s_andn2_b64 s[52:53], s[2:3], exec
	s_or_b64 s[44:45], s[44:45], exec
	s_waitcnt vmcnt(0)
	v_cmp_le_i16_e64 s[2:3], v43, v44
	v_cmp_lt_i16_e32 vcc, v43, v44
	s_and_b64 s[2:3], s[2:3], s[48:49]
	s_or_b64 s[50:51], vcc, s[2:3]
	s_and_b64 s[2:3], s[50:51], exec
	v_cmp_eq_u16_e64 s[4:5], v43, v44
	s_or_b64 s[2:3], s[52:53], s[2:3]
	s_and_saveexec_b64 s[52:53], s[4:5]
	s_cbranch_execz .LBB627_350
; %bb.352:                              ;   in Loop: Header=BB627_351 Depth=1
	s_add_u32 s46, s46, -1
	s_addc_u32 s47, s47, -1
	s_cmp_eq_u64 s[46:47], 0
	s_cselect_b64 s[4:5], -1, 0
	s_andn2_b64 s[44:45], s[44:45], exec
	s_and_b64 s[4:5], s[4:5], exec
	v_lshl_add_u64 v[6:7], v[6:7], 0, 2
	v_lshl_add_u64 v[8:9], v[8:9], 0, 2
	s_andn2_b64 s[2:3], s[2:3], exec
	s_or_b64 s[44:45], s[44:45], s[4:5]
                                        ; implicit-def: $sgpr48_sgpr49
	s_branch .LBB627_350
.LBB627_353:
	s_or_b64 exec, exec, s[40:41]
	s_xor_b64 s[2:3], s[42:43], -1
	s_branch .LBB627_355
.LBB627_354:
	s_mov_b64 s[2:3], -1
.LBB627_355:
	s_and_b64 s[2:3], s[2:3], exec
.LBB627_356:
	s_or_b64 exec, exec, s[28:29]
	s_orn2_b64 s[28:29], s[2:3], exec
.LBB627_357:
	s_or_b64 exec, exec, s[30:31]
	v_cndmask_b32_e64 v6, v47, v48, s[28:29]
	v_cndmask_b32_e64 v7, v27, v26, s[28:29]
	v_add_u32_e32 v8, 1, v6
	v_add_u32_e32 v6, -1, v7
	v_min_u32_e32 v6, v8, v6
	v_lshl_add_u32 v6, v6, 3, v35
	ds_read_b64 v[6:7], v6
	v_cndmask_b32_e64 v49, v8, v47, s[28:29]
	v_cndmask_b32_e64 v53, v48, v8, s[28:29]
	v_cmp_lt_u32_e32 vcc, v49, v27
	s_mov_b64 s[30:31], -1
	s_waitcnt lgkmcnt(0)
	v_cndmask_b32_e64 v43, v7, v39, s[28:29]
	v_cndmask_b32_e64 v44, v6, v40, s[28:29]
	;; [unrolled: 1-line block ×4, first 2 shown]
	s_mov_b64 s[40:41], -1
	s_and_saveexec_b64 s[42:43], vcc
	s_cbranch_execz .LBB627_368
; %bb.358:
	v_cmp_lt_u32_e32 vcc, v53, v26
	s_mov_b64 s[2:3], 0
	s_and_saveexec_b64 s[40:41], vcc
	s_cbranch_execz .LBB627_367
; %bb.359:
	s_and_b64 vcc, exec, s[0:1]
	s_cbranch_vccnz .LBB627_365
; %bb.360:
	v_mul_lo_u32 v8, v43, s36
	v_mul_lo_u32 v9, v44, s37
	v_mad_u64_u32 v[6:7], s[2:3], v44, s36, 0
	v_add3_u32 v7, v7, v9, v8
	v_mul_lo_u32 v47, v45, s36
	v_mul_lo_u32 v48, v46, s37
	v_mad_u64_u32 v[8:9], s[2:3], v46, s36, 0
	v_add3_u32 v9, v9, v48, v47
	v_lshl_add_u64 v[6:7], v[6:7], 1, s[38:39]
	v_lshl_add_u64 v[8:9], v[8:9], 1, s[38:39]
	s_mov_b64 s[44:45], 0
	s_mov_b64 s[50:51], s[36:37]
                                        ; implicit-def: $sgpr46_sgpr47
                                        ; implicit-def: $sgpr48_sgpr49
                                        ; implicit-def: $sgpr2_sgpr3
                                        ; implicit-def: $sgpr52_sgpr53
	s_branch .LBB627_362
.LBB627_361:                            ;   in Loop: Header=BB627_362 Depth=1
	s_or_b64 exec, exec, s[56:57]
	s_and_b64 s[4:5], exec, s[48:49]
	s_or_b64 s[44:45], s[4:5], s[44:45]
	s_andn2_b64 s[4:5], s[52:53], exec
	s_and_b64 s[52:53], s[54:55], exec
	s_or_b64 s[52:53], s[4:5], s[52:53]
	s_andn2_b64 s[4:5], s[46:47], exec
	s_and_b64 s[46:47], s[2:3], exec
	s_or_b64 s[46:47], s[4:5], s[46:47]
	s_andn2_b64 exec, exec, s[44:45]
	s_cbranch_execz .LBB627_364
.LBB627_362:                            ; =>This Inner Loop Header: Depth=1
	global_load_ushort v47, v[6:7], off
	global_load_ushort v48, v[8:9], off
	s_andn2_b64 s[56:57], s[2:3], exec
	s_or_b64 s[48:49], s[48:49], exec
	s_waitcnt vmcnt(0)
	v_cmp_le_i16_e64 s[2:3], v47, v48
	v_cmp_lt_i16_e32 vcc, v47, v48
	s_and_b64 s[2:3], s[2:3], s[52:53]
	s_or_b64 s[54:55], vcc, s[2:3]
	s_and_b64 s[2:3], s[54:55], exec
	v_cmp_eq_u16_e64 s[4:5], v47, v48
	s_or_b64 s[2:3], s[56:57], s[2:3]
	s_and_saveexec_b64 s[56:57], s[4:5]
	s_cbranch_execz .LBB627_361
; %bb.363:                              ;   in Loop: Header=BB627_362 Depth=1
	s_add_u32 s50, s50, -1
	s_addc_u32 s51, s51, -1
	s_cmp_eq_u64 s[50:51], 0
	s_cselect_b64 s[4:5], -1, 0
	s_andn2_b64 s[48:49], s[48:49], exec
	s_and_b64 s[4:5], s[4:5], exec
	v_lshl_add_u64 v[6:7], v[6:7], 0, 2
	v_lshl_add_u64 v[8:9], v[8:9], 0, 2
	s_andn2_b64 s[2:3], s[2:3], exec
	s_or_b64 s[48:49], s[48:49], s[4:5]
                                        ; implicit-def: $sgpr52_sgpr53
	s_branch .LBB627_361
.LBB627_364:
	s_or_b64 exec, exec, s[44:45]
	s_xor_b64 s[2:3], s[46:47], -1
	s_branch .LBB627_366
.LBB627_365:
	s_mov_b64 s[2:3], -1
.LBB627_366:
	s_and_b64 s[2:3], s[2:3], exec
.LBB627_367:
	s_or_b64 exec, exec, s[40:41]
	s_orn2_b64 s[40:41], s[2:3], exec
.LBB627_368:
	s_or_b64 exec, exec, s[42:43]
	v_cndmask_b32_e64 v6, v49, v53, s[40:41]
	v_cndmask_b32_e64 v7, v27, v26, s[40:41]
	v_add_u32_e32 v8, 1, v6
	v_add_u32_e32 v6, -1, v7
	v_min_u32_e32 v6, v8, v6
	v_lshl_add_u32 v6, v6, 3, v35
	ds_read_b64 v[6:7], v6
	v_cndmask_b32_e64 v50, v8, v49, s[40:41]
	v_cndmask_b32_e64 v49, v53, v8, s[40:41]
	v_cmp_lt_u32_e32 vcc, v50, v27
	s_waitcnt lgkmcnt(0)
	v_cndmask_b32_e64 v47, v7, v43, s[40:41]
	v_cndmask_b32_e64 v48, v6, v44, s[40:41]
	;; [unrolled: 1-line block ×4, first 2 shown]
	s_and_saveexec_b64 s[42:43], vcc
	s_cbranch_execz .LBB627_379
; %bb.369:
	v_cmp_lt_u32_e32 vcc, v49, v26
	s_mov_b64 s[2:3], 0
	s_and_saveexec_b64 s[30:31], vcc
	s_cbranch_execz .LBB627_378
; %bb.370:
	s_and_b64 vcc, exec, s[0:1]
	s_cbranch_vccnz .LBB627_376
; %bb.371:
	v_mul_lo_u32 v8, v47, s36
	v_mul_lo_u32 v9, v48, s37
	v_mad_u64_u32 v[6:7], s[2:3], v48, s36, 0
	v_add3_u32 v7, v7, v9, v8
	v_mul_lo_u32 v53, v51, s36
	v_mul_lo_u32 v54, v52, s37
	v_mad_u64_u32 v[8:9], s[2:3], v52, s36, 0
	v_add3_u32 v9, v9, v54, v53
	v_lshl_add_u64 v[6:7], v[6:7], 1, s[38:39]
	v_lshl_add_u64 v[8:9], v[8:9], 1, s[38:39]
	s_mov_b64 s[44:45], 0
	s_mov_b64 s[50:51], s[36:37]
                                        ; implicit-def: $sgpr46_sgpr47
                                        ; implicit-def: $sgpr48_sgpr49
                                        ; implicit-def: $sgpr2_sgpr3
                                        ; implicit-def: $sgpr52_sgpr53
	s_branch .LBB627_373
.LBB627_372:                            ;   in Loop: Header=BB627_373 Depth=1
	s_or_b64 exec, exec, s[56:57]
	s_and_b64 s[4:5], exec, s[48:49]
	s_or_b64 s[44:45], s[4:5], s[44:45]
	s_andn2_b64 s[4:5], s[52:53], exec
	s_and_b64 s[52:53], s[54:55], exec
	s_or_b64 s[52:53], s[4:5], s[52:53]
	s_andn2_b64 s[4:5], s[46:47], exec
	s_and_b64 s[46:47], s[2:3], exec
	s_or_b64 s[46:47], s[4:5], s[46:47]
	s_andn2_b64 exec, exec, s[44:45]
	s_cbranch_execz .LBB627_375
.LBB627_373:                            ; =>This Inner Loop Header: Depth=1
	global_load_ushort v53, v[6:7], off
	global_load_ushort v54, v[8:9], off
	s_andn2_b64 s[56:57], s[2:3], exec
	s_or_b64 s[48:49], s[48:49], exec
	s_waitcnt vmcnt(0)
	v_cmp_le_i16_e64 s[2:3], v53, v54
	v_cmp_lt_i16_e32 vcc, v53, v54
	s_and_b64 s[2:3], s[2:3], s[52:53]
	s_or_b64 s[54:55], vcc, s[2:3]
	s_and_b64 s[2:3], s[54:55], exec
	v_cmp_eq_u16_e64 s[4:5], v53, v54
	s_or_b64 s[2:3], s[56:57], s[2:3]
	s_and_saveexec_b64 s[56:57], s[4:5]
	s_cbranch_execz .LBB627_372
; %bb.374:                              ;   in Loop: Header=BB627_373 Depth=1
	s_add_u32 s50, s50, -1
	s_addc_u32 s51, s51, -1
	s_cmp_eq_u64 s[50:51], 0
	s_cselect_b64 s[4:5], -1, 0
	s_andn2_b64 s[48:49], s[48:49], exec
	s_and_b64 s[4:5], s[4:5], exec
	v_lshl_add_u64 v[6:7], v[6:7], 0, 2
	v_lshl_add_u64 v[8:9], v[8:9], 0, 2
	s_andn2_b64 s[2:3], s[2:3], exec
	s_or_b64 s[48:49], s[48:49], s[4:5]
                                        ; implicit-def: $sgpr52_sgpr53
	s_branch .LBB627_372
.LBB627_375:
	s_or_b64 exec, exec, s[44:45]
	s_xor_b64 s[2:3], s[46:47], -1
	s_branch .LBB627_377
.LBB627_376:
	s_mov_b64 s[2:3], -1
.LBB627_377:
	s_and_b64 s[2:3], s[2:3], exec
.LBB627_378:
	s_or_b64 exec, exec, s[30:31]
	s_orn2_b64 s[30:31], s[2:3], exec
.LBB627_379:
	s_or_b64 exec, exec, s[42:43]
	v_cndmask_b32_e64 v11, v10, v11, s[24:25]
	v_cndmask_b32_e64 v10, v17, v23, s[24:25]
	;; [unrolled: 1-line block ×8, first 2 shown]
	v_add_u32_e32 v24, 1, v14
	v_add_u32_e32 v14, -1, v15
	v_min_u32_e32 v14, v24, v14
	v_lshl_add_u32 v14, v14, 3, v35
	ds_read_b64 v[22:23], v14
	v_cndmask_b32_e64 v25, v24, v50, s[30:31]
	v_cndmask_b32_e64 v9, v43, v45, s[40:41]
	;; [unrolled: 1-line block ×9, first 2 shown]
	s_waitcnt lgkmcnt(0)
	v_cndmask_b32_e64 v5, v51, v23, s[30:31]
	v_cndmask_b32_e64 v4, v52, v22, s[30:31]
	v_cmp_lt_u32_e32 vcc, v25, v27
	s_and_saveexec_b64 s[12:13], vcc
	s_cbranch_execz .LBB627_389
; %bb.380:
	v_cndmask_b32_e64 v24, v49, v24, s[30:31]
	v_cndmask_b32_e64 v23, v23, v47, s[30:31]
	;; [unrolled: 1-line block ×3, first 2 shown]
	v_cmp_lt_u32_e32 vcc, v24, v26
	s_and_saveexec_b64 s[22:23], vcc
	s_cbranch_execz .LBB627_388
; %bb.381:
	s_and_b64 vcc, exec, s[0:1]
	s_cbranch_vccnz .LBB627_387
; %bb.382:
	v_mul_lo_u32 v26, v23, s36
	v_mul_lo_u32 v27, v22, s37
	v_mad_u64_u32 v[24:25], s[2:3], v22, s36, 0
	v_add3_u32 v25, v25, v27, v26
	v_mul_lo_u32 v39, v5, s36
	v_mul_lo_u32 v40, v4, s37
	v_mad_u64_u32 v[26:27], s[2:3], v4, s36, 0
	v_add3_u32 v27, v27, v40, v39
	v_lshl_add_u64 v[24:25], v[24:25], 1, s[38:39]
	v_lshl_add_u64 v[26:27], v[26:27], 1, s[38:39]
	s_mov_b64 s[24:25], 0
	s_mov_b64 s[30:31], s[36:37]
                                        ; implicit-def: $sgpr26_sgpr27
                                        ; implicit-def: $sgpr28_sgpr29
                                        ; implicit-def: $sgpr2_sgpr3
                                        ; implicit-def: $sgpr40_sgpr41
	s_branch .LBB627_384
.LBB627_383:                            ;   in Loop: Header=BB627_384 Depth=1
	s_or_b64 exec, exec, s[44:45]
	s_and_b64 s[4:5], exec, s[28:29]
	s_or_b64 s[24:25], s[4:5], s[24:25]
	s_andn2_b64 s[4:5], s[40:41], exec
	s_and_b64 s[40:41], s[42:43], exec
	s_or_b64 s[40:41], s[4:5], s[40:41]
	s_andn2_b64 s[4:5], s[26:27], exec
	s_and_b64 s[26:27], s[2:3], exec
	s_or_b64 s[26:27], s[4:5], s[26:27]
	s_andn2_b64 exec, exec, s[24:25]
	s_cbranch_execz .LBB627_386
.LBB627_384:                            ; =>This Inner Loop Header: Depth=1
	global_load_ushort v39, v[24:25], off
	global_load_ushort v40, v[26:27], off
	s_andn2_b64 s[44:45], s[2:3], exec
	s_or_b64 s[28:29], s[28:29], exec
	s_waitcnt vmcnt(0)
	v_cmp_le_i16_e64 s[2:3], v39, v40
	v_cmp_lt_i16_e32 vcc, v39, v40
	s_and_b64 s[2:3], s[2:3], s[40:41]
	s_or_b64 s[42:43], vcc, s[2:3]
	s_and_b64 s[2:3], s[42:43], exec
	v_cmp_eq_u16_e64 s[4:5], v39, v40
	s_or_b64 s[2:3], s[44:45], s[2:3]
	s_and_saveexec_b64 s[44:45], s[4:5]
	s_cbranch_execz .LBB627_383
; %bb.385:                              ;   in Loop: Header=BB627_384 Depth=1
	s_add_u32 s30, s30, -1
	s_addc_u32 s31, s31, -1
	s_cmp_eq_u64 s[30:31], 0
	s_cselect_b64 s[4:5], -1, 0
	s_andn2_b64 s[28:29], s[28:29], exec
	s_and_b64 s[4:5], s[4:5], exec
	v_lshl_add_u64 v[24:25], v[24:25], 0, 2
	v_lshl_add_u64 v[26:27], v[26:27], 0, 2
	s_andn2_b64 s[2:3], s[2:3], exec
	s_or_b64 s[28:29], s[28:29], s[4:5]
                                        ; implicit-def: $sgpr40_sgpr41
	s_branch .LBB627_383
.LBB627_386:
	s_or_b64 exec, exec, s[24:25]
	v_cndmask_b32_e64 v5, v5, v23, s[26:27]
	v_cndmask_b32_e64 v4, v4, v22, s[26:27]
.LBB627_387:
	v_mov_b64_e32 v[22:23], v[4:5]
.LBB627_388:
	s_or_b64 exec, exec, s[22:23]
	v_mov_b64_e32 v[4:5], v[22:23]
.LBB627_389:
	s_or_b64 exec, exec, s[12:13]
.LBB627_390:
	s_or_b64 exec, exec, s[10:11]
	v_and_b32_e32 v41, 0x3c0, v37
	v_or_b32_e32 v22, 32, v41
	v_min_u32_e32 v26, v36, v22
	v_add_u32_e32 v22, 32, v26
	v_min_u32_e32 v27, v36, v22
	v_and_b32_e32 v22, 56, v37
	v_min_u32_e32 v42, v36, v22
	v_sub_u32_e32 v22, v26, v41
	v_sub_u32_e32 v23, v27, v26
	v_sub_u32_e64 v40, v42, v23 clamp
	v_min_u32_e32 v43, v42, v22
	v_lshl_add_u32 v39, v41, 3, v35
	v_cmp_lt_u32_e32 vcc, v40, v43
	; wave barrier
	ds_write_b128 v38, v[14:17]
	ds_write_b128 v38, v[10:13] offset:16
	ds_write_b128 v38, v[6:9] offset:32
	ds_write_b128 v38, v[2:5] offset:48
	; wave barrier
	s_and_saveexec_b64 s[10:11], vcc
	s_cbranch_execz .LBB627_400
; %bb.391:
	v_lshlrev_b32_e32 v22, 3, v26
	v_lshlrev_b32_e32 v23, 3, v42
	v_add3_u32 v44, v35, v22, v23
	s_lshl_b64 s[22:23], s[36:37], 1
	s_mov_b64 s[12:13], 0
	s_branch .LBB627_394
.LBB627_392:                            ;   in Loop: Header=BB627_394 Depth=1
	s_or_b64 exec, exec, s[26:27]
.LBB627_393:                            ;   in Loop: Header=BB627_394 Depth=1
	v_add_u32_e32 v22, 1, v45
	v_cndmask_b32_e64 v43, v43, v45, s[24:25]
	v_cndmask_b32_e64 v40, v22, v40, s[24:25]
	v_cmp_ge_u32_e32 vcc, v40, v43
	s_or_b64 s[12:13], vcc, s[12:13]
	s_andn2_b64 exec, exec, s[12:13]
	s_cbranch_execz .LBB627_399
.LBB627_394:                            ; =>This Loop Header: Depth=1
                                        ;     Child Loop BB627_397 Depth 2
	v_add_u32_e32 v22, v43, v40
	v_lshrrev_b32_e32 v45, 1, v22
	s_and_b64 vcc, exec, s[0:1]
	s_mov_b64 s[24:25], 0
	s_cbranch_vccnz .LBB627_393
; %bb.395:                              ;   in Loop: Header=BB627_394 Depth=1
	v_not_b32_e32 v22, v45
	v_lshl_add_u32 v22, v22, 3, v44
	ds_read_b64 v[22:23], v22
	v_lshl_add_u32 v46, v45, 3, v39
	ds_read_b64 v[46:47], v46
	v_mov_b64_e32 v[24:25], s[38:39]
	s_mov_b64 s[26:27], 0
	s_waitcnt lgkmcnt(1)
	v_mul_lo_u32 v48, s22, v23
	v_mul_lo_u32 v49, s23, v22
	v_mad_u64_u32 v[22:23], s[2:3], s22, v22, v[24:25]
	v_add3_u32 v23, v49, v23, v48
	s_waitcnt lgkmcnt(0)
	v_mul_lo_u32 v47, s22, v47
	v_mul_lo_u32 v48, s23, v46
	v_mad_u64_u32 v[24:25], s[2:3], s22, v46, v[24:25]
	v_add3_u32 v25, v48, v25, v47
	s_mov_b64 s[30:31], s[36:37]
                                        ; implicit-def: $sgpr24_sgpr25
                                        ; implicit-def: $sgpr28_sgpr29
                                        ; implicit-def: $sgpr2_sgpr3
                                        ; implicit-def: $sgpr40_sgpr41
	s_branch .LBB627_397
.LBB627_396:                            ;   in Loop: Header=BB627_397 Depth=2
	s_or_b64 exec, exec, s[44:45]
	s_and_b64 s[4:5], exec, s[28:29]
	s_or_b64 s[26:27], s[4:5], s[26:27]
	s_andn2_b64 s[4:5], s[40:41], exec
	s_and_b64 s[40:41], s[42:43], exec
	s_or_b64 s[40:41], s[4:5], s[40:41]
	s_andn2_b64 s[4:5], s[24:25], exec
	s_and_b64 s[24:25], s[2:3], exec
	s_or_b64 s[24:25], s[4:5], s[24:25]
	s_andn2_b64 exec, exec, s[26:27]
	s_cbranch_execz .LBB627_392
.LBB627_397:                            ;   Parent Loop BB627_394 Depth=1
                                        ; =>  This Inner Loop Header: Depth=2
	global_load_ushort v46, v[22:23], off
	global_load_ushort v47, v[24:25], off
	s_andn2_b64 s[44:45], s[2:3], exec
	s_or_b64 s[28:29], s[28:29], exec
	s_waitcnt vmcnt(0)
	v_cmp_le_i16_e64 s[2:3], v46, v47
	v_cmp_lt_i16_e32 vcc, v46, v47
	s_and_b64 s[2:3], s[2:3], s[40:41]
	s_or_b64 s[42:43], vcc, s[2:3]
	s_and_b64 s[2:3], s[42:43], exec
	v_cmp_eq_u16_e64 s[4:5], v46, v47
	s_or_b64 s[2:3], s[44:45], s[2:3]
	s_and_saveexec_b64 s[44:45], s[4:5]
	s_cbranch_execz .LBB627_396
; %bb.398:                              ;   in Loop: Header=BB627_397 Depth=2
	s_add_u32 s30, s30, -1
	s_addc_u32 s31, s31, -1
	s_cmp_eq_u64 s[30:31], 0
	s_cselect_b64 s[4:5], -1, 0
	s_andn2_b64 s[28:29], s[28:29], exec
	s_and_b64 s[4:5], s[4:5], exec
	v_lshl_add_u64 v[22:23], v[22:23], 0, 2
	v_lshl_add_u64 v[24:25], v[24:25], 0, 2
	s_andn2_b64 s[2:3], s[2:3], exec
	s_or_b64 s[28:29], s[28:29], s[4:5]
                                        ; implicit-def: $sgpr40_sgpr41
	s_branch .LBB627_396
.LBB627_399:
	s_or_b64 exec, exec, s[12:13]
.LBB627_400:
	s_or_b64 exec, exec, s[10:11]
	v_add_u32_e32 v22, v26, v42
	v_add_u32_e32 v23, v40, v41
	v_sub_u32_e32 v24, v22, v40
	v_cmp_le_u32_e32 vcc, v23, v26
	v_cmp_le_u32_e64 s[2:3], v24, v27
	s_or_b64 s[2:3], vcc, s[2:3]
	s_and_saveexec_b64 s[10:11], s[2:3]
	s_cbranch_execz .LBB627_491
; %bb.401:
	v_cmp_ge_u32_e32 vcc, v23, v26
	v_cmp_lt_u32_e64 s[2:3], v23, v26
                                        ; implicit-def: $vgpr2_vgpr3
	s_and_saveexec_b64 s[4:5], s[2:3]
; %bb.402:
	v_lshl_add_u32 v2, v40, 3, v39
	ds_read_b64 v[2:3], v2
; %bb.403:
	s_or_b64 exec, exec, s[4:5]
	v_cmp_ge_u32_e64 s[12:13], v24, v27
	v_cmp_lt_u32_e64 s[2:3], v24, v27
                                        ; implicit-def: $vgpr4_vgpr5
	s_and_saveexec_b64 s[4:5], s[2:3]
; %bb.404:
	v_lshl_add_u32 v4, v24, 3, v35
	ds_read_b64 v[4:5], v4
; %bb.405:
	s_or_b64 exec, exec, s[4:5]
	s_nor_b64 s[2:3], vcc, s[12:13]
	s_and_saveexec_b64 s[22:23], s[2:3]
	s_cbranch_execz .LBB627_414
; %bb.406:
	s_and_b64 vcc, exec, s[0:1]
	s_cbranch_vccnz .LBB627_412
; %bb.407:
	s_waitcnt lgkmcnt(0)
	v_mul_lo_u32 v8, v5, s36
	v_mul_lo_u32 v9, v4, s37
	v_mad_u64_u32 v[6:7], s[2:3], v4, s36, 0
	v_add3_u32 v7, v7, v9, v8
	v_mul_lo_u32 v10, v3, s36
	v_mul_lo_u32 v11, v2, s37
	v_mad_u64_u32 v[8:9], s[2:3], v2, s36, 0
	v_add3_u32 v9, v9, v11, v10
	v_lshl_add_u64 v[6:7], v[6:7], 1, s[38:39]
	v_lshl_add_u64 v[8:9], v[8:9], 1, s[38:39]
	s_mov_b64 s[24:25], 0
	s_mov_b64 s[30:31], s[36:37]
                                        ; implicit-def: $sgpr26_sgpr27
                                        ; implicit-def: $sgpr28_sgpr29
                                        ; implicit-def: $sgpr2_sgpr3
                                        ; implicit-def: $sgpr40_sgpr41
	s_branch .LBB627_409
.LBB627_408:                            ;   in Loop: Header=BB627_409 Depth=1
	s_or_b64 exec, exec, s[44:45]
	s_and_b64 s[4:5], exec, s[28:29]
	s_or_b64 s[24:25], s[4:5], s[24:25]
	s_andn2_b64 s[4:5], s[40:41], exec
	s_and_b64 s[40:41], s[42:43], exec
	s_or_b64 s[40:41], s[4:5], s[40:41]
	s_andn2_b64 s[4:5], s[26:27], exec
	s_and_b64 s[26:27], s[2:3], exec
	s_or_b64 s[26:27], s[4:5], s[26:27]
	s_andn2_b64 exec, exec, s[24:25]
	s_cbranch_execz .LBB627_411
.LBB627_409:                            ; =>This Inner Loop Header: Depth=1
	global_load_ushort v10, v[6:7], off
	global_load_ushort v11, v[8:9], off
	s_andn2_b64 s[44:45], s[2:3], exec
	s_or_b64 s[28:29], s[28:29], exec
	s_waitcnt vmcnt(0)
	v_cmp_le_i16_e64 s[2:3], v10, v11
	v_cmp_lt_i16_e32 vcc, v10, v11
	s_and_b64 s[2:3], s[2:3], s[40:41]
	s_or_b64 s[42:43], vcc, s[2:3]
	s_and_b64 s[2:3], s[42:43], exec
	v_cmp_eq_u16_e64 s[4:5], v10, v11
	s_or_b64 s[2:3], s[44:45], s[2:3]
	s_and_saveexec_b64 s[44:45], s[4:5]
	s_cbranch_execz .LBB627_408
; %bb.410:                              ;   in Loop: Header=BB627_409 Depth=1
	s_add_u32 s30, s30, -1
	s_addc_u32 s31, s31, -1
	s_cmp_eq_u64 s[30:31], 0
	s_cselect_b64 s[4:5], -1, 0
	s_andn2_b64 s[28:29], s[28:29], exec
	s_and_b64 s[4:5], s[4:5], exec
	v_lshl_add_u64 v[6:7], v[6:7], 0, 2
	v_lshl_add_u64 v[8:9], v[8:9], 0, 2
	s_andn2_b64 s[2:3], s[2:3], exec
	s_or_b64 s[28:29], s[28:29], s[4:5]
                                        ; implicit-def: $sgpr40_sgpr41
	s_branch .LBB627_408
.LBB627_411:
	s_or_b64 exec, exec, s[24:25]
	s_xor_b64 s[2:3], s[26:27], -1
	s_branch .LBB627_413
.LBB627_412:
	s_mov_b64 s[2:3], -1
.LBB627_413:
	s_andn2_b64 s[4:5], s[12:13], exec
	s_and_b64 s[2:3], s[2:3], exec
	s_or_b64 s[12:13], s[4:5], s[2:3]
.LBB627_414:
	s_or_b64 exec, exec, s[22:23]
	v_cndmask_b32_e64 v6, v24, v23, s[12:13]
	v_cndmask_b32_e64 v7, v27, v26, s[12:13]
	v_add_u32_e32 v8, 1, v6
	v_add_u32_e32 v6, -1, v7
	v_min_u32_e32 v6, v8, v6
	v_lshl_add_u32 v6, v6, 3, v35
	ds_read_b64 v[6:7], v6
	v_cndmask_b32_e64 v12, v8, v24, s[12:13]
	v_cndmask_b32_e64 v13, v23, v8, s[12:13]
	v_cmp_lt_u32_e32 vcc, v12, v27
	s_mov_b64 s[24:25], -1
	s_waitcnt lgkmcnt(0)
	v_cndmask_b32_e64 v14, v7, v5, s[12:13]
	v_cndmask_b32_e64 v15, v6, v4, s[12:13]
	;; [unrolled: 1-line block ×4, first 2 shown]
	s_mov_b64 s[22:23], -1
	s_and_saveexec_b64 s[26:27], vcc
	s_cbranch_execz .LBB627_425
; %bb.415:
	v_cmp_lt_u32_e32 vcc, v13, v26
	s_mov_b64 s[2:3], 0
	s_and_saveexec_b64 s[22:23], vcc
	s_cbranch_execz .LBB627_424
; %bb.416:
	s_and_b64 vcc, exec, s[0:1]
	s_cbranch_vccnz .LBB627_422
; %bb.417:
	v_mul_lo_u32 v8, v14, s36
	v_mul_lo_u32 v9, v15, s37
	v_mad_u64_u32 v[6:7], s[2:3], v15, s36, 0
	v_add3_u32 v7, v7, v9, v8
	v_mul_lo_u32 v10, v16, s36
	v_mul_lo_u32 v11, v22, s37
	v_mad_u64_u32 v[8:9], s[2:3], v22, s36, 0
	v_add3_u32 v9, v9, v11, v10
	v_lshl_add_u64 v[6:7], v[6:7], 1, s[38:39]
	v_lshl_add_u64 v[8:9], v[8:9], 1, s[38:39]
	s_mov_b64 s[28:29], 0
	s_mov_b64 s[42:43], s[36:37]
                                        ; implicit-def: $sgpr30_sgpr31
                                        ; implicit-def: $sgpr40_sgpr41
                                        ; implicit-def: $sgpr2_sgpr3
                                        ; implicit-def: $sgpr44_sgpr45
	s_branch .LBB627_419
.LBB627_418:                            ;   in Loop: Header=BB627_419 Depth=1
	s_or_b64 exec, exec, s[48:49]
	s_and_b64 s[4:5], exec, s[40:41]
	s_or_b64 s[28:29], s[4:5], s[28:29]
	s_andn2_b64 s[4:5], s[44:45], exec
	s_and_b64 s[44:45], s[46:47], exec
	s_or_b64 s[44:45], s[4:5], s[44:45]
	s_andn2_b64 s[4:5], s[30:31], exec
	s_and_b64 s[30:31], s[2:3], exec
	s_or_b64 s[30:31], s[4:5], s[30:31]
	s_andn2_b64 exec, exec, s[28:29]
	s_cbranch_execz .LBB627_421
.LBB627_419:                            ; =>This Inner Loop Header: Depth=1
	global_load_ushort v10, v[6:7], off
	global_load_ushort v11, v[8:9], off
	s_andn2_b64 s[48:49], s[2:3], exec
	s_or_b64 s[40:41], s[40:41], exec
	s_waitcnt vmcnt(0)
	v_cmp_le_i16_e64 s[2:3], v10, v11
	v_cmp_lt_i16_e32 vcc, v10, v11
	s_and_b64 s[2:3], s[2:3], s[44:45]
	s_or_b64 s[46:47], vcc, s[2:3]
	s_and_b64 s[2:3], s[46:47], exec
	v_cmp_eq_u16_e64 s[4:5], v10, v11
	s_or_b64 s[2:3], s[48:49], s[2:3]
	s_and_saveexec_b64 s[48:49], s[4:5]
	s_cbranch_execz .LBB627_418
; %bb.420:                              ;   in Loop: Header=BB627_419 Depth=1
	s_add_u32 s42, s42, -1
	s_addc_u32 s43, s43, -1
	s_cmp_eq_u64 s[42:43], 0
	s_cselect_b64 s[4:5], -1, 0
	s_andn2_b64 s[40:41], s[40:41], exec
	s_and_b64 s[4:5], s[4:5], exec
	v_lshl_add_u64 v[6:7], v[6:7], 0, 2
	v_lshl_add_u64 v[8:9], v[8:9], 0, 2
	s_andn2_b64 s[2:3], s[2:3], exec
	s_or_b64 s[40:41], s[40:41], s[4:5]
                                        ; implicit-def: $sgpr44_sgpr45
	s_branch .LBB627_418
.LBB627_421:
	s_or_b64 exec, exec, s[28:29]
	s_xor_b64 s[2:3], s[30:31], -1
	s_branch .LBB627_423
.LBB627_422:
	s_mov_b64 s[2:3], -1
.LBB627_423:
	s_and_b64 s[2:3], s[2:3], exec
.LBB627_424:
	s_or_b64 exec, exec, s[22:23]
	s_orn2_b64 s[22:23], s[2:3], exec
.LBB627_425:
	s_or_b64 exec, exec, s[26:27]
	v_cndmask_b32_e64 v6, v12, v13, s[22:23]
	v_cndmask_b32_e64 v7, v27, v26, s[22:23]
	v_add_u32_e32 v8, 1, v6
	v_add_u32_e32 v6, -1, v7
	v_min_u32_e32 v6, v8, v6
	v_lshl_add_u32 v6, v6, 3, v35
	ds_read_b64 v[6:7], v6
	v_cndmask_b32_e64 v39, v8, v12, s[22:23]
	v_cndmask_b32_e64 v40, v13, v8, s[22:23]
	v_cmp_lt_u32_e32 vcc, v39, v27
	s_waitcnt lgkmcnt(0)
	v_cndmask_b32_e64 v10, v7, v14, s[22:23]
	v_cndmask_b32_e64 v17, v6, v15, s[22:23]
	;; [unrolled: 1-line block ×4, first 2 shown]
	s_and_saveexec_b64 s[26:27], vcc
	s_cbranch_execz .LBB627_436
; %bb.426:
	v_cmp_lt_u32_e32 vcc, v40, v26
	s_mov_b64 s[2:3], 0
	s_and_saveexec_b64 s[24:25], vcc
	s_cbranch_execz .LBB627_435
; %bb.427:
	s_and_b64 vcc, exec, s[0:1]
	s_cbranch_vccnz .LBB627_433
; %bb.428:
	v_mul_lo_u32 v8, v10, s36
	v_mul_lo_u32 v9, v17, s37
	v_mad_u64_u32 v[6:7], s[2:3], v17, s36, 0
	v_add3_u32 v7, v7, v9, v8
	v_mul_lo_u32 v12, v11, s36
	v_mul_lo_u32 v13, v23, s37
	v_mad_u64_u32 v[8:9], s[2:3], v23, s36, 0
	v_add3_u32 v9, v9, v13, v12
	v_lshl_add_u64 v[6:7], v[6:7], 1, s[38:39]
	v_lshl_add_u64 v[8:9], v[8:9], 1, s[38:39]
	s_mov_b64 s[28:29], 0
	s_mov_b64 s[42:43], s[36:37]
                                        ; implicit-def: $sgpr30_sgpr31
                                        ; implicit-def: $sgpr40_sgpr41
                                        ; implicit-def: $sgpr2_sgpr3
                                        ; implicit-def: $sgpr44_sgpr45
	s_branch .LBB627_430
.LBB627_429:                            ;   in Loop: Header=BB627_430 Depth=1
	s_or_b64 exec, exec, s[48:49]
	s_and_b64 s[4:5], exec, s[40:41]
	s_or_b64 s[28:29], s[4:5], s[28:29]
	s_andn2_b64 s[4:5], s[44:45], exec
	s_and_b64 s[44:45], s[46:47], exec
	s_or_b64 s[44:45], s[4:5], s[44:45]
	s_andn2_b64 s[4:5], s[30:31], exec
	s_and_b64 s[30:31], s[2:3], exec
	s_or_b64 s[30:31], s[4:5], s[30:31]
	s_andn2_b64 exec, exec, s[28:29]
	s_cbranch_execz .LBB627_432
.LBB627_430:                            ; =>This Inner Loop Header: Depth=1
	global_load_ushort v12, v[6:7], off
	global_load_ushort v13, v[8:9], off
	s_andn2_b64 s[48:49], s[2:3], exec
	s_or_b64 s[40:41], s[40:41], exec
	s_waitcnt vmcnt(0)
	v_cmp_le_i16_e64 s[2:3], v12, v13
	v_cmp_lt_i16_e32 vcc, v12, v13
	s_and_b64 s[2:3], s[2:3], s[44:45]
	s_or_b64 s[46:47], vcc, s[2:3]
	s_and_b64 s[2:3], s[46:47], exec
	v_cmp_eq_u16_e64 s[4:5], v12, v13
	s_or_b64 s[2:3], s[48:49], s[2:3]
	s_and_saveexec_b64 s[48:49], s[4:5]
	s_cbranch_execz .LBB627_429
; %bb.431:                              ;   in Loop: Header=BB627_430 Depth=1
	s_add_u32 s42, s42, -1
	s_addc_u32 s43, s43, -1
	s_cmp_eq_u64 s[42:43], 0
	s_cselect_b64 s[4:5], -1, 0
	s_andn2_b64 s[40:41], s[40:41], exec
	s_and_b64 s[4:5], s[4:5], exec
	v_lshl_add_u64 v[6:7], v[6:7], 0, 2
	v_lshl_add_u64 v[8:9], v[8:9], 0, 2
	s_andn2_b64 s[2:3], s[2:3], exec
	s_or_b64 s[40:41], s[40:41], s[4:5]
                                        ; implicit-def: $sgpr44_sgpr45
	s_branch .LBB627_429
.LBB627_432:
	s_or_b64 exec, exec, s[28:29]
	s_xor_b64 s[2:3], s[30:31], -1
	s_branch .LBB627_434
.LBB627_433:
	s_mov_b64 s[2:3], -1
.LBB627_434:
	s_and_b64 s[2:3], s[2:3], exec
.LBB627_435:
	s_or_b64 exec, exec, s[24:25]
	s_orn2_b64 s[24:25], s[2:3], exec
.LBB627_436:
	s_or_b64 exec, exec, s[26:27]
	v_cndmask_b32_e64 v6, v39, v40, s[24:25]
	v_cndmask_b32_e64 v7, v27, v26, s[24:25]
	v_add_u32_e32 v8, 1, v6
	v_add_u32_e32 v6, -1, v7
	v_min_u32_e32 v6, v8, v6
	v_lshl_add_u32 v6, v6, 3, v35
	ds_read_b64 v[6:7], v6
	v_cndmask_b32_e64 v43, v8, v39, s[24:25]
	v_cndmask_b32_e64 v44, v40, v8, s[24:25]
	v_cmp_lt_u32_e32 vcc, v43, v27
	s_mov_b64 s[28:29], -1
	s_waitcnt lgkmcnt(0)
	v_cndmask_b32_e64 v12, v7, v10, s[24:25]
	v_cndmask_b32_e64 v24, v6, v17, s[24:25]
	;; [unrolled: 1-line block ×4, first 2 shown]
	s_mov_b64 s[26:27], -1
	s_and_saveexec_b64 s[30:31], vcc
	s_cbranch_execz .LBB627_447
; %bb.437:
	v_cmp_lt_u32_e32 vcc, v44, v26
	s_mov_b64 s[2:3], 0
	s_and_saveexec_b64 s[26:27], vcc
	s_cbranch_execz .LBB627_446
; %bb.438:
	s_and_b64 vcc, exec, s[0:1]
	s_cbranch_vccnz .LBB627_444
; %bb.439:
	v_mul_lo_u32 v8, v12, s36
	v_mul_lo_u32 v9, v24, s37
	v_mad_u64_u32 v[6:7], s[2:3], v24, s36, 0
	v_add3_u32 v7, v7, v9, v8
	v_mul_lo_u32 v39, v13, s36
	v_mul_lo_u32 v40, v25, s37
	v_mad_u64_u32 v[8:9], s[2:3], v25, s36, 0
	v_add3_u32 v9, v9, v40, v39
	v_lshl_add_u64 v[6:7], v[6:7], 1, s[38:39]
	v_lshl_add_u64 v[8:9], v[8:9], 1, s[38:39]
	s_mov_b64 s[40:41], 0
	s_mov_b64 s[46:47], s[36:37]
                                        ; implicit-def: $sgpr42_sgpr43
                                        ; implicit-def: $sgpr44_sgpr45
                                        ; implicit-def: $sgpr2_sgpr3
                                        ; implicit-def: $sgpr48_sgpr49
	s_branch .LBB627_441
.LBB627_440:                            ;   in Loop: Header=BB627_441 Depth=1
	s_or_b64 exec, exec, s[52:53]
	s_and_b64 s[4:5], exec, s[44:45]
	s_or_b64 s[40:41], s[4:5], s[40:41]
	s_andn2_b64 s[4:5], s[48:49], exec
	s_and_b64 s[48:49], s[50:51], exec
	s_or_b64 s[48:49], s[4:5], s[48:49]
	s_andn2_b64 s[4:5], s[42:43], exec
	s_and_b64 s[42:43], s[2:3], exec
	s_or_b64 s[42:43], s[4:5], s[42:43]
	s_andn2_b64 exec, exec, s[40:41]
	s_cbranch_execz .LBB627_443
.LBB627_441:                            ; =>This Inner Loop Header: Depth=1
	global_load_ushort v39, v[6:7], off
	global_load_ushort v40, v[8:9], off
	s_andn2_b64 s[52:53], s[2:3], exec
	s_or_b64 s[44:45], s[44:45], exec
	s_waitcnt vmcnt(0)
	v_cmp_le_i16_e64 s[2:3], v39, v40
	v_cmp_lt_i16_e32 vcc, v39, v40
	s_and_b64 s[2:3], s[2:3], s[48:49]
	s_or_b64 s[50:51], vcc, s[2:3]
	s_and_b64 s[2:3], s[50:51], exec
	v_cmp_eq_u16_e64 s[4:5], v39, v40
	s_or_b64 s[2:3], s[52:53], s[2:3]
	s_and_saveexec_b64 s[52:53], s[4:5]
	s_cbranch_execz .LBB627_440
; %bb.442:                              ;   in Loop: Header=BB627_441 Depth=1
	s_add_u32 s46, s46, -1
	s_addc_u32 s47, s47, -1
	s_cmp_eq_u64 s[46:47], 0
	s_cselect_b64 s[4:5], -1, 0
	s_andn2_b64 s[44:45], s[44:45], exec
	s_and_b64 s[4:5], s[4:5], exec
	v_lshl_add_u64 v[6:7], v[6:7], 0, 2
	v_lshl_add_u64 v[8:9], v[8:9], 0, 2
	s_andn2_b64 s[2:3], s[2:3], exec
	s_or_b64 s[44:45], s[44:45], s[4:5]
                                        ; implicit-def: $sgpr48_sgpr49
	s_branch .LBB627_440
.LBB627_443:
	s_or_b64 exec, exec, s[40:41]
	s_xor_b64 s[2:3], s[42:43], -1
	s_branch .LBB627_445
.LBB627_444:
	s_mov_b64 s[2:3], -1
.LBB627_445:
	s_and_b64 s[2:3], s[2:3], exec
.LBB627_446:
	s_or_b64 exec, exec, s[26:27]
	s_orn2_b64 s[26:27], s[2:3], exec
.LBB627_447:
	s_or_b64 exec, exec, s[30:31]
	v_cndmask_b32_e64 v6, v43, v44, s[26:27]
	v_cndmask_b32_e64 v7, v27, v26, s[26:27]
	v_add_u32_e32 v8, 1, v6
	v_add_u32_e32 v6, -1, v7
	v_min_u32_e32 v6, v8, v6
	v_lshl_add_u32 v6, v6, 3, v35
	ds_read_b64 v[6:7], v6
	v_cndmask_b32_e64 v47, v8, v43, s[26:27]
	v_cndmask_b32_e64 v48, v44, v8, s[26:27]
	v_cmp_lt_u32_e32 vcc, v47, v27
	s_waitcnt lgkmcnt(0)
	v_cndmask_b32_e64 v39, v7, v12, s[26:27]
	v_cndmask_b32_e64 v40, v6, v24, s[26:27]
	;; [unrolled: 1-line block ×4, first 2 shown]
	s_and_saveexec_b64 s[30:31], vcc
	s_cbranch_execz .LBB627_458
; %bb.448:
	v_cmp_lt_u32_e32 vcc, v48, v26
	s_mov_b64 s[2:3], 0
	s_and_saveexec_b64 s[28:29], vcc
	s_cbranch_execz .LBB627_457
; %bb.449:
	s_and_b64 vcc, exec, s[0:1]
	s_cbranch_vccnz .LBB627_455
; %bb.450:
	v_mul_lo_u32 v8, v39, s36
	v_mul_lo_u32 v9, v40, s37
	v_mad_u64_u32 v[6:7], s[2:3], v40, s36, 0
	v_add3_u32 v7, v7, v9, v8
	v_mul_lo_u32 v43, v41, s36
	v_mul_lo_u32 v44, v42, s37
	v_mad_u64_u32 v[8:9], s[2:3], v42, s36, 0
	v_add3_u32 v9, v9, v44, v43
	v_lshl_add_u64 v[6:7], v[6:7], 1, s[38:39]
	v_lshl_add_u64 v[8:9], v[8:9], 1, s[38:39]
	s_mov_b64 s[40:41], 0
	s_mov_b64 s[46:47], s[36:37]
                                        ; implicit-def: $sgpr42_sgpr43
                                        ; implicit-def: $sgpr44_sgpr45
                                        ; implicit-def: $sgpr2_sgpr3
                                        ; implicit-def: $sgpr48_sgpr49
	s_branch .LBB627_452
.LBB627_451:                            ;   in Loop: Header=BB627_452 Depth=1
	s_or_b64 exec, exec, s[52:53]
	s_and_b64 s[4:5], exec, s[44:45]
	s_or_b64 s[40:41], s[4:5], s[40:41]
	s_andn2_b64 s[4:5], s[48:49], exec
	s_and_b64 s[48:49], s[50:51], exec
	s_or_b64 s[48:49], s[4:5], s[48:49]
	s_andn2_b64 s[4:5], s[42:43], exec
	s_and_b64 s[42:43], s[2:3], exec
	s_or_b64 s[42:43], s[4:5], s[42:43]
	s_andn2_b64 exec, exec, s[40:41]
	s_cbranch_execz .LBB627_454
.LBB627_452:                            ; =>This Inner Loop Header: Depth=1
	global_load_ushort v43, v[6:7], off
	global_load_ushort v44, v[8:9], off
	s_andn2_b64 s[52:53], s[2:3], exec
	s_or_b64 s[44:45], s[44:45], exec
	s_waitcnt vmcnt(0)
	v_cmp_le_i16_e64 s[2:3], v43, v44
	v_cmp_lt_i16_e32 vcc, v43, v44
	s_and_b64 s[2:3], s[2:3], s[48:49]
	s_or_b64 s[50:51], vcc, s[2:3]
	s_and_b64 s[2:3], s[50:51], exec
	v_cmp_eq_u16_e64 s[4:5], v43, v44
	s_or_b64 s[2:3], s[52:53], s[2:3]
	s_and_saveexec_b64 s[52:53], s[4:5]
	s_cbranch_execz .LBB627_451
; %bb.453:                              ;   in Loop: Header=BB627_452 Depth=1
	s_add_u32 s46, s46, -1
	s_addc_u32 s47, s47, -1
	s_cmp_eq_u64 s[46:47], 0
	s_cselect_b64 s[4:5], -1, 0
	s_andn2_b64 s[44:45], s[44:45], exec
	s_and_b64 s[4:5], s[4:5], exec
	v_lshl_add_u64 v[6:7], v[6:7], 0, 2
	v_lshl_add_u64 v[8:9], v[8:9], 0, 2
	s_andn2_b64 s[2:3], s[2:3], exec
	s_or_b64 s[44:45], s[44:45], s[4:5]
                                        ; implicit-def: $sgpr48_sgpr49
	s_branch .LBB627_451
.LBB627_454:
	s_or_b64 exec, exec, s[40:41]
	s_xor_b64 s[2:3], s[42:43], -1
	s_branch .LBB627_456
.LBB627_455:
	s_mov_b64 s[2:3], -1
.LBB627_456:
	s_and_b64 s[2:3], s[2:3], exec
.LBB627_457:
	s_or_b64 exec, exec, s[28:29]
	s_orn2_b64 s[28:29], s[2:3], exec
.LBB627_458:
	s_or_b64 exec, exec, s[30:31]
	v_cndmask_b32_e64 v6, v47, v48, s[28:29]
	v_cndmask_b32_e64 v7, v27, v26, s[28:29]
	v_add_u32_e32 v8, 1, v6
	v_add_u32_e32 v6, -1, v7
	v_min_u32_e32 v6, v8, v6
	v_lshl_add_u32 v6, v6, 3, v35
	ds_read_b64 v[6:7], v6
	v_cndmask_b32_e64 v49, v8, v47, s[28:29]
	v_cndmask_b32_e64 v53, v48, v8, s[28:29]
	v_cmp_lt_u32_e32 vcc, v49, v27
	s_mov_b64 s[30:31], -1
	s_waitcnt lgkmcnt(0)
	v_cndmask_b32_e64 v43, v7, v39, s[28:29]
	v_cndmask_b32_e64 v44, v6, v40, s[28:29]
	;; [unrolled: 1-line block ×4, first 2 shown]
	s_mov_b64 s[40:41], -1
	s_and_saveexec_b64 s[42:43], vcc
	s_cbranch_execz .LBB627_469
; %bb.459:
	v_cmp_lt_u32_e32 vcc, v53, v26
	s_mov_b64 s[2:3], 0
	s_and_saveexec_b64 s[40:41], vcc
	s_cbranch_execz .LBB627_468
; %bb.460:
	s_and_b64 vcc, exec, s[0:1]
	s_cbranch_vccnz .LBB627_466
; %bb.461:
	v_mul_lo_u32 v8, v43, s36
	v_mul_lo_u32 v9, v44, s37
	v_mad_u64_u32 v[6:7], s[2:3], v44, s36, 0
	v_add3_u32 v7, v7, v9, v8
	v_mul_lo_u32 v47, v45, s36
	v_mul_lo_u32 v48, v46, s37
	v_mad_u64_u32 v[8:9], s[2:3], v46, s36, 0
	v_add3_u32 v9, v9, v48, v47
	v_lshl_add_u64 v[6:7], v[6:7], 1, s[38:39]
	v_lshl_add_u64 v[8:9], v[8:9], 1, s[38:39]
	s_mov_b64 s[44:45], 0
	s_mov_b64 s[50:51], s[36:37]
                                        ; implicit-def: $sgpr46_sgpr47
                                        ; implicit-def: $sgpr48_sgpr49
                                        ; implicit-def: $sgpr2_sgpr3
                                        ; implicit-def: $sgpr52_sgpr53
	s_branch .LBB627_463
.LBB627_462:                            ;   in Loop: Header=BB627_463 Depth=1
	s_or_b64 exec, exec, s[56:57]
	s_and_b64 s[4:5], exec, s[48:49]
	s_or_b64 s[44:45], s[4:5], s[44:45]
	s_andn2_b64 s[4:5], s[52:53], exec
	s_and_b64 s[52:53], s[54:55], exec
	s_or_b64 s[52:53], s[4:5], s[52:53]
	s_andn2_b64 s[4:5], s[46:47], exec
	s_and_b64 s[46:47], s[2:3], exec
	s_or_b64 s[46:47], s[4:5], s[46:47]
	s_andn2_b64 exec, exec, s[44:45]
	s_cbranch_execz .LBB627_465
.LBB627_463:                            ; =>This Inner Loop Header: Depth=1
	global_load_ushort v47, v[6:7], off
	global_load_ushort v48, v[8:9], off
	s_andn2_b64 s[56:57], s[2:3], exec
	s_or_b64 s[48:49], s[48:49], exec
	s_waitcnt vmcnt(0)
	v_cmp_le_i16_e64 s[2:3], v47, v48
	v_cmp_lt_i16_e32 vcc, v47, v48
	s_and_b64 s[2:3], s[2:3], s[52:53]
	s_or_b64 s[54:55], vcc, s[2:3]
	s_and_b64 s[2:3], s[54:55], exec
	v_cmp_eq_u16_e64 s[4:5], v47, v48
	s_or_b64 s[2:3], s[56:57], s[2:3]
	s_and_saveexec_b64 s[56:57], s[4:5]
	s_cbranch_execz .LBB627_462
; %bb.464:                              ;   in Loop: Header=BB627_463 Depth=1
	s_add_u32 s50, s50, -1
	s_addc_u32 s51, s51, -1
	s_cmp_eq_u64 s[50:51], 0
	s_cselect_b64 s[4:5], -1, 0
	s_andn2_b64 s[48:49], s[48:49], exec
	s_and_b64 s[4:5], s[4:5], exec
	v_lshl_add_u64 v[6:7], v[6:7], 0, 2
	v_lshl_add_u64 v[8:9], v[8:9], 0, 2
	s_andn2_b64 s[2:3], s[2:3], exec
	s_or_b64 s[48:49], s[48:49], s[4:5]
                                        ; implicit-def: $sgpr52_sgpr53
	s_branch .LBB627_462
.LBB627_465:
	s_or_b64 exec, exec, s[44:45]
	s_xor_b64 s[2:3], s[46:47], -1
	s_branch .LBB627_467
.LBB627_466:
	s_mov_b64 s[2:3], -1
.LBB627_467:
	s_and_b64 s[2:3], s[2:3], exec
.LBB627_468:
	s_or_b64 exec, exec, s[40:41]
	s_orn2_b64 s[40:41], s[2:3], exec
.LBB627_469:
	s_or_b64 exec, exec, s[42:43]
	v_cndmask_b32_e64 v6, v49, v53, s[40:41]
	v_cndmask_b32_e64 v7, v27, v26, s[40:41]
	v_add_u32_e32 v8, 1, v6
	v_add_u32_e32 v6, -1, v7
	v_min_u32_e32 v6, v8, v6
	v_lshl_add_u32 v6, v6, 3, v35
	ds_read_b64 v[6:7], v6
	v_cndmask_b32_e64 v50, v8, v49, s[40:41]
	v_cndmask_b32_e64 v49, v53, v8, s[40:41]
	v_cmp_lt_u32_e32 vcc, v50, v27
	s_waitcnt lgkmcnt(0)
	v_cndmask_b32_e64 v47, v7, v43, s[40:41]
	v_cndmask_b32_e64 v48, v6, v44, s[40:41]
	;; [unrolled: 1-line block ×4, first 2 shown]
	s_and_saveexec_b64 s[42:43], vcc
	s_cbranch_execz .LBB627_480
; %bb.470:
	v_cmp_lt_u32_e32 vcc, v49, v26
	s_mov_b64 s[2:3], 0
	s_and_saveexec_b64 s[30:31], vcc
	s_cbranch_execz .LBB627_479
; %bb.471:
	s_and_b64 vcc, exec, s[0:1]
	s_cbranch_vccnz .LBB627_477
; %bb.472:
	v_mul_lo_u32 v8, v47, s36
	v_mul_lo_u32 v9, v48, s37
	v_mad_u64_u32 v[6:7], s[2:3], v48, s36, 0
	v_add3_u32 v7, v7, v9, v8
	v_mul_lo_u32 v53, v51, s36
	v_mul_lo_u32 v54, v52, s37
	v_mad_u64_u32 v[8:9], s[2:3], v52, s36, 0
	v_add3_u32 v9, v9, v54, v53
	v_lshl_add_u64 v[6:7], v[6:7], 1, s[38:39]
	v_lshl_add_u64 v[8:9], v[8:9], 1, s[38:39]
	s_mov_b64 s[44:45], 0
	s_mov_b64 s[50:51], s[36:37]
                                        ; implicit-def: $sgpr46_sgpr47
                                        ; implicit-def: $sgpr48_sgpr49
                                        ; implicit-def: $sgpr2_sgpr3
                                        ; implicit-def: $sgpr52_sgpr53
	s_branch .LBB627_474
.LBB627_473:                            ;   in Loop: Header=BB627_474 Depth=1
	s_or_b64 exec, exec, s[56:57]
	s_and_b64 s[4:5], exec, s[48:49]
	s_or_b64 s[44:45], s[4:5], s[44:45]
	s_andn2_b64 s[4:5], s[52:53], exec
	s_and_b64 s[52:53], s[54:55], exec
	s_or_b64 s[52:53], s[4:5], s[52:53]
	s_andn2_b64 s[4:5], s[46:47], exec
	s_and_b64 s[46:47], s[2:3], exec
	s_or_b64 s[46:47], s[4:5], s[46:47]
	s_andn2_b64 exec, exec, s[44:45]
	s_cbranch_execz .LBB627_476
.LBB627_474:                            ; =>This Inner Loop Header: Depth=1
	global_load_ushort v53, v[6:7], off
	global_load_ushort v54, v[8:9], off
	s_andn2_b64 s[56:57], s[2:3], exec
	s_or_b64 s[48:49], s[48:49], exec
	s_waitcnt vmcnt(0)
	v_cmp_le_i16_e64 s[2:3], v53, v54
	v_cmp_lt_i16_e32 vcc, v53, v54
	s_and_b64 s[2:3], s[2:3], s[52:53]
	s_or_b64 s[54:55], vcc, s[2:3]
	s_and_b64 s[2:3], s[54:55], exec
	v_cmp_eq_u16_e64 s[4:5], v53, v54
	s_or_b64 s[2:3], s[56:57], s[2:3]
	s_and_saveexec_b64 s[56:57], s[4:5]
	s_cbranch_execz .LBB627_473
; %bb.475:                              ;   in Loop: Header=BB627_474 Depth=1
	s_add_u32 s50, s50, -1
	s_addc_u32 s51, s51, -1
	s_cmp_eq_u64 s[50:51], 0
	s_cselect_b64 s[4:5], -1, 0
	s_andn2_b64 s[48:49], s[48:49], exec
	s_and_b64 s[4:5], s[4:5], exec
	v_lshl_add_u64 v[6:7], v[6:7], 0, 2
	v_lshl_add_u64 v[8:9], v[8:9], 0, 2
	s_andn2_b64 s[2:3], s[2:3], exec
	s_or_b64 s[48:49], s[48:49], s[4:5]
                                        ; implicit-def: $sgpr52_sgpr53
	s_branch .LBB627_473
.LBB627_476:
	s_or_b64 exec, exec, s[44:45]
	s_xor_b64 s[2:3], s[46:47], -1
	s_branch .LBB627_478
.LBB627_477:
	s_mov_b64 s[2:3], -1
.LBB627_478:
	s_and_b64 s[2:3], s[2:3], exec
.LBB627_479:
	s_or_b64 exec, exec, s[30:31]
	s_orn2_b64 s[30:31], s[2:3], exec
.LBB627_480:
	s_or_b64 exec, exec, s[42:43]
	v_cndmask_b32_e64 v11, v10, v11, s[24:25]
	v_cndmask_b32_e64 v10, v17, v23, s[24:25]
	;; [unrolled: 1-line block ×8, first 2 shown]
	v_add_u32_e32 v24, 1, v14
	v_add_u32_e32 v14, -1, v15
	v_min_u32_e32 v14, v24, v14
	v_lshl_add_u32 v14, v14, 3, v35
	ds_read_b64 v[22:23], v14
	v_cndmask_b32_e64 v25, v24, v50, s[30:31]
	v_cndmask_b32_e64 v9, v43, v45, s[40:41]
	;; [unrolled: 1-line block ×9, first 2 shown]
	s_waitcnt lgkmcnt(0)
	v_cndmask_b32_e64 v5, v51, v23, s[30:31]
	v_cndmask_b32_e64 v4, v52, v22, s[30:31]
	v_cmp_lt_u32_e32 vcc, v25, v27
	s_and_saveexec_b64 s[12:13], vcc
	s_cbranch_execz .LBB627_490
; %bb.481:
	v_cndmask_b32_e64 v24, v49, v24, s[30:31]
	v_cndmask_b32_e64 v23, v23, v47, s[30:31]
	;; [unrolled: 1-line block ×3, first 2 shown]
	v_cmp_lt_u32_e32 vcc, v24, v26
	s_and_saveexec_b64 s[22:23], vcc
	s_cbranch_execz .LBB627_489
; %bb.482:
	s_and_b64 vcc, exec, s[0:1]
	s_cbranch_vccnz .LBB627_488
; %bb.483:
	v_mul_lo_u32 v26, v23, s36
	v_mul_lo_u32 v27, v22, s37
	v_mad_u64_u32 v[24:25], s[2:3], v22, s36, 0
	v_add3_u32 v25, v25, v27, v26
	v_mul_lo_u32 v39, v5, s36
	v_mul_lo_u32 v40, v4, s37
	v_mad_u64_u32 v[26:27], s[2:3], v4, s36, 0
	v_add3_u32 v27, v27, v40, v39
	v_lshl_add_u64 v[24:25], v[24:25], 1, s[38:39]
	v_lshl_add_u64 v[26:27], v[26:27], 1, s[38:39]
	s_mov_b64 s[24:25], 0
	s_mov_b64 s[30:31], s[36:37]
                                        ; implicit-def: $sgpr26_sgpr27
                                        ; implicit-def: $sgpr28_sgpr29
                                        ; implicit-def: $sgpr2_sgpr3
                                        ; implicit-def: $sgpr40_sgpr41
	s_branch .LBB627_485
.LBB627_484:                            ;   in Loop: Header=BB627_485 Depth=1
	s_or_b64 exec, exec, s[44:45]
	s_and_b64 s[4:5], exec, s[28:29]
	s_or_b64 s[24:25], s[4:5], s[24:25]
	s_andn2_b64 s[4:5], s[40:41], exec
	s_and_b64 s[40:41], s[42:43], exec
	s_or_b64 s[40:41], s[4:5], s[40:41]
	s_andn2_b64 s[4:5], s[26:27], exec
	s_and_b64 s[26:27], s[2:3], exec
	s_or_b64 s[26:27], s[4:5], s[26:27]
	s_andn2_b64 exec, exec, s[24:25]
	s_cbranch_execz .LBB627_487
.LBB627_485:                            ; =>This Inner Loop Header: Depth=1
	global_load_ushort v39, v[24:25], off
	global_load_ushort v40, v[26:27], off
	s_andn2_b64 s[44:45], s[2:3], exec
	s_or_b64 s[28:29], s[28:29], exec
	s_waitcnt vmcnt(0)
	v_cmp_le_i16_e64 s[2:3], v39, v40
	v_cmp_lt_i16_e32 vcc, v39, v40
	s_and_b64 s[2:3], s[2:3], s[40:41]
	s_or_b64 s[42:43], vcc, s[2:3]
	s_and_b64 s[2:3], s[42:43], exec
	v_cmp_eq_u16_e64 s[4:5], v39, v40
	s_or_b64 s[2:3], s[44:45], s[2:3]
	s_and_saveexec_b64 s[44:45], s[4:5]
	s_cbranch_execz .LBB627_484
; %bb.486:                              ;   in Loop: Header=BB627_485 Depth=1
	s_add_u32 s30, s30, -1
	s_addc_u32 s31, s31, -1
	s_cmp_eq_u64 s[30:31], 0
	s_cselect_b64 s[4:5], -1, 0
	s_andn2_b64 s[28:29], s[28:29], exec
	s_and_b64 s[4:5], s[4:5], exec
	v_lshl_add_u64 v[24:25], v[24:25], 0, 2
	v_lshl_add_u64 v[26:27], v[26:27], 0, 2
	s_andn2_b64 s[2:3], s[2:3], exec
	s_or_b64 s[28:29], s[28:29], s[4:5]
                                        ; implicit-def: $sgpr40_sgpr41
	s_branch .LBB627_484
.LBB627_487:
	s_or_b64 exec, exec, s[24:25]
	v_cndmask_b32_e64 v5, v5, v23, s[26:27]
	v_cndmask_b32_e64 v4, v4, v22, s[26:27]
.LBB627_488:
	v_mov_b64_e32 v[22:23], v[4:5]
.LBB627_489:
	s_or_b64 exec, exec, s[22:23]
	v_mov_b64_e32 v[4:5], v[22:23]
.LBB627_490:
	s_or_b64 exec, exec, s[12:13]
.LBB627_491:
	s_or_b64 exec, exec, s[10:11]
	; wave barrier
	ds_write_b128 v38, v[14:17]
	ds_write_b128 v38, v[10:13] offset:16
	ds_write_b128 v38, v[6:9] offset:32
	;; [unrolled: 1-line block ×3, first 2 shown]
	v_and_b32_e32 v38, 0x380, v37
	v_or_b32_e32 v22, 64, v38
	v_min_u32_e32 v26, v36, v22
	v_add_u32_e32 v22, 64, v26
	v_min_u32_e32 v27, v36, v22
	v_and_b32_e32 v22, 0x78, v37
	v_min_u32_e32 v39, v36, v22
	v_sub_u32_e32 v22, v26, v38
	v_sub_u32_e32 v23, v27, v26
	v_sub_u32_e64 v37, v39, v23 clamp
	v_min_u32_e32 v40, v39, v22
	v_lshl_add_u32 v36, v38, 3, v35
	v_cmp_lt_u32_e32 vcc, v37, v40
	; wave barrier
	s_and_saveexec_b64 s[10:11], vcc
	s_cbranch_execz .LBB627_501
; %bb.492:
	v_lshlrev_b32_e32 v22, 3, v26
	v_lshlrev_b32_e32 v23, 3, v39
	v_add3_u32 v41, v35, v22, v23
	s_lshl_b64 s[22:23], s[36:37], 1
	s_mov_b64 s[12:13], 0
	s_branch .LBB627_495
.LBB627_493:                            ;   in Loop: Header=BB627_495 Depth=1
	s_or_b64 exec, exec, s[26:27]
.LBB627_494:                            ;   in Loop: Header=BB627_495 Depth=1
	v_add_u32_e32 v22, 1, v42
	v_cndmask_b32_e64 v40, v40, v42, s[24:25]
	v_cndmask_b32_e64 v37, v22, v37, s[24:25]
	v_cmp_ge_u32_e32 vcc, v37, v40
	s_or_b64 s[12:13], vcc, s[12:13]
	s_andn2_b64 exec, exec, s[12:13]
	s_cbranch_execz .LBB627_500
.LBB627_495:                            ; =>This Loop Header: Depth=1
                                        ;     Child Loop BB627_498 Depth 2
	v_add_u32_e32 v22, v40, v37
	v_lshrrev_b32_e32 v42, 1, v22
	s_and_b64 vcc, exec, s[0:1]
	s_mov_b64 s[24:25], 0
	s_cbranch_vccnz .LBB627_494
; %bb.496:                              ;   in Loop: Header=BB627_495 Depth=1
	v_not_b32_e32 v22, v42
	v_lshl_add_u32 v22, v22, 3, v41
	ds_read_b64 v[22:23], v22
	v_lshl_add_u32 v43, v42, 3, v36
	ds_read_b64 v[44:45], v43
	v_mov_b64_e32 v[24:25], s[38:39]
	s_mov_b64 s[26:27], 0
	s_waitcnt lgkmcnt(1)
	v_mul_lo_u32 v43, s22, v23
	v_mul_lo_u32 v46, s23, v22
	v_mad_u64_u32 v[22:23], s[2:3], s22, v22, v[24:25]
	v_add3_u32 v23, v46, v23, v43
	s_waitcnt lgkmcnt(0)
	v_mul_lo_u32 v43, s22, v45
	v_mul_lo_u32 v45, s23, v44
	v_mad_u64_u32 v[24:25], s[2:3], s22, v44, v[24:25]
	v_add3_u32 v25, v45, v25, v43
	s_mov_b64 s[30:31], s[36:37]
                                        ; implicit-def: $sgpr24_sgpr25
                                        ; implicit-def: $sgpr28_sgpr29
                                        ; implicit-def: $sgpr2_sgpr3
                                        ; implicit-def: $sgpr40_sgpr41
	s_branch .LBB627_498
.LBB627_497:                            ;   in Loop: Header=BB627_498 Depth=2
	s_or_b64 exec, exec, s[44:45]
	s_and_b64 s[4:5], exec, s[28:29]
	s_or_b64 s[26:27], s[4:5], s[26:27]
	s_andn2_b64 s[4:5], s[40:41], exec
	s_and_b64 s[40:41], s[42:43], exec
	s_or_b64 s[40:41], s[4:5], s[40:41]
	s_andn2_b64 s[4:5], s[24:25], exec
	s_and_b64 s[24:25], s[2:3], exec
	s_or_b64 s[24:25], s[4:5], s[24:25]
	s_andn2_b64 exec, exec, s[26:27]
	s_cbranch_execz .LBB627_493
.LBB627_498:                            ;   Parent Loop BB627_495 Depth=1
                                        ; =>  This Inner Loop Header: Depth=2
	global_load_ushort v43, v[22:23], off
	global_load_ushort v44, v[24:25], off
	s_andn2_b64 s[44:45], s[2:3], exec
	s_or_b64 s[28:29], s[28:29], exec
	s_waitcnt vmcnt(0)
	v_cmp_le_i16_e64 s[2:3], v43, v44
	v_cmp_lt_i16_e32 vcc, v43, v44
	s_and_b64 s[2:3], s[2:3], s[40:41]
	s_or_b64 s[42:43], vcc, s[2:3]
	s_and_b64 s[2:3], s[42:43], exec
	v_cmp_eq_u16_e64 s[4:5], v43, v44
	s_or_b64 s[2:3], s[44:45], s[2:3]
	s_and_saveexec_b64 s[44:45], s[4:5]
	s_cbranch_execz .LBB627_497
; %bb.499:                              ;   in Loop: Header=BB627_498 Depth=2
	s_add_u32 s30, s30, -1
	s_addc_u32 s31, s31, -1
	s_cmp_eq_u64 s[30:31], 0
	s_cselect_b64 s[4:5], -1, 0
	s_andn2_b64 s[28:29], s[28:29], exec
	s_and_b64 s[4:5], s[4:5], exec
	v_lshl_add_u64 v[22:23], v[22:23], 0, 2
	v_lshl_add_u64 v[24:25], v[24:25], 0, 2
	s_andn2_b64 s[2:3], s[2:3], exec
	s_or_b64 s[28:29], s[28:29], s[4:5]
                                        ; implicit-def: $sgpr40_sgpr41
	s_branch .LBB627_497
.LBB627_500:
	s_or_b64 exec, exec, s[12:13]
.LBB627_501:
	s_or_b64 exec, exec, s[10:11]
	v_add_u32_e32 v22, v26, v39
	v_add_u32_e32 v23, v37, v38
	v_sub_u32_e32 v24, v22, v37
	v_cmp_le_u32_e32 vcc, v23, v26
	v_cmp_le_u32_e64 s[2:3], v24, v27
	s_or_b64 s[2:3], vcc, s[2:3]
	s_and_saveexec_b64 s[10:11], s[2:3]
	s_cbranch_execz .LBB627_592
; %bb.502:
	v_cmp_ge_u32_e32 vcc, v23, v26
	v_cmp_lt_u32_e64 s[2:3], v23, v26
                                        ; implicit-def: $vgpr2_vgpr3
	s_and_saveexec_b64 s[4:5], s[2:3]
; %bb.503:
	v_lshl_add_u32 v2, v37, 3, v36
	ds_read_b64 v[2:3], v2
; %bb.504:
	s_or_b64 exec, exec, s[4:5]
	v_cmp_ge_u32_e64 s[12:13], v24, v27
	v_cmp_lt_u32_e64 s[2:3], v24, v27
                                        ; implicit-def: $vgpr4_vgpr5
	s_and_saveexec_b64 s[4:5], s[2:3]
; %bb.505:
	v_lshl_add_u32 v4, v24, 3, v35
	ds_read_b64 v[4:5], v4
; %bb.506:
	s_or_b64 exec, exec, s[4:5]
	s_nor_b64 s[2:3], vcc, s[12:13]
	s_and_saveexec_b64 s[22:23], s[2:3]
	s_cbranch_execz .LBB627_515
; %bb.507:
	s_and_b64 vcc, exec, s[0:1]
	s_cbranch_vccnz .LBB627_513
; %bb.508:
	s_waitcnt lgkmcnt(0)
	v_mul_lo_u32 v8, v5, s36
	v_mul_lo_u32 v9, v4, s37
	v_mad_u64_u32 v[6:7], s[2:3], v4, s36, 0
	v_add3_u32 v7, v7, v9, v8
	v_mul_lo_u32 v10, v3, s36
	v_mul_lo_u32 v11, v2, s37
	v_mad_u64_u32 v[8:9], s[2:3], v2, s36, 0
	v_add3_u32 v9, v9, v11, v10
	v_lshl_add_u64 v[6:7], v[6:7], 1, s[38:39]
	v_lshl_add_u64 v[8:9], v[8:9], 1, s[38:39]
	s_mov_b64 s[24:25], 0
	s_mov_b64 s[30:31], s[36:37]
                                        ; implicit-def: $sgpr26_sgpr27
                                        ; implicit-def: $sgpr28_sgpr29
                                        ; implicit-def: $sgpr2_sgpr3
                                        ; implicit-def: $sgpr40_sgpr41
	s_branch .LBB627_510
.LBB627_509:                            ;   in Loop: Header=BB627_510 Depth=1
	s_or_b64 exec, exec, s[44:45]
	s_and_b64 s[4:5], exec, s[28:29]
	s_or_b64 s[24:25], s[4:5], s[24:25]
	s_andn2_b64 s[4:5], s[40:41], exec
	s_and_b64 s[40:41], s[42:43], exec
	s_or_b64 s[40:41], s[4:5], s[40:41]
	s_andn2_b64 s[4:5], s[26:27], exec
	s_and_b64 s[26:27], s[2:3], exec
	s_or_b64 s[26:27], s[4:5], s[26:27]
	s_andn2_b64 exec, exec, s[24:25]
	s_cbranch_execz .LBB627_512
.LBB627_510:                            ; =>This Inner Loop Header: Depth=1
	global_load_ushort v10, v[6:7], off
	global_load_ushort v11, v[8:9], off
	s_andn2_b64 s[44:45], s[2:3], exec
	s_or_b64 s[28:29], s[28:29], exec
	s_waitcnt vmcnt(0)
	v_cmp_le_i16_e64 s[2:3], v10, v11
	v_cmp_lt_i16_e32 vcc, v10, v11
	s_and_b64 s[2:3], s[2:3], s[40:41]
	s_or_b64 s[42:43], vcc, s[2:3]
	s_and_b64 s[2:3], s[42:43], exec
	v_cmp_eq_u16_e64 s[4:5], v10, v11
	s_or_b64 s[2:3], s[44:45], s[2:3]
	s_and_saveexec_b64 s[44:45], s[4:5]
	s_cbranch_execz .LBB627_509
; %bb.511:                              ;   in Loop: Header=BB627_510 Depth=1
	s_add_u32 s30, s30, -1
	s_addc_u32 s31, s31, -1
	s_cmp_eq_u64 s[30:31], 0
	s_cselect_b64 s[4:5], -1, 0
	s_andn2_b64 s[28:29], s[28:29], exec
	s_and_b64 s[4:5], s[4:5], exec
	v_lshl_add_u64 v[6:7], v[6:7], 0, 2
	v_lshl_add_u64 v[8:9], v[8:9], 0, 2
	s_andn2_b64 s[2:3], s[2:3], exec
	s_or_b64 s[28:29], s[28:29], s[4:5]
                                        ; implicit-def: $sgpr40_sgpr41
	s_branch .LBB627_509
.LBB627_512:
	s_or_b64 exec, exec, s[24:25]
	s_xor_b64 s[2:3], s[26:27], -1
	s_branch .LBB627_514
.LBB627_513:
	s_mov_b64 s[2:3], -1
.LBB627_514:
	s_andn2_b64 s[4:5], s[12:13], exec
	s_and_b64 s[2:3], s[2:3], exec
	s_or_b64 s[12:13], s[4:5], s[2:3]
.LBB627_515:
	s_or_b64 exec, exec, s[22:23]
	v_cndmask_b32_e64 v6, v24, v23, s[12:13]
	v_cndmask_b32_e64 v7, v27, v26, s[12:13]
	v_add_u32_e32 v8, 1, v6
	v_add_u32_e32 v6, -1, v7
	v_min_u32_e32 v6, v8, v6
	v_lshl_add_u32 v6, v6, 3, v35
	ds_read_b64 v[6:7], v6
	v_cndmask_b32_e64 v12, v8, v24, s[12:13]
	v_cndmask_b32_e64 v13, v23, v8, s[12:13]
	v_cmp_lt_u32_e32 vcc, v12, v27
	s_mov_b64 s[24:25], -1
	s_waitcnt lgkmcnt(0)
	v_cndmask_b32_e64 v14, v7, v5, s[12:13]
	v_cndmask_b32_e64 v15, v6, v4, s[12:13]
	;; [unrolled: 1-line block ×4, first 2 shown]
	s_mov_b64 s[22:23], -1
	s_and_saveexec_b64 s[26:27], vcc
	s_cbranch_execz .LBB627_526
; %bb.516:
	v_cmp_lt_u32_e32 vcc, v13, v26
	s_mov_b64 s[2:3], 0
	s_and_saveexec_b64 s[22:23], vcc
	s_cbranch_execz .LBB627_525
; %bb.517:
	s_and_b64 vcc, exec, s[0:1]
	s_cbranch_vccnz .LBB627_523
; %bb.518:
	v_mul_lo_u32 v8, v14, s36
	v_mul_lo_u32 v9, v15, s37
	v_mad_u64_u32 v[6:7], s[2:3], v15, s36, 0
	v_add3_u32 v7, v7, v9, v8
	v_mul_lo_u32 v10, v16, s36
	v_mul_lo_u32 v11, v22, s37
	v_mad_u64_u32 v[8:9], s[2:3], v22, s36, 0
	v_add3_u32 v9, v9, v11, v10
	v_lshl_add_u64 v[6:7], v[6:7], 1, s[38:39]
	v_lshl_add_u64 v[8:9], v[8:9], 1, s[38:39]
	s_mov_b64 s[28:29], 0
	s_mov_b64 s[42:43], s[36:37]
                                        ; implicit-def: $sgpr30_sgpr31
                                        ; implicit-def: $sgpr40_sgpr41
                                        ; implicit-def: $sgpr2_sgpr3
                                        ; implicit-def: $sgpr44_sgpr45
	s_branch .LBB627_520
.LBB627_519:                            ;   in Loop: Header=BB627_520 Depth=1
	s_or_b64 exec, exec, s[48:49]
	s_and_b64 s[4:5], exec, s[40:41]
	s_or_b64 s[28:29], s[4:5], s[28:29]
	s_andn2_b64 s[4:5], s[44:45], exec
	s_and_b64 s[44:45], s[46:47], exec
	s_or_b64 s[44:45], s[4:5], s[44:45]
	s_andn2_b64 s[4:5], s[30:31], exec
	s_and_b64 s[30:31], s[2:3], exec
	s_or_b64 s[30:31], s[4:5], s[30:31]
	s_andn2_b64 exec, exec, s[28:29]
	s_cbranch_execz .LBB627_522
.LBB627_520:                            ; =>This Inner Loop Header: Depth=1
	global_load_ushort v10, v[6:7], off
	global_load_ushort v11, v[8:9], off
	s_andn2_b64 s[48:49], s[2:3], exec
	s_or_b64 s[40:41], s[40:41], exec
	s_waitcnt vmcnt(0)
	v_cmp_le_i16_e64 s[2:3], v10, v11
	v_cmp_lt_i16_e32 vcc, v10, v11
	s_and_b64 s[2:3], s[2:3], s[44:45]
	s_or_b64 s[46:47], vcc, s[2:3]
	s_and_b64 s[2:3], s[46:47], exec
	v_cmp_eq_u16_e64 s[4:5], v10, v11
	s_or_b64 s[2:3], s[48:49], s[2:3]
	s_and_saveexec_b64 s[48:49], s[4:5]
	s_cbranch_execz .LBB627_519
; %bb.521:                              ;   in Loop: Header=BB627_520 Depth=1
	s_add_u32 s42, s42, -1
	s_addc_u32 s43, s43, -1
	s_cmp_eq_u64 s[42:43], 0
	s_cselect_b64 s[4:5], -1, 0
	s_andn2_b64 s[40:41], s[40:41], exec
	s_and_b64 s[4:5], s[4:5], exec
	v_lshl_add_u64 v[6:7], v[6:7], 0, 2
	v_lshl_add_u64 v[8:9], v[8:9], 0, 2
	s_andn2_b64 s[2:3], s[2:3], exec
	s_or_b64 s[40:41], s[40:41], s[4:5]
                                        ; implicit-def: $sgpr44_sgpr45
	s_branch .LBB627_519
.LBB627_522:
	s_or_b64 exec, exec, s[28:29]
	s_xor_b64 s[2:3], s[30:31], -1
	s_branch .LBB627_524
.LBB627_523:
	s_mov_b64 s[2:3], -1
.LBB627_524:
	s_and_b64 s[2:3], s[2:3], exec
.LBB627_525:
	s_or_b64 exec, exec, s[22:23]
	s_orn2_b64 s[22:23], s[2:3], exec
.LBB627_526:
	s_or_b64 exec, exec, s[26:27]
	v_cndmask_b32_e64 v6, v12, v13, s[22:23]
	v_cndmask_b32_e64 v7, v27, v26, s[22:23]
	v_add_u32_e32 v8, 1, v6
	v_add_u32_e32 v6, -1, v7
	v_min_u32_e32 v6, v8, v6
	v_lshl_add_u32 v6, v6, 3, v35
	ds_read_b64 v[6:7], v6
	v_cndmask_b32_e64 v36, v8, v12, s[22:23]
	v_cndmask_b32_e64 v37, v13, v8, s[22:23]
	v_cmp_lt_u32_e32 vcc, v36, v27
	s_waitcnt lgkmcnt(0)
	v_cndmask_b32_e64 v10, v7, v14, s[22:23]
	v_cndmask_b32_e64 v17, v6, v15, s[22:23]
	v_cndmask_b32_e64 v11, v16, v7, s[22:23]
	v_cndmask_b32_e64 v23, v22, v6, s[22:23]
	s_and_saveexec_b64 s[26:27], vcc
	s_cbranch_execz .LBB627_537
; %bb.527:
	v_cmp_lt_u32_e32 vcc, v37, v26
	s_mov_b64 s[2:3], 0
	s_and_saveexec_b64 s[24:25], vcc
	s_cbranch_execz .LBB627_536
; %bb.528:
	s_and_b64 vcc, exec, s[0:1]
	s_cbranch_vccnz .LBB627_534
; %bb.529:
	v_mul_lo_u32 v8, v10, s36
	v_mul_lo_u32 v9, v17, s37
	v_mad_u64_u32 v[6:7], s[2:3], v17, s36, 0
	v_add3_u32 v7, v7, v9, v8
	v_mul_lo_u32 v12, v11, s36
	v_mul_lo_u32 v13, v23, s37
	v_mad_u64_u32 v[8:9], s[2:3], v23, s36, 0
	v_add3_u32 v9, v9, v13, v12
	v_lshl_add_u64 v[6:7], v[6:7], 1, s[38:39]
	v_lshl_add_u64 v[8:9], v[8:9], 1, s[38:39]
	s_mov_b64 s[28:29], 0
	s_mov_b64 s[42:43], s[36:37]
                                        ; implicit-def: $sgpr30_sgpr31
                                        ; implicit-def: $sgpr40_sgpr41
                                        ; implicit-def: $sgpr2_sgpr3
                                        ; implicit-def: $sgpr44_sgpr45
	s_branch .LBB627_531
.LBB627_530:                            ;   in Loop: Header=BB627_531 Depth=1
	s_or_b64 exec, exec, s[48:49]
	s_and_b64 s[4:5], exec, s[40:41]
	s_or_b64 s[28:29], s[4:5], s[28:29]
	s_andn2_b64 s[4:5], s[44:45], exec
	s_and_b64 s[44:45], s[46:47], exec
	s_or_b64 s[44:45], s[4:5], s[44:45]
	s_andn2_b64 s[4:5], s[30:31], exec
	s_and_b64 s[30:31], s[2:3], exec
	s_or_b64 s[30:31], s[4:5], s[30:31]
	s_andn2_b64 exec, exec, s[28:29]
	s_cbranch_execz .LBB627_533
.LBB627_531:                            ; =>This Inner Loop Header: Depth=1
	global_load_ushort v12, v[6:7], off
	global_load_ushort v13, v[8:9], off
	s_andn2_b64 s[48:49], s[2:3], exec
	s_or_b64 s[40:41], s[40:41], exec
	s_waitcnt vmcnt(0)
	v_cmp_le_i16_e64 s[2:3], v12, v13
	v_cmp_lt_i16_e32 vcc, v12, v13
	s_and_b64 s[2:3], s[2:3], s[44:45]
	s_or_b64 s[46:47], vcc, s[2:3]
	s_and_b64 s[2:3], s[46:47], exec
	v_cmp_eq_u16_e64 s[4:5], v12, v13
	s_or_b64 s[2:3], s[48:49], s[2:3]
	s_and_saveexec_b64 s[48:49], s[4:5]
	s_cbranch_execz .LBB627_530
; %bb.532:                              ;   in Loop: Header=BB627_531 Depth=1
	s_add_u32 s42, s42, -1
	s_addc_u32 s43, s43, -1
	s_cmp_eq_u64 s[42:43], 0
	s_cselect_b64 s[4:5], -1, 0
	s_andn2_b64 s[40:41], s[40:41], exec
	s_and_b64 s[4:5], s[4:5], exec
	v_lshl_add_u64 v[6:7], v[6:7], 0, 2
	v_lshl_add_u64 v[8:9], v[8:9], 0, 2
	s_andn2_b64 s[2:3], s[2:3], exec
	s_or_b64 s[40:41], s[40:41], s[4:5]
                                        ; implicit-def: $sgpr44_sgpr45
	s_branch .LBB627_530
.LBB627_533:
	s_or_b64 exec, exec, s[28:29]
	s_xor_b64 s[2:3], s[30:31], -1
	s_branch .LBB627_535
.LBB627_534:
	s_mov_b64 s[2:3], -1
.LBB627_535:
	s_and_b64 s[2:3], s[2:3], exec
.LBB627_536:
	s_or_b64 exec, exec, s[24:25]
	s_orn2_b64 s[24:25], s[2:3], exec
.LBB627_537:
	s_or_b64 exec, exec, s[26:27]
	v_cndmask_b32_e64 v6, v36, v37, s[24:25]
	v_cndmask_b32_e64 v7, v27, v26, s[24:25]
	v_add_u32_e32 v8, 1, v6
	v_add_u32_e32 v6, -1, v7
	v_min_u32_e32 v6, v8, v6
	v_lshl_add_u32 v6, v6, 3, v35
	ds_read_b64 v[6:7], v6
	v_cndmask_b32_e64 v40, v8, v36, s[24:25]
	v_cndmask_b32_e64 v41, v37, v8, s[24:25]
	v_cmp_lt_u32_e32 vcc, v40, v27
	s_mov_b64 s[28:29], -1
	s_waitcnt lgkmcnt(0)
	v_cndmask_b32_e64 v12, v7, v10, s[24:25]
	v_cndmask_b32_e64 v24, v6, v17, s[24:25]
	v_cndmask_b32_e64 v13, v11, v7, s[24:25]
	v_cndmask_b32_e64 v25, v23, v6, s[24:25]
	s_mov_b64 s[26:27], -1
	s_and_saveexec_b64 s[30:31], vcc
	s_cbranch_execz .LBB627_548
; %bb.538:
	v_cmp_lt_u32_e32 vcc, v41, v26
	s_mov_b64 s[2:3], 0
	s_and_saveexec_b64 s[26:27], vcc
	s_cbranch_execz .LBB627_547
; %bb.539:
	s_and_b64 vcc, exec, s[0:1]
	s_cbranch_vccnz .LBB627_545
; %bb.540:
	v_mul_lo_u32 v8, v12, s36
	v_mul_lo_u32 v9, v24, s37
	v_mad_u64_u32 v[6:7], s[2:3], v24, s36, 0
	v_add3_u32 v7, v7, v9, v8
	v_mul_lo_u32 v36, v13, s36
	v_mul_lo_u32 v37, v25, s37
	v_mad_u64_u32 v[8:9], s[2:3], v25, s36, 0
	v_add3_u32 v9, v9, v37, v36
	v_lshl_add_u64 v[6:7], v[6:7], 1, s[38:39]
	v_lshl_add_u64 v[8:9], v[8:9], 1, s[38:39]
	s_mov_b64 s[40:41], 0
	s_mov_b64 s[46:47], s[36:37]
                                        ; implicit-def: $sgpr42_sgpr43
                                        ; implicit-def: $sgpr44_sgpr45
                                        ; implicit-def: $sgpr2_sgpr3
                                        ; implicit-def: $sgpr48_sgpr49
	s_branch .LBB627_542
.LBB627_541:                            ;   in Loop: Header=BB627_542 Depth=1
	s_or_b64 exec, exec, s[52:53]
	s_and_b64 s[4:5], exec, s[44:45]
	s_or_b64 s[40:41], s[4:5], s[40:41]
	s_andn2_b64 s[4:5], s[48:49], exec
	s_and_b64 s[48:49], s[50:51], exec
	s_or_b64 s[48:49], s[4:5], s[48:49]
	s_andn2_b64 s[4:5], s[42:43], exec
	s_and_b64 s[42:43], s[2:3], exec
	s_or_b64 s[42:43], s[4:5], s[42:43]
	s_andn2_b64 exec, exec, s[40:41]
	s_cbranch_execz .LBB627_544
.LBB627_542:                            ; =>This Inner Loop Header: Depth=1
	global_load_ushort v36, v[6:7], off
	global_load_ushort v37, v[8:9], off
	s_andn2_b64 s[52:53], s[2:3], exec
	s_or_b64 s[44:45], s[44:45], exec
	s_waitcnt vmcnt(0)
	v_cmp_le_i16_e64 s[2:3], v36, v37
	v_cmp_lt_i16_e32 vcc, v36, v37
	s_and_b64 s[2:3], s[2:3], s[48:49]
	s_or_b64 s[50:51], vcc, s[2:3]
	s_and_b64 s[2:3], s[50:51], exec
	v_cmp_eq_u16_e64 s[4:5], v36, v37
	s_or_b64 s[2:3], s[52:53], s[2:3]
	s_and_saveexec_b64 s[52:53], s[4:5]
	s_cbranch_execz .LBB627_541
; %bb.543:                              ;   in Loop: Header=BB627_542 Depth=1
	s_add_u32 s46, s46, -1
	s_addc_u32 s47, s47, -1
	s_cmp_eq_u64 s[46:47], 0
	s_cselect_b64 s[4:5], -1, 0
	s_andn2_b64 s[44:45], s[44:45], exec
	s_and_b64 s[4:5], s[4:5], exec
	v_lshl_add_u64 v[6:7], v[6:7], 0, 2
	v_lshl_add_u64 v[8:9], v[8:9], 0, 2
	s_andn2_b64 s[2:3], s[2:3], exec
	s_or_b64 s[44:45], s[44:45], s[4:5]
                                        ; implicit-def: $sgpr48_sgpr49
	s_branch .LBB627_541
.LBB627_544:
	s_or_b64 exec, exec, s[40:41]
	s_xor_b64 s[2:3], s[42:43], -1
	s_branch .LBB627_546
.LBB627_545:
	s_mov_b64 s[2:3], -1
.LBB627_546:
	s_and_b64 s[2:3], s[2:3], exec
.LBB627_547:
	s_or_b64 exec, exec, s[26:27]
	s_orn2_b64 s[26:27], s[2:3], exec
.LBB627_548:
	s_or_b64 exec, exec, s[30:31]
	v_cndmask_b32_e64 v6, v40, v41, s[26:27]
	v_cndmask_b32_e64 v7, v27, v26, s[26:27]
	v_add_u32_e32 v8, 1, v6
	v_add_u32_e32 v6, -1, v7
	v_min_u32_e32 v6, v8, v6
	v_lshl_add_u32 v6, v6, 3, v35
	ds_read_b64 v[6:7], v6
	v_cndmask_b32_e64 v44, v8, v40, s[26:27]
	v_cndmask_b32_e64 v45, v41, v8, s[26:27]
	v_cmp_lt_u32_e32 vcc, v44, v27
	s_waitcnt lgkmcnt(0)
	v_cndmask_b32_e64 v36, v7, v12, s[26:27]
	v_cndmask_b32_e64 v37, v6, v24, s[26:27]
	;; [unrolled: 1-line block ×4, first 2 shown]
	s_and_saveexec_b64 s[30:31], vcc
	s_cbranch_execz .LBB627_559
; %bb.549:
	v_cmp_lt_u32_e32 vcc, v45, v26
	s_mov_b64 s[2:3], 0
	s_and_saveexec_b64 s[28:29], vcc
	s_cbranch_execz .LBB627_558
; %bb.550:
	s_and_b64 vcc, exec, s[0:1]
	s_cbranch_vccnz .LBB627_556
; %bb.551:
	v_mul_lo_u32 v8, v36, s36
	v_mul_lo_u32 v9, v37, s37
	v_mad_u64_u32 v[6:7], s[2:3], v37, s36, 0
	v_add3_u32 v7, v7, v9, v8
	v_mul_lo_u32 v40, v38, s36
	v_mul_lo_u32 v41, v39, s37
	v_mad_u64_u32 v[8:9], s[2:3], v39, s36, 0
	v_add3_u32 v9, v9, v41, v40
	v_lshl_add_u64 v[6:7], v[6:7], 1, s[38:39]
	v_lshl_add_u64 v[8:9], v[8:9], 1, s[38:39]
	s_mov_b64 s[40:41], 0
	s_mov_b64 s[46:47], s[36:37]
                                        ; implicit-def: $sgpr42_sgpr43
                                        ; implicit-def: $sgpr44_sgpr45
                                        ; implicit-def: $sgpr2_sgpr3
                                        ; implicit-def: $sgpr48_sgpr49
	s_branch .LBB627_553
.LBB627_552:                            ;   in Loop: Header=BB627_553 Depth=1
	s_or_b64 exec, exec, s[52:53]
	s_and_b64 s[4:5], exec, s[44:45]
	s_or_b64 s[40:41], s[4:5], s[40:41]
	s_andn2_b64 s[4:5], s[48:49], exec
	s_and_b64 s[48:49], s[50:51], exec
	s_or_b64 s[48:49], s[4:5], s[48:49]
	s_andn2_b64 s[4:5], s[42:43], exec
	s_and_b64 s[42:43], s[2:3], exec
	s_or_b64 s[42:43], s[4:5], s[42:43]
	s_andn2_b64 exec, exec, s[40:41]
	s_cbranch_execz .LBB627_555
.LBB627_553:                            ; =>This Inner Loop Header: Depth=1
	global_load_ushort v40, v[6:7], off
	global_load_ushort v41, v[8:9], off
	s_andn2_b64 s[52:53], s[2:3], exec
	s_or_b64 s[44:45], s[44:45], exec
	s_waitcnt vmcnt(0)
	v_cmp_le_i16_e64 s[2:3], v40, v41
	v_cmp_lt_i16_e32 vcc, v40, v41
	s_and_b64 s[2:3], s[2:3], s[48:49]
	s_or_b64 s[50:51], vcc, s[2:3]
	s_and_b64 s[2:3], s[50:51], exec
	v_cmp_eq_u16_e64 s[4:5], v40, v41
	s_or_b64 s[2:3], s[52:53], s[2:3]
	s_and_saveexec_b64 s[52:53], s[4:5]
	s_cbranch_execz .LBB627_552
; %bb.554:                              ;   in Loop: Header=BB627_553 Depth=1
	s_add_u32 s46, s46, -1
	s_addc_u32 s47, s47, -1
	s_cmp_eq_u64 s[46:47], 0
	s_cselect_b64 s[4:5], -1, 0
	s_andn2_b64 s[44:45], s[44:45], exec
	s_and_b64 s[4:5], s[4:5], exec
	v_lshl_add_u64 v[6:7], v[6:7], 0, 2
	v_lshl_add_u64 v[8:9], v[8:9], 0, 2
	s_andn2_b64 s[2:3], s[2:3], exec
	s_or_b64 s[44:45], s[44:45], s[4:5]
                                        ; implicit-def: $sgpr48_sgpr49
	s_branch .LBB627_552
.LBB627_555:
	s_or_b64 exec, exec, s[40:41]
	s_xor_b64 s[2:3], s[42:43], -1
	s_branch .LBB627_557
.LBB627_556:
	s_mov_b64 s[2:3], -1
.LBB627_557:
	s_and_b64 s[2:3], s[2:3], exec
.LBB627_558:
	s_or_b64 exec, exec, s[28:29]
	s_orn2_b64 s[28:29], s[2:3], exec
.LBB627_559:
	s_or_b64 exec, exec, s[30:31]
	v_cndmask_b32_e64 v6, v44, v45, s[28:29]
	v_cndmask_b32_e64 v7, v27, v26, s[28:29]
	v_add_u32_e32 v8, 1, v6
	v_add_u32_e32 v6, -1, v7
	v_min_u32_e32 v6, v8, v6
	v_lshl_add_u32 v6, v6, 3, v35
	ds_read_b64 v[6:7], v6
	v_cndmask_b32_e64 v46, v8, v44, s[28:29]
	v_cndmask_b32_e64 v50, v45, v8, s[28:29]
	v_cmp_lt_u32_e32 vcc, v46, v27
	s_mov_b64 s[30:31], -1
	s_waitcnt lgkmcnt(0)
	v_cndmask_b32_e64 v40, v7, v36, s[28:29]
	v_cndmask_b32_e64 v41, v6, v37, s[28:29]
	;; [unrolled: 1-line block ×4, first 2 shown]
	s_mov_b64 s[40:41], -1
	s_and_saveexec_b64 s[42:43], vcc
	s_cbranch_execz .LBB627_570
; %bb.560:
	v_cmp_lt_u32_e32 vcc, v50, v26
	s_mov_b64 s[2:3], 0
	s_and_saveexec_b64 s[40:41], vcc
	s_cbranch_execz .LBB627_569
; %bb.561:
	s_and_b64 vcc, exec, s[0:1]
	s_cbranch_vccnz .LBB627_567
; %bb.562:
	v_mul_lo_u32 v8, v40, s36
	v_mul_lo_u32 v9, v41, s37
	v_mad_u64_u32 v[6:7], s[2:3], v41, s36, 0
	v_add3_u32 v7, v7, v9, v8
	v_mul_lo_u32 v44, v42, s36
	v_mul_lo_u32 v45, v43, s37
	v_mad_u64_u32 v[8:9], s[2:3], v43, s36, 0
	v_add3_u32 v9, v9, v45, v44
	v_lshl_add_u64 v[6:7], v[6:7], 1, s[38:39]
	v_lshl_add_u64 v[8:9], v[8:9], 1, s[38:39]
	s_mov_b64 s[44:45], 0
	s_mov_b64 s[50:51], s[36:37]
                                        ; implicit-def: $sgpr46_sgpr47
                                        ; implicit-def: $sgpr48_sgpr49
                                        ; implicit-def: $sgpr2_sgpr3
                                        ; implicit-def: $sgpr52_sgpr53
	s_branch .LBB627_564
.LBB627_563:                            ;   in Loop: Header=BB627_564 Depth=1
	s_or_b64 exec, exec, s[56:57]
	s_and_b64 s[4:5], exec, s[48:49]
	s_or_b64 s[44:45], s[4:5], s[44:45]
	s_andn2_b64 s[4:5], s[52:53], exec
	s_and_b64 s[52:53], s[54:55], exec
	s_or_b64 s[52:53], s[4:5], s[52:53]
	s_andn2_b64 s[4:5], s[46:47], exec
	s_and_b64 s[46:47], s[2:3], exec
	s_or_b64 s[46:47], s[4:5], s[46:47]
	s_andn2_b64 exec, exec, s[44:45]
	s_cbranch_execz .LBB627_566
.LBB627_564:                            ; =>This Inner Loop Header: Depth=1
	global_load_ushort v44, v[6:7], off
	global_load_ushort v45, v[8:9], off
	s_andn2_b64 s[56:57], s[2:3], exec
	s_or_b64 s[48:49], s[48:49], exec
	s_waitcnt vmcnt(0)
	v_cmp_le_i16_e64 s[2:3], v44, v45
	v_cmp_lt_i16_e32 vcc, v44, v45
	s_and_b64 s[2:3], s[2:3], s[52:53]
	s_or_b64 s[54:55], vcc, s[2:3]
	s_and_b64 s[2:3], s[54:55], exec
	v_cmp_eq_u16_e64 s[4:5], v44, v45
	s_or_b64 s[2:3], s[56:57], s[2:3]
	s_and_saveexec_b64 s[56:57], s[4:5]
	s_cbranch_execz .LBB627_563
; %bb.565:                              ;   in Loop: Header=BB627_564 Depth=1
	s_add_u32 s50, s50, -1
	s_addc_u32 s51, s51, -1
	s_cmp_eq_u64 s[50:51], 0
	s_cselect_b64 s[4:5], -1, 0
	s_andn2_b64 s[48:49], s[48:49], exec
	s_and_b64 s[4:5], s[4:5], exec
	v_lshl_add_u64 v[6:7], v[6:7], 0, 2
	v_lshl_add_u64 v[8:9], v[8:9], 0, 2
	s_andn2_b64 s[2:3], s[2:3], exec
	s_or_b64 s[48:49], s[48:49], s[4:5]
                                        ; implicit-def: $sgpr52_sgpr53
	s_branch .LBB627_563
.LBB627_566:
	s_or_b64 exec, exec, s[44:45]
	s_xor_b64 s[2:3], s[46:47], -1
	s_branch .LBB627_568
.LBB627_567:
	s_mov_b64 s[2:3], -1
.LBB627_568:
	s_and_b64 s[2:3], s[2:3], exec
.LBB627_569:
	s_or_b64 exec, exec, s[40:41]
	s_orn2_b64 s[40:41], s[2:3], exec
.LBB627_570:
	s_or_b64 exec, exec, s[42:43]
	v_cndmask_b32_e64 v6, v46, v50, s[40:41]
	v_cndmask_b32_e64 v7, v27, v26, s[40:41]
	v_add_u32_e32 v8, 1, v6
	v_add_u32_e32 v6, -1, v7
	v_min_u32_e32 v6, v8, v6
	v_lshl_add_u32 v6, v6, 3, v35
	ds_read_b64 v[6:7], v6
	v_cndmask_b32_e64 v47, v8, v46, s[40:41]
	v_cndmask_b32_e64 v46, v50, v8, s[40:41]
	v_cmp_lt_u32_e32 vcc, v47, v27
	s_waitcnt lgkmcnt(0)
	v_cndmask_b32_e64 v44, v7, v40, s[40:41]
	v_cndmask_b32_e64 v45, v6, v41, s[40:41]
	;; [unrolled: 1-line block ×4, first 2 shown]
	s_and_saveexec_b64 s[42:43], vcc
	s_cbranch_execz .LBB627_581
; %bb.571:
	v_cmp_lt_u32_e32 vcc, v46, v26
	s_mov_b64 s[2:3], 0
	s_and_saveexec_b64 s[30:31], vcc
	s_cbranch_execz .LBB627_580
; %bb.572:
	s_and_b64 vcc, exec, s[0:1]
	s_cbranch_vccnz .LBB627_578
; %bb.573:
	v_mul_lo_u32 v8, v44, s36
	v_mul_lo_u32 v9, v45, s37
	v_mad_u64_u32 v[6:7], s[2:3], v45, s36, 0
	v_add3_u32 v7, v7, v9, v8
	v_mul_lo_u32 v50, v48, s36
	v_mul_lo_u32 v51, v49, s37
	v_mad_u64_u32 v[8:9], s[2:3], v49, s36, 0
	v_add3_u32 v9, v9, v51, v50
	v_lshl_add_u64 v[6:7], v[6:7], 1, s[38:39]
	v_lshl_add_u64 v[8:9], v[8:9], 1, s[38:39]
	s_mov_b64 s[44:45], 0
	s_mov_b64 s[50:51], s[36:37]
                                        ; implicit-def: $sgpr46_sgpr47
                                        ; implicit-def: $sgpr48_sgpr49
                                        ; implicit-def: $sgpr2_sgpr3
                                        ; implicit-def: $sgpr52_sgpr53
	s_branch .LBB627_575
.LBB627_574:                            ;   in Loop: Header=BB627_575 Depth=1
	s_or_b64 exec, exec, s[56:57]
	s_and_b64 s[4:5], exec, s[48:49]
	s_or_b64 s[44:45], s[4:5], s[44:45]
	s_andn2_b64 s[4:5], s[52:53], exec
	s_and_b64 s[52:53], s[54:55], exec
	s_or_b64 s[52:53], s[4:5], s[52:53]
	s_andn2_b64 s[4:5], s[46:47], exec
	s_and_b64 s[46:47], s[2:3], exec
	s_or_b64 s[46:47], s[4:5], s[46:47]
	s_andn2_b64 exec, exec, s[44:45]
	s_cbranch_execz .LBB627_577
.LBB627_575:                            ; =>This Inner Loop Header: Depth=1
	global_load_ushort v50, v[6:7], off
	global_load_ushort v51, v[8:9], off
	s_andn2_b64 s[56:57], s[2:3], exec
	s_or_b64 s[48:49], s[48:49], exec
	s_waitcnt vmcnt(0)
	v_cmp_le_i16_e64 s[2:3], v50, v51
	v_cmp_lt_i16_e32 vcc, v50, v51
	s_and_b64 s[2:3], s[2:3], s[52:53]
	s_or_b64 s[54:55], vcc, s[2:3]
	s_and_b64 s[2:3], s[54:55], exec
	v_cmp_eq_u16_e64 s[4:5], v50, v51
	s_or_b64 s[2:3], s[56:57], s[2:3]
	s_and_saveexec_b64 s[56:57], s[4:5]
	s_cbranch_execz .LBB627_574
; %bb.576:                              ;   in Loop: Header=BB627_575 Depth=1
	s_add_u32 s50, s50, -1
	s_addc_u32 s51, s51, -1
	s_cmp_eq_u64 s[50:51], 0
	s_cselect_b64 s[4:5], -1, 0
	s_andn2_b64 s[48:49], s[48:49], exec
	s_and_b64 s[4:5], s[4:5], exec
	v_lshl_add_u64 v[6:7], v[6:7], 0, 2
	v_lshl_add_u64 v[8:9], v[8:9], 0, 2
	s_andn2_b64 s[2:3], s[2:3], exec
	s_or_b64 s[48:49], s[48:49], s[4:5]
                                        ; implicit-def: $sgpr52_sgpr53
	s_branch .LBB627_574
.LBB627_577:
	s_or_b64 exec, exec, s[44:45]
	s_xor_b64 s[2:3], s[46:47], -1
	s_branch .LBB627_579
.LBB627_578:
	s_mov_b64 s[2:3], -1
.LBB627_579:
	s_and_b64 s[2:3], s[2:3], exec
.LBB627_580:
	s_or_b64 exec, exec, s[30:31]
	s_orn2_b64 s[30:31], s[2:3], exec
.LBB627_581:
	s_or_b64 exec, exec, s[42:43]
	v_cndmask_b32_e64 v11, v10, v11, s[24:25]
	v_cndmask_b32_e64 v10, v17, v23, s[24:25]
	;; [unrolled: 1-line block ×8, first 2 shown]
	v_add_u32_e32 v24, 1, v14
	v_add_u32_e32 v14, -1, v15
	v_min_u32_e32 v14, v24, v14
	v_lshl_add_u32 v14, v14, 3, v35
	ds_read_b64 v[22:23], v14
	v_cndmask_b32_e64 v25, v24, v47, s[30:31]
	v_cndmask_b32_e64 v9, v40, v42, s[40:41]
	;; [unrolled: 1-line block ×9, first 2 shown]
	s_waitcnt lgkmcnt(0)
	v_cndmask_b32_e64 v5, v48, v23, s[30:31]
	v_cndmask_b32_e64 v4, v49, v22, s[30:31]
	v_cmp_lt_u32_e32 vcc, v25, v27
	s_and_saveexec_b64 s[12:13], vcc
	s_cbranch_execz .LBB627_591
; %bb.582:
	v_cndmask_b32_e64 v24, v46, v24, s[30:31]
	v_cndmask_b32_e64 v23, v23, v44, s[30:31]
	;; [unrolled: 1-line block ×3, first 2 shown]
	v_cmp_lt_u32_e32 vcc, v24, v26
	s_and_saveexec_b64 s[22:23], vcc
	s_cbranch_execz .LBB627_590
; %bb.583:
	s_and_b64 vcc, exec, s[0:1]
	s_cbranch_vccnz .LBB627_589
; %bb.584:
	v_mul_lo_u32 v26, v23, s36
	v_mul_lo_u32 v27, v22, s37
	v_mad_u64_u32 v[24:25], s[2:3], v22, s36, 0
	v_add3_u32 v25, v25, v27, v26
	v_mul_lo_u32 v35, v5, s36
	v_mul_lo_u32 v36, v4, s37
	v_mad_u64_u32 v[26:27], s[2:3], v4, s36, 0
	v_add3_u32 v27, v27, v36, v35
	v_lshl_add_u64 v[24:25], v[24:25], 1, s[38:39]
	v_lshl_add_u64 v[26:27], v[26:27], 1, s[38:39]
	s_mov_b64 s[24:25], 0
	s_mov_b64 s[30:31], s[36:37]
                                        ; implicit-def: $sgpr26_sgpr27
                                        ; implicit-def: $sgpr28_sgpr29
                                        ; implicit-def: $sgpr2_sgpr3
                                        ; implicit-def: $sgpr40_sgpr41
	s_branch .LBB627_586
.LBB627_585:                            ;   in Loop: Header=BB627_586 Depth=1
	s_or_b64 exec, exec, s[44:45]
	s_and_b64 s[4:5], exec, s[28:29]
	s_or_b64 s[24:25], s[4:5], s[24:25]
	s_andn2_b64 s[4:5], s[40:41], exec
	s_and_b64 s[40:41], s[42:43], exec
	s_or_b64 s[40:41], s[4:5], s[40:41]
	s_andn2_b64 s[4:5], s[26:27], exec
	s_and_b64 s[26:27], s[2:3], exec
	s_or_b64 s[26:27], s[4:5], s[26:27]
	s_andn2_b64 exec, exec, s[24:25]
	s_cbranch_execz .LBB627_588
.LBB627_586:                            ; =>This Inner Loop Header: Depth=1
	global_load_ushort v35, v[24:25], off
	global_load_ushort v36, v[26:27], off
	s_andn2_b64 s[44:45], s[2:3], exec
	s_or_b64 s[28:29], s[28:29], exec
	s_waitcnt vmcnt(0)
	v_cmp_le_i16_e64 s[2:3], v35, v36
	v_cmp_lt_i16_e32 vcc, v35, v36
	s_and_b64 s[2:3], s[2:3], s[40:41]
	s_or_b64 s[42:43], vcc, s[2:3]
	s_and_b64 s[2:3], s[42:43], exec
	v_cmp_eq_u16_e64 s[4:5], v35, v36
	s_or_b64 s[2:3], s[44:45], s[2:3]
	s_and_saveexec_b64 s[44:45], s[4:5]
	s_cbranch_execz .LBB627_585
; %bb.587:                              ;   in Loop: Header=BB627_586 Depth=1
	s_add_u32 s30, s30, -1
	s_addc_u32 s31, s31, -1
	s_cmp_eq_u64 s[30:31], 0
	s_cselect_b64 s[4:5], -1, 0
	s_andn2_b64 s[28:29], s[28:29], exec
	s_and_b64 s[4:5], s[4:5], exec
	v_lshl_add_u64 v[24:25], v[24:25], 0, 2
	v_lshl_add_u64 v[26:27], v[26:27], 0, 2
	s_andn2_b64 s[2:3], s[2:3], exec
	s_or_b64 s[28:29], s[28:29], s[4:5]
                                        ; implicit-def: $sgpr40_sgpr41
	s_branch .LBB627_585
.LBB627_588:
	s_or_b64 exec, exec, s[24:25]
	v_cndmask_b32_e64 v5, v5, v23, s[26:27]
	v_cndmask_b32_e64 v4, v4, v22, s[26:27]
.LBB627_589:
	v_mov_b64_e32 v[22:23], v[4:5]
.LBB627_590:
	s_or_b64 exec, exec, s[22:23]
	v_mov_b64_e32 v[4:5], v[22:23]
.LBB627_591:
	s_or_b64 exec, exec, s[12:13]
.LBB627_592:
	s_or_b64 exec, exec, s[10:11]
	v_lshlrev_b32_e32 v26, 3, v20
	s_lshl_b64 s[10:11], s[36:37], 1
	s_movk_i32 s9, 0x80
	; wave barrier
	s_waitcnt lgkmcnt(0)
	s_barrier
.LBB627_593:                            ; =>This Loop Header: Depth=1
                                        ;     Child Loop BB627_597 Depth 2
                                        ;       Child Loop BB627_600 Depth 3
                                        ;     Child Loop BB627_612 Depth 2
                                        ;     Child Loop BB627_622 Depth 2
                                        ;     Child Loop BB627_633 Depth 2
                                        ;     Child Loop BB627_644 Depth 2
                                        ;     Child Loop BB627_655 Depth 2
                                        ;     Child Loop BB627_666 Depth 2
                                        ;     Child Loop BB627_677 Depth 2
                                        ;     Child Loop BB627_688 Depth 2
	s_lshl_b32 s15, s9, 1
	s_sub_i32 s3, 0, s15
	v_and_b32_e32 v38, s3, v20
	v_add_u32_e32 v22, s9, v38
	v_min_u32_e32 v27, 0x800, v22
	s_add_i32 s2, s15, -1
	v_add_u32_e32 v22, s9, v27
	v_min_u32_e32 v35, 0x800, v22
	v_and_b32_e32 v22, s2, v20
	v_min_u32_e32 v39, 0x800, v22
	v_sub_u32_e32 v22, v27, v38
	v_sub_u32_e32 v23, v35, v27
	v_sub_u32_e64 v37, v39, v23 clamp
	v_min_u32_e32 v40, v39, v22
	v_lshlrev_b32_e32 v36, 3, v38
	v_cmp_lt_u32_e32 vcc, v37, v40
	ds_write_b128 v26, v[14:17]
	ds_write_b128 v26, v[10:13] offset:16
	ds_write_b128 v26, v[6:9] offset:32
	ds_write_b128 v26, v[2:5] offset:48
	s_waitcnt lgkmcnt(0)
	s_barrier
	s_and_saveexec_b64 s[12:13], vcc
	s_cbranch_execz .LBB627_603
; %bb.594:                              ;   in Loop: Header=BB627_593 Depth=1
	v_lshlrev_b32_e32 v22, 3, v39
	v_lshl_add_u32 v41, v27, 3, v22
	s_mov_b64 s[22:23], 0
	s_branch .LBB627_597
.LBB627_595:                            ;   in Loop: Header=BB627_597 Depth=2
	s_or_b64 exec, exec, s[26:27]
.LBB627_596:                            ;   in Loop: Header=BB627_597 Depth=2
	v_add_u32_e32 v22, 1, v42
	v_cndmask_b32_e64 v40, v40, v42, s[24:25]
	v_cndmask_b32_e64 v37, v22, v37, s[24:25]
	v_cmp_ge_u32_e32 vcc, v37, v40
	s_or_b64 s[22:23], vcc, s[22:23]
	s_andn2_b64 exec, exec, s[22:23]
	s_cbranch_execz .LBB627_602
.LBB627_597:                            ;   Parent Loop BB627_593 Depth=1
                                        ; =>  This Loop Header: Depth=2
                                        ;       Child Loop BB627_600 Depth 3
	v_add_u32_e32 v22, v40, v37
	v_lshrrev_b32_e32 v42, 1, v22
	s_and_b64 vcc, exec, s[0:1]
	s_mov_b64 s[24:25], 0
	s_cbranch_vccnz .LBB627_596
; %bb.598:                              ;   in Loop: Header=BB627_597 Depth=2
	v_not_b32_e32 v22, v42
	v_lshl_add_u32 v22, v22, 3, v41
	ds_read_b64 v[22:23], v22
	v_lshl_add_u32 v43, v42, 3, v36
	ds_read_b64 v[44:45], v43
	v_mov_b64_e32 v[24:25], s[38:39]
	s_mov_b64 s[26:27], 0
	s_waitcnt lgkmcnt(1)
	v_mul_lo_u32 v43, s10, v23
	v_mul_lo_u32 v46, s11, v22
	v_mad_u64_u32 v[22:23], s[2:3], s10, v22, v[24:25]
	v_add3_u32 v23, v46, v23, v43
	s_waitcnt lgkmcnt(0)
	v_mul_lo_u32 v43, s10, v45
	v_mul_lo_u32 v45, s11, v44
	v_mad_u64_u32 v[24:25], s[2:3], s10, v44, v[24:25]
	v_add3_u32 v25, v45, v25, v43
	s_mov_b64 s[30:31], s[36:37]
                                        ; implicit-def: $sgpr24_sgpr25
                                        ; implicit-def: $sgpr28_sgpr29
                                        ; implicit-def: $sgpr2_sgpr3
                                        ; implicit-def: $sgpr40_sgpr41
	s_branch .LBB627_600
.LBB627_599:                            ;   in Loop: Header=BB627_600 Depth=3
	s_or_b64 exec, exec, s[44:45]
	s_and_b64 s[4:5], exec, s[28:29]
	s_or_b64 s[26:27], s[4:5], s[26:27]
	s_andn2_b64 s[4:5], s[40:41], exec
	s_and_b64 s[40:41], s[42:43], exec
	s_or_b64 s[40:41], s[4:5], s[40:41]
	s_andn2_b64 s[4:5], s[24:25], exec
	s_and_b64 s[24:25], s[2:3], exec
	s_or_b64 s[24:25], s[4:5], s[24:25]
	s_andn2_b64 exec, exec, s[26:27]
	s_cbranch_execz .LBB627_595
.LBB627_600:                            ;   Parent Loop BB627_593 Depth=1
                                        ;     Parent Loop BB627_597 Depth=2
                                        ; =>    This Inner Loop Header: Depth=3
	global_load_ushort v43, v[22:23], off
	global_load_ushort v44, v[24:25], off
	s_andn2_b64 s[44:45], s[2:3], exec
	s_or_b64 s[28:29], s[28:29], exec
	s_waitcnt vmcnt(0)
	v_cmp_le_i16_e64 s[2:3], v43, v44
	v_cmp_lt_i16_e32 vcc, v43, v44
	s_and_b64 s[2:3], s[2:3], s[40:41]
	s_or_b64 s[42:43], vcc, s[2:3]
	s_and_b64 s[2:3], s[42:43], exec
	v_cmp_eq_u16_e64 s[4:5], v43, v44
	s_or_b64 s[2:3], s[44:45], s[2:3]
	s_and_saveexec_b64 s[44:45], s[4:5]
	s_cbranch_execz .LBB627_599
; %bb.601:                              ;   in Loop: Header=BB627_600 Depth=3
	s_add_u32 s30, s30, -1
	s_addc_u32 s31, s31, -1
	s_cmp_eq_u64 s[30:31], 0
	s_cselect_b64 s[4:5], -1, 0
	s_andn2_b64 s[28:29], s[28:29], exec
	s_and_b64 s[4:5], s[4:5], exec
	v_lshl_add_u64 v[22:23], v[22:23], 0, 2
	v_lshl_add_u64 v[24:25], v[24:25], 0, 2
	s_andn2_b64 s[2:3], s[2:3], exec
	s_or_b64 s[28:29], s[28:29], s[4:5]
                                        ; implicit-def: $sgpr40_sgpr41
	s_branch .LBB627_599
.LBB627_602:                            ;   in Loop: Header=BB627_593 Depth=1
	s_or_b64 exec, exec, s[22:23]
.LBB627_603:                            ;   in Loop: Header=BB627_593 Depth=1
	s_or_b64 exec, exec, s[12:13]
	v_sub_u32_e32 v22, v39, v37
	v_add_u32_e32 v24, v37, v38
	v_add_u32_e32 v25, v22, v27
	v_cmp_le_u32_e32 vcc, v24, v27
	v_cmp_le_u32_e64 s[2:3], v25, v35
	s_or_b64 s[2:3], vcc, s[2:3]
	s_and_saveexec_b64 s[12:13], s[2:3]
	s_cbranch_execz .LBB627_694
; %bb.604:                              ;   in Loop: Header=BB627_593 Depth=1
	v_cmp_ge_u32_e32 vcc, v24, v27
	v_cmp_lt_u32_e64 s[2:3], v24, v27
                                        ; implicit-def: $vgpr2_vgpr3
	s_and_saveexec_b64 s[4:5], s[2:3]
; %bb.605:                              ;   in Loop: Header=BB627_593 Depth=1
	v_lshl_add_u32 v2, v37, 3, v36
	ds_read_b64 v[2:3], v2
; %bb.606:                              ;   in Loop: Header=BB627_593 Depth=1
	s_or_b64 exec, exec, s[4:5]
	v_cmp_ge_u32_e64 s[22:23], v25, v35
	v_cmp_lt_u32_e64 s[2:3], v25, v35
                                        ; implicit-def: $vgpr14_vgpr15
	s_and_saveexec_b64 s[4:5], s[2:3]
; %bb.607:                              ;   in Loop: Header=BB627_593 Depth=1
	v_lshlrev_b32_e32 v4, 3, v25
	ds_read_b64 v[14:15], v4
; %bb.608:                              ;   in Loop: Header=BB627_593 Depth=1
	s_or_b64 exec, exec, s[4:5]
	s_nor_b64 s[2:3], vcc, s[22:23]
	s_and_saveexec_b64 s[24:25], s[2:3]
	s_cbranch_execz .LBB627_617
; %bb.609:                              ;   in Loop: Header=BB627_593 Depth=1
	s_and_b64 vcc, exec, s[0:1]
	s_cbranch_vccnz .LBB627_615
; %bb.610:                              ;   in Loop: Header=BB627_593 Depth=1
	v_mov_b64_e32 v[6:7], s[38:39]
	s_waitcnt lgkmcnt(0)
	v_mad_u64_u32 v[4:5], s[2:3], s10, v14, v[6:7]
	v_mul_lo_u32 v8, s10, v15
	v_mul_lo_u32 v9, s11, v14
	v_add3_u32 v5, v9, v5, v8
	v_mad_u64_u32 v[6:7], s[2:3], s10, v2, v[6:7]
	v_mul_lo_u32 v8, s10, v3
	v_mul_lo_u32 v9, s11, v2
	v_add3_u32 v7, v9, v7, v8
	s_mov_b64 s[26:27], 0
	s_mov_b64 s[40:41], s[36:37]
                                        ; implicit-def: $sgpr28_sgpr29
                                        ; implicit-def: $sgpr30_sgpr31
                                        ; implicit-def: $sgpr2_sgpr3
                                        ; implicit-def: $sgpr42_sgpr43
	s_branch .LBB627_612
.LBB627_611:                            ;   in Loop: Header=BB627_612 Depth=2
	s_or_b64 exec, exec, s[46:47]
	s_and_b64 s[4:5], exec, s[30:31]
	s_or_b64 s[26:27], s[4:5], s[26:27]
	s_andn2_b64 s[4:5], s[42:43], exec
	s_and_b64 s[42:43], s[44:45], exec
	s_or_b64 s[42:43], s[4:5], s[42:43]
	s_andn2_b64 s[4:5], s[28:29], exec
	s_and_b64 s[28:29], s[2:3], exec
	s_or_b64 s[28:29], s[4:5], s[28:29]
	s_andn2_b64 exec, exec, s[26:27]
	s_cbranch_execz .LBB627_614
.LBB627_612:                            ;   Parent Loop BB627_593 Depth=1
                                        ; =>  This Inner Loop Header: Depth=2
	global_load_ushort v8, v[4:5], off
	global_load_ushort v9, v[6:7], off
	s_andn2_b64 s[46:47], s[2:3], exec
	s_or_b64 s[30:31], s[30:31], exec
	s_waitcnt vmcnt(0)
	v_cmp_le_i16_e64 s[2:3], v8, v9
	v_cmp_lt_i16_e32 vcc, v8, v9
	s_and_b64 s[2:3], s[2:3], s[42:43]
	s_or_b64 s[44:45], vcc, s[2:3]
	s_and_b64 s[2:3], s[44:45], exec
	v_cmp_eq_u16_e64 s[4:5], v8, v9
	s_or_b64 s[2:3], s[46:47], s[2:3]
	s_and_saveexec_b64 s[46:47], s[4:5]
	s_cbranch_execz .LBB627_611
; %bb.613:                              ;   in Loop: Header=BB627_612 Depth=2
	s_add_u32 s40, s40, -1
	s_addc_u32 s41, s41, -1
	s_cmp_eq_u64 s[40:41], 0
	s_cselect_b64 s[4:5], -1, 0
	s_andn2_b64 s[30:31], s[30:31], exec
	s_and_b64 s[4:5], s[4:5], exec
	v_lshl_add_u64 v[4:5], v[4:5], 0, 2
	v_lshl_add_u64 v[6:7], v[6:7], 0, 2
	s_andn2_b64 s[2:3], s[2:3], exec
	s_or_b64 s[30:31], s[30:31], s[4:5]
                                        ; implicit-def: $sgpr42_sgpr43
	s_branch .LBB627_611
.LBB627_614:                            ;   in Loop: Header=BB627_593 Depth=1
	s_or_b64 exec, exec, s[26:27]
	s_xor_b64 s[2:3], s[28:29], -1
	s_branch .LBB627_616
.LBB627_615:                            ;   in Loop: Header=BB627_593 Depth=1
	s_mov_b64 s[2:3], -1
.LBB627_616:                            ;   in Loop: Header=BB627_593 Depth=1
	s_andn2_b64 s[4:5], s[22:23], exec
	s_and_b64 s[2:3], s[2:3], exec
	s_or_b64 s[22:23], s[4:5], s[2:3]
.LBB627_617:                            ;   in Loop: Header=BB627_593 Depth=1
	s_or_b64 exec, exec, s[24:25]
	v_cndmask_b32_e64 v4, v25, v24, s[22:23]
	v_cndmask_b32_e64 v5, v35, v27, s[22:23]
	v_add_u32_e32 v6, 1, v4
	v_add_u32_e32 v4, -1, v5
	v_min_u32_e32 v4, v6, v4
	v_lshlrev_b32_e32 v4, 3, v4
	ds_read_b64 v[4:5], v4
	v_cndmask_b32_e64 v8, v6, v25, s[22:23]
	v_cndmask_b32_e64 v9, v24, v6, s[22:23]
	v_cmp_lt_u32_e32 vcc, v8, v35
	s_mov_b64 s[26:27], -1
	s_waitcnt lgkmcnt(0)
	v_cndmask_b32_e64 v16, v5, v15, s[22:23]
	v_cndmask_b32_e64 v22, v4, v14, s[22:23]
	;; [unrolled: 1-line block ×4, first 2 shown]
	s_mov_b64 s[24:25], -1
	s_and_saveexec_b64 s[28:29], vcc
	s_cbranch_execz .LBB627_628
; %bb.618:                              ;   in Loop: Header=BB627_593 Depth=1
	v_cmp_lt_u32_e32 vcc, v9, v27
	s_mov_b64 s[2:3], 0
	s_and_saveexec_b64 s[24:25], vcc
	s_cbranch_execz .LBB627_627
; %bb.619:                              ;   in Loop: Header=BB627_593 Depth=1
	s_and_b64 vcc, exec, s[0:1]
	s_cbranch_vccnz .LBB627_625
; %bb.620:                              ;   in Loop: Header=BB627_593 Depth=1
	v_mov_b64_e32 v[6:7], s[38:39]
	v_mad_u64_u32 v[4:5], s[2:3], s10, v22, v[6:7]
	v_mul_lo_u32 v10, s10, v16
	v_mul_lo_u32 v11, s11, v22
	v_add3_u32 v5, v11, v5, v10
	v_mad_u64_u32 v[6:7], s[2:3], s10, v23, v[6:7]
	v_mul_lo_u32 v10, s10, v17
	v_mul_lo_u32 v11, s11, v23
	v_add3_u32 v7, v11, v7, v10
	s_mov_b64 s[30:31], 0
	s_mov_b64 s[44:45], s[36:37]
                                        ; implicit-def: $sgpr40_sgpr41
                                        ; implicit-def: $sgpr42_sgpr43
                                        ; implicit-def: $sgpr2_sgpr3
                                        ; implicit-def: $sgpr46_sgpr47
	s_branch .LBB627_622
.LBB627_621:                            ;   in Loop: Header=BB627_622 Depth=2
	s_or_b64 exec, exec, s[50:51]
	s_and_b64 s[4:5], exec, s[42:43]
	s_or_b64 s[30:31], s[4:5], s[30:31]
	s_andn2_b64 s[4:5], s[46:47], exec
	s_and_b64 s[46:47], s[48:49], exec
	s_or_b64 s[46:47], s[4:5], s[46:47]
	s_andn2_b64 s[4:5], s[40:41], exec
	s_and_b64 s[40:41], s[2:3], exec
	s_or_b64 s[40:41], s[4:5], s[40:41]
	s_andn2_b64 exec, exec, s[30:31]
	s_cbranch_execz .LBB627_624
.LBB627_622:                            ;   Parent Loop BB627_593 Depth=1
                                        ; =>  This Inner Loop Header: Depth=2
	global_load_ushort v10, v[4:5], off
	global_load_ushort v11, v[6:7], off
	s_andn2_b64 s[50:51], s[2:3], exec
	s_or_b64 s[42:43], s[42:43], exec
	s_waitcnt vmcnt(0)
	v_cmp_le_i16_e64 s[2:3], v10, v11
	v_cmp_lt_i16_e32 vcc, v10, v11
	s_and_b64 s[2:3], s[2:3], s[46:47]
	s_or_b64 s[48:49], vcc, s[2:3]
	s_and_b64 s[2:3], s[48:49], exec
	v_cmp_eq_u16_e64 s[4:5], v10, v11
	s_or_b64 s[2:3], s[50:51], s[2:3]
	s_and_saveexec_b64 s[50:51], s[4:5]
	s_cbranch_execz .LBB627_621
; %bb.623:                              ;   in Loop: Header=BB627_622 Depth=2
	s_add_u32 s44, s44, -1
	s_addc_u32 s45, s45, -1
	s_cmp_eq_u64 s[44:45], 0
	s_cselect_b64 s[4:5], -1, 0
	s_andn2_b64 s[42:43], s[42:43], exec
	s_and_b64 s[4:5], s[4:5], exec
	v_lshl_add_u64 v[4:5], v[4:5], 0, 2
	v_lshl_add_u64 v[6:7], v[6:7], 0, 2
	s_andn2_b64 s[2:3], s[2:3], exec
	s_or_b64 s[42:43], s[42:43], s[4:5]
                                        ; implicit-def: $sgpr46_sgpr47
	s_branch .LBB627_621
.LBB627_624:                            ;   in Loop: Header=BB627_593 Depth=1
	s_or_b64 exec, exec, s[30:31]
	s_xor_b64 s[2:3], s[40:41], -1
	s_branch .LBB627_626
.LBB627_625:                            ;   in Loop: Header=BB627_593 Depth=1
	s_mov_b64 s[2:3], -1
.LBB627_626:                            ;   in Loop: Header=BB627_593 Depth=1
	s_and_b64 s[2:3], s[2:3], exec
.LBB627_627:                            ;   in Loop: Header=BB627_593 Depth=1
	s_or_b64 exec, exec, s[24:25]
	s_orn2_b64 s[24:25], s[2:3], exec
.LBB627_628:                            ;   in Loop: Header=BB627_593 Depth=1
	s_or_b64 exec, exec, s[28:29]
	v_cndmask_b32_e64 v4, v8, v9, s[24:25]
	v_cndmask_b32_e64 v5, v35, v27, s[24:25]
	v_add_u32_e32 v6, 1, v4
	v_add_u32_e32 v4, -1, v5
	v_min_u32_e32 v4, v6, v4
	v_lshlrev_b32_e32 v4, 3, v4
	ds_read_b64 v[4:5], v4
	v_cndmask_b32_e64 v8, v6, v8, s[24:25]
	v_cndmask_b32_e64 v9, v9, v6, s[24:25]
	v_cmp_lt_u32_e32 vcc, v8, v35
	s_waitcnt lgkmcnt(0)
	v_cndmask_b32_e64 v24, v5, v16, s[24:25]
	v_cndmask_b32_e64 v25, v4, v22, s[24:25]
	;; [unrolled: 1-line block ×4, first 2 shown]
	s_and_saveexec_b64 s[28:29], vcc
	s_cbranch_execz .LBB627_639
; %bb.629:                              ;   in Loop: Header=BB627_593 Depth=1
	v_cmp_lt_u32_e32 vcc, v9, v27
	s_mov_b64 s[2:3], 0
	s_and_saveexec_b64 s[26:27], vcc
	s_cbranch_execz .LBB627_638
; %bb.630:                              ;   in Loop: Header=BB627_593 Depth=1
	s_and_b64 vcc, exec, s[0:1]
	s_cbranch_vccnz .LBB627_636
; %bb.631:                              ;   in Loop: Header=BB627_593 Depth=1
	v_mov_b64_e32 v[6:7], s[38:39]
	v_mad_u64_u32 v[4:5], s[2:3], s10, v25, v[6:7]
	v_mul_lo_u32 v10, s10, v24
	v_mul_lo_u32 v11, s11, v25
	v_add3_u32 v5, v11, v5, v10
	v_mad_u64_u32 v[6:7], s[2:3], s10, v37, v[6:7]
	v_mul_lo_u32 v10, s10, v36
	v_mul_lo_u32 v11, s11, v37
	v_add3_u32 v7, v11, v7, v10
	s_mov_b64 s[30:31], 0
	s_mov_b64 s[44:45], s[36:37]
                                        ; implicit-def: $sgpr40_sgpr41
                                        ; implicit-def: $sgpr42_sgpr43
                                        ; implicit-def: $sgpr2_sgpr3
                                        ; implicit-def: $sgpr46_sgpr47
	s_branch .LBB627_633
.LBB627_632:                            ;   in Loop: Header=BB627_633 Depth=2
	s_or_b64 exec, exec, s[50:51]
	s_and_b64 s[4:5], exec, s[42:43]
	s_or_b64 s[30:31], s[4:5], s[30:31]
	s_andn2_b64 s[4:5], s[46:47], exec
	s_and_b64 s[46:47], s[48:49], exec
	s_or_b64 s[46:47], s[4:5], s[46:47]
	s_andn2_b64 s[4:5], s[40:41], exec
	s_and_b64 s[40:41], s[2:3], exec
	s_or_b64 s[40:41], s[4:5], s[40:41]
	s_andn2_b64 exec, exec, s[30:31]
	s_cbranch_execz .LBB627_635
.LBB627_633:                            ;   Parent Loop BB627_593 Depth=1
                                        ; =>  This Inner Loop Header: Depth=2
	global_load_ushort v10, v[4:5], off
	global_load_ushort v11, v[6:7], off
	s_andn2_b64 s[50:51], s[2:3], exec
	s_or_b64 s[42:43], s[42:43], exec
	s_waitcnt vmcnt(0)
	v_cmp_le_i16_e64 s[2:3], v10, v11
	v_cmp_lt_i16_e32 vcc, v10, v11
	s_and_b64 s[2:3], s[2:3], s[46:47]
	s_or_b64 s[48:49], vcc, s[2:3]
	s_and_b64 s[2:3], s[48:49], exec
	v_cmp_eq_u16_e64 s[4:5], v10, v11
	s_or_b64 s[2:3], s[50:51], s[2:3]
	s_and_saveexec_b64 s[50:51], s[4:5]
	s_cbranch_execz .LBB627_632
; %bb.634:                              ;   in Loop: Header=BB627_633 Depth=2
	s_add_u32 s44, s44, -1
	s_addc_u32 s45, s45, -1
	s_cmp_eq_u64 s[44:45], 0
	s_cselect_b64 s[4:5], -1, 0
	s_andn2_b64 s[42:43], s[42:43], exec
	s_and_b64 s[4:5], s[4:5], exec
	v_lshl_add_u64 v[4:5], v[4:5], 0, 2
	v_lshl_add_u64 v[6:7], v[6:7], 0, 2
	s_andn2_b64 s[2:3], s[2:3], exec
	s_or_b64 s[42:43], s[42:43], s[4:5]
                                        ; implicit-def: $sgpr46_sgpr47
	s_branch .LBB627_632
.LBB627_635:                            ;   in Loop: Header=BB627_593 Depth=1
	s_or_b64 exec, exec, s[30:31]
	s_xor_b64 s[2:3], s[40:41], -1
	s_branch .LBB627_637
.LBB627_636:                            ;   in Loop: Header=BB627_593 Depth=1
	s_mov_b64 s[2:3], -1
.LBB627_637:                            ;   in Loop: Header=BB627_593 Depth=1
	s_and_b64 s[2:3], s[2:3], exec
.LBB627_638:                            ;   in Loop: Header=BB627_593 Depth=1
	s_or_b64 exec, exec, s[26:27]
	s_orn2_b64 s[26:27], s[2:3], exec
.LBB627_639:                            ;   in Loop: Header=BB627_593 Depth=1
	s_or_b64 exec, exec, s[28:29]
	v_cndmask_b32_e64 v4, v8, v9, s[26:27]
	v_cndmask_b32_e64 v5, v35, v27, s[26:27]
	v_add_u32_e32 v6, 1, v4
	v_add_u32_e32 v4, -1, v5
	v_min_u32_e32 v4, v6, v4
	v_lshlrev_b32_e32 v4, 3, v4
	ds_read_b64 v[4:5], v4
	v_cndmask_b32_e64 v8, v6, v8, s[26:27]
	v_cndmask_b32_e64 v9, v9, v6, s[26:27]
	v_cmp_lt_u32_e32 vcc, v8, v35
	s_mov_b64 s[30:31], -1
	s_waitcnt lgkmcnt(0)
	v_cndmask_b32_e64 v12, v5, v24, s[26:27]
	v_cndmask_b32_e64 v38, v4, v25, s[26:27]
	;; [unrolled: 1-line block ×4, first 2 shown]
	s_mov_b64 s[28:29], -1
	s_and_saveexec_b64 s[40:41], vcc
	s_cbranch_execz .LBB627_650
; %bb.640:                              ;   in Loop: Header=BB627_593 Depth=1
	v_cmp_lt_u32_e32 vcc, v9, v27
	s_mov_b64 s[2:3], 0
	s_and_saveexec_b64 s[28:29], vcc
	s_cbranch_execz .LBB627_649
; %bb.641:                              ;   in Loop: Header=BB627_593 Depth=1
	s_and_b64 vcc, exec, s[0:1]
	s_cbranch_vccnz .LBB627_647
; %bb.642:                              ;   in Loop: Header=BB627_593 Depth=1
	v_mov_b64_e32 v[6:7], s[38:39]
	v_mad_u64_u32 v[4:5], s[2:3], s10, v38, v[6:7]
	v_mul_lo_u32 v10, s10, v12
	v_mul_lo_u32 v11, s11, v38
	v_add3_u32 v5, v11, v5, v10
	v_mad_u64_u32 v[6:7], s[2:3], s10, v39, v[6:7]
	v_mul_lo_u32 v10, s10, v13
	v_mul_lo_u32 v11, s11, v39
	v_add3_u32 v7, v11, v7, v10
	s_mov_b64 s[42:43], 0
	s_mov_b64 s[48:49], s[36:37]
                                        ; implicit-def: $sgpr44_sgpr45
                                        ; implicit-def: $sgpr46_sgpr47
                                        ; implicit-def: $sgpr2_sgpr3
                                        ; implicit-def: $sgpr50_sgpr51
	s_branch .LBB627_644
.LBB627_643:                            ;   in Loop: Header=BB627_644 Depth=2
	s_or_b64 exec, exec, s[54:55]
	s_and_b64 s[4:5], exec, s[46:47]
	s_or_b64 s[42:43], s[4:5], s[42:43]
	s_andn2_b64 s[4:5], s[50:51], exec
	s_and_b64 s[50:51], s[52:53], exec
	s_or_b64 s[50:51], s[4:5], s[50:51]
	s_andn2_b64 s[4:5], s[44:45], exec
	s_and_b64 s[44:45], s[2:3], exec
	s_or_b64 s[44:45], s[4:5], s[44:45]
	s_andn2_b64 exec, exec, s[42:43]
	s_cbranch_execz .LBB627_646
.LBB627_644:                            ;   Parent Loop BB627_593 Depth=1
                                        ; =>  This Inner Loop Header: Depth=2
	global_load_ushort v10, v[4:5], off
	global_load_ushort v11, v[6:7], off
	s_andn2_b64 s[54:55], s[2:3], exec
	s_or_b64 s[46:47], s[46:47], exec
	s_waitcnt vmcnt(0)
	v_cmp_le_i16_e64 s[2:3], v10, v11
	v_cmp_lt_i16_e32 vcc, v10, v11
	s_and_b64 s[2:3], s[2:3], s[50:51]
	s_or_b64 s[52:53], vcc, s[2:3]
	s_and_b64 s[2:3], s[52:53], exec
	v_cmp_eq_u16_e64 s[4:5], v10, v11
	s_or_b64 s[2:3], s[54:55], s[2:3]
	s_and_saveexec_b64 s[54:55], s[4:5]
	s_cbranch_execz .LBB627_643
; %bb.645:                              ;   in Loop: Header=BB627_644 Depth=2
	s_add_u32 s48, s48, -1
	s_addc_u32 s49, s49, -1
	s_cmp_eq_u64 s[48:49], 0
	s_cselect_b64 s[4:5], -1, 0
	s_andn2_b64 s[46:47], s[46:47], exec
	s_and_b64 s[4:5], s[4:5], exec
	v_lshl_add_u64 v[4:5], v[4:5], 0, 2
	v_lshl_add_u64 v[6:7], v[6:7], 0, 2
	s_andn2_b64 s[2:3], s[2:3], exec
	s_or_b64 s[46:47], s[46:47], s[4:5]
                                        ; implicit-def: $sgpr50_sgpr51
	s_branch .LBB627_643
.LBB627_646:                            ;   in Loop: Header=BB627_593 Depth=1
	s_or_b64 exec, exec, s[42:43]
	s_xor_b64 s[2:3], s[44:45], -1
	s_branch .LBB627_648
.LBB627_647:                            ;   in Loop: Header=BB627_593 Depth=1
	s_mov_b64 s[2:3], -1
.LBB627_648:                            ;   in Loop: Header=BB627_593 Depth=1
	s_and_b64 s[2:3], s[2:3], exec
.LBB627_649:                            ;   in Loop: Header=BB627_593 Depth=1
	s_or_b64 exec, exec, s[28:29]
	s_orn2_b64 s[28:29], s[2:3], exec
.LBB627_650:                            ;   in Loop: Header=BB627_593 Depth=1
	s_or_b64 exec, exec, s[40:41]
	v_cndmask_b32_e64 v4, v8, v9, s[28:29]
	v_cndmask_b32_e64 v5, v35, v27, s[28:29]
	v_add_u32_e32 v6, 1, v4
	v_add_u32_e32 v4, -1, v5
	v_min_u32_e32 v4, v6, v4
	v_lshlrev_b32_e32 v4, 3, v4
	ds_read_b64 v[4:5], v4
	v_cndmask_b32_e64 v8, v6, v8, s[28:29]
	v_cndmask_b32_e64 v9, v9, v6, s[28:29]
	v_cmp_lt_u32_e32 vcc, v8, v35
	s_waitcnt lgkmcnt(0)
	v_cndmask_b32_e64 v40, v5, v12, s[28:29]
	v_cndmask_b32_e64 v41, v4, v38, s[28:29]
	;; [unrolled: 1-line block ×4, first 2 shown]
	s_and_saveexec_b64 s[40:41], vcc
	s_cbranch_execz .LBB627_661
; %bb.651:                              ;   in Loop: Header=BB627_593 Depth=1
	v_cmp_lt_u32_e32 vcc, v9, v27
	s_mov_b64 s[2:3], 0
	s_and_saveexec_b64 s[30:31], vcc
	s_cbranch_execz .LBB627_660
; %bb.652:                              ;   in Loop: Header=BB627_593 Depth=1
	s_and_b64 vcc, exec, s[0:1]
	s_cbranch_vccnz .LBB627_658
; %bb.653:                              ;   in Loop: Header=BB627_593 Depth=1
	v_mov_b64_e32 v[6:7], s[38:39]
	v_mad_u64_u32 v[4:5], s[2:3], s10, v41, v[6:7]
	v_mul_lo_u32 v10, s10, v40
	v_mul_lo_u32 v11, s11, v41
	v_add3_u32 v5, v11, v5, v10
	v_mad_u64_u32 v[6:7], s[2:3], s10, v43, v[6:7]
	v_mul_lo_u32 v10, s10, v42
	v_mul_lo_u32 v11, s11, v43
	v_add3_u32 v7, v11, v7, v10
	s_mov_b64 s[42:43], 0
	s_mov_b64 s[48:49], s[36:37]
                                        ; implicit-def: $sgpr44_sgpr45
                                        ; implicit-def: $sgpr46_sgpr47
                                        ; implicit-def: $sgpr2_sgpr3
                                        ; implicit-def: $sgpr50_sgpr51
	s_branch .LBB627_655
.LBB627_654:                            ;   in Loop: Header=BB627_655 Depth=2
	s_or_b64 exec, exec, s[54:55]
	s_and_b64 s[4:5], exec, s[46:47]
	s_or_b64 s[42:43], s[4:5], s[42:43]
	s_andn2_b64 s[4:5], s[50:51], exec
	s_and_b64 s[50:51], s[52:53], exec
	s_or_b64 s[50:51], s[4:5], s[50:51]
	s_andn2_b64 s[4:5], s[44:45], exec
	s_and_b64 s[44:45], s[2:3], exec
	s_or_b64 s[44:45], s[4:5], s[44:45]
	s_andn2_b64 exec, exec, s[42:43]
	s_cbranch_execz .LBB627_657
.LBB627_655:                            ;   Parent Loop BB627_593 Depth=1
                                        ; =>  This Inner Loop Header: Depth=2
	global_load_ushort v10, v[4:5], off
	global_load_ushort v11, v[6:7], off
	s_andn2_b64 s[54:55], s[2:3], exec
	s_or_b64 s[46:47], s[46:47], exec
	s_waitcnt vmcnt(0)
	v_cmp_le_i16_e64 s[2:3], v10, v11
	v_cmp_lt_i16_e32 vcc, v10, v11
	s_and_b64 s[2:3], s[2:3], s[50:51]
	s_or_b64 s[52:53], vcc, s[2:3]
	s_and_b64 s[2:3], s[52:53], exec
	v_cmp_eq_u16_e64 s[4:5], v10, v11
	s_or_b64 s[2:3], s[54:55], s[2:3]
	s_and_saveexec_b64 s[54:55], s[4:5]
	s_cbranch_execz .LBB627_654
; %bb.656:                              ;   in Loop: Header=BB627_655 Depth=2
	s_add_u32 s48, s48, -1
	s_addc_u32 s49, s49, -1
	s_cmp_eq_u64 s[48:49], 0
	s_cselect_b64 s[4:5], -1, 0
	s_andn2_b64 s[46:47], s[46:47], exec
	s_and_b64 s[4:5], s[4:5], exec
	v_lshl_add_u64 v[4:5], v[4:5], 0, 2
	v_lshl_add_u64 v[6:7], v[6:7], 0, 2
	s_andn2_b64 s[2:3], s[2:3], exec
	s_or_b64 s[46:47], s[46:47], s[4:5]
                                        ; implicit-def: $sgpr50_sgpr51
	s_branch .LBB627_654
.LBB627_657:                            ;   in Loop: Header=BB627_593 Depth=1
	s_or_b64 exec, exec, s[42:43]
	s_xor_b64 s[2:3], s[44:45], -1
	s_branch .LBB627_659
.LBB627_658:                            ;   in Loop: Header=BB627_593 Depth=1
	s_mov_b64 s[2:3], -1
.LBB627_659:                            ;   in Loop: Header=BB627_593 Depth=1
	s_and_b64 s[2:3], s[2:3], exec
.LBB627_660:                            ;   in Loop: Header=BB627_593 Depth=1
	s_or_b64 exec, exec, s[30:31]
	s_orn2_b64 s[30:31], s[2:3], exec
.LBB627_661:                            ;   in Loop: Header=BB627_593 Depth=1
	s_or_b64 exec, exec, s[40:41]
	v_cndmask_b32_e64 v4, v8, v9, s[30:31]
	v_cndmask_b32_e64 v5, v35, v27, s[30:31]
	v_add_u32_e32 v6, 1, v4
	v_add_u32_e32 v4, -1, v5
	v_min_u32_e32 v4, v6, v4
	v_lshlrev_b32_e32 v4, 3, v4
	ds_read_b64 v[4:5], v4
	v_cndmask_b32_e64 v8, v6, v8, s[30:31]
	v_cndmask_b32_e64 v9, v9, v6, s[30:31]
	v_cmp_lt_u32_e32 vcc, v8, v35
	s_mov_b64 s[40:41], -1
	s_waitcnt lgkmcnt(0)
	v_cndmask_b32_e64 v44, v5, v40, s[30:31]
	v_cndmask_b32_e64 v45, v4, v41, s[30:31]
	;; [unrolled: 1-line block ×4, first 2 shown]
	s_mov_b64 s[42:43], -1
	s_and_saveexec_b64 s[44:45], vcc
	s_cbranch_execz .LBB627_672
; %bb.662:                              ;   in Loop: Header=BB627_593 Depth=1
	v_cmp_lt_u32_e32 vcc, v9, v27
	s_mov_b64 s[2:3], 0
	s_and_saveexec_b64 s[42:43], vcc
	s_cbranch_execz .LBB627_671
; %bb.663:                              ;   in Loop: Header=BB627_593 Depth=1
	s_and_b64 vcc, exec, s[0:1]
	s_cbranch_vccnz .LBB627_669
; %bb.664:                              ;   in Loop: Header=BB627_593 Depth=1
	v_mov_b64_e32 v[6:7], s[38:39]
	v_mad_u64_u32 v[4:5], s[2:3], s10, v45, v[6:7]
	v_mul_lo_u32 v10, s10, v44
	v_mul_lo_u32 v11, s11, v45
	v_add3_u32 v5, v11, v5, v10
	v_mad_u64_u32 v[6:7], s[2:3], s10, v47, v[6:7]
	v_mul_lo_u32 v10, s10, v46
	v_mul_lo_u32 v11, s11, v47
	v_add3_u32 v7, v11, v7, v10
	s_mov_b64 s[46:47], 0
	s_mov_b64 s[52:53], s[36:37]
                                        ; implicit-def: $sgpr48_sgpr49
                                        ; implicit-def: $sgpr50_sgpr51
                                        ; implicit-def: $sgpr2_sgpr3
                                        ; implicit-def: $sgpr54_sgpr55
	s_branch .LBB627_666
.LBB627_665:                            ;   in Loop: Header=BB627_666 Depth=2
	s_or_b64 exec, exec, s[58:59]
	s_and_b64 s[4:5], exec, s[50:51]
	s_or_b64 s[46:47], s[4:5], s[46:47]
	s_andn2_b64 s[4:5], s[54:55], exec
	s_and_b64 s[54:55], s[56:57], exec
	s_or_b64 s[54:55], s[4:5], s[54:55]
	s_andn2_b64 s[4:5], s[48:49], exec
	s_and_b64 s[48:49], s[2:3], exec
	s_or_b64 s[48:49], s[4:5], s[48:49]
	s_andn2_b64 exec, exec, s[46:47]
	s_cbranch_execz .LBB627_668
.LBB627_666:                            ;   Parent Loop BB627_593 Depth=1
                                        ; =>  This Inner Loop Header: Depth=2
	global_load_ushort v10, v[4:5], off
	global_load_ushort v11, v[6:7], off
	s_andn2_b64 s[58:59], s[2:3], exec
	s_or_b64 s[50:51], s[50:51], exec
	s_waitcnt vmcnt(0)
	v_cmp_le_i16_e64 s[2:3], v10, v11
	v_cmp_lt_i16_e32 vcc, v10, v11
	s_and_b64 s[2:3], s[2:3], s[54:55]
	s_or_b64 s[56:57], vcc, s[2:3]
	s_and_b64 s[2:3], s[56:57], exec
	v_cmp_eq_u16_e64 s[4:5], v10, v11
	s_or_b64 s[2:3], s[58:59], s[2:3]
	s_and_saveexec_b64 s[58:59], s[4:5]
	s_cbranch_execz .LBB627_665
; %bb.667:                              ;   in Loop: Header=BB627_666 Depth=2
	s_add_u32 s52, s52, -1
	s_addc_u32 s53, s53, -1
	s_cmp_eq_u64 s[52:53], 0
	s_cselect_b64 s[4:5], -1, 0
	s_andn2_b64 s[50:51], s[50:51], exec
	s_and_b64 s[4:5], s[4:5], exec
	v_lshl_add_u64 v[4:5], v[4:5], 0, 2
	v_lshl_add_u64 v[6:7], v[6:7], 0, 2
	s_andn2_b64 s[2:3], s[2:3], exec
	s_or_b64 s[50:51], s[50:51], s[4:5]
                                        ; implicit-def: $sgpr54_sgpr55
	s_branch .LBB627_665
.LBB627_668:                            ;   in Loop: Header=BB627_593 Depth=1
	s_or_b64 exec, exec, s[46:47]
	s_xor_b64 s[2:3], s[48:49], -1
	s_branch .LBB627_670
.LBB627_669:                            ;   in Loop: Header=BB627_593 Depth=1
	s_mov_b64 s[2:3], -1
.LBB627_670:                            ;   in Loop: Header=BB627_593 Depth=1
	s_and_b64 s[2:3], s[2:3], exec
.LBB627_671:                            ;   in Loop: Header=BB627_593 Depth=1
	s_or_b64 exec, exec, s[42:43]
	s_orn2_b64 s[42:43], s[2:3], exec
.LBB627_672:                            ;   in Loop: Header=BB627_593 Depth=1
	s_or_b64 exec, exec, s[44:45]
	v_cndmask_b32_e64 v4, v8, v9, s[42:43]
	v_cndmask_b32_e64 v5, v35, v27, s[42:43]
	v_add_u32_e32 v6, 1, v4
	v_add_u32_e32 v4, -1, v5
	v_min_u32_e32 v4, v6, v4
	v_lshlrev_b32_e32 v4, 3, v4
	ds_read_b64 v[4:5], v4
	v_cndmask_b32_e64 v10, v6, v8, s[42:43]
	v_cndmask_b32_e64 v8, v9, v6, s[42:43]
	v_cmp_lt_u32_e32 vcc, v10, v35
	s_waitcnt lgkmcnt(0)
	v_cndmask_b32_e64 v48, v5, v44, s[42:43]
	v_cndmask_b32_e64 v49, v4, v45, s[42:43]
	v_cndmask_b32_e64 v50, v46, v5, s[42:43]
	v_cndmask_b32_e64 v51, v47, v4, s[42:43]
	s_and_saveexec_b64 s[44:45], vcc
	s_cbranch_execz .LBB627_683
; %bb.673:                              ;   in Loop: Header=BB627_593 Depth=1
	v_cmp_lt_u32_e32 vcc, v8, v27
	s_mov_b64 s[2:3], 0
	s_and_saveexec_b64 s[40:41], vcc
	s_cbranch_execz .LBB627_682
; %bb.674:                              ;   in Loop: Header=BB627_593 Depth=1
	s_and_b64 vcc, exec, s[0:1]
	s_cbranch_vccnz .LBB627_680
; %bb.675:                              ;   in Loop: Header=BB627_593 Depth=1
	v_mov_b64_e32 v[6:7], s[38:39]
	v_mad_u64_u32 v[4:5], s[2:3], s10, v49, v[6:7]
	v_mul_lo_u32 v9, s10, v48
	v_mul_lo_u32 v11, s11, v49
	v_add3_u32 v5, v11, v5, v9
	v_mad_u64_u32 v[6:7], s[2:3], s10, v51, v[6:7]
	v_mul_lo_u32 v9, s10, v50
	v_mul_lo_u32 v11, s11, v51
	v_add3_u32 v7, v11, v7, v9
	s_mov_b64 s[46:47], 0
	s_mov_b64 s[52:53], s[36:37]
                                        ; implicit-def: $sgpr48_sgpr49
                                        ; implicit-def: $sgpr50_sgpr51
                                        ; implicit-def: $sgpr2_sgpr3
                                        ; implicit-def: $sgpr54_sgpr55
	s_branch .LBB627_677
.LBB627_676:                            ;   in Loop: Header=BB627_677 Depth=2
	s_or_b64 exec, exec, s[58:59]
	s_and_b64 s[4:5], exec, s[50:51]
	s_or_b64 s[46:47], s[4:5], s[46:47]
	s_andn2_b64 s[4:5], s[54:55], exec
	s_and_b64 s[54:55], s[56:57], exec
	s_or_b64 s[54:55], s[4:5], s[54:55]
	s_andn2_b64 s[4:5], s[48:49], exec
	s_and_b64 s[48:49], s[2:3], exec
	s_or_b64 s[48:49], s[4:5], s[48:49]
	s_andn2_b64 exec, exec, s[46:47]
	s_cbranch_execz .LBB627_679
.LBB627_677:                            ;   Parent Loop BB627_593 Depth=1
                                        ; =>  This Inner Loop Header: Depth=2
	global_load_ushort v9, v[4:5], off
	global_load_ushort v11, v[6:7], off
	s_andn2_b64 s[58:59], s[2:3], exec
	s_or_b64 s[50:51], s[50:51], exec
	s_waitcnt vmcnt(0)
	v_cmp_le_i16_e64 s[2:3], v9, v11
	v_cmp_lt_i16_e32 vcc, v9, v11
	s_and_b64 s[2:3], s[2:3], s[54:55]
	s_or_b64 s[56:57], vcc, s[2:3]
	s_and_b64 s[2:3], s[56:57], exec
	v_cmp_eq_u16_e64 s[4:5], v9, v11
	s_or_b64 s[2:3], s[58:59], s[2:3]
	s_and_saveexec_b64 s[58:59], s[4:5]
	s_cbranch_execz .LBB627_676
; %bb.678:                              ;   in Loop: Header=BB627_677 Depth=2
	s_add_u32 s52, s52, -1
	s_addc_u32 s53, s53, -1
	s_cmp_eq_u64 s[52:53], 0
	s_cselect_b64 s[4:5], -1, 0
	s_andn2_b64 s[50:51], s[50:51], exec
	s_and_b64 s[4:5], s[4:5], exec
	v_lshl_add_u64 v[4:5], v[4:5], 0, 2
	v_lshl_add_u64 v[6:7], v[6:7], 0, 2
	s_andn2_b64 s[2:3], s[2:3], exec
	s_or_b64 s[50:51], s[50:51], s[4:5]
                                        ; implicit-def: $sgpr54_sgpr55
	s_branch .LBB627_676
.LBB627_679:                            ;   in Loop: Header=BB627_593 Depth=1
	s_or_b64 exec, exec, s[46:47]
	s_xor_b64 s[2:3], s[48:49], -1
	s_branch .LBB627_681
.LBB627_680:                            ;   in Loop: Header=BB627_593 Depth=1
	s_mov_b64 s[2:3], -1
.LBB627_681:                            ;   in Loop: Header=BB627_593 Depth=1
	s_and_b64 s[2:3], s[2:3], exec
.LBB627_682:                            ;   in Loop: Header=BB627_593 Depth=1
	s_or_b64 exec, exec, s[40:41]
	s_orn2_b64 s[40:41], s[2:3], exec
.LBB627_683:                            ;   in Loop: Header=BB627_593 Depth=1
	s_or_b64 exec, exec, s[44:45]
	v_cndmask_b32_e64 v4, v10, v8, s[40:41]
	v_cndmask_b32_e64 v5, v35, v27, s[40:41]
	v_add_u32_e32 v9, 1, v4
	v_add_u32_e32 v4, -1, v5
	v_min_u32_e32 v4, v9, v4
	v_lshlrev_b32_e32 v4, 3, v4
	ds_read_b64 v[6:7], v4
	v_cndmask_b32_e64 v10, v9, v10, s[40:41]
	v_cmp_lt_u32_e32 vcc, v10, v35
	s_waitcnt lgkmcnt(0)
	v_cndmask_b32_e64 v5, v50, v7, s[40:41]
	v_cndmask_b32_e64 v4, v51, v6, s[40:41]
	s_and_saveexec_b64 s[44:45], vcc
	s_cbranch_execz .LBB627_693
; %bb.684:                              ;   in Loop: Header=BB627_593 Depth=1
	v_cndmask_b32_e64 v8, v8, v9, s[40:41]
	v_cndmask_b32_e64 v7, v7, v48, s[40:41]
	;; [unrolled: 1-line block ×3, first 2 shown]
	v_cmp_lt_u32_e32 vcc, v8, v27
	s_and_saveexec_b64 s[46:47], vcc
	s_cbranch_execz .LBB627_692
; %bb.685:                              ;   in Loop: Header=BB627_593 Depth=1
	s_and_b64 vcc, exec, s[0:1]
	s_cbranch_vccnz .LBB627_691
; %bb.686:                              ;   in Loop: Header=BB627_593 Depth=1
	v_mov_b64_e32 v[10:11], s[38:39]
	v_mad_u64_u32 v[8:9], s[2:3], s10, v6, v[10:11]
	v_mul_lo_u32 v27, s10, v7
	v_mul_lo_u32 v35, s11, v6
	v_add3_u32 v9, v35, v9, v27
	v_mad_u64_u32 v[10:11], s[2:3], s10, v4, v[10:11]
	v_mul_lo_u32 v27, s10, v5
	v_mul_lo_u32 v35, s11, v4
	v_add3_u32 v11, v35, v11, v27
	s_mov_b64 s[48:49], 0
	s_mov_b64 s[54:55], s[36:37]
                                        ; implicit-def: $sgpr50_sgpr51
                                        ; implicit-def: $sgpr52_sgpr53
                                        ; implicit-def: $sgpr2_sgpr3
                                        ; implicit-def: $sgpr56_sgpr57
	s_branch .LBB627_688
.LBB627_687:                            ;   in Loop: Header=BB627_688 Depth=2
	s_or_b64 exec, exec, s[60:61]
	s_and_b64 s[4:5], exec, s[52:53]
	s_or_b64 s[48:49], s[4:5], s[48:49]
	s_andn2_b64 s[4:5], s[56:57], exec
	s_and_b64 s[56:57], s[58:59], exec
	s_or_b64 s[56:57], s[4:5], s[56:57]
	s_andn2_b64 s[4:5], s[50:51], exec
	s_and_b64 s[50:51], s[2:3], exec
	s_or_b64 s[50:51], s[4:5], s[50:51]
	s_andn2_b64 exec, exec, s[48:49]
	s_cbranch_execz .LBB627_690
.LBB627_688:                            ;   Parent Loop BB627_593 Depth=1
                                        ; =>  This Inner Loop Header: Depth=2
	global_load_ushort v27, v[8:9], off
	global_load_ushort v35, v[10:11], off
	s_andn2_b64 s[60:61], s[2:3], exec
	s_or_b64 s[52:53], s[52:53], exec
	s_waitcnt vmcnt(0)
	v_cmp_le_i16_e64 s[2:3], v27, v35
	v_cmp_lt_i16_e32 vcc, v27, v35
	s_and_b64 s[2:3], s[2:3], s[56:57]
	s_or_b64 s[58:59], vcc, s[2:3]
	s_and_b64 s[2:3], s[58:59], exec
	v_cmp_eq_u16_e64 s[4:5], v27, v35
	s_or_b64 s[2:3], s[60:61], s[2:3]
	s_and_saveexec_b64 s[60:61], s[4:5]
	s_cbranch_execz .LBB627_687
; %bb.689:                              ;   in Loop: Header=BB627_688 Depth=2
	s_add_u32 s54, s54, -1
	s_addc_u32 s55, s55, -1
	s_cmp_eq_u64 s[54:55], 0
	s_cselect_b64 s[4:5], -1, 0
	s_andn2_b64 s[52:53], s[52:53], exec
	s_and_b64 s[4:5], s[4:5], exec
	v_lshl_add_u64 v[8:9], v[8:9], 0, 2
	v_lshl_add_u64 v[10:11], v[10:11], 0, 2
	s_andn2_b64 s[2:3], s[2:3], exec
	s_or_b64 s[52:53], s[52:53], s[4:5]
                                        ; implicit-def: $sgpr56_sgpr57
	s_branch .LBB627_687
.LBB627_690:                            ;   in Loop: Header=BB627_593 Depth=1
	s_or_b64 exec, exec, s[48:49]
	v_cndmask_b32_e64 v5, v5, v7, s[50:51]
	v_cndmask_b32_e64 v4, v4, v6, s[50:51]
.LBB627_691:                            ;   in Loop: Header=BB627_593 Depth=1
	v_mov_b64_e32 v[6:7], v[4:5]
.LBB627_692:                            ;   in Loop: Header=BB627_593 Depth=1
	s_or_b64 exec, exec, s[46:47]
	v_mov_b64_e32 v[4:5], v[6:7]
.LBB627_693:                            ;   in Loop: Header=BB627_593 Depth=1
	s_or_b64 exec, exec, s[44:45]
	v_cndmask_b32_e64 v9, v44, v46, s[42:43]
	v_cndmask_b32_e64 v8, v45, v47, s[42:43]
	;; [unrolled: 1-line block ×14, first 2 shown]
.LBB627_694:                            ;   in Loop: Header=BB627_593 Depth=1
	s_or_b64 exec, exec, s[12:13]
	s_cmpk_lt_u32 s9, 0x400
	s_barrier
	s_cbranch_scc0 .LBB627_696
; %bb.695:                              ;   in Loop: Header=BB627_593 Depth=1
	s_mov_b32 s9, s15
	s_branch .LBB627_593
.LBB627_696:
	s_barrier
	ds_write2_b64 v34, v[14:15], v[16:17] offset1:1
	ds_write2_b64 v34, v[10:11], v[12:13] offset0:2 offset1:3
	ds_write2_b64 v34, v[6:7], v[8:9] offset0:4 offset1:5
	;; [unrolled: 1-line block ×3, first 2 shown]
	s_waitcnt lgkmcnt(0)
	s_barrier
	ds_read_b64 v[2:3], v1
	ds_read_b64 v[4:5], v21 offset:2048
	ds_read_b64 v[6:7], v28 offset:4096
	ds_read_b64 v[8:9], v29 offset:6144
	ds_read_b64 v[10:11], v30 offset:8192
	ds_read_b64 v[12:13], v31 offset:10240
	ds_read_b64 v[16:17], v32 offset:12288
	ds_read_b64 v[14:15], v33 offset:14336
	v_mov_b32_e32 v21, 0
	v_lshl_add_u64 v[22:23], s[34:35], 0, v[20:21]
	s_movk_i32 s0, 0x1000
	s_waitcnt lgkmcnt(7)
	global_store_dwordx2 v20, v[2:3], s[34:35]
	s_waitcnt lgkmcnt(6)
	global_store_dwordx2 v20, v[4:5], s[34:35] offset:2048
	v_add_co_u32_e32 v2, vcc, s0, v22
	s_nop 1
	v_addc_co_u32_e32 v3, vcc, 0, v23, vcc
	s_waitcnt lgkmcnt(5)
	global_store_dwordx2 v[2:3], v[6:7], off
	s_waitcnt lgkmcnt(4)
	global_store_dwordx2 v[2:3], v[8:9], off offset:2048
	v_add_co_u32_e32 v2, vcc, 0x2000, v22
	s_mov_b64 s[40:41], -1
	s_nop 0
	v_addc_co_u32_e32 v3, vcc, 0, v23, vcc
	s_waitcnt lgkmcnt(3)
	global_store_dwordx2 v[2:3], v[10:11], off
	s_waitcnt lgkmcnt(2)
	global_store_dwordx2 v[2:3], v[12:13], off offset:2048
	v_add_co_u32_e32 v2, vcc, 0x3000, v22
	s_nop 1
	v_addc_co_u32_e32 v3, vcc, 0, v23, vcc
	s_waitcnt lgkmcnt(1)
	global_store_dwordx2 v[2:3], v[16:17], off
	s_branch .LBB627_1482
.LBB627_697:
	s_lshl_b64 s[0:1], s[6:7], 11
	s_sub_i32 s33, s8, s0
	v_cmp_gt_u32_e64 s[0:1], s33, v18
	v_lshlrev_b32_e32 v20, 3, v18
                                        ; implicit-def: $vgpr8_vgpr9
	s_and_saveexec_b64 s[2:3], s[0:1]
	s_cbranch_execz .LBB627_699
; %bb.698:
	global_load_dwordx2 v[8:9], v20, s[20:21]
.LBB627_699:
	s_or_b64 exec, exec, s[2:3]
	v_add_u32_e32 v1, 0x100, v18
	v_cmp_gt_u32_e64 s[2:3], s33, v1
                                        ; implicit-def: $vgpr10_vgpr11
	s_and_saveexec_b64 s[4:5], s[2:3]
	s_cbranch_execz .LBB627_701
; %bb.700:
	global_load_dwordx2 v[10:11], v20, s[20:21] offset:2048
.LBB627_701:
	s_or_b64 exec, exec, s[4:5]
	v_add_u32_e32 v2, 0x200, v18
	v_cmp_gt_u32_e64 s[4:5], s33, v2
                                        ; implicit-def: $vgpr12_vgpr13
	s_and_saveexec_b64 s[6:7], s[4:5]
	s_cbranch_execz .LBB627_703
; %bb.702:
	v_lshlrev_b32_e32 v3, 3, v2
	global_load_dwordx2 v[12:13], v3, s[20:21]
.LBB627_703:
	s_or_b64 exec, exec, s[6:7]
	v_add_u32_e32 v3, 0x300, v18
	v_cmp_gt_u32_e64 s[6:7], s33, v3
                                        ; implicit-def: $vgpr14_vgpr15
	s_and_saveexec_b64 s[8:9], s[6:7]
	s_cbranch_execz .LBB627_705
; %bb.704:
	v_lshlrev_b32_e32 v4, 3, v3
	s_waitcnt lgkmcnt(0)
	global_load_dwordx2 v[14:15], v4, s[20:21]
.LBB627_705:
	s_or_b64 exec, exec, s[8:9]
	v_or_b32_e32 v4, 0x400, v18
	v_cmp_gt_u32_e64 s[8:9], s33, v4
                                        ; implicit-def: $vgpr16_vgpr17
	s_and_saveexec_b64 s[10:11], s[8:9]
	s_cbranch_execz .LBB627_707
; %bb.706:
	v_lshlrev_b32_e32 v5, 3, v4
	global_load_dwordx2 v[16:17], v5, s[20:21]
.LBB627_707:
	s_or_b64 exec, exec, s[10:11]
	v_add_u32_e32 v5, 0x500, v18
	v_cmp_gt_u32_e64 s[10:11], s33, v5
                                        ; implicit-def: $vgpr22_vgpr23
	s_and_saveexec_b64 s[12:13], s[10:11]
	s_cbranch_execz .LBB627_709
; %bb.708:
	v_lshlrev_b32_e32 v6, 3, v5
	global_load_dwordx2 v[22:23], v6, s[20:21]
.LBB627_709:
	s_or_b64 exec, exec, s[12:13]
	v_add_u32_e32 v6, 0x600, v18
	v_cmp_gt_u32_e64 s[12:13], s33, v6
                                        ; implicit-def: $vgpr24_vgpr25
	s_and_saveexec_b64 s[22:23], s[12:13]
	s_cbranch_execz .LBB627_711
; %bb.710:
	v_lshlrev_b32_e32 v7, 3, v6
	global_load_dwordx2 v[24:25], v7, s[20:21]
.LBB627_711:
	s_or_b64 exec, exec, s[22:23]
	v_add_u32_e32 v7, 0x700, v18
	v_cmp_gt_u32_e64 s[40:41], s33, v7
                                        ; implicit-def: $vgpr32_vgpr33
	s_and_saveexec_b64 s[22:23], s[40:41]
	s_cbranch_execz .LBB627_713
; %bb.712:
	v_lshlrev_b32_e32 v19, 3, v7
	global_load_dwordx2 v[32:33], v19, s[20:21]
.LBB627_713:
	s_or_b64 exec, exec, s[22:23]
	v_lshrrev_b32_e32 v1, 2, v1
	v_and_b32_e32 v1, 0x1f8, v1
	v_add_u32_e32 v21, v1, v20
	v_lshrrev_b32_e32 v1, 2, v2
	v_and_b32_e32 v1, 0x1f8, v1
	v_add_u32_e32 v26, v1, v20
	;; [unrolled: 3-line block ×6, first 2 shown]
	v_lshrrev_b32_e32 v1, 2, v7
	v_and_b32_e32 v1, 0x3f8, v1
	v_lshrrev_b32_e32 v19, 2, v18
	v_add_u32_e32 v31, v1, v20
	v_lshlrev_b32_e32 v1, 1, v18
	v_and_b32_e32 v19, 0xf8, v19
	v_and_b32_e32 v1, 0x7f8, v1
	v_add_u32_e32 v19, v19, v20
	s_waitcnt vmcnt(0)
	ds_write_b64 v31, v[32:33] offset:14336
	v_lshl_add_u32 v32, v18, 6, v1
	ds_write_b64 v19, v[8:9]
	ds_write_b64 v21, v[10:11] offset:2048
	ds_write_b64 v26, v[12:13] offset:4096
	s_waitcnt lgkmcnt(4)
	ds_write_b64 v27, v[14:15] offset:6144
	ds_write_b64 v28, v[16:17] offset:8192
	ds_write_b64 v29, v[22:23] offset:10240
	ds_write_b64 v30, v[24:25] offset:12288
	s_waitcnt lgkmcnt(0)
	s_barrier
	ds_read2_b64 v[14:17], v32 offset1:1
	ds_read2_b64 v[10:13], v32 offset0:2 offset1:3
	ds_read2_b64 v[6:9], v32 offset0:4 offset1:5
	;; [unrolled: 1-line block ×3, first 2 shown]
	s_waitcnt lgkmcnt(0)
	s_barrier
	s_load_dword s15, s[16:17], 0xc
	v_mov_b32_e32 v1, 0
	v_bfe_u32 v22, v0, 10, 10
	v_bfe_u32 v0, v0, 20, 10
	v_cmp_gt_i64_e64 s[42:43], s[36:37], 0
	s_waitcnt lgkmcnt(0)
	s_lshr_b32 s19, s15, 16
	s_cmp_lt_u32 s14, s18
	s_cselect_b32 s14, 12, 18
	s_add_u32 s14, s16, s14
	s_addc_u32 s15, s17, 0
	global_load_ushort v1, v1, s[14:15]
	v_mad_u32_u24 v0, v0, s19, v22
	s_waitcnt vmcnt(0)
	v_mul_lo_u32 v0, v0, v1
	v_add_lshl_u32 v24, v0, v18, 3
	v_sub_u32_e64 v25, s33, v24 clamp
	v_cmp_lt_u32_e64 s[14:15], 1, v25
	s_and_saveexec_b64 s[20:21], s[14:15]
	s_cbranch_execz .LBB627_722
; %bb.714:
	s_andn2_b64 vcc, exec, s[42:43]
	s_cbranch_vccnz .LBB627_722
; %bb.715:
	v_mul_lo_u32 v22, v17, s36
	v_mul_lo_u32 v23, v16, s37
	v_mad_u64_u32 v[0:1], s[16:17], v16, s36, 0
	v_add3_u32 v1, v1, v23, v22
	v_mul_lo_u32 v33, v15, s36
	v_mul_lo_u32 v34, v14, s37
	v_mad_u64_u32 v[22:23], s[16:17], v14, s36, 0
	v_add3_u32 v23, v23, v34, v33
	v_lshl_add_u64 v[0:1], v[0:1], 1, s[38:39]
	v_lshl_add_u64 v[22:23], v[22:23], 1, s[38:39]
	s_mov_b64 s[24:25], 0
	s_mov_b64 s[46:47], s[36:37]
                                        ; implicit-def: $sgpr22_sgpr23
                                        ; implicit-def: $sgpr26_sgpr27
                                        ; implicit-def: $sgpr30_sgpr31
                                        ; implicit-def: $sgpr28_sgpr29
                                        ; implicit-def: $sgpr44_sgpr45
	s_branch .LBB627_717
.LBB627_716:                            ;   in Loop: Header=BB627_717 Depth=1
	s_or_b64 exec, exec, s[48:49]
	s_and_b64 s[16:17], s[16:17], s[44:45]
	s_or_b64 s[16:17], vcc, s[16:17]
	s_and_b64 s[18:19], exec, s[30:31]
	s_or_b64 s[24:25], s[18:19], s[24:25]
	s_andn2_b64 s[18:19], s[44:45], exec
	s_and_b64 s[16:17], s[16:17], exec
	s_or_b64 s[44:45], s[18:19], s[16:17]
	s_andn2_b64 s[18:19], s[26:27], exec
	s_and_b64 s[26:27], s[28:29], exec
	s_or_b64 s[26:27], s[18:19], s[26:27]
	s_andn2_b64 s[18:19], s[22:23], exec
	s_or_b64 s[22:23], s[18:19], s[16:17]
	s_andn2_b64 exec, exec, s[24:25]
	s_cbranch_execz .LBB627_719
.LBB627_717:                            ; =>This Inner Loop Header: Depth=1
	global_load_ushort v33, v[0:1], off
	global_load_ushort v34, v[22:23], off
	s_or_b64 s[28:29], s[28:29], exec
	s_or_b64 s[30:31], s[30:31], exec
	s_waitcnt vmcnt(0)
	v_cmp_lt_i16_e32 vcc, v33, v34
	v_cmp_le_i16_e64 s[16:17], v33, v34
	v_cmp_eq_u16_e64 s[18:19], v33, v34
	s_and_saveexec_b64 s[48:49], s[18:19]
	s_cbranch_execz .LBB627_716
; %bb.718:                              ;   in Loop: Header=BB627_717 Depth=1
	s_add_u32 s46, s46, -1
	s_addc_u32 s47, s47, -1
	s_cmp_eq_u64 s[46:47], 0
	s_cselect_b64 s[18:19], -1, 0
	s_andn2_b64 s[30:31], s[30:31], exec
	s_and_b64 s[18:19], s[18:19], exec
	v_lshl_add_u64 v[0:1], v[0:1], 0, 2
	v_lshl_add_u64 v[22:23], v[22:23], 0, 2
	s_andn2_b64 s[28:29], s[28:29], exec
	s_or_b64 s[30:31], s[30:31], s[18:19]
	s_branch .LBB627_716
.LBB627_719:
	s_or_b64 exec, exec, s[24:25]
	s_and_saveexec_b64 s[16:17], s[26:27]
	s_xor_b64 s[16:17], exec, s[16:17]
; %bb.720:
	v_cndmask_b32_e64 v1, v17, v15, s[22:23]
	v_cndmask_b32_e64 v0, v16, v14, s[22:23]
	v_cndmask_b32_e64 v15, v15, v17, s[22:23]
	v_cndmask_b32_e64 v14, v14, v16, s[22:23]
	v_mov_b64_e32 v[16:17], v[0:1]
; %bb.721:
	s_or_b64 exec, exec, s[16:17]
.LBB627_722:
	s_or_b64 exec, exec, s[20:21]
	v_cmp_lt_u32_e64 s[16:17], 3, v25
	s_and_saveexec_b64 s[22:23], s[16:17]
	s_cbranch_execz .LBB627_731
; %bb.723:
	s_andn2_b64 vcc, exec, s[42:43]
	s_cbranch_vccnz .LBB627_731
; %bb.724:
	v_mul_lo_u32 v22, v13, s36
	v_mul_lo_u32 v23, v12, s37
	v_mad_u64_u32 v[0:1], s[18:19], v12, s36, 0
	v_add3_u32 v1, v1, v23, v22
	v_mul_lo_u32 v33, v11, s36
	v_mul_lo_u32 v34, v10, s37
	v_mad_u64_u32 v[22:23], s[18:19], v10, s36, 0
	v_add3_u32 v23, v23, v34, v33
	v_lshl_add_u64 v[0:1], v[0:1], 1, s[38:39]
	v_lshl_add_u64 v[22:23], v[22:23], 1, s[38:39]
	s_mov_b64 s[26:27], 0
	s_mov_b64 s[48:49], s[36:37]
                                        ; implicit-def: $sgpr24_sgpr25
                                        ; implicit-def: $sgpr28_sgpr29
                                        ; implicit-def: $sgpr44_sgpr45
                                        ; implicit-def: $sgpr30_sgpr31
                                        ; implicit-def: $sgpr46_sgpr47
	s_branch .LBB627_726
.LBB627_725:                            ;   in Loop: Header=BB627_726 Depth=1
	s_or_b64 exec, exec, s[50:51]
	s_and_b64 s[18:19], s[18:19], s[46:47]
	s_or_b64 s[18:19], vcc, s[18:19]
	s_and_b64 s[20:21], exec, s[44:45]
	s_or_b64 s[26:27], s[20:21], s[26:27]
	s_andn2_b64 s[20:21], s[46:47], exec
	s_and_b64 s[18:19], s[18:19], exec
	s_or_b64 s[46:47], s[20:21], s[18:19]
	s_andn2_b64 s[20:21], s[28:29], exec
	s_and_b64 s[28:29], s[30:31], exec
	s_or_b64 s[28:29], s[20:21], s[28:29]
	s_andn2_b64 s[20:21], s[24:25], exec
	s_or_b64 s[24:25], s[20:21], s[18:19]
	s_andn2_b64 exec, exec, s[26:27]
	s_cbranch_execz .LBB627_728
.LBB627_726:                            ; =>This Inner Loop Header: Depth=1
	global_load_ushort v33, v[0:1], off
	global_load_ushort v34, v[22:23], off
	s_or_b64 s[30:31], s[30:31], exec
	s_or_b64 s[44:45], s[44:45], exec
	s_waitcnt vmcnt(0)
	v_cmp_lt_i16_e32 vcc, v33, v34
	v_cmp_le_i16_e64 s[18:19], v33, v34
	v_cmp_eq_u16_e64 s[20:21], v33, v34
	s_and_saveexec_b64 s[50:51], s[20:21]
	s_cbranch_execz .LBB627_725
; %bb.727:                              ;   in Loop: Header=BB627_726 Depth=1
	s_add_u32 s48, s48, -1
	s_addc_u32 s49, s49, -1
	s_cmp_eq_u64 s[48:49], 0
	s_cselect_b64 s[20:21], -1, 0
	s_andn2_b64 s[44:45], s[44:45], exec
	s_and_b64 s[20:21], s[20:21], exec
	v_lshl_add_u64 v[0:1], v[0:1], 0, 2
	v_lshl_add_u64 v[22:23], v[22:23], 0, 2
	s_andn2_b64 s[30:31], s[30:31], exec
	s_or_b64 s[44:45], s[44:45], s[20:21]
	s_branch .LBB627_725
.LBB627_728:
	s_or_b64 exec, exec, s[26:27]
	s_and_saveexec_b64 s[18:19], s[28:29]
	s_xor_b64 s[18:19], exec, s[18:19]
; %bb.729:
	v_cndmask_b32_e64 v1, v11, v13, s[24:25]
	v_cndmask_b32_e64 v0, v10, v12, s[24:25]
	;; [unrolled: 1-line block ×4, first 2 shown]
	v_mov_b64_e32 v[10:11], v[0:1]
; %bb.730:
	s_or_b64 exec, exec, s[18:19]
.LBB627_731:
	s_or_b64 exec, exec, s[22:23]
	v_cmp_lt_u32_e64 s[18:19], 5, v25
	s_and_saveexec_b64 s[24:25], s[18:19]
	s_cbranch_execz .LBB627_740
; %bb.732:
	s_andn2_b64 vcc, exec, s[42:43]
	s_cbranch_vccnz .LBB627_740
; %bb.733:
	v_mul_lo_u32 v22, v9, s36
	v_mul_lo_u32 v23, v8, s37
	v_mad_u64_u32 v[0:1], s[20:21], v8, s36, 0
	v_add3_u32 v1, v1, v23, v22
	v_mul_lo_u32 v33, v7, s36
	v_mul_lo_u32 v34, v6, s37
	v_mad_u64_u32 v[22:23], s[20:21], v6, s36, 0
	v_add3_u32 v23, v23, v34, v33
	v_lshl_add_u64 v[0:1], v[0:1], 1, s[38:39]
	v_lshl_add_u64 v[22:23], v[22:23], 1, s[38:39]
	s_mov_b64 s[28:29], 0
	s_mov_b64 s[50:51], s[36:37]
                                        ; implicit-def: $sgpr26_sgpr27
                                        ; implicit-def: $sgpr30_sgpr31
                                        ; implicit-def: $sgpr46_sgpr47
                                        ; implicit-def: $sgpr44_sgpr45
                                        ; implicit-def: $sgpr48_sgpr49
	s_branch .LBB627_735
.LBB627_734:                            ;   in Loop: Header=BB627_735 Depth=1
	s_or_b64 exec, exec, s[52:53]
	s_and_b64 s[20:21], s[20:21], s[48:49]
	s_or_b64 s[20:21], vcc, s[20:21]
	s_and_b64 s[22:23], exec, s[46:47]
	s_or_b64 s[28:29], s[22:23], s[28:29]
	s_andn2_b64 s[22:23], s[48:49], exec
	s_and_b64 s[20:21], s[20:21], exec
	s_or_b64 s[48:49], s[22:23], s[20:21]
	s_andn2_b64 s[22:23], s[30:31], exec
	s_and_b64 s[30:31], s[44:45], exec
	s_or_b64 s[30:31], s[22:23], s[30:31]
	s_andn2_b64 s[22:23], s[26:27], exec
	s_or_b64 s[26:27], s[22:23], s[20:21]
	s_andn2_b64 exec, exec, s[28:29]
	s_cbranch_execz .LBB627_737
.LBB627_735:                            ; =>This Inner Loop Header: Depth=1
	global_load_ushort v33, v[0:1], off
	global_load_ushort v34, v[22:23], off
	s_or_b64 s[44:45], s[44:45], exec
	s_or_b64 s[46:47], s[46:47], exec
	s_waitcnt vmcnt(0)
	v_cmp_lt_i16_e32 vcc, v33, v34
	v_cmp_le_i16_e64 s[20:21], v33, v34
	v_cmp_eq_u16_e64 s[22:23], v33, v34
	s_and_saveexec_b64 s[52:53], s[22:23]
	s_cbranch_execz .LBB627_734
; %bb.736:                              ;   in Loop: Header=BB627_735 Depth=1
	s_add_u32 s50, s50, -1
	s_addc_u32 s51, s51, -1
	s_cmp_eq_u64 s[50:51], 0
	s_cselect_b64 s[22:23], -1, 0
	s_andn2_b64 s[46:47], s[46:47], exec
	s_and_b64 s[22:23], s[22:23], exec
	v_lshl_add_u64 v[0:1], v[0:1], 0, 2
	v_lshl_add_u64 v[22:23], v[22:23], 0, 2
	s_andn2_b64 s[44:45], s[44:45], exec
	s_or_b64 s[46:47], s[46:47], s[22:23]
	s_branch .LBB627_734
.LBB627_737:
	s_or_b64 exec, exec, s[28:29]
	s_and_saveexec_b64 s[20:21], s[30:31]
	s_xor_b64 s[20:21], exec, s[20:21]
; %bb.738:
	v_cndmask_b32_e64 v1, v7, v9, s[26:27]
	v_cndmask_b32_e64 v0, v6, v8, s[26:27]
	;; [unrolled: 1-line block ×4, first 2 shown]
	v_mov_b64_e32 v[6:7], v[0:1]
; %bb.739:
	s_or_b64 exec, exec, s[20:21]
.LBB627_740:
	s_or_b64 exec, exec, s[24:25]
	v_cmp_lt_u32_e64 s[20:21], 7, v25
	s_and_saveexec_b64 s[26:27], s[20:21]
	s_cbranch_execz .LBB627_749
; %bb.741:
	s_andn2_b64 vcc, exec, s[42:43]
	s_cbranch_vccnz .LBB627_749
; %bb.742:
	v_mul_lo_u32 v22, v5, s36
	v_mul_lo_u32 v23, v4, s37
	v_mad_u64_u32 v[0:1], s[22:23], v4, s36, 0
	v_add3_u32 v1, v1, v23, v22
	v_mul_lo_u32 v33, v3, s36
	v_mul_lo_u32 v34, v2, s37
	v_mad_u64_u32 v[22:23], s[22:23], v2, s36, 0
	v_add3_u32 v23, v23, v34, v33
	v_lshl_add_u64 v[0:1], v[0:1], 1, s[38:39]
	v_lshl_add_u64 v[22:23], v[22:23], 1, s[38:39]
	s_mov_b64 s[30:31], 0
	s_mov_b64 s[52:53], s[36:37]
                                        ; implicit-def: $sgpr28_sgpr29
                                        ; implicit-def: $sgpr44_sgpr45
                                        ; implicit-def: $sgpr48_sgpr49
                                        ; implicit-def: $sgpr46_sgpr47
                                        ; implicit-def: $sgpr50_sgpr51
	s_branch .LBB627_744
.LBB627_743:                            ;   in Loop: Header=BB627_744 Depth=1
	s_or_b64 exec, exec, s[54:55]
	s_and_b64 s[22:23], s[22:23], s[50:51]
	s_or_b64 s[22:23], vcc, s[22:23]
	s_and_b64 s[24:25], exec, s[48:49]
	s_or_b64 s[30:31], s[24:25], s[30:31]
	s_andn2_b64 s[24:25], s[50:51], exec
	s_and_b64 s[22:23], s[22:23], exec
	s_or_b64 s[50:51], s[24:25], s[22:23]
	s_andn2_b64 s[24:25], s[44:45], exec
	s_and_b64 s[44:45], s[46:47], exec
	s_or_b64 s[44:45], s[24:25], s[44:45]
	s_andn2_b64 s[24:25], s[28:29], exec
	s_or_b64 s[28:29], s[24:25], s[22:23]
	s_andn2_b64 exec, exec, s[30:31]
	s_cbranch_execz .LBB627_746
.LBB627_744:                            ; =>This Inner Loop Header: Depth=1
	global_load_ushort v33, v[0:1], off
	global_load_ushort v34, v[22:23], off
	s_or_b64 s[46:47], s[46:47], exec
	s_or_b64 s[48:49], s[48:49], exec
	s_waitcnt vmcnt(0)
	v_cmp_lt_i16_e32 vcc, v33, v34
	v_cmp_le_i16_e64 s[22:23], v33, v34
	v_cmp_eq_u16_e64 s[24:25], v33, v34
	s_and_saveexec_b64 s[54:55], s[24:25]
	s_cbranch_execz .LBB627_743
; %bb.745:                              ;   in Loop: Header=BB627_744 Depth=1
	s_add_u32 s52, s52, -1
	s_addc_u32 s53, s53, -1
	s_cmp_eq_u64 s[52:53], 0
	s_cselect_b64 s[24:25], -1, 0
	s_andn2_b64 s[48:49], s[48:49], exec
	s_and_b64 s[24:25], s[24:25], exec
	v_lshl_add_u64 v[0:1], v[0:1], 0, 2
	v_lshl_add_u64 v[22:23], v[22:23], 0, 2
	s_andn2_b64 s[46:47], s[46:47], exec
	s_or_b64 s[48:49], s[48:49], s[24:25]
	s_branch .LBB627_743
.LBB627_746:
	s_or_b64 exec, exec, s[30:31]
	s_and_saveexec_b64 s[22:23], s[44:45]
	s_xor_b64 s[22:23], exec, s[22:23]
; %bb.747:
	v_cndmask_b32_e64 v1, v3, v5, s[28:29]
	v_cndmask_b32_e64 v0, v2, v4, s[28:29]
	;; [unrolled: 1-line block ×4, first 2 shown]
	v_mov_b64_e32 v[2:3], v[0:1]
; %bb.748:
	s_or_b64 exec, exec, s[22:23]
.LBB627_749:
	s_or_b64 exec, exec, s[26:27]
	v_cmp_lt_u32_e64 s[22:23], 2, v25
	s_and_saveexec_b64 s[24:25], s[22:23]
	s_xor_b64 s[28:29], exec, s[24:25]
	s_cbranch_execz .LBB627_758
; %bb.750:
	s_andn2_b64 vcc, exec, s[42:43]
	s_cbranch_vccnz .LBB627_758
; %bb.751:
	v_mul_lo_u32 v22, v11, s36
	v_mul_lo_u32 v23, v10, s37
	v_mad_u64_u32 v[0:1], s[24:25], v10, s36, 0
	v_add3_u32 v1, v1, v23, v22
	v_mul_lo_u32 v33, v17, s36
	v_mul_lo_u32 v34, v16, s37
	v_mad_u64_u32 v[22:23], s[24:25], v16, s36, 0
	v_add3_u32 v23, v23, v34, v33
	v_lshl_add_u64 v[0:1], v[0:1], 1, s[38:39]
	v_lshl_add_u64 v[22:23], v[22:23], 1, s[38:39]
	s_mov_b64 s[44:45], 0
	s_mov_b64 s[54:55], s[36:37]
                                        ; implicit-def: $sgpr30_sgpr31
                                        ; implicit-def: $sgpr46_sgpr47
                                        ; implicit-def: $sgpr50_sgpr51
                                        ; implicit-def: $sgpr48_sgpr49
                                        ; implicit-def: $sgpr52_sgpr53
	s_branch .LBB627_753
.LBB627_752:                            ;   in Loop: Header=BB627_753 Depth=1
	s_or_b64 exec, exec, s[56:57]
	s_and_b64 s[24:25], s[24:25], s[52:53]
	s_or_b64 s[24:25], vcc, s[24:25]
	s_and_b64 s[26:27], exec, s[50:51]
	s_or_b64 s[44:45], s[26:27], s[44:45]
	s_andn2_b64 s[26:27], s[52:53], exec
	s_and_b64 s[24:25], s[24:25], exec
	s_or_b64 s[52:53], s[26:27], s[24:25]
	s_andn2_b64 s[26:27], s[46:47], exec
	s_and_b64 s[46:47], s[48:49], exec
	s_or_b64 s[46:47], s[26:27], s[46:47]
	s_andn2_b64 s[26:27], s[30:31], exec
	s_or_b64 s[30:31], s[26:27], s[24:25]
	s_andn2_b64 exec, exec, s[44:45]
	s_cbranch_execz .LBB627_755
.LBB627_753:                            ; =>This Inner Loop Header: Depth=1
	global_load_ushort v33, v[0:1], off
	global_load_ushort v34, v[22:23], off
	s_or_b64 s[48:49], s[48:49], exec
	s_or_b64 s[50:51], s[50:51], exec
	s_waitcnt vmcnt(0)
	v_cmp_lt_i16_e32 vcc, v33, v34
	v_cmp_le_i16_e64 s[24:25], v33, v34
	v_cmp_eq_u16_e64 s[26:27], v33, v34
	s_and_saveexec_b64 s[56:57], s[26:27]
	s_cbranch_execz .LBB627_752
; %bb.754:                              ;   in Loop: Header=BB627_753 Depth=1
	s_add_u32 s54, s54, -1
	s_addc_u32 s55, s55, -1
	s_cmp_eq_u64 s[54:55], 0
	s_cselect_b64 s[26:27], -1, 0
	s_andn2_b64 s[50:51], s[50:51], exec
	s_and_b64 s[26:27], s[26:27], exec
	v_lshl_add_u64 v[0:1], v[0:1], 0, 2
	v_lshl_add_u64 v[22:23], v[22:23], 0, 2
	s_andn2_b64 s[48:49], s[48:49], exec
	s_or_b64 s[50:51], s[50:51], s[26:27]
	s_branch .LBB627_752
.LBB627_755:
	s_or_b64 exec, exec, s[44:45]
	s_and_saveexec_b64 s[24:25], s[46:47]
	s_xor_b64 s[24:25], exec, s[24:25]
; %bb.756:
	v_cndmask_b32_e64 v1, v17, v11, s[30:31]
	v_cndmask_b32_e64 v0, v16, v10, s[30:31]
	;; [unrolled: 1-line block ×4, first 2 shown]
	v_mov_b64_e32 v[16:17], v[0:1]
; %bb.757:
	s_or_b64 exec, exec, s[24:25]
.LBB627_758:
	s_or_b64 exec, exec, s[28:29]
	v_cmp_lt_u32_e64 s[24:25], 4, v25
	s_and_saveexec_b64 s[30:31], s[24:25]
	s_cbranch_execz .LBB627_767
; %bb.759:
	s_andn2_b64 vcc, exec, s[42:43]
	s_cbranch_vccnz .LBB627_767
; %bb.760:
	v_mul_lo_u32 v22, v7, s36
	v_mul_lo_u32 v23, v6, s37
	v_mad_u64_u32 v[0:1], s[26:27], v6, s36, 0
	v_add3_u32 v1, v1, v23, v22
	v_mul_lo_u32 v33, v13, s36
	v_mul_lo_u32 v34, v12, s37
	v_mad_u64_u32 v[22:23], s[26:27], v12, s36, 0
	v_add3_u32 v23, v23, v34, v33
	v_lshl_add_u64 v[0:1], v[0:1], 1, s[38:39]
	v_lshl_add_u64 v[22:23], v[22:23], 1, s[38:39]
	s_mov_b64 s[46:47], 0
	s_mov_b64 s[56:57], s[36:37]
                                        ; implicit-def: $sgpr44_sgpr45
                                        ; implicit-def: $sgpr48_sgpr49
                                        ; implicit-def: $sgpr52_sgpr53
                                        ; implicit-def: $sgpr50_sgpr51
                                        ; implicit-def: $sgpr54_sgpr55
	s_branch .LBB627_762
.LBB627_761:                            ;   in Loop: Header=BB627_762 Depth=1
	s_or_b64 exec, exec, s[58:59]
	s_and_b64 s[26:27], s[26:27], s[54:55]
	s_or_b64 s[26:27], vcc, s[26:27]
	s_and_b64 s[28:29], exec, s[52:53]
	s_or_b64 s[46:47], s[28:29], s[46:47]
	s_andn2_b64 s[28:29], s[54:55], exec
	s_and_b64 s[26:27], s[26:27], exec
	s_or_b64 s[54:55], s[28:29], s[26:27]
	s_andn2_b64 s[28:29], s[48:49], exec
	s_and_b64 s[48:49], s[50:51], exec
	s_or_b64 s[48:49], s[28:29], s[48:49]
	s_andn2_b64 s[28:29], s[44:45], exec
	s_or_b64 s[44:45], s[28:29], s[26:27]
	s_andn2_b64 exec, exec, s[46:47]
	s_cbranch_execz .LBB627_764
.LBB627_762:                            ; =>This Inner Loop Header: Depth=1
	global_load_ushort v33, v[0:1], off
	global_load_ushort v34, v[22:23], off
	s_or_b64 s[50:51], s[50:51], exec
	s_or_b64 s[52:53], s[52:53], exec
	s_waitcnt vmcnt(0)
	v_cmp_lt_i16_e32 vcc, v33, v34
	v_cmp_le_i16_e64 s[26:27], v33, v34
	v_cmp_eq_u16_e64 s[28:29], v33, v34
	s_and_saveexec_b64 s[58:59], s[28:29]
	s_cbranch_execz .LBB627_761
; %bb.763:                              ;   in Loop: Header=BB627_762 Depth=1
	s_add_u32 s56, s56, -1
	s_addc_u32 s57, s57, -1
	s_cmp_eq_u64 s[56:57], 0
	s_cselect_b64 s[28:29], -1, 0
	s_andn2_b64 s[52:53], s[52:53], exec
	s_and_b64 s[28:29], s[28:29], exec
	v_lshl_add_u64 v[0:1], v[0:1], 0, 2
	v_lshl_add_u64 v[22:23], v[22:23], 0, 2
	s_andn2_b64 s[50:51], s[50:51], exec
	s_or_b64 s[52:53], s[52:53], s[28:29]
	s_branch .LBB627_761
.LBB627_764:
	s_or_b64 exec, exec, s[46:47]
	s_and_saveexec_b64 s[26:27], s[48:49]
	s_xor_b64 s[26:27], exec, s[26:27]
; %bb.765:
	v_cndmask_b32_e64 v1, v13, v7, s[44:45]
	v_cndmask_b32_e64 v0, v12, v6, s[44:45]
	;; [unrolled: 1-line block ×4, first 2 shown]
	v_mov_b64_e32 v[12:13], v[0:1]
; %bb.766:
	s_or_b64 exec, exec, s[26:27]
.LBB627_767:
	s_or_b64 exec, exec, s[30:31]
	v_cmp_lt_u32_e64 s[26:27], 6, v25
	s_and_saveexec_b64 s[44:45], s[26:27]
	s_cbranch_execz .LBB627_776
; %bb.768:
	s_andn2_b64 vcc, exec, s[42:43]
	s_cbranch_vccnz .LBB627_776
; %bb.769:
	v_mul_lo_u32 v22, v3, s36
	v_mul_lo_u32 v23, v2, s37
	v_mad_u64_u32 v[0:1], s[28:29], v2, s36, 0
	v_add3_u32 v1, v1, v23, v22
	v_mul_lo_u32 v25, v9, s36
	v_mul_lo_u32 v33, v8, s37
	v_mad_u64_u32 v[22:23], s[28:29], v8, s36, 0
	v_add3_u32 v23, v23, v33, v25
	v_lshl_add_u64 v[0:1], v[0:1], 1, s[38:39]
	v_lshl_add_u64 v[22:23], v[22:23], 1, s[38:39]
	s_mov_b64 s[48:49], 0
	s_mov_b64 s[58:59], s[36:37]
                                        ; implicit-def: $sgpr46_sgpr47
                                        ; implicit-def: $sgpr50_sgpr51
                                        ; implicit-def: $sgpr54_sgpr55
                                        ; implicit-def: $sgpr52_sgpr53
                                        ; implicit-def: $sgpr56_sgpr57
	s_branch .LBB627_771
.LBB627_770:                            ;   in Loop: Header=BB627_771 Depth=1
	s_or_b64 exec, exec, s[60:61]
	s_and_b64 s[28:29], s[28:29], s[56:57]
	s_or_b64 s[28:29], vcc, s[28:29]
	s_and_b64 s[30:31], exec, s[54:55]
	s_or_b64 s[48:49], s[30:31], s[48:49]
	s_andn2_b64 s[30:31], s[56:57], exec
	s_and_b64 s[28:29], s[28:29], exec
	s_or_b64 s[56:57], s[30:31], s[28:29]
	s_andn2_b64 s[30:31], s[50:51], exec
	s_and_b64 s[50:51], s[52:53], exec
	s_or_b64 s[50:51], s[30:31], s[50:51]
	s_andn2_b64 s[30:31], s[46:47], exec
	s_or_b64 s[46:47], s[30:31], s[28:29]
	s_andn2_b64 exec, exec, s[48:49]
	s_cbranch_execz .LBB627_773
.LBB627_771:                            ; =>This Inner Loop Header: Depth=1
	global_load_ushort v25, v[0:1], off
	global_load_ushort v33, v[22:23], off
	s_or_b64 s[52:53], s[52:53], exec
	s_or_b64 s[54:55], s[54:55], exec
	s_waitcnt vmcnt(0)
	v_cmp_lt_i16_e32 vcc, v25, v33
	v_cmp_le_i16_e64 s[28:29], v25, v33
	v_cmp_eq_u16_e64 s[30:31], v25, v33
	s_and_saveexec_b64 s[60:61], s[30:31]
	s_cbranch_execz .LBB627_770
; %bb.772:                              ;   in Loop: Header=BB627_771 Depth=1
	s_add_u32 s58, s58, -1
	s_addc_u32 s59, s59, -1
	s_cmp_eq_u64 s[58:59], 0
	s_cselect_b64 s[30:31], -1, 0
	s_andn2_b64 s[54:55], s[54:55], exec
	s_and_b64 s[30:31], s[30:31], exec
	v_lshl_add_u64 v[0:1], v[0:1], 0, 2
	v_lshl_add_u64 v[22:23], v[22:23], 0, 2
	s_andn2_b64 s[52:53], s[52:53], exec
	s_or_b64 s[54:55], s[54:55], s[30:31]
	s_branch .LBB627_770
.LBB627_773:
	s_or_b64 exec, exec, s[48:49]
	s_and_saveexec_b64 s[28:29], s[50:51]
	s_xor_b64 s[28:29], exec, s[28:29]
; %bb.774:
	v_cndmask_b32_e64 v1, v9, v3, s[46:47]
	v_cndmask_b32_e64 v0, v8, v2, s[46:47]
	;; [unrolled: 1-line block ×4, first 2 shown]
	v_mov_b64_e32 v[8:9], v[0:1]
; %bb.775:
	s_or_b64 exec, exec, s[28:29]
.LBB627_776:
	s_or_b64 exec, exec, s[44:45]
	s_and_saveexec_b64 s[44:45], s[14:15]
	s_cbranch_execz .LBB627_785
; %bb.777:
	s_andn2_b64 vcc, exec, s[42:43]
	s_cbranch_vccnz .LBB627_785
; %bb.778:
	v_mul_lo_u32 v22, v17, s36
	v_mul_lo_u32 v23, v16, s37
	v_mad_u64_u32 v[0:1], s[28:29], v16, s36, 0
	v_add3_u32 v1, v1, v23, v22
	v_mul_lo_u32 v25, v15, s36
	v_mul_lo_u32 v33, v14, s37
	v_mad_u64_u32 v[22:23], s[28:29], v14, s36, 0
	v_add3_u32 v23, v23, v33, v25
	v_lshl_add_u64 v[0:1], v[0:1], 1, s[38:39]
	v_lshl_add_u64 v[22:23], v[22:23], 1, s[38:39]
	s_mov_b64 s[48:49], 0
	s_mov_b64 s[58:59], s[36:37]
                                        ; implicit-def: $sgpr46_sgpr47
                                        ; implicit-def: $sgpr50_sgpr51
                                        ; implicit-def: $sgpr54_sgpr55
                                        ; implicit-def: $sgpr52_sgpr53
                                        ; implicit-def: $sgpr56_sgpr57
	s_branch .LBB627_780
.LBB627_779:                            ;   in Loop: Header=BB627_780 Depth=1
	s_or_b64 exec, exec, s[60:61]
	s_and_b64 s[28:29], s[28:29], s[56:57]
	s_or_b64 s[28:29], vcc, s[28:29]
	s_and_b64 s[30:31], exec, s[54:55]
	s_or_b64 s[48:49], s[30:31], s[48:49]
	s_andn2_b64 s[30:31], s[56:57], exec
	s_and_b64 s[28:29], s[28:29], exec
	s_or_b64 s[56:57], s[30:31], s[28:29]
	s_andn2_b64 s[30:31], s[50:51], exec
	s_and_b64 s[50:51], s[52:53], exec
	s_or_b64 s[50:51], s[30:31], s[50:51]
	s_andn2_b64 s[30:31], s[46:47], exec
	s_or_b64 s[46:47], s[30:31], s[28:29]
	s_andn2_b64 exec, exec, s[48:49]
	s_cbranch_execz .LBB627_782
.LBB627_780:                            ; =>This Inner Loop Header: Depth=1
	global_load_ushort v25, v[0:1], off
	global_load_ushort v33, v[22:23], off
	s_or_b64 s[52:53], s[52:53], exec
	s_or_b64 s[54:55], s[54:55], exec
	s_waitcnt vmcnt(0)
	v_cmp_lt_i16_e32 vcc, v25, v33
	v_cmp_le_i16_e64 s[28:29], v25, v33
	v_cmp_eq_u16_e64 s[30:31], v25, v33
	s_and_saveexec_b64 s[60:61], s[30:31]
	s_cbranch_execz .LBB627_779
; %bb.781:                              ;   in Loop: Header=BB627_780 Depth=1
	s_add_u32 s58, s58, -1
	s_addc_u32 s59, s59, -1
	s_cmp_eq_u64 s[58:59], 0
	s_cselect_b64 s[30:31], -1, 0
	s_andn2_b64 s[54:55], s[54:55], exec
	s_and_b64 s[30:31], s[30:31], exec
	v_lshl_add_u64 v[0:1], v[0:1], 0, 2
	v_lshl_add_u64 v[22:23], v[22:23], 0, 2
	s_andn2_b64 s[52:53], s[52:53], exec
	s_or_b64 s[54:55], s[54:55], s[30:31]
	s_branch .LBB627_779
.LBB627_782:
	s_or_b64 exec, exec, s[48:49]
	s_and_saveexec_b64 s[28:29], s[50:51]
	s_xor_b64 s[28:29], exec, s[28:29]
; %bb.783:
	v_cndmask_b32_e64 v1, v17, v15, s[46:47]
	v_cndmask_b32_e64 v0, v16, v14, s[46:47]
	;; [unrolled: 1-line block ×4, first 2 shown]
	v_mov_b64_e32 v[16:17], v[0:1]
; %bb.784:
	s_or_b64 exec, exec, s[28:29]
.LBB627_785:
	s_or_b64 exec, exec, s[44:45]
	s_and_saveexec_b64 s[44:45], s[16:17]
	s_cbranch_execz .LBB627_794
; %bb.786:
	s_andn2_b64 vcc, exec, s[42:43]
	s_cbranch_vccnz .LBB627_794
; %bb.787:
	v_mul_lo_u32 v22, v13, s36
	v_mul_lo_u32 v23, v12, s37
	v_mad_u64_u32 v[0:1], s[28:29], v12, s36, 0
	v_add3_u32 v1, v1, v23, v22
	v_mul_lo_u32 v25, v11, s36
	v_mul_lo_u32 v33, v10, s37
	v_mad_u64_u32 v[22:23], s[28:29], v10, s36, 0
	v_add3_u32 v23, v23, v33, v25
	v_lshl_add_u64 v[0:1], v[0:1], 1, s[38:39]
	v_lshl_add_u64 v[22:23], v[22:23], 1, s[38:39]
	s_mov_b64 s[48:49], 0
	s_mov_b64 s[58:59], s[36:37]
                                        ; implicit-def: $sgpr46_sgpr47
                                        ; implicit-def: $sgpr50_sgpr51
                                        ; implicit-def: $sgpr54_sgpr55
                                        ; implicit-def: $sgpr52_sgpr53
                                        ; implicit-def: $sgpr56_sgpr57
	s_branch .LBB627_789
.LBB627_788:                            ;   in Loop: Header=BB627_789 Depth=1
	s_or_b64 exec, exec, s[60:61]
	s_and_b64 s[28:29], s[28:29], s[56:57]
	s_or_b64 s[28:29], vcc, s[28:29]
	s_and_b64 s[30:31], exec, s[54:55]
	s_or_b64 s[48:49], s[30:31], s[48:49]
	s_andn2_b64 s[30:31], s[56:57], exec
	s_and_b64 s[28:29], s[28:29], exec
	s_or_b64 s[56:57], s[30:31], s[28:29]
	s_andn2_b64 s[30:31], s[50:51], exec
	s_and_b64 s[50:51], s[52:53], exec
	s_or_b64 s[50:51], s[30:31], s[50:51]
	s_andn2_b64 s[30:31], s[46:47], exec
	s_or_b64 s[46:47], s[30:31], s[28:29]
	s_andn2_b64 exec, exec, s[48:49]
	s_cbranch_execz .LBB627_791
.LBB627_789:                            ; =>This Inner Loop Header: Depth=1
	global_load_ushort v25, v[0:1], off
	global_load_ushort v33, v[22:23], off
	s_or_b64 s[52:53], s[52:53], exec
	s_or_b64 s[54:55], s[54:55], exec
	s_waitcnt vmcnt(0)
	v_cmp_lt_i16_e32 vcc, v25, v33
	v_cmp_le_i16_e64 s[28:29], v25, v33
	v_cmp_eq_u16_e64 s[30:31], v25, v33
	s_and_saveexec_b64 s[60:61], s[30:31]
	s_cbranch_execz .LBB627_788
; %bb.790:                              ;   in Loop: Header=BB627_789 Depth=1
	s_add_u32 s58, s58, -1
	s_addc_u32 s59, s59, -1
	s_cmp_eq_u64 s[58:59], 0
	s_cselect_b64 s[30:31], -1, 0
	s_andn2_b64 s[54:55], s[54:55], exec
	s_and_b64 s[30:31], s[30:31], exec
	v_lshl_add_u64 v[0:1], v[0:1], 0, 2
	v_lshl_add_u64 v[22:23], v[22:23], 0, 2
	s_andn2_b64 s[52:53], s[52:53], exec
	s_or_b64 s[54:55], s[54:55], s[30:31]
	s_branch .LBB627_788
.LBB627_791:
	s_or_b64 exec, exec, s[48:49]
	s_and_saveexec_b64 s[28:29], s[50:51]
	s_xor_b64 s[28:29], exec, s[28:29]
; %bb.792:
	v_cndmask_b32_e64 v1, v11, v13, s[46:47]
	v_cndmask_b32_e64 v0, v10, v12, s[46:47]
	;; [unrolled: 1-line block ×4, first 2 shown]
	v_mov_b64_e32 v[10:11], v[0:1]
; %bb.793:
	s_or_b64 exec, exec, s[28:29]
.LBB627_794:
	s_or_b64 exec, exec, s[44:45]
	s_and_saveexec_b64 s[44:45], s[18:19]
	s_cbranch_execz .LBB627_803
; %bb.795:
	s_andn2_b64 vcc, exec, s[42:43]
	s_cbranch_vccnz .LBB627_803
; %bb.796:
	v_mul_lo_u32 v22, v9, s36
	v_mul_lo_u32 v23, v8, s37
	v_mad_u64_u32 v[0:1], s[28:29], v8, s36, 0
	v_add3_u32 v1, v1, v23, v22
	v_mul_lo_u32 v25, v7, s36
	v_mul_lo_u32 v33, v6, s37
	v_mad_u64_u32 v[22:23], s[28:29], v6, s36, 0
	v_add3_u32 v23, v23, v33, v25
	v_lshl_add_u64 v[0:1], v[0:1], 1, s[38:39]
	v_lshl_add_u64 v[22:23], v[22:23], 1, s[38:39]
	s_mov_b64 s[48:49], 0
	s_mov_b64 s[58:59], s[36:37]
                                        ; implicit-def: $sgpr46_sgpr47
                                        ; implicit-def: $sgpr50_sgpr51
                                        ; implicit-def: $sgpr54_sgpr55
                                        ; implicit-def: $sgpr52_sgpr53
                                        ; implicit-def: $sgpr56_sgpr57
	s_branch .LBB627_798
.LBB627_797:                            ;   in Loop: Header=BB627_798 Depth=1
	s_or_b64 exec, exec, s[60:61]
	s_and_b64 s[28:29], s[28:29], s[56:57]
	s_or_b64 s[28:29], vcc, s[28:29]
	s_and_b64 s[30:31], exec, s[54:55]
	s_or_b64 s[48:49], s[30:31], s[48:49]
	s_andn2_b64 s[30:31], s[56:57], exec
	s_and_b64 s[28:29], s[28:29], exec
	s_or_b64 s[56:57], s[30:31], s[28:29]
	s_andn2_b64 s[30:31], s[50:51], exec
	s_and_b64 s[50:51], s[52:53], exec
	s_or_b64 s[50:51], s[30:31], s[50:51]
	s_andn2_b64 s[30:31], s[46:47], exec
	s_or_b64 s[46:47], s[30:31], s[28:29]
	s_andn2_b64 exec, exec, s[48:49]
	s_cbranch_execz .LBB627_800
.LBB627_798:                            ; =>This Inner Loop Header: Depth=1
	global_load_ushort v25, v[0:1], off
	global_load_ushort v33, v[22:23], off
	s_or_b64 s[52:53], s[52:53], exec
	s_or_b64 s[54:55], s[54:55], exec
	s_waitcnt vmcnt(0)
	v_cmp_lt_i16_e32 vcc, v25, v33
	v_cmp_le_i16_e64 s[28:29], v25, v33
	v_cmp_eq_u16_e64 s[30:31], v25, v33
	s_and_saveexec_b64 s[60:61], s[30:31]
	s_cbranch_execz .LBB627_797
; %bb.799:                              ;   in Loop: Header=BB627_798 Depth=1
	s_add_u32 s58, s58, -1
	s_addc_u32 s59, s59, -1
	s_cmp_eq_u64 s[58:59], 0
	s_cselect_b64 s[30:31], -1, 0
	s_andn2_b64 s[54:55], s[54:55], exec
	s_and_b64 s[30:31], s[30:31], exec
	v_lshl_add_u64 v[0:1], v[0:1], 0, 2
	v_lshl_add_u64 v[22:23], v[22:23], 0, 2
	s_andn2_b64 s[52:53], s[52:53], exec
	s_or_b64 s[54:55], s[54:55], s[30:31]
	s_branch .LBB627_797
.LBB627_800:
	s_or_b64 exec, exec, s[48:49]
	s_and_saveexec_b64 s[28:29], s[50:51]
	s_xor_b64 s[28:29], exec, s[28:29]
; %bb.801:
	v_cndmask_b32_e64 v1, v7, v9, s[46:47]
	v_cndmask_b32_e64 v0, v6, v8, s[46:47]
	;; [unrolled: 1-line block ×4, first 2 shown]
	v_mov_b64_e32 v[6:7], v[0:1]
; %bb.802:
	s_or_b64 exec, exec, s[28:29]
.LBB627_803:
	s_or_b64 exec, exec, s[44:45]
	s_and_saveexec_b64 s[44:45], s[20:21]
	s_cbranch_execz .LBB627_812
; %bb.804:
	s_andn2_b64 vcc, exec, s[42:43]
	s_cbranch_vccnz .LBB627_812
; %bb.805:
	v_mul_lo_u32 v22, v5, s36
	v_mul_lo_u32 v23, v4, s37
	v_mad_u64_u32 v[0:1], s[28:29], v4, s36, 0
	v_add3_u32 v1, v1, v23, v22
	v_mul_lo_u32 v25, v3, s36
	v_mul_lo_u32 v33, v2, s37
	v_mad_u64_u32 v[22:23], s[28:29], v2, s36, 0
	v_add3_u32 v23, v23, v33, v25
	v_lshl_add_u64 v[0:1], v[0:1], 1, s[38:39]
	v_lshl_add_u64 v[22:23], v[22:23], 1, s[38:39]
	s_mov_b64 s[48:49], 0
	s_mov_b64 s[58:59], s[36:37]
                                        ; implicit-def: $sgpr46_sgpr47
                                        ; implicit-def: $sgpr50_sgpr51
                                        ; implicit-def: $sgpr54_sgpr55
                                        ; implicit-def: $sgpr52_sgpr53
                                        ; implicit-def: $sgpr56_sgpr57
	s_branch .LBB627_807
.LBB627_806:                            ;   in Loop: Header=BB627_807 Depth=1
	s_or_b64 exec, exec, s[60:61]
	s_and_b64 s[28:29], s[28:29], s[56:57]
	s_or_b64 s[28:29], vcc, s[28:29]
	s_and_b64 s[30:31], exec, s[54:55]
	s_or_b64 s[48:49], s[30:31], s[48:49]
	s_andn2_b64 s[30:31], s[56:57], exec
	s_and_b64 s[28:29], s[28:29], exec
	s_or_b64 s[56:57], s[30:31], s[28:29]
	s_andn2_b64 s[30:31], s[50:51], exec
	s_and_b64 s[50:51], s[52:53], exec
	s_or_b64 s[50:51], s[30:31], s[50:51]
	s_andn2_b64 s[30:31], s[46:47], exec
	s_or_b64 s[46:47], s[30:31], s[28:29]
	s_andn2_b64 exec, exec, s[48:49]
	s_cbranch_execz .LBB627_809
.LBB627_807:                            ; =>This Inner Loop Header: Depth=1
	global_load_ushort v25, v[0:1], off
	global_load_ushort v33, v[22:23], off
	s_or_b64 s[52:53], s[52:53], exec
	s_or_b64 s[54:55], s[54:55], exec
	s_waitcnt vmcnt(0)
	v_cmp_lt_i16_e32 vcc, v25, v33
	v_cmp_le_i16_e64 s[28:29], v25, v33
	v_cmp_eq_u16_e64 s[30:31], v25, v33
	s_and_saveexec_b64 s[60:61], s[30:31]
	s_cbranch_execz .LBB627_806
; %bb.808:                              ;   in Loop: Header=BB627_807 Depth=1
	s_add_u32 s58, s58, -1
	s_addc_u32 s59, s59, -1
	s_cmp_eq_u64 s[58:59], 0
	s_cselect_b64 s[30:31], -1, 0
	s_andn2_b64 s[54:55], s[54:55], exec
	s_and_b64 s[30:31], s[30:31], exec
	v_lshl_add_u64 v[0:1], v[0:1], 0, 2
	v_lshl_add_u64 v[22:23], v[22:23], 0, 2
	s_andn2_b64 s[52:53], s[52:53], exec
	s_or_b64 s[54:55], s[54:55], s[30:31]
	s_branch .LBB627_806
.LBB627_809:
	s_or_b64 exec, exec, s[48:49]
	s_and_saveexec_b64 s[28:29], s[50:51]
	s_xor_b64 s[28:29], exec, s[28:29]
; %bb.810:
	v_cndmask_b32_e64 v1, v3, v5, s[46:47]
	v_cndmask_b32_e64 v0, v2, v4, s[46:47]
	;; [unrolled: 1-line block ×4, first 2 shown]
	v_mov_b64_e32 v[2:3], v[0:1]
; %bb.811:
	s_or_b64 exec, exec, s[28:29]
.LBB627_812:
	s_or_b64 exec, exec, s[44:45]
	s_and_saveexec_b64 s[44:45], s[22:23]
	s_cbranch_execz .LBB627_821
; %bb.813:
	s_andn2_b64 vcc, exec, s[42:43]
	s_cbranch_vccnz .LBB627_821
; %bb.814:
	v_mul_lo_u32 v22, v11, s36
	v_mul_lo_u32 v23, v10, s37
	v_mad_u64_u32 v[0:1], s[28:29], v10, s36, 0
	v_add3_u32 v1, v1, v23, v22
	v_mul_lo_u32 v25, v17, s36
	v_mul_lo_u32 v33, v16, s37
	v_mad_u64_u32 v[22:23], s[28:29], v16, s36, 0
	v_add3_u32 v23, v23, v33, v25
	v_lshl_add_u64 v[0:1], v[0:1], 1, s[38:39]
	v_lshl_add_u64 v[22:23], v[22:23], 1, s[38:39]
	s_mov_b64 s[48:49], 0
	s_mov_b64 s[58:59], s[36:37]
                                        ; implicit-def: $sgpr46_sgpr47
                                        ; implicit-def: $sgpr50_sgpr51
                                        ; implicit-def: $sgpr54_sgpr55
                                        ; implicit-def: $sgpr52_sgpr53
                                        ; implicit-def: $sgpr56_sgpr57
	s_branch .LBB627_816
.LBB627_815:                            ;   in Loop: Header=BB627_816 Depth=1
	s_or_b64 exec, exec, s[60:61]
	s_and_b64 s[28:29], s[28:29], s[56:57]
	s_or_b64 s[28:29], vcc, s[28:29]
	s_and_b64 s[30:31], exec, s[54:55]
	s_or_b64 s[48:49], s[30:31], s[48:49]
	s_andn2_b64 s[30:31], s[56:57], exec
	s_and_b64 s[28:29], s[28:29], exec
	s_or_b64 s[56:57], s[30:31], s[28:29]
	s_andn2_b64 s[30:31], s[50:51], exec
	s_and_b64 s[50:51], s[52:53], exec
	s_or_b64 s[50:51], s[30:31], s[50:51]
	s_andn2_b64 s[30:31], s[46:47], exec
	s_or_b64 s[46:47], s[30:31], s[28:29]
	s_andn2_b64 exec, exec, s[48:49]
	s_cbranch_execz .LBB627_818
.LBB627_816:                            ; =>This Inner Loop Header: Depth=1
	global_load_ushort v25, v[0:1], off
	global_load_ushort v33, v[22:23], off
	s_or_b64 s[52:53], s[52:53], exec
	s_or_b64 s[54:55], s[54:55], exec
	s_waitcnt vmcnt(0)
	v_cmp_lt_i16_e32 vcc, v25, v33
	v_cmp_le_i16_e64 s[28:29], v25, v33
	v_cmp_eq_u16_e64 s[30:31], v25, v33
	s_and_saveexec_b64 s[60:61], s[30:31]
	s_cbranch_execz .LBB627_815
; %bb.817:                              ;   in Loop: Header=BB627_816 Depth=1
	s_add_u32 s58, s58, -1
	s_addc_u32 s59, s59, -1
	s_cmp_eq_u64 s[58:59], 0
	s_cselect_b64 s[30:31], -1, 0
	s_andn2_b64 s[54:55], s[54:55], exec
	s_and_b64 s[30:31], s[30:31], exec
	v_lshl_add_u64 v[0:1], v[0:1], 0, 2
	v_lshl_add_u64 v[22:23], v[22:23], 0, 2
	s_andn2_b64 s[52:53], s[52:53], exec
	s_or_b64 s[54:55], s[54:55], s[30:31]
	s_branch .LBB627_815
.LBB627_818:
	s_or_b64 exec, exec, s[48:49]
	s_and_saveexec_b64 s[28:29], s[50:51]
	s_xor_b64 s[28:29], exec, s[28:29]
; %bb.819:
	v_cndmask_b32_e64 v1, v17, v11, s[46:47]
	v_cndmask_b32_e64 v0, v16, v10, s[46:47]
	;; [unrolled: 1-line block ×4, first 2 shown]
	v_mov_b64_e32 v[16:17], v[0:1]
; %bb.820:
	s_or_b64 exec, exec, s[28:29]
.LBB627_821:
	s_or_b64 exec, exec, s[44:45]
	s_and_saveexec_b64 s[44:45], s[24:25]
	s_cbranch_execz .LBB627_830
; %bb.822:
	s_andn2_b64 vcc, exec, s[42:43]
	s_cbranch_vccnz .LBB627_830
; %bb.823:
	v_mul_lo_u32 v22, v7, s36
	v_mul_lo_u32 v23, v6, s37
	v_mad_u64_u32 v[0:1], s[28:29], v6, s36, 0
	v_add3_u32 v1, v1, v23, v22
	v_mul_lo_u32 v25, v13, s36
	v_mul_lo_u32 v33, v12, s37
	v_mad_u64_u32 v[22:23], s[28:29], v12, s36, 0
	v_add3_u32 v23, v23, v33, v25
	v_lshl_add_u64 v[0:1], v[0:1], 1, s[38:39]
	v_lshl_add_u64 v[22:23], v[22:23], 1, s[38:39]
	s_mov_b64 s[48:49], 0
	s_mov_b64 s[58:59], s[36:37]
                                        ; implicit-def: $sgpr46_sgpr47
                                        ; implicit-def: $sgpr50_sgpr51
                                        ; implicit-def: $sgpr54_sgpr55
                                        ; implicit-def: $sgpr52_sgpr53
                                        ; implicit-def: $sgpr56_sgpr57
	s_branch .LBB627_825
.LBB627_824:                            ;   in Loop: Header=BB627_825 Depth=1
	s_or_b64 exec, exec, s[60:61]
	s_and_b64 s[28:29], s[28:29], s[56:57]
	s_or_b64 s[28:29], vcc, s[28:29]
	s_and_b64 s[30:31], exec, s[54:55]
	s_or_b64 s[48:49], s[30:31], s[48:49]
	s_andn2_b64 s[30:31], s[56:57], exec
	s_and_b64 s[28:29], s[28:29], exec
	s_or_b64 s[56:57], s[30:31], s[28:29]
	s_andn2_b64 s[30:31], s[50:51], exec
	s_and_b64 s[50:51], s[52:53], exec
	s_or_b64 s[50:51], s[30:31], s[50:51]
	s_andn2_b64 s[30:31], s[46:47], exec
	s_or_b64 s[46:47], s[30:31], s[28:29]
	s_andn2_b64 exec, exec, s[48:49]
	s_cbranch_execz .LBB627_827
.LBB627_825:                            ; =>This Inner Loop Header: Depth=1
	global_load_ushort v25, v[0:1], off
	global_load_ushort v33, v[22:23], off
	s_or_b64 s[52:53], s[52:53], exec
	s_or_b64 s[54:55], s[54:55], exec
	s_waitcnt vmcnt(0)
	v_cmp_lt_i16_e32 vcc, v25, v33
	v_cmp_le_i16_e64 s[28:29], v25, v33
	v_cmp_eq_u16_e64 s[30:31], v25, v33
	s_and_saveexec_b64 s[60:61], s[30:31]
	s_cbranch_execz .LBB627_824
; %bb.826:                              ;   in Loop: Header=BB627_825 Depth=1
	s_add_u32 s58, s58, -1
	s_addc_u32 s59, s59, -1
	s_cmp_eq_u64 s[58:59], 0
	s_cselect_b64 s[30:31], -1, 0
	s_andn2_b64 s[54:55], s[54:55], exec
	s_and_b64 s[30:31], s[30:31], exec
	v_lshl_add_u64 v[0:1], v[0:1], 0, 2
	v_lshl_add_u64 v[22:23], v[22:23], 0, 2
	s_andn2_b64 s[52:53], s[52:53], exec
	s_or_b64 s[54:55], s[54:55], s[30:31]
	s_branch .LBB627_824
.LBB627_827:
	s_or_b64 exec, exec, s[48:49]
	s_and_saveexec_b64 s[28:29], s[50:51]
	s_xor_b64 s[28:29], exec, s[28:29]
; %bb.828:
	v_cndmask_b32_e64 v1, v13, v7, s[46:47]
	v_cndmask_b32_e64 v0, v12, v6, s[46:47]
	;; [unrolled: 1-line block ×4, first 2 shown]
	v_mov_b64_e32 v[12:13], v[0:1]
; %bb.829:
	s_or_b64 exec, exec, s[28:29]
.LBB627_830:
	s_or_b64 exec, exec, s[44:45]
	s_and_saveexec_b64 s[44:45], s[26:27]
	s_cbranch_execz .LBB627_839
; %bb.831:
	s_andn2_b64 vcc, exec, s[42:43]
	s_cbranch_vccnz .LBB627_839
; %bb.832:
	v_mul_lo_u32 v22, v3, s36
	v_mul_lo_u32 v23, v2, s37
	v_mad_u64_u32 v[0:1], s[28:29], v2, s36, 0
	v_add3_u32 v1, v1, v23, v22
	v_mul_lo_u32 v25, v9, s36
	v_mul_lo_u32 v33, v8, s37
	v_mad_u64_u32 v[22:23], s[28:29], v8, s36, 0
	v_add3_u32 v23, v23, v33, v25
	v_lshl_add_u64 v[0:1], v[0:1], 1, s[38:39]
	v_lshl_add_u64 v[22:23], v[22:23], 1, s[38:39]
	s_mov_b64 s[48:49], 0
	s_mov_b64 s[58:59], s[36:37]
                                        ; implicit-def: $sgpr46_sgpr47
                                        ; implicit-def: $sgpr50_sgpr51
                                        ; implicit-def: $sgpr54_sgpr55
                                        ; implicit-def: $sgpr52_sgpr53
                                        ; implicit-def: $sgpr56_sgpr57
	s_branch .LBB627_834
.LBB627_833:                            ;   in Loop: Header=BB627_834 Depth=1
	s_or_b64 exec, exec, s[60:61]
	s_and_b64 s[28:29], s[28:29], s[56:57]
	s_or_b64 s[28:29], vcc, s[28:29]
	s_and_b64 s[30:31], exec, s[54:55]
	s_or_b64 s[48:49], s[30:31], s[48:49]
	s_andn2_b64 s[30:31], s[56:57], exec
	s_and_b64 s[28:29], s[28:29], exec
	s_or_b64 s[56:57], s[30:31], s[28:29]
	s_andn2_b64 s[30:31], s[50:51], exec
	s_and_b64 s[50:51], s[52:53], exec
	s_or_b64 s[50:51], s[30:31], s[50:51]
	s_andn2_b64 s[30:31], s[46:47], exec
	s_or_b64 s[46:47], s[30:31], s[28:29]
	s_andn2_b64 exec, exec, s[48:49]
	s_cbranch_execz .LBB627_836
.LBB627_834:                            ; =>This Inner Loop Header: Depth=1
	global_load_ushort v25, v[0:1], off
	global_load_ushort v33, v[22:23], off
	s_or_b64 s[52:53], s[52:53], exec
	s_or_b64 s[54:55], s[54:55], exec
	s_waitcnt vmcnt(0)
	v_cmp_lt_i16_e32 vcc, v25, v33
	v_cmp_le_i16_e64 s[28:29], v25, v33
	v_cmp_eq_u16_e64 s[30:31], v25, v33
	s_and_saveexec_b64 s[60:61], s[30:31]
	s_cbranch_execz .LBB627_833
; %bb.835:                              ;   in Loop: Header=BB627_834 Depth=1
	s_add_u32 s58, s58, -1
	s_addc_u32 s59, s59, -1
	s_cmp_eq_u64 s[58:59], 0
	s_cselect_b64 s[30:31], -1, 0
	s_andn2_b64 s[54:55], s[54:55], exec
	s_and_b64 s[30:31], s[30:31], exec
	v_lshl_add_u64 v[0:1], v[0:1], 0, 2
	v_lshl_add_u64 v[22:23], v[22:23], 0, 2
	s_andn2_b64 s[52:53], s[52:53], exec
	s_or_b64 s[54:55], s[54:55], s[30:31]
	s_branch .LBB627_833
.LBB627_836:
	s_or_b64 exec, exec, s[48:49]
	s_and_saveexec_b64 s[28:29], s[50:51]
	s_xor_b64 s[28:29], exec, s[28:29]
; %bb.837:
	v_cndmask_b32_e64 v1, v9, v3, s[46:47]
	v_cndmask_b32_e64 v0, v8, v2, s[46:47]
	;; [unrolled: 1-line block ×4, first 2 shown]
	v_mov_b64_e32 v[8:9], v[0:1]
; %bb.838:
	s_or_b64 exec, exec, s[28:29]
.LBB627_839:
	s_or_b64 exec, exec, s[44:45]
	s_and_saveexec_b64 s[44:45], s[14:15]
	s_cbranch_execz .LBB627_848
; %bb.840:
	s_andn2_b64 vcc, exec, s[42:43]
	s_cbranch_vccnz .LBB627_848
; %bb.841:
	v_mul_lo_u32 v22, v17, s36
	v_mul_lo_u32 v23, v16, s37
	v_mad_u64_u32 v[0:1], s[28:29], v16, s36, 0
	v_add3_u32 v1, v1, v23, v22
	v_mul_lo_u32 v25, v15, s36
	v_mul_lo_u32 v33, v14, s37
	v_mad_u64_u32 v[22:23], s[28:29], v14, s36, 0
	v_add3_u32 v23, v23, v33, v25
	v_lshl_add_u64 v[0:1], v[0:1], 1, s[38:39]
	v_lshl_add_u64 v[22:23], v[22:23], 1, s[38:39]
	s_mov_b64 s[48:49], 0
	s_mov_b64 s[58:59], s[36:37]
                                        ; implicit-def: $sgpr46_sgpr47
                                        ; implicit-def: $sgpr50_sgpr51
                                        ; implicit-def: $sgpr54_sgpr55
                                        ; implicit-def: $sgpr52_sgpr53
                                        ; implicit-def: $sgpr56_sgpr57
	s_branch .LBB627_843
.LBB627_842:                            ;   in Loop: Header=BB627_843 Depth=1
	s_or_b64 exec, exec, s[60:61]
	s_and_b64 s[28:29], s[28:29], s[56:57]
	s_or_b64 s[28:29], vcc, s[28:29]
	s_and_b64 s[30:31], exec, s[54:55]
	s_or_b64 s[48:49], s[30:31], s[48:49]
	s_andn2_b64 s[30:31], s[56:57], exec
	s_and_b64 s[28:29], s[28:29], exec
	s_or_b64 s[56:57], s[30:31], s[28:29]
	s_andn2_b64 s[30:31], s[50:51], exec
	s_and_b64 s[50:51], s[52:53], exec
	s_or_b64 s[50:51], s[30:31], s[50:51]
	s_andn2_b64 s[30:31], s[46:47], exec
	s_or_b64 s[46:47], s[30:31], s[28:29]
	s_andn2_b64 exec, exec, s[48:49]
	s_cbranch_execz .LBB627_845
.LBB627_843:                            ; =>This Inner Loop Header: Depth=1
	global_load_ushort v25, v[0:1], off
	global_load_ushort v33, v[22:23], off
	s_or_b64 s[52:53], s[52:53], exec
	s_or_b64 s[54:55], s[54:55], exec
	s_waitcnt vmcnt(0)
	v_cmp_lt_i16_e32 vcc, v25, v33
	v_cmp_le_i16_e64 s[28:29], v25, v33
	v_cmp_eq_u16_e64 s[30:31], v25, v33
	s_and_saveexec_b64 s[60:61], s[30:31]
	s_cbranch_execz .LBB627_842
; %bb.844:                              ;   in Loop: Header=BB627_843 Depth=1
	s_add_u32 s58, s58, -1
	s_addc_u32 s59, s59, -1
	s_cmp_eq_u64 s[58:59], 0
	s_cselect_b64 s[30:31], -1, 0
	s_andn2_b64 s[54:55], s[54:55], exec
	s_and_b64 s[30:31], s[30:31], exec
	v_lshl_add_u64 v[0:1], v[0:1], 0, 2
	v_lshl_add_u64 v[22:23], v[22:23], 0, 2
	s_andn2_b64 s[52:53], s[52:53], exec
	s_or_b64 s[54:55], s[54:55], s[30:31]
	s_branch .LBB627_842
.LBB627_845:
	s_or_b64 exec, exec, s[48:49]
	s_and_saveexec_b64 s[28:29], s[50:51]
	s_xor_b64 s[28:29], exec, s[28:29]
; %bb.846:
	v_cndmask_b32_e64 v1, v17, v15, s[46:47]
	v_cndmask_b32_e64 v0, v16, v14, s[46:47]
	;; [unrolled: 1-line block ×4, first 2 shown]
	v_mov_b64_e32 v[16:17], v[0:1]
; %bb.847:
	s_or_b64 exec, exec, s[28:29]
.LBB627_848:
	s_or_b64 exec, exec, s[44:45]
	s_and_saveexec_b64 s[44:45], s[16:17]
	s_cbranch_execz .LBB627_857
; %bb.849:
	s_andn2_b64 vcc, exec, s[42:43]
	s_cbranch_vccnz .LBB627_857
; %bb.850:
	v_mul_lo_u32 v22, v13, s36
	v_mul_lo_u32 v23, v12, s37
	v_mad_u64_u32 v[0:1], s[28:29], v12, s36, 0
	v_add3_u32 v1, v1, v23, v22
	v_mul_lo_u32 v25, v11, s36
	v_mul_lo_u32 v33, v10, s37
	v_mad_u64_u32 v[22:23], s[28:29], v10, s36, 0
	v_add3_u32 v23, v23, v33, v25
	v_lshl_add_u64 v[0:1], v[0:1], 1, s[38:39]
	v_lshl_add_u64 v[22:23], v[22:23], 1, s[38:39]
	s_mov_b64 s[48:49], 0
	s_mov_b64 s[58:59], s[36:37]
                                        ; implicit-def: $sgpr46_sgpr47
                                        ; implicit-def: $sgpr50_sgpr51
                                        ; implicit-def: $sgpr54_sgpr55
                                        ; implicit-def: $sgpr52_sgpr53
                                        ; implicit-def: $sgpr56_sgpr57
	s_branch .LBB627_852
.LBB627_851:                            ;   in Loop: Header=BB627_852 Depth=1
	s_or_b64 exec, exec, s[60:61]
	s_and_b64 s[28:29], s[28:29], s[56:57]
	s_or_b64 s[28:29], vcc, s[28:29]
	s_and_b64 s[30:31], exec, s[54:55]
	s_or_b64 s[48:49], s[30:31], s[48:49]
	s_andn2_b64 s[30:31], s[56:57], exec
	s_and_b64 s[28:29], s[28:29], exec
	s_or_b64 s[56:57], s[30:31], s[28:29]
	s_andn2_b64 s[30:31], s[50:51], exec
	s_and_b64 s[50:51], s[52:53], exec
	s_or_b64 s[50:51], s[30:31], s[50:51]
	s_andn2_b64 s[30:31], s[46:47], exec
	s_or_b64 s[46:47], s[30:31], s[28:29]
	s_andn2_b64 exec, exec, s[48:49]
	s_cbranch_execz .LBB627_854
.LBB627_852:                            ; =>This Inner Loop Header: Depth=1
	global_load_ushort v25, v[0:1], off
	global_load_ushort v33, v[22:23], off
	s_or_b64 s[52:53], s[52:53], exec
	s_or_b64 s[54:55], s[54:55], exec
	s_waitcnt vmcnt(0)
	v_cmp_lt_i16_e32 vcc, v25, v33
	v_cmp_le_i16_e64 s[28:29], v25, v33
	v_cmp_eq_u16_e64 s[30:31], v25, v33
	s_and_saveexec_b64 s[60:61], s[30:31]
	s_cbranch_execz .LBB627_851
; %bb.853:                              ;   in Loop: Header=BB627_852 Depth=1
	s_add_u32 s58, s58, -1
	s_addc_u32 s59, s59, -1
	s_cmp_eq_u64 s[58:59], 0
	s_cselect_b64 s[30:31], -1, 0
	s_andn2_b64 s[54:55], s[54:55], exec
	s_and_b64 s[30:31], s[30:31], exec
	v_lshl_add_u64 v[0:1], v[0:1], 0, 2
	v_lshl_add_u64 v[22:23], v[22:23], 0, 2
	s_andn2_b64 s[52:53], s[52:53], exec
	s_or_b64 s[54:55], s[54:55], s[30:31]
	s_branch .LBB627_851
.LBB627_854:
	s_or_b64 exec, exec, s[48:49]
	s_and_saveexec_b64 s[28:29], s[50:51]
	s_xor_b64 s[28:29], exec, s[28:29]
; %bb.855:
	v_cndmask_b32_e64 v1, v11, v13, s[46:47]
	v_cndmask_b32_e64 v0, v10, v12, s[46:47]
	;; [unrolled: 1-line block ×4, first 2 shown]
	v_mov_b64_e32 v[10:11], v[0:1]
; %bb.856:
	s_or_b64 exec, exec, s[28:29]
.LBB627_857:
	s_or_b64 exec, exec, s[44:45]
	s_and_saveexec_b64 s[44:45], s[18:19]
	s_cbranch_execz .LBB627_866
; %bb.858:
	s_andn2_b64 vcc, exec, s[42:43]
	s_cbranch_vccnz .LBB627_866
; %bb.859:
	v_mul_lo_u32 v22, v9, s36
	v_mul_lo_u32 v23, v8, s37
	v_mad_u64_u32 v[0:1], s[28:29], v8, s36, 0
	v_add3_u32 v1, v1, v23, v22
	v_mul_lo_u32 v25, v7, s36
	v_mul_lo_u32 v33, v6, s37
	v_mad_u64_u32 v[22:23], s[28:29], v6, s36, 0
	v_add3_u32 v23, v23, v33, v25
	v_lshl_add_u64 v[0:1], v[0:1], 1, s[38:39]
	v_lshl_add_u64 v[22:23], v[22:23], 1, s[38:39]
	s_mov_b64 s[48:49], 0
	s_mov_b64 s[58:59], s[36:37]
                                        ; implicit-def: $sgpr46_sgpr47
                                        ; implicit-def: $sgpr50_sgpr51
                                        ; implicit-def: $sgpr54_sgpr55
                                        ; implicit-def: $sgpr52_sgpr53
                                        ; implicit-def: $sgpr56_sgpr57
	s_branch .LBB627_861
.LBB627_860:                            ;   in Loop: Header=BB627_861 Depth=1
	s_or_b64 exec, exec, s[60:61]
	s_and_b64 s[28:29], s[28:29], s[56:57]
	s_or_b64 s[28:29], vcc, s[28:29]
	s_and_b64 s[30:31], exec, s[54:55]
	s_or_b64 s[48:49], s[30:31], s[48:49]
	s_andn2_b64 s[30:31], s[56:57], exec
	s_and_b64 s[28:29], s[28:29], exec
	s_or_b64 s[56:57], s[30:31], s[28:29]
	s_andn2_b64 s[30:31], s[50:51], exec
	s_and_b64 s[50:51], s[52:53], exec
	s_or_b64 s[50:51], s[30:31], s[50:51]
	s_andn2_b64 s[30:31], s[46:47], exec
	s_or_b64 s[46:47], s[30:31], s[28:29]
	s_andn2_b64 exec, exec, s[48:49]
	s_cbranch_execz .LBB627_863
.LBB627_861:                            ; =>This Inner Loop Header: Depth=1
	global_load_ushort v25, v[0:1], off
	global_load_ushort v33, v[22:23], off
	s_or_b64 s[52:53], s[52:53], exec
	s_or_b64 s[54:55], s[54:55], exec
	s_waitcnt vmcnt(0)
	v_cmp_lt_i16_e32 vcc, v25, v33
	v_cmp_le_i16_e64 s[28:29], v25, v33
	v_cmp_eq_u16_e64 s[30:31], v25, v33
	s_and_saveexec_b64 s[60:61], s[30:31]
	s_cbranch_execz .LBB627_860
; %bb.862:                              ;   in Loop: Header=BB627_861 Depth=1
	s_add_u32 s58, s58, -1
	s_addc_u32 s59, s59, -1
	s_cmp_eq_u64 s[58:59], 0
	s_cselect_b64 s[30:31], -1, 0
	s_andn2_b64 s[54:55], s[54:55], exec
	s_and_b64 s[30:31], s[30:31], exec
	v_lshl_add_u64 v[0:1], v[0:1], 0, 2
	v_lshl_add_u64 v[22:23], v[22:23], 0, 2
	s_andn2_b64 s[52:53], s[52:53], exec
	s_or_b64 s[54:55], s[54:55], s[30:31]
	s_branch .LBB627_860
.LBB627_863:
	s_or_b64 exec, exec, s[48:49]
	s_and_saveexec_b64 s[28:29], s[50:51]
	s_xor_b64 s[28:29], exec, s[28:29]
; %bb.864:
	v_cndmask_b32_e64 v1, v7, v9, s[46:47]
	v_cndmask_b32_e64 v0, v6, v8, s[46:47]
	;; [unrolled: 1-line block ×4, first 2 shown]
	v_mov_b64_e32 v[6:7], v[0:1]
; %bb.865:
	s_or_b64 exec, exec, s[28:29]
.LBB627_866:
	s_or_b64 exec, exec, s[44:45]
	s_and_saveexec_b64 s[44:45], s[20:21]
	s_cbranch_execz .LBB627_875
; %bb.867:
	s_andn2_b64 vcc, exec, s[42:43]
	s_cbranch_vccnz .LBB627_875
; %bb.868:
	v_mul_lo_u32 v22, v5, s36
	v_mul_lo_u32 v23, v4, s37
	v_mad_u64_u32 v[0:1], s[28:29], v4, s36, 0
	v_add3_u32 v1, v1, v23, v22
	v_mul_lo_u32 v25, v3, s36
	v_mul_lo_u32 v33, v2, s37
	v_mad_u64_u32 v[22:23], s[28:29], v2, s36, 0
	v_add3_u32 v23, v23, v33, v25
	v_lshl_add_u64 v[0:1], v[0:1], 1, s[38:39]
	v_lshl_add_u64 v[22:23], v[22:23], 1, s[38:39]
	s_mov_b64 s[48:49], 0
	s_mov_b64 s[58:59], s[36:37]
                                        ; implicit-def: $sgpr46_sgpr47
                                        ; implicit-def: $sgpr50_sgpr51
                                        ; implicit-def: $sgpr54_sgpr55
                                        ; implicit-def: $sgpr52_sgpr53
                                        ; implicit-def: $sgpr56_sgpr57
	s_branch .LBB627_870
.LBB627_869:                            ;   in Loop: Header=BB627_870 Depth=1
	s_or_b64 exec, exec, s[60:61]
	s_and_b64 s[28:29], s[28:29], s[56:57]
	s_or_b64 s[28:29], vcc, s[28:29]
	s_and_b64 s[30:31], exec, s[54:55]
	s_or_b64 s[48:49], s[30:31], s[48:49]
	s_andn2_b64 s[30:31], s[56:57], exec
	s_and_b64 s[28:29], s[28:29], exec
	s_or_b64 s[56:57], s[30:31], s[28:29]
	s_andn2_b64 s[30:31], s[50:51], exec
	s_and_b64 s[50:51], s[52:53], exec
	s_or_b64 s[50:51], s[30:31], s[50:51]
	s_andn2_b64 s[30:31], s[46:47], exec
	s_or_b64 s[46:47], s[30:31], s[28:29]
	s_andn2_b64 exec, exec, s[48:49]
	s_cbranch_execz .LBB627_872
.LBB627_870:                            ; =>This Inner Loop Header: Depth=1
	global_load_ushort v25, v[0:1], off
	global_load_ushort v33, v[22:23], off
	s_or_b64 s[52:53], s[52:53], exec
	s_or_b64 s[54:55], s[54:55], exec
	s_waitcnt vmcnt(0)
	v_cmp_lt_i16_e32 vcc, v25, v33
	v_cmp_le_i16_e64 s[28:29], v25, v33
	v_cmp_eq_u16_e64 s[30:31], v25, v33
	s_and_saveexec_b64 s[60:61], s[30:31]
	s_cbranch_execz .LBB627_869
; %bb.871:                              ;   in Loop: Header=BB627_870 Depth=1
	s_add_u32 s58, s58, -1
	s_addc_u32 s59, s59, -1
	s_cmp_eq_u64 s[58:59], 0
	s_cselect_b64 s[30:31], -1, 0
	s_andn2_b64 s[54:55], s[54:55], exec
	s_and_b64 s[30:31], s[30:31], exec
	v_lshl_add_u64 v[0:1], v[0:1], 0, 2
	v_lshl_add_u64 v[22:23], v[22:23], 0, 2
	s_andn2_b64 s[52:53], s[52:53], exec
	s_or_b64 s[54:55], s[54:55], s[30:31]
	s_branch .LBB627_869
.LBB627_872:
	s_or_b64 exec, exec, s[48:49]
	s_and_saveexec_b64 s[28:29], s[50:51]
	s_xor_b64 s[28:29], exec, s[28:29]
; %bb.873:
	v_cndmask_b32_e64 v1, v3, v5, s[46:47]
	v_cndmask_b32_e64 v0, v2, v4, s[46:47]
	;; [unrolled: 1-line block ×4, first 2 shown]
	v_mov_b64_e32 v[2:3], v[0:1]
; %bb.874:
	s_or_b64 exec, exec, s[28:29]
.LBB627_875:
	s_or_b64 exec, exec, s[44:45]
	s_and_saveexec_b64 s[44:45], s[22:23]
	s_cbranch_execz .LBB627_884
; %bb.876:
	s_andn2_b64 vcc, exec, s[42:43]
	s_cbranch_vccnz .LBB627_884
; %bb.877:
	v_mul_lo_u32 v22, v11, s36
	v_mul_lo_u32 v23, v10, s37
	v_mad_u64_u32 v[0:1], s[28:29], v10, s36, 0
	v_add3_u32 v1, v1, v23, v22
	v_mul_lo_u32 v25, v17, s36
	v_mul_lo_u32 v33, v16, s37
	v_mad_u64_u32 v[22:23], s[28:29], v16, s36, 0
	v_add3_u32 v23, v23, v33, v25
	v_lshl_add_u64 v[0:1], v[0:1], 1, s[38:39]
	v_lshl_add_u64 v[22:23], v[22:23], 1, s[38:39]
	s_mov_b64 s[48:49], 0
	s_mov_b64 s[58:59], s[36:37]
                                        ; implicit-def: $sgpr46_sgpr47
                                        ; implicit-def: $sgpr50_sgpr51
                                        ; implicit-def: $sgpr54_sgpr55
                                        ; implicit-def: $sgpr52_sgpr53
                                        ; implicit-def: $sgpr56_sgpr57
	s_branch .LBB627_879
.LBB627_878:                            ;   in Loop: Header=BB627_879 Depth=1
	s_or_b64 exec, exec, s[60:61]
	s_and_b64 s[28:29], s[28:29], s[56:57]
	s_or_b64 s[28:29], vcc, s[28:29]
	s_and_b64 s[30:31], exec, s[54:55]
	s_or_b64 s[48:49], s[30:31], s[48:49]
	s_andn2_b64 s[30:31], s[56:57], exec
	s_and_b64 s[28:29], s[28:29], exec
	s_or_b64 s[56:57], s[30:31], s[28:29]
	s_andn2_b64 s[30:31], s[50:51], exec
	s_and_b64 s[50:51], s[52:53], exec
	s_or_b64 s[50:51], s[30:31], s[50:51]
	s_andn2_b64 s[30:31], s[46:47], exec
	s_or_b64 s[46:47], s[30:31], s[28:29]
	s_andn2_b64 exec, exec, s[48:49]
	s_cbranch_execz .LBB627_881
.LBB627_879:                            ; =>This Inner Loop Header: Depth=1
	global_load_ushort v25, v[0:1], off
	global_load_ushort v33, v[22:23], off
	s_or_b64 s[52:53], s[52:53], exec
	s_or_b64 s[54:55], s[54:55], exec
	s_waitcnt vmcnt(0)
	v_cmp_lt_i16_e32 vcc, v25, v33
	v_cmp_le_i16_e64 s[28:29], v25, v33
	v_cmp_eq_u16_e64 s[30:31], v25, v33
	s_and_saveexec_b64 s[60:61], s[30:31]
	s_cbranch_execz .LBB627_878
; %bb.880:                              ;   in Loop: Header=BB627_879 Depth=1
	s_add_u32 s58, s58, -1
	s_addc_u32 s59, s59, -1
	s_cmp_eq_u64 s[58:59], 0
	s_cselect_b64 s[30:31], -1, 0
	s_andn2_b64 s[54:55], s[54:55], exec
	s_and_b64 s[30:31], s[30:31], exec
	v_lshl_add_u64 v[0:1], v[0:1], 0, 2
	v_lshl_add_u64 v[22:23], v[22:23], 0, 2
	s_andn2_b64 s[52:53], s[52:53], exec
	s_or_b64 s[54:55], s[54:55], s[30:31]
	s_branch .LBB627_878
.LBB627_881:
	s_or_b64 exec, exec, s[48:49]
	s_and_saveexec_b64 s[28:29], s[50:51]
	s_xor_b64 s[28:29], exec, s[28:29]
; %bb.882:
	v_cndmask_b32_e64 v1, v17, v11, s[46:47]
	v_cndmask_b32_e64 v0, v16, v10, s[46:47]
	;; [unrolled: 1-line block ×4, first 2 shown]
	v_mov_b64_e32 v[16:17], v[0:1]
; %bb.883:
	s_or_b64 exec, exec, s[28:29]
.LBB627_884:
	s_or_b64 exec, exec, s[44:45]
	s_and_saveexec_b64 s[44:45], s[24:25]
	s_cbranch_execz .LBB627_893
; %bb.885:
	s_andn2_b64 vcc, exec, s[42:43]
	s_cbranch_vccnz .LBB627_893
; %bb.886:
	v_mul_lo_u32 v22, v7, s36
	v_mul_lo_u32 v23, v6, s37
	v_mad_u64_u32 v[0:1], s[28:29], v6, s36, 0
	v_add3_u32 v1, v1, v23, v22
	v_mul_lo_u32 v25, v13, s36
	v_mul_lo_u32 v33, v12, s37
	v_mad_u64_u32 v[22:23], s[28:29], v12, s36, 0
	v_add3_u32 v23, v23, v33, v25
	v_lshl_add_u64 v[0:1], v[0:1], 1, s[38:39]
	v_lshl_add_u64 v[22:23], v[22:23], 1, s[38:39]
	s_mov_b64 s[48:49], 0
	s_mov_b64 s[58:59], s[36:37]
                                        ; implicit-def: $sgpr46_sgpr47
                                        ; implicit-def: $sgpr50_sgpr51
                                        ; implicit-def: $sgpr54_sgpr55
                                        ; implicit-def: $sgpr52_sgpr53
                                        ; implicit-def: $sgpr56_sgpr57
	s_branch .LBB627_888
.LBB627_887:                            ;   in Loop: Header=BB627_888 Depth=1
	s_or_b64 exec, exec, s[60:61]
	s_and_b64 s[28:29], s[28:29], s[56:57]
	s_or_b64 s[28:29], vcc, s[28:29]
	s_and_b64 s[30:31], exec, s[54:55]
	s_or_b64 s[48:49], s[30:31], s[48:49]
	s_andn2_b64 s[30:31], s[56:57], exec
	s_and_b64 s[28:29], s[28:29], exec
	s_or_b64 s[56:57], s[30:31], s[28:29]
	s_andn2_b64 s[30:31], s[50:51], exec
	s_and_b64 s[50:51], s[52:53], exec
	s_or_b64 s[50:51], s[30:31], s[50:51]
	s_andn2_b64 s[30:31], s[46:47], exec
	s_or_b64 s[46:47], s[30:31], s[28:29]
	s_andn2_b64 exec, exec, s[48:49]
	s_cbranch_execz .LBB627_890
.LBB627_888:                            ; =>This Inner Loop Header: Depth=1
	global_load_ushort v25, v[0:1], off
	global_load_ushort v33, v[22:23], off
	s_or_b64 s[52:53], s[52:53], exec
	s_or_b64 s[54:55], s[54:55], exec
	s_waitcnt vmcnt(0)
	v_cmp_lt_i16_e32 vcc, v25, v33
	v_cmp_le_i16_e64 s[28:29], v25, v33
	v_cmp_eq_u16_e64 s[30:31], v25, v33
	s_and_saveexec_b64 s[60:61], s[30:31]
	s_cbranch_execz .LBB627_887
; %bb.889:                              ;   in Loop: Header=BB627_888 Depth=1
	s_add_u32 s58, s58, -1
	s_addc_u32 s59, s59, -1
	s_cmp_eq_u64 s[58:59], 0
	s_cselect_b64 s[30:31], -1, 0
	s_andn2_b64 s[54:55], s[54:55], exec
	s_and_b64 s[30:31], s[30:31], exec
	v_lshl_add_u64 v[0:1], v[0:1], 0, 2
	v_lshl_add_u64 v[22:23], v[22:23], 0, 2
	s_andn2_b64 s[52:53], s[52:53], exec
	s_or_b64 s[54:55], s[54:55], s[30:31]
	s_branch .LBB627_887
.LBB627_890:
	s_or_b64 exec, exec, s[48:49]
	s_and_saveexec_b64 s[28:29], s[50:51]
	s_xor_b64 s[28:29], exec, s[28:29]
; %bb.891:
	v_cndmask_b32_e64 v1, v13, v7, s[46:47]
	v_cndmask_b32_e64 v0, v12, v6, s[46:47]
	;; [unrolled: 1-line block ×4, first 2 shown]
	v_mov_b64_e32 v[12:13], v[0:1]
; %bb.892:
	s_or_b64 exec, exec, s[28:29]
.LBB627_893:
	s_or_b64 exec, exec, s[44:45]
	s_and_saveexec_b64 s[44:45], s[26:27]
	s_cbranch_execz .LBB627_902
; %bb.894:
	s_andn2_b64 vcc, exec, s[42:43]
	s_cbranch_vccnz .LBB627_902
; %bb.895:
	v_mul_lo_u32 v22, v3, s36
	v_mul_lo_u32 v23, v2, s37
	v_mad_u64_u32 v[0:1], s[28:29], v2, s36, 0
	v_add3_u32 v1, v1, v23, v22
	v_mul_lo_u32 v25, v9, s36
	v_mul_lo_u32 v33, v8, s37
	v_mad_u64_u32 v[22:23], s[28:29], v8, s36, 0
	v_add3_u32 v23, v23, v33, v25
	v_lshl_add_u64 v[0:1], v[0:1], 1, s[38:39]
	v_lshl_add_u64 v[22:23], v[22:23], 1, s[38:39]
	s_mov_b64 s[48:49], 0
	s_mov_b64 s[58:59], s[36:37]
                                        ; implicit-def: $sgpr46_sgpr47
                                        ; implicit-def: $sgpr50_sgpr51
                                        ; implicit-def: $sgpr54_sgpr55
                                        ; implicit-def: $sgpr52_sgpr53
                                        ; implicit-def: $sgpr56_sgpr57
	s_branch .LBB627_897
.LBB627_896:                            ;   in Loop: Header=BB627_897 Depth=1
	s_or_b64 exec, exec, s[60:61]
	s_and_b64 s[28:29], s[28:29], s[56:57]
	s_or_b64 s[28:29], vcc, s[28:29]
	s_and_b64 s[30:31], exec, s[54:55]
	s_or_b64 s[48:49], s[30:31], s[48:49]
	s_andn2_b64 s[30:31], s[56:57], exec
	s_and_b64 s[28:29], s[28:29], exec
	s_or_b64 s[56:57], s[30:31], s[28:29]
	s_andn2_b64 s[30:31], s[50:51], exec
	s_and_b64 s[50:51], s[52:53], exec
	s_or_b64 s[50:51], s[30:31], s[50:51]
	s_andn2_b64 s[30:31], s[46:47], exec
	s_or_b64 s[46:47], s[30:31], s[28:29]
	s_andn2_b64 exec, exec, s[48:49]
	s_cbranch_execz .LBB627_899
.LBB627_897:                            ; =>This Inner Loop Header: Depth=1
	global_load_ushort v25, v[0:1], off
	global_load_ushort v33, v[22:23], off
	s_or_b64 s[52:53], s[52:53], exec
	s_or_b64 s[54:55], s[54:55], exec
	s_waitcnt vmcnt(0)
	v_cmp_lt_i16_e32 vcc, v25, v33
	v_cmp_le_i16_e64 s[28:29], v25, v33
	v_cmp_eq_u16_e64 s[30:31], v25, v33
	s_and_saveexec_b64 s[60:61], s[30:31]
	s_cbranch_execz .LBB627_896
; %bb.898:                              ;   in Loop: Header=BB627_897 Depth=1
	s_add_u32 s58, s58, -1
	s_addc_u32 s59, s59, -1
	s_cmp_eq_u64 s[58:59], 0
	s_cselect_b64 s[30:31], -1, 0
	s_andn2_b64 s[54:55], s[54:55], exec
	s_and_b64 s[30:31], s[30:31], exec
	v_lshl_add_u64 v[0:1], v[0:1], 0, 2
	v_lshl_add_u64 v[22:23], v[22:23], 0, 2
	s_andn2_b64 s[52:53], s[52:53], exec
	s_or_b64 s[54:55], s[54:55], s[30:31]
	s_branch .LBB627_896
.LBB627_899:
	s_or_b64 exec, exec, s[48:49]
	s_and_saveexec_b64 s[28:29], s[50:51]
	s_xor_b64 s[28:29], exec, s[28:29]
; %bb.900:
	v_cndmask_b32_e64 v1, v9, v3, s[46:47]
	v_cndmask_b32_e64 v0, v8, v2, s[46:47]
	;; [unrolled: 1-line block ×4, first 2 shown]
	v_mov_b64_e32 v[8:9], v[0:1]
; %bb.901:
	s_or_b64 exec, exec, s[28:29]
.LBB627_902:
	s_or_b64 exec, exec, s[44:45]
	s_and_saveexec_b64 s[30:31], s[14:15]
	s_cbranch_execz .LBB627_911
; %bb.903:
	s_andn2_b64 vcc, exec, s[42:43]
	s_cbranch_vccnz .LBB627_911
; %bb.904:
	v_mul_lo_u32 v22, v17, s36
	v_mul_lo_u32 v23, v16, s37
	v_mad_u64_u32 v[0:1], s[14:15], v16, s36, 0
	v_add3_u32 v1, v1, v23, v22
	v_mul_lo_u32 v25, v15, s36
	v_mul_lo_u32 v33, v14, s37
	v_mad_u64_u32 v[22:23], s[14:15], v14, s36, 0
	v_add3_u32 v23, v23, v33, v25
	v_lshl_add_u64 v[0:1], v[0:1], 1, s[38:39]
	v_lshl_add_u64 v[22:23], v[22:23], 1, s[38:39]
	s_mov_b64 s[46:47], 0
	s_mov_b64 s[56:57], s[36:37]
                                        ; implicit-def: $sgpr44_sgpr45
                                        ; implicit-def: $sgpr48_sgpr49
                                        ; implicit-def: $sgpr52_sgpr53
                                        ; implicit-def: $sgpr50_sgpr51
                                        ; implicit-def: $sgpr54_sgpr55
	s_branch .LBB627_906
.LBB627_905:                            ;   in Loop: Header=BB627_906 Depth=1
	s_or_b64 exec, exec, s[58:59]
	s_and_b64 s[14:15], s[14:15], s[54:55]
	s_or_b64 s[14:15], vcc, s[14:15]
	s_and_b64 s[28:29], exec, s[52:53]
	s_or_b64 s[46:47], s[28:29], s[46:47]
	s_andn2_b64 s[28:29], s[54:55], exec
	s_and_b64 s[14:15], s[14:15], exec
	s_or_b64 s[54:55], s[28:29], s[14:15]
	s_andn2_b64 s[28:29], s[48:49], exec
	s_and_b64 s[48:49], s[50:51], exec
	s_or_b64 s[48:49], s[28:29], s[48:49]
	s_andn2_b64 s[28:29], s[44:45], exec
	s_or_b64 s[44:45], s[28:29], s[14:15]
	s_andn2_b64 exec, exec, s[46:47]
	s_cbranch_execz .LBB627_908
.LBB627_906:                            ; =>This Inner Loop Header: Depth=1
	global_load_ushort v25, v[0:1], off
	global_load_ushort v33, v[22:23], off
	s_or_b64 s[50:51], s[50:51], exec
	s_or_b64 s[52:53], s[52:53], exec
	s_waitcnt vmcnt(0)
	v_cmp_lt_i16_e32 vcc, v25, v33
	v_cmp_le_i16_e64 s[14:15], v25, v33
	v_cmp_eq_u16_e64 s[28:29], v25, v33
	s_and_saveexec_b64 s[58:59], s[28:29]
	s_cbranch_execz .LBB627_905
; %bb.907:                              ;   in Loop: Header=BB627_906 Depth=1
	s_add_u32 s56, s56, -1
	s_addc_u32 s57, s57, -1
	s_cmp_eq_u64 s[56:57], 0
	s_cselect_b64 s[28:29], -1, 0
	s_andn2_b64 s[52:53], s[52:53], exec
	s_and_b64 s[28:29], s[28:29], exec
	v_lshl_add_u64 v[0:1], v[0:1], 0, 2
	v_lshl_add_u64 v[22:23], v[22:23], 0, 2
	s_andn2_b64 s[50:51], s[50:51], exec
	s_or_b64 s[52:53], s[52:53], s[28:29]
	s_branch .LBB627_905
.LBB627_908:
	s_or_b64 exec, exec, s[46:47]
	s_and_saveexec_b64 s[14:15], s[48:49]
	s_xor_b64 s[14:15], exec, s[14:15]
; %bb.909:
	v_cndmask_b32_e64 v1, v17, v15, s[44:45]
	v_cndmask_b32_e64 v0, v16, v14, s[44:45]
	;; [unrolled: 1-line block ×4, first 2 shown]
	v_mov_b64_e32 v[16:17], v[0:1]
; %bb.910:
	s_or_b64 exec, exec, s[14:15]
.LBB627_911:
	s_or_b64 exec, exec, s[30:31]
	s_and_saveexec_b64 s[28:29], s[16:17]
	s_cbranch_execz .LBB627_920
; %bb.912:
	s_andn2_b64 vcc, exec, s[42:43]
	s_cbranch_vccnz .LBB627_920
; %bb.913:
	v_mul_lo_u32 v22, v13, s36
	v_mul_lo_u32 v23, v12, s37
	v_mad_u64_u32 v[0:1], s[14:15], v12, s36, 0
	v_add3_u32 v1, v1, v23, v22
	v_mul_lo_u32 v25, v11, s36
	v_mul_lo_u32 v33, v10, s37
	v_mad_u64_u32 v[22:23], s[14:15], v10, s36, 0
	v_add3_u32 v23, v23, v33, v25
	v_lshl_add_u64 v[0:1], v[0:1], 1, s[38:39]
	v_lshl_add_u64 v[22:23], v[22:23], 1, s[38:39]
	s_mov_b64 s[44:45], 0
	s_mov_b64 s[54:55], s[36:37]
                                        ; implicit-def: $sgpr30_sgpr31
                                        ; implicit-def: $sgpr46_sgpr47
                                        ; implicit-def: $sgpr50_sgpr51
                                        ; implicit-def: $sgpr48_sgpr49
                                        ; implicit-def: $sgpr52_sgpr53
	s_branch .LBB627_915
.LBB627_914:                            ;   in Loop: Header=BB627_915 Depth=1
	s_or_b64 exec, exec, s[56:57]
	s_and_b64 s[14:15], s[14:15], s[52:53]
	s_or_b64 s[14:15], vcc, s[14:15]
	s_and_b64 s[16:17], exec, s[50:51]
	s_or_b64 s[44:45], s[16:17], s[44:45]
	s_andn2_b64 s[16:17], s[52:53], exec
	s_and_b64 s[14:15], s[14:15], exec
	s_or_b64 s[52:53], s[16:17], s[14:15]
	s_andn2_b64 s[16:17], s[46:47], exec
	s_and_b64 s[46:47], s[48:49], exec
	s_or_b64 s[46:47], s[16:17], s[46:47]
	s_andn2_b64 s[16:17], s[30:31], exec
	s_or_b64 s[30:31], s[16:17], s[14:15]
	s_andn2_b64 exec, exec, s[44:45]
	s_cbranch_execz .LBB627_917
.LBB627_915:                            ; =>This Inner Loop Header: Depth=1
	global_load_ushort v25, v[0:1], off
	global_load_ushort v33, v[22:23], off
	s_or_b64 s[48:49], s[48:49], exec
	s_or_b64 s[50:51], s[50:51], exec
	s_waitcnt vmcnt(0)
	v_cmp_lt_i16_e32 vcc, v25, v33
	v_cmp_le_i16_e64 s[14:15], v25, v33
	v_cmp_eq_u16_e64 s[16:17], v25, v33
	s_and_saveexec_b64 s[56:57], s[16:17]
	s_cbranch_execz .LBB627_914
; %bb.916:                              ;   in Loop: Header=BB627_915 Depth=1
	s_add_u32 s54, s54, -1
	s_addc_u32 s55, s55, -1
	s_cmp_eq_u64 s[54:55], 0
	s_cselect_b64 s[16:17], -1, 0
	s_andn2_b64 s[50:51], s[50:51], exec
	s_and_b64 s[16:17], s[16:17], exec
	v_lshl_add_u64 v[0:1], v[0:1], 0, 2
	v_lshl_add_u64 v[22:23], v[22:23], 0, 2
	s_andn2_b64 s[48:49], s[48:49], exec
	s_or_b64 s[50:51], s[50:51], s[16:17]
	s_branch .LBB627_914
.LBB627_917:
	s_or_b64 exec, exec, s[44:45]
	s_and_saveexec_b64 s[14:15], s[46:47]
	s_xor_b64 s[14:15], exec, s[14:15]
; %bb.918:
	v_cndmask_b32_e64 v1, v11, v13, s[30:31]
	v_cndmask_b32_e64 v0, v10, v12, s[30:31]
	;; [unrolled: 1-line block ×4, first 2 shown]
	v_mov_b64_e32 v[10:11], v[0:1]
; %bb.919:
	s_or_b64 exec, exec, s[14:15]
.LBB627_920:
	s_or_b64 exec, exec, s[28:29]
	s_and_saveexec_b64 s[28:29], s[18:19]
	s_cbranch_execz .LBB627_929
; %bb.921:
	s_andn2_b64 vcc, exec, s[42:43]
	s_cbranch_vccnz .LBB627_929
; %bb.922:
	v_mul_lo_u32 v22, v9, s36
	v_mul_lo_u32 v23, v8, s37
	v_mad_u64_u32 v[0:1], s[14:15], v8, s36, 0
	v_add3_u32 v1, v1, v23, v22
	v_mul_lo_u32 v25, v7, s36
	v_mul_lo_u32 v33, v6, s37
	v_mad_u64_u32 v[22:23], s[14:15], v6, s36, 0
	v_add3_u32 v23, v23, v33, v25
	v_lshl_add_u64 v[0:1], v[0:1], 1, s[38:39]
	v_lshl_add_u64 v[22:23], v[22:23], 1, s[38:39]
	s_mov_b64 s[30:31], 0
	s_mov_b64 s[52:53], s[36:37]
                                        ; implicit-def: $sgpr18_sgpr19
                                        ; implicit-def: $sgpr44_sgpr45
                                        ; implicit-def: $sgpr48_sgpr49
                                        ; implicit-def: $sgpr46_sgpr47
                                        ; implicit-def: $sgpr50_sgpr51
	s_branch .LBB627_924
.LBB627_923:                            ;   in Loop: Header=BB627_924 Depth=1
	s_or_b64 exec, exec, s[54:55]
	s_and_b64 s[14:15], s[14:15], s[50:51]
	s_or_b64 s[14:15], vcc, s[14:15]
	s_and_b64 s[16:17], exec, s[48:49]
	s_or_b64 s[30:31], s[16:17], s[30:31]
	s_andn2_b64 s[16:17], s[50:51], exec
	s_and_b64 s[14:15], s[14:15], exec
	s_or_b64 s[50:51], s[16:17], s[14:15]
	s_andn2_b64 s[16:17], s[44:45], exec
	s_and_b64 s[44:45], s[46:47], exec
	s_or_b64 s[44:45], s[16:17], s[44:45]
	s_andn2_b64 s[16:17], s[18:19], exec
	s_or_b64 s[18:19], s[16:17], s[14:15]
	s_andn2_b64 exec, exec, s[30:31]
	s_cbranch_execz .LBB627_926
.LBB627_924:                            ; =>This Inner Loop Header: Depth=1
	global_load_ushort v25, v[0:1], off
	global_load_ushort v33, v[22:23], off
	s_or_b64 s[46:47], s[46:47], exec
	s_or_b64 s[48:49], s[48:49], exec
	s_waitcnt vmcnt(0)
	v_cmp_lt_i16_e32 vcc, v25, v33
	v_cmp_le_i16_e64 s[14:15], v25, v33
	v_cmp_eq_u16_e64 s[16:17], v25, v33
	s_and_saveexec_b64 s[54:55], s[16:17]
	s_cbranch_execz .LBB627_923
; %bb.925:                              ;   in Loop: Header=BB627_924 Depth=1
	s_add_u32 s52, s52, -1
	s_addc_u32 s53, s53, -1
	s_cmp_eq_u64 s[52:53], 0
	s_cselect_b64 s[16:17], -1, 0
	s_andn2_b64 s[48:49], s[48:49], exec
	s_and_b64 s[16:17], s[16:17], exec
	v_lshl_add_u64 v[0:1], v[0:1], 0, 2
	v_lshl_add_u64 v[22:23], v[22:23], 0, 2
	s_andn2_b64 s[46:47], s[46:47], exec
	s_or_b64 s[48:49], s[48:49], s[16:17]
	s_branch .LBB627_923
.LBB627_926:
	s_or_b64 exec, exec, s[30:31]
	s_and_saveexec_b64 s[14:15], s[44:45]
	s_xor_b64 s[14:15], exec, s[14:15]
; %bb.927:
	v_cndmask_b32_e64 v1, v7, v9, s[18:19]
	v_cndmask_b32_e64 v0, v6, v8, s[18:19]
	;; [unrolled: 1-line block ×4, first 2 shown]
	v_mov_b64_e32 v[6:7], v[0:1]
; %bb.928:
	s_or_b64 exec, exec, s[14:15]
.LBB627_929:
	s_or_b64 exec, exec, s[28:29]
	s_and_saveexec_b64 s[18:19], s[20:21]
	s_cbranch_execz .LBB627_938
; %bb.930:
	s_andn2_b64 vcc, exec, s[42:43]
	s_cbranch_vccnz .LBB627_938
; %bb.931:
	v_mul_lo_u32 v22, v5, s36
	v_mul_lo_u32 v23, v4, s37
	v_mad_u64_u32 v[0:1], s[14:15], v4, s36, 0
	v_add3_u32 v1, v1, v23, v22
	v_mul_lo_u32 v25, v3, s36
	v_mul_lo_u32 v33, v2, s37
	v_mad_u64_u32 v[22:23], s[14:15], v2, s36, 0
	v_add3_u32 v23, v23, v33, v25
	v_lshl_add_u64 v[0:1], v[0:1], 1, s[38:39]
	v_lshl_add_u64 v[22:23], v[22:23], 1, s[38:39]
	s_mov_b64 s[28:29], 0
	s_mov_b64 s[50:51], s[36:37]
                                        ; implicit-def: $sgpr20_sgpr21
                                        ; implicit-def: $sgpr30_sgpr31
                                        ; implicit-def: $sgpr46_sgpr47
                                        ; implicit-def: $sgpr44_sgpr45
                                        ; implicit-def: $sgpr48_sgpr49
	s_branch .LBB627_933
.LBB627_932:                            ;   in Loop: Header=BB627_933 Depth=1
	s_or_b64 exec, exec, s[52:53]
	s_and_b64 s[14:15], s[14:15], s[48:49]
	s_or_b64 s[14:15], vcc, s[14:15]
	s_and_b64 s[16:17], exec, s[46:47]
	s_or_b64 s[28:29], s[16:17], s[28:29]
	s_andn2_b64 s[16:17], s[48:49], exec
	s_and_b64 s[14:15], s[14:15], exec
	s_or_b64 s[48:49], s[16:17], s[14:15]
	s_andn2_b64 s[16:17], s[30:31], exec
	s_and_b64 s[30:31], s[44:45], exec
	s_or_b64 s[30:31], s[16:17], s[30:31]
	s_andn2_b64 s[16:17], s[20:21], exec
	s_or_b64 s[20:21], s[16:17], s[14:15]
	s_andn2_b64 exec, exec, s[28:29]
	s_cbranch_execz .LBB627_935
.LBB627_933:                            ; =>This Inner Loop Header: Depth=1
	global_load_ushort v25, v[0:1], off
	global_load_ushort v33, v[22:23], off
	s_or_b64 s[44:45], s[44:45], exec
	s_or_b64 s[46:47], s[46:47], exec
	s_waitcnt vmcnt(0)
	v_cmp_lt_i16_e32 vcc, v25, v33
	v_cmp_le_i16_e64 s[14:15], v25, v33
	v_cmp_eq_u16_e64 s[16:17], v25, v33
	s_and_saveexec_b64 s[52:53], s[16:17]
	s_cbranch_execz .LBB627_932
; %bb.934:                              ;   in Loop: Header=BB627_933 Depth=1
	s_add_u32 s50, s50, -1
	s_addc_u32 s51, s51, -1
	s_cmp_eq_u64 s[50:51], 0
	s_cselect_b64 s[16:17], -1, 0
	s_andn2_b64 s[46:47], s[46:47], exec
	s_and_b64 s[16:17], s[16:17], exec
	v_lshl_add_u64 v[0:1], v[0:1], 0, 2
	v_lshl_add_u64 v[22:23], v[22:23], 0, 2
	s_andn2_b64 s[44:45], s[44:45], exec
	s_or_b64 s[46:47], s[46:47], s[16:17]
	s_branch .LBB627_932
.LBB627_935:
	s_or_b64 exec, exec, s[28:29]
	s_and_saveexec_b64 s[14:15], s[30:31]
	s_xor_b64 s[14:15], exec, s[14:15]
; %bb.936:
	v_cndmask_b32_e64 v1, v3, v5, s[20:21]
	v_cndmask_b32_e64 v0, v2, v4, s[20:21]
	;; [unrolled: 1-line block ×4, first 2 shown]
	v_mov_b64_e32 v[2:3], v[0:1]
; %bb.937:
	s_or_b64 exec, exec, s[14:15]
.LBB627_938:
	s_or_b64 exec, exec, s[18:19]
	s_and_saveexec_b64 s[18:19], s[22:23]
	s_cbranch_execz .LBB627_947
; %bb.939:
	s_andn2_b64 vcc, exec, s[42:43]
	s_cbranch_vccnz .LBB627_947
; %bb.940:
	v_mul_lo_u32 v22, v11, s36
	v_mul_lo_u32 v23, v10, s37
	v_mad_u64_u32 v[0:1], s[14:15], v10, s36, 0
	v_add3_u32 v1, v1, v23, v22
	v_mul_lo_u32 v25, v17, s36
	v_mul_lo_u32 v33, v16, s37
	v_mad_u64_u32 v[22:23], s[14:15], v16, s36, 0
	v_add3_u32 v23, v23, v33, v25
	v_lshl_add_u64 v[0:1], v[0:1], 1, s[38:39]
	v_lshl_add_u64 v[22:23], v[22:23], 1, s[38:39]
	s_mov_b64 s[22:23], 0
	s_mov_b64 s[48:49], s[36:37]
                                        ; implicit-def: $sgpr20_sgpr21
                                        ; implicit-def: $sgpr28_sgpr29
                                        ; implicit-def: $sgpr44_sgpr45
                                        ; implicit-def: $sgpr30_sgpr31
                                        ; implicit-def: $sgpr46_sgpr47
	s_branch .LBB627_942
.LBB627_941:                            ;   in Loop: Header=BB627_942 Depth=1
	s_or_b64 exec, exec, s[50:51]
	s_and_b64 s[14:15], s[14:15], s[46:47]
	s_or_b64 s[14:15], vcc, s[14:15]
	s_and_b64 s[16:17], exec, s[44:45]
	s_or_b64 s[22:23], s[16:17], s[22:23]
	s_andn2_b64 s[16:17], s[46:47], exec
	s_and_b64 s[14:15], s[14:15], exec
	s_or_b64 s[46:47], s[16:17], s[14:15]
	s_andn2_b64 s[16:17], s[28:29], exec
	s_and_b64 s[28:29], s[30:31], exec
	s_or_b64 s[28:29], s[16:17], s[28:29]
	s_andn2_b64 s[16:17], s[20:21], exec
	s_or_b64 s[20:21], s[16:17], s[14:15]
	s_andn2_b64 exec, exec, s[22:23]
	s_cbranch_execz .LBB627_944
.LBB627_942:                            ; =>This Inner Loop Header: Depth=1
	global_load_ushort v25, v[0:1], off
	global_load_ushort v33, v[22:23], off
	s_or_b64 s[30:31], s[30:31], exec
	s_or_b64 s[44:45], s[44:45], exec
	s_waitcnt vmcnt(0)
	v_cmp_lt_i16_e32 vcc, v25, v33
	v_cmp_le_i16_e64 s[14:15], v25, v33
	v_cmp_eq_u16_e64 s[16:17], v25, v33
	s_and_saveexec_b64 s[50:51], s[16:17]
	s_cbranch_execz .LBB627_941
; %bb.943:                              ;   in Loop: Header=BB627_942 Depth=1
	s_add_u32 s48, s48, -1
	s_addc_u32 s49, s49, -1
	s_cmp_eq_u64 s[48:49], 0
	s_cselect_b64 s[16:17], -1, 0
	s_andn2_b64 s[44:45], s[44:45], exec
	s_and_b64 s[16:17], s[16:17], exec
	v_lshl_add_u64 v[0:1], v[0:1], 0, 2
	v_lshl_add_u64 v[22:23], v[22:23], 0, 2
	s_andn2_b64 s[30:31], s[30:31], exec
	s_or_b64 s[44:45], s[44:45], s[16:17]
	s_branch .LBB627_941
.LBB627_944:
	s_or_b64 exec, exec, s[22:23]
	s_and_saveexec_b64 s[14:15], s[28:29]
	s_xor_b64 s[14:15], exec, s[14:15]
; %bb.945:
	v_cndmask_b32_e64 v1, v17, v11, s[20:21]
	v_cndmask_b32_e64 v0, v16, v10, s[20:21]
	;; [unrolled: 1-line block ×4, first 2 shown]
	v_mov_b64_e32 v[16:17], v[0:1]
; %bb.946:
	s_or_b64 exec, exec, s[14:15]
.LBB627_947:
	s_or_b64 exec, exec, s[18:19]
	s_and_saveexec_b64 s[18:19], s[24:25]
	s_cbranch_execz .LBB627_956
; %bb.948:
	s_andn2_b64 vcc, exec, s[42:43]
	s_cbranch_vccnz .LBB627_956
; %bb.949:
	v_mul_lo_u32 v22, v7, s36
	v_mul_lo_u32 v23, v6, s37
	v_mad_u64_u32 v[0:1], s[14:15], v6, s36, 0
	v_add3_u32 v1, v1, v23, v22
	v_mul_lo_u32 v25, v13, s36
	v_mul_lo_u32 v33, v12, s37
	v_mad_u64_u32 v[22:23], s[14:15], v12, s36, 0
	v_add3_u32 v23, v23, v33, v25
	v_lshl_add_u64 v[0:1], v[0:1], 1, s[38:39]
	v_lshl_add_u64 v[22:23], v[22:23], 1, s[38:39]
	s_mov_b64 s[22:23], 0
	s_mov_b64 s[46:47], s[36:37]
                                        ; implicit-def: $sgpr20_sgpr21
                                        ; implicit-def: $sgpr24_sgpr25
                                        ; implicit-def: $sgpr30_sgpr31
                                        ; implicit-def: $sgpr28_sgpr29
                                        ; implicit-def: $sgpr44_sgpr45
	s_branch .LBB627_951
.LBB627_950:                            ;   in Loop: Header=BB627_951 Depth=1
	s_or_b64 exec, exec, s[48:49]
	s_and_b64 s[14:15], s[14:15], s[44:45]
	s_or_b64 s[14:15], vcc, s[14:15]
	s_and_b64 s[16:17], exec, s[30:31]
	s_or_b64 s[22:23], s[16:17], s[22:23]
	s_andn2_b64 s[16:17], s[44:45], exec
	s_and_b64 s[14:15], s[14:15], exec
	s_or_b64 s[44:45], s[16:17], s[14:15]
	s_andn2_b64 s[16:17], s[24:25], exec
	s_and_b64 s[24:25], s[28:29], exec
	s_or_b64 s[24:25], s[16:17], s[24:25]
	s_andn2_b64 s[16:17], s[20:21], exec
	s_or_b64 s[20:21], s[16:17], s[14:15]
	s_andn2_b64 exec, exec, s[22:23]
	s_cbranch_execz .LBB627_953
.LBB627_951:                            ; =>This Inner Loop Header: Depth=1
	global_load_ushort v25, v[0:1], off
	global_load_ushort v33, v[22:23], off
	s_or_b64 s[28:29], s[28:29], exec
	s_or_b64 s[30:31], s[30:31], exec
	s_waitcnt vmcnt(0)
	v_cmp_lt_i16_e32 vcc, v25, v33
	v_cmp_le_i16_e64 s[14:15], v25, v33
	v_cmp_eq_u16_e64 s[16:17], v25, v33
	s_and_saveexec_b64 s[48:49], s[16:17]
	s_cbranch_execz .LBB627_950
; %bb.952:                              ;   in Loop: Header=BB627_951 Depth=1
	s_add_u32 s46, s46, -1
	s_addc_u32 s47, s47, -1
	s_cmp_eq_u64 s[46:47], 0
	s_cselect_b64 s[16:17], -1, 0
	s_andn2_b64 s[30:31], s[30:31], exec
	s_and_b64 s[16:17], s[16:17], exec
	v_lshl_add_u64 v[0:1], v[0:1], 0, 2
	v_lshl_add_u64 v[22:23], v[22:23], 0, 2
	s_andn2_b64 s[28:29], s[28:29], exec
	s_or_b64 s[30:31], s[30:31], s[16:17]
	s_branch .LBB627_950
.LBB627_953:
	s_or_b64 exec, exec, s[22:23]
	s_and_saveexec_b64 s[14:15], s[24:25]
	s_xor_b64 s[14:15], exec, s[14:15]
; %bb.954:
	v_cndmask_b32_e64 v1, v13, v7, s[20:21]
	v_cndmask_b32_e64 v0, v12, v6, s[20:21]
	;; [unrolled: 1-line block ×4, first 2 shown]
	v_mov_b64_e32 v[12:13], v[0:1]
; %bb.955:
	s_or_b64 exec, exec, s[14:15]
.LBB627_956:
	s_or_b64 exec, exec, s[18:19]
	s_and_saveexec_b64 s[18:19], s[26:27]
	s_cbranch_execz .LBB627_965
; %bb.957:
	s_andn2_b64 vcc, exec, s[42:43]
	s_cbranch_vccnz .LBB627_965
; %bb.958:
	v_mul_lo_u32 v22, v3, s36
	v_mul_lo_u32 v23, v2, s37
	v_mad_u64_u32 v[0:1], s[14:15], v2, s36, 0
	v_add3_u32 v1, v1, v23, v22
	v_mul_lo_u32 v25, v9, s36
	v_mul_lo_u32 v33, v8, s37
	v_mad_u64_u32 v[22:23], s[14:15], v8, s36, 0
	v_add3_u32 v23, v23, v33, v25
	v_lshl_add_u64 v[0:1], v[0:1], 1, s[38:39]
	v_lshl_add_u64 v[22:23], v[22:23], 1, s[38:39]
	s_mov_b64 s[22:23], 0
	s_mov_b64 s[44:45], s[36:37]
                                        ; implicit-def: $sgpr20_sgpr21
                                        ; implicit-def: $sgpr24_sgpr25
                                        ; implicit-def: $sgpr28_sgpr29
                                        ; implicit-def: $sgpr26_sgpr27
                                        ; implicit-def: $sgpr30_sgpr31
	s_branch .LBB627_960
.LBB627_959:                            ;   in Loop: Header=BB627_960 Depth=1
	s_or_b64 exec, exec, s[46:47]
	s_and_b64 s[14:15], s[14:15], s[30:31]
	s_or_b64 s[14:15], vcc, s[14:15]
	s_and_b64 s[16:17], exec, s[28:29]
	s_or_b64 s[22:23], s[16:17], s[22:23]
	s_andn2_b64 s[16:17], s[30:31], exec
	s_and_b64 s[14:15], s[14:15], exec
	s_or_b64 s[30:31], s[16:17], s[14:15]
	s_andn2_b64 s[16:17], s[24:25], exec
	s_and_b64 s[24:25], s[26:27], exec
	s_or_b64 s[24:25], s[16:17], s[24:25]
	s_andn2_b64 s[16:17], s[20:21], exec
	s_or_b64 s[20:21], s[16:17], s[14:15]
	s_andn2_b64 exec, exec, s[22:23]
	s_cbranch_execz .LBB627_962
.LBB627_960:                            ; =>This Inner Loop Header: Depth=1
	global_load_ushort v25, v[0:1], off
	global_load_ushort v33, v[22:23], off
	s_or_b64 s[26:27], s[26:27], exec
	s_or_b64 s[28:29], s[28:29], exec
	s_waitcnt vmcnt(0)
	v_cmp_lt_i16_e32 vcc, v25, v33
	v_cmp_le_i16_e64 s[14:15], v25, v33
	v_cmp_eq_u16_e64 s[16:17], v25, v33
	s_and_saveexec_b64 s[46:47], s[16:17]
	s_cbranch_execz .LBB627_959
; %bb.961:                              ;   in Loop: Header=BB627_960 Depth=1
	s_add_u32 s44, s44, -1
	s_addc_u32 s45, s45, -1
	s_cmp_eq_u64 s[44:45], 0
	s_cselect_b64 s[16:17], -1, 0
	s_andn2_b64 s[28:29], s[28:29], exec
	s_and_b64 s[16:17], s[16:17], exec
	v_lshl_add_u64 v[0:1], v[0:1], 0, 2
	v_lshl_add_u64 v[22:23], v[22:23], 0, 2
	s_andn2_b64 s[26:27], s[26:27], exec
	s_or_b64 s[28:29], s[28:29], s[16:17]
	s_branch .LBB627_959
.LBB627_962:
	s_or_b64 exec, exec, s[22:23]
	s_and_saveexec_b64 s[14:15], s[24:25]
	s_xor_b64 s[14:15], exec, s[14:15]
; %bb.963:
	v_cndmask_b32_e64 v1, v9, v3, s[20:21]
	v_cndmask_b32_e64 v0, v8, v2, s[20:21]
	;; [unrolled: 1-line block ×4, first 2 shown]
	v_mov_b64_e32 v[8:9], v[0:1]
; %bb.964:
	s_or_b64 exec, exec, s[14:15]
.LBB627_965:
	s_or_b64 exec, exec, s[18:19]
	v_mbcnt_lo_u32_b32 v0, -1, 0
	v_mbcnt_hi_u32_b32 v0, -1, v0
	v_and_b32_e32 v1, 0xfffffe00, v24
	v_lshlrev_b32_e32 v33, 3, v1
	v_lshlrev_b32_e32 v35, 3, v0
	v_sub_u32_e64 v34, s33, v1 clamp
	v_lshl_add_u32 v36, v0, 6, v33
	v_or_b32_e32 v0, 8, v35
	v_min_u32_e32 v24, v34, v0
	v_add_u32_e32 v0, 8, v24
	v_and_b32_e32 v39, 0x3f0, v35
	v_min_u32_e32 v25, v34, v0
	v_and_b32_e32 v0, 8, v35
	v_min_u32_e32 v40, v34, v0
	v_sub_u32_e32 v0, v24, v39
	v_sub_u32_e32 v1, v25, v24
	v_sub_u32_e64 v38, v40, v1 clamp
	v_min_u32_e32 v41, v40, v0
	v_lshl_add_u32 v37, v39, 3, v33
	v_cmp_lt_u32_e32 vcc, v38, v41
	ds_write_b128 v36, v[14:17]
	ds_write_b128 v36, v[10:13] offset:16
	ds_write_b128 v36, v[6:9] offset:32
	ds_write_b128 v36, v[2:5] offset:48
	; wave barrier
	s_and_saveexec_b64 s[20:21], vcc
	s_cbranch_execz .LBB627_975
; %bb.966:
	v_lshlrev_b32_e32 v0, 3, v24
	v_lshlrev_b32_e32 v1, 3, v40
	v_add3_u32 v42, v33, v0, v1
	v_cndmask_b32_e64 v0, 0, 1, s[42:43]
	s_lshl_b64 s[24:25], s[36:37], 1
	s_mov_b64 s[22:23], 0
	v_cmp_ne_u32_e64 s[14:15], 1, v0
	s_branch .LBB627_969
.LBB627_967:                            ;   in Loop: Header=BB627_969 Depth=1
	s_or_b64 exec, exec, s[28:29]
.LBB627_968:                            ;   in Loop: Header=BB627_969 Depth=1
	v_add_u32_e32 v0, 1, v43
	v_cndmask_b32_e64 v41, v41, v43, s[26:27]
	v_cndmask_b32_e64 v38, v0, v38, s[26:27]
	v_cmp_ge_u32_e32 vcc, v38, v41
	s_or_b64 s[22:23], vcc, s[22:23]
	s_andn2_b64 exec, exec, s[22:23]
	s_cbranch_execz .LBB627_974
.LBB627_969:                            ; =>This Loop Header: Depth=1
                                        ;     Child Loop BB627_972 Depth 2
	v_add_u32_e32 v0, v41, v38
	v_lshrrev_b32_e32 v43, 1, v0
	s_and_b64 vcc, exec, s[14:15]
	s_mov_b64 s[26:27], 0
	s_cbranch_vccnz .LBB627_968
; %bb.970:                              ;   in Loop: Header=BB627_969 Depth=1
	v_not_b32_e32 v0, v43
	v_lshl_add_u32 v0, v0, 3, v42
	ds_read_b64 v[0:1], v0
	v_lshl_add_u32 v44, v43, 3, v37
	ds_read_b64 v[44:45], v44
	v_mov_b64_e32 v[22:23], s[38:39]
	s_mov_b64 s[28:29], 0
	s_waitcnt lgkmcnt(1)
	v_mul_lo_u32 v46, s24, v1
	v_mul_lo_u32 v47, s25, v0
	v_mad_u64_u32 v[0:1], s[16:17], s24, v0, v[22:23]
	v_add3_u32 v1, v47, v1, v46
	s_waitcnt lgkmcnt(0)
	v_mul_lo_u32 v45, s24, v45
	v_mul_lo_u32 v46, s25, v44
	v_mad_u64_u32 v[22:23], s[16:17], s24, v44, v[22:23]
	v_add3_u32 v23, v46, v23, v45
	s_mov_b64 s[44:45], s[36:37]
                                        ; implicit-def: $sgpr26_sgpr27
                                        ; implicit-def: $sgpr30_sgpr31
                                        ; implicit-def: $sgpr16_sgpr17
                                        ; implicit-def: $sgpr46_sgpr47
	s_branch .LBB627_972
.LBB627_971:                            ;   in Loop: Header=BB627_972 Depth=2
	s_or_b64 exec, exec, s[50:51]
	s_and_b64 s[18:19], exec, s[30:31]
	s_or_b64 s[28:29], s[18:19], s[28:29]
	s_andn2_b64 s[18:19], s[46:47], exec
	s_and_b64 s[46:47], s[48:49], exec
	s_or_b64 s[46:47], s[18:19], s[46:47]
	s_andn2_b64 s[18:19], s[26:27], exec
	s_and_b64 s[26:27], s[16:17], exec
	s_or_b64 s[26:27], s[18:19], s[26:27]
	s_andn2_b64 exec, exec, s[28:29]
	s_cbranch_execz .LBB627_967
.LBB627_972:                            ;   Parent Loop BB627_969 Depth=1
                                        ; =>  This Inner Loop Header: Depth=2
	global_load_ushort v44, v[0:1], off
	global_load_ushort v45, v[22:23], off
	s_andn2_b64 s[50:51], s[16:17], exec
	s_or_b64 s[30:31], s[30:31], exec
	s_waitcnt vmcnt(0)
	v_cmp_le_i16_e64 s[16:17], v44, v45
	v_cmp_lt_i16_e32 vcc, v44, v45
	s_and_b64 s[16:17], s[16:17], s[46:47]
	s_or_b64 s[48:49], vcc, s[16:17]
	s_and_b64 s[16:17], s[48:49], exec
	v_cmp_eq_u16_e64 s[18:19], v44, v45
	s_or_b64 s[16:17], s[50:51], s[16:17]
	s_and_saveexec_b64 s[50:51], s[18:19]
	s_cbranch_execz .LBB627_971
; %bb.973:                              ;   in Loop: Header=BB627_972 Depth=2
	s_add_u32 s44, s44, -1
	s_addc_u32 s45, s45, -1
	s_cmp_eq_u64 s[44:45], 0
	s_cselect_b64 s[18:19], -1, 0
	s_andn2_b64 s[30:31], s[30:31], exec
	s_and_b64 s[18:19], s[18:19], exec
	v_lshl_add_u64 v[0:1], v[0:1], 0, 2
	v_lshl_add_u64 v[22:23], v[22:23], 0, 2
	s_andn2_b64 s[16:17], s[16:17], exec
	s_or_b64 s[30:31], s[30:31], s[18:19]
                                        ; implicit-def: $sgpr46_sgpr47
	s_branch .LBB627_971
.LBB627_974:
	s_or_b64 exec, exec, s[22:23]
.LBB627_975:
	s_or_b64 exec, exec, s[20:21]
	v_add_u32_e32 v0, v24, v40
	v_add_u32_e32 v23, v38, v39
	v_sub_u32_e32 v39, v0, v38
	v_cmp_le_u32_e32 vcc, v23, v24
	v_cmp_le_u32_e64 s[14:15], v39, v25
	s_or_b64 s[14:15], vcc, s[14:15]
	s_and_saveexec_b64 s[18:19], s[14:15]
	s_cbranch_execz .LBB627_1066
; %bb.976:
	v_cmp_ge_u32_e32 vcc, v23, v24
	v_cmp_lt_u32_e64 s[14:15], v23, v24
                                        ; implicit-def: $vgpr0_vgpr1
	s_and_saveexec_b64 s[16:17], s[14:15]
; %bb.977:
	v_lshl_add_u32 v0, v38, 3, v37
	ds_read_b64 v[0:1], v0
; %bb.978:
	s_or_b64 exec, exec, s[16:17]
	v_cmp_ge_u32_e64 s[20:21], v39, v25
	v_cmp_lt_u32_e64 s[14:15], v39, v25
                                        ; implicit-def: $vgpr2_vgpr3
	s_and_saveexec_b64 s[16:17], s[14:15]
; %bb.979:
	v_lshl_add_u32 v2, v39, 3, v33
	ds_read_b64 v[2:3], v2
; %bb.980:
	s_or_b64 exec, exec, s[16:17]
	s_nor_b64 s[14:15], vcc, s[20:21]
	s_and_saveexec_b64 s[22:23], s[14:15]
	s_cbranch_execz .LBB627_989
; %bb.981:
	s_andn2_b64 vcc, exec, s[42:43]
	s_cbranch_vccnz .LBB627_987
; %bb.982:
	s_waitcnt lgkmcnt(0)
	v_mul_lo_u32 v6, v3, s36
	v_mul_lo_u32 v7, v2, s37
	v_mad_u64_u32 v[4:5], s[14:15], v2, s36, 0
	v_add3_u32 v5, v5, v7, v6
	v_mul_lo_u32 v8, v1, s36
	v_mul_lo_u32 v9, v0, s37
	v_mad_u64_u32 v[6:7], s[14:15], v0, s36, 0
	v_add3_u32 v7, v7, v9, v8
	v_lshl_add_u64 v[4:5], v[4:5], 1, s[38:39]
	v_lshl_add_u64 v[6:7], v[6:7], 1, s[38:39]
	s_mov_b64 s[24:25], 0
	s_mov_b64 s[30:31], s[36:37]
                                        ; implicit-def: $sgpr26_sgpr27
                                        ; implicit-def: $sgpr28_sgpr29
                                        ; implicit-def: $sgpr14_sgpr15
                                        ; implicit-def: $sgpr44_sgpr45
	s_branch .LBB627_984
.LBB627_983:                            ;   in Loop: Header=BB627_984 Depth=1
	s_or_b64 exec, exec, s[48:49]
	s_and_b64 s[16:17], exec, s[28:29]
	s_or_b64 s[24:25], s[16:17], s[24:25]
	s_andn2_b64 s[16:17], s[44:45], exec
	s_and_b64 s[44:45], s[46:47], exec
	s_or_b64 s[44:45], s[16:17], s[44:45]
	s_andn2_b64 s[16:17], s[26:27], exec
	s_and_b64 s[26:27], s[14:15], exec
	s_or_b64 s[26:27], s[16:17], s[26:27]
	s_andn2_b64 exec, exec, s[24:25]
	s_cbranch_execz .LBB627_986
.LBB627_984:                            ; =>This Inner Loop Header: Depth=1
	global_load_ushort v8, v[4:5], off
	global_load_ushort v9, v[6:7], off
	s_andn2_b64 s[48:49], s[14:15], exec
	s_or_b64 s[28:29], s[28:29], exec
	s_waitcnt vmcnt(0)
	v_cmp_le_i16_e64 s[14:15], v8, v9
	v_cmp_lt_i16_e32 vcc, v8, v9
	s_and_b64 s[14:15], s[14:15], s[44:45]
	s_or_b64 s[46:47], vcc, s[14:15]
	s_and_b64 s[14:15], s[46:47], exec
	v_cmp_eq_u16_e64 s[16:17], v8, v9
	s_or_b64 s[14:15], s[48:49], s[14:15]
	s_and_saveexec_b64 s[48:49], s[16:17]
	s_cbranch_execz .LBB627_983
; %bb.985:                              ;   in Loop: Header=BB627_984 Depth=1
	s_add_u32 s30, s30, -1
	s_addc_u32 s31, s31, -1
	s_cmp_eq_u64 s[30:31], 0
	s_cselect_b64 s[16:17], -1, 0
	s_andn2_b64 s[28:29], s[28:29], exec
	s_and_b64 s[16:17], s[16:17], exec
	v_lshl_add_u64 v[4:5], v[4:5], 0, 2
	v_lshl_add_u64 v[6:7], v[6:7], 0, 2
	s_andn2_b64 s[14:15], s[14:15], exec
	s_or_b64 s[28:29], s[28:29], s[16:17]
                                        ; implicit-def: $sgpr44_sgpr45
	s_branch .LBB627_983
.LBB627_986:
	s_or_b64 exec, exec, s[24:25]
	s_xor_b64 s[14:15], s[26:27], -1
	s_branch .LBB627_988
.LBB627_987:
	s_mov_b64 s[14:15], -1
.LBB627_988:
	s_andn2_b64 s[16:17], s[20:21], exec
	s_and_b64 s[14:15], s[14:15], exec
	s_or_b64 s[20:21], s[16:17], s[14:15]
.LBB627_989:
	s_or_b64 exec, exec, s[22:23]
	v_cndmask_b32_e64 v4, v39, v23, s[20:21]
	v_cndmask_b32_e64 v5, v25, v24, s[20:21]
	v_add_u32_e32 v6, 1, v4
	v_add_u32_e32 v4, -1, v5
	v_min_u32_e32 v4, v6, v4
	v_lshl_add_u32 v4, v4, 3, v33
	ds_read_b64 v[4:5], v4
	v_cndmask_b32_e64 v8, v6, v39, s[20:21]
	v_cndmask_b32_e64 v9, v23, v6, s[20:21]
	v_cmp_lt_u32_e32 vcc, v8, v25
	s_mov_b64 s[24:25], -1
	s_waitcnt lgkmcnt(0)
	v_cndmask_b32_e64 v14, v5, v3, s[20:21]
	v_cndmask_b32_e64 v15, v4, v2, s[20:21]
	;; [unrolled: 1-line block ×4, first 2 shown]
	s_mov_b64 s[22:23], -1
	s_and_saveexec_b64 s[26:27], vcc
	s_cbranch_execz .LBB627_1000
; %bb.990:
	v_cmp_lt_u32_e32 vcc, v9, v24
	s_mov_b64 s[14:15], 0
	s_and_saveexec_b64 s[22:23], vcc
	s_cbranch_execz .LBB627_999
; %bb.991:
	s_andn2_b64 vcc, exec, s[42:43]
	s_cbranch_vccnz .LBB627_997
; %bb.992:
	v_mul_lo_u32 v6, v14, s36
	v_mul_lo_u32 v7, v15, s37
	v_mad_u64_u32 v[4:5], s[14:15], v15, s36, 0
	v_add3_u32 v5, v5, v7, v6
	v_mul_lo_u32 v10, v16, s36
	v_mul_lo_u32 v11, v22, s37
	v_mad_u64_u32 v[6:7], s[14:15], v22, s36, 0
	v_add3_u32 v7, v7, v11, v10
	v_lshl_add_u64 v[4:5], v[4:5], 1, s[38:39]
	v_lshl_add_u64 v[6:7], v[6:7], 1, s[38:39]
	s_mov_b64 s[28:29], 0
	s_mov_b64 s[46:47], s[36:37]
                                        ; implicit-def: $sgpr30_sgpr31
                                        ; implicit-def: $sgpr44_sgpr45
                                        ; implicit-def: $sgpr14_sgpr15
                                        ; implicit-def: $sgpr48_sgpr49
	s_branch .LBB627_994
.LBB627_993:                            ;   in Loop: Header=BB627_994 Depth=1
	s_or_b64 exec, exec, s[52:53]
	s_and_b64 s[16:17], exec, s[44:45]
	s_or_b64 s[28:29], s[16:17], s[28:29]
	s_andn2_b64 s[16:17], s[48:49], exec
	s_and_b64 s[48:49], s[50:51], exec
	s_or_b64 s[48:49], s[16:17], s[48:49]
	s_andn2_b64 s[16:17], s[30:31], exec
	s_and_b64 s[30:31], s[14:15], exec
	s_or_b64 s[30:31], s[16:17], s[30:31]
	s_andn2_b64 exec, exec, s[28:29]
	s_cbranch_execz .LBB627_996
.LBB627_994:                            ; =>This Inner Loop Header: Depth=1
	global_load_ushort v10, v[4:5], off
	global_load_ushort v11, v[6:7], off
	s_andn2_b64 s[52:53], s[14:15], exec
	s_or_b64 s[44:45], s[44:45], exec
	s_waitcnt vmcnt(0)
	v_cmp_le_i16_e64 s[14:15], v10, v11
	v_cmp_lt_i16_e32 vcc, v10, v11
	s_and_b64 s[14:15], s[14:15], s[48:49]
	s_or_b64 s[50:51], vcc, s[14:15]
	s_and_b64 s[14:15], s[50:51], exec
	v_cmp_eq_u16_e64 s[16:17], v10, v11
	s_or_b64 s[14:15], s[52:53], s[14:15]
	s_and_saveexec_b64 s[52:53], s[16:17]
	s_cbranch_execz .LBB627_993
; %bb.995:                              ;   in Loop: Header=BB627_994 Depth=1
	s_add_u32 s46, s46, -1
	s_addc_u32 s47, s47, -1
	s_cmp_eq_u64 s[46:47], 0
	s_cselect_b64 s[16:17], -1, 0
	s_andn2_b64 s[44:45], s[44:45], exec
	s_and_b64 s[16:17], s[16:17], exec
	v_lshl_add_u64 v[4:5], v[4:5], 0, 2
	v_lshl_add_u64 v[6:7], v[6:7], 0, 2
	s_andn2_b64 s[14:15], s[14:15], exec
	s_or_b64 s[44:45], s[44:45], s[16:17]
                                        ; implicit-def: $sgpr48_sgpr49
	s_branch .LBB627_993
.LBB627_996:
	s_or_b64 exec, exec, s[28:29]
	s_xor_b64 s[14:15], s[30:31], -1
	s_branch .LBB627_998
.LBB627_997:
	s_mov_b64 s[14:15], -1
.LBB627_998:
	s_and_b64 s[14:15], s[14:15], exec
.LBB627_999:
	s_or_b64 exec, exec, s[22:23]
	s_orn2_b64 s[22:23], s[14:15], exec
.LBB627_1000:
	s_or_b64 exec, exec, s[26:27]
	v_cndmask_b32_e64 v4, v8, v9, s[22:23]
	v_cndmask_b32_e64 v5, v25, v24, s[22:23]
	v_add_u32_e32 v6, 1, v4
	v_add_u32_e32 v4, -1, v5
	v_min_u32_e32 v4, v6, v4
	v_lshl_add_u32 v4, v4, 3, v33
	ds_read_b64 v[4:5], v4
	v_cndmask_b32_e64 v8, v6, v8, s[22:23]
	v_cndmask_b32_e64 v9, v9, v6, s[22:23]
	v_cmp_lt_u32_e32 vcc, v8, v25
	s_waitcnt lgkmcnt(0)
	v_cndmask_b32_e64 v10, v5, v14, s[22:23]
	v_cndmask_b32_e64 v17, v4, v15, s[22:23]
	;; [unrolled: 1-line block ×4, first 2 shown]
	s_and_saveexec_b64 s[26:27], vcc
	s_cbranch_execz .LBB627_1011
; %bb.1001:
	v_cmp_lt_u32_e32 vcc, v9, v24
	s_mov_b64 s[14:15], 0
	s_and_saveexec_b64 s[24:25], vcc
	s_cbranch_execz .LBB627_1010
; %bb.1002:
	s_andn2_b64 vcc, exec, s[42:43]
	s_cbranch_vccnz .LBB627_1008
; %bb.1003:
	v_mul_lo_u32 v6, v10, s36
	v_mul_lo_u32 v7, v17, s37
	v_mad_u64_u32 v[4:5], s[14:15], v17, s36, 0
	v_add3_u32 v5, v5, v7, v6
	v_mul_lo_u32 v12, v11, s36
	v_mul_lo_u32 v13, v23, s37
	v_mad_u64_u32 v[6:7], s[14:15], v23, s36, 0
	v_add3_u32 v7, v7, v13, v12
	v_lshl_add_u64 v[4:5], v[4:5], 1, s[38:39]
	v_lshl_add_u64 v[6:7], v[6:7], 1, s[38:39]
	s_mov_b64 s[28:29], 0
	s_mov_b64 s[46:47], s[36:37]
                                        ; implicit-def: $sgpr30_sgpr31
                                        ; implicit-def: $sgpr44_sgpr45
                                        ; implicit-def: $sgpr14_sgpr15
                                        ; implicit-def: $sgpr48_sgpr49
	s_branch .LBB627_1005
.LBB627_1004:                           ;   in Loop: Header=BB627_1005 Depth=1
	s_or_b64 exec, exec, s[52:53]
	s_and_b64 s[16:17], exec, s[44:45]
	s_or_b64 s[28:29], s[16:17], s[28:29]
	s_andn2_b64 s[16:17], s[48:49], exec
	s_and_b64 s[48:49], s[50:51], exec
	s_or_b64 s[48:49], s[16:17], s[48:49]
	s_andn2_b64 s[16:17], s[30:31], exec
	s_and_b64 s[30:31], s[14:15], exec
	s_or_b64 s[30:31], s[16:17], s[30:31]
	s_andn2_b64 exec, exec, s[28:29]
	s_cbranch_execz .LBB627_1007
.LBB627_1005:                           ; =>This Inner Loop Header: Depth=1
	global_load_ushort v12, v[4:5], off
	global_load_ushort v13, v[6:7], off
	s_andn2_b64 s[52:53], s[14:15], exec
	s_or_b64 s[44:45], s[44:45], exec
	s_waitcnt vmcnt(0)
	v_cmp_le_i16_e64 s[14:15], v12, v13
	v_cmp_lt_i16_e32 vcc, v12, v13
	s_and_b64 s[14:15], s[14:15], s[48:49]
	s_or_b64 s[50:51], vcc, s[14:15]
	s_and_b64 s[14:15], s[50:51], exec
	v_cmp_eq_u16_e64 s[16:17], v12, v13
	s_or_b64 s[14:15], s[52:53], s[14:15]
	s_and_saveexec_b64 s[52:53], s[16:17]
	s_cbranch_execz .LBB627_1004
; %bb.1006:                             ;   in Loop: Header=BB627_1005 Depth=1
	s_add_u32 s46, s46, -1
	s_addc_u32 s47, s47, -1
	s_cmp_eq_u64 s[46:47], 0
	s_cselect_b64 s[16:17], -1, 0
	s_andn2_b64 s[44:45], s[44:45], exec
	s_and_b64 s[16:17], s[16:17], exec
	v_lshl_add_u64 v[4:5], v[4:5], 0, 2
	v_lshl_add_u64 v[6:7], v[6:7], 0, 2
	s_andn2_b64 s[14:15], s[14:15], exec
	s_or_b64 s[44:45], s[44:45], s[16:17]
                                        ; implicit-def: $sgpr48_sgpr49
	s_branch .LBB627_1004
.LBB627_1007:
	s_or_b64 exec, exec, s[28:29]
	s_xor_b64 s[14:15], s[30:31], -1
	s_branch .LBB627_1009
.LBB627_1008:
	s_mov_b64 s[14:15], -1
.LBB627_1009:
	s_and_b64 s[14:15], s[14:15], exec
.LBB627_1010:
	s_or_b64 exec, exec, s[24:25]
	s_orn2_b64 s[24:25], s[14:15], exec
.LBB627_1011:
	s_or_b64 exec, exec, s[26:27]
	v_cndmask_b32_e64 v4, v8, v9, s[24:25]
	v_cndmask_b32_e64 v5, v25, v24, s[24:25]
	v_add_u32_e32 v6, 1, v4
	v_add_u32_e32 v4, -1, v5
	v_min_u32_e32 v4, v6, v4
	v_lshl_add_u32 v4, v4, 3, v33
	ds_read_b64 v[4:5], v4
	v_cndmask_b32_e64 v8, v6, v8, s[24:25]
	v_cndmask_b32_e64 v9, v9, v6, s[24:25]
	v_cmp_lt_u32_e32 vcc, v8, v25
	s_mov_b64 s[28:29], -1
	s_waitcnt lgkmcnt(0)
	v_cndmask_b32_e64 v12, v5, v10, s[24:25]
	v_cndmask_b32_e64 v37, v4, v17, s[24:25]
	;; [unrolled: 1-line block ×4, first 2 shown]
	s_mov_b64 s[26:27], -1
	s_and_saveexec_b64 s[30:31], vcc
	s_cbranch_execz .LBB627_1022
; %bb.1012:
	v_cmp_lt_u32_e32 vcc, v9, v24
	s_mov_b64 s[14:15], 0
	s_and_saveexec_b64 s[26:27], vcc
	s_cbranch_execz .LBB627_1021
; %bb.1013:
	s_andn2_b64 vcc, exec, s[42:43]
	s_cbranch_vccnz .LBB627_1019
; %bb.1014:
	v_mul_lo_u32 v6, v12, s36
	v_mul_lo_u32 v7, v37, s37
	v_mad_u64_u32 v[4:5], s[14:15], v37, s36, 0
	v_add3_u32 v5, v5, v7, v6
	v_mul_lo_u32 v39, v13, s36
	v_mul_lo_u32 v40, v38, s37
	v_mad_u64_u32 v[6:7], s[14:15], v38, s36, 0
	v_add3_u32 v7, v7, v40, v39
	v_lshl_add_u64 v[4:5], v[4:5], 1, s[38:39]
	v_lshl_add_u64 v[6:7], v[6:7], 1, s[38:39]
	s_mov_b64 s[44:45], 0
	s_mov_b64 s[50:51], s[36:37]
                                        ; implicit-def: $sgpr46_sgpr47
                                        ; implicit-def: $sgpr48_sgpr49
                                        ; implicit-def: $sgpr14_sgpr15
                                        ; implicit-def: $sgpr52_sgpr53
	s_branch .LBB627_1016
.LBB627_1015:                           ;   in Loop: Header=BB627_1016 Depth=1
	s_or_b64 exec, exec, s[56:57]
	s_and_b64 s[16:17], exec, s[48:49]
	s_or_b64 s[44:45], s[16:17], s[44:45]
	s_andn2_b64 s[16:17], s[52:53], exec
	s_and_b64 s[52:53], s[54:55], exec
	s_or_b64 s[52:53], s[16:17], s[52:53]
	s_andn2_b64 s[16:17], s[46:47], exec
	s_and_b64 s[46:47], s[14:15], exec
	s_or_b64 s[46:47], s[16:17], s[46:47]
	s_andn2_b64 exec, exec, s[44:45]
	s_cbranch_execz .LBB627_1018
.LBB627_1016:                           ; =>This Inner Loop Header: Depth=1
	global_load_ushort v39, v[4:5], off
	global_load_ushort v40, v[6:7], off
	s_andn2_b64 s[56:57], s[14:15], exec
	s_or_b64 s[48:49], s[48:49], exec
	s_waitcnt vmcnt(0)
	v_cmp_le_i16_e64 s[14:15], v39, v40
	v_cmp_lt_i16_e32 vcc, v39, v40
	s_and_b64 s[14:15], s[14:15], s[52:53]
	s_or_b64 s[54:55], vcc, s[14:15]
	s_and_b64 s[14:15], s[54:55], exec
	v_cmp_eq_u16_e64 s[16:17], v39, v40
	s_or_b64 s[14:15], s[56:57], s[14:15]
	s_and_saveexec_b64 s[56:57], s[16:17]
	s_cbranch_execz .LBB627_1015
; %bb.1017:                             ;   in Loop: Header=BB627_1016 Depth=1
	s_add_u32 s50, s50, -1
	s_addc_u32 s51, s51, -1
	s_cmp_eq_u64 s[50:51], 0
	s_cselect_b64 s[16:17], -1, 0
	s_andn2_b64 s[48:49], s[48:49], exec
	s_and_b64 s[16:17], s[16:17], exec
	v_lshl_add_u64 v[4:5], v[4:5], 0, 2
	v_lshl_add_u64 v[6:7], v[6:7], 0, 2
	s_andn2_b64 s[14:15], s[14:15], exec
	s_or_b64 s[48:49], s[48:49], s[16:17]
                                        ; implicit-def: $sgpr52_sgpr53
	s_branch .LBB627_1015
.LBB627_1018:
	s_or_b64 exec, exec, s[44:45]
	s_xor_b64 s[14:15], s[46:47], -1
	s_branch .LBB627_1020
.LBB627_1019:
	s_mov_b64 s[14:15], -1
.LBB627_1020:
	s_and_b64 s[14:15], s[14:15], exec
.LBB627_1021:
	s_or_b64 exec, exec, s[26:27]
	s_orn2_b64 s[26:27], s[14:15], exec
.LBB627_1022:
	s_or_b64 exec, exec, s[30:31]
	v_cndmask_b32_e64 v4, v8, v9, s[26:27]
	v_cndmask_b32_e64 v5, v25, v24, s[26:27]
	v_add_u32_e32 v6, 1, v4
	v_add_u32_e32 v4, -1, v5
	v_min_u32_e32 v4, v6, v4
	v_lshl_add_u32 v4, v4, 3, v33
	ds_read_b64 v[4:5], v4
	v_cndmask_b32_e64 v45, v6, v8, s[26:27]
	v_cndmask_b32_e64 v46, v9, v6, s[26:27]
	v_cmp_lt_u32_e32 vcc, v45, v25
	s_waitcnt lgkmcnt(0)
	v_cndmask_b32_e64 v39, v5, v12, s[26:27]
	v_cndmask_b32_e64 v40, v4, v37, s[26:27]
	;; [unrolled: 1-line block ×4, first 2 shown]
	s_and_saveexec_b64 s[30:31], vcc
	s_cbranch_execz .LBB627_1033
; %bb.1023:
	v_cmp_lt_u32_e32 vcc, v46, v24
	s_mov_b64 s[14:15], 0
	s_and_saveexec_b64 s[28:29], vcc
	s_cbranch_execz .LBB627_1032
; %bb.1024:
	s_andn2_b64 vcc, exec, s[42:43]
	s_cbranch_vccnz .LBB627_1030
; %bb.1025:
	v_mul_lo_u32 v6, v39, s36
	v_mul_lo_u32 v7, v40, s37
	v_mad_u64_u32 v[4:5], s[14:15], v40, s36, 0
	v_add3_u32 v5, v5, v7, v6
	v_mul_lo_u32 v8, v41, s36
	v_mul_lo_u32 v9, v42, s37
	v_mad_u64_u32 v[6:7], s[14:15], v42, s36, 0
	v_add3_u32 v7, v7, v9, v8
	v_lshl_add_u64 v[4:5], v[4:5], 1, s[38:39]
	v_lshl_add_u64 v[6:7], v[6:7], 1, s[38:39]
	s_mov_b64 s[44:45], 0
	s_mov_b64 s[50:51], s[36:37]
                                        ; implicit-def: $sgpr46_sgpr47
                                        ; implicit-def: $sgpr48_sgpr49
                                        ; implicit-def: $sgpr14_sgpr15
                                        ; implicit-def: $sgpr52_sgpr53
	s_branch .LBB627_1027
.LBB627_1026:                           ;   in Loop: Header=BB627_1027 Depth=1
	s_or_b64 exec, exec, s[56:57]
	s_and_b64 s[16:17], exec, s[48:49]
	s_or_b64 s[44:45], s[16:17], s[44:45]
	s_andn2_b64 s[16:17], s[52:53], exec
	s_and_b64 s[52:53], s[54:55], exec
	s_or_b64 s[52:53], s[16:17], s[52:53]
	s_andn2_b64 s[16:17], s[46:47], exec
	s_and_b64 s[46:47], s[14:15], exec
	s_or_b64 s[46:47], s[16:17], s[46:47]
	s_andn2_b64 exec, exec, s[44:45]
	s_cbranch_execz .LBB627_1029
.LBB627_1027:                           ; =>This Inner Loop Header: Depth=1
	global_load_ushort v8, v[4:5], off
	global_load_ushort v9, v[6:7], off
	s_andn2_b64 s[56:57], s[14:15], exec
	s_or_b64 s[48:49], s[48:49], exec
	s_waitcnt vmcnt(0)
	v_cmp_le_i16_e64 s[14:15], v8, v9
	v_cmp_lt_i16_e32 vcc, v8, v9
	s_and_b64 s[14:15], s[14:15], s[52:53]
	s_or_b64 s[54:55], vcc, s[14:15]
	s_and_b64 s[14:15], s[54:55], exec
	v_cmp_eq_u16_e64 s[16:17], v8, v9
	s_or_b64 s[14:15], s[56:57], s[14:15]
	s_and_saveexec_b64 s[56:57], s[16:17]
	s_cbranch_execz .LBB627_1026
; %bb.1028:                             ;   in Loop: Header=BB627_1027 Depth=1
	s_add_u32 s50, s50, -1
	s_addc_u32 s51, s51, -1
	s_cmp_eq_u64 s[50:51], 0
	s_cselect_b64 s[16:17], -1, 0
	s_andn2_b64 s[48:49], s[48:49], exec
	s_and_b64 s[16:17], s[16:17], exec
	v_lshl_add_u64 v[4:5], v[4:5], 0, 2
	v_lshl_add_u64 v[6:7], v[6:7], 0, 2
	s_andn2_b64 s[14:15], s[14:15], exec
	s_or_b64 s[48:49], s[48:49], s[16:17]
                                        ; implicit-def: $sgpr52_sgpr53
	s_branch .LBB627_1026
.LBB627_1029:
	s_or_b64 exec, exec, s[44:45]
	s_xor_b64 s[14:15], s[46:47], -1
	s_branch .LBB627_1031
.LBB627_1030:
	s_mov_b64 s[14:15], -1
.LBB627_1031:
	s_and_b64 s[14:15], s[14:15], exec
.LBB627_1032:
	s_or_b64 exec, exec, s[28:29]
	s_orn2_b64 s[28:29], s[14:15], exec
.LBB627_1033:
	s_or_b64 exec, exec, s[30:31]
	v_cndmask_b32_e64 v4, v45, v46, s[28:29]
	v_cndmask_b32_e64 v5, v25, v24, s[28:29]
	v_add_u32_e32 v6, 1, v4
	v_add_u32_e32 v4, -1, v5
	v_min_u32_e32 v4, v6, v4
	v_lshl_add_u32 v4, v4, 3, v33
	ds_read_b64 v[4:5], v4
	v_cndmask_b32_e64 v47, v6, v45, s[28:29]
	v_cndmask_b32_e64 v51, v46, v6, s[28:29]
	v_cmp_lt_u32_e32 vcc, v47, v25
	s_mov_b64 s[30:31], -1
	s_waitcnt lgkmcnt(0)
	v_cndmask_b32_e64 v8, v5, v39, s[28:29]
	v_cndmask_b32_e64 v43, v4, v40, s[28:29]
	;; [unrolled: 1-line block ×4, first 2 shown]
	s_mov_b64 s[44:45], -1
	s_and_saveexec_b64 s[46:47], vcc
	s_cbranch_execz .LBB627_1044
; %bb.1034:
	v_cmp_lt_u32_e32 vcc, v51, v24
	s_mov_b64 s[14:15], 0
	s_and_saveexec_b64 s[44:45], vcc
	s_cbranch_execz .LBB627_1043
; %bb.1035:
	s_andn2_b64 vcc, exec, s[42:43]
	s_cbranch_vccnz .LBB627_1041
; %bb.1036:
	v_mul_lo_u32 v6, v8, s36
	v_mul_lo_u32 v7, v43, s37
	v_mad_u64_u32 v[4:5], s[14:15], v43, s36, 0
	v_add3_u32 v5, v5, v7, v6
	v_mul_lo_u32 v45, v9, s36
	v_mul_lo_u32 v46, v44, s37
	v_mad_u64_u32 v[6:7], s[14:15], v44, s36, 0
	v_add3_u32 v7, v7, v46, v45
	v_lshl_add_u64 v[4:5], v[4:5], 1, s[38:39]
	v_lshl_add_u64 v[6:7], v[6:7], 1, s[38:39]
	s_mov_b64 s[48:49], 0
	s_mov_b64 s[54:55], s[36:37]
                                        ; implicit-def: $sgpr50_sgpr51
                                        ; implicit-def: $sgpr52_sgpr53
                                        ; implicit-def: $sgpr14_sgpr15
                                        ; implicit-def: $sgpr56_sgpr57
	s_branch .LBB627_1038
.LBB627_1037:                           ;   in Loop: Header=BB627_1038 Depth=1
	s_or_b64 exec, exec, s[60:61]
	s_and_b64 s[16:17], exec, s[52:53]
	s_or_b64 s[48:49], s[16:17], s[48:49]
	s_andn2_b64 s[16:17], s[56:57], exec
	s_and_b64 s[56:57], s[58:59], exec
	s_or_b64 s[56:57], s[16:17], s[56:57]
	s_andn2_b64 s[16:17], s[50:51], exec
	s_and_b64 s[50:51], s[14:15], exec
	s_or_b64 s[50:51], s[16:17], s[50:51]
	s_andn2_b64 exec, exec, s[48:49]
	s_cbranch_execz .LBB627_1040
.LBB627_1038:                           ; =>This Inner Loop Header: Depth=1
	global_load_ushort v45, v[4:5], off
	global_load_ushort v46, v[6:7], off
	s_andn2_b64 s[60:61], s[14:15], exec
	s_or_b64 s[52:53], s[52:53], exec
	s_waitcnt vmcnt(0)
	v_cmp_le_i16_e64 s[14:15], v45, v46
	v_cmp_lt_i16_e32 vcc, v45, v46
	s_and_b64 s[14:15], s[14:15], s[56:57]
	s_or_b64 s[58:59], vcc, s[14:15]
	s_and_b64 s[14:15], s[58:59], exec
	v_cmp_eq_u16_e64 s[16:17], v45, v46
	s_or_b64 s[14:15], s[60:61], s[14:15]
	s_and_saveexec_b64 s[60:61], s[16:17]
	s_cbranch_execz .LBB627_1037
; %bb.1039:                             ;   in Loop: Header=BB627_1038 Depth=1
	s_add_u32 s54, s54, -1
	s_addc_u32 s55, s55, -1
	s_cmp_eq_u64 s[54:55], 0
	s_cselect_b64 s[16:17], -1, 0
	s_andn2_b64 s[52:53], s[52:53], exec
	s_and_b64 s[16:17], s[16:17], exec
	v_lshl_add_u64 v[4:5], v[4:5], 0, 2
	v_lshl_add_u64 v[6:7], v[6:7], 0, 2
	s_andn2_b64 s[14:15], s[14:15], exec
	s_or_b64 s[52:53], s[52:53], s[16:17]
                                        ; implicit-def: $sgpr56_sgpr57
	s_branch .LBB627_1037
.LBB627_1040:
	s_or_b64 exec, exec, s[48:49]
	s_xor_b64 s[14:15], s[50:51], -1
	s_branch .LBB627_1042
.LBB627_1041:
	s_mov_b64 s[14:15], -1
.LBB627_1042:
	s_and_b64 s[14:15], s[14:15], exec
.LBB627_1043:
	s_or_b64 exec, exec, s[44:45]
	s_orn2_b64 s[44:45], s[14:15], exec
.LBB627_1044:
	s_or_b64 exec, exec, s[46:47]
	v_cndmask_b32_e64 v4, v47, v51, s[44:45]
	v_cndmask_b32_e64 v5, v25, v24, s[44:45]
	v_add_u32_e32 v6, 1, v4
	v_add_u32_e32 v4, -1, v5
	v_min_u32_e32 v4, v6, v4
	v_lshl_add_u32 v4, v4, 3, v33
	ds_read_b64 v[4:5], v4
	v_cndmask_b32_e64 v48, v6, v47, s[44:45]
	v_cndmask_b32_e64 v47, v51, v6, s[44:45]
	v_cmp_lt_u32_e32 vcc, v48, v25
	s_waitcnt lgkmcnt(0)
	v_cndmask_b32_e64 v45, v5, v8, s[44:45]
	v_cndmask_b32_e64 v46, v4, v43, s[44:45]
	;; [unrolled: 1-line block ×4, first 2 shown]
	s_and_saveexec_b64 s[46:47], vcc
	s_cbranch_execz .LBB627_1055
; %bb.1045:
	v_cmp_lt_u32_e32 vcc, v47, v24
	s_mov_b64 s[14:15], 0
	s_and_saveexec_b64 s[30:31], vcc
	s_cbranch_execz .LBB627_1054
; %bb.1046:
	s_andn2_b64 vcc, exec, s[42:43]
	s_cbranch_vccnz .LBB627_1052
; %bb.1047:
	v_mul_lo_u32 v6, v45, s36
	v_mul_lo_u32 v7, v46, s37
	v_mad_u64_u32 v[4:5], s[14:15], v46, s36, 0
	v_add3_u32 v5, v5, v7, v6
	v_mul_lo_u32 v51, v49, s36
	v_mul_lo_u32 v52, v50, s37
	v_mad_u64_u32 v[6:7], s[14:15], v50, s36, 0
	v_add3_u32 v7, v7, v52, v51
	v_lshl_add_u64 v[4:5], v[4:5], 1, s[38:39]
	v_lshl_add_u64 v[6:7], v[6:7], 1, s[38:39]
	s_mov_b64 s[48:49], 0
	s_mov_b64 s[54:55], s[36:37]
                                        ; implicit-def: $sgpr50_sgpr51
                                        ; implicit-def: $sgpr52_sgpr53
                                        ; implicit-def: $sgpr14_sgpr15
                                        ; implicit-def: $sgpr56_sgpr57
	s_branch .LBB627_1049
.LBB627_1048:                           ;   in Loop: Header=BB627_1049 Depth=1
	s_or_b64 exec, exec, s[60:61]
	s_and_b64 s[16:17], exec, s[52:53]
	s_or_b64 s[48:49], s[16:17], s[48:49]
	s_andn2_b64 s[16:17], s[56:57], exec
	s_and_b64 s[56:57], s[58:59], exec
	s_or_b64 s[56:57], s[16:17], s[56:57]
	s_andn2_b64 s[16:17], s[50:51], exec
	s_and_b64 s[50:51], s[14:15], exec
	s_or_b64 s[50:51], s[16:17], s[50:51]
	s_andn2_b64 exec, exec, s[48:49]
	s_cbranch_execz .LBB627_1051
.LBB627_1049:                           ; =>This Inner Loop Header: Depth=1
	global_load_ushort v51, v[4:5], off
	global_load_ushort v52, v[6:7], off
	s_andn2_b64 s[60:61], s[14:15], exec
	s_or_b64 s[52:53], s[52:53], exec
	s_waitcnt vmcnt(0)
	v_cmp_le_i16_e64 s[14:15], v51, v52
	v_cmp_lt_i16_e32 vcc, v51, v52
	s_and_b64 s[14:15], s[14:15], s[56:57]
	s_or_b64 s[58:59], vcc, s[14:15]
	s_and_b64 s[14:15], s[58:59], exec
	v_cmp_eq_u16_e64 s[16:17], v51, v52
	s_or_b64 s[14:15], s[60:61], s[14:15]
	s_and_saveexec_b64 s[60:61], s[16:17]
	s_cbranch_execz .LBB627_1048
; %bb.1050:                             ;   in Loop: Header=BB627_1049 Depth=1
	s_add_u32 s54, s54, -1
	s_addc_u32 s55, s55, -1
	s_cmp_eq_u64 s[54:55], 0
	s_cselect_b64 s[16:17], -1, 0
	s_andn2_b64 s[52:53], s[52:53], exec
	s_and_b64 s[16:17], s[16:17], exec
	v_lshl_add_u64 v[4:5], v[4:5], 0, 2
	v_lshl_add_u64 v[6:7], v[6:7], 0, 2
	s_andn2_b64 s[14:15], s[14:15], exec
	s_or_b64 s[52:53], s[52:53], s[16:17]
                                        ; implicit-def: $sgpr56_sgpr57
	s_branch .LBB627_1048
.LBB627_1051:
	s_or_b64 exec, exec, s[48:49]
	s_xor_b64 s[14:15], s[50:51], -1
	s_branch .LBB627_1053
.LBB627_1052:
	s_mov_b64 s[14:15], -1
.LBB627_1053:
	s_and_b64 s[14:15], s[14:15], exec
.LBB627_1054:
	s_or_b64 exec, exec, s[30:31]
	s_orn2_b64 s[30:31], s[14:15], exec
.LBB627_1055:
	s_or_b64 exec, exec, s[46:47]
	v_cndmask_b32_e64 v4, v48, v47, s[30:31]
	v_cndmask_b32_e64 v5, v25, v24, s[30:31]
	;; [unrolled: 1-line block ×4, first 2 shown]
	v_add_u32_e32 v37, 1, v4
	v_add_u32_e32 v4, -1, v5
	v_min_u32_e32 v4, v37, v4
	v_lshl_add_u32 v4, v4, 3, v33
	v_cndmask_b32_e64 v11, v10, v11, s[24:25]
	v_cndmask_b32_e64 v10, v17, v23, s[24:25]
	;; [unrolled: 1-line block ×4, first 2 shown]
	ds_read_b64 v[22:23], v4
	v_cndmask_b32_e64 v14, v2, v0, s[20:21]
	v_cndmask_b32_e64 v0, v37, v48, s[30:31]
	;; [unrolled: 1-line block ×9, first 2 shown]
	s_waitcnt lgkmcnt(0)
	v_cndmask_b32_e64 v5, v49, v23, s[30:31]
	v_cndmask_b32_e64 v4, v50, v22, s[30:31]
	v_cmp_lt_u32_e32 vcc, v0, v25
	s_and_saveexec_b64 s[20:21], vcc
	s_cbranch_execz .LBB627_1065
; %bb.1056:
	v_cndmask_b32_e64 v0, v22, v46, s[30:31]
	v_cndmask_b32_e64 v22, v47, v37, s[30:31]
	;; [unrolled: 1-line block ×3, first 2 shown]
	v_cmp_lt_u32_e32 vcc, v22, v24
	s_and_saveexec_b64 s[22:23], vcc
	s_cbranch_execz .LBB627_1064
; %bb.1057:
	s_andn2_b64 vcc, exec, s[42:43]
	s_cbranch_vccnz .LBB627_1063
; %bb.1058:
	v_mul_lo_u32 v24, v1, s36
	v_mul_lo_u32 v25, v0, s37
	v_mad_u64_u32 v[22:23], s[14:15], v0, s36, 0
	v_add3_u32 v23, v23, v25, v24
	v_mul_lo_u32 v37, v5, s36
	v_mul_lo_u32 v38, v4, s37
	v_mad_u64_u32 v[24:25], s[14:15], v4, s36, 0
	v_add3_u32 v25, v25, v38, v37
	v_lshl_add_u64 v[22:23], v[22:23], 1, s[38:39]
	v_lshl_add_u64 v[24:25], v[24:25], 1, s[38:39]
	s_mov_b64 s[24:25], 0
	s_mov_b64 s[30:31], s[36:37]
                                        ; implicit-def: $sgpr26_sgpr27
                                        ; implicit-def: $sgpr28_sgpr29
                                        ; implicit-def: $sgpr14_sgpr15
                                        ; implicit-def: $sgpr44_sgpr45
	s_branch .LBB627_1060
.LBB627_1059:                           ;   in Loop: Header=BB627_1060 Depth=1
	s_or_b64 exec, exec, s[48:49]
	s_and_b64 s[16:17], exec, s[28:29]
	s_or_b64 s[24:25], s[16:17], s[24:25]
	s_andn2_b64 s[16:17], s[44:45], exec
	s_and_b64 s[44:45], s[46:47], exec
	s_or_b64 s[44:45], s[16:17], s[44:45]
	s_andn2_b64 s[16:17], s[26:27], exec
	s_and_b64 s[26:27], s[14:15], exec
	s_or_b64 s[26:27], s[16:17], s[26:27]
	s_andn2_b64 exec, exec, s[24:25]
	s_cbranch_execz .LBB627_1062
.LBB627_1060:                           ; =>This Inner Loop Header: Depth=1
	global_load_ushort v37, v[22:23], off
	global_load_ushort v38, v[24:25], off
	s_andn2_b64 s[48:49], s[14:15], exec
	s_or_b64 s[28:29], s[28:29], exec
	s_waitcnt vmcnt(0)
	v_cmp_le_i16_e64 s[14:15], v37, v38
	v_cmp_lt_i16_e32 vcc, v37, v38
	s_and_b64 s[14:15], s[14:15], s[44:45]
	s_or_b64 s[46:47], vcc, s[14:15]
	s_and_b64 s[14:15], s[46:47], exec
	v_cmp_eq_u16_e64 s[16:17], v37, v38
	s_or_b64 s[14:15], s[48:49], s[14:15]
	s_and_saveexec_b64 s[48:49], s[16:17]
	s_cbranch_execz .LBB627_1059
; %bb.1061:                             ;   in Loop: Header=BB627_1060 Depth=1
	s_add_u32 s30, s30, -1
	s_addc_u32 s31, s31, -1
	s_cmp_eq_u64 s[30:31], 0
	s_cselect_b64 s[16:17], -1, 0
	s_andn2_b64 s[28:29], s[28:29], exec
	s_and_b64 s[16:17], s[16:17], exec
	v_lshl_add_u64 v[22:23], v[22:23], 0, 2
	v_lshl_add_u64 v[24:25], v[24:25], 0, 2
	s_andn2_b64 s[14:15], s[14:15], exec
	s_or_b64 s[28:29], s[28:29], s[16:17]
                                        ; implicit-def: $sgpr44_sgpr45
	s_branch .LBB627_1059
.LBB627_1062:
	s_or_b64 exec, exec, s[24:25]
	v_cndmask_b32_e64 v5, v5, v1, s[26:27]
	v_cndmask_b32_e64 v4, v4, v0, s[26:27]
.LBB627_1063:
	v_mov_b64_e32 v[0:1], v[4:5]
.LBB627_1064:
	s_or_b64 exec, exec, s[22:23]
	v_mov_b64_e32 v[4:5], v[0:1]
.LBB627_1065:
	s_or_b64 exec, exec, s[20:21]
.LBB627_1066:
	s_or_b64 exec, exec, s[18:19]
	v_and_b32_e32 v39, 0x3e0, v35
	v_or_b32_e32 v0, 16, v39
	v_min_u32_e32 v24, v34, v0
	v_add_u32_e32 v0, 16, v24
	v_min_u32_e32 v25, v34, v0
	v_and_b32_e32 v0, 24, v35
	v_min_u32_e32 v40, v34, v0
	v_sub_u32_e32 v0, v24, v39
	v_sub_u32_e32 v1, v25, v24
	v_sub_u32_e64 v38, v40, v1 clamp
	v_min_u32_e32 v41, v40, v0
	v_lshl_add_u32 v37, v39, 3, v33
	v_cmp_lt_u32_e32 vcc, v38, v41
	; wave barrier
	ds_write_b128 v36, v[14:17]
	ds_write_b128 v36, v[10:13] offset:16
	ds_write_b128 v36, v[6:9] offset:32
	;; [unrolled: 1-line block ×3, first 2 shown]
	; wave barrier
	s_and_saveexec_b64 s[20:21], vcc
	s_cbranch_execz .LBB627_1076
; %bb.1067:
	v_lshlrev_b32_e32 v0, 3, v24
	v_lshlrev_b32_e32 v1, 3, v40
	v_add3_u32 v42, v33, v0, v1
	v_cndmask_b32_e64 v0, 0, 1, s[42:43]
	s_lshl_b64 s[24:25], s[36:37], 1
	s_mov_b64 s[22:23], 0
	v_cmp_ne_u32_e64 s[14:15], 1, v0
	s_branch .LBB627_1070
.LBB627_1068:                           ;   in Loop: Header=BB627_1070 Depth=1
	s_or_b64 exec, exec, s[28:29]
.LBB627_1069:                           ;   in Loop: Header=BB627_1070 Depth=1
	v_add_u32_e32 v0, 1, v43
	v_cndmask_b32_e64 v41, v41, v43, s[26:27]
	v_cndmask_b32_e64 v38, v0, v38, s[26:27]
	v_cmp_ge_u32_e32 vcc, v38, v41
	s_or_b64 s[22:23], vcc, s[22:23]
	s_andn2_b64 exec, exec, s[22:23]
	s_cbranch_execz .LBB627_1075
.LBB627_1070:                           ; =>This Loop Header: Depth=1
                                        ;     Child Loop BB627_1073 Depth 2
	v_add_u32_e32 v0, v41, v38
	v_lshrrev_b32_e32 v43, 1, v0
	s_and_b64 vcc, exec, s[14:15]
	s_mov_b64 s[26:27], 0
	s_cbranch_vccnz .LBB627_1069
; %bb.1071:                             ;   in Loop: Header=BB627_1070 Depth=1
	v_not_b32_e32 v0, v43
	v_lshl_add_u32 v0, v0, 3, v42
	ds_read_b64 v[0:1], v0
	v_lshl_add_u32 v44, v43, 3, v37
	ds_read_b64 v[44:45], v44
	v_mov_b64_e32 v[22:23], s[38:39]
	s_mov_b64 s[28:29], 0
	s_waitcnt lgkmcnt(1)
	v_mul_lo_u32 v46, s24, v1
	v_mul_lo_u32 v47, s25, v0
	v_mad_u64_u32 v[0:1], s[16:17], s24, v0, v[22:23]
	v_add3_u32 v1, v47, v1, v46
	s_waitcnt lgkmcnt(0)
	v_mul_lo_u32 v45, s24, v45
	v_mul_lo_u32 v46, s25, v44
	v_mad_u64_u32 v[22:23], s[16:17], s24, v44, v[22:23]
	v_add3_u32 v23, v46, v23, v45
	s_mov_b64 s[44:45], s[36:37]
                                        ; implicit-def: $sgpr26_sgpr27
                                        ; implicit-def: $sgpr30_sgpr31
                                        ; implicit-def: $sgpr16_sgpr17
                                        ; implicit-def: $sgpr46_sgpr47
	s_branch .LBB627_1073
.LBB627_1072:                           ;   in Loop: Header=BB627_1073 Depth=2
	s_or_b64 exec, exec, s[50:51]
	s_and_b64 s[18:19], exec, s[30:31]
	s_or_b64 s[28:29], s[18:19], s[28:29]
	s_andn2_b64 s[18:19], s[46:47], exec
	s_and_b64 s[46:47], s[48:49], exec
	s_or_b64 s[46:47], s[18:19], s[46:47]
	s_andn2_b64 s[18:19], s[26:27], exec
	s_and_b64 s[26:27], s[16:17], exec
	s_or_b64 s[26:27], s[18:19], s[26:27]
	s_andn2_b64 exec, exec, s[28:29]
	s_cbranch_execz .LBB627_1068
.LBB627_1073:                           ;   Parent Loop BB627_1070 Depth=1
                                        ; =>  This Inner Loop Header: Depth=2
	global_load_ushort v44, v[0:1], off
	global_load_ushort v45, v[22:23], off
	s_andn2_b64 s[50:51], s[16:17], exec
	s_or_b64 s[30:31], s[30:31], exec
	s_waitcnt vmcnt(0)
	v_cmp_le_i16_e64 s[16:17], v44, v45
	v_cmp_lt_i16_e32 vcc, v44, v45
	s_and_b64 s[16:17], s[16:17], s[46:47]
	s_or_b64 s[48:49], vcc, s[16:17]
	s_and_b64 s[16:17], s[48:49], exec
	v_cmp_eq_u16_e64 s[18:19], v44, v45
	s_or_b64 s[16:17], s[50:51], s[16:17]
	s_and_saveexec_b64 s[50:51], s[18:19]
	s_cbranch_execz .LBB627_1072
; %bb.1074:                             ;   in Loop: Header=BB627_1073 Depth=2
	s_add_u32 s44, s44, -1
	s_addc_u32 s45, s45, -1
	s_cmp_eq_u64 s[44:45], 0
	s_cselect_b64 s[18:19], -1, 0
	s_andn2_b64 s[30:31], s[30:31], exec
	s_and_b64 s[18:19], s[18:19], exec
	v_lshl_add_u64 v[0:1], v[0:1], 0, 2
	v_lshl_add_u64 v[22:23], v[22:23], 0, 2
	s_andn2_b64 s[16:17], s[16:17], exec
	s_or_b64 s[30:31], s[30:31], s[18:19]
                                        ; implicit-def: $sgpr46_sgpr47
	s_branch .LBB627_1072
.LBB627_1075:
	s_or_b64 exec, exec, s[22:23]
.LBB627_1076:
	s_or_b64 exec, exec, s[20:21]
	v_add_u32_e32 v0, v24, v40
	v_add_u32_e32 v23, v38, v39
	v_sub_u32_e32 v39, v0, v38
	v_cmp_le_u32_e32 vcc, v23, v24
	v_cmp_le_u32_e64 s[14:15], v39, v25
	s_or_b64 s[14:15], vcc, s[14:15]
	s_and_saveexec_b64 s[18:19], s[14:15]
	s_cbranch_execz .LBB627_1167
; %bb.1077:
	v_cmp_ge_u32_e32 vcc, v23, v24
	v_cmp_lt_u32_e64 s[14:15], v23, v24
                                        ; implicit-def: $vgpr0_vgpr1
	s_and_saveexec_b64 s[16:17], s[14:15]
; %bb.1078:
	v_lshl_add_u32 v0, v38, 3, v37
	ds_read_b64 v[0:1], v0
; %bb.1079:
	s_or_b64 exec, exec, s[16:17]
	v_cmp_ge_u32_e64 s[20:21], v39, v25
	v_cmp_lt_u32_e64 s[14:15], v39, v25
                                        ; implicit-def: $vgpr2_vgpr3
	s_and_saveexec_b64 s[16:17], s[14:15]
; %bb.1080:
	v_lshl_add_u32 v2, v39, 3, v33
	ds_read_b64 v[2:3], v2
; %bb.1081:
	s_or_b64 exec, exec, s[16:17]
	s_nor_b64 s[14:15], vcc, s[20:21]
	s_and_saveexec_b64 s[22:23], s[14:15]
	s_cbranch_execz .LBB627_1090
; %bb.1082:
	s_andn2_b64 vcc, exec, s[42:43]
	s_cbranch_vccnz .LBB627_1088
; %bb.1083:
	s_waitcnt lgkmcnt(0)
	v_mul_lo_u32 v6, v3, s36
	v_mul_lo_u32 v7, v2, s37
	v_mad_u64_u32 v[4:5], s[14:15], v2, s36, 0
	v_add3_u32 v5, v5, v7, v6
	v_mul_lo_u32 v8, v1, s36
	v_mul_lo_u32 v9, v0, s37
	v_mad_u64_u32 v[6:7], s[14:15], v0, s36, 0
	v_add3_u32 v7, v7, v9, v8
	v_lshl_add_u64 v[4:5], v[4:5], 1, s[38:39]
	v_lshl_add_u64 v[6:7], v[6:7], 1, s[38:39]
	s_mov_b64 s[24:25], 0
	s_mov_b64 s[30:31], s[36:37]
                                        ; implicit-def: $sgpr26_sgpr27
                                        ; implicit-def: $sgpr28_sgpr29
                                        ; implicit-def: $sgpr14_sgpr15
                                        ; implicit-def: $sgpr44_sgpr45
	s_branch .LBB627_1085
.LBB627_1084:                           ;   in Loop: Header=BB627_1085 Depth=1
	s_or_b64 exec, exec, s[48:49]
	s_and_b64 s[16:17], exec, s[28:29]
	s_or_b64 s[24:25], s[16:17], s[24:25]
	s_andn2_b64 s[16:17], s[44:45], exec
	s_and_b64 s[44:45], s[46:47], exec
	s_or_b64 s[44:45], s[16:17], s[44:45]
	s_andn2_b64 s[16:17], s[26:27], exec
	s_and_b64 s[26:27], s[14:15], exec
	s_or_b64 s[26:27], s[16:17], s[26:27]
	s_andn2_b64 exec, exec, s[24:25]
	s_cbranch_execz .LBB627_1087
.LBB627_1085:                           ; =>This Inner Loop Header: Depth=1
	global_load_ushort v8, v[4:5], off
	global_load_ushort v9, v[6:7], off
	s_andn2_b64 s[48:49], s[14:15], exec
	s_or_b64 s[28:29], s[28:29], exec
	s_waitcnt vmcnt(0)
	v_cmp_le_i16_e64 s[14:15], v8, v9
	v_cmp_lt_i16_e32 vcc, v8, v9
	s_and_b64 s[14:15], s[14:15], s[44:45]
	s_or_b64 s[46:47], vcc, s[14:15]
	s_and_b64 s[14:15], s[46:47], exec
	v_cmp_eq_u16_e64 s[16:17], v8, v9
	s_or_b64 s[14:15], s[48:49], s[14:15]
	s_and_saveexec_b64 s[48:49], s[16:17]
	s_cbranch_execz .LBB627_1084
; %bb.1086:                             ;   in Loop: Header=BB627_1085 Depth=1
	s_add_u32 s30, s30, -1
	s_addc_u32 s31, s31, -1
	s_cmp_eq_u64 s[30:31], 0
	s_cselect_b64 s[16:17], -1, 0
	s_andn2_b64 s[28:29], s[28:29], exec
	s_and_b64 s[16:17], s[16:17], exec
	v_lshl_add_u64 v[4:5], v[4:5], 0, 2
	v_lshl_add_u64 v[6:7], v[6:7], 0, 2
	s_andn2_b64 s[14:15], s[14:15], exec
	s_or_b64 s[28:29], s[28:29], s[16:17]
                                        ; implicit-def: $sgpr44_sgpr45
	s_branch .LBB627_1084
.LBB627_1087:
	s_or_b64 exec, exec, s[24:25]
	s_xor_b64 s[14:15], s[26:27], -1
	s_branch .LBB627_1089
.LBB627_1088:
	s_mov_b64 s[14:15], -1
.LBB627_1089:
	s_andn2_b64 s[16:17], s[20:21], exec
	s_and_b64 s[14:15], s[14:15], exec
	s_or_b64 s[20:21], s[16:17], s[14:15]
.LBB627_1090:
	s_or_b64 exec, exec, s[22:23]
	v_cndmask_b32_e64 v4, v39, v23, s[20:21]
	v_cndmask_b32_e64 v5, v25, v24, s[20:21]
	v_add_u32_e32 v6, 1, v4
	v_add_u32_e32 v4, -1, v5
	v_min_u32_e32 v4, v6, v4
	v_lshl_add_u32 v4, v4, 3, v33
	ds_read_b64 v[4:5], v4
	v_cndmask_b32_e64 v8, v6, v39, s[20:21]
	v_cndmask_b32_e64 v9, v23, v6, s[20:21]
	v_cmp_lt_u32_e32 vcc, v8, v25
	s_mov_b64 s[24:25], -1
	s_waitcnt lgkmcnt(0)
	v_cndmask_b32_e64 v14, v5, v3, s[20:21]
	v_cndmask_b32_e64 v15, v4, v2, s[20:21]
	;; [unrolled: 1-line block ×4, first 2 shown]
	s_mov_b64 s[22:23], -1
	s_and_saveexec_b64 s[26:27], vcc
	s_cbranch_execz .LBB627_1101
; %bb.1091:
	v_cmp_lt_u32_e32 vcc, v9, v24
	s_mov_b64 s[14:15], 0
	s_and_saveexec_b64 s[22:23], vcc
	s_cbranch_execz .LBB627_1100
; %bb.1092:
	s_andn2_b64 vcc, exec, s[42:43]
	s_cbranch_vccnz .LBB627_1098
; %bb.1093:
	v_mul_lo_u32 v6, v14, s36
	v_mul_lo_u32 v7, v15, s37
	v_mad_u64_u32 v[4:5], s[14:15], v15, s36, 0
	v_add3_u32 v5, v5, v7, v6
	v_mul_lo_u32 v10, v16, s36
	v_mul_lo_u32 v11, v22, s37
	v_mad_u64_u32 v[6:7], s[14:15], v22, s36, 0
	v_add3_u32 v7, v7, v11, v10
	v_lshl_add_u64 v[4:5], v[4:5], 1, s[38:39]
	v_lshl_add_u64 v[6:7], v[6:7], 1, s[38:39]
	s_mov_b64 s[28:29], 0
	s_mov_b64 s[46:47], s[36:37]
                                        ; implicit-def: $sgpr30_sgpr31
                                        ; implicit-def: $sgpr44_sgpr45
                                        ; implicit-def: $sgpr14_sgpr15
                                        ; implicit-def: $sgpr48_sgpr49
	s_branch .LBB627_1095
.LBB627_1094:                           ;   in Loop: Header=BB627_1095 Depth=1
	s_or_b64 exec, exec, s[52:53]
	s_and_b64 s[16:17], exec, s[44:45]
	s_or_b64 s[28:29], s[16:17], s[28:29]
	s_andn2_b64 s[16:17], s[48:49], exec
	s_and_b64 s[48:49], s[50:51], exec
	s_or_b64 s[48:49], s[16:17], s[48:49]
	s_andn2_b64 s[16:17], s[30:31], exec
	s_and_b64 s[30:31], s[14:15], exec
	s_or_b64 s[30:31], s[16:17], s[30:31]
	s_andn2_b64 exec, exec, s[28:29]
	s_cbranch_execz .LBB627_1097
.LBB627_1095:                           ; =>This Inner Loop Header: Depth=1
	global_load_ushort v10, v[4:5], off
	global_load_ushort v11, v[6:7], off
	s_andn2_b64 s[52:53], s[14:15], exec
	s_or_b64 s[44:45], s[44:45], exec
	s_waitcnt vmcnt(0)
	v_cmp_le_i16_e64 s[14:15], v10, v11
	v_cmp_lt_i16_e32 vcc, v10, v11
	s_and_b64 s[14:15], s[14:15], s[48:49]
	s_or_b64 s[50:51], vcc, s[14:15]
	s_and_b64 s[14:15], s[50:51], exec
	v_cmp_eq_u16_e64 s[16:17], v10, v11
	s_or_b64 s[14:15], s[52:53], s[14:15]
	s_and_saveexec_b64 s[52:53], s[16:17]
	s_cbranch_execz .LBB627_1094
; %bb.1096:                             ;   in Loop: Header=BB627_1095 Depth=1
	s_add_u32 s46, s46, -1
	s_addc_u32 s47, s47, -1
	s_cmp_eq_u64 s[46:47], 0
	s_cselect_b64 s[16:17], -1, 0
	s_andn2_b64 s[44:45], s[44:45], exec
	s_and_b64 s[16:17], s[16:17], exec
	v_lshl_add_u64 v[4:5], v[4:5], 0, 2
	v_lshl_add_u64 v[6:7], v[6:7], 0, 2
	s_andn2_b64 s[14:15], s[14:15], exec
	s_or_b64 s[44:45], s[44:45], s[16:17]
                                        ; implicit-def: $sgpr48_sgpr49
	s_branch .LBB627_1094
.LBB627_1097:
	s_or_b64 exec, exec, s[28:29]
	s_xor_b64 s[14:15], s[30:31], -1
	s_branch .LBB627_1099
.LBB627_1098:
	s_mov_b64 s[14:15], -1
.LBB627_1099:
	s_and_b64 s[14:15], s[14:15], exec
.LBB627_1100:
	s_or_b64 exec, exec, s[22:23]
	s_orn2_b64 s[22:23], s[14:15], exec
.LBB627_1101:
	s_or_b64 exec, exec, s[26:27]
	v_cndmask_b32_e64 v4, v8, v9, s[22:23]
	v_cndmask_b32_e64 v5, v25, v24, s[22:23]
	v_add_u32_e32 v6, 1, v4
	v_add_u32_e32 v4, -1, v5
	v_min_u32_e32 v4, v6, v4
	v_lshl_add_u32 v4, v4, 3, v33
	ds_read_b64 v[4:5], v4
	v_cndmask_b32_e64 v8, v6, v8, s[22:23]
	v_cndmask_b32_e64 v9, v9, v6, s[22:23]
	v_cmp_lt_u32_e32 vcc, v8, v25
	s_waitcnt lgkmcnt(0)
	v_cndmask_b32_e64 v10, v5, v14, s[22:23]
	v_cndmask_b32_e64 v17, v4, v15, s[22:23]
	;; [unrolled: 1-line block ×4, first 2 shown]
	s_and_saveexec_b64 s[26:27], vcc
	s_cbranch_execz .LBB627_1112
; %bb.1102:
	v_cmp_lt_u32_e32 vcc, v9, v24
	s_mov_b64 s[14:15], 0
	s_and_saveexec_b64 s[24:25], vcc
	s_cbranch_execz .LBB627_1111
; %bb.1103:
	s_andn2_b64 vcc, exec, s[42:43]
	s_cbranch_vccnz .LBB627_1109
; %bb.1104:
	v_mul_lo_u32 v6, v10, s36
	v_mul_lo_u32 v7, v17, s37
	v_mad_u64_u32 v[4:5], s[14:15], v17, s36, 0
	v_add3_u32 v5, v5, v7, v6
	v_mul_lo_u32 v12, v11, s36
	v_mul_lo_u32 v13, v23, s37
	v_mad_u64_u32 v[6:7], s[14:15], v23, s36, 0
	v_add3_u32 v7, v7, v13, v12
	v_lshl_add_u64 v[4:5], v[4:5], 1, s[38:39]
	v_lshl_add_u64 v[6:7], v[6:7], 1, s[38:39]
	s_mov_b64 s[28:29], 0
	s_mov_b64 s[46:47], s[36:37]
                                        ; implicit-def: $sgpr30_sgpr31
                                        ; implicit-def: $sgpr44_sgpr45
                                        ; implicit-def: $sgpr14_sgpr15
                                        ; implicit-def: $sgpr48_sgpr49
	s_branch .LBB627_1106
.LBB627_1105:                           ;   in Loop: Header=BB627_1106 Depth=1
	s_or_b64 exec, exec, s[52:53]
	s_and_b64 s[16:17], exec, s[44:45]
	s_or_b64 s[28:29], s[16:17], s[28:29]
	s_andn2_b64 s[16:17], s[48:49], exec
	s_and_b64 s[48:49], s[50:51], exec
	s_or_b64 s[48:49], s[16:17], s[48:49]
	s_andn2_b64 s[16:17], s[30:31], exec
	s_and_b64 s[30:31], s[14:15], exec
	s_or_b64 s[30:31], s[16:17], s[30:31]
	s_andn2_b64 exec, exec, s[28:29]
	s_cbranch_execz .LBB627_1108
.LBB627_1106:                           ; =>This Inner Loop Header: Depth=1
	global_load_ushort v12, v[4:5], off
	global_load_ushort v13, v[6:7], off
	s_andn2_b64 s[52:53], s[14:15], exec
	s_or_b64 s[44:45], s[44:45], exec
	s_waitcnt vmcnt(0)
	v_cmp_le_i16_e64 s[14:15], v12, v13
	v_cmp_lt_i16_e32 vcc, v12, v13
	s_and_b64 s[14:15], s[14:15], s[48:49]
	s_or_b64 s[50:51], vcc, s[14:15]
	s_and_b64 s[14:15], s[50:51], exec
	v_cmp_eq_u16_e64 s[16:17], v12, v13
	s_or_b64 s[14:15], s[52:53], s[14:15]
	s_and_saveexec_b64 s[52:53], s[16:17]
	s_cbranch_execz .LBB627_1105
; %bb.1107:                             ;   in Loop: Header=BB627_1106 Depth=1
	s_add_u32 s46, s46, -1
	s_addc_u32 s47, s47, -1
	s_cmp_eq_u64 s[46:47], 0
	s_cselect_b64 s[16:17], -1, 0
	s_andn2_b64 s[44:45], s[44:45], exec
	s_and_b64 s[16:17], s[16:17], exec
	v_lshl_add_u64 v[4:5], v[4:5], 0, 2
	v_lshl_add_u64 v[6:7], v[6:7], 0, 2
	s_andn2_b64 s[14:15], s[14:15], exec
	s_or_b64 s[44:45], s[44:45], s[16:17]
                                        ; implicit-def: $sgpr48_sgpr49
	s_branch .LBB627_1105
.LBB627_1108:
	s_or_b64 exec, exec, s[28:29]
	s_xor_b64 s[14:15], s[30:31], -1
	s_branch .LBB627_1110
.LBB627_1109:
	s_mov_b64 s[14:15], -1
.LBB627_1110:
	s_and_b64 s[14:15], s[14:15], exec
.LBB627_1111:
	s_or_b64 exec, exec, s[24:25]
	s_orn2_b64 s[24:25], s[14:15], exec
.LBB627_1112:
	s_or_b64 exec, exec, s[26:27]
	v_cndmask_b32_e64 v4, v8, v9, s[24:25]
	v_cndmask_b32_e64 v5, v25, v24, s[24:25]
	v_add_u32_e32 v6, 1, v4
	v_add_u32_e32 v4, -1, v5
	v_min_u32_e32 v4, v6, v4
	v_lshl_add_u32 v4, v4, 3, v33
	ds_read_b64 v[4:5], v4
	v_cndmask_b32_e64 v8, v6, v8, s[24:25]
	v_cndmask_b32_e64 v9, v9, v6, s[24:25]
	v_cmp_lt_u32_e32 vcc, v8, v25
	s_mov_b64 s[28:29], -1
	s_waitcnt lgkmcnt(0)
	v_cndmask_b32_e64 v12, v5, v10, s[24:25]
	v_cndmask_b32_e64 v37, v4, v17, s[24:25]
	;; [unrolled: 1-line block ×4, first 2 shown]
	s_mov_b64 s[26:27], -1
	s_and_saveexec_b64 s[30:31], vcc
	s_cbranch_execz .LBB627_1123
; %bb.1113:
	v_cmp_lt_u32_e32 vcc, v9, v24
	s_mov_b64 s[14:15], 0
	s_and_saveexec_b64 s[26:27], vcc
	s_cbranch_execz .LBB627_1122
; %bb.1114:
	s_andn2_b64 vcc, exec, s[42:43]
	s_cbranch_vccnz .LBB627_1120
; %bb.1115:
	v_mul_lo_u32 v6, v12, s36
	v_mul_lo_u32 v7, v37, s37
	v_mad_u64_u32 v[4:5], s[14:15], v37, s36, 0
	v_add3_u32 v5, v5, v7, v6
	v_mul_lo_u32 v39, v13, s36
	v_mul_lo_u32 v40, v38, s37
	v_mad_u64_u32 v[6:7], s[14:15], v38, s36, 0
	v_add3_u32 v7, v7, v40, v39
	v_lshl_add_u64 v[4:5], v[4:5], 1, s[38:39]
	v_lshl_add_u64 v[6:7], v[6:7], 1, s[38:39]
	s_mov_b64 s[44:45], 0
	s_mov_b64 s[50:51], s[36:37]
                                        ; implicit-def: $sgpr46_sgpr47
                                        ; implicit-def: $sgpr48_sgpr49
                                        ; implicit-def: $sgpr14_sgpr15
                                        ; implicit-def: $sgpr52_sgpr53
	s_branch .LBB627_1117
.LBB627_1116:                           ;   in Loop: Header=BB627_1117 Depth=1
	s_or_b64 exec, exec, s[56:57]
	s_and_b64 s[16:17], exec, s[48:49]
	s_or_b64 s[44:45], s[16:17], s[44:45]
	s_andn2_b64 s[16:17], s[52:53], exec
	s_and_b64 s[52:53], s[54:55], exec
	s_or_b64 s[52:53], s[16:17], s[52:53]
	s_andn2_b64 s[16:17], s[46:47], exec
	s_and_b64 s[46:47], s[14:15], exec
	s_or_b64 s[46:47], s[16:17], s[46:47]
	s_andn2_b64 exec, exec, s[44:45]
	s_cbranch_execz .LBB627_1119
.LBB627_1117:                           ; =>This Inner Loop Header: Depth=1
	global_load_ushort v39, v[4:5], off
	global_load_ushort v40, v[6:7], off
	s_andn2_b64 s[56:57], s[14:15], exec
	s_or_b64 s[48:49], s[48:49], exec
	s_waitcnt vmcnt(0)
	v_cmp_le_i16_e64 s[14:15], v39, v40
	v_cmp_lt_i16_e32 vcc, v39, v40
	s_and_b64 s[14:15], s[14:15], s[52:53]
	s_or_b64 s[54:55], vcc, s[14:15]
	s_and_b64 s[14:15], s[54:55], exec
	v_cmp_eq_u16_e64 s[16:17], v39, v40
	s_or_b64 s[14:15], s[56:57], s[14:15]
	s_and_saveexec_b64 s[56:57], s[16:17]
	s_cbranch_execz .LBB627_1116
; %bb.1118:                             ;   in Loop: Header=BB627_1117 Depth=1
	s_add_u32 s50, s50, -1
	s_addc_u32 s51, s51, -1
	s_cmp_eq_u64 s[50:51], 0
	s_cselect_b64 s[16:17], -1, 0
	s_andn2_b64 s[48:49], s[48:49], exec
	s_and_b64 s[16:17], s[16:17], exec
	v_lshl_add_u64 v[4:5], v[4:5], 0, 2
	v_lshl_add_u64 v[6:7], v[6:7], 0, 2
	s_andn2_b64 s[14:15], s[14:15], exec
	s_or_b64 s[48:49], s[48:49], s[16:17]
                                        ; implicit-def: $sgpr52_sgpr53
	s_branch .LBB627_1116
.LBB627_1119:
	s_or_b64 exec, exec, s[44:45]
	s_xor_b64 s[14:15], s[46:47], -1
	s_branch .LBB627_1121
.LBB627_1120:
	s_mov_b64 s[14:15], -1
.LBB627_1121:
	s_and_b64 s[14:15], s[14:15], exec
.LBB627_1122:
	s_or_b64 exec, exec, s[26:27]
	s_orn2_b64 s[26:27], s[14:15], exec
.LBB627_1123:
	s_or_b64 exec, exec, s[30:31]
	v_cndmask_b32_e64 v4, v8, v9, s[26:27]
	v_cndmask_b32_e64 v5, v25, v24, s[26:27]
	v_add_u32_e32 v6, 1, v4
	v_add_u32_e32 v4, -1, v5
	v_min_u32_e32 v4, v6, v4
	v_lshl_add_u32 v4, v4, 3, v33
	ds_read_b64 v[4:5], v4
	v_cndmask_b32_e64 v45, v6, v8, s[26:27]
	v_cndmask_b32_e64 v46, v9, v6, s[26:27]
	v_cmp_lt_u32_e32 vcc, v45, v25
	s_waitcnt lgkmcnt(0)
	v_cndmask_b32_e64 v39, v5, v12, s[26:27]
	v_cndmask_b32_e64 v40, v4, v37, s[26:27]
	v_cndmask_b32_e64 v41, v13, v5, s[26:27]
	v_cndmask_b32_e64 v42, v38, v4, s[26:27]
	s_and_saveexec_b64 s[30:31], vcc
	s_cbranch_execz .LBB627_1134
; %bb.1124:
	v_cmp_lt_u32_e32 vcc, v46, v24
	s_mov_b64 s[14:15], 0
	s_and_saveexec_b64 s[28:29], vcc
	s_cbranch_execz .LBB627_1133
; %bb.1125:
	s_andn2_b64 vcc, exec, s[42:43]
	s_cbranch_vccnz .LBB627_1131
; %bb.1126:
	v_mul_lo_u32 v6, v39, s36
	v_mul_lo_u32 v7, v40, s37
	v_mad_u64_u32 v[4:5], s[14:15], v40, s36, 0
	v_add3_u32 v5, v5, v7, v6
	v_mul_lo_u32 v8, v41, s36
	v_mul_lo_u32 v9, v42, s37
	v_mad_u64_u32 v[6:7], s[14:15], v42, s36, 0
	v_add3_u32 v7, v7, v9, v8
	v_lshl_add_u64 v[4:5], v[4:5], 1, s[38:39]
	v_lshl_add_u64 v[6:7], v[6:7], 1, s[38:39]
	s_mov_b64 s[44:45], 0
	s_mov_b64 s[50:51], s[36:37]
                                        ; implicit-def: $sgpr46_sgpr47
                                        ; implicit-def: $sgpr48_sgpr49
                                        ; implicit-def: $sgpr14_sgpr15
                                        ; implicit-def: $sgpr52_sgpr53
	s_branch .LBB627_1128
.LBB627_1127:                           ;   in Loop: Header=BB627_1128 Depth=1
	s_or_b64 exec, exec, s[56:57]
	s_and_b64 s[16:17], exec, s[48:49]
	s_or_b64 s[44:45], s[16:17], s[44:45]
	s_andn2_b64 s[16:17], s[52:53], exec
	s_and_b64 s[52:53], s[54:55], exec
	s_or_b64 s[52:53], s[16:17], s[52:53]
	s_andn2_b64 s[16:17], s[46:47], exec
	s_and_b64 s[46:47], s[14:15], exec
	s_or_b64 s[46:47], s[16:17], s[46:47]
	s_andn2_b64 exec, exec, s[44:45]
	s_cbranch_execz .LBB627_1130
.LBB627_1128:                           ; =>This Inner Loop Header: Depth=1
	global_load_ushort v8, v[4:5], off
	global_load_ushort v9, v[6:7], off
	s_andn2_b64 s[56:57], s[14:15], exec
	s_or_b64 s[48:49], s[48:49], exec
	s_waitcnt vmcnt(0)
	v_cmp_le_i16_e64 s[14:15], v8, v9
	v_cmp_lt_i16_e32 vcc, v8, v9
	s_and_b64 s[14:15], s[14:15], s[52:53]
	s_or_b64 s[54:55], vcc, s[14:15]
	s_and_b64 s[14:15], s[54:55], exec
	v_cmp_eq_u16_e64 s[16:17], v8, v9
	s_or_b64 s[14:15], s[56:57], s[14:15]
	s_and_saveexec_b64 s[56:57], s[16:17]
	s_cbranch_execz .LBB627_1127
; %bb.1129:                             ;   in Loop: Header=BB627_1128 Depth=1
	s_add_u32 s50, s50, -1
	s_addc_u32 s51, s51, -1
	s_cmp_eq_u64 s[50:51], 0
	s_cselect_b64 s[16:17], -1, 0
	s_andn2_b64 s[48:49], s[48:49], exec
	s_and_b64 s[16:17], s[16:17], exec
	v_lshl_add_u64 v[4:5], v[4:5], 0, 2
	v_lshl_add_u64 v[6:7], v[6:7], 0, 2
	s_andn2_b64 s[14:15], s[14:15], exec
	s_or_b64 s[48:49], s[48:49], s[16:17]
                                        ; implicit-def: $sgpr52_sgpr53
	s_branch .LBB627_1127
.LBB627_1130:
	s_or_b64 exec, exec, s[44:45]
	s_xor_b64 s[14:15], s[46:47], -1
	s_branch .LBB627_1132
.LBB627_1131:
	s_mov_b64 s[14:15], -1
.LBB627_1132:
	s_and_b64 s[14:15], s[14:15], exec
.LBB627_1133:
	s_or_b64 exec, exec, s[28:29]
	s_orn2_b64 s[28:29], s[14:15], exec
.LBB627_1134:
	s_or_b64 exec, exec, s[30:31]
	v_cndmask_b32_e64 v4, v45, v46, s[28:29]
	v_cndmask_b32_e64 v5, v25, v24, s[28:29]
	v_add_u32_e32 v6, 1, v4
	v_add_u32_e32 v4, -1, v5
	v_min_u32_e32 v4, v6, v4
	v_lshl_add_u32 v4, v4, 3, v33
	ds_read_b64 v[4:5], v4
	v_cndmask_b32_e64 v47, v6, v45, s[28:29]
	v_cndmask_b32_e64 v51, v46, v6, s[28:29]
	v_cmp_lt_u32_e32 vcc, v47, v25
	s_mov_b64 s[30:31], -1
	s_waitcnt lgkmcnt(0)
	v_cndmask_b32_e64 v8, v5, v39, s[28:29]
	v_cndmask_b32_e64 v43, v4, v40, s[28:29]
	;; [unrolled: 1-line block ×4, first 2 shown]
	s_mov_b64 s[44:45], -1
	s_and_saveexec_b64 s[46:47], vcc
	s_cbranch_execz .LBB627_1145
; %bb.1135:
	v_cmp_lt_u32_e32 vcc, v51, v24
	s_mov_b64 s[14:15], 0
	s_and_saveexec_b64 s[44:45], vcc
	s_cbranch_execz .LBB627_1144
; %bb.1136:
	s_andn2_b64 vcc, exec, s[42:43]
	s_cbranch_vccnz .LBB627_1142
; %bb.1137:
	v_mul_lo_u32 v6, v8, s36
	v_mul_lo_u32 v7, v43, s37
	v_mad_u64_u32 v[4:5], s[14:15], v43, s36, 0
	v_add3_u32 v5, v5, v7, v6
	v_mul_lo_u32 v45, v9, s36
	v_mul_lo_u32 v46, v44, s37
	v_mad_u64_u32 v[6:7], s[14:15], v44, s36, 0
	v_add3_u32 v7, v7, v46, v45
	v_lshl_add_u64 v[4:5], v[4:5], 1, s[38:39]
	v_lshl_add_u64 v[6:7], v[6:7], 1, s[38:39]
	s_mov_b64 s[48:49], 0
	s_mov_b64 s[54:55], s[36:37]
                                        ; implicit-def: $sgpr50_sgpr51
                                        ; implicit-def: $sgpr52_sgpr53
                                        ; implicit-def: $sgpr14_sgpr15
                                        ; implicit-def: $sgpr56_sgpr57
	s_branch .LBB627_1139
.LBB627_1138:                           ;   in Loop: Header=BB627_1139 Depth=1
	s_or_b64 exec, exec, s[60:61]
	s_and_b64 s[16:17], exec, s[52:53]
	s_or_b64 s[48:49], s[16:17], s[48:49]
	s_andn2_b64 s[16:17], s[56:57], exec
	s_and_b64 s[56:57], s[58:59], exec
	s_or_b64 s[56:57], s[16:17], s[56:57]
	s_andn2_b64 s[16:17], s[50:51], exec
	s_and_b64 s[50:51], s[14:15], exec
	s_or_b64 s[50:51], s[16:17], s[50:51]
	s_andn2_b64 exec, exec, s[48:49]
	s_cbranch_execz .LBB627_1141
.LBB627_1139:                           ; =>This Inner Loop Header: Depth=1
	global_load_ushort v45, v[4:5], off
	global_load_ushort v46, v[6:7], off
	s_andn2_b64 s[60:61], s[14:15], exec
	s_or_b64 s[52:53], s[52:53], exec
	s_waitcnt vmcnt(0)
	v_cmp_le_i16_e64 s[14:15], v45, v46
	v_cmp_lt_i16_e32 vcc, v45, v46
	s_and_b64 s[14:15], s[14:15], s[56:57]
	s_or_b64 s[58:59], vcc, s[14:15]
	s_and_b64 s[14:15], s[58:59], exec
	v_cmp_eq_u16_e64 s[16:17], v45, v46
	s_or_b64 s[14:15], s[60:61], s[14:15]
	s_and_saveexec_b64 s[60:61], s[16:17]
	s_cbranch_execz .LBB627_1138
; %bb.1140:                             ;   in Loop: Header=BB627_1139 Depth=1
	s_add_u32 s54, s54, -1
	s_addc_u32 s55, s55, -1
	s_cmp_eq_u64 s[54:55], 0
	s_cselect_b64 s[16:17], -1, 0
	s_andn2_b64 s[52:53], s[52:53], exec
	s_and_b64 s[16:17], s[16:17], exec
	v_lshl_add_u64 v[4:5], v[4:5], 0, 2
	v_lshl_add_u64 v[6:7], v[6:7], 0, 2
	s_andn2_b64 s[14:15], s[14:15], exec
	s_or_b64 s[52:53], s[52:53], s[16:17]
                                        ; implicit-def: $sgpr56_sgpr57
	s_branch .LBB627_1138
.LBB627_1141:
	s_or_b64 exec, exec, s[48:49]
	s_xor_b64 s[14:15], s[50:51], -1
	s_branch .LBB627_1143
.LBB627_1142:
	s_mov_b64 s[14:15], -1
.LBB627_1143:
	s_and_b64 s[14:15], s[14:15], exec
.LBB627_1144:
	s_or_b64 exec, exec, s[44:45]
	s_orn2_b64 s[44:45], s[14:15], exec
.LBB627_1145:
	s_or_b64 exec, exec, s[46:47]
	v_cndmask_b32_e64 v4, v47, v51, s[44:45]
	v_cndmask_b32_e64 v5, v25, v24, s[44:45]
	v_add_u32_e32 v6, 1, v4
	v_add_u32_e32 v4, -1, v5
	v_min_u32_e32 v4, v6, v4
	v_lshl_add_u32 v4, v4, 3, v33
	ds_read_b64 v[4:5], v4
	v_cndmask_b32_e64 v48, v6, v47, s[44:45]
	v_cndmask_b32_e64 v47, v51, v6, s[44:45]
	v_cmp_lt_u32_e32 vcc, v48, v25
	s_waitcnt lgkmcnt(0)
	v_cndmask_b32_e64 v45, v5, v8, s[44:45]
	v_cndmask_b32_e64 v46, v4, v43, s[44:45]
	;; [unrolled: 1-line block ×4, first 2 shown]
	s_and_saveexec_b64 s[46:47], vcc
	s_cbranch_execz .LBB627_1156
; %bb.1146:
	v_cmp_lt_u32_e32 vcc, v47, v24
	s_mov_b64 s[14:15], 0
	s_and_saveexec_b64 s[30:31], vcc
	s_cbranch_execz .LBB627_1155
; %bb.1147:
	s_andn2_b64 vcc, exec, s[42:43]
	s_cbranch_vccnz .LBB627_1153
; %bb.1148:
	v_mul_lo_u32 v6, v45, s36
	v_mul_lo_u32 v7, v46, s37
	v_mad_u64_u32 v[4:5], s[14:15], v46, s36, 0
	v_add3_u32 v5, v5, v7, v6
	v_mul_lo_u32 v51, v49, s36
	v_mul_lo_u32 v52, v50, s37
	v_mad_u64_u32 v[6:7], s[14:15], v50, s36, 0
	v_add3_u32 v7, v7, v52, v51
	v_lshl_add_u64 v[4:5], v[4:5], 1, s[38:39]
	v_lshl_add_u64 v[6:7], v[6:7], 1, s[38:39]
	s_mov_b64 s[48:49], 0
	s_mov_b64 s[54:55], s[36:37]
                                        ; implicit-def: $sgpr50_sgpr51
                                        ; implicit-def: $sgpr52_sgpr53
                                        ; implicit-def: $sgpr14_sgpr15
                                        ; implicit-def: $sgpr56_sgpr57
	s_branch .LBB627_1150
.LBB627_1149:                           ;   in Loop: Header=BB627_1150 Depth=1
	s_or_b64 exec, exec, s[60:61]
	s_and_b64 s[16:17], exec, s[52:53]
	s_or_b64 s[48:49], s[16:17], s[48:49]
	s_andn2_b64 s[16:17], s[56:57], exec
	s_and_b64 s[56:57], s[58:59], exec
	s_or_b64 s[56:57], s[16:17], s[56:57]
	s_andn2_b64 s[16:17], s[50:51], exec
	s_and_b64 s[50:51], s[14:15], exec
	s_or_b64 s[50:51], s[16:17], s[50:51]
	s_andn2_b64 exec, exec, s[48:49]
	s_cbranch_execz .LBB627_1152
.LBB627_1150:                           ; =>This Inner Loop Header: Depth=1
	global_load_ushort v51, v[4:5], off
	global_load_ushort v52, v[6:7], off
	s_andn2_b64 s[60:61], s[14:15], exec
	s_or_b64 s[52:53], s[52:53], exec
	s_waitcnt vmcnt(0)
	v_cmp_le_i16_e64 s[14:15], v51, v52
	v_cmp_lt_i16_e32 vcc, v51, v52
	s_and_b64 s[14:15], s[14:15], s[56:57]
	s_or_b64 s[58:59], vcc, s[14:15]
	s_and_b64 s[14:15], s[58:59], exec
	v_cmp_eq_u16_e64 s[16:17], v51, v52
	s_or_b64 s[14:15], s[60:61], s[14:15]
	s_and_saveexec_b64 s[60:61], s[16:17]
	s_cbranch_execz .LBB627_1149
; %bb.1151:                             ;   in Loop: Header=BB627_1150 Depth=1
	s_add_u32 s54, s54, -1
	s_addc_u32 s55, s55, -1
	s_cmp_eq_u64 s[54:55], 0
	s_cselect_b64 s[16:17], -1, 0
	s_andn2_b64 s[52:53], s[52:53], exec
	s_and_b64 s[16:17], s[16:17], exec
	v_lshl_add_u64 v[4:5], v[4:5], 0, 2
	v_lshl_add_u64 v[6:7], v[6:7], 0, 2
	s_andn2_b64 s[14:15], s[14:15], exec
	s_or_b64 s[52:53], s[52:53], s[16:17]
                                        ; implicit-def: $sgpr56_sgpr57
	s_branch .LBB627_1149
.LBB627_1152:
	s_or_b64 exec, exec, s[48:49]
	s_xor_b64 s[14:15], s[50:51], -1
	s_branch .LBB627_1154
.LBB627_1153:
	s_mov_b64 s[14:15], -1
.LBB627_1154:
	s_and_b64 s[14:15], s[14:15], exec
.LBB627_1155:
	s_or_b64 exec, exec, s[30:31]
	s_orn2_b64 s[30:31], s[14:15], exec
.LBB627_1156:
	s_or_b64 exec, exec, s[46:47]
	v_cndmask_b32_e64 v4, v48, v47, s[30:31]
	v_cndmask_b32_e64 v5, v25, v24, s[30:31]
	;; [unrolled: 1-line block ×4, first 2 shown]
	v_add_u32_e32 v37, 1, v4
	v_add_u32_e32 v4, -1, v5
	v_min_u32_e32 v4, v37, v4
	v_lshl_add_u32 v4, v4, 3, v33
	v_cndmask_b32_e64 v11, v10, v11, s[24:25]
	v_cndmask_b32_e64 v10, v17, v23, s[24:25]
	;; [unrolled: 1-line block ×4, first 2 shown]
	ds_read_b64 v[22:23], v4
	v_cndmask_b32_e64 v14, v2, v0, s[20:21]
	v_cndmask_b32_e64 v0, v37, v48, s[30:31]
	;; [unrolled: 1-line block ×9, first 2 shown]
	s_waitcnt lgkmcnt(0)
	v_cndmask_b32_e64 v5, v49, v23, s[30:31]
	v_cndmask_b32_e64 v4, v50, v22, s[30:31]
	v_cmp_lt_u32_e32 vcc, v0, v25
	s_and_saveexec_b64 s[20:21], vcc
	s_cbranch_execz .LBB627_1166
; %bb.1157:
	v_cndmask_b32_e64 v0, v22, v46, s[30:31]
	v_cndmask_b32_e64 v22, v47, v37, s[30:31]
	;; [unrolled: 1-line block ×3, first 2 shown]
	v_cmp_lt_u32_e32 vcc, v22, v24
	s_and_saveexec_b64 s[22:23], vcc
	s_cbranch_execz .LBB627_1165
; %bb.1158:
	s_andn2_b64 vcc, exec, s[42:43]
	s_cbranch_vccnz .LBB627_1164
; %bb.1159:
	v_mul_lo_u32 v24, v1, s36
	v_mul_lo_u32 v25, v0, s37
	v_mad_u64_u32 v[22:23], s[14:15], v0, s36, 0
	v_add3_u32 v23, v23, v25, v24
	v_mul_lo_u32 v37, v5, s36
	v_mul_lo_u32 v38, v4, s37
	v_mad_u64_u32 v[24:25], s[14:15], v4, s36, 0
	v_add3_u32 v25, v25, v38, v37
	v_lshl_add_u64 v[22:23], v[22:23], 1, s[38:39]
	v_lshl_add_u64 v[24:25], v[24:25], 1, s[38:39]
	s_mov_b64 s[24:25], 0
	s_mov_b64 s[30:31], s[36:37]
                                        ; implicit-def: $sgpr26_sgpr27
                                        ; implicit-def: $sgpr28_sgpr29
                                        ; implicit-def: $sgpr14_sgpr15
                                        ; implicit-def: $sgpr44_sgpr45
	s_branch .LBB627_1161
.LBB627_1160:                           ;   in Loop: Header=BB627_1161 Depth=1
	s_or_b64 exec, exec, s[48:49]
	s_and_b64 s[16:17], exec, s[28:29]
	s_or_b64 s[24:25], s[16:17], s[24:25]
	s_andn2_b64 s[16:17], s[44:45], exec
	s_and_b64 s[44:45], s[46:47], exec
	s_or_b64 s[44:45], s[16:17], s[44:45]
	s_andn2_b64 s[16:17], s[26:27], exec
	s_and_b64 s[26:27], s[14:15], exec
	s_or_b64 s[26:27], s[16:17], s[26:27]
	s_andn2_b64 exec, exec, s[24:25]
	s_cbranch_execz .LBB627_1163
.LBB627_1161:                           ; =>This Inner Loop Header: Depth=1
	global_load_ushort v37, v[22:23], off
	global_load_ushort v38, v[24:25], off
	s_andn2_b64 s[48:49], s[14:15], exec
	s_or_b64 s[28:29], s[28:29], exec
	s_waitcnt vmcnt(0)
	v_cmp_le_i16_e64 s[14:15], v37, v38
	v_cmp_lt_i16_e32 vcc, v37, v38
	s_and_b64 s[14:15], s[14:15], s[44:45]
	s_or_b64 s[46:47], vcc, s[14:15]
	s_and_b64 s[14:15], s[46:47], exec
	v_cmp_eq_u16_e64 s[16:17], v37, v38
	s_or_b64 s[14:15], s[48:49], s[14:15]
	s_and_saveexec_b64 s[48:49], s[16:17]
	s_cbranch_execz .LBB627_1160
; %bb.1162:                             ;   in Loop: Header=BB627_1161 Depth=1
	s_add_u32 s30, s30, -1
	s_addc_u32 s31, s31, -1
	s_cmp_eq_u64 s[30:31], 0
	s_cselect_b64 s[16:17], -1, 0
	s_andn2_b64 s[28:29], s[28:29], exec
	s_and_b64 s[16:17], s[16:17], exec
	v_lshl_add_u64 v[22:23], v[22:23], 0, 2
	v_lshl_add_u64 v[24:25], v[24:25], 0, 2
	s_andn2_b64 s[14:15], s[14:15], exec
	s_or_b64 s[28:29], s[28:29], s[16:17]
                                        ; implicit-def: $sgpr44_sgpr45
	s_branch .LBB627_1160
.LBB627_1163:
	s_or_b64 exec, exec, s[24:25]
	v_cndmask_b32_e64 v5, v5, v1, s[26:27]
	v_cndmask_b32_e64 v4, v4, v0, s[26:27]
.LBB627_1164:
	v_mov_b64_e32 v[0:1], v[4:5]
.LBB627_1165:
	s_or_b64 exec, exec, s[22:23]
	v_mov_b64_e32 v[4:5], v[0:1]
.LBB627_1166:
	s_or_b64 exec, exec, s[20:21]
.LBB627_1167:
	s_or_b64 exec, exec, s[18:19]
	v_and_b32_e32 v39, 0x3c0, v35
	v_or_b32_e32 v0, 32, v39
	v_min_u32_e32 v24, v34, v0
	v_add_u32_e32 v0, 32, v24
	v_min_u32_e32 v25, v34, v0
	v_and_b32_e32 v0, 56, v35
	v_min_u32_e32 v40, v34, v0
	v_sub_u32_e32 v0, v24, v39
	v_sub_u32_e32 v1, v25, v24
	v_sub_u32_e64 v38, v40, v1 clamp
	v_min_u32_e32 v41, v40, v0
	v_lshl_add_u32 v37, v39, 3, v33
	v_cmp_lt_u32_e32 vcc, v38, v41
	; wave barrier
	ds_write_b128 v36, v[14:17]
	ds_write_b128 v36, v[10:13] offset:16
	ds_write_b128 v36, v[6:9] offset:32
	;; [unrolled: 1-line block ×3, first 2 shown]
	; wave barrier
	s_and_saveexec_b64 s[20:21], vcc
	s_cbranch_execz .LBB627_1177
; %bb.1168:
	v_lshlrev_b32_e32 v0, 3, v24
	v_lshlrev_b32_e32 v1, 3, v40
	v_add3_u32 v42, v33, v0, v1
	v_cndmask_b32_e64 v0, 0, 1, s[42:43]
	s_lshl_b64 s[24:25], s[36:37], 1
	s_mov_b64 s[22:23], 0
	v_cmp_ne_u32_e64 s[14:15], 1, v0
	s_branch .LBB627_1171
.LBB627_1169:                           ;   in Loop: Header=BB627_1171 Depth=1
	s_or_b64 exec, exec, s[28:29]
.LBB627_1170:                           ;   in Loop: Header=BB627_1171 Depth=1
	v_add_u32_e32 v0, 1, v43
	v_cndmask_b32_e64 v41, v41, v43, s[26:27]
	v_cndmask_b32_e64 v38, v0, v38, s[26:27]
	v_cmp_ge_u32_e32 vcc, v38, v41
	s_or_b64 s[22:23], vcc, s[22:23]
	s_andn2_b64 exec, exec, s[22:23]
	s_cbranch_execz .LBB627_1176
.LBB627_1171:                           ; =>This Loop Header: Depth=1
                                        ;     Child Loop BB627_1174 Depth 2
	v_add_u32_e32 v0, v41, v38
	v_lshrrev_b32_e32 v43, 1, v0
	s_and_b64 vcc, exec, s[14:15]
	s_mov_b64 s[26:27], 0
	s_cbranch_vccnz .LBB627_1170
; %bb.1172:                             ;   in Loop: Header=BB627_1171 Depth=1
	v_not_b32_e32 v0, v43
	v_lshl_add_u32 v0, v0, 3, v42
	ds_read_b64 v[0:1], v0
	v_lshl_add_u32 v44, v43, 3, v37
	ds_read_b64 v[44:45], v44
	v_mov_b64_e32 v[22:23], s[38:39]
	s_mov_b64 s[28:29], 0
	s_waitcnt lgkmcnt(1)
	v_mul_lo_u32 v46, s24, v1
	v_mul_lo_u32 v47, s25, v0
	v_mad_u64_u32 v[0:1], s[16:17], s24, v0, v[22:23]
	v_add3_u32 v1, v47, v1, v46
	s_waitcnt lgkmcnt(0)
	v_mul_lo_u32 v45, s24, v45
	v_mul_lo_u32 v46, s25, v44
	v_mad_u64_u32 v[22:23], s[16:17], s24, v44, v[22:23]
	v_add3_u32 v23, v46, v23, v45
	s_mov_b64 s[44:45], s[36:37]
                                        ; implicit-def: $sgpr26_sgpr27
                                        ; implicit-def: $sgpr30_sgpr31
                                        ; implicit-def: $sgpr16_sgpr17
                                        ; implicit-def: $sgpr46_sgpr47
	s_branch .LBB627_1174
.LBB627_1173:                           ;   in Loop: Header=BB627_1174 Depth=2
	s_or_b64 exec, exec, s[50:51]
	s_and_b64 s[18:19], exec, s[30:31]
	s_or_b64 s[28:29], s[18:19], s[28:29]
	s_andn2_b64 s[18:19], s[46:47], exec
	s_and_b64 s[46:47], s[48:49], exec
	s_or_b64 s[46:47], s[18:19], s[46:47]
	s_andn2_b64 s[18:19], s[26:27], exec
	s_and_b64 s[26:27], s[16:17], exec
	s_or_b64 s[26:27], s[18:19], s[26:27]
	s_andn2_b64 exec, exec, s[28:29]
	s_cbranch_execz .LBB627_1169
.LBB627_1174:                           ;   Parent Loop BB627_1171 Depth=1
                                        ; =>  This Inner Loop Header: Depth=2
	global_load_ushort v44, v[0:1], off
	global_load_ushort v45, v[22:23], off
	s_andn2_b64 s[50:51], s[16:17], exec
	s_or_b64 s[30:31], s[30:31], exec
	s_waitcnt vmcnt(0)
	v_cmp_le_i16_e64 s[16:17], v44, v45
	v_cmp_lt_i16_e32 vcc, v44, v45
	s_and_b64 s[16:17], s[16:17], s[46:47]
	s_or_b64 s[48:49], vcc, s[16:17]
	s_and_b64 s[16:17], s[48:49], exec
	v_cmp_eq_u16_e64 s[18:19], v44, v45
	s_or_b64 s[16:17], s[50:51], s[16:17]
	s_and_saveexec_b64 s[50:51], s[18:19]
	s_cbranch_execz .LBB627_1173
; %bb.1175:                             ;   in Loop: Header=BB627_1174 Depth=2
	s_add_u32 s44, s44, -1
	s_addc_u32 s45, s45, -1
	s_cmp_eq_u64 s[44:45], 0
	s_cselect_b64 s[18:19], -1, 0
	s_andn2_b64 s[30:31], s[30:31], exec
	s_and_b64 s[18:19], s[18:19], exec
	v_lshl_add_u64 v[0:1], v[0:1], 0, 2
	v_lshl_add_u64 v[22:23], v[22:23], 0, 2
	s_andn2_b64 s[16:17], s[16:17], exec
	s_or_b64 s[30:31], s[30:31], s[18:19]
                                        ; implicit-def: $sgpr46_sgpr47
	s_branch .LBB627_1173
.LBB627_1176:
	s_or_b64 exec, exec, s[22:23]
.LBB627_1177:
	s_or_b64 exec, exec, s[20:21]
	v_add_u32_e32 v0, v24, v40
	v_add_u32_e32 v23, v38, v39
	v_sub_u32_e32 v39, v0, v38
	v_cmp_le_u32_e32 vcc, v23, v24
	v_cmp_le_u32_e64 s[14:15], v39, v25
	s_or_b64 s[14:15], vcc, s[14:15]
	s_and_saveexec_b64 s[18:19], s[14:15]
	s_cbranch_execz .LBB627_1268
; %bb.1178:
	v_cmp_ge_u32_e32 vcc, v23, v24
	v_cmp_lt_u32_e64 s[14:15], v23, v24
                                        ; implicit-def: $vgpr0_vgpr1
	s_and_saveexec_b64 s[16:17], s[14:15]
; %bb.1179:
	v_lshl_add_u32 v0, v38, 3, v37
	ds_read_b64 v[0:1], v0
; %bb.1180:
	s_or_b64 exec, exec, s[16:17]
	v_cmp_ge_u32_e64 s[20:21], v39, v25
	v_cmp_lt_u32_e64 s[14:15], v39, v25
                                        ; implicit-def: $vgpr2_vgpr3
	s_and_saveexec_b64 s[16:17], s[14:15]
; %bb.1181:
	v_lshl_add_u32 v2, v39, 3, v33
	ds_read_b64 v[2:3], v2
; %bb.1182:
	s_or_b64 exec, exec, s[16:17]
	s_nor_b64 s[14:15], vcc, s[20:21]
	s_and_saveexec_b64 s[22:23], s[14:15]
	s_cbranch_execz .LBB627_1191
; %bb.1183:
	s_andn2_b64 vcc, exec, s[42:43]
	s_cbranch_vccnz .LBB627_1189
; %bb.1184:
	s_waitcnt lgkmcnt(0)
	v_mul_lo_u32 v6, v3, s36
	v_mul_lo_u32 v7, v2, s37
	v_mad_u64_u32 v[4:5], s[14:15], v2, s36, 0
	v_add3_u32 v5, v5, v7, v6
	v_mul_lo_u32 v8, v1, s36
	v_mul_lo_u32 v9, v0, s37
	v_mad_u64_u32 v[6:7], s[14:15], v0, s36, 0
	v_add3_u32 v7, v7, v9, v8
	v_lshl_add_u64 v[4:5], v[4:5], 1, s[38:39]
	v_lshl_add_u64 v[6:7], v[6:7], 1, s[38:39]
	s_mov_b64 s[24:25], 0
	s_mov_b64 s[30:31], s[36:37]
                                        ; implicit-def: $sgpr26_sgpr27
                                        ; implicit-def: $sgpr28_sgpr29
                                        ; implicit-def: $sgpr14_sgpr15
                                        ; implicit-def: $sgpr44_sgpr45
	s_branch .LBB627_1186
.LBB627_1185:                           ;   in Loop: Header=BB627_1186 Depth=1
	s_or_b64 exec, exec, s[48:49]
	s_and_b64 s[16:17], exec, s[28:29]
	s_or_b64 s[24:25], s[16:17], s[24:25]
	s_andn2_b64 s[16:17], s[44:45], exec
	s_and_b64 s[44:45], s[46:47], exec
	s_or_b64 s[44:45], s[16:17], s[44:45]
	s_andn2_b64 s[16:17], s[26:27], exec
	s_and_b64 s[26:27], s[14:15], exec
	s_or_b64 s[26:27], s[16:17], s[26:27]
	s_andn2_b64 exec, exec, s[24:25]
	s_cbranch_execz .LBB627_1188
.LBB627_1186:                           ; =>This Inner Loop Header: Depth=1
	global_load_ushort v8, v[4:5], off
	global_load_ushort v9, v[6:7], off
	s_andn2_b64 s[48:49], s[14:15], exec
	s_or_b64 s[28:29], s[28:29], exec
	s_waitcnt vmcnt(0)
	v_cmp_le_i16_e64 s[14:15], v8, v9
	v_cmp_lt_i16_e32 vcc, v8, v9
	s_and_b64 s[14:15], s[14:15], s[44:45]
	s_or_b64 s[46:47], vcc, s[14:15]
	s_and_b64 s[14:15], s[46:47], exec
	v_cmp_eq_u16_e64 s[16:17], v8, v9
	s_or_b64 s[14:15], s[48:49], s[14:15]
	s_and_saveexec_b64 s[48:49], s[16:17]
	s_cbranch_execz .LBB627_1185
; %bb.1187:                             ;   in Loop: Header=BB627_1186 Depth=1
	s_add_u32 s30, s30, -1
	s_addc_u32 s31, s31, -1
	s_cmp_eq_u64 s[30:31], 0
	s_cselect_b64 s[16:17], -1, 0
	s_andn2_b64 s[28:29], s[28:29], exec
	s_and_b64 s[16:17], s[16:17], exec
	v_lshl_add_u64 v[4:5], v[4:5], 0, 2
	v_lshl_add_u64 v[6:7], v[6:7], 0, 2
	s_andn2_b64 s[14:15], s[14:15], exec
	s_or_b64 s[28:29], s[28:29], s[16:17]
                                        ; implicit-def: $sgpr44_sgpr45
	s_branch .LBB627_1185
.LBB627_1188:
	s_or_b64 exec, exec, s[24:25]
	s_xor_b64 s[14:15], s[26:27], -1
	s_branch .LBB627_1190
.LBB627_1189:
	s_mov_b64 s[14:15], -1
.LBB627_1190:
	s_andn2_b64 s[16:17], s[20:21], exec
	s_and_b64 s[14:15], s[14:15], exec
	s_or_b64 s[20:21], s[16:17], s[14:15]
.LBB627_1191:
	s_or_b64 exec, exec, s[22:23]
	v_cndmask_b32_e64 v4, v39, v23, s[20:21]
	v_cndmask_b32_e64 v5, v25, v24, s[20:21]
	v_add_u32_e32 v6, 1, v4
	v_add_u32_e32 v4, -1, v5
	v_min_u32_e32 v4, v6, v4
	v_lshl_add_u32 v4, v4, 3, v33
	ds_read_b64 v[4:5], v4
	v_cndmask_b32_e64 v8, v6, v39, s[20:21]
	v_cndmask_b32_e64 v9, v23, v6, s[20:21]
	v_cmp_lt_u32_e32 vcc, v8, v25
	s_mov_b64 s[24:25], -1
	s_waitcnt lgkmcnt(0)
	v_cndmask_b32_e64 v14, v5, v3, s[20:21]
	v_cndmask_b32_e64 v15, v4, v2, s[20:21]
	;; [unrolled: 1-line block ×4, first 2 shown]
	s_mov_b64 s[22:23], -1
	s_and_saveexec_b64 s[26:27], vcc
	s_cbranch_execz .LBB627_1202
; %bb.1192:
	v_cmp_lt_u32_e32 vcc, v9, v24
	s_mov_b64 s[14:15], 0
	s_and_saveexec_b64 s[22:23], vcc
	s_cbranch_execz .LBB627_1201
; %bb.1193:
	s_andn2_b64 vcc, exec, s[42:43]
	s_cbranch_vccnz .LBB627_1199
; %bb.1194:
	v_mul_lo_u32 v6, v14, s36
	v_mul_lo_u32 v7, v15, s37
	v_mad_u64_u32 v[4:5], s[14:15], v15, s36, 0
	v_add3_u32 v5, v5, v7, v6
	v_mul_lo_u32 v10, v16, s36
	v_mul_lo_u32 v11, v22, s37
	v_mad_u64_u32 v[6:7], s[14:15], v22, s36, 0
	v_add3_u32 v7, v7, v11, v10
	v_lshl_add_u64 v[4:5], v[4:5], 1, s[38:39]
	v_lshl_add_u64 v[6:7], v[6:7], 1, s[38:39]
	s_mov_b64 s[28:29], 0
	s_mov_b64 s[46:47], s[36:37]
                                        ; implicit-def: $sgpr30_sgpr31
                                        ; implicit-def: $sgpr44_sgpr45
                                        ; implicit-def: $sgpr14_sgpr15
                                        ; implicit-def: $sgpr48_sgpr49
	s_branch .LBB627_1196
.LBB627_1195:                           ;   in Loop: Header=BB627_1196 Depth=1
	s_or_b64 exec, exec, s[52:53]
	s_and_b64 s[16:17], exec, s[44:45]
	s_or_b64 s[28:29], s[16:17], s[28:29]
	s_andn2_b64 s[16:17], s[48:49], exec
	s_and_b64 s[48:49], s[50:51], exec
	s_or_b64 s[48:49], s[16:17], s[48:49]
	s_andn2_b64 s[16:17], s[30:31], exec
	s_and_b64 s[30:31], s[14:15], exec
	s_or_b64 s[30:31], s[16:17], s[30:31]
	s_andn2_b64 exec, exec, s[28:29]
	s_cbranch_execz .LBB627_1198
.LBB627_1196:                           ; =>This Inner Loop Header: Depth=1
	global_load_ushort v10, v[4:5], off
	global_load_ushort v11, v[6:7], off
	s_andn2_b64 s[52:53], s[14:15], exec
	s_or_b64 s[44:45], s[44:45], exec
	s_waitcnt vmcnt(0)
	v_cmp_le_i16_e64 s[14:15], v10, v11
	v_cmp_lt_i16_e32 vcc, v10, v11
	s_and_b64 s[14:15], s[14:15], s[48:49]
	s_or_b64 s[50:51], vcc, s[14:15]
	s_and_b64 s[14:15], s[50:51], exec
	v_cmp_eq_u16_e64 s[16:17], v10, v11
	s_or_b64 s[14:15], s[52:53], s[14:15]
	s_and_saveexec_b64 s[52:53], s[16:17]
	s_cbranch_execz .LBB627_1195
; %bb.1197:                             ;   in Loop: Header=BB627_1196 Depth=1
	s_add_u32 s46, s46, -1
	s_addc_u32 s47, s47, -1
	s_cmp_eq_u64 s[46:47], 0
	s_cselect_b64 s[16:17], -1, 0
	s_andn2_b64 s[44:45], s[44:45], exec
	s_and_b64 s[16:17], s[16:17], exec
	v_lshl_add_u64 v[4:5], v[4:5], 0, 2
	v_lshl_add_u64 v[6:7], v[6:7], 0, 2
	s_andn2_b64 s[14:15], s[14:15], exec
	s_or_b64 s[44:45], s[44:45], s[16:17]
                                        ; implicit-def: $sgpr48_sgpr49
	s_branch .LBB627_1195
.LBB627_1198:
	s_or_b64 exec, exec, s[28:29]
	s_xor_b64 s[14:15], s[30:31], -1
	s_branch .LBB627_1200
.LBB627_1199:
	s_mov_b64 s[14:15], -1
.LBB627_1200:
	s_and_b64 s[14:15], s[14:15], exec
.LBB627_1201:
	s_or_b64 exec, exec, s[22:23]
	s_orn2_b64 s[22:23], s[14:15], exec
.LBB627_1202:
	s_or_b64 exec, exec, s[26:27]
	v_cndmask_b32_e64 v4, v8, v9, s[22:23]
	v_cndmask_b32_e64 v5, v25, v24, s[22:23]
	v_add_u32_e32 v6, 1, v4
	v_add_u32_e32 v4, -1, v5
	v_min_u32_e32 v4, v6, v4
	v_lshl_add_u32 v4, v4, 3, v33
	ds_read_b64 v[4:5], v4
	v_cndmask_b32_e64 v8, v6, v8, s[22:23]
	v_cndmask_b32_e64 v9, v9, v6, s[22:23]
	v_cmp_lt_u32_e32 vcc, v8, v25
	s_waitcnt lgkmcnt(0)
	v_cndmask_b32_e64 v10, v5, v14, s[22:23]
	v_cndmask_b32_e64 v17, v4, v15, s[22:23]
	;; [unrolled: 1-line block ×4, first 2 shown]
	s_and_saveexec_b64 s[26:27], vcc
	s_cbranch_execz .LBB627_1213
; %bb.1203:
	v_cmp_lt_u32_e32 vcc, v9, v24
	s_mov_b64 s[14:15], 0
	s_and_saveexec_b64 s[24:25], vcc
	s_cbranch_execz .LBB627_1212
; %bb.1204:
	s_andn2_b64 vcc, exec, s[42:43]
	s_cbranch_vccnz .LBB627_1210
; %bb.1205:
	v_mul_lo_u32 v6, v10, s36
	v_mul_lo_u32 v7, v17, s37
	v_mad_u64_u32 v[4:5], s[14:15], v17, s36, 0
	v_add3_u32 v5, v5, v7, v6
	v_mul_lo_u32 v12, v11, s36
	v_mul_lo_u32 v13, v23, s37
	v_mad_u64_u32 v[6:7], s[14:15], v23, s36, 0
	v_add3_u32 v7, v7, v13, v12
	v_lshl_add_u64 v[4:5], v[4:5], 1, s[38:39]
	v_lshl_add_u64 v[6:7], v[6:7], 1, s[38:39]
	s_mov_b64 s[28:29], 0
	s_mov_b64 s[46:47], s[36:37]
                                        ; implicit-def: $sgpr30_sgpr31
                                        ; implicit-def: $sgpr44_sgpr45
                                        ; implicit-def: $sgpr14_sgpr15
                                        ; implicit-def: $sgpr48_sgpr49
	s_branch .LBB627_1207
.LBB627_1206:                           ;   in Loop: Header=BB627_1207 Depth=1
	s_or_b64 exec, exec, s[52:53]
	s_and_b64 s[16:17], exec, s[44:45]
	s_or_b64 s[28:29], s[16:17], s[28:29]
	s_andn2_b64 s[16:17], s[48:49], exec
	s_and_b64 s[48:49], s[50:51], exec
	s_or_b64 s[48:49], s[16:17], s[48:49]
	s_andn2_b64 s[16:17], s[30:31], exec
	s_and_b64 s[30:31], s[14:15], exec
	s_or_b64 s[30:31], s[16:17], s[30:31]
	s_andn2_b64 exec, exec, s[28:29]
	s_cbranch_execz .LBB627_1209
.LBB627_1207:                           ; =>This Inner Loop Header: Depth=1
	global_load_ushort v12, v[4:5], off
	global_load_ushort v13, v[6:7], off
	s_andn2_b64 s[52:53], s[14:15], exec
	s_or_b64 s[44:45], s[44:45], exec
	s_waitcnt vmcnt(0)
	v_cmp_le_i16_e64 s[14:15], v12, v13
	v_cmp_lt_i16_e32 vcc, v12, v13
	s_and_b64 s[14:15], s[14:15], s[48:49]
	s_or_b64 s[50:51], vcc, s[14:15]
	s_and_b64 s[14:15], s[50:51], exec
	v_cmp_eq_u16_e64 s[16:17], v12, v13
	s_or_b64 s[14:15], s[52:53], s[14:15]
	s_and_saveexec_b64 s[52:53], s[16:17]
	s_cbranch_execz .LBB627_1206
; %bb.1208:                             ;   in Loop: Header=BB627_1207 Depth=1
	s_add_u32 s46, s46, -1
	s_addc_u32 s47, s47, -1
	s_cmp_eq_u64 s[46:47], 0
	s_cselect_b64 s[16:17], -1, 0
	s_andn2_b64 s[44:45], s[44:45], exec
	s_and_b64 s[16:17], s[16:17], exec
	v_lshl_add_u64 v[4:5], v[4:5], 0, 2
	v_lshl_add_u64 v[6:7], v[6:7], 0, 2
	s_andn2_b64 s[14:15], s[14:15], exec
	s_or_b64 s[44:45], s[44:45], s[16:17]
                                        ; implicit-def: $sgpr48_sgpr49
	s_branch .LBB627_1206
.LBB627_1209:
	s_or_b64 exec, exec, s[28:29]
	s_xor_b64 s[14:15], s[30:31], -1
	s_branch .LBB627_1211
.LBB627_1210:
	s_mov_b64 s[14:15], -1
.LBB627_1211:
	s_and_b64 s[14:15], s[14:15], exec
.LBB627_1212:
	s_or_b64 exec, exec, s[24:25]
	s_orn2_b64 s[24:25], s[14:15], exec
.LBB627_1213:
	s_or_b64 exec, exec, s[26:27]
	v_cndmask_b32_e64 v4, v8, v9, s[24:25]
	v_cndmask_b32_e64 v5, v25, v24, s[24:25]
	v_add_u32_e32 v6, 1, v4
	v_add_u32_e32 v4, -1, v5
	v_min_u32_e32 v4, v6, v4
	v_lshl_add_u32 v4, v4, 3, v33
	ds_read_b64 v[4:5], v4
	v_cndmask_b32_e64 v8, v6, v8, s[24:25]
	v_cndmask_b32_e64 v9, v9, v6, s[24:25]
	v_cmp_lt_u32_e32 vcc, v8, v25
	s_mov_b64 s[28:29], -1
	s_waitcnt lgkmcnt(0)
	v_cndmask_b32_e64 v12, v5, v10, s[24:25]
	v_cndmask_b32_e64 v37, v4, v17, s[24:25]
	;; [unrolled: 1-line block ×4, first 2 shown]
	s_mov_b64 s[26:27], -1
	s_and_saveexec_b64 s[30:31], vcc
	s_cbranch_execz .LBB627_1224
; %bb.1214:
	v_cmp_lt_u32_e32 vcc, v9, v24
	s_mov_b64 s[14:15], 0
	s_and_saveexec_b64 s[26:27], vcc
	s_cbranch_execz .LBB627_1223
; %bb.1215:
	s_andn2_b64 vcc, exec, s[42:43]
	s_cbranch_vccnz .LBB627_1221
; %bb.1216:
	v_mul_lo_u32 v6, v12, s36
	v_mul_lo_u32 v7, v37, s37
	v_mad_u64_u32 v[4:5], s[14:15], v37, s36, 0
	v_add3_u32 v5, v5, v7, v6
	v_mul_lo_u32 v39, v13, s36
	v_mul_lo_u32 v40, v38, s37
	v_mad_u64_u32 v[6:7], s[14:15], v38, s36, 0
	v_add3_u32 v7, v7, v40, v39
	v_lshl_add_u64 v[4:5], v[4:5], 1, s[38:39]
	v_lshl_add_u64 v[6:7], v[6:7], 1, s[38:39]
	s_mov_b64 s[44:45], 0
	s_mov_b64 s[50:51], s[36:37]
                                        ; implicit-def: $sgpr46_sgpr47
                                        ; implicit-def: $sgpr48_sgpr49
                                        ; implicit-def: $sgpr14_sgpr15
                                        ; implicit-def: $sgpr52_sgpr53
	s_branch .LBB627_1218
.LBB627_1217:                           ;   in Loop: Header=BB627_1218 Depth=1
	s_or_b64 exec, exec, s[56:57]
	s_and_b64 s[16:17], exec, s[48:49]
	s_or_b64 s[44:45], s[16:17], s[44:45]
	s_andn2_b64 s[16:17], s[52:53], exec
	s_and_b64 s[52:53], s[54:55], exec
	s_or_b64 s[52:53], s[16:17], s[52:53]
	s_andn2_b64 s[16:17], s[46:47], exec
	s_and_b64 s[46:47], s[14:15], exec
	s_or_b64 s[46:47], s[16:17], s[46:47]
	s_andn2_b64 exec, exec, s[44:45]
	s_cbranch_execz .LBB627_1220
.LBB627_1218:                           ; =>This Inner Loop Header: Depth=1
	global_load_ushort v39, v[4:5], off
	global_load_ushort v40, v[6:7], off
	s_andn2_b64 s[56:57], s[14:15], exec
	s_or_b64 s[48:49], s[48:49], exec
	s_waitcnt vmcnt(0)
	v_cmp_le_i16_e64 s[14:15], v39, v40
	v_cmp_lt_i16_e32 vcc, v39, v40
	s_and_b64 s[14:15], s[14:15], s[52:53]
	s_or_b64 s[54:55], vcc, s[14:15]
	s_and_b64 s[14:15], s[54:55], exec
	v_cmp_eq_u16_e64 s[16:17], v39, v40
	s_or_b64 s[14:15], s[56:57], s[14:15]
	s_and_saveexec_b64 s[56:57], s[16:17]
	s_cbranch_execz .LBB627_1217
; %bb.1219:                             ;   in Loop: Header=BB627_1218 Depth=1
	s_add_u32 s50, s50, -1
	s_addc_u32 s51, s51, -1
	s_cmp_eq_u64 s[50:51], 0
	s_cselect_b64 s[16:17], -1, 0
	s_andn2_b64 s[48:49], s[48:49], exec
	s_and_b64 s[16:17], s[16:17], exec
	v_lshl_add_u64 v[4:5], v[4:5], 0, 2
	v_lshl_add_u64 v[6:7], v[6:7], 0, 2
	s_andn2_b64 s[14:15], s[14:15], exec
	s_or_b64 s[48:49], s[48:49], s[16:17]
                                        ; implicit-def: $sgpr52_sgpr53
	s_branch .LBB627_1217
.LBB627_1220:
	s_or_b64 exec, exec, s[44:45]
	s_xor_b64 s[14:15], s[46:47], -1
	s_branch .LBB627_1222
.LBB627_1221:
	s_mov_b64 s[14:15], -1
.LBB627_1222:
	s_and_b64 s[14:15], s[14:15], exec
.LBB627_1223:
	s_or_b64 exec, exec, s[26:27]
	s_orn2_b64 s[26:27], s[14:15], exec
.LBB627_1224:
	s_or_b64 exec, exec, s[30:31]
	v_cndmask_b32_e64 v4, v8, v9, s[26:27]
	v_cndmask_b32_e64 v5, v25, v24, s[26:27]
	v_add_u32_e32 v6, 1, v4
	v_add_u32_e32 v4, -1, v5
	v_min_u32_e32 v4, v6, v4
	v_lshl_add_u32 v4, v4, 3, v33
	ds_read_b64 v[4:5], v4
	v_cndmask_b32_e64 v45, v6, v8, s[26:27]
	v_cndmask_b32_e64 v46, v9, v6, s[26:27]
	v_cmp_lt_u32_e32 vcc, v45, v25
	s_waitcnt lgkmcnt(0)
	v_cndmask_b32_e64 v39, v5, v12, s[26:27]
	v_cndmask_b32_e64 v40, v4, v37, s[26:27]
	;; [unrolled: 1-line block ×4, first 2 shown]
	s_and_saveexec_b64 s[30:31], vcc
	s_cbranch_execz .LBB627_1235
; %bb.1225:
	v_cmp_lt_u32_e32 vcc, v46, v24
	s_mov_b64 s[14:15], 0
	s_and_saveexec_b64 s[28:29], vcc
	s_cbranch_execz .LBB627_1234
; %bb.1226:
	s_andn2_b64 vcc, exec, s[42:43]
	s_cbranch_vccnz .LBB627_1232
; %bb.1227:
	v_mul_lo_u32 v6, v39, s36
	v_mul_lo_u32 v7, v40, s37
	v_mad_u64_u32 v[4:5], s[14:15], v40, s36, 0
	v_add3_u32 v5, v5, v7, v6
	v_mul_lo_u32 v8, v41, s36
	v_mul_lo_u32 v9, v42, s37
	v_mad_u64_u32 v[6:7], s[14:15], v42, s36, 0
	v_add3_u32 v7, v7, v9, v8
	v_lshl_add_u64 v[4:5], v[4:5], 1, s[38:39]
	v_lshl_add_u64 v[6:7], v[6:7], 1, s[38:39]
	s_mov_b64 s[44:45], 0
	s_mov_b64 s[50:51], s[36:37]
                                        ; implicit-def: $sgpr46_sgpr47
                                        ; implicit-def: $sgpr48_sgpr49
                                        ; implicit-def: $sgpr14_sgpr15
                                        ; implicit-def: $sgpr52_sgpr53
	s_branch .LBB627_1229
.LBB627_1228:                           ;   in Loop: Header=BB627_1229 Depth=1
	s_or_b64 exec, exec, s[56:57]
	s_and_b64 s[16:17], exec, s[48:49]
	s_or_b64 s[44:45], s[16:17], s[44:45]
	s_andn2_b64 s[16:17], s[52:53], exec
	s_and_b64 s[52:53], s[54:55], exec
	s_or_b64 s[52:53], s[16:17], s[52:53]
	s_andn2_b64 s[16:17], s[46:47], exec
	s_and_b64 s[46:47], s[14:15], exec
	s_or_b64 s[46:47], s[16:17], s[46:47]
	s_andn2_b64 exec, exec, s[44:45]
	s_cbranch_execz .LBB627_1231
.LBB627_1229:                           ; =>This Inner Loop Header: Depth=1
	global_load_ushort v8, v[4:5], off
	global_load_ushort v9, v[6:7], off
	s_andn2_b64 s[56:57], s[14:15], exec
	s_or_b64 s[48:49], s[48:49], exec
	s_waitcnt vmcnt(0)
	v_cmp_le_i16_e64 s[14:15], v8, v9
	v_cmp_lt_i16_e32 vcc, v8, v9
	s_and_b64 s[14:15], s[14:15], s[52:53]
	s_or_b64 s[54:55], vcc, s[14:15]
	s_and_b64 s[14:15], s[54:55], exec
	v_cmp_eq_u16_e64 s[16:17], v8, v9
	s_or_b64 s[14:15], s[56:57], s[14:15]
	s_and_saveexec_b64 s[56:57], s[16:17]
	s_cbranch_execz .LBB627_1228
; %bb.1230:                             ;   in Loop: Header=BB627_1229 Depth=1
	s_add_u32 s50, s50, -1
	s_addc_u32 s51, s51, -1
	s_cmp_eq_u64 s[50:51], 0
	s_cselect_b64 s[16:17], -1, 0
	s_andn2_b64 s[48:49], s[48:49], exec
	s_and_b64 s[16:17], s[16:17], exec
	v_lshl_add_u64 v[4:5], v[4:5], 0, 2
	v_lshl_add_u64 v[6:7], v[6:7], 0, 2
	s_andn2_b64 s[14:15], s[14:15], exec
	s_or_b64 s[48:49], s[48:49], s[16:17]
                                        ; implicit-def: $sgpr52_sgpr53
	s_branch .LBB627_1228
.LBB627_1231:
	s_or_b64 exec, exec, s[44:45]
	s_xor_b64 s[14:15], s[46:47], -1
	s_branch .LBB627_1233
.LBB627_1232:
	s_mov_b64 s[14:15], -1
.LBB627_1233:
	s_and_b64 s[14:15], s[14:15], exec
.LBB627_1234:
	s_or_b64 exec, exec, s[28:29]
	s_orn2_b64 s[28:29], s[14:15], exec
.LBB627_1235:
	s_or_b64 exec, exec, s[30:31]
	v_cndmask_b32_e64 v4, v45, v46, s[28:29]
	v_cndmask_b32_e64 v5, v25, v24, s[28:29]
	v_add_u32_e32 v6, 1, v4
	v_add_u32_e32 v4, -1, v5
	v_min_u32_e32 v4, v6, v4
	v_lshl_add_u32 v4, v4, 3, v33
	ds_read_b64 v[4:5], v4
	v_cndmask_b32_e64 v47, v6, v45, s[28:29]
	v_cndmask_b32_e64 v51, v46, v6, s[28:29]
	v_cmp_lt_u32_e32 vcc, v47, v25
	s_mov_b64 s[30:31], -1
	s_waitcnt lgkmcnt(0)
	v_cndmask_b32_e64 v8, v5, v39, s[28:29]
	v_cndmask_b32_e64 v43, v4, v40, s[28:29]
	;; [unrolled: 1-line block ×4, first 2 shown]
	s_mov_b64 s[44:45], -1
	s_and_saveexec_b64 s[46:47], vcc
	s_cbranch_execz .LBB627_1246
; %bb.1236:
	v_cmp_lt_u32_e32 vcc, v51, v24
	s_mov_b64 s[14:15], 0
	s_and_saveexec_b64 s[44:45], vcc
	s_cbranch_execz .LBB627_1245
; %bb.1237:
	s_andn2_b64 vcc, exec, s[42:43]
	s_cbranch_vccnz .LBB627_1243
; %bb.1238:
	v_mul_lo_u32 v6, v8, s36
	v_mul_lo_u32 v7, v43, s37
	v_mad_u64_u32 v[4:5], s[14:15], v43, s36, 0
	v_add3_u32 v5, v5, v7, v6
	v_mul_lo_u32 v45, v9, s36
	v_mul_lo_u32 v46, v44, s37
	v_mad_u64_u32 v[6:7], s[14:15], v44, s36, 0
	v_add3_u32 v7, v7, v46, v45
	v_lshl_add_u64 v[4:5], v[4:5], 1, s[38:39]
	v_lshl_add_u64 v[6:7], v[6:7], 1, s[38:39]
	s_mov_b64 s[48:49], 0
	s_mov_b64 s[54:55], s[36:37]
                                        ; implicit-def: $sgpr50_sgpr51
                                        ; implicit-def: $sgpr52_sgpr53
                                        ; implicit-def: $sgpr14_sgpr15
                                        ; implicit-def: $sgpr56_sgpr57
	s_branch .LBB627_1240
.LBB627_1239:                           ;   in Loop: Header=BB627_1240 Depth=1
	s_or_b64 exec, exec, s[60:61]
	s_and_b64 s[16:17], exec, s[52:53]
	s_or_b64 s[48:49], s[16:17], s[48:49]
	s_andn2_b64 s[16:17], s[56:57], exec
	s_and_b64 s[56:57], s[58:59], exec
	s_or_b64 s[56:57], s[16:17], s[56:57]
	s_andn2_b64 s[16:17], s[50:51], exec
	s_and_b64 s[50:51], s[14:15], exec
	s_or_b64 s[50:51], s[16:17], s[50:51]
	s_andn2_b64 exec, exec, s[48:49]
	s_cbranch_execz .LBB627_1242
.LBB627_1240:                           ; =>This Inner Loop Header: Depth=1
	global_load_ushort v45, v[4:5], off
	global_load_ushort v46, v[6:7], off
	s_andn2_b64 s[60:61], s[14:15], exec
	s_or_b64 s[52:53], s[52:53], exec
	s_waitcnt vmcnt(0)
	v_cmp_le_i16_e64 s[14:15], v45, v46
	v_cmp_lt_i16_e32 vcc, v45, v46
	s_and_b64 s[14:15], s[14:15], s[56:57]
	s_or_b64 s[58:59], vcc, s[14:15]
	s_and_b64 s[14:15], s[58:59], exec
	v_cmp_eq_u16_e64 s[16:17], v45, v46
	s_or_b64 s[14:15], s[60:61], s[14:15]
	s_and_saveexec_b64 s[60:61], s[16:17]
	s_cbranch_execz .LBB627_1239
; %bb.1241:                             ;   in Loop: Header=BB627_1240 Depth=1
	s_add_u32 s54, s54, -1
	s_addc_u32 s55, s55, -1
	s_cmp_eq_u64 s[54:55], 0
	s_cselect_b64 s[16:17], -1, 0
	s_andn2_b64 s[52:53], s[52:53], exec
	s_and_b64 s[16:17], s[16:17], exec
	v_lshl_add_u64 v[4:5], v[4:5], 0, 2
	v_lshl_add_u64 v[6:7], v[6:7], 0, 2
	s_andn2_b64 s[14:15], s[14:15], exec
	s_or_b64 s[52:53], s[52:53], s[16:17]
                                        ; implicit-def: $sgpr56_sgpr57
	s_branch .LBB627_1239
.LBB627_1242:
	s_or_b64 exec, exec, s[48:49]
	s_xor_b64 s[14:15], s[50:51], -1
	s_branch .LBB627_1244
.LBB627_1243:
	s_mov_b64 s[14:15], -1
.LBB627_1244:
	s_and_b64 s[14:15], s[14:15], exec
.LBB627_1245:
	s_or_b64 exec, exec, s[44:45]
	s_orn2_b64 s[44:45], s[14:15], exec
.LBB627_1246:
	s_or_b64 exec, exec, s[46:47]
	v_cndmask_b32_e64 v4, v47, v51, s[44:45]
	v_cndmask_b32_e64 v5, v25, v24, s[44:45]
	v_add_u32_e32 v6, 1, v4
	v_add_u32_e32 v4, -1, v5
	v_min_u32_e32 v4, v6, v4
	v_lshl_add_u32 v4, v4, 3, v33
	ds_read_b64 v[4:5], v4
	v_cndmask_b32_e64 v48, v6, v47, s[44:45]
	v_cndmask_b32_e64 v47, v51, v6, s[44:45]
	v_cmp_lt_u32_e32 vcc, v48, v25
	s_waitcnt lgkmcnt(0)
	v_cndmask_b32_e64 v45, v5, v8, s[44:45]
	v_cndmask_b32_e64 v46, v4, v43, s[44:45]
	;; [unrolled: 1-line block ×4, first 2 shown]
	s_and_saveexec_b64 s[46:47], vcc
	s_cbranch_execz .LBB627_1257
; %bb.1247:
	v_cmp_lt_u32_e32 vcc, v47, v24
	s_mov_b64 s[14:15], 0
	s_and_saveexec_b64 s[30:31], vcc
	s_cbranch_execz .LBB627_1256
; %bb.1248:
	s_andn2_b64 vcc, exec, s[42:43]
	s_cbranch_vccnz .LBB627_1254
; %bb.1249:
	v_mul_lo_u32 v6, v45, s36
	v_mul_lo_u32 v7, v46, s37
	v_mad_u64_u32 v[4:5], s[14:15], v46, s36, 0
	v_add3_u32 v5, v5, v7, v6
	v_mul_lo_u32 v51, v49, s36
	v_mul_lo_u32 v52, v50, s37
	v_mad_u64_u32 v[6:7], s[14:15], v50, s36, 0
	v_add3_u32 v7, v7, v52, v51
	v_lshl_add_u64 v[4:5], v[4:5], 1, s[38:39]
	v_lshl_add_u64 v[6:7], v[6:7], 1, s[38:39]
	s_mov_b64 s[48:49], 0
	s_mov_b64 s[54:55], s[36:37]
                                        ; implicit-def: $sgpr50_sgpr51
                                        ; implicit-def: $sgpr52_sgpr53
                                        ; implicit-def: $sgpr14_sgpr15
                                        ; implicit-def: $sgpr56_sgpr57
	s_branch .LBB627_1251
.LBB627_1250:                           ;   in Loop: Header=BB627_1251 Depth=1
	s_or_b64 exec, exec, s[60:61]
	s_and_b64 s[16:17], exec, s[52:53]
	s_or_b64 s[48:49], s[16:17], s[48:49]
	s_andn2_b64 s[16:17], s[56:57], exec
	s_and_b64 s[56:57], s[58:59], exec
	s_or_b64 s[56:57], s[16:17], s[56:57]
	s_andn2_b64 s[16:17], s[50:51], exec
	s_and_b64 s[50:51], s[14:15], exec
	s_or_b64 s[50:51], s[16:17], s[50:51]
	s_andn2_b64 exec, exec, s[48:49]
	s_cbranch_execz .LBB627_1253
.LBB627_1251:                           ; =>This Inner Loop Header: Depth=1
	global_load_ushort v51, v[4:5], off
	global_load_ushort v52, v[6:7], off
	s_andn2_b64 s[60:61], s[14:15], exec
	s_or_b64 s[52:53], s[52:53], exec
	s_waitcnt vmcnt(0)
	v_cmp_le_i16_e64 s[14:15], v51, v52
	v_cmp_lt_i16_e32 vcc, v51, v52
	s_and_b64 s[14:15], s[14:15], s[56:57]
	s_or_b64 s[58:59], vcc, s[14:15]
	s_and_b64 s[14:15], s[58:59], exec
	v_cmp_eq_u16_e64 s[16:17], v51, v52
	s_or_b64 s[14:15], s[60:61], s[14:15]
	s_and_saveexec_b64 s[60:61], s[16:17]
	s_cbranch_execz .LBB627_1250
; %bb.1252:                             ;   in Loop: Header=BB627_1251 Depth=1
	s_add_u32 s54, s54, -1
	s_addc_u32 s55, s55, -1
	s_cmp_eq_u64 s[54:55], 0
	s_cselect_b64 s[16:17], -1, 0
	s_andn2_b64 s[52:53], s[52:53], exec
	s_and_b64 s[16:17], s[16:17], exec
	v_lshl_add_u64 v[4:5], v[4:5], 0, 2
	v_lshl_add_u64 v[6:7], v[6:7], 0, 2
	s_andn2_b64 s[14:15], s[14:15], exec
	s_or_b64 s[52:53], s[52:53], s[16:17]
                                        ; implicit-def: $sgpr56_sgpr57
	s_branch .LBB627_1250
.LBB627_1253:
	s_or_b64 exec, exec, s[48:49]
	s_xor_b64 s[14:15], s[50:51], -1
	s_branch .LBB627_1255
.LBB627_1254:
	s_mov_b64 s[14:15], -1
.LBB627_1255:
	s_and_b64 s[14:15], s[14:15], exec
.LBB627_1256:
	s_or_b64 exec, exec, s[30:31]
	s_orn2_b64 s[30:31], s[14:15], exec
.LBB627_1257:
	s_or_b64 exec, exec, s[46:47]
	v_cndmask_b32_e64 v4, v48, v47, s[30:31]
	v_cndmask_b32_e64 v5, v25, v24, s[30:31]
	v_cndmask_b32_e64 v13, v12, v13, s[26:27]
	v_cndmask_b32_e64 v12, v37, v38, s[26:27]
	v_add_u32_e32 v37, 1, v4
	v_add_u32_e32 v4, -1, v5
	v_min_u32_e32 v4, v37, v4
	v_lshl_add_u32 v4, v4, 3, v33
	v_cndmask_b32_e64 v11, v10, v11, s[24:25]
	v_cndmask_b32_e64 v10, v17, v23, s[24:25]
	;; [unrolled: 1-line block ×4, first 2 shown]
	ds_read_b64 v[22:23], v4
	v_cndmask_b32_e64 v14, v2, v0, s[20:21]
	v_cndmask_b32_e64 v0, v37, v48, s[30:31]
	;; [unrolled: 1-line block ×9, first 2 shown]
	s_waitcnt lgkmcnt(0)
	v_cndmask_b32_e64 v5, v49, v23, s[30:31]
	v_cndmask_b32_e64 v4, v50, v22, s[30:31]
	v_cmp_lt_u32_e32 vcc, v0, v25
	s_and_saveexec_b64 s[20:21], vcc
	s_cbranch_execz .LBB627_1267
; %bb.1258:
	v_cndmask_b32_e64 v0, v22, v46, s[30:31]
	v_cndmask_b32_e64 v22, v47, v37, s[30:31]
	;; [unrolled: 1-line block ×3, first 2 shown]
	v_cmp_lt_u32_e32 vcc, v22, v24
	s_and_saveexec_b64 s[22:23], vcc
	s_cbranch_execz .LBB627_1266
; %bb.1259:
	s_andn2_b64 vcc, exec, s[42:43]
	s_cbranch_vccnz .LBB627_1265
; %bb.1260:
	v_mul_lo_u32 v24, v1, s36
	v_mul_lo_u32 v25, v0, s37
	v_mad_u64_u32 v[22:23], s[14:15], v0, s36, 0
	v_add3_u32 v23, v23, v25, v24
	v_mul_lo_u32 v37, v5, s36
	v_mul_lo_u32 v38, v4, s37
	v_mad_u64_u32 v[24:25], s[14:15], v4, s36, 0
	v_add3_u32 v25, v25, v38, v37
	v_lshl_add_u64 v[22:23], v[22:23], 1, s[38:39]
	v_lshl_add_u64 v[24:25], v[24:25], 1, s[38:39]
	s_mov_b64 s[24:25], 0
	s_mov_b64 s[30:31], s[36:37]
                                        ; implicit-def: $sgpr26_sgpr27
                                        ; implicit-def: $sgpr28_sgpr29
                                        ; implicit-def: $sgpr14_sgpr15
                                        ; implicit-def: $sgpr44_sgpr45
	s_branch .LBB627_1262
.LBB627_1261:                           ;   in Loop: Header=BB627_1262 Depth=1
	s_or_b64 exec, exec, s[48:49]
	s_and_b64 s[16:17], exec, s[28:29]
	s_or_b64 s[24:25], s[16:17], s[24:25]
	s_andn2_b64 s[16:17], s[44:45], exec
	s_and_b64 s[44:45], s[46:47], exec
	s_or_b64 s[44:45], s[16:17], s[44:45]
	s_andn2_b64 s[16:17], s[26:27], exec
	s_and_b64 s[26:27], s[14:15], exec
	s_or_b64 s[26:27], s[16:17], s[26:27]
	s_andn2_b64 exec, exec, s[24:25]
	s_cbranch_execz .LBB627_1264
.LBB627_1262:                           ; =>This Inner Loop Header: Depth=1
	global_load_ushort v37, v[22:23], off
	global_load_ushort v38, v[24:25], off
	s_andn2_b64 s[48:49], s[14:15], exec
	s_or_b64 s[28:29], s[28:29], exec
	s_waitcnt vmcnt(0)
	v_cmp_le_i16_e64 s[14:15], v37, v38
	v_cmp_lt_i16_e32 vcc, v37, v38
	s_and_b64 s[14:15], s[14:15], s[44:45]
	s_or_b64 s[46:47], vcc, s[14:15]
	s_and_b64 s[14:15], s[46:47], exec
	v_cmp_eq_u16_e64 s[16:17], v37, v38
	s_or_b64 s[14:15], s[48:49], s[14:15]
	s_and_saveexec_b64 s[48:49], s[16:17]
	s_cbranch_execz .LBB627_1261
; %bb.1263:                             ;   in Loop: Header=BB627_1262 Depth=1
	s_add_u32 s30, s30, -1
	s_addc_u32 s31, s31, -1
	s_cmp_eq_u64 s[30:31], 0
	s_cselect_b64 s[16:17], -1, 0
	s_andn2_b64 s[28:29], s[28:29], exec
	s_and_b64 s[16:17], s[16:17], exec
	v_lshl_add_u64 v[22:23], v[22:23], 0, 2
	v_lshl_add_u64 v[24:25], v[24:25], 0, 2
	s_andn2_b64 s[14:15], s[14:15], exec
	s_or_b64 s[28:29], s[28:29], s[16:17]
                                        ; implicit-def: $sgpr44_sgpr45
	s_branch .LBB627_1261
.LBB627_1264:
	s_or_b64 exec, exec, s[24:25]
	v_cndmask_b32_e64 v5, v5, v1, s[26:27]
	v_cndmask_b32_e64 v4, v4, v0, s[26:27]
.LBB627_1265:
	v_mov_b64_e32 v[0:1], v[4:5]
.LBB627_1266:
	s_or_b64 exec, exec, s[22:23]
	v_mov_b64_e32 v[4:5], v[0:1]
.LBB627_1267:
	s_or_b64 exec, exec, s[20:21]
.LBB627_1268:
	s_or_b64 exec, exec, s[18:19]
	; wave barrier
	ds_write_b128 v36, v[14:17]
	ds_write_b128 v36, v[10:13] offset:16
	ds_write_b128 v36, v[6:9] offset:32
	;; [unrolled: 1-line block ×3, first 2 shown]
	v_and_b32_e32 v36, 0x380, v35
	v_or_b32_e32 v0, 64, v36
	v_min_u32_e32 v24, v34, v0
	v_add_u32_e32 v0, 64, v24
	v_min_u32_e32 v25, v34, v0
	v_and_b32_e32 v0, 0x78, v35
	v_min_u32_e32 v37, v34, v0
	v_sub_u32_e32 v0, v24, v36
	v_sub_u32_e32 v1, v25, v24
	v_sub_u32_e64 v35, v37, v1 clamp
	v_min_u32_e32 v38, v37, v0
	v_lshl_add_u32 v34, v36, 3, v33
	v_cmp_lt_u32_e32 vcc, v35, v38
	; wave barrier
	s_and_saveexec_b64 s[20:21], vcc
	s_cbranch_execz .LBB627_1278
; %bb.1269:
	v_lshlrev_b32_e32 v0, 3, v24
	v_lshlrev_b32_e32 v1, 3, v37
	v_add3_u32 v39, v33, v0, v1
	v_cndmask_b32_e64 v0, 0, 1, s[42:43]
	s_lshl_b64 s[24:25], s[36:37], 1
	s_mov_b64 s[22:23], 0
	v_cmp_ne_u32_e64 s[14:15], 1, v0
	s_branch .LBB627_1272
.LBB627_1270:                           ;   in Loop: Header=BB627_1272 Depth=1
	s_or_b64 exec, exec, s[28:29]
.LBB627_1271:                           ;   in Loop: Header=BB627_1272 Depth=1
	v_add_u32_e32 v0, 1, v40
	v_cndmask_b32_e64 v38, v38, v40, s[26:27]
	v_cndmask_b32_e64 v35, v0, v35, s[26:27]
	v_cmp_ge_u32_e32 vcc, v35, v38
	s_or_b64 s[22:23], vcc, s[22:23]
	s_andn2_b64 exec, exec, s[22:23]
	s_cbranch_execz .LBB627_1277
.LBB627_1272:                           ; =>This Loop Header: Depth=1
                                        ;     Child Loop BB627_1275 Depth 2
	v_add_u32_e32 v0, v38, v35
	v_lshrrev_b32_e32 v40, 1, v0
	s_and_b64 vcc, exec, s[14:15]
	s_mov_b64 s[26:27], 0
	s_cbranch_vccnz .LBB627_1271
; %bb.1273:                             ;   in Loop: Header=BB627_1272 Depth=1
	v_not_b32_e32 v0, v40
	v_lshl_add_u32 v0, v0, 3, v39
	ds_read_b64 v[0:1], v0
	v_lshl_add_u32 v41, v40, 3, v34
	ds_read_b64 v[42:43], v41
	v_mov_b64_e32 v[22:23], s[38:39]
	s_mov_b64 s[28:29], 0
	s_waitcnt lgkmcnt(1)
	v_mul_lo_u32 v41, s24, v1
	v_mul_lo_u32 v44, s25, v0
	v_mad_u64_u32 v[0:1], s[16:17], s24, v0, v[22:23]
	v_add3_u32 v1, v44, v1, v41
	s_waitcnt lgkmcnt(0)
	v_mul_lo_u32 v41, s24, v43
	v_mul_lo_u32 v43, s25, v42
	v_mad_u64_u32 v[22:23], s[16:17], s24, v42, v[22:23]
	v_add3_u32 v23, v43, v23, v41
	s_mov_b64 s[44:45], s[36:37]
                                        ; implicit-def: $sgpr26_sgpr27
                                        ; implicit-def: $sgpr30_sgpr31
                                        ; implicit-def: $sgpr16_sgpr17
                                        ; implicit-def: $sgpr46_sgpr47
	s_branch .LBB627_1275
.LBB627_1274:                           ;   in Loop: Header=BB627_1275 Depth=2
	s_or_b64 exec, exec, s[50:51]
	s_and_b64 s[18:19], exec, s[30:31]
	s_or_b64 s[28:29], s[18:19], s[28:29]
	s_andn2_b64 s[18:19], s[46:47], exec
	s_and_b64 s[46:47], s[48:49], exec
	s_or_b64 s[46:47], s[18:19], s[46:47]
	s_andn2_b64 s[18:19], s[26:27], exec
	s_and_b64 s[26:27], s[16:17], exec
	s_or_b64 s[26:27], s[18:19], s[26:27]
	s_andn2_b64 exec, exec, s[28:29]
	s_cbranch_execz .LBB627_1270
.LBB627_1275:                           ;   Parent Loop BB627_1272 Depth=1
                                        ; =>  This Inner Loop Header: Depth=2
	global_load_ushort v41, v[0:1], off
	global_load_ushort v42, v[22:23], off
	s_andn2_b64 s[50:51], s[16:17], exec
	s_or_b64 s[30:31], s[30:31], exec
	s_waitcnt vmcnt(0)
	v_cmp_le_i16_e64 s[16:17], v41, v42
	v_cmp_lt_i16_e32 vcc, v41, v42
	s_and_b64 s[16:17], s[16:17], s[46:47]
	s_or_b64 s[48:49], vcc, s[16:17]
	s_and_b64 s[16:17], s[48:49], exec
	v_cmp_eq_u16_e64 s[18:19], v41, v42
	s_or_b64 s[16:17], s[50:51], s[16:17]
	s_and_saveexec_b64 s[50:51], s[18:19]
	s_cbranch_execz .LBB627_1274
; %bb.1276:                             ;   in Loop: Header=BB627_1275 Depth=2
	s_add_u32 s44, s44, -1
	s_addc_u32 s45, s45, -1
	s_cmp_eq_u64 s[44:45], 0
	s_cselect_b64 s[18:19], -1, 0
	s_andn2_b64 s[30:31], s[30:31], exec
	s_and_b64 s[18:19], s[18:19], exec
	v_lshl_add_u64 v[0:1], v[0:1], 0, 2
	v_lshl_add_u64 v[22:23], v[22:23], 0, 2
	s_andn2_b64 s[16:17], s[16:17], exec
	s_or_b64 s[30:31], s[30:31], s[18:19]
                                        ; implicit-def: $sgpr46_sgpr47
	s_branch .LBB627_1274
.LBB627_1277:
	s_or_b64 exec, exec, s[22:23]
.LBB627_1278:
	s_or_b64 exec, exec, s[20:21]
	v_add_u32_e32 v0, v24, v37
	v_add_u32_e32 v23, v35, v36
	v_sub_u32_e32 v36, v0, v35
	v_cmp_le_u32_e32 vcc, v23, v24
	v_cmp_le_u32_e64 s[14:15], v36, v25
	s_or_b64 s[14:15], vcc, s[14:15]
	s_and_saveexec_b64 s[18:19], s[14:15]
	s_cbranch_execz .LBB627_1369
; %bb.1279:
	v_cmp_ge_u32_e32 vcc, v23, v24
	v_cmp_lt_u32_e64 s[14:15], v23, v24
                                        ; implicit-def: $vgpr0_vgpr1
	s_and_saveexec_b64 s[16:17], s[14:15]
; %bb.1280:
	v_lshl_add_u32 v0, v35, 3, v34
	ds_read_b64 v[0:1], v0
; %bb.1281:
	s_or_b64 exec, exec, s[16:17]
	v_cmp_ge_u32_e64 s[20:21], v36, v25
	v_cmp_lt_u32_e64 s[14:15], v36, v25
                                        ; implicit-def: $vgpr2_vgpr3
	s_and_saveexec_b64 s[16:17], s[14:15]
; %bb.1282:
	v_lshl_add_u32 v2, v36, 3, v33
	ds_read_b64 v[2:3], v2
; %bb.1283:
	s_or_b64 exec, exec, s[16:17]
	s_nor_b64 s[14:15], vcc, s[20:21]
	s_and_saveexec_b64 s[22:23], s[14:15]
	s_cbranch_execz .LBB627_1292
; %bb.1284:
	s_andn2_b64 vcc, exec, s[42:43]
	s_cbranch_vccnz .LBB627_1290
; %bb.1285:
	s_waitcnt lgkmcnt(0)
	v_mul_lo_u32 v6, v3, s36
	v_mul_lo_u32 v7, v2, s37
	v_mad_u64_u32 v[4:5], s[14:15], v2, s36, 0
	v_add3_u32 v5, v5, v7, v6
	v_mul_lo_u32 v8, v1, s36
	v_mul_lo_u32 v9, v0, s37
	v_mad_u64_u32 v[6:7], s[14:15], v0, s36, 0
	v_add3_u32 v7, v7, v9, v8
	v_lshl_add_u64 v[4:5], v[4:5], 1, s[38:39]
	v_lshl_add_u64 v[6:7], v[6:7], 1, s[38:39]
	s_mov_b64 s[24:25], 0
	s_mov_b64 s[30:31], s[36:37]
                                        ; implicit-def: $sgpr26_sgpr27
                                        ; implicit-def: $sgpr28_sgpr29
                                        ; implicit-def: $sgpr14_sgpr15
                                        ; implicit-def: $sgpr44_sgpr45
	s_branch .LBB627_1287
.LBB627_1286:                           ;   in Loop: Header=BB627_1287 Depth=1
	s_or_b64 exec, exec, s[48:49]
	s_and_b64 s[16:17], exec, s[28:29]
	s_or_b64 s[24:25], s[16:17], s[24:25]
	s_andn2_b64 s[16:17], s[44:45], exec
	s_and_b64 s[44:45], s[46:47], exec
	s_or_b64 s[44:45], s[16:17], s[44:45]
	s_andn2_b64 s[16:17], s[26:27], exec
	s_and_b64 s[26:27], s[14:15], exec
	s_or_b64 s[26:27], s[16:17], s[26:27]
	s_andn2_b64 exec, exec, s[24:25]
	s_cbranch_execz .LBB627_1289
.LBB627_1287:                           ; =>This Inner Loop Header: Depth=1
	global_load_ushort v8, v[4:5], off
	global_load_ushort v9, v[6:7], off
	s_andn2_b64 s[48:49], s[14:15], exec
	s_or_b64 s[28:29], s[28:29], exec
	s_waitcnt vmcnt(0)
	v_cmp_le_i16_e64 s[14:15], v8, v9
	v_cmp_lt_i16_e32 vcc, v8, v9
	s_and_b64 s[14:15], s[14:15], s[44:45]
	s_or_b64 s[46:47], vcc, s[14:15]
	s_and_b64 s[14:15], s[46:47], exec
	v_cmp_eq_u16_e64 s[16:17], v8, v9
	s_or_b64 s[14:15], s[48:49], s[14:15]
	s_and_saveexec_b64 s[48:49], s[16:17]
	s_cbranch_execz .LBB627_1286
; %bb.1288:                             ;   in Loop: Header=BB627_1287 Depth=1
	s_add_u32 s30, s30, -1
	s_addc_u32 s31, s31, -1
	s_cmp_eq_u64 s[30:31], 0
	s_cselect_b64 s[16:17], -1, 0
	s_andn2_b64 s[28:29], s[28:29], exec
	s_and_b64 s[16:17], s[16:17], exec
	v_lshl_add_u64 v[4:5], v[4:5], 0, 2
	v_lshl_add_u64 v[6:7], v[6:7], 0, 2
	s_andn2_b64 s[14:15], s[14:15], exec
	s_or_b64 s[28:29], s[28:29], s[16:17]
                                        ; implicit-def: $sgpr44_sgpr45
	s_branch .LBB627_1286
.LBB627_1289:
	s_or_b64 exec, exec, s[24:25]
	s_xor_b64 s[14:15], s[26:27], -1
	s_branch .LBB627_1291
.LBB627_1290:
	s_mov_b64 s[14:15], -1
.LBB627_1291:
	s_andn2_b64 s[16:17], s[20:21], exec
	s_and_b64 s[14:15], s[14:15], exec
	s_or_b64 s[20:21], s[16:17], s[14:15]
.LBB627_1292:
	s_or_b64 exec, exec, s[22:23]
	v_cndmask_b32_e64 v4, v36, v23, s[20:21]
	v_cndmask_b32_e64 v5, v25, v24, s[20:21]
	v_add_u32_e32 v6, 1, v4
	v_add_u32_e32 v4, -1, v5
	v_min_u32_e32 v4, v6, v4
	v_lshl_add_u32 v4, v4, 3, v33
	ds_read_b64 v[4:5], v4
	v_cndmask_b32_e64 v8, v6, v36, s[20:21]
	v_cndmask_b32_e64 v9, v23, v6, s[20:21]
	v_cmp_lt_u32_e32 vcc, v8, v25
	s_mov_b64 s[24:25], -1
	s_waitcnt lgkmcnt(0)
	v_cndmask_b32_e64 v14, v5, v3, s[20:21]
	v_cndmask_b32_e64 v15, v4, v2, s[20:21]
	;; [unrolled: 1-line block ×4, first 2 shown]
	s_mov_b64 s[22:23], -1
	s_and_saveexec_b64 s[26:27], vcc
	s_cbranch_execz .LBB627_1303
; %bb.1293:
	v_cmp_lt_u32_e32 vcc, v9, v24
	s_mov_b64 s[14:15], 0
	s_and_saveexec_b64 s[22:23], vcc
	s_cbranch_execz .LBB627_1302
; %bb.1294:
	s_andn2_b64 vcc, exec, s[42:43]
	s_cbranch_vccnz .LBB627_1300
; %bb.1295:
	v_mul_lo_u32 v6, v14, s36
	v_mul_lo_u32 v7, v15, s37
	v_mad_u64_u32 v[4:5], s[14:15], v15, s36, 0
	v_add3_u32 v5, v5, v7, v6
	v_mul_lo_u32 v10, v16, s36
	v_mul_lo_u32 v11, v22, s37
	v_mad_u64_u32 v[6:7], s[14:15], v22, s36, 0
	v_add3_u32 v7, v7, v11, v10
	v_lshl_add_u64 v[4:5], v[4:5], 1, s[38:39]
	v_lshl_add_u64 v[6:7], v[6:7], 1, s[38:39]
	s_mov_b64 s[28:29], 0
	s_mov_b64 s[46:47], s[36:37]
                                        ; implicit-def: $sgpr30_sgpr31
                                        ; implicit-def: $sgpr44_sgpr45
                                        ; implicit-def: $sgpr14_sgpr15
                                        ; implicit-def: $sgpr48_sgpr49
	s_branch .LBB627_1297
.LBB627_1296:                           ;   in Loop: Header=BB627_1297 Depth=1
	s_or_b64 exec, exec, s[52:53]
	s_and_b64 s[16:17], exec, s[44:45]
	s_or_b64 s[28:29], s[16:17], s[28:29]
	s_andn2_b64 s[16:17], s[48:49], exec
	s_and_b64 s[48:49], s[50:51], exec
	s_or_b64 s[48:49], s[16:17], s[48:49]
	s_andn2_b64 s[16:17], s[30:31], exec
	s_and_b64 s[30:31], s[14:15], exec
	s_or_b64 s[30:31], s[16:17], s[30:31]
	s_andn2_b64 exec, exec, s[28:29]
	s_cbranch_execz .LBB627_1299
.LBB627_1297:                           ; =>This Inner Loop Header: Depth=1
	global_load_ushort v10, v[4:5], off
	global_load_ushort v11, v[6:7], off
	s_andn2_b64 s[52:53], s[14:15], exec
	s_or_b64 s[44:45], s[44:45], exec
	s_waitcnt vmcnt(0)
	v_cmp_le_i16_e64 s[14:15], v10, v11
	v_cmp_lt_i16_e32 vcc, v10, v11
	s_and_b64 s[14:15], s[14:15], s[48:49]
	s_or_b64 s[50:51], vcc, s[14:15]
	s_and_b64 s[14:15], s[50:51], exec
	v_cmp_eq_u16_e64 s[16:17], v10, v11
	s_or_b64 s[14:15], s[52:53], s[14:15]
	s_and_saveexec_b64 s[52:53], s[16:17]
	s_cbranch_execz .LBB627_1296
; %bb.1298:                             ;   in Loop: Header=BB627_1297 Depth=1
	s_add_u32 s46, s46, -1
	s_addc_u32 s47, s47, -1
	s_cmp_eq_u64 s[46:47], 0
	s_cselect_b64 s[16:17], -1, 0
	s_andn2_b64 s[44:45], s[44:45], exec
	s_and_b64 s[16:17], s[16:17], exec
	v_lshl_add_u64 v[4:5], v[4:5], 0, 2
	v_lshl_add_u64 v[6:7], v[6:7], 0, 2
	s_andn2_b64 s[14:15], s[14:15], exec
	s_or_b64 s[44:45], s[44:45], s[16:17]
                                        ; implicit-def: $sgpr48_sgpr49
	s_branch .LBB627_1296
.LBB627_1299:
	s_or_b64 exec, exec, s[28:29]
	s_xor_b64 s[14:15], s[30:31], -1
	s_branch .LBB627_1301
.LBB627_1300:
	s_mov_b64 s[14:15], -1
.LBB627_1301:
	s_and_b64 s[14:15], s[14:15], exec
.LBB627_1302:
	s_or_b64 exec, exec, s[22:23]
	s_orn2_b64 s[22:23], s[14:15], exec
.LBB627_1303:
	s_or_b64 exec, exec, s[26:27]
	v_cndmask_b32_e64 v4, v8, v9, s[22:23]
	v_cndmask_b32_e64 v5, v25, v24, s[22:23]
	v_add_u32_e32 v6, 1, v4
	v_add_u32_e32 v4, -1, v5
	v_min_u32_e32 v4, v6, v4
	v_lshl_add_u32 v4, v4, 3, v33
	ds_read_b64 v[4:5], v4
	v_cndmask_b32_e64 v8, v6, v8, s[22:23]
	v_cndmask_b32_e64 v9, v9, v6, s[22:23]
	v_cmp_lt_u32_e32 vcc, v8, v25
	s_waitcnt lgkmcnt(0)
	v_cndmask_b32_e64 v10, v5, v14, s[22:23]
	v_cndmask_b32_e64 v17, v4, v15, s[22:23]
	;; [unrolled: 1-line block ×4, first 2 shown]
	s_and_saveexec_b64 s[26:27], vcc
	s_cbranch_execz .LBB627_1314
; %bb.1304:
	v_cmp_lt_u32_e32 vcc, v9, v24
	s_mov_b64 s[14:15], 0
	s_and_saveexec_b64 s[24:25], vcc
	s_cbranch_execz .LBB627_1313
; %bb.1305:
	s_andn2_b64 vcc, exec, s[42:43]
	s_cbranch_vccnz .LBB627_1311
; %bb.1306:
	v_mul_lo_u32 v6, v10, s36
	v_mul_lo_u32 v7, v17, s37
	v_mad_u64_u32 v[4:5], s[14:15], v17, s36, 0
	v_add3_u32 v5, v5, v7, v6
	v_mul_lo_u32 v12, v11, s36
	v_mul_lo_u32 v13, v23, s37
	v_mad_u64_u32 v[6:7], s[14:15], v23, s36, 0
	v_add3_u32 v7, v7, v13, v12
	v_lshl_add_u64 v[4:5], v[4:5], 1, s[38:39]
	v_lshl_add_u64 v[6:7], v[6:7], 1, s[38:39]
	s_mov_b64 s[28:29], 0
	s_mov_b64 s[46:47], s[36:37]
                                        ; implicit-def: $sgpr30_sgpr31
                                        ; implicit-def: $sgpr44_sgpr45
                                        ; implicit-def: $sgpr14_sgpr15
                                        ; implicit-def: $sgpr48_sgpr49
	s_branch .LBB627_1308
.LBB627_1307:                           ;   in Loop: Header=BB627_1308 Depth=1
	s_or_b64 exec, exec, s[52:53]
	s_and_b64 s[16:17], exec, s[44:45]
	s_or_b64 s[28:29], s[16:17], s[28:29]
	s_andn2_b64 s[16:17], s[48:49], exec
	s_and_b64 s[48:49], s[50:51], exec
	s_or_b64 s[48:49], s[16:17], s[48:49]
	s_andn2_b64 s[16:17], s[30:31], exec
	s_and_b64 s[30:31], s[14:15], exec
	s_or_b64 s[30:31], s[16:17], s[30:31]
	s_andn2_b64 exec, exec, s[28:29]
	s_cbranch_execz .LBB627_1310
.LBB627_1308:                           ; =>This Inner Loop Header: Depth=1
	global_load_ushort v12, v[4:5], off
	global_load_ushort v13, v[6:7], off
	s_andn2_b64 s[52:53], s[14:15], exec
	s_or_b64 s[44:45], s[44:45], exec
	s_waitcnt vmcnt(0)
	v_cmp_le_i16_e64 s[14:15], v12, v13
	v_cmp_lt_i16_e32 vcc, v12, v13
	s_and_b64 s[14:15], s[14:15], s[48:49]
	s_or_b64 s[50:51], vcc, s[14:15]
	s_and_b64 s[14:15], s[50:51], exec
	v_cmp_eq_u16_e64 s[16:17], v12, v13
	s_or_b64 s[14:15], s[52:53], s[14:15]
	s_and_saveexec_b64 s[52:53], s[16:17]
	s_cbranch_execz .LBB627_1307
; %bb.1309:                             ;   in Loop: Header=BB627_1308 Depth=1
	s_add_u32 s46, s46, -1
	s_addc_u32 s47, s47, -1
	s_cmp_eq_u64 s[46:47], 0
	s_cselect_b64 s[16:17], -1, 0
	s_andn2_b64 s[44:45], s[44:45], exec
	s_and_b64 s[16:17], s[16:17], exec
	v_lshl_add_u64 v[4:5], v[4:5], 0, 2
	v_lshl_add_u64 v[6:7], v[6:7], 0, 2
	s_andn2_b64 s[14:15], s[14:15], exec
	s_or_b64 s[44:45], s[44:45], s[16:17]
                                        ; implicit-def: $sgpr48_sgpr49
	s_branch .LBB627_1307
.LBB627_1310:
	s_or_b64 exec, exec, s[28:29]
	s_xor_b64 s[14:15], s[30:31], -1
	s_branch .LBB627_1312
.LBB627_1311:
	s_mov_b64 s[14:15], -1
.LBB627_1312:
	s_and_b64 s[14:15], s[14:15], exec
.LBB627_1313:
	s_or_b64 exec, exec, s[24:25]
	s_orn2_b64 s[24:25], s[14:15], exec
.LBB627_1314:
	s_or_b64 exec, exec, s[26:27]
	v_cndmask_b32_e64 v4, v8, v9, s[24:25]
	v_cndmask_b32_e64 v5, v25, v24, s[24:25]
	v_add_u32_e32 v6, 1, v4
	v_add_u32_e32 v4, -1, v5
	v_min_u32_e32 v4, v6, v4
	v_lshl_add_u32 v4, v4, 3, v33
	ds_read_b64 v[4:5], v4
	v_cndmask_b32_e64 v8, v6, v8, s[24:25]
	v_cndmask_b32_e64 v9, v9, v6, s[24:25]
	v_cmp_lt_u32_e32 vcc, v8, v25
	s_mov_b64 s[28:29], -1
	s_waitcnt lgkmcnt(0)
	v_cndmask_b32_e64 v12, v5, v10, s[24:25]
	v_cndmask_b32_e64 v34, v4, v17, s[24:25]
	;; [unrolled: 1-line block ×4, first 2 shown]
	s_mov_b64 s[26:27], -1
	s_and_saveexec_b64 s[30:31], vcc
	s_cbranch_execz .LBB627_1325
; %bb.1315:
	v_cmp_lt_u32_e32 vcc, v9, v24
	s_mov_b64 s[14:15], 0
	s_and_saveexec_b64 s[26:27], vcc
	s_cbranch_execz .LBB627_1324
; %bb.1316:
	s_andn2_b64 vcc, exec, s[42:43]
	s_cbranch_vccnz .LBB627_1322
; %bb.1317:
	v_mul_lo_u32 v6, v12, s36
	v_mul_lo_u32 v7, v34, s37
	v_mad_u64_u32 v[4:5], s[14:15], v34, s36, 0
	v_add3_u32 v5, v5, v7, v6
	v_mul_lo_u32 v36, v13, s36
	v_mul_lo_u32 v37, v35, s37
	v_mad_u64_u32 v[6:7], s[14:15], v35, s36, 0
	v_add3_u32 v7, v7, v37, v36
	v_lshl_add_u64 v[4:5], v[4:5], 1, s[38:39]
	v_lshl_add_u64 v[6:7], v[6:7], 1, s[38:39]
	s_mov_b64 s[44:45], 0
	s_mov_b64 s[50:51], s[36:37]
                                        ; implicit-def: $sgpr46_sgpr47
                                        ; implicit-def: $sgpr48_sgpr49
                                        ; implicit-def: $sgpr14_sgpr15
                                        ; implicit-def: $sgpr52_sgpr53
	s_branch .LBB627_1319
.LBB627_1318:                           ;   in Loop: Header=BB627_1319 Depth=1
	s_or_b64 exec, exec, s[56:57]
	s_and_b64 s[16:17], exec, s[48:49]
	s_or_b64 s[44:45], s[16:17], s[44:45]
	s_andn2_b64 s[16:17], s[52:53], exec
	s_and_b64 s[52:53], s[54:55], exec
	s_or_b64 s[52:53], s[16:17], s[52:53]
	s_andn2_b64 s[16:17], s[46:47], exec
	s_and_b64 s[46:47], s[14:15], exec
	s_or_b64 s[46:47], s[16:17], s[46:47]
	s_andn2_b64 exec, exec, s[44:45]
	s_cbranch_execz .LBB627_1321
.LBB627_1319:                           ; =>This Inner Loop Header: Depth=1
	global_load_ushort v36, v[4:5], off
	global_load_ushort v37, v[6:7], off
	s_andn2_b64 s[56:57], s[14:15], exec
	s_or_b64 s[48:49], s[48:49], exec
	s_waitcnt vmcnt(0)
	v_cmp_le_i16_e64 s[14:15], v36, v37
	v_cmp_lt_i16_e32 vcc, v36, v37
	s_and_b64 s[14:15], s[14:15], s[52:53]
	s_or_b64 s[54:55], vcc, s[14:15]
	s_and_b64 s[14:15], s[54:55], exec
	v_cmp_eq_u16_e64 s[16:17], v36, v37
	s_or_b64 s[14:15], s[56:57], s[14:15]
	s_and_saveexec_b64 s[56:57], s[16:17]
	s_cbranch_execz .LBB627_1318
; %bb.1320:                             ;   in Loop: Header=BB627_1319 Depth=1
	s_add_u32 s50, s50, -1
	s_addc_u32 s51, s51, -1
	s_cmp_eq_u64 s[50:51], 0
	s_cselect_b64 s[16:17], -1, 0
	s_andn2_b64 s[48:49], s[48:49], exec
	s_and_b64 s[16:17], s[16:17], exec
	v_lshl_add_u64 v[4:5], v[4:5], 0, 2
	v_lshl_add_u64 v[6:7], v[6:7], 0, 2
	s_andn2_b64 s[14:15], s[14:15], exec
	s_or_b64 s[48:49], s[48:49], s[16:17]
                                        ; implicit-def: $sgpr52_sgpr53
	s_branch .LBB627_1318
.LBB627_1321:
	s_or_b64 exec, exec, s[44:45]
	s_xor_b64 s[14:15], s[46:47], -1
	s_branch .LBB627_1323
.LBB627_1322:
	s_mov_b64 s[14:15], -1
.LBB627_1323:
	s_and_b64 s[14:15], s[14:15], exec
.LBB627_1324:
	s_or_b64 exec, exec, s[26:27]
	s_orn2_b64 s[26:27], s[14:15], exec
.LBB627_1325:
	s_or_b64 exec, exec, s[30:31]
	v_cndmask_b32_e64 v4, v8, v9, s[26:27]
	v_cndmask_b32_e64 v5, v25, v24, s[26:27]
	v_add_u32_e32 v6, 1, v4
	v_add_u32_e32 v4, -1, v5
	v_min_u32_e32 v4, v6, v4
	v_lshl_add_u32 v4, v4, 3, v33
	ds_read_b64 v[4:5], v4
	v_cndmask_b32_e64 v42, v6, v8, s[26:27]
	v_cndmask_b32_e64 v43, v9, v6, s[26:27]
	v_cmp_lt_u32_e32 vcc, v42, v25
	s_waitcnt lgkmcnt(0)
	v_cndmask_b32_e64 v36, v5, v12, s[26:27]
	v_cndmask_b32_e64 v37, v4, v34, s[26:27]
	;; [unrolled: 1-line block ×4, first 2 shown]
	s_and_saveexec_b64 s[30:31], vcc
	s_cbranch_execz .LBB627_1336
; %bb.1326:
	v_cmp_lt_u32_e32 vcc, v43, v24
	s_mov_b64 s[14:15], 0
	s_and_saveexec_b64 s[28:29], vcc
	s_cbranch_execz .LBB627_1335
; %bb.1327:
	s_andn2_b64 vcc, exec, s[42:43]
	s_cbranch_vccnz .LBB627_1333
; %bb.1328:
	v_mul_lo_u32 v6, v36, s36
	v_mul_lo_u32 v7, v37, s37
	v_mad_u64_u32 v[4:5], s[14:15], v37, s36, 0
	v_add3_u32 v5, v5, v7, v6
	v_mul_lo_u32 v8, v38, s36
	v_mul_lo_u32 v9, v39, s37
	v_mad_u64_u32 v[6:7], s[14:15], v39, s36, 0
	v_add3_u32 v7, v7, v9, v8
	v_lshl_add_u64 v[4:5], v[4:5], 1, s[38:39]
	v_lshl_add_u64 v[6:7], v[6:7], 1, s[38:39]
	s_mov_b64 s[44:45], 0
	s_mov_b64 s[50:51], s[36:37]
                                        ; implicit-def: $sgpr46_sgpr47
                                        ; implicit-def: $sgpr48_sgpr49
                                        ; implicit-def: $sgpr14_sgpr15
                                        ; implicit-def: $sgpr52_sgpr53
	s_branch .LBB627_1330
.LBB627_1329:                           ;   in Loop: Header=BB627_1330 Depth=1
	s_or_b64 exec, exec, s[56:57]
	s_and_b64 s[16:17], exec, s[48:49]
	s_or_b64 s[44:45], s[16:17], s[44:45]
	s_andn2_b64 s[16:17], s[52:53], exec
	s_and_b64 s[52:53], s[54:55], exec
	s_or_b64 s[52:53], s[16:17], s[52:53]
	s_andn2_b64 s[16:17], s[46:47], exec
	s_and_b64 s[46:47], s[14:15], exec
	s_or_b64 s[46:47], s[16:17], s[46:47]
	s_andn2_b64 exec, exec, s[44:45]
	s_cbranch_execz .LBB627_1332
.LBB627_1330:                           ; =>This Inner Loop Header: Depth=1
	global_load_ushort v8, v[4:5], off
	global_load_ushort v9, v[6:7], off
	s_andn2_b64 s[56:57], s[14:15], exec
	s_or_b64 s[48:49], s[48:49], exec
	s_waitcnt vmcnt(0)
	v_cmp_le_i16_e64 s[14:15], v8, v9
	v_cmp_lt_i16_e32 vcc, v8, v9
	s_and_b64 s[14:15], s[14:15], s[52:53]
	s_or_b64 s[54:55], vcc, s[14:15]
	s_and_b64 s[14:15], s[54:55], exec
	v_cmp_eq_u16_e64 s[16:17], v8, v9
	s_or_b64 s[14:15], s[56:57], s[14:15]
	s_and_saveexec_b64 s[56:57], s[16:17]
	s_cbranch_execz .LBB627_1329
; %bb.1331:                             ;   in Loop: Header=BB627_1330 Depth=1
	s_add_u32 s50, s50, -1
	s_addc_u32 s51, s51, -1
	s_cmp_eq_u64 s[50:51], 0
	s_cselect_b64 s[16:17], -1, 0
	s_andn2_b64 s[48:49], s[48:49], exec
	s_and_b64 s[16:17], s[16:17], exec
	v_lshl_add_u64 v[4:5], v[4:5], 0, 2
	v_lshl_add_u64 v[6:7], v[6:7], 0, 2
	s_andn2_b64 s[14:15], s[14:15], exec
	s_or_b64 s[48:49], s[48:49], s[16:17]
                                        ; implicit-def: $sgpr52_sgpr53
	s_branch .LBB627_1329
.LBB627_1332:
	s_or_b64 exec, exec, s[44:45]
	s_xor_b64 s[14:15], s[46:47], -1
	s_branch .LBB627_1334
.LBB627_1333:
	s_mov_b64 s[14:15], -1
.LBB627_1334:
	s_and_b64 s[14:15], s[14:15], exec
.LBB627_1335:
	s_or_b64 exec, exec, s[28:29]
	s_orn2_b64 s[28:29], s[14:15], exec
.LBB627_1336:
	s_or_b64 exec, exec, s[30:31]
	v_cndmask_b32_e64 v4, v42, v43, s[28:29]
	v_cndmask_b32_e64 v5, v25, v24, s[28:29]
	v_add_u32_e32 v6, 1, v4
	v_add_u32_e32 v4, -1, v5
	v_min_u32_e32 v4, v6, v4
	v_lshl_add_u32 v4, v4, 3, v33
	ds_read_b64 v[4:5], v4
	v_cndmask_b32_e64 v44, v6, v42, s[28:29]
	v_cndmask_b32_e64 v48, v43, v6, s[28:29]
	v_cmp_lt_u32_e32 vcc, v44, v25
	s_mov_b64 s[30:31], -1
	s_waitcnt lgkmcnt(0)
	v_cndmask_b32_e64 v8, v5, v36, s[28:29]
	v_cndmask_b32_e64 v40, v4, v37, s[28:29]
	;; [unrolled: 1-line block ×4, first 2 shown]
	s_mov_b64 s[44:45], -1
	s_and_saveexec_b64 s[46:47], vcc
	s_cbranch_execz .LBB627_1347
; %bb.1337:
	v_cmp_lt_u32_e32 vcc, v48, v24
	s_mov_b64 s[14:15], 0
	s_and_saveexec_b64 s[44:45], vcc
	s_cbranch_execz .LBB627_1346
; %bb.1338:
	s_andn2_b64 vcc, exec, s[42:43]
	s_cbranch_vccnz .LBB627_1344
; %bb.1339:
	v_mul_lo_u32 v6, v8, s36
	v_mul_lo_u32 v7, v40, s37
	v_mad_u64_u32 v[4:5], s[14:15], v40, s36, 0
	v_add3_u32 v5, v5, v7, v6
	v_mul_lo_u32 v42, v9, s36
	v_mul_lo_u32 v43, v41, s37
	v_mad_u64_u32 v[6:7], s[14:15], v41, s36, 0
	v_add3_u32 v7, v7, v43, v42
	v_lshl_add_u64 v[4:5], v[4:5], 1, s[38:39]
	v_lshl_add_u64 v[6:7], v[6:7], 1, s[38:39]
	s_mov_b64 s[48:49], 0
	s_mov_b64 s[54:55], s[36:37]
                                        ; implicit-def: $sgpr50_sgpr51
                                        ; implicit-def: $sgpr52_sgpr53
                                        ; implicit-def: $sgpr14_sgpr15
                                        ; implicit-def: $sgpr56_sgpr57
	s_branch .LBB627_1341
.LBB627_1340:                           ;   in Loop: Header=BB627_1341 Depth=1
	s_or_b64 exec, exec, s[60:61]
	s_and_b64 s[16:17], exec, s[52:53]
	s_or_b64 s[48:49], s[16:17], s[48:49]
	s_andn2_b64 s[16:17], s[56:57], exec
	s_and_b64 s[56:57], s[58:59], exec
	s_or_b64 s[56:57], s[16:17], s[56:57]
	s_andn2_b64 s[16:17], s[50:51], exec
	s_and_b64 s[50:51], s[14:15], exec
	s_or_b64 s[50:51], s[16:17], s[50:51]
	s_andn2_b64 exec, exec, s[48:49]
	s_cbranch_execz .LBB627_1343
.LBB627_1341:                           ; =>This Inner Loop Header: Depth=1
	global_load_ushort v42, v[4:5], off
	global_load_ushort v43, v[6:7], off
	s_andn2_b64 s[60:61], s[14:15], exec
	s_or_b64 s[52:53], s[52:53], exec
	s_waitcnt vmcnt(0)
	v_cmp_le_i16_e64 s[14:15], v42, v43
	v_cmp_lt_i16_e32 vcc, v42, v43
	s_and_b64 s[14:15], s[14:15], s[56:57]
	s_or_b64 s[58:59], vcc, s[14:15]
	s_and_b64 s[14:15], s[58:59], exec
	v_cmp_eq_u16_e64 s[16:17], v42, v43
	s_or_b64 s[14:15], s[60:61], s[14:15]
	s_and_saveexec_b64 s[60:61], s[16:17]
	s_cbranch_execz .LBB627_1340
; %bb.1342:                             ;   in Loop: Header=BB627_1341 Depth=1
	s_add_u32 s54, s54, -1
	s_addc_u32 s55, s55, -1
	s_cmp_eq_u64 s[54:55], 0
	s_cselect_b64 s[16:17], -1, 0
	s_andn2_b64 s[52:53], s[52:53], exec
	s_and_b64 s[16:17], s[16:17], exec
	v_lshl_add_u64 v[4:5], v[4:5], 0, 2
	v_lshl_add_u64 v[6:7], v[6:7], 0, 2
	s_andn2_b64 s[14:15], s[14:15], exec
	s_or_b64 s[52:53], s[52:53], s[16:17]
                                        ; implicit-def: $sgpr56_sgpr57
	s_branch .LBB627_1340
.LBB627_1343:
	s_or_b64 exec, exec, s[48:49]
	s_xor_b64 s[14:15], s[50:51], -1
	s_branch .LBB627_1345
.LBB627_1344:
	s_mov_b64 s[14:15], -1
.LBB627_1345:
	s_and_b64 s[14:15], s[14:15], exec
.LBB627_1346:
	s_or_b64 exec, exec, s[44:45]
	s_orn2_b64 s[44:45], s[14:15], exec
.LBB627_1347:
	s_or_b64 exec, exec, s[46:47]
	v_cndmask_b32_e64 v4, v44, v48, s[44:45]
	v_cndmask_b32_e64 v5, v25, v24, s[44:45]
	v_add_u32_e32 v6, 1, v4
	v_add_u32_e32 v4, -1, v5
	v_min_u32_e32 v4, v6, v4
	v_lshl_add_u32 v4, v4, 3, v33
	ds_read_b64 v[4:5], v4
	v_cndmask_b32_e64 v45, v6, v44, s[44:45]
	v_cndmask_b32_e64 v44, v48, v6, s[44:45]
	v_cmp_lt_u32_e32 vcc, v45, v25
	s_waitcnt lgkmcnt(0)
	v_cndmask_b32_e64 v42, v5, v8, s[44:45]
	v_cndmask_b32_e64 v43, v4, v40, s[44:45]
	;; [unrolled: 1-line block ×4, first 2 shown]
	s_and_saveexec_b64 s[46:47], vcc
	s_cbranch_execz .LBB627_1358
; %bb.1348:
	v_cmp_lt_u32_e32 vcc, v44, v24
	s_mov_b64 s[14:15], 0
	s_and_saveexec_b64 s[30:31], vcc
	s_cbranch_execz .LBB627_1357
; %bb.1349:
	s_andn2_b64 vcc, exec, s[42:43]
	s_cbranch_vccnz .LBB627_1355
; %bb.1350:
	v_mul_lo_u32 v6, v42, s36
	v_mul_lo_u32 v7, v43, s37
	v_mad_u64_u32 v[4:5], s[14:15], v43, s36, 0
	v_add3_u32 v5, v5, v7, v6
	v_mul_lo_u32 v48, v46, s36
	v_mul_lo_u32 v49, v47, s37
	v_mad_u64_u32 v[6:7], s[14:15], v47, s36, 0
	v_add3_u32 v7, v7, v49, v48
	v_lshl_add_u64 v[4:5], v[4:5], 1, s[38:39]
	v_lshl_add_u64 v[6:7], v[6:7], 1, s[38:39]
	s_mov_b64 s[48:49], 0
	s_mov_b64 s[54:55], s[36:37]
                                        ; implicit-def: $sgpr50_sgpr51
                                        ; implicit-def: $sgpr52_sgpr53
                                        ; implicit-def: $sgpr14_sgpr15
                                        ; implicit-def: $sgpr56_sgpr57
	s_branch .LBB627_1352
.LBB627_1351:                           ;   in Loop: Header=BB627_1352 Depth=1
	s_or_b64 exec, exec, s[60:61]
	s_and_b64 s[16:17], exec, s[52:53]
	s_or_b64 s[48:49], s[16:17], s[48:49]
	s_andn2_b64 s[16:17], s[56:57], exec
	s_and_b64 s[56:57], s[58:59], exec
	s_or_b64 s[56:57], s[16:17], s[56:57]
	s_andn2_b64 s[16:17], s[50:51], exec
	s_and_b64 s[50:51], s[14:15], exec
	s_or_b64 s[50:51], s[16:17], s[50:51]
	s_andn2_b64 exec, exec, s[48:49]
	s_cbranch_execz .LBB627_1354
.LBB627_1352:                           ; =>This Inner Loop Header: Depth=1
	global_load_ushort v48, v[4:5], off
	global_load_ushort v49, v[6:7], off
	s_andn2_b64 s[60:61], s[14:15], exec
	s_or_b64 s[52:53], s[52:53], exec
	s_waitcnt vmcnt(0)
	v_cmp_le_i16_e64 s[14:15], v48, v49
	v_cmp_lt_i16_e32 vcc, v48, v49
	s_and_b64 s[14:15], s[14:15], s[56:57]
	s_or_b64 s[58:59], vcc, s[14:15]
	s_and_b64 s[14:15], s[58:59], exec
	v_cmp_eq_u16_e64 s[16:17], v48, v49
	s_or_b64 s[14:15], s[60:61], s[14:15]
	s_and_saveexec_b64 s[60:61], s[16:17]
	s_cbranch_execz .LBB627_1351
; %bb.1353:                             ;   in Loop: Header=BB627_1352 Depth=1
	s_add_u32 s54, s54, -1
	s_addc_u32 s55, s55, -1
	s_cmp_eq_u64 s[54:55], 0
	s_cselect_b64 s[16:17], -1, 0
	s_andn2_b64 s[52:53], s[52:53], exec
	s_and_b64 s[16:17], s[16:17], exec
	v_lshl_add_u64 v[4:5], v[4:5], 0, 2
	v_lshl_add_u64 v[6:7], v[6:7], 0, 2
	s_andn2_b64 s[14:15], s[14:15], exec
	s_or_b64 s[52:53], s[52:53], s[16:17]
                                        ; implicit-def: $sgpr56_sgpr57
	s_branch .LBB627_1351
.LBB627_1354:
	s_or_b64 exec, exec, s[48:49]
	s_xor_b64 s[14:15], s[50:51], -1
	s_branch .LBB627_1356
.LBB627_1355:
	s_mov_b64 s[14:15], -1
.LBB627_1356:
	s_and_b64 s[14:15], s[14:15], exec
.LBB627_1357:
	s_or_b64 exec, exec, s[30:31]
	s_orn2_b64 s[30:31], s[14:15], exec
.LBB627_1358:
	s_or_b64 exec, exec, s[46:47]
	v_cndmask_b32_e64 v4, v45, v44, s[30:31]
	v_cndmask_b32_e64 v5, v25, v24, s[30:31]
	;; [unrolled: 1-line block ×4, first 2 shown]
	v_add_u32_e32 v34, 1, v4
	v_add_u32_e32 v4, -1, v5
	v_min_u32_e32 v4, v34, v4
	v_lshl_add_u32 v4, v4, 3, v33
	v_cndmask_b32_e64 v11, v10, v11, s[24:25]
	v_cndmask_b32_e64 v10, v17, v23, s[24:25]
	;; [unrolled: 1-line block ×4, first 2 shown]
	ds_read_b64 v[22:23], v4
	v_cndmask_b32_e64 v14, v2, v0, s[20:21]
	v_cndmask_b32_e64 v0, v34, v45, s[30:31]
	;; [unrolled: 1-line block ×9, first 2 shown]
	s_waitcnt lgkmcnt(0)
	v_cndmask_b32_e64 v5, v46, v23, s[30:31]
	v_cndmask_b32_e64 v4, v47, v22, s[30:31]
	v_cmp_lt_u32_e32 vcc, v0, v25
	s_and_saveexec_b64 s[20:21], vcc
	s_cbranch_execz .LBB627_1368
; %bb.1359:
	v_cndmask_b32_e64 v0, v22, v43, s[30:31]
	v_cndmask_b32_e64 v22, v44, v34, s[30:31]
	;; [unrolled: 1-line block ×3, first 2 shown]
	v_cmp_lt_u32_e32 vcc, v22, v24
	s_and_saveexec_b64 s[22:23], vcc
	s_cbranch_execz .LBB627_1367
; %bb.1360:
	s_andn2_b64 vcc, exec, s[42:43]
	s_cbranch_vccnz .LBB627_1366
; %bb.1361:
	v_mul_lo_u32 v24, v1, s36
	v_mul_lo_u32 v25, v0, s37
	v_mad_u64_u32 v[22:23], s[14:15], v0, s36, 0
	v_add3_u32 v23, v23, v25, v24
	v_mul_lo_u32 v33, v5, s36
	v_mul_lo_u32 v34, v4, s37
	v_mad_u64_u32 v[24:25], s[14:15], v4, s36, 0
	v_add3_u32 v25, v25, v34, v33
	v_lshl_add_u64 v[22:23], v[22:23], 1, s[38:39]
	v_lshl_add_u64 v[24:25], v[24:25], 1, s[38:39]
	s_mov_b64 s[24:25], 0
	s_mov_b64 s[30:31], s[36:37]
                                        ; implicit-def: $sgpr26_sgpr27
                                        ; implicit-def: $sgpr28_sgpr29
                                        ; implicit-def: $sgpr14_sgpr15
                                        ; implicit-def: $sgpr44_sgpr45
	s_branch .LBB627_1363
.LBB627_1362:                           ;   in Loop: Header=BB627_1363 Depth=1
	s_or_b64 exec, exec, s[48:49]
	s_and_b64 s[16:17], exec, s[28:29]
	s_or_b64 s[24:25], s[16:17], s[24:25]
	s_andn2_b64 s[16:17], s[44:45], exec
	s_and_b64 s[44:45], s[46:47], exec
	s_or_b64 s[44:45], s[16:17], s[44:45]
	s_andn2_b64 s[16:17], s[26:27], exec
	s_and_b64 s[26:27], s[14:15], exec
	s_or_b64 s[26:27], s[16:17], s[26:27]
	s_andn2_b64 exec, exec, s[24:25]
	s_cbranch_execz .LBB627_1365
.LBB627_1363:                           ; =>This Inner Loop Header: Depth=1
	global_load_ushort v33, v[22:23], off
	global_load_ushort v34, v[24:25], off
	s_andn2_b64 s[48:49], s[14:15], exec
	s_or_b64 s[28:29], s[28:29], exec
	s_waitcnt vmcnt(0)
	v_cmp_le_i16_e64 s[14:15], v33, v34
	v_cmp_lt_i16_e32 vcc, v33, v34
	s_and_b64 s[14:15], s[14:15], s[44:45]
	s_or_b64 s[46:47], vcc, s[14:15]
	s_and_b64 s[14:15], s[46:47], exec
	v_cmp_eq_u16_e64 s[16:17], v33, v34
	s_or_b64 s[14:15], s[48:49], s[14:15]
	s_and_saveexec_b64 s[48:49], s[16:17]
	s_cbranch_execz .LBB627_1362
; %bb.1364:                             ;   in Loop: Header=BB627_1363 Depth=1
	s_add_u32 s30, s30, -1
	s_addc_u32 s31, s31, -1
	s_cmp_eq_u64 s[30:31], 0
	s_cselect_b64 s[16:17], -1, 0
	s_andn2_b64 s[28:29], s[28:29], exec
	s_and_b64 s[16:17], s[16:17], exec
	v_lshl_add_u64 v[22:23], v[22:23], 0, 2
	v_lshl_add_u64 v[24:25], v[24:25], 0, 2
	s_andn2_b64 s[14:15], s[14:15], exec
	s_or_b64 s[28:29], s[28:29], s[16:17]
                                        ; implicit-def: $sgpr44_sgpr45
	s_branch .LBB627_1362
.LBB627_1365:
	s_or_b64 exec, exec, s[24:25]
	v_cndmask_b32_e64 v5, v5, v1, s[26:27]
	v_cndmask_b32_e64 v4, v4, v0, s[26:27]
.LBB627_1366:
	v_mov_b64_e32 v[0:1], v[4:5]
.LBB627_1367:
	s_or_b64 exec, exec, s[22:23]
	v_mov_b64_e32 v[4:5], v[0:1]
.LBB627_1368:
	s_or_b64 exec, exec, s[20:21]
.LBB627_1369:
	s_or_b64 exec, exec, s[18:19]
	s_cmpk_lt_u32 s33, 0x81
	; wave barrier
	s_waitcnt lgkmcnt(0)
	s_barrier
	s_cbranch_scc1 .LBB627_1473
; %bb.1370:
	v_cndmask_b32_e64 v0, 0, 1, s[42:43]
	v_lshlrev_b32_e32 v24, 3, v20
	s_lshl_b64 s[20:21], s[36:37], 1
	s_movk_i32 s66, 0x80
	v_cmp_ne_u32_e64 s[14:15], 1, v0
	s_branch .LBB627_1376
.LBB627_1371:                           ;   in Loop: Header=BB627_1376 Depth=1
	s_or_b64 exec, exec, s[52:53]
	v_cndmask_b32_e64 v5, v5, v7, s[54:55]
	v_cndmask_b32_e64 v4, v4, v6, s[54:55]
.LBB627_1372:                           ;   in Loop: Header=BB627_1376 Depth=1
	v_mov_b64_e32 v[6:7], v[4:5]
.LBB627_1373:                           ;   in Loop: Header=BB627_1376 Depth=1
	s_or_b64 exec, exec, s[50:51]
	v_mov_b64_e32 v[4:5], v[6:7]
.LBB627_1374:                           ;   in Loop: Header=BB627_1376 Depth=1
	s_or_b64 exec, exec, s[48:49]
	v_cndmask_b32_e64 v9, v42, v44, s[46:47]
	v_cndmask_b32_e64 v8, v43, v45, s[46:47]
	;; [unrolled: 1-line block ×14, first 2 shown]
.LBB627_1375:                           ;   in Loop: Header=BB627_1376 Depth=1
	s_or_b64 exec, exec, s[22:23]
	s_cmp_lt_u32 s66, s33
	s_barrier
	s_cbranch_scc0 .LBB627_1473
.LBB627_1376:                           ; =>This Loop Header: Depth=1
                                        ;     Child Loop BB627_1380 Depth 2
                                        ;       Child Loop BB627_1383 Depth 3
                                        ;     Child Loop BB627_1395 Depth 2
                                        ;     Child Loop BB627_1405 Depth 2
	;; [unrolled: 1-line block ×8, first 2 shown]
	s_mov_b32 s16, s66
	s_lshl_b32 s66, s66, 1
	s_sub_i32 s18, 0, s66
	v_and_b32_e32 v36, s18, v20
	v_add_u32_e32 v0, s16, v36
	v_min_u32_e32 v25, s33, v0
	s_add_i32 s17, s66, -1
	v_add_u32_e32 v0, s16, v25
	v_min_u32_e32 v33, s33, v0
	v_and_b32_e32 v0, s17, v20
	v_min_u32_e32 v37, s33, v0
	v_sub_u32_e32 v0, v25, v36
	v_sub_u32_e32 v1, v33, v25
	v_sub_u32_e64 v35, v37, v1 clamp
	v_min_u32_e32 v38, v37, v0
	v_lshlrev_b32_e32 v34, 3, v36
	v_cmp_lt_u32_e32 vcc, v35, v38
	ds_write_b128 v24, v[14:17]
	ds_write_b128 v24, v[10:13] offset:16
	ds_write_b128 v24, v[6:9] offset:32
	;; [unrolled: 1-line block ×3, first 2 shown]
	s_waitcnt lgkmcnt(0)
	s_barrier
	s_and_saveexec_b64 s[22:23], vcc
	s_cbranch_execz .LBB627_1386
; %bb.1377:                             ;   in Loop: Header=BB627_1376 Depth=1
	v_lshlrev_b32_e32 v0, 3, v37
	v_lshl_add_u32 v39, v25, 3, v0
	s_mov_b64 s[24:25], 0
	s_branch .LBB627_1380
.LBB627_1378:                           ;   in Loop: Header=BB627_1380 Depth=2
	s_or_b64 exec, exec, s[28:29]
.LBB627_1379:                           ;   in Loop: Header=BB627_1380 Depth=2
	v_add_u32_e32 v0, 1, v40
	v_cndmask_b32_e64 v38, v38, v40, s[26:27]
	v_cndmask_b32_e64 v35, v0, v35, s[26:27]
	v_cmp_ge_u32_e32 vcc, v35, v38
	s_or_b64 s[24:25], vcc, s[24:25]
	s_andn2_b64 exec, exec, s[24:25]
	s_cbranch_execz .LBB627_1385
.LBB627_1380:                           ;   Parent Loop BB627_1376 Depth=1
                                        ; =>  This Loop Header: Depth=2
                                        ;       Child Loop BB627_1383 Depth 3
	v_add_u32_e32 v0, v38, v35
	v_lshrrev_b32_e32 v40, 1, v0
	s_and_b64 vcc, exec, s[14:15]
	s_mov_b64 s[26:27], 0
	s_cbranch_vccnz .LBB627_1379
; %bb.1381:                             ;   in Loop: Header=BB627_1380 Depth=2
	v_not_b32_e32 v0, v40
	v_lshl_add_u32 v0, v0, 3, v39
	ds_read_b64 v[0:1], v0
	v_lshl_add_u32 v41, v40, 3, v34
	ds_read_b64 v[42:43], v41
	v_mov_b64_e32 v[22:23], s[38:39]
	s_mov_b64 s[28:29], 0
	s_waitcnt lgkmcnt(1)
	v_mul_lo_u32 v41, s20, v1
	v_mul_lo_u32 v44, s21, v0
	v_mad_u64_u32 v[0:1], s[16:17], s20, v0, v[22:23]
	v_add3_u32 v1, v44, v1, v41
	s_waitcnt lgkmcnt(0)
	v_mul_lo_u32 v41, s20, v43
	v_mul_lo_u32 v43, s21, v42
	v_mad_u64_u32 v[22:23], s[16:17], s20, v42, v[22:23]
	v_add3_u32 v23, v43, v23, v41
	s_mov_b64 s[42:43], s[36:37]
                                        ; implicit-def: $sgpr26_sgpr27
                                        ; implicit-def: $sgpr30_sgpr31
                                        ; implicit-def: $sgpr16_sgpr17
                                        ; implicit-def: $sgpr44_sgpr45
	s_branch .LBB627_1383
.LBB627_1382:                           ;   in Loop: Header=BB627_1383 Depth=3
	s_or_b64 exec, exec, s[48:49]
	s_and_b64 s[18:19], exec, s[30:31]
	s_or_b64 s[28:29], s[18:19], s[28:29]
	s_andn2_b64 s[18:19], s[44:45], exec
	s_and_b64 s[44:45], s[46:47], exec
	s_or_b64 s[44:45], s[18:19], s[44:45]
	s_andn2_b64 s[18:19], s[26:27], exec
	s_and_b64 s[26:27], s[16:17], exec
	s_or_b64 s[26:27], s[18:19], s[26:27]
	s_andn2_b64 exec, exec, s[28:29]
	s_cbranch_execz .LBB627_1378
.LBB627_1383:                           ;   Parent Loop BB627_1376 Depth=1
                                        ;     Parent Loop BB627_1380 Depth=2
                                        ; =>    This Inner Loop Header: Depth=3
	global_load_ushort v41, v[0:1], off
	global_load_ushort v42, v[22:23], off
	s_andn2_b64 s[48:49], s[16:17], exec
	s_or_b64 s[30:31], s[30:31], exec
	s_waitcnt vmcnt(0)
	v_cmp_le_i16_e64 s[16:17], v41, v42
	v_cmp_lt_i16_e32 vcc, v41, v42
	s_and_b64 s[16:17], s[16:17], s[44:45]
	s_or_b64 s[46:47], vcc, s[16:17]
	s_and_b64 s[16:17], s[46:47], exec
	v_cmp_eq_u16_e64 s[18:19], v41, v42
	s_or_b64 s[16:17], s[48:49], s[16:17]
	s_and_saveexec_b64 s[48:49], s[18:19]
	s_cbranch_execz .LBB627_1382
; %bb.1384:                             ;   in Loop: Header=BB627_1383 Depth=3
	s_add_u32 s42, s42, -1
	s_addc_u32 s43, s43, -1
	s_cmp_eq_u64 s[42:43], 0
	s_cselect_b64 s[18:19], -1, 0
	s_andn2_b64 s[30:31], s[30:31], exec
	s_and_b64 s[18:19], s[18:19], exec
	v_lshl_add_u64 v[0:1], v[0:1], 0, 2
	v_lshl_add_u64 v[22:23], v[22:23], 0, 2
	s_andn2_b64 s[16:17], s[16:17], exec
	s_or_b64 s[30:31], s[30:31], s[18:19]
                                        ; implicit-def: $sgpr44_sgpr45
	s_branch .LBB627_1382
.LBB627_1385:                           ;   in Loop: Header=BB627_1376 Depth=1
	s_or_b64 exec, exec, s[24:25]
.LBB627_1386:                           ;   in Loop: Header=BB627_1376 Depth=1
	s_or_b64 exec, exec, s[22:23]
	v_sub_u32_e32 v0, v37, v35
	v_add_u32_e32 v23, v35, v36
	v_add_u32_e32 v36, v0, v25
	v_cmp_le_u32_e32 vcc, v23, v25
	v_cmp_le_u32_e64 s[16:17], v36, v33
	s_or_b64 s[16:17], vcc, s[16:17]
	s_and_saveexec_b64 s[22:23], s[16:17]
	s_cbranch_execz .LBB627_1375
; %bb.1387:                             ;   in Loop: Header=BB627_1376 Depth=1
	v_cmp_ge_u32_e32 vcc, v23, v25
	v_cmp_lt_u32_e64 s[16:17], v23, v25
                                        ; implicit-def: $vgpr0_vgpr1
	s_and_saveexec_b64 s[18:19], s[16:17]
; %bb.1388:                             ;   in Loop: Header=BB627_1376 Depth=1
	v_lshl_add_u32 v0, v35, 3, v34
	ds_read_b64 v[0:1], v0
; %bb.1389:                             ;   in Loop: Header=BB627_1376 Depth=1
	s_or_b64 exec, exec, s[18:19]
	v_cmp_ge_u32_e64 s[24:25], v36, v33
	v_cmp_lt_u32_e64 s[16:17], v36, v33
                                        ; implicit-def: $vgpr2_vgpr3
	s_and_saveexec_b64 s[18:19], s[16:17]
; %bb.1390:                             ;   in Loop: Header=BB627_1376 Depth=1
	v_lshlrev_b32_e32 v2, 3, v36
	ds_read_b64 v[2:3], v2
; %bb.1391:                             ;   in Loop: Header=BB627_1376 Depth=1
	s_or_b64 exec, exec, s[18:19]
	s_nor_b64 s[16:17], vcc, s[24:25]
	s_and_saveexec_b64 s[26:27], s[16:17]
	s_cbranch_execz .LBB627_1400
; %bb.1392:                             ;   in Loop: Header=BB627_1376 Depth=1
	s_and_b64 vcc, exec, s[14:15]
	s_cbranch_vccnz .LBB627_1398
; %bb.1393:                             ;   in Loop: Header=BB627_1376 Depth=1
	v_mov_b64_e32 v[6:7], s[38:39]
	s_waitcnt lgkmcnt(0)
	v_mad_u64_u32 v[4:5], s[16:17], s20, v2, v[6:7]
	v_mul_lo_u32 v8, s20, v3
	v_mul_lo_u32 v9, s21, v2
	v_add3_u32 v5, v9, v5, v8
	v_mad_u64_u32 v[6:7], s[16:17], s20, v0, v[6:7]
	v_mul_lo_u32 v8, s20, v1
	v_mul_lo_u32 v9, s21, v0
	v_add3_u32 v7, v9, v7, v8
	s_mov_b64 s[28:29], 0
	s_mov_b64 s[44:45], s[36:37]
                                        ; implicit-def: $sgpr30_sgpr31
                                        ; implicit-def: $sgpr42_sgpr43
                                        ; implicit-def: $sgpr16_sgpr17
                                        ; implicit-def: $sgpr46_sgpr47
	s_branch .LBB627_1395
.LBB627_1394:                           ;   in Loop: Header=BB627_1395 Depth=2
	s_or_b64 exec, exec, s[50:51]
	s_and_b64 s[18:19], exec, s[42:43]
	s_or_b64 s[28:29], s[18:19], s[28:29]
	s_andn2_b64 s[18:19], s[46:47], exec
	s_and_b64 s[46:47], s[48:49], exec
	s_or_b64 s[46:47], s[18:19], s[46:47]
	s_andn2_b64 s[18:19], s[30:31], exec
	s_and_b64 s[30:31], s[16:17], exec
	s_or_b64 s[30:31], s[18:19], s[30:31]
	s_andn2_b64 exec, exec, s[28:29]
	s_cbranch_execz .LBB627_1397
.LBB627_1395:                           ;   Parent Loop BB627_1376 Depth=1
                                        ; =>  This Inner Loop Header: Depth=2
	global_load_ushort v8, v[4:5], off
	global_load_ushort v9, v[6:7], off
	s_andn2_b64 s[50:51], s[16:17], exec
	s_or_b64 s[42:43], s[42:43], exec
	s_waitcnt vmcnt(0)
	v_cmp_le_i16_e64 s[16:17], v8, v9
	v_cmp_lt_i16_e32 vcc, v8, v9
	s_and_b64 s[16:17], s[16:17], s[46:47]
	s_or_b64 s[48:49], vcc, s[16:17]
	s_and_b64 s[16:17], s[48:49], exec
	v_cmp_eq_u16_e64 s[18:19], v8, v9
	s_or_b64 s[16:17], s[50:51], s[16:17]
	s_and_saveexec_b64 s[50:51], s[18:19]
	s_cbranch_execz .LBB627_1394
; %bb.1396:                             ;   in Loop: Header=BB627_1395 Depth=2
	s_add_u32 s44, s44, -1
	s_addc_u32 s45, s45, -1
	s_cmp_eq_u64 s[44:45], 0
	s_cselect_b64 s[18:19], -1, 0
	s_andn2_b64 s[42:43], s[42:43], exec
	s_and_b64 s[18:19], s[18:19], exec
	v_lshl_add_u64 v[4:5], v[4:5], 0, 2
	v_lshl_add_u64 v[6:7], v[6:7], 0, 2
	s_andn2_b64 s[16:17], s[16:17], exec
	s_or_b64 s[42:43], s[42:43], s[18:19]
                                        ; implicit-def: $sgpr46_sgpr47
	s_branch .LBB627_1394
.LBB627_1397:                           ;   in Loop: Header=BB627_1376 Depth=1
	s_or_b64 exec, exec, s[28:29]
	s_xor_b64 s[16:17], s[30:31], -1
	s_branch .LBB627_1399
.LBB627_1398:                           ;   in Loop: Header=BB627_1376 Depth=1
	s_mov_b64 s[16:17], -1
.LBB627_1399:                           ;   in Loop: Header=BB627_1376 Depth=1
	s_andn2_b64 s[18:19], s[24:25], exec
	s_and_b64 s[16:17], s[16:17], exec
	s_or_b64 s[24:25], s[18:19], s[16:17]
.LBB627_1400:                           ;   in Loop: Header=BB627_1376 Depth=1
	s_or_b64 exec, exec, s[26:27]
	v_cndmask_b32_e64 v4, v36, v23, s[24:25]
	v_cndmask_b32_e64 v5, v33, v25, s[24:25]
	v_add_u32_e32 v6, 1, v4
	v_add_u32_e32 v4, -1, v5
	v_min_u32_e32 v4, v6, v4
	v_lshlrev_b32_e32 v4, 3, v4
	ds_read_b64 v[4:5], v4
	v_cndmask_b32_e64 v8, v6, v36, s[24:25]
	v_cndmask_b32_e64 v9, v23, v6, s[24:25]
	v_cmp_lt_u32_e32 vcc, v8, v33
	s_mov_b64 s[28:29], -1
	s_waitcnt lgkmcnt(0)
	v_cndmask_b32_e64 v14, v5, v3, s[24:25]
	v_cndmask_b32_e64 v15, v4, v2, s[24:25]
	;; [unrolled: 1-line block ×4, first 2 shown]
	s_mov_b64 s[26:27], -1
	s_and_saveexec_b64 s[30:31], vcc
	s_cbranch_execz .LBB627_1411
; %bb.1401:                             ;   in Loop: Header=BB627_1376 Depth=1
	v_cmp_lt_u32_e32 vcc, v9, v25
	s_mov_b64 s[16:17], 0
	s_and_saveexec_b64 s[26:27], vcc
	s_cbranch_execz .LBB627_1410
; %bb.1402:                             ;   in Loop: Header=BB627_1376 Depth=1
	s_and_b64 vcc, exec, s[14:15]
	s_cbranch_vccnz .LBB627_1408
; %bb.1403:                             ;   in Loop: Header=BB627_1376 Depth=1
	v_mov_b64_e32 v[6:7], s[38:39]
	v_mad_u64_u32 v[4:5], s[16:17], s20, v15, v[6:7]
	v_mul_lo_u32 v10, s20, v14
	v_mul_lo_u32 v11, s21, v15
	v_add3_u32 v5, v11, v5, v10
	v_mad_u64_u32 v[6:7], s[16:17], s20, v22, v[6:7]
	v_mul_lo_u32 v10, s20, v16
	v_mul_lo_u32 v11, s21, v22
	v_add3_u32 v7, v11, v7, v10
	s_mov_b64 s[42:43], 0
	s_mov_b64 s[48:49], s[36:37]
                                        ; implicit-def: $sgpr44_sgpr45
                                        ; implicit-def: $sgpr46_sgpr47
                                        ; implicit-def: $sgpr16_sgpr17
                                        ; implicit-def: $sgpr50_sgpr51
	s_branch .LBB627_1405
.LBB627_1404:                           ;   in Loop: Header=BB627_1405 Depth=2
	s_or_b64 exec, exec, s[54:55]
	s_and_b64 s[18:19], exec, s[46:47]
	s_or_b64 s[42:43], s[18:19], s[42:43]
	s_andn2_b64 s[18:19], s[50:51], exec
	s_and_b64 s[50:51], s[52:53], exec
	s_or_b64 s[50:51], s[18:19], s[50:51]
	s_andn2_b64 s[18:19], s[44:45], exec
	s_and_b64 s[44:45], s[16:17], exec
	s_or_b64 s[44:45], s[18:19], s[44:45]
	s_andn2_b64 exec, exec, s[42:43]
	s_cbranch_execz .LBB627_1407
.LBB627_1405:                           ;   Parent Loop BB627_1376 Depth=1
                                        ; =>  This Inner Loop Header: Depth=2
	global_load_ushort v10, v[4:5], off
	global_load_ushort v11, v[6:7], off
	s_andn2_b64 s[54:55], s[16:17], exec
	s_or_b64 s[46:47], s[46:47], exec
	s_waitcnt vmcnt(0)
	v_cmp_le_i16_e64 s[16:17], v10, v11
	v_cmp_lt_i16_e32 vcc, v10, v11
	s_and_b64 s[16:17], s[16:17], s[50:51]
	s_or_b64 s[52:53], vcc, s[16:17]
	s_and_b64 s[16:17], s[52:53], exec
	v_cmp_eq_u16_e64 s[18:19], v10, v11
	s_or_b64 s[16:17], s[54:55], s[16:17]
	s_and_saveexec_b64 s[54:55], s[18:19]
	s_cbranch_execz .LBB627_1404
; %bb.1406:                             ;   in Loop: Header=BB627_1405 Depth=2
	s_add_u32 s48, s48, -1
	s_addc_u32 s49, s49, -1
	s_cmp_eq_u64 s[48:49], 0
	s_cselect_b64 s[18:19], -1, 0
	s_andn2_b64 s[46:47], s[46:47], exec
	s_and_b64 s[18:19], s[18:19], exec
	v_lshl_add_u64 v[4:5], v[4:5], 0, 2
	v_lshl_add_u64 v[6:7], v[6:7], 0, 2
	s_andn2_b64 s[16:17], s[16:17], exec
	s_or_b64 s[46:47], s[46:47], s[18:19]
                                        ; implicit-def: $sgpr50_sgpr51
	s_branch .LBB627_1404
.LBB627_1407:                           ;   in Loop: Header=BB627_1376 Depth=1
	s_or_b64 exec, exec, s[42:43]
	s_xor_b64 s[16:17], s[44:45], -1
	s_branch .LBB627_1409
.LBB627_1408:                           ;   in Loop: Header=BB627_1376 Depth=1
	s_mov_b64 s[16:17], -1
.LBB627_1409:                           ;   in Loop: Header=BB627_1376 Depth=1
	s_and_b64 s[16:17], s[16:17], exec
.LBB627_1410:                           ;   in Loop: Header=BB627_1376 Depth=1
	s_or_b64 exec, exec, s[26:27]
	s_orn2_b64 s[26:27], s[16:17], exec
.LBB627_1411:                           ;   in Loop: Header=BB627_1376 Depth=1
	s_or_b64 exec, exec, s[30:31]
	v_cndmask_b32_e64 v4, v8, v9, s[26:27]
	v_cndmask_b32_e64 v5, v33, v25, s[26:27]
	v_add_u32_e32 v6, 1, v4
	v_add_u32_e32 v4, -1, v5
	v_min_u32_e32 v4, v6, v4
	v_lshlrev_b32_e32 v4, 3, v4
	ds_read_b64 v[4:5], v4
	v_cndmask_b32_e64 v8, v6, v8, s[26:27]
	v_cndmask_b32_e64 v9, v9, v6, s[26:27]
	v_cmp_lt_u32_e32 vcc, v8, v33
	s_waitcnt lgkmcnt(0)
	v_cndmask_b32_e64 v17, v5, v14, s[26:27]
	v_cndmask_b32_e64 v23, v4, v15, s[26:27]
	;; [unrolled: 1-line block ×4, first 2 shown]
	s_and_saveexec_b64 s[30:31], vcc
	s_cbranch_execz .LBB627_1422
; %bb.1412:                             ;   in Loop: Header=BB627_1376 Depth=1
	v_cmp_lt_u32_e32 vcc, v9, v25
	s_mov_b64 s[16:17], 0
	s_and_saveexec_b64 s[28:29], vcc
	s_cbranch_execz .LBB627_1421
; %bb.1413:                             ;   in Loop: Header=BB627_1376 Depth=1
	s_and_b64 vcc, exec, s[14:15]
	s_cbranch_vccnz .LBB627_1419
; %bb.1414:                             ;   in Loop: Header=BB627_1376 Depth=1
	v_mov_b64_e32 v[6:7], s[38:39]
	v_mad_u64_u32 v[4:5], s[16:17], s20, v23, v[6:7]
	v_mul_lo_u32 v10, s20, v17
	v_mul_lo_u32 v11, s21, v23
	v_add3_u32 v5, v11, v5, v10
	v_mad_u64_u32 v[6:7], s[16:17], s20, v35, v[6:7]
	v_mul_lo_u32 v10, s20, v34
	v_mul_lo_u32 v11, s21, v35
	v_add3_u32 v7, v11, v7, v10
	s_mov_b64 s[42:43], 0
	s_mov_b64 s[48:49], s[36:37]
                                        ; implicit-def: $sgpr44_sgpr45
                                        ; implicit-def: $sgpr46_sgpr47
                                        ; implicit-def: $sgpr16_sgpr17
                                        ; implicit-def: $sgpr50_sgpr51
	s_branch .LBB627_1416
.LBB627_1415:                           ;   in Loop: Header=BB627_1416 Depth=2
	s_or_b64 exec, exec, s[54:55]
	s_and_b64 s[18:19], exec, s[46:47]
	s_or_b64 s[42:43], s[18:19], s[42:43]
	s_andn2_b64 s[18:19], s[50:51], exec
	s_and_b64 s[50:51], s[52:53], exec
	s_or_b64 s[50:51], s[18:19], s[50:51]
	s_andn2_b64 s[18:19], s[44:45], exec
	s_and_b64 s[44:45], s[16:17], exec
	s_or_b64 s[44:45], s[18:19], s[44:45]
	s_andn2_b64 exec, exec, s[42:43]
	s_cbranch_execz .LBB627_1418
.LBB627_1416:                           ;   Parent Loop BB627_1376 Depth=1
                                        ; =>  This Inner Loop Header: Depth=2
	global_load_ushort v10, v[4:5], off
	global_load_ushort v11, v[6:7], off
	s_andn2_b64 s[54:55], s[16:17], exec
	s_or_b64 s[46:47], s[46:47], exec
	s_waitcnt vmcnt(0)
	v_cmp_le_i16_e64 s[16:17], v10, v11
	v_cmp_lt_i16_e32 vcc, v10, v11
	s_and_b64 s[16:17], s[16:17], s[50:51]
	s_or_b64 s[52:53], vcc, s[16:17]
	s_and_b64 s[16:17], s[52:53], exec
	v_cmp_eq_u16_e64 s[18:19], v10, v11
	s_or_b64 s[16:17], s[54:55], s[16:17]
	s_and_saveexec_b64 s[54:55], s[18:19]
	s_cbranch_execz .LBB627_1415
; %bb.1417:                             ;   in Loop: Header=BB627_1416 Depth=2
	s_add_u32 s48, s48, -1
	s_addc_u32 s49, s49, -1
	s_cmp_eq_u64 s[48:49], 0
	s_cselect_b64 s[18:19], -1, 0
	s_andn2_b64 s[46:47], s[46:47], exec
	s_and_b64 s[18:19], s[18:19], exec
	v_lshl_add_u64 v[4:5], v[4:5], 0, 2
	v_lshl_add_u64 v[6:7], v[6:7], 0, 2
	s_andn2_b64 s[16:17], s[16:17], exec
	s_or_b64 s[46:47], s[46:47], s[18:19]
                                        ; implicit-def: $sgpr50_sgpr51
	s_branch .LBB627_1415
.LBB627_1418:                           ;   in Loop: Header=BB627_1376 Depth=1
	s_or_b64 exec, exec, s[42:43]
	s_xor_b64 s[16:17], s[44:45], -1
	s_branch .LBB627_1420
.LBB627_1419:                           ;   in Loop: Header=BB627_1376 Depth=1
	s_mov_b64 s[16:17], -1
.LBB627_1420:                           ;   in Loop: Header=BB627_1376 Depth=1
	s_and_b64 s[16:17], s[16:17], exec
.LBB627_1421:                           ;   in Loop: Header=BB627_1376 Depth=1
	s_or_b64 exec, exec, s[28:29]
	s_orn2_b64 s[28:29], s[16:17], exec
.LBB627_1422:                           ;   in Loop: Header=BB627_1376 Depth=1
	s_or_b64 exec, exec, s[30:31]
	v_cndmask_b32_e64 v4, v8, v9, s[28:29]
	v_cndmask_b32_e64 v5, v33, v25, s[28:29]
	v_add_u32_e32 v6, 1, v4
	v_add_u32_e32 v4, -1, v5
	v_min_u32_e32 v4, v6, v4
	v_lshlrev_b32_e32 v4, 3, v4
	ds_read_b64 v[4:5], v4
	v_cndmask_b32_e64 v8, v6, v8, s[28:29]
	v_cndmask_b32_e64 v9, v9, v6, s[28:29]
	v_cmp_lt_u32_e32 vcc, v8, v33
	s_mov_b64 s[42:43], -1
	s_waitcnt lgkmcnt(0)
	v_cndmask_b32_e64 v12, v5, v17, s[28:29]
	v_cndmask_b32_e64 v36, v4, v23, s[28:29]
	;; [unrolled: 1-line block ×4, first 2 shown]
	s_mov_b64 s[30:31], -1
	s_and_saveexec_b64 s[44:45], vcc
	s_cbranch_execz .LBB627_1433
; %bb.1423:                             ;   in Loop: Header=BB627_1376 Depth=1
	v_cmp_lt_u32_e32 vcc, v9, v25
	s_mov_b64 s[16:17], 0
	s_and_saveexec_b64 s[30:31], vcc
	s_cbranch_execz .LBB627_1432
; %bb.1424:                             ;   in Loop: Header=BB627_1376 Depth=1
	s_and_b64 vcc, exec, s[14:15]
	s_cbranch_vccnz .LBB627_1430
; %bb.1425:                             ;   in Loop: Header=BB627_1376 Depth=1
	v_mov_b64_e32 v[6:7], s[38:39]
	v_mad_u64_u32 v[4:5], s[16:17], s20, v36, v[6:7]
	v_mul_lo_u32 v10, s20, v12
	v_mul_lo_u32 v11, s21, v36
	v_add3_u32 v5, v11, v5, v10
	v_mad_u64_u32 v[6:7], s[16:17], s20, v37, v[6:7]
	v_mul_lo_u32 v10, s20, v13
	v_mul_lo_u32 v11, s21, v37
	v_add3_u32 v7, v11, v7, v10
	s_mov_b64 s[46:47], 0
	s_mov_b64 s[52:53], s[36:37]
                                        ; implicit-def: $sgpr48_sgpr49
                                        ; implicit-def: $sgpr50_sgpr51
                                        ; implicit-def: $sgpr16_sgpr17
                                        ; implicit-def: $sgpr54_sgpr55
	s_branch .LBB627_1427
.LBB627_1426:                           ;   in Loop: Header=BB627_1427 Depth=2
	s_or_b64 exec, exec, s[58:59]
	s_and_b64 s[18:19], exec, s[50:51]
	s_or_b64 s[46:47], s[18:19], s[46:47]
	s_andn2_b64 s[18:19], s[54:55], exec
	s_and_b64 s[54:55], s[56:57], exec
	s_or_b64 s[54:55], s[18:19], s[54:55]
	s_andn2_b64 s[18:19], s[48:49], exec
	s_and_b64 s[48:49], s[16:17], exec
	s_or_b64 s[48:49], s[18:19], s[48:49]
	s_andn2_b64 exec, exec, s[46:47]
	s_cbranch_execz .LBB627_1429
.LBB627_1427:                           ;   Parent Loop BB627_1376 Depth=1
                                        ; =>  This Inner Loop Header: Depth=2
	global_load_ushort v10, v[4:5], off
	global_load_ushort v11, v[6:7], off
	s_andn2_b64 s[58:59], s[16:17], exec
	s_or_b64 s[50:51], s[50:51], exec
	s_waitcnt vmcnt(0)
	v_cmp_le_i16_e64 s[16:17], v10, v11
	v_cmp_lt_i16_e32 vcc, v10, v11
	s_and_b64 s[16:17], s[16:17], s[54:55]
	s_or_b64 s[56:57], vcc, s[16:17]
	s_and_b64 s[16:17], s[56:57], exec
	v_cmp_eq_u16_e64 s[18:19], v10, v11
	s_or_b64 s[16:17], s[58:59], s[16:17]
	s_and_saveexec_b64 s[58:59], s[18:19]
	s_cbranch_execz .LBB627_1426
; %bb.1428:                             ;   in Loop: Header=BB627_1427 Depth=2
	s_add_u32 s52, s52, -1
	s_addc_u32 s53, s53, -1
	s_cmp_eq_u64 s[52:53], 0
	s_cselect_b64 s[18:19], -1, 0
	s_andn2_b64 s[50:51], s[50:51], exec
	s_and_b64 s[18:19], s[18:19], exec
	v_lshl_add_u64 v[4:5], v[4:5], 0, 2
	v_lshl_add_u64 v[6:7], v[6:7], 0, 2
	s_andn2_b64 s[16:17], s[16:17], exec
	s_or_b64 s[50:51], s[50:51], s[18:19]
                                        ; implicit-def: $sgpr54_sgpr55
	s_branch .LBB627_1426
.LBB627_1429:                           ;   in Loop: Header=BB627_1376 Depth=1
	s_or_b64 exec, exec, s[46:47]
	s_xor_b64 s[16:17], s[48:49], -1
	s_branch .LBB627_1431
.LBB627_1430:                           ;   in Loop: Header=BB627_1376 Depth=1
	s_mov_b64 s[16:17], -1
.LBB627_1431:                           ;   in Loop: Header=BB627_1376 Depth=1
	s_and_b64 s[16:17], s[16:17], exec
.LBB627_1432:                           ;   in Loop: Header=BB627_1376 Depth=1
	s_or_b64 exec, exec, s[30:31]
	s_orn2_b64 s[30:31], s[16:17], exec
.LBB627_1433:                           ;   in Loop: Header=BB627_1376 Depth=1
	s_or_b64 exec, exec, s[44:45]
	v_cndmask_b32_e64 v4, v8, v9, s[30:31]
	v_cndmask_b32_e64 v5, v33, v25, s[30:31]
	v_add_u32_e32 v6, 1, v4
	v_add_u32_e32 v4, -1, v5
	v_min_u32_e32 v4, v6, v4
	v_lshlrev_b32_e32 v4, 3, v4
	ds_read_b64 v[4:5], v4
	v_cndmask_b32_e64 v8, v6, v8, s[30:31]
	v_cndmask_b32_e64 v9, v9, v6, s[30:31]
	v_cmp_lt_u32_e32 vcc, v8, v33
	s_waitcnt lgkmcnt(0)
	v_cndmask_b32_e64 v38, v5, v12, s[30:31]
	v_cndmask_b32_e64 v39, v4, v36, s[30:31]
	;; [unrolled: 1-line block ×4, first 2 shown]
	s_and_saveexec_b64 s[44:45], vcc
	s_cbranch_execz .LBB627_1444
; %bb.1434:                             ;   in Loop: Header=BB627_1376 Depth=1
	v_cmp_lt_u32_e32 vcc, v9, v25
	s_mov_b64 s[16:17], 0
	s_and_saveexec_b64 s[42:43], vcc
	s_cbranch_execz .LBB627_1443
; %bb.1435:                             ;   in Loop: Header=BB627_1376 Depth=1
	s_and_b64 vcc, exec, s[14:15]
	s_cbranch_vccnz .LBB627_1441
; %bb.1436:                             ;   in Loop: Header=BB627_1376 Depth=1
	v_mov_b64_e32 v[6:7], s[38:39]
	v_mad_u64_u32 v[4:5], s[16:17], s20, v39, v[6:7]
	v_mul_lo_u32 v10, s20, v38
	v_mul_lo_u32 v11, s21, v39
	v_add3_u32 v5, v11, v5, v10
	v_mad_u64_u32 v[6:7], s[16:17], s20, v41, v[6:7]
	v_mul_lo_u32 v10, s20, v40
	v_mul_lo_u32 v11, s21, v41
	v_add3_u32 v7, v11, v7, v10
	s_mov_b64 s[46:47], 0
	s_mov_b64 s[52:53], s[36:37]
                                        ; implicit-def: $sgpr48_sgpr49
                                        ; implicit-def: $sgpr50_sgpr51
                                        ; implicit-def: $sgpr16_sgpr17
                                        ; implicit-def: $sgpr54_sgpr55
	s_branch .LBB627_1438
.LBB627_1437:                           ;   in Loop: Header=BB627_1438 Depth=2
	s_or_b64 exec, exec, s[58:59]
	s_and_b64 s[18:19], exec, s[50:51]
	s_or_b64 s[46:47], s[18:19], s[46:47]
	s_andn2_b64 s[18:19], s[54:55], exec
	s_and_b64 s[54:55], s[56:57], exec
	s_or_b64 s[54:55], s[18:19], s[54:55]
	s_andn2_b64 s[18:19], s[48:49], exec
	s_and_b64 s[48:49], s[16:17], exec
	s_or_b64 s[48:49], s[18:19], s[48:49]
	s_andn2_b64 exec, exec, s[46:47]
	s_cbranch_execz .LBB627_1440
.LBB627_1438:                           ;   Parent Loop BB627_1376 Depth=1
                                        ; =>  This Inner Loop Header: Depth=2
	global_load_ushort v10, v[4:5], off
	global_load_ushort v11, v[6:7], off
	s_andn2_b64 s[58:59], s[16:17], exec
	s_or_b64 s[50:51], s[50:51], exec
	s_waitcnt vmcnt(0)
	v_cmp_le_i16_e64 s[16:17], v10, v11
	v_cmp_lt_i16_e32 vcc, v10, v11
	s_and_b64 s[16:17], s[16:17], s[54:55]
	s_or_b64 s[56:57], vcc, s[16:17]
	s_and_b64 s[16:17], s[56:57], exec
	v_cmp_eq_u16_e64 s[18:19], v10, v11
	s_or_b64 s[16:17], s[58:59], s[16:17]
	s_and_saveexec_b64 s[58:59], s[18:19]
	s_cbranch_execz .LBB627_1437
; %bb.1439:                             ;   in Loop: Header=BB627_1438 Depth=2
	s_add_u32 s52, s52, -1
	s_addc_u32 s53, s53, -1
	s_cmp_eq_u64 s[52:53], 0
	s_cselect_b64 s[18:19], -1, 0
	s_andn2_b64 s[50:51], s[50:51], exec
	s_and_b64 s[18:19], s[18:19], exec
	v_lshl_add_u64 v[4:5], v[4:5], 0, 2
	v_lshl_add_u64 v[6:7], v[6:7], 0, 2
	s_andn2_b64 s[16:17], s[16:17], exec
	s_or_b64 s[50:51], s[50:51], s[18:19]
                                        ; implicit-def: $sgpr54_sgpr55
	s_branch .LBB627_1437
.LBB627_1440:                           ;   in Loop: Header=BB627_1376 Depth=1
	s_or_b64 exec, exec, s[46:47]
	s_xor_b64 s[16:17], s[48:49], -1
	s_branch .LBB627_1442
.LBB627_1441:                           ;   in Loop: Header=BB627_1376 Depth=1
	s_mov_b64 s[16:17], -1
.LBB627_1442:                           ;   in Loop: Header=BB627_1376 Depth=1
	s_and_b64 s[16:17], s[16:17], exec
.LBB627_1443:                           ;   in Loop: Header=BB627_1376 Depth=1
	s_or_b64 exec, exec, s[42:43]
	s_orn2_b64 s[42:43], s[16:17], exec
.LBB627_1444:                           ;   in Loop: Header=BB627_1376 Depth=1
	s_or_b64 exec, exec, s[44:45]
	v_cndmask_b32_e64 v4, v8, v9, s[42:43]
	v_cndmask_b32_e64 v5, v33, v25, s[42:43]
	v_add_u32_e32 v6, 1, v4
	v_add_u32_e32 v4, -1, v5
	v_min_u32_e32 v4, v6, v4
	v_lshlrev_b32_e32 v4, 3, v4
	ds_read_b64 v[4:5], v4
	v_cndmask_b32_e64 v8, v6, v8, s[42:43]
	v_cndmask_b32_e64 v9, v9, v6, s[42:43]
	v_cmp_lt_u32_e32 vcc, v8, v33
	s_mov_b64 s[44:45], -1
	s_waitcnt lgkmcnt(0)
	v_cndmask_b32_e64 v42, v5, v38, s[42:43]
	v_cndmask_b32_e64 v43, v4, v39, s[42:43]
	;; [unrolled: 1-line block ×4, first 2 shown]
	s_mov_b64 s[46:47], -1
	s_and_saveexec_b64 s[48:49], vcc
	s_cbranch_execz .LBB627_1455
; %bb.1445:                             ;   in Loop: Header=BB627_1376 Depth=1
	v_cmp_lt_u32_e32 vcc, v9, v25
	s_mov_b64 s[16:17], 0
	s_and_saveexec_b64 s[46:47], vcc
	s_cbranch_execz .LBB627_1454
; %bb.1446:                             ;   in Loop: Header=BB627_1376 Depth=1
	s_and_b64 vcc, exec, s[14:15]
	s_cbranch_vccnz .LBB627_1452
; %bb.1447:                             ;   in Loop: Header=BB627_1376 Depth=1
	v_mov_b64_e32 v[6:7], s[38:39]
	v_mad_u64_u32 v[4:5], s[16:17], s20, v43, v[6:7]
	v_mul_lo_u32 v10, s20, v42
	v_mul_lo_u32 v11, s21, v43
	v_add3_u32 v5, v11, v5, v10
	v_mad_u64_u32 v[6:7], s[16:17], s20, v45, v[6:7]
	v_mul_lo_u32 v10, s20, v44
	v_mul_lo_u32 v11, s21, v45
	v_add3_u32 v7, v11, v7, v10
	s_mov_b64 s[50:51], 0
	s_mov_b64 s[56:57], s[36:37]
                                        ; implicit-def: $sgpr52_sgpr53
                                        ; implicit-def: $sgpr54_sgpr55
                                        ; implicit-def: $sgpr16_sgpr17
                                        ; implicit-def: $sgpr58_sgpr59
	s_branch .LBB627_1449
.LBB627_1448:                           ;   in Loop: Header=BB627_1449 Depth=2
	s_or_b64 exec, exec, s[62:63]
	s_and_b64 s[18:19], exec, s[54:55]
	s_or_b64 s[50:51], s[18:19], s[50:51]
	s_andn2_b64 s[18:19], s[58:59], exec
	s_and_b64 s[58:59], s[60:61], exec
	s_or_b64 s[58:59], s[18:19], s[58:59]
	s_andn2_b64 s[18:19], s[52:53], exec
	s_and_b64 s[52:53], s[16:17], exec
	s_or_b64 s[52:53], s[18:19], s[52:53]
	s_andn2_b64 exec, exec, s[50:51]
	s_cbranch_execz .LBB627_1451
.LBB627_1449:                           ;   Parent Loop BB627_1376 Depth=1
                                        ; =>  This Inner Loop Header: Depth=2
	global_load_ushort v10, v[4:5], off
	global_load_ushort v11, v[6:7], off
	s_andn2_b64 s[62:63], s[16:17], exec
	s_or_b64 s[54:55], s[54:55], exec
	s_waitcnt vmcnt(0)
	v_cmp_le_i16_e64 s[16:17], v10, v11
	v_cmp_lt_i16_e32 vcc, v10, v11
	s_and_b64 s[16:17], s[16:17], s[58:59]
	s_or_b64 s[60:61], vcc, s[16:17]
	s_and_b64 s[16:17], s[60:61], exec
	v_cmp_eq_u16_e64 s[18:19], v10, v11
	s_or_b64 s[16:17], s[62:63], s[16:17]
	s_and_saveexec_b64 s[62:63], s[18:19]
	s_cbranch_execz .LBB627_1448
; %bb.1450:                             ;   in Loop: Header=BB627_1449 Depth=2
	s_add_u32 s56, s56, -1
	s_addc_u32 s57, s57, -1
	s_cmp_eq_u64 s[56:57], 0
	s_cselect_b64 s[18:19], -1, 0
	s_andn2_b64 s[54:55], s[54:55], exec
	s_and_b64 s[18:19], s[18:19], exec
	v_lshl_add_u64 v[4:5], v[4:5], 0, 2
	v_lshl_add_u64 v[6:7], v[6:7], 0, 2
	s_andn2_b64 s[16:17], s[16:17], exec
	s_or_b64 s[54:55], s[54:55], s[18:19]
                                        ; implicit-def: $sgpr58_sgpr59
	s_branch .LBB627_1448
.LBB627_1451:                           ;   in Loop: Header=BB627_1376 Depth=1
	s_or_b64 exec, exec, s[50:51]
	s_xor_b64 s[16:17], s[52:53], -1
	s_branch .LBB627_1453
.LBB627_1452:                           ;   in Loop: Header=BB627_1376 Depth=1
	s_mov_b64 s[16:17], -1
.LBB627_1453:                           ;   in Loop: Header=BB627_1376 Depth=1
	s_and_b64 s[16:17], s[16:17], exec
.LBB627_1454:                           ;   in Loop: Header=BB627_1376 Depth=1
	s_or_b64 exec, exec, s[46:47]
	s_orn2_b64 s[46:47], s[16:17], exec
.LBB627_1455:                           ;   in Loop: Header=BB627_1376 Depth=1
	s_or_b64 exec, exec, s[48:49]
	v_cndmask_b32_e64 v4, v8, v9, s[46:47]
	v_cndmask_b32_e64 v5, v33, v25, s[46:47]
	v_add_u32_e32 v6, 1, v4
	v_add_u32_e32 v4, -1, v5
	v_min_u32_e32 v4, v6, v4
	v_lshlrev_b32_e32 v4, 3, v4
	ds_read_b64 v[4:5], v4
	v_cndmask_b32_e64 v10, v6, v8, s[46:47]
	v_cndmask_b32_e64 v8, v9, v6, s[46:47]
	v_cmp_lt_u32_e32 vcc, v10, v33
	s_waitcnt lgkmcnt(0)
	v_cndmask_b32_e64 v46, v5, v42, s[46:47]
	v_cndmask_b32_e64 v47, v4, v43, s[46:47]
	;; [unrolled: 1-line block ×4, first 2 shown]
	s_and_saveexec_b64 s[48:49], vcc
	s_cbranch_execz .LBB627_1466
; %bb.1456:                             ;   in Loop: Header=BB627_1376 Depth=1
	v_cmp_lt_u32_e32 vcc, v8, v25
	s_mov_b64 s[16:17], 0
	s_and_saveexec_b64 s[44:45], vcc
	s_cbranch_execz .LBB627_1465
; %bb.1457:                             ;   in Loop: Header=BB627_1376 Depth=1
	s_and_b64 vcc, exec, s[14:15]
	s_cbranch_vccnz .LBB627_1463
; %bb.1458:                             ;   in Loop: Header=BB627_1376 Depth=1
	v_mov_b64_e32 v[6:7], s[38:39]
	v_mad_u64_u32 v[4:5], s[16:17], s20, v47, v[6:7]
	v_mul_lo_u32 v9, s20, v46
	v_mul_lo_u32 v11, s21, v47
	v_add3_u32 v5, v11, v5, v9
	v_mad_u64_u32 v[6:7], s[16:17], s20, v49, v[6:7]
	v_mul_lo_u32 v9, s20, v48
	v_mul_lo_u32 v11, s21, v49
	v_add3_u32 v7, v11, v7, v9
	s_mov_b64 s[50:51], 0
	s_mov_b64 s[56:57], s[36:37]
                                        ; implicit-def: $sgpr52_sgpr53
                                        ; implicit-def: $sgpr54_sgpr55
                                        ; implicit-def: $sgpr16_sgpr17
                                        ; implicit-def: $sgpr58_sgpr59
	s_branch .LBB627_1460
.LBB627_1459:                           ;   in Loop: Header=BB627_1460 Depth=2
	s_or_b64 exec, exec, s[62:63]
	s_and_b64 s[18:19], exec, s[54:55]
	s_or_b64 s[50:51], s[18:19], s[50:51]
	s_andn2_b64 s[18:19], s[58:59], exec
	s_and_b64 s[58:59], s[60:61], exec
	s_or_b64 s[58:59], s[18:19], s[58:59]
	s_andn2_b64 s[18:19], s[52:53], exec
	s_and_b64 s[52:53], s[16:17], exec
	s_or_b64 s[52:53], s[18:19], s[52:53]
	s_andn2_b64 exec, exec, s[50:51]
	s_cbranch_execz .LBB627_1462
.LBB627_1460:                           ;   Parent Loop BB627_1376 Depth=1
                                        ; =>  This Inner Loop Header: Depth=2
	global_load_ushort v9, v[4:5], off
	global_load_ushort v11, v[6:7], off
	s_andn2_b64 s[62:63], s[16:17], exec
	s_or_b64 s[54:55], s[54:55], exec
	s_waitcnt vmcnt(0)
	v_cmp_le_i16_e64 s[16:17], v9, v11
	v_cmp_lt_i16_e32 vcc, v9, v11
	s_and_b64 s[16:17], s[16:17], s[58:59]
	s_or_b64 s[60:61], vcc, s[16:17]
	s_and_b64 s[16:17], s[60:61], exec
	v_cmp_eq_u16_e64 s[18:19], v9, v11
	s_or_b64 s[16:17], s[62:63], s[16:17]
	s_and_saveexec_b64 s[62:63], s[18:19]
	s_cbranch_execz .LBB627_1459
; %bb.1461:                             ;   in Loop: Header=BB627_1460 Depth=2
	s_add_u32 s56, s56, -1
	s_addc_u32 s57, s57, -1
	s_cmp_eq_u64 s[56:57], 0
	s_cselect_b64 s[18:19], -1, 0
	s_andn2_b64 s[54:55], s[54:55], exec
	s_and_b64 s[18:19], s[18:19], exec
	v_lshl_add_u64 v[4:5], v[4:5], 0, 2
	v_lshl_add_u64 v[6:7], v[6:7], 0, 2
	s_andn2_b64 s[16:17], s[16:17], exec
	s_or_b64 s[54:55], s[54:55], s[18:19]
                                        ; implicit-def: $sgpr58_sgpr59
	s_branch .LBB627_1459
.LBB627_1462:                           ;   in Loop: Header=BB627_1376 Depth=1
	s_or_b64 exec, exec, s[50:51]
	s_xor_b64 s[16:17], s[52:53], -1
	s_branch .LBB627_1464
.LBB627_1463:                           ;   in Loop: Header=BB627_1376 Depth=1
	s_mov_b64 s[16:17], -1
.LBB627_1464:                           ;   in Loop: Header=BB627_1376 Depth=1
	s_and_b64 s[16:17], s[16:17], exec
.LBB627_1465:                           ;   in Loop: Header=BB627_1376 Depth=1
	s_or_b64 exec, exec, s[44:45]
	s_orn2_b64 s[44:45], s[16:17], exec
.LBB627_1466:                           ;   in Loop: Header=BB627_1376 Depth=1
	s_or_b64 exec, exec, s[48:49]
	v_cndmask_b32_e64 v4, v10, v8, s[44:45]
	v_cndmask_b32_e64 v5, v33, v25, s[44:45]
	v_add_u32_e32 v9, 1, v4
	v_add_u32_e32 v4, -1, v5
	v_min_u32_e32 v4, v9, v4
	v_lshlrev_b32_e32 v4, 3, v4
	ds_read_b64 v[6:7], v4
	v_cndmask_b32_e64 v10, v9, v10, s[44:45]
	v_cmp_lt_u32_e32 vcc, v10, v33
	s_waitcnt lgkmcnt(0)
	v_cndmask_b32_e64 v5, v48, v7, s[44:45]
	v_cndmask_b32_e64 v4, v49, v6, s[44:45]
	s_and_saveexec_b64 s[48:49], vcc
	s_cbranch_execz .LBB627_1374
; %bb.1467:                             ;   in Loop: Header=BB627_1376 Depth=1
	v_cndmask_b32_e64 v8, v8, v9, s[44:45]
	v_cndmask_b32_e64 v7, v7, v46, s[44:45]
	;; [unrolled: 1-line block ×3, first 2 shown]
	v_cmp_lt_u32_e32 vcc, v8, v25
	s_and_saveexec_b64 s[50:51], vcc
	s_cbranch_execz .LBB627_1373
; %bb.1468:                             ;   in Loop: Header=BB627_1376 Depth=1
	s_and_b64 vcc, exec, s[14:15]
	s_cbranch_vccnz .LBB627_1372
; %bb.1469:                             ;   in Loop: Header=BB627_1376 Depth=1
	v_mov_b64_e32 v[10:11], s[38:39]
	v_mad_u64_u32 v[8:9], s[16:17], s20, v6, v[10:11]
	v_mul_lo_u32 v25, s20, v7
	v_mul_lo_u32 v33, s21, v6
	v_add3_u32 v9, v33, v9, v25
	v_mad_u64_u32 v[10:11], s[16:17], s20, v4, v[10:11]
	v_mul_lo_u32 v25, s20, v5
	v_mul_lo_u32 v33, s21, v4
	v_add3_u32 v11, v33, v11, v25
	s_mov_b64 s[52:53], 0
	s_mov_b64 s[58:59], s[36:37]
                                        ; implicit-def: $sgpr54_sgpr55
                                        ; implicit-def: $sgpr56_sgpr57
                                        ; implicit-def: $sgpr16_sgpr17
                                        ; implicit-def: $sgpr60_sgpr61
	s_branch .LBB627_1471
.LBB627_1470:                           ;   in Loop: Header=BB627_1471 Depth=2
	s_or_b64 exec, exec, s[64:65]
	s_and_b64 s[18:19], exec, s[56:57]
	s_or_b64 s[52:53], s[18:19], s[52:53]
	s_andn2_b64 s[18:19], s[60:61], exec
	s_and_b64 s[60:61], s[62:63], exec
	s_or_b64 s[60:61], s[18:19], s[60:61]
	s_andn2_b64 s[18:19], s[54:55], exec
	s_and_b64 s[54:55], s[16:17], exec
	s_or_b64 s[54:55], s[18:19], s[54:55]
	s_andn2_b64 exec, exec, s[52:53]
	s_cbranch_execz .LBB627_1371
.LBB627_1471:                           ;   Parent Loop BB627_1376 Depth=1
                                        ; =>  This Inner Loop Header: Depth=2
	global_load_ushort v25, v[8:9], off
	global_load_ushort v33, v[10:11], off
	s_andn2_b64 s[64:65], s[16:17], exec
	s_or_b64 s[56:57], s[56:57], exec
	s_waitcnt vmcnt(0)
	v_cmp_le_i16_e64 s[16:17], v25, v33
	v_cmp_lt_i16_e32 vcc, v25, v33
	s_and_b64 s[16:17], s[16:17], s[60:61]
	s_or_b64 s[62:63], vcc, s[16:17]
	s_and_b64 s[16:17], s[62:63], exec
	v_cmp_eq_u16_e64 s[18:19], v25, v33
	s_or_b64 s[16:17], s[64:65], s[16:17]
	s_and_saveexec_b64 s[64:65], s[18:19]
	s_cbranch_execz .LBB627_1470
; %bb.1472:                             ;   in Loop: Header=BB627_1471 Depth=2
	s_add_u32 s58, s58, -1
	s_addc_u32 s59, s59, -1
	s_cmp_eq_u64 s[58:59], 0
	s_cselect_b64 s[18:19], -1, 0
	s_andn2_b64 s[56:57], s[56:57], exec
	s_and_b64 s[18:19], s[18:19], exec
	v_lshl_add_u64 v[8:9], v[8:9], 0, 2
	v_lshl_add_u64 v[10:11], v[10:11], 0, 2
	s_andn2_b64 s[16:17], s[16:17], exec
	s_or_b64 s[56:57], s[56:57], s[18:19]
                                        ; implicit-def: $sgpr60_sgpr61
	s_branch .LBB627_1470
.LBB627_1473:
	s_barrier
	ds_write2_b64 v32, v[14:15], v[16:17] offset1:1
	ds_write2_b64 v32, v[10:11], v[12:13] offset0:2 offset1:3
	ds_write2_b64 v32, v[6:7], v[8:9] offset0:4 offset1:5
	;; [unrolled: 1-line block ×3, first 2 shown]
	s_waitcnt lgkmcnt(0)
	s_barrier
	ds_read_b64 v[12:13], v21 offset:2048
	ds_read_b64 v[10:11], v26 offset:4096
	;; [unrolled: 1-line block ×7, first 2 shown]
	v_mov_b32_e32 v21, 0
	v_lshl_add_u64 v[2:3], s[34:35], 0, v[20:21]
	s_and_saveexec_b64 s[14:15], s[0:1]
	s_cbranch_execnz .LBB627_1485
; %bb.1474:
	s_or_b64 exec, exec, s[14:15]
	s_and_saveexec_b64 s[0:1], s[2:3]
	s_cbranch_execnz .LBB627_1486
.LBB627_1475:
	s_or_b64 exec, exec, s[0:1]
	s_and_saveexec_b64 s[0:1], s[4:5]
	s_cbranch_execnz .LBB627_1487
.LBB627_1476:
	s_or_b64 exec, exec, s[0:1]
	s_and_saveexec_b64 s[0:1], s[6:7]
	s_cbranch_execnz .LBB627_1488
.LBB627_1477:
	s_or_b64 exec, exec, s[0:1]
	s_and_saveexec_b64 s[0:1], s[8:9]
	s_cbranch_execnz .LBB627_1489
.LBB627_1478:
	s_or_b64 exec, exec, s[0:1]
	s_and_saveexec_b64 s[0:1], s[10:11]
	s_cbranch_execnz .LBB627_1490
.LBB627_1479:
	s_or_b64 exec, exec, s[0:1]
	s_and_saveexec_b64 s[0:1], s[12:13]
	s_cbranch_execz .LBB627_1481
.LBB627_1480:
	v_add_co_u32_e32 v2, vcc, 0x3000, v2
	s_nop 1
	v_addc_co_u32_e32 v3, vcc, 0, v3, vcc
	s_waitcnt lgkmcnt(1)
	global_store_dwordx2 v[2:3], v[0:1], off
.LBB627_1481:
	s_or_b64 exec, exec, s[0:1]
	v_mov_b32_e32 v19, v21
.LBB627_1482:
	s_and_saveexec_b64 s[0:1], s[40:41]
	s_cbranch_execz .LBB627_1484
; %bb.1483:
	s_waitcnt lgkmcnt(1)
	v_lshl_add_u64 v[0:1], v[18:19], 3, s[34:35]
	v_add_co_u32_e32 v0, vcc, 0x3000, v0
	s_nop 1
	v_addc_co_u32_e32 v1, vcc, 0, v1, vcc
	s_waitcnt lgkmcnt(0)
	global_store_dwordx2 v[0:1], v[14:15], off offset:2048
.LBB627_1484:
	s_endpgm
.LBB627_1485:
	ds_read_b64 v[16:17], v19
	s_waitcnt lgkmcnt(0)
	global_store_dwordx2 v[2:3], v[16:17], off
	s_or_b64 exec, exec, s[14:15]
	s_and_saveexec_b64 s[0:1], s[2:3]
	s_cbranch_execz .LBB627_1475
.LBB627_1486:
	s_waitcnt lgkmcnt(6)
	global_store_dwordx2 v[2:3], v[12:13], off offset:2048
	s_or_b64 exec, exec, s[0:1]
	s_and_saveexec_b64 s[0:1], s[4:5]
	s_cbranch_execz .LBB627_1476
.LBB627_1487:
	s_waitcnt lgkmcnt(6)
	v_add_co_u32_e32 v12, vcc, 0x1000, v2
	s_nop 1
	v_addc_co_u32_e32 v13, vcc, 0, v3, vcc
	s_waitcnt lgkmcnt(5)
	global_store_dwordx2 v[12:13], v[10:11], off
	s_or_b64 exec, exec, s[0:1]
	s_and_saveexec_b64 s[0:1], s[6:7]
	s_cbranch_execz .LBB627_1477
.LBB627_1488:
	s_waitcnt lgkmcnt(5)
	v_add_co_u32_e32 v10, vcc, 0x1000, v2
	s_nop 1
	v_addc_co_u32_e32 v11, vcc, 0, v3, vcc
	s_waitcnt lgkmcnt(4)
	global_store_dwordx2 v[10:11], v[8:9], off offset:2048
	s_or_b64 exec, exec, s[0:1]
	s_and_saveexec_b64 s[0:1], s[8:9]
	s_cbranch_execz .LBB627_1478
.LBB627_1489:
	s_waitcnt lgkmcnt(4)
	v_add_co_u32_e32 v8, vcc, 0x2000, v2
	s_nop 1
	v_addc_co_u32_e32 v9, vcc, 0, v3, vcc
	s_waitcnt lgkmcnt(3)
	global_store_dwordx2 v[8:9], v[6:7], off
	s_or_b64 exec, exec, s[0:1]
	s_and_saveexec_b64 s[0:1], s[10:11]
	s_cbranch_execz .LBB627_1479
.LBB627_1490:
	s_waitcnt lgkmcnt(3)
	v_add_co_u32_e32 v6, vcc, 0x2000, v2
	s_nop 1
	v_addc_co_u32_e32 v7, vcc, 0, v3, vcc
	s_waitcnt lgkmcnt(2)
	global_store_dwordx2 v[6:7], v[4:5], off offset:2048
	s_or_b64 exec, exec, s[0:1]
	s_and_saveexec_b64 s[0:1], s[12:13]
	s_cbranch_execnz .LBB627_1480
	s_branch .LBB627_1481
	.section	.rodata,"a",@progbits
	.p2align	6, 0x0
	.amdhsa_kernel _ZN7rocprim17ROCPRIM_400000_NS6detail17trampoline_kernelINS0_14default_configENS1_37merge_sort_block_sort_config_selectorIlNS0_10empty_typeEEEZNS1_21merge_sort_block_sortIS3_PlS8_PS5_S9_ZN2at6native12_GLOBAL__N_124unique_dim_cuda_templateIsEESt5tupleIJNSA_6TensorESF_SF_EERKSF_lbbbEUlllE_EE10hipError_tT0_T1_T2_T3_mRjT4_P12ihipStream_tbNS1_7vsmem_tEEUlT_E_NS1_11comp_targetILNS1_3genE0ELNS1_11target_archE4294967295ELNS1_3gpuE0ELNS1_3repE0EEENS1_30default_config_static_selectorELNS0_4arch9wavefront6targetE1EEEvSM_
		.amdhsa_group_segment_fixed_size 16896
		.amdhsa_private_segment_fixed_size 0
		.amdhsa_kernarg_size 328
		.amdhsa_user_sgpr_count 2
		.amdhsa_user_sgpr_dispatch_ptr 0
		.amdhsa_user_sgpr_queue_ptr 0
		.amdhsa_user_sgpr_kernarg_segment_ptr 1
		.amdhsa_user_sgpr_dispatch_id 0
		.amdhsa_user_sgpr_kernarg_preload_length 0
		.amdhsa_user_sgpr_kernarg_preload_offset 0
		.amdhsa_user_sgpr_private_segment_size 0
		.amdhsa_uses_dynamic_stack 0
		.amdhsa_enable_private_segment 0
		.amdhsa_system_sgpr_workgroup_id_x 1
		.amdhsa_system_sgpr_workgroup_id_y 1
		.amdhsa_system_sgpr_workgroup_id_z 1
		.amdhsa_system_sgpr_workgroup_info 0
		.amdhsa_system_vgpr_workitem_id 2
		.amdhsa_next_free_vgpr 55
		.amdhsa_next_free_sgpr 67
		.amdhsa_accum_offset 56
		.amdhsa_reserve_vcc 1
		.amdhsa_float_round_mode_32 0
		.amdhsa_float_round_mode_16_64 0
		.amdhsa_float_denorm_mode_32 3
		.amdhsa_float_denorm_mode_16_64 3
		.amdhsa_dx10_clamp 1
		.amdhsa_ieee_mode 1
		.amdhsa_fp16_overflow 0
		.amdhsa_tg_split 0
		.amdhsa_exception_fp_ieee_invalid_op 0
		.amdhsa_exception_fp_denorm_src 0
		.amdhsa_exception_fp_ieee_div_zero 0
		.amdhsa_exception_fp_ieee_overflow 0
		.amdhsa_exception_fp_ieee_underflow 0
		.amdhsa_exception_fp_ieee_inexact 0
		.amdhsa_exception_int_div_zero 0
	.end_amdhsa_kernel
	.section	.text._ZN7rocprim17ROCPRIM_400000_NS6detail17trampoline_kernelINS0_14default_configENS1_37merge_sort_block_sort_config_selectorIlNS0_10empty_typeEEEZNS1_21merge_sort_block_sortIS3_PlS8_PS5_S9_ZN2at6native12_GLOBAL__N_124unique_dim_cuda_templateIsEESt5tupleIJNSA_6TensorESF_SF_EERKSF_lbbbEUlllE_EE10hipError_tT0_T1_T2_T3_mRjT4_P12ihipStream_tbNS1_7vsmem_tEEUlT_E_NS1_11comp_targetILNS1_3genE0ELNS1_11target_archE4294967295ELNS1_3gpuE0ELNS1_3repE0EEENS1_30default_config_static_selectorELNS0_4arch9wavefront6targetE1EEEvSM_,"axG",@progbits,_ZN7rocprim17ROCPRIM_400000_NS6detail17trampoline_kernelINS0_14default_configENS1_37merge_sort_block_sort_config_selectorIlNS0_10empty_typeEEEZNS1_21merge_sort_block_sortIS3_PlS8_PS5_S9_ZN2at6native12_GLOBAL__N_124unique_dim_cuda_templateIsEESt5tupleIJNSA_6TensorESF_SF_EERKSF_lbbbEUlllE_EE10hipError_tT0_T1_T2_T3_mRjT4_P12ihipStream_tbNS1_7vsmem_tEEUlT_E_NS1_11comp_targetILNS1_3genE0ELNS1_11target_archE4294967295ELNS1_3gpuE0ELNS1_3repE0EEENS1_30default_config_static_selectorELNS0_4arch9wavefront6targetE1EEEvSM_,comdat
.Lfunc_end627:
	.size	_ZN7rocprim17ROCPRIM_400000_NS6detail17trampoline_kernelINS0_14default_configENS1_37merge_sort_block_sort_config_selectorIlNS0_10empty_typeEEEZNS1_21merge_sort_block_sortIS3_PlS8_PS5_S9_ZN2at6native12_GLOBAL__N_124unique_dim_cuda_templateIsEESt5tupleIJNSA_6TensorESF_SF_EERKSF_lbbbEUlllE_EE10hipError_tT0_T1_T2_T3_mRjT4_P12ihipStream_tbNS1_7vsmem_tEEUlT_E_NS1_11comp_targetILNS1_3genE0ELNS1_11target_archE4294967295ELNS1_3gpuE0ELNS1_3repE0EEENS1_30default_config_static_selectorELNS0_4arch9wavefront6targetE1EEEvSM_, .Lfunc_end627-_ZN7rocprim17ROCPRIM_400000_NS6detail17trampoline_kernelINS0_14default_configENS1_37merge_sort_block_sort_config_selectorIlNS0_10empty_typeEEEZNS1_21merge_sort_block_sortIS3_PlS8_PS5_S9_ZN2at6native12_GLOBAL__N_124unique_dim_cuda_templateIsEESt5tupleIJNSA_6TensorESF_SF_EERKSF_lbbbEUlllE_EE10hipError_tT0_T1_T2_T3_mRjT4_P12ihipStream_tbNS1_7vsmem_tEEUlT_E_NS1_11comp_targetILNS1_3genE0ELNS1_11target_archE4294967295ELNS1_3gpuE0ELNS1_3repE0EEENS1_30default_config_static_selectorELNS0_4arch9wavefront6targetE1EEEvSM_
                                        ; -- End function
	.set _ZN7rocprim17ROCPRIM_400000_NS6detail17trampoline_kernelINS0_14default_configENS1_37merge_sort_block_sort_config_selectorIlNS0_10empty_typeEEEZNS1_21merge_sort_block_sortIS3_PlS8_PS5_S9_ZN2at6native12_GLOBAL__N_124unique_dim_cuda_templateIsEESt5tupleIJNSA_6TensorESF_SF_EERKSF_lbbbEUlllE_EE10hipError_tT0_T1_T2_T3_mRjT4_P12ihipStream_tbNS1_7vsmem_tEEUlT_E_NS1_11comp_targetILNS1_3genE0ELNS1_11target_archE4294967295ELNS1_3gpuE0ELNS1_3repE0EEENS1_30default_config_static_selectorELNS0_4arch9wavefront6targetE1EEEvSM_.num_vgpr, 55
	.set _ZN7rocprim17ROCPRIM_400000_NS6detail17trampoline_kernelINS0_14default_configENS1_37merge_sort_block_sort_config_selectorIlNS0_10empty_typeEEEZNS1_21merge_sort_block_sortIS3_PlS8_PS5_S9_ZN2at6native12_GLOBAL__N_124unique_dim_cuda_templateIsEESt5tupleIJNSA_6TensorESF_SF_EERKSF_lbbbEUlllE_EE10hipError_tT0_T1_T2_T3_mRjT4_P12ihipStream_tbNS1_7vsmem_tEEUlT_E_NS1_11comp_targetILNS1_3genE0ELNS1_11target_archE4294967295ELNS1_3gpuE0ELNS1_3repE0EEENS1_30default_config_static_selectorELNS0_4arch9wavefront6targetE1EEEvSM_.num_agpr, 0
	.set _ZN7rocprim17ROCPRIM_400000_NS6detail17trampoline_kernelINS0_14default_configENS1_37merge_sort_block_sort_config_selectorIlNS0_10empty_typeEEEZNS1_21merge_sort_block_sortIS3_PlS8_PS5_S9_ZN2at6native12_GLOBAL__N_124unique_dim_cuda_templateIsEESt5tupleIJNSA_6TensorESF_SF_EERKSF_lbbbEUlllE_EE10hipError_tT0_T1_T2_T3_mRjT4_P12ihipStream_tbNS1_7vsmem_tEEUlT_E_NS1_11comp_targetILNS1_3genE0ELNS1_11target_archE4294967295ELNS1_3gpuE0ELNS1_3repE0EEENS1_30default_config_static_selectorELNS0_4arch9wavefront6targetE1EEEvSM_.numbered_sgpr, 67
	.set _ZN7rocprim17ROCPRIM_400000_NS6detail17trampoline_kernelINS0_14default_configENS1_37merge_sort_block_sort_config_selectorIlNS0_10empty_typeEEEZNS1_21merge_sort_block_sortIS3_PlS8_PS5_S9_ZN2at6native12_GLOBAL__N_124unique_dim_cuda_templateIsEESt5tupleIJNSA_6TensorESF_SF_EERKSF_lbbbEUlllE_EE10hipError_tT0_T1_T2_T3_mRjT4_P12ihipStream_tbNS1_7vsmem_tEEUlT_E_NS1_11comp_targetILNS1_3genE0ELNS1_11target_archE4294967295ELNS1_3gpuE0ELNS1_3repE0EEENS1_30default_config_static_selectorELNS0_4arch9wavefront6targetE1EEEvSM_.num_named_barrier, 0
	.set _ZN7rocprim17ROCPRIM_400000_NS6detail17trampoline_kernelINS0_14default_configENS1_37merge_sort_block_sort_config_selectorIlNS0_10empty_typeEEEZNS1_21merge_sort_block_sortIS3_PlS8_PS5_S9_ZN2at6native12_GLOBAL__N_124unique_dim_cuda_templateIsEESt5tupleIJNSA_6TensorESF_SF_EERKSF_lbbbEUlllE_EE10hipError_tT0_T1_T2_T3_mRjT4_P12ihipStream_tbNS1_7vsmem_tEEUlT_E_NS1_11comp_targetILNS1_3genE0ELNS1_11target_archE4294967295ELNS1_3gpuE0ELNS1_3repE0EEENS1_30default_config_static_selectorELNS0_4arch9wavefront6targetE1EEEvSM_.private_seg_size, 0
	.set _ZN7rocprim17ROCPRIM_400000_NS6detail17trampoline_kernelINS0_14default_configENS1_37merge_sort_block_sort_config_selectorIlNS0_10empty_typeEEEZNS1_21merge_sort_block_sortIS3_PlS8_PS5_S9_ZN2at6native12_GLOBAL__N_124unique_dim_cuda_templateIsEESt5tupleIJNSA_6TensorESF_SF_EERKSF_lbbbEUlllE_EE10hipError_tT0_T1_T2_T3_mRjT4_P12ihipStream_tbNS1_7vsmem_tEEUlT_E_NS1_11comp_targetILNS1_3genE0ELNS1_11target_archE4294967295ELNS1_3gpuE0ELNS1_3repE0EEENS1_30default_config_static_selectorELNS0_4arch9wavefront6targetE1EEEvSM_.uses_vcc, 1
	.set _ZN7rocprim17ROCPRIM_400000_NS6detail17trampoline_kernelINS0_14default_configENS1_37merge_sort_block_sort_config_selectorIlNS0_10empty_typeEEEZNS1_21merge_sort_block_sortIS3_PlS8_PS5_S9_ZN2at6native12_GLOBAL__N_124unique_dim_cuda_templateIsEESt5tupleIJNSA_6TensorESF_SF_EERKSF_lbbbEUlllE_EE10hipError_tT0_T1_T2_T3_mRjT4_P12ihipStream_tbNS1_7vsmem_tEEUlT_E_NS1_11comp_targetILNS1_3genE0ELNS1_11target_archE4294967295ELNS1_3gpuE0ELNS1_3repE0EEENS1_30default_config_static_selectorELNS0_4arch9wavefront6targetE1EEEvSM_.uses_flat_scratch, 0
	.set _ZN7rocprim17ROCPRIM_400000_NS6detail17trampoline_kernelINS0_14default_configENS1_37merge_sort_block_sort_config_selectorIlNS0_10empty_typeEEEZNS1_21merge_sort_block_sortIS3_PlS8_PS5_S9_ZN2at6native12_GLOBAL__N_124unique_dim_cuda_templateIsEESt5tupleIJNSA_6TensorESF_SF_EERKSF_lbbbEUlllE_EE10hipError_tT0_T1_T2_T3_mRjT4_P12ihipStream_tbNS1_7vsmem_tEEUlT_E_NS1_11comp_targetILNS1_3genE0ELNS1_11target_archE4294967295ELNS1_3gpuE0ELNS1_3repE0EEENS1_30default_config_static_selectorELNS0_4arch9wavefront6targetE1EEEvSM_.has_dyn_sized_stack, 0
	.set _ZN7rocprim17ROCPRIM_400000_NS6detail17trampoline_kernelINS0_14default_configENS1_37merge_sort_block_sort_config_selectorIlNS0_10empty_typeEEEZNS1_21merge_sort_block_sortIS3_PlS8_PS5_S9_ZN2at6native12_GLOBAL__N_124unique_dim_cuda_templateIsEESt5tupleIJNSA_6TensorESF_SF_EERKSF_lbbbEUlllE_EE10hipError_tT0_T1_T2_T3_mRjT4_P12ihipStream_tbNS1_7vsmem_tEEUlT_E_NS1_11comp_targetILNS1_3genE0ELNS1_11target_archE4294967295ELNS1_3gpuE0ELNS1_3repE0EEENS1_30default_config_static_selectorELNS0_4arch9wavefront6targetE1EEEvSM_.has_recursion, 0
	.set _ZN7rocprim17ROCPRIM_400000_NS6detail17trampoline_kernelINS0_14default_configENS1_37merge_sort_block_sort_config_selectorIlNS0_10empty_typeEEEZNS1_21merge_sort_block_sortIS3_PlS8_PS5_S9_ZN2at6native12_GLOBAL__N_124unique_dim_cuda_templateIsEESt5tupleIJNSA_6TensorESF_SF_EERKSF_lbbbEUlllE_EE10hipError_tT0_T1_T2_T3_mRjT4_P12ihipStream_tbNS1_7vsmem_tEEUlT_E_NS1_11comp_targetILNS1_3genE0ELNS1_11target_archE4294967295ELNS1_3gpuE0ELNS1_3repE0EEENS1_30default_config_static_selectorELNS0_4arch9wavefront6targetE1EEEvSM_.has_indirect_call, 0
	.section	.AMDGPU.csdata,"",@progbits
; Kernel info:
; codeLenInByte = 60688
; TotalNumSgprs: 73
; NumVgprs: 55
; NumAgprs: 0
; TotalNumVgprs: 55
; ScratchSize: 0
; MemoryBound: 0
; FloatMode: 240
; IeeeMode: 1
; LDSByteSize: 16896 bytes/workgroup (compile time only)
; SGPRBlocks: 9
; VGPRBlocks: 6
; NumSGPRsForWavesPerEU: 73
; NumVGPRsForWavesPerEU: 55
; AccumOffset: 56
; Occupancy: 8
; WaveLimiterHint : 1
; COMPUTE_PGM_RSRC2:SCRATCH_EN: 0
; COMPUTE_PGM_RSRC2:USER_SGPR: 2
; COMPUTE_PGM_RSRC2:TRAP_HANDLER: 0
; COMPUTE_PGM_RSRC2:TGID_X_EN: 1
; COMPUTE_PGM_RSRC2:TGID_Y_EN: 1
; COMPUTE_PGM_RSRC2:TGID_Z_EN: 1
; COMPUTE_PGM_RSRC2:TIDIG_COMP_CNT: 2
; COMPUTE_PGM_RSRC3_GFX90A:ACCUM_OFFSET: 13
; COMPUTE_PGM_RSRC3_GFX90A:TG_SPLIT: 0
	.section	.text._ZN7rocprim17ROCPRIM_400000_NS6detail17trampoline_kernelINS0_14default_configENS1_37merge_sort_block_sort_config_selectorIlNS0_10empty_typeEEEZNS1_21merge_sort_block_sortIS3_PlS8_PS5_S9_ZN2at6native12_GLOBAL__N_124unique_dim_cuda_templateIsEESt5tupleIJNSA_6TensorESF_SF_EERKSF_lbbbEUlllE_EE10hipError_tT0_T1_T2_T3_mRjT4_P12ihipStream_tbNS1_7vsmem_tEEUlT_E_NS1_11comp_targetILNS1_3genE5ELNS1_11target_archE942ELNS1_3gpuE9ELNS1_3repE0EEENS1_30default_config_static_selectorELNS0_4arch9wavefront6targetE1EEEvSM_,"axG",@progbits,_ZN7rocprim17ROCPRIM_400000_NS6detail17trampoline_kernelINS0_14default_configENS1_37merge_sort_block_sort_config_selectorIlNS0_10empty_typeEEEZNS1_21merge_sort_block_sortIS3_PlS8_PS5_S9_ZN2at6native12_GLOBAL__N_124unique_dim_cuda_templateIsEESt5tupleIJNSA_6TensorESF_SF_EERKSF_lbbbEUlllE_EE10hipError_tT0_T1_T2_T3_mRjT4_P12ihipStream_tbNS1_7vsmem_tEEUlT_E_NS1_11comp_targetILNS1_3genE5ELNS1_11target_archE942ELNS1_3gpuE9ELNS1_3repE0EEENS1_30default_config_static_selectorELNS0_4arch9wavefront6targetE1EEEvSM_,comdat
	.globl	_ZN7rocprim17ROCPRIM_400000_NS6detail17trampoline_kernelINS0_14default_configENS1_37merge_sort_block_sort_config_selectorIlNS0_10empty_typeEEEZNS1_21merge_sort_block_sortIS3_PlS8_PS5_S9_ZN2at6native12_GLOBAL__N_124unique_dim_cuda_templateIsEESt5tupleIJNSA_6TensorESF_SF_EERKSF_lbbbEUlllE_EE10hipError_tT0_T1_T2_T3_mRjT4_P12ihipStream_tbNS1_7vsmem_tEEUlT_E_NS1_11comp_targetILNS1_3genE5ELNS1_11target_archE942ELNS1_3gpuE9ELNS1_3repE0EEENS1_30default_config_static_selectorELNS0_4arch9wavefront6targetE1EEEvSM_ ; -- Begin function _ZN7rocprim17ROCPRIM_400000_NS6detail17trampoline_kernelINS0_14default_configENS1_37merge_sort_block_sort_config_selectorIlNS0_10empty_typeEEEZNS1_21merge_sort_block_sortIS3_PlS8_PS5_S9_ZN2at6native12_GLOBAL__N_124unique_dim_cuda_templateIsEESt5tupleIJNSA_6TensorESF_SF_EERKSF_lbbbEUlllE_EE10hipError_tT0_T1_T2_T3_mRjT4_P12ihipStream_tbNS1_7vsmem_tEEUlT_E_NS1_11comp_targetILNS1_3genE5ELNS1_11target_archE942ELNS1_3gpuE9ELNS1_3repE0EEENS1_30default_config_static_selectorELNS0_4arch9wavefront6targetE1EEEvSM_
	.p2align	8
	.type	_ZN7rocprim17ROCPRIM_400000_NS6detail17trampoline_kernelINS0_14default_configENS1_37merge_sort_block_sort_config_selectorIlNS0_10empty_typeEEEZNS1_21merge_sort_block_sortIS3_PlS8_PS5_S9_ZN2at6native12_GLOBAL__N_124unique_dim_cuda_templateIsEESt5tupleIJNSA_6TensorESF_SF_EERKSF_lbbbEUlllE_EE10hipError_tT0_T1_T2_T3_mRjT4_P12ihipStream_tbNS1_7vsmem_tEEUlT_E_NS1_11comp_targetILNS1_3genE5ELNS1_11target_archE942ELNS1_3gpuE9ELNS1_3repE0EEENS1_30default_config_static_selectorELNS0_4arch9wavefront6targetE1EEEvSM_,@function
_ZN7rocprim17ROCPRIM_400000_NS6detail17trampoline_kernelINS0_14default_configENS1_37merge_sort_block_sort_config_selectorIlNS0_10empty_typeEEEZNS1_21merge_sort_block_sortIS3_PlS8_PS5_S9_ZN2at6native12_GLOBAL__N_124unique_dim_cuda_templateIsEESt5tupleIJNSA_6TensorESF_SF_EERKSF_lbbbEUlllE_EE10hipError_tT0_T1_T2_T3_mRjT4_P12ihipStream_tbNS1_7vsmem_tEEUlT_E_NS1_11comp_targetILNS1_3genE5ELNS1_11target_archE942ELNS1_3gpuE9ELNS1_3repE0EEENS1_30default_config_static_selectorELNS0_4arch9wavefront6targetE1EEEvSM_: ; @_ZN7rocprim17ROCPRIM_400000_NS6detail17trampoline_kernelINS0_14default_configENS1_37merge_sort_block_sort_config_selectorIlNS0_10empty_typeEEEZNS1_21merge_sort_block_sortIS3_PlS8_PS5_S9_ZN2at6native12_GLOBAL__N_124unique_dim_cuda_templateIsEESt5tupleIJNSA_6TensorESF_SF_EERKSF_lbbbEUlllE_EE10hipError_tT0_T1_T2_T3_mRjT4_P12ihipStream_tbNS1_7vsmem_tEEUlT_E_NS1_11comp_targetILNS1_3genE5ELNS1_11target_archE942ELNS1_3gpuE9ELNS1_3repE0EEENS1_30default_config_static_selectorELNS0_4arch9wavefront6targetE1EEEvSM_
; %bb.0:
	.section	.rodata,"a",@progbits
	.p2align	6, 0x0
	.amdhsa_kernel _ZN7rocprim17ROCPRIM_400000_NS6detail17trampoline_kernelINS0_14default_configENS1_37merge_sort_block_sort_config_selectorIlNS0_10empty_typeEEEZNS1_21merge_sort_block_sortIS3_PlS8_PS5_S9_ZN2at6native12_GLOBAL__N_124unique_dim_cuda_templateIsEESt5tupleIJNSA_6TensorESF_SF_EERKSF_lbbbEUlllE_EE10hipError_tT0_T1_T2_T3_mRjT4_P12ihipStream_tbNS1_7vsmem_tEEUlT_E_NS1_11comp_targetILNS1_3genE5ELNS1_11target_archE942ELNS1_3gpuE9ELNS1_3repE0EEENS1_30default_config_static_selectorELNS0_4arch9wavefront6targetE1EEEvSM_
		.amdhsa_group_segment_fixed_size 0
		.amdhsa_private_segment_fixed_size 0
		.amdhsa_kernarg_size 72
		.amdhsa_user_sgpr_count 2
		.amdhsa_user_sgpr_dispatch_ptr 0
		.amdhsa_user_sgpr_queue_ptr 0
		.amdhsa_user_sgpr_kernarg_segment_ptr 1
		.amdhsa_user_sgpr_dispatch_id 0
		.amdhsa_user_sgpr_kernarg_preload_length 0
		.amdhsa_user_sgpr_kernarg_preload_offset 0
		.amdhsa_user_sgpr_private_segment_size 0
		.amdhsa_uses_dynamic_stack 0
		.amdhsa_enable_private_segment 0
		.amdhsa_system_sgpr_workgroup_id_x 1
		.amdhsa_system_sgpr_workgroup_id_y 0
		.amdhsa_system_sgpr_workgroup_id_z 0
		.amdhsa_system_sgpr_workgroup_info 0
		.amdhsa_system_vgpr_workitem_id 0
		.amdhsa_next_free_vgpr 1
		.amdhsa_next_free_sgpr 0
		.amdhsa_accum_offset 4
		.amdhsa_reserve_vcc 0
		.amdhsa_float_round_mode_32 0
		.amdhsa_float_round_mode_16_64 0
		.amdhsa_float_denorm_mode_32 3
		.amdhsa_float_denorm_mode_16_64 3
		.amdhsa_dx10_clamp 1
		.amdhsa_ieee_mode 1
		.amdhsa_fp16_overflow 0
		.amdhsa_tg_split 0
		.amdhsa_exception_fp_ieee_invalid_op 0
		.amdhsa_exception_fp_denorm_src 0
		.amdhsa_exception_fp_ieee_div_zero 0
		.amdhsa_exception_fp_ieee_overflow 0
		.amdhsa_exception_fp_ieee_underflow 0
		.amdhsa_exception_fp_ieee_inexact 0
		.amdhsa_exception_int_div_zero 0
	.end_amdhsa_kernel
	.section	.text._ZN7rocprim17ROCPRIM_400000_NS6detail17trampoline_kernelINS0_14default_configENS1_37merge_sort_block_sort_config_selectorIlNS0_10empty_typeEEEZNS1_21merge_sort_block_sortIS3_PlS8_PS5_S9_ZN2at6native12_GLOBAL__N_124unique_dim_cuda_templateIsEESt5tupleIJNSA_6TensorESF_SF_EERKSF_lbbbEUlllE_EE10hipError_tT0_T1_T2_T3_mRjT4_P12ihipStream_tbNS1_7vsmem_tEEUlT_E_NS1_11comp_targetILNS1_3genE5ELNS1_11target_archE942ELNS1_3gpuE9ELNS1_3repE0EEENS1_30default_config_static_selectorELNS0_4arch9wavefront6targetE1EEEvSM_,"axG",@progbits,_ZN7rocprim17ROCPRIM_400000_NS6detail17trampoline_kernelINS0_14default_configENS1_37merge_sort_block_sort_config_selectorIlNS0_10empty_typeEEEZNS1_21merge_sort_block_sortIS3_PlS8_PS5_S9_ZN2at6native12_GLOBAL__N_124unique_dim_cuda_templateIsEESt5tupleIJNSA_6TensorESF_SF_EERKSF_lbbbEUlllE_EE10hipError_tT0_T1_T2_T3_mRjT4_P12ihipStream_tbNS1_7vsmem_tEEUlT_E_NS1_11comp_targetILNS1_3genE5ELNS1_11target_archE942ELNS1_3gpuE9ELNS1_3repE0EEENS1_30default_config_static_selectorELNS0_4arch9wavefront6targetE1EEEvSM_,comdat
.Lfunc_end628:
	.size	_ZN7rocprim17ROCPRIM_400000_NS6detail17trampoline_kernelINS0_14default_configENS1_37merge_sort_block_sort_config_selectorIlNS0_10empty_typeEEEZNS1_21merge_sort_block_sortIS3_PlS8_PS5_S9_ZN2at6native12_GLOBAL__N_124unique_dim_cuda_templateIsEESt5tupleIJNSA_6TensorESF_SF_EERKSF_lbbbEUlllE_EE10hipError_tT0_T1_T2_T3_mRjT4_P12ihipStream_tbNS1_7vsmem_tEEUlT_E_NS1_11comp_targetILNS1_3genE5ELNS1_11target_archE942ELNS1_3gpuE9ELNS1_3repE0EEENS1_30default_config_static_selectorELNS0_4arch9wavefront6targetE1EEEvSM_, .Lfunc_end628-_ZN7rocprim17ROCPRIM_400000_NS6detail17trampoline_kernelINS0_14default_configENS1_37merge_sort_block_sort_config_selectorIlNS0_10empty_typeEEEZNS1_21merge_sort_block_sortIS3_PlS8_PS5_S9_ZN2at6native12_GLOBAL__N_124unique_dim_cuda_templateIsEESt5tupleIJNSA_6TensorESF_SF_EERKSF_lbbbEUlllE_EE10hipError_tT0_T1_T2_T3_mRjT4_P12ihipStream_tbNS1_7vsmem_tEEUlT_E_NS1_11comp_targetILNS1_3genE5ELNS1_11target_archE942ELNS1_3gpuE9ELNS1_3repE0EEENS1_30default_config_static_selectorELNS0_4arch9wavefront6targetE1EEEvSM_
                                        ; -- End function
	.set _ZN7rocprim17ROCPRIM_400000_NS6detail17trampoline_kernelINS0_14default_configENS1_37merge_sort_block_sort_config_selectorIlNS0_10empty_typeEEEZNS1_21merge_sort_block_sortIS3_PlS8_PS5_S9_ZN2at6native12_GLOBAL__N_124unique_dim_cuda_templateIsEESt5tupleIJNSA_6TensorESF_SF_EERKSF_lbbbEUlllE_EE10hipError_tT0_T1_T2_T3_mRjT4_P12ihipStream_tbNS1_7vsmem_tEEUlT_E_NS1_11comp_targetILNS1_3genE5ELNS1_11target_archE942ELNS1_3gpuE9ELNS1_3repE0EEENS1_30default_config_static_selectorELNS0_4arch9wavefront6targetE1EEEvSM_.num_vgpr, 0
	.set _ZN7rocprim17ROCPRIM_400000_NS6detail17trampoline_kernelINS0_14default_configENS1_37merge_sort_block_sort_config_selectorIlNS0_10empty_typeEEEZNS1_21merge_sort_block_sortIS3_PlS8_PS5_S9_ZN2at6native12_GLOBAL__N_124unique_dim_cuda_templateIsEESt5tupleIJNSA_6TensorESF_SF_EERKSF_lbbbEUlllE_EE10hipError_tT0_T1_T2_T3_mRjT4_P12ihipStream_tbNS1_7vsmem_tEEUlT_E_NS1_11comp_targetILNS1_3genE5ELNS1_11target_archE942ELNS1_3gpuE9ELNS1_3repE0EEENS1_30default_config_static_selectorELNS0_4arch9wavefront6targetE1EEEvSM_.num_agpr, 0
	.set _ZN7rocprim17ROCPRIM_400000_NS6detail17trampoline_kernelINS0_14default_configENS1_37merge_sort_block_sort_config_selectorIlNS0_10empty_typeEEEZNS1_21merge_sort_block_sortIS3_PlS8_PS5_S9_ZN2at6native12_GLOBAL__N_124unique_dim_cuda_templateIsEESt5tupleIJNSA_6TensorESF_SF_EERKSF_lbbbEUlllE_EE10hipError_tT0_T1_T2_T3_mRjT4_P12ihipStream_tbNS1_7vsmem_tEEUlT_E_NS1_11comp_targetILNS1_3genE5ELNS1_11target_archE942ELNS1_3gpuE9ELNS1_3repE0EEENS1_30default_config_static_selectorELNS0_4arch9wavefront6targetE1EEEvSM_.numbered_sgpr, 0
	.set _ZN7rocprim17ROCPRIM_400000_NS6detail17trampoline_kernelINS0_14default_configENS1_37merge_sort_block_sort_config_selectorIlNS0_10empty_typeEEEZNS1_21merge_sort_block_sortIS3_PlS8_PS5_S9_ZN2at6native12_GLOBAL__N_124unique_dim_cuda_templateIsEESt5tupleIJNSA_6TensorESF_SF_EERKSF_lbbbEUlllE_EE10hipError_tT0_T1_T2_T3_mRjT4_P12ihipStream_tbNS1_7vsmem_tEEUlT_E_NS1_11comp_targetILNS1_3genE5ELNS1_11target_archE942ELNS1_3gpuE9ELNS1_3repE0EEENS1_30default_config_static_selectorELNS0_4arch9wavefront6targetE1EEEvSM_.num_named_barrier, 0
	.set _ZN7rocprim17ROCPRIM_400000_NS6detail17trampoline_kernelINS0_14default_configENS1_37merge_sort_block_sort_config_selectorIlNS0_10empty_typeEEEZNS1_21merge_sort_block_sortIS3_PlS8_PS5_S9_ZN2at6native12_GLOBAL__N_124unique_dim_cuda_templateIsEESt5tupleIJNSA_6TensorESF_SF_EERKSF_lbbbEUlllE_EE10hipError_tT0_T1_T2_T3_mRjT4_P12ihipStream_tbNS1_7vsmem_tEEUlT_E_NS1_11comp_targetILNS1_3genE5ELNS1_11target_archE942ELNS1_3gpuE9ELNS1_3repE0EEENS1_30default_config_static_selectorELNS0_4arch9wavefront6targetE1EEEvSM_.private_seg_size, 0
	.set _ZN7rocprim17ROCPRIM_400000_NS6detail17trampoline_kernelINS0_14default_configENS1_37merge_sort_block_sort_config_selectorIlNS0_10empty_typeEEEZNS1_21merge_sort_block_sortIS3_PlS8_PS5_S9_ZN2at6native12_GLOBAL__N_124unique_dim_cuda_templateIsEESt5tupleIJNSA_6TensorESF_SF_EERKSF_lbbbEUlllE_EE10hipError_tT0_T1_T2_T3_mRjT4_P12ihipStream_tbNS1_7vsmem_tEEUlT_E_NS1_11comp_targetILNS1_3genE5ELNS1_11target_archE942ELNS1_3gpuE9ELNS1_3repE0EEENS1_30default_config_static_selectorELNS0_4arch9wavefront6targetE1EEEvSM_.uses_vcc, 0
	.set _ZN7rocprim17ROCPRIM_400000_NS6detail17trampoline_kernelINS0_14default_configENS1_37merge_sort_block_sort_config_selectorIlNS0_10empty_typeEEEZNS1_21merge_sort_block_sortIS3_PlS8_PS5_S9_ZN2at6native12_GLOBAL__N_124unique_dim_cuda_templateIsEESt5tupleIJNSA_6TensorESF_SF_EERKSF_lbbbEUlllE_EE10hipError_tT0_T1_T2_T3_mRjT4_P12ihipStream_tbNS1_7vsmem_tEEUlT_E_NS1_11comp_targetILNS1_3genE5ELNS1_11target_archE942ELNS1_3gpuE9ELNS1_3repE0EEENS1_30default_config_static_selectorELNS0_4arch9wavefront6targetE1EEEvSM_.uses_flat_scratch, 0
	.set _ZN7rocprim17ROCPRIM_400000_NS6detail17trampoline_kernelINS0_14default_configENS1_37merge_sort_block_sort_config_selectorIlNS0_10empty_typeEEEZNS1_21merge_sort_block_sortIS3_PlS8_PS5_S9_ZN2at6native12_GLOBAL__N_124unique_dim_cuda_templateIsEESt5tupleIJNSA_6TensorESF_SF_EERKSF_lbbbEUlllE_EE10hipError_tT0_T1_T2_T3_mRjT4_P12ihipStream_tbNS1_7vsmem_tEEUlT_E_NS1_11comp_targetILNS1_3genE5ELNS1_11target_archE942ELNS1_3gpuE9ELNS1_3repE0EEENS1_30default_config_static_selectorELNS0_4arch9wavefront6targetE1EEEvSM_.has_dyn_sized_stack, 0
	.set _ZN7rocprim17ROCPRIM_400000_NS6detail17trampoline_kernelINS0_14default_configENS1_37merge_sort_block_sort_config_selectorIlNS0_10empty_typeEEEZNS1_21merge_sort_block_sortIS3_PlS8_PS5_S9_ZN2at6native12_GLOBAL__N_124unique_dim_cuda_templateIsEESt5tupleIJNSA_6TensorESF_SF_EERKSF_lbbbEUlllE_EE10hipError_tT0_T1_T2_T3_mRjT4_P12ihipStream_tbNS1_7vsmem_tEEUlT_E_NS1_11comp_targetILNS1_3genE5ELNS1_11target_archE942ELNS1_3gpuE9ELNS1_3repE0EEENS1_30default_config_static_selectorELNS0_4arch9wavefront6targetE1EEEvSM_.has_recursion, 0
	.set _ZN7rocprim17ROCPRIM_400000_NS6detail17trampoline_kernelINS0_14default_configENS1_37merge_sort_block_sort_config_selectorIlNS0_10empty_typeEEEZNS1_21merge_sort_block_sortIS3_PlS8_PS5_S9_ZN2at6native12_GLOBAL__N_124unique_dim_cuda_templateIsEESt5tupleIJNSA_6TensorESF_SF_EERKSF_lbbbEUlllE_EE10hipError_tT0_T1_T2_T3_mRjT4_P12ihipStream_tbNS1_7vsmem_tEEUlT_E_NS1_11comp_targetILNS1_3genE5ELNS1_11target_archE942ELNS1_3gpuE9ELNS1_3repE0EEENS1_30default_config_static_selectorELNS0_4arch9wavefront6targetE1EEEvSM_.has_indirect_call, 0
	.section	.AMDGPU.csdata,"",@progbits
; Kernel info:
; codeLenInByte = 0
; TotalNumSgprs: 6
; NumVgprs: 0
; NumAgprs: 0
; TotalNumVgprs: 0
; ScratchSize: 0
; MemoryBound: 0
; FloatMode: 240
; IeeeMode: 1
; LDSByteSize: 0 bytes/workgroup (compile time only)
; SGPRBlocks: 0
; VGPRBlocks: 0
; NumSGPRsForWavesPerEU: 6
; NumVGPRsForWavesPerEU: 1
; AccumOffset: 4
; Occupancy: 8
; WaveLimiterHint : 0
; COMPUTE_PGM_RSRC2:SCRATCH_EN: 0
; COMPUTE_PGM_RSRC2:USER_SGPR: 2
; COMPUTE_PGM_RSRC2:TRAP_HANDLER: 0
; COMPUTE_PGM_RSRC2:TGID_X_EN: 1
; COMPUTE_PGM_RSRC2:TGID_Y_EN: 0
; COMPUTE_PGM_RSRC2:TGID_Z_EN: 0
; COMPUTE_PGM_RSRC2:TIDIG_COMP_CNT: 0
; COMPUTE_PGM_RSRC3_GFX90A:ACCUM_OFFSET: 0
; COMPUTE_PGM_RSRC3_GFX90A:TG_SPLIT: 0
	.section	.text._ZN7rocprim17ROCPRIM_400000_NS6detail17trampoline_kernelINS0_14default_configENS1_37merge_sort_block_sort_config_selectorIlNS0_10empty_typeEEEZNS1_21merge_sort_block_sortIS3_PlS8_PS5_S9_ZN2at6native12_GLOBAL__N_124unique_dim_cuda_templateIsEESt5tupleIJNSA_6TensorESF_SF_EERKSF_lbbbEUlllE_EE10hipError_tT0_T1_T2_T3_mRjT4_P12ihipStream_tbNS1_7vsmem_tEEUlT_E_NS1_11comp_targetILNS1_3genE4ELNS1_11target_archE910ELNS1_3gpuE8ELNS1_3repE0EEENS1_30default_config_static_selectorELNS0_4arch9wavefront6targetE1EEEvSM_,"axG",@progbits,_ZN7rocprim17ROCPRIM_400000_NS6detail17trampoline_kernelINS0_14default_configENS1_37merge_sort_block_sort_config_selectorIlNS0_10empty_typeEEEZNS1_21merge_sort_block_sortIS3_PlS8_PS5_S9_ZN2at6native12_GLOBAL__N_124unique_dim_cuda_templateIsEESt5tupleIJNSA_6TensorESF_SF_EERKSF_lbbbEUlllE_EE10hipError_tT0_T1_T2_T3_mRjT4_P12ihipStream_tbNS1_7vsmem_tEEUlT_E_NS1_11comp_targetILNS1_3genE4ELNS1_11target_archE910ELNS1_3gpuE8ELNS1_3repE0EEENS1_30default_config_static_selectorELNS0_4arch9wavefront6targetE1EEEvSM_,comdat
	.globl	_ZN7rocprim17ROCPRIM_400000_NS6detail17trampoline_kernelINS0_14default_configENS1_37merge_sort_block_sort_config_selectorIlNS0_10empty_typeEEEZNS1_21merge_sort_block_sortIS3_PlS8_PS5_S9_ZN2at6native12_GLOBAL__N_124unique_dim_cuda_templateIsEESt5tupleIJNSA_6TensorESF_SF_EERKSF_lbbbEUlllE_EE10hipError_tT0_T1_T2_T3_mRjT4_P12ihipStream_tbNS1_7vsmem_tEEUlT_E_NS1_11comp_targetILNS1_3genE4ELNS1_11target_archE910ELNS1_3gpuE8ELNS1_3repE0EEENS1_30default_config_static_selectorELNS0_4arch9wavefront6targetE1EEEvSM_ ; -- Begin function _ZN7rocprim17ROCPRIM_400000_NS6detail17trampoline_kernelINS0_14default_configENS1_37merge_sort_block_sort_config_selectorIlNS0_10empty_typeEEEZNS1_21merge_sort_block_sortIS3_PlS8_PS5_S9_ZN2at6native12_GLOBAL__N_124unique_dim_cuda_templateIsEESt5tupleIJNSA_6TensorESF_SF_EERKSF_lbbbEUlllE_EE10hipError_tT0_T1_T2_T3_mRjT4_P12ihipStream_tbNS1_7vsmem_tEEUlT_E_NS1_11comp_targetILNS1_3genE4ELNS1_11target_archE910ELNS1_3gpuE8ELNS1_3repE0EEENS1_30default_config_static_selectorELNS0_4arch9wavefront6targetE1EEEvSM_
	.p2align	8
	.type	_ZN7rocprim17ROCPRIM_400000_NS6detail17trampoline_kernelINS0_14default_configENS1_37merge_sort_block_sort_config_selectorIlNS0_10empty_typeEEEZNS1_21merge_sort_block_sortIS3_PlS8_PS5_S9_ZN2at6native12_GLOBAL__N_124unique_dim_cuda_templateIsEESt5tupleIJNSA_6TensorESF_SF_EERKSF_lbbbEUlllE_EE10hipError_tT0_T1_T2_T3_mRjT4_P12ihipStream_tbNS1_7vsmem_tEEUlT_E_NS1_11comp_targetILNS1_3genE4ELNS1_11target_archE910ELNS1_3gpuE8ELNS1_3repE0EEENS1_30default_config_static_selectorELNS0_4arch9wavefront6targetE1EEEvSM_,@function
_ZN7rocprim17ROCPRIM_400000_NS6detail17trampoline_kernelINS0_14default_configENS1_37merge_sort_block_sort_config_selectorIlNS0_10empty_typeEEEZNS1_21merge_sort_block_sortIS3_PlS8_PS5_S9_ZN2at6native12_GLOBAL__N_124unique_dim_cuda_templateIsEESt5tupleIJNSA_6TensorESF_SF_EERKSF_lbbbEUlllE_EE10hipError_tT0_T1_T2_T3_mRjT4_P12ihipStream_tbNS1_7vsmem_tEEUlT_E_NS1_11comp_targetILNS1_3genE4ELNS1_11target_archE910ELNS1_3gpuE8ELNS1_3repE0EEENS1_30default_config_static_selectorELNS0_4arch9wavefront6targetE1EEEvSM_: ; @_ZN7rocprim17ROCPRIM_400000_NS6detail17trampoline_kernelINS0_14default_configENS1_37merge_sort_block_sort_config_selectorIlNS0_10empty_typeEEEZNS1_21merge_sort_block_sortIS3_PlS8_PS5_S9_ZN2at6native12_GLOBAL__N_124unique_dim_cuda_templateIsEESt5tupleIJNSA_6TensorESF_SF_EERKSF_lbbbEUlllE_EE10hipError_tT0_T1_T2_T3_mRjT4_P12ihipStream_tbNS1_7vsmem_tEEUlT_E_NS1_11comp_targetILNS1_3genE4ELNS1_11target_archE910ELNS1_3gpuE8ELNS1_3repE0EEENS1_30default_config_static_selectorELNS0_4arch9wavefront6targetE1EEEvSM_
; %bb.0:
	.section	.rodata,"a",@progbits
	.p2align	6, 0x0
	.amdhsa_kernel _ZN7rocprim17ROCPRIM_400000_NS6detail17trampoline_kernelINS0_14default_configENS1_37merge_sort_block_sort_config_selectorIlNS0_10empty_typeEEEZNS1_21merge_sort_block_sortIS3_PlS8_PS5_S9_ZN2at6native12_GLOBAL__N_124unique_dim_cuda_templateIsEESt5tupleIJNSA_6TensorESF_SF_EERKSF_lbbbEUlllE_EE10hipError_tT0_T1_T2_T3_mRjT4_P12ihipStream_tbNS1_7vsmem_tEEUlT_E_NS1_11comp_targetILNS1_3genE4ELNS1_11target_archE910ELNS1_3gpuE8ELNS1_3repE0EEENS1_30default_config_static_selectorELNS0_4arch9wavefront6targetE1EEEvSM_
		.amdhsa_group_segment_fixed_size 0
		.amdhsa_private_segment_fixed_size 0
		.amdhsa_kernarg_size 72
		.amdhsa_user_sgpr_count 2
		.amdhsa_user_sgpr_dispatch_ptr 0
		.amdhsa_user_sgpr_queue_ptr 0
		.amdhsa_user_sgpr_kernarg_segment_ptr 1
		.amdhsa_user_sgpr_dispatch_id 0
		.amdhsa_user_sgpr_kernarg_preload_length 0
		.amdhsa_user_sgpr_kernarg_preload_offset 0
		.amdhsa_user_sgpr_private_segment_size 0
		.amdhsa_uses_dynamic_stack 0
		.amdhsa_enable_private_segment 0
		.amdhsa_system_sgpr_workgroup_id_x 1
		.amdhsa_system_sgpr_workgroup_id_y 0
		.amdhsa_system_sgpr_workgroup_id_z 0
		.amdhsa_system_sgpr_workgroup_info 0
		.amdhsa_system_vgpr_workitem_id 0
		.amdhsa_next_free_vgpr 1
		.amdhsa_next_free_sgpr 0
		.amdhsa_accum_offset 4
		.amdhsa_reserve_vcc 0
		.amdhsa_float_round_mode_32 0
		.amdhsa_float_round_mode_16_64 0
		.amdhsa_float_denorm_mode_32 3
		.amdhsa_float_denorm_mode_16_64 3
		.amdhsa_dx10_clamp 1
		.amdhsa_ieee_mode 1
		.amdhsa_fp16_overflow 0
		.amdhsa_tg_split 0
		.amdhsa_exception_fp_ieee_invalid_op 0
		.amdhsa_exception_fp_denorm_src 0
		.amdhsa_exception_fp_ieee_div_zero 0
		.amdhsa_exception_fp_ieee_overflow 0
		.amdhsa_exception_fp_ieee_underflow 0
		.amdhsa_exception_fp_ieee_inexact 0
		.amdhsa_exception_int_div_zero 0
	.end_amdhsa_kernel
	.section	.text._ZN7rocprim17ROCPRIM_400000_NS6detail17trampoline_kernelINS0_14default_configENS1_37merge_sort_block_sort_config_selectorIlNS0_10empty_typeEEEZNS1_21merge_sort_block_sortIS3_PlS8_PS5_S9_ZN2at6native12_GLOBAL__N_124unique_dim_cuda_templateIsEESt5tupleIJNSA_6TensorESF_SF_EERKSF_lbbbEUlllE_EE10hipError_tT0_T1_T2_T3_mRjT4_P12ihipStream_tbNS1_7vsmem_tEEUlT_E_NS1_11comp_targetILNS1_3genE4ELNS1_11target_archE910ELNS1_3gpuE8ELNS1_3repE0EEENS1_30default_config_static_selectorELNS0_4arch9wavefront6targetE1EEEvSM_,"axG",@progbits,_ZN7rocprim17ROCPRIM_400000_NS6detail17trampoline_kernelINS0_14default_configENS1_37merge_sort_block_sort_config_selectorIlNS0_10empty_typeEEEZNS1_21merge_sort_block_sortIS3_PlS8_PS5_S9_ZN2at6native12_GLOBAL__N_124unique_dim_cuda_templateIsEESt5tupleIJNSA_6TensorESF_SF_EERKSF_lbbbEUlllE_EE10hipError_tT0_T1_T2_T3_mRjT4_P12ihipStream_tbNS1_7vsmem_tEEUlT_E_NS1_11comp_targetILNS1_3genE4ELNS1_11target_archE910ELNS1_3gpuE8ELNS1_3repE0EEENS1_30default_config_static_selectorELNS0_4arch9wavefront6targetE1EEEvSM_,comdat
.Lfunc_end629:
	.size	_ZN7rocprim17ROCPRIM_400000_NS6detail17trampoline_kernelINS0_14default_configENS1_37merge_sort_block_sort_config_selectorIlNS0_10empty_typeEEEZNS1_21merge_sort_block_sortIS3_PlS8_PS5_S9_ZN2at6native12_GLOBAL__N_124unique_dim_cuda_templateIsEESt5tupleIJNSA_6TensorESF_SF_EERKSF_lbbbEUlllE_EE10hipError_tT0_T1_T2_T3_mRjT4_P12ihipStream_tbNS1_7vsmem_tEEUlT_E_NS1_11comp_targetILNS1_3genE4ELNS1_11target_archE910ELNS1_3gpuE8ELNS1_3repE0EEENS1_30default_config_static_selectorELNS0_4arch9wavefront6targetE1EEEvSM_, .Lfunc_end629-_ZN7rocprim17ROCPRIM_400000_NS6detail17trampoline_kernelINS0_14default_configENS1_37merge_sort_block_sort_config_selectorIlNS0_10empty_typeEEEZNS1_21merge_sort_block_sortIS3_PlS8_PS5_S9_ZN2at6native12_GLOBAL__N_124unique_dim_cuda_templateIsEESt5tupleIJNSA_6TensorESF_SF_EERKSF_lbbbEUlllE_EE10hipError_tT0_T1_T2_T3_mRjT4_P12ihipStream_tbNS1_7vsmem_tEEUlT_E_NS1_11comp_targetILNS1_3genE4ELNS1_11target_archE910ELNS1_3gpuE8ELNS1_3repE0EEENS1_30default_config_static_selectorELNS0_4arch9wavefront6targetE1EEEvSM_
                                        ; -- End function
	.set _ZN7rocprim17ROCPRIM_400000_NS6detail17trampoline_kernelINS0_14default_configENS1_37merge_sort_block_sort_config_selectorIlNS0_10empty_typeEEEZNS1_21merge_sort_block_sortIS3_PlS8_PS5_S9_ZN2at6native12_GLOBAL__N_124unique_dim_cuda_templateIsEESt5tupleIJNSA_6TensorESF_SF_EERKSF_lbbbEUlllE_EE10hipError_tT0_T1_T2_T3_mRjT4_P12ihipStream_tbNS1_7vsmem_tEEUlT_E_NS1_11comp_targetILNS1_3genE4ELNS1_11target_archE910ELNS1_3gpuE8ELNS1_3repE0EEENS1_30default_config_static_selectorELNS0_4arch9wavefront6targetE1EEEvSM_.num_vgpr, 0
	.set _ZN7rocprim17ROCPRIM_400000_NS6detail17trampoline_kernelINS0_14default_configENS1_37merge_sort_block_sort_config_selectorIlNS0_10empty_typeEEEZNS1_21merge_sort_block_sortIS3_PlS8_PS5_S9_ZN2at6native12_GLOBAL__N_124unique_dim_cuda_templateIsEESt5tupleIJNSA_6TensorESF_SF_EERKSF_lbbbEUlllE_EE10hipError_tT0_T1_T2_T3_mRjT4_P12ihipStream_tbNS1_7vsmem_tEEUlT_E_NS1_11comp_targetILNS1_3genE4ELNS1_11target_archE910ELNS1_3gpuE8ELNS1_3repE0EEENS1_30default_config_static_selectorELNS0_4arch9wavefront6targetE1EEEvSM_.num_agpr, 0
	.set _ZN7rocprim17ROCPRIM_400000_NS6detail17trampoline_kernelINS0_14default_configENS1_37merge_sort_block_sort_config_selectorIlNS0_10empty_typeEEEZNS1_21merge_sort_block_sortIS3_PlS8_PS5_S9_ZN2at6native12_GLOBAL__N_124unique_dim_cuda_templateIsEESt5tupleIJNSA_6TensorESF_SF_EERKSF_lbbbEUlllE_EE10hipError_tT0_T1_T2_T3_mRjT4_P12ihipStream_tbNS1_7vsmem_tEEUlT_E_NS1_11comp_targetILNS1_3genE4ELNS1_11target_archE910ELNS1_3gpuE8ELNS1_3repE0EEENS1_30default_config_static_selectorELNS0_4arch9wavefront6targetE1EEEvSM_.numbered_sgpr, 0
	.set _ZN7rocprim17ROCPRIM_400000_NS6detail17trampoline_kernelINS0_14default_configENS1_37merge_sort_block_sort_config_selectorIlNS0_10empty_typeEEEZNS1_21merge_sort_block_sortIS3_PlS8_PS5_S9_ZN2at6native12_GLOBAL__N_124unique_dim_cuda_templateIsEESt5tupleIJNSA_6TensorESF_SF_EERKSF_lbbbEUlllE_EE10hipError_tT0_T1_T2_T3_mRjT4_P12ihipStream_tbNS1_7vsmem_tEEUlT_E_NS1_11comp_targetILNS1_3genE4ELNS1_11target_archE910ELNS1_3gpuE8ELNS1_3repE0EEENS1_30default_config_static_selectorELNS0_4arch9wavefront6targetE1EEEvSM_.num_named_barrier, 0
	.set _ZN7rocprim17ROCPRIM_400000_NS6detail17trampoline_kernelINS0_14default_configENS1_37merge_sort_block_sort_config_selectorIlNS0_10empty_typeEEEZNS1_21merge_sort_block_sortIS3_PlS8_PS5_S9_ZN2at6native12_GLOBAL__N_124unique_dim_cuda_templateIsEESt5tupleIJNSA_6TensorESF_SF_EERKSF_lbbbEUlllE_EE10hipError_tT0_T1_T2_T3_mRjT4_P12ihipStream_tbNS1_7vsmem_tEEUlT_E_NS1_11comp_targetILNS1_3genE4ELNS1_11target_archE910ELNS1_3gpuE8ELNS1_3repE0EEENS1_30default_config_static_selectorELNS0_4arch9wavefront6targetE1EEEvSM_.private_seg_size, 0
	.set _ZN7rocprim17ROCPRIM_400000_NS6detail17trampoline_kernelINS0_14default_configENS1_37merge_sort_block_sort_config_selectorIlNS0_10empty_typeEEEZNS1_21merge_sort_block_sortIS3_PlS8_PS5_S9_ZN2at6native12_GLOBAL__N_124unique_dim_cuda_templateIsEESt5tupleIJNSA_6TensorESF_SF_EERKSF_lbbbEUlllE_EE10hipError_tT0_T1_T2_T3_mRjT4_P12ihipStream_tbNS1_7vsmem_tEEUlT_E_NS1_11comp_targetILNS1_3genE4ELNS1_11target_archE910ELNS1_3gpuE8ELNS1_3repE0EEENS1_30default_config_static_selectorELNS0_4arch9wavefront6targetE1EEEvSM_.uses_vcc, 0
	.set _ZN7rocprim17ROCPRIM_400000_NS6detail17trampoline_kernelINS0_14default_configENS1_37merge_sort_block_sort_config_selectorIlNS0_10empty_typeEEEZNS1_21merge_sort_block_sortIS3_PlS8_PS5_S9_ZN2at6native12_GLOBAL__N_124unique_dim_cuda_templateIsEESt5tupleIJNSA_6TensorESF_SF_EERKSF_lbbbEUlllE_EE10hipError_tT0_T1_T2_T3_mRjT4_P12ihipStream_tbNS1_7vsmem_tEEUlT_E_NS1_11comp_targetILNS1_3genE4ELNS1_11target_archE910ELNS1_3gpuE8ELNS1_3repE0EEENS1_30default_config_static_selectorELNS0_4arch9wavefront6targetE1EEEvSM_.uses_flat_scratch, 0
	.set _ZN7rocprim17ROCPRIM_400000_NS6detail17trampoline_kernelINS0_14default_configENS1_37merge_sort_block_sort_config_selectorIlNS0_10empty_typeEEEZNS1_21merge_sort_block_sortIS3_PlS8_PS5_S9_ZN2at6native12_GLOBAL__N_124unique_dim_cuda_templateIsEESt5tupleIJNSA_6TensorESF_SF_EERKSF_lbbbEUlllE_EE10hipError_tT0_T1_T2_T3_mRjT4_P12ihipStream_tbNS1_7vsmem_tEEUlT_E_NS1_11comp_targetILNS1_3genE4ELNS1_11target_archE910ELNS1_3gpuE8ELNS1_3repE0EEENS1_30default_config_static_selectorELNS0_4arch9wavefront6targetE1EEEvSM_.has_dyn_sized_stack, 0
	.set _ZN7rocprim17ROCPRIM_400000_NS6detail17trampoline_kernelINS0_14default_configENS1_37merge_sort_block_sort_config_selectorIlNS0_10empty_typeEEEZNS1_21merge_sort_block_sortIS3_PlS8_PS5_S9_ZN2at6native12_GLOBAL__N_124unique_dim_cuda_templateIsEESt5tupleIJNSA_6TensorESF_SF_EERKSF_lbbbEUlllE_EE10hipError_tT0_T1_T2_T3_mRjT4_P12ihipStream_tbNS1_7vsmem_tEEUlT_E_NS1_11comp_targetILNS1_3genE4ELNS1_11target_archE910ELNS1_3gpuE8ELNS1_3repE0EEENS1_30default_config_static_selectorELNS0_4arch9wavefront6targetE1EEEvSM_.has_recursion, 0
	.set _ZN7rocprim17ROCPRIM_400000_NS6detail17trampoline_kernelINS0_14default_configENS1_37merge_sort_block_sort_config_selectorIlNS0_10empty_typeEEEZNS1_21merge_sort_block_sortIS3_PlS8_PS5_S9_ZN2at6native12_GLOBAL__N_124unique_dim_cuda_templateIsEESt5tupleIJNSA_6TensorESF_SF_EERKSF_lbbbEUlllE_EE10hipError_tT0_T1_T2_T3_mRjT4_P12ihipStream_tbNS1_7vsmem_tEEUlT_E_NS1_11comp_targetILNS1_3genE4ELNS1_11target_archE910ELNS1_3gpuE8ELNS1_3repE0EEENS1_30default_config_static_selectorELNS0_4arch9wavefront6targetE1EEEvSM_.has_indirect_call, 0
	.section	.AMDGPU.csdata,"",@progbits
; Kernel info:
; codeLenInByte = 0
; TotalNumSgprs: 6
; NumVgprs: 0
; NumAgprs: 0
; TotalNumVgprs: 0
; ScratchSize: 0
; MemoryBound: 0
; FloatMode: 240
; IeeeMode: 1
; LDSByteSize: 0 bytes/workgroup (compile time only)
; SGPRBlocks: 0
; VGPRBlocks: 0
; NumSGPRsForWavesPerEU: 6
; NumVGPRsForWavesPerEU: 1
; AccumOffset: 4
; Occupancy: 8
; WaveLimiterHint : 0
; COMPUTE_PGM_RSRC2:SCRATCH_EN: 0
; COMPUTE_PGM_RSRC2:USER_SGPR: 2
; COMPUTE_PGM_RSRC2:TRAP_HANDLER: 0
; COMPUTE_PGM_RSRC2:TGID_X_EN: 1
; COMPUTE_PGM_RSRC2:TGID_Y_EN: 0
; COMPUTE_PGM_RSRC2:TGID_Z_EN: 0
; COMPUTE_PGM_RSRC2:TIDIG_COMP_CNT: 0
; COMPUTE_PGM_RSRC3_GFX90A:ACCUM_OFFSET: 0
; COMPUTE_PGM_RSRC3_GFX90A:TG_SPLIT: 0
	.section	.text._ZN7rocprim17ROCPRIM_400000_NS6detail17trampoline_kernelINS0_14default_configENS1_37merge_sort_block_sort_config_selectorIlNS0_10empty_typeEEEZNS1_21merge_sort_block_sortIS3_PlS8_PS5_S9_ZN2at6native12_GLOBAL__N_124unique_dim_cuda_templateIsEESt5tupleIJNSA_6TensorESF_SF_EERKSF_lbbbEUlllE_EE10hipError_tT0_T1_T2_T3_mRjT4_P12ihipStream_tbNS1_7vsmem_tEEUlT_E_NS1_11comp_targetILNS1_3genE3ELNS1_11target_archE908ELNS1_3gpuE7ELNS1_3repE0EEENS1_30default_config_static_selectorELNS0_4arch9wavefront6targetE1EEEvSM_,"axG",@progbits,_ZN7rocprim17ROCPRIM_400000_NS6detail17trampoline_kernelINS0_14default_configENS1_37merge_sort_block_sort_config_selectorIlNS0_10empty_typeEEEZNS1_21merge_sort_block_sortIS3_PlS8_PS5_S9_ZN2at6native12_GLOBAL__N_124unique_dim_cuda_templateIsEESt5tupleIJNSA_6TensorESF_SF_EERKSF_lbbbEUlllE_EE10hipError_tT0_T1_T2_T3_mRjT4_P12ihipStream_tbNS1_7vsmem_tEEUlT_E_NS1_11comp_targetILNS1_3genE3ELNS1_11target_archE908ELNS1_3gpuE7ELNS1_3repE0EEENS1_30default_config_static_selectorELNS0_4arch9wavefront6targetE1EEEvSM_,comdat
	.globl	_ZN7rocprim17ROCPRIM_400000_NS6detail17trampoline_kernelINS0_14default_configENS1_37merge_sort_block_sort_config_selectorIlNS0_10empty_typeEEEZNS1_21merge_sort_block_sortIS3_PlS8_PS5_S9_ZN2at6native12_GLOBAL__N_124unique_dim_cuda_templateIsEESt5tupleIJNSA_6TensorESF_SF_EERKSF_lbbbEUlllE_EE10hipError_tT0_T1_T2_T3_mRjT4_P12ihipStream_tbNS1_7vsmem_tEEUlT_E_NS1_11comp_targetILNS1_3genE3ELNS1_11target_archE908ELNS1_3gpuE7ELNS1_3repE0EEENS1_30default_config_static_selectorELNS0_4arch9wavefront6targetE1EEEvSM_ ; -- Begin function _ZN7rocprim17ROCPRIM_400000_NS6detail17trampoline_kernelINS0_14default_configENS1_37merge_sort_block_sort_config_selectorIlNS0_10empty_typeEEEZNS1_21merge_sort_block_sortIS3_PlS8_PS5_S9_ZN2at6native12_GLOBAL__N_124unique_dim_cuda_templateIsEESt5tupleIJNSA_6TensorESF_SF_EERKSF_lbbbEUlllE_EE10hipError_tT0_T1_T2_T3_mRjT4_P12ihipStream_tbNS1_7vsmem_tEEUlT_E_NS1_11comp_targetILNS1_3genE3ELNS1_11target_archE908ELNS1_3gpuE7ELNS1_3repE0EEENS1_30default_config_static_selectorELNS0_4arch9wavefront6targetE1EEEvSM_
	.p2align	8
	.type	_ZN7rocprim17ROCPRIM_400000_NS6detail17trampoline_kernelINS0_14default_configENS1_37merge_sort_block_sort_config_selectorIlNS0_10empty_typeEEEZNS1_21merge_sort_block_sortIS3_PlS8_PS5_S9_ZN2at6native12_GLOBAL__N_124unique_dim_cuda_templateIsEESt5tupleIJNSA_6TensorESF_SF_EERKSF_lbbbEUlllE_EE10hipError_tT0_T1_T2_T3_mRjT4_P12ihipStream_tbNS1_7vsmem_tEEUlT_E_NS1_11comp_targetILNS1_3genE3ELNS1_11target_archE908ELNS1_3gpuE7ELNS1_3repE0EEENS1_30default_config_static_selectorELNS0_4arch9wavefront6targetE1EEEvSM_,@function
_ZN7rocprim17ROCPRIM_400000_NS6detail17trampoline_kernelINS0_14default_configENS1_37merge_sort_block_sort_config_selectorIlNS0_10empty_typeEEEZNS1_21merge_sort_block_sortIS3_PlS8_PS5_S9_ZN2at6native12_GLOBAL__N_124unique_dim_cuda_templateIsEESt5tupleIJNSA_6TensorESF_SF_EERKSF_lbbbEUlllE_EE10hipError_tT0_T1_T2_T3_mRjT4_P12ihipStream_tbNS1_7vsmem_tEEUlT_E_NS1_11comp_targetILNS1_3genE3ELNS1_11target_archE908ELNS1_3gpuE7ELNS1_3repE0EEENS1_30default_config_static_selectorELNS0_4arch9wavefront6targetE1EEEvSM_: ; @_ZN7rocprim17ROCPRIM_400000_NS6detail17trampoline_kernelINS0_14default_configENS1_37merge_sort_block_sort_config_selectorIlNS0_10empty_typeEEEZNS1_21merge_sort_block_sortIS3_PlS8_PS5_S9_ZN2at6native12_GLOBAL__N_124unique_dim_cuda_templateIsEESt5tupleIJNSA_6TensorESF_SF_EERKSF_lbbbEUlllE_EE10hipError_tT0_T1_T2_T3_mRjT4_P12ihipStream_tbNS1_7vsmem_tEEUlT_E_NS1_11comp_targetILNS1_3genE3ELNS1_11target_archE908ELNS1_3gpuE7ELNS1_3repE0EEENS1_30default_config_static_selectorELNS0_4arch9wavefront6targetE1EEEvSM_
; %bb.0:
	.section	.rodata,"a",@progbits
	.p2align	6, 0x0
	.amdhsa_kernel _ZN7rocprim17ROCPRIM_400000_NS6detail17trampoline_kernelINS0_14default_configENS1_37merge_sort_block_sort_config_selectorIlNS0_10empty_typeEEEZNS1_21merge_sort_block_sortIS3_PlS8_PS5_S9_ZN2at6native12_GLOBAL__N_124unique_dim_cuda_templateIsEESt5tupleIJNSA_6TensorESF_SF_EERKSF_lbbbEUlllE_EE10hipError_tT0_T1_T2_T3_mRjT4_P12ihipStream_tbNS1_7vsmem_tEEUlT_E_NS1_11comp_targetILNS1_3genE3ELNS1_11target_archE908ELNS1_3gpuE7ELNS1_3repE0EEENS1_30default_config_static_selectorELNS0_4arch9wavefront6targetE1EEEvSM_
		.amdhsa_group_segment_fixed_size 0
		.amdhsa_private_segment_fixed_size 0
		.amdhsa_kernarg_size 72
		.amdhsa_user_sgpr_count 2
		.amdhsa_user_sgpr_dispatch_ptr 0
		.amdhsa_user_sgpr_queue_ptr 0
		.amdhsa_user_sgpr_kernarg_segment_ptr 1
		.amdhsa_user_sgpr_dispatch_id 0
		.amdhsa_user_sgpr_kernarg_preload_length 0
		.amdhsa_user_sgpr_kernarg_preload_offset 0
		.amdhsa_user_sgpr_private_segment_size 0
		.amdhsa_uses_dynamic_stack 0
		.amdhsa_enable_private_segment 0
		.amdhsa_system_sgpr_workgroup_id_x 1
		.amdhsa_system_sgpr_workgroup_id_y 0
		.amdhsa_system_sgpr_workgroup_id_z 0
		.amdhsa_system_sgpr_workgroup_info 0
		.amdhsa_system_vgpr_workitem_id 0
		.amdhsa_next_free_vgpr 1
		.amdhsa_next_free_sgpr 0
		.amdhsa_accum_offset 4
		.amdhsa_reserve_vcc 0
		.amdhsa_float_round_mode_32 0
		.amdhsa_float_round_mode_16_64 0
		.amdhsa_float_denorm_mode_32 3
		.amdhsa_float_denorm_mode_16_64 3
		.amdhsa_dx10_clamp 1
		.amdhsa_ieee_mode 1
		.amdhsa_fp16_overflow 0
		.amdhsa_tg_split 0
		.amdhsa_exception_fp_ieee_invalid_op 0
		.amdhsa_exception_fp_denorm_src 0
		.amdhsa_exception_fp_ieee_div_zero 0
		.amdhsa_exception_fp_ieee_overflow 0
		.amdhsa_exception_fp_ieee_underflow 0
		.amdhsa_exception_fp_ieee_inexact 0
		.amdhsa_exception_int_div_zero 0
	.end_amdhsa_kernel
	.section	.text._ZN7rocprim17ROCPRIM_400000_NS6detail17trampoline_kernelINS0_14default_configENS1_37merge_sort_block_sort_config_selectorIlNS0_10empty_typeEEEZNS1_21merge_sort_block_sortIS3_PlS8_PS5_S9_ZN2at6native12_GLOBAL__N_124unique_dim_cuda_templateIsEESt5tupleIJNSA_6TensorESF_SF_EERKSF_lbbbEUlllE_EE10hipError_tT0_T1_T2_T3_mRjT4_P12ihipStream_tbNS1_7vsmem_tEEUlT_E_NS1_11comp_targetILNS1_3genE3ELNS1_11target_archE908ELNS1_3gpuE7ELNS1_3repE0EEENS1_30default_config_static_selectorELNS0_4arch9wavefront6targetE1EEEvSM_,"axG",@progbits,_ZN7rocprim17ROCPRIM_400000_NS6detail17trampoline_kernelINS0_14default_configENS1_37merge_sort_block_sort_config_selectorIlNS0_10empty_typeEEEZNS1_21merge_sort_block_sortIS3_PlS8_PS5_S9_ZN2at6native12_GLOBAL__N_124unique_dim_cuda_templateIsEESt5tupleIJNSA_6TensorESF_SF_EERKSF_lbbbEUlllE_EE10hipError_tT0_T1_T2_T3_mRjT4_P12ihipStream_tbNS1_7vsmem_tEEUlT_E_NS1_11comp_targetILNS1_3genE3ELNS1_11target_archE908ELNS1_3gpuE7ELNS1_3repE0EEENS1_30default_config_static_selectorELNS0_4arch9wavefront6targetE1EEEvSM_,comdat
.Lfunc_end630:
	.size	_ZN7rocprim17ROCPRIM_400000_NS6detail17trampoline_kernelINS0_14default_configENS1_37merge_sort_block_sort_config_selectorIlNS0_10empty_typeEEEZNS1_21merge_sort_block_sortIS3_PlS8_PS5_S9_ZN2at6native12_GLOBAL__N_124unique_dim_cuda_templateIsEESt5tupleIJNSA_6TensorESF_SF_EERKSF_lbbbEUlllE_EE10hipError_tT0_T1_T2_T3_mRjT4_P12ihipStream_tbNS1_7vsmem_tEEUlT_E_NS1_11comp_targetILNS1_3genE3ELNS1_11target_archE908ELNS1_3gpuE7ELNS1_3repE0EEENS1_30default_config_static_selectorELNS0_4arch9wavefront6targetE1EEEvSM_, .Lfunc_end630-_ZN7rocprim17ROCPRIM_400000_NS6detail17trampoline_kernelINS0_14default_configENS1_37merge_sort_block_sort_config_selectorIlNS0_10empty_typeEEEZNS1_21merge_sort_block_sortIS3_PlS8_PS5_S9_ZN2at6native12_GLOBAL__N_124unique_dim_cuda_templateIsEESt5tupleIJNSA_6TensorESF_SF_EERKSF_lbbbEUlllE_EE10hipError_tT0_T1_T2_T3_mRjT4_P12ihipStream_tbNS1_7vsmem_tEEUlT_E_NS1_11comp_targetILNS1_3genE3ELNS1_11target_archE908ELNS1_3gpuE7ELNS1_3repE0EEENS1_30default_config_static_selectorELNS0_4arch9wavefront6targetE1EEEvSM_
                                        ; -- End function
	.set _ZN7rocprim17ROCPRIM_400000_NS6detail17trampoline_kernelINS0_14default_configENS1_37merge_sort_block_sort_config_selectorIlNS0_10empty_typeEEEZNS1_21merge_sort_block_sortIS3_PlS8_PS5_S9_ZN2at6native12_GLOBAL__N_124unique_dim_cuda_templateIsEESt5tupleIJNSA_6TensorESF_SF_EERKSF_lbbbEUlllE_EE10hipError_tT0_T1_T2_T3_mRjT4_P12ihipStream_tbNS1_7vsmem_tEEUlT_E_NS1_11comp_targetILNS1_3genE3ELNS1_11target_archE908ELNS1_3gpuE7ELNS1_3repE0EEENS1_30default_config_static_selectorELNS0_4arch9wavefront6targetE1EEEvSM_.num_vgpr, 0
	.set _ZN7rocprim17ROCPRIM_400000_NS6detail17trampoline_kernelINS0_14default_configENS1_37merge_sort_block_sort_config_selectorIlNS0_10empty_typeEEEZNS1_21merge_sort_block_sortIS3_PlS8_PS5_S9_ZN2at6native12_GLOBAL__N_124unique_dim_cuda_templateIsEESt5tupleIJNSA_6TensorESF_SF_EERKSF_lbbbEUlllE_EE10hipError_tT0_T1_T2_T3_mRjT4_P12ihipStream_tbNS1_7vsmem_tEEUlT_E_NS1_11comp_targetILNS1_3genE3ELNS1_11target_archE908ELNS1_3gpuE7ELNS1_3repE0EEENS1_30default_config_static_selectorELNS0_4arch9wavefront6targetE1EEEvSM_.num_agpr, 0
	.set _ZN7rocprim17ROCPRIM_400000_NS6detail17trampoline_kernelINS0_14default_configENS1_37merge_sort_block_sort_config_selectorIlNS0_10empty_typeEEEZNS1_21merge_sort_block_sortIS3_PlS8_PS5_S9_ZN2at6native12_GLOBAL__N_124unique_dim_cuda_templateIsEESt5tupleIJNSA_6TensorESF_SF_EERKSF_lbbbEUlllE_EE10hipError_tT0_T1_T2_T3_mRjT4_P12ihipStream_tbNS1_7vsmem_tEEUlT_E_NS1_11comp_targetILNS1_3genE3ELNS1_11target_archE908ELNS1_3gpuE7ELNS1_3repE0EEENS1_30default_config_static_selectorELNS0_4arch9wavefront6targetE1EEEvSM_.numbered_sgpr, 0
	.set _ZN7rocprim17ROCPRIM_400000_NS6detail17trampoline_kernelINS0_14default_configENS1_37merge_sort_block_sort_config_selectorIlNS0_10empty_typeEEEZNS1_21merge_sort_block_sortIS3_PlS8_PS5_S9_ZN2at6native12_GLOBAL__N_124unique_dim_cuda_templateIsEESt5tupleIJNSA_6TensorESF_SF_EERKSF_lbbbEUlllE_EE10hipError_tT0_T1_T2_T3_mRjT4_P12ihipStream_tbNS1_7vsmem_tEEUlT_E_NS1_11comp_targetILNS1_3genE3ELNS1_11target_archE908ELNS1_3gpuE7ELNS1_3repE0EEENS1_30default_config_static_selectorELNS0_4arch9wavefront6targetE1EEEvSM_.num_named_barrier, 0
	.set _ZN7rocprim17ROCPRIM_400000_NS6detail17trampoline_kernelINS0_14default_configENS1_37merge_sort_block_sort_config_selectorIlNS0_10empty_typeEEEZNS1_21merge_sort_block_sortIS3_PlS8_PS5_S9_ZN2at6native12_GLOBAL__N_124unique_dim_cuda_templateIsEESt5tupleIJNSA_6TensorESF_SF_EERKSF_lbbbEUlllE_EE10hipError_tT0_T1_T2_T3_mRjT4_P12ihipStream_tbNS1_7vsmem_tEEUlT_E_NS1_11comp_targetILNS1_3genE3ELNS1_11target_archE908ELNS1_3gpuE7ELNS1_3repE0EEENS1_30default_config_static_selectorELNS0_4arch9wavefront6targetE1EEEvSM_.private_seg_size, 0
	.set _ZN7rocprim17ROCPRIM_400000_NS6detail17trampoline_kernelINS0_14default_configENS1_37merge_sort_block_sort_config_selectorIlNS0_10empty_typeEEEZNS1_21merge_sort_block_sortIS3_PlS8_PS5_S9_ZN2at6native12_GLOBAL__N_124unique_dim_cuda_templateIsEESt5tupleIJNSA_6TensorESF_SF_EERKSF_lbbbEUlllE_EE10hipError_tT0_T1_T2_T3_mRjT4_P12ihipStream_tbNS1_7vsmem_tEEUlT_E_NS1_11comp_targetILNS1_3genE3ELNS1_11target_archE908ELNS1_3gpuE7ELNS1_3repE0EEENS1_30default_config_static_selectorELNS0_4arch9wavefront6targetE1EEEvSM_.uses_vcc, 0
	.set _ZN7rocprim17ROCPRIM_400000_NS6detail17trampoline_kernelINS0_14default_configENS1_37merge_sort_block_sort_config_selectorIlNS0_10empty_typeEEEZNS1_21merge_sort_block_sortIS3_PlS8_PS5_S9_ZN2at6native12_GLOBAL__N_124unique_dim_cuda_templateIsEESt5tupleIJNSA_6TensorESF_SF_EERKSF_lbbbEUlllE_EE10hipError_tT0_T1_T2_T3_mRjT4_P12ihipStream_tbNS1_7vsmem_tEEUlT_E_NS1_11comp_targetILNS1_3genE3ELNS1_11target_archE908ELNS1_3gpuE7ELNS1_3repE0EEENS1_30default_config_static_selectorELNS0_4arch9wavefront6targetE1EEEvSM_.uses_flat_scratch, 0
	.set _ZN7rocprim17ROCPRIM_400000_NS6detail17trampoline_kernelINS0_14default_configENS1_37merge_sort_block_sort_config_selectorIlNS0_10empty_typeEEEZNS1_21merge_sort_block_sortIS3_PlS8_PS5_S9_ZN2at6native12_GLOBAL__N_124unique_dim_cuda_templateIsEESt5tupleIJNSA_6TensorESF_SF_EERKSF_lbbbEUlllE_EE10hipError_tT0_T1_T2_T3_mRjT4_P12ihipStream_tbNS1_7vsmem_tEEUlT_E_NS1_11comp_targetILNS1_3genE3ELNS1_11target_archE908ELNS1_3gpuE7ELNS1_3repE0EEENS1_30default_config_static_selectorELNS0_4arch9wavefront6targetE1EEEvSM_.has_dyn_sized_stack, 0
	.set _ZN7rocprim17ROCPRIM_400000_NS6detail17trampoline_kernelINS0_14default_configENS1_37merge_sort_block_sort_config_selectorIlNS0_10empty_typeEEEZNS1_21merge_sort_block_sortIS3_PlS8_PS5_S9_ZN2at6native12_GLOBAL__N_124unique_dim_cuda_templateIsEESt5tupleIJNSA_6TensorESF_SF_EERKSF_lbbbEUlllE_EE10hipError_tT0_T1_T2_T3_mRjT4_P12ihipStream_tbNS1_7vsmem_tEEUlT_E_NS1_11comp_targetILNS1_3genE3ELNS1_11target_archE908ELNS1_3gpuE7ELNS1_3repE0EEENS1_30default_config_static_selectorELNS0_4arch9wavefront6targetE1EEEvSM_.has_recursion, 0
	.set _ZN7rocprim17ROCPRIM_400000_NS6detail17trampoline_kernelINS0_14default_configENS1_37merge_sort_block_sort_config_selectorIlNS0_10empty_typeEEEZNS1_21merge_sort_block_sortIS3_PlS8_PS5_S9_ZN2at6native12_GLOBAL__N_124unique_dim_cuda_templateIsEESt5tupleIJNSA_6TensorESF_SF_EERKSF_lbbbEUlllE_EE10hipError_tT0_T1_T2_T3_mRjT4_P12ihipStream_tbNS1_7vsmem_tEEUlT_E_NS1_11comp_targetILNS1_3genE3ELNS1_11target_archE908ELNS1_3gpuE7ELNS1_3repE0EEENS1_30default_config_static_selectorELNS0_4arch9wavefront6targetE1EEEvSM_.has_indirect_call, 0
	.section	.AMDGPU.csdata,"",@progbits
; Kernel info:
; codeLenInByte = 0
; TotalNumSgprs: 6
; NumVgprs: 0
; NumAgprs: 0
; TotalNumVgprs: 0
; ScratchSize: 0
; MemoryBound: 0
; FloatMode: 240
; IeeeMode: 1
; LDSByteSize: 0 bytes/workgroup (compile time only)
; SGPRBlocks: 0
; VGPRBlocks: 0
; NumSGPRsForWavesPerEU: 6
; NumVGPRsForWavesPerEU: 1
; AccumOffset: 4
; Occupancy: 8
; WaveLimiterHint : 0
; COMPUTE_PGM_RSRC2:SCRATCH_EN: 0
; COMPUTE_PGM_RSRC2:USER_SGPR: 2
; COMPUTE_PGM_RSRC2:TRAP_HANDLER: 0
; COMPUTE_PGM_RSRC2:TGID_X_EN: 1
; COMPUTE_PGM_RSRC2:TGID_Y_EN: 0
; COMPUTE_PGM_RSRC2:TGID_Z_EN: 0
; COMPUTE_PGM_RSRC2:TIDIG_COMP_CNT: 0
; COMPUTE_PGM_RSRC3_GFX90A:ACCUM_OFFSET: 0
; COMPUTE_PGM_RSRC3_GFX90A:TG_SPLIT: 0
	.section	.text._ZN7rocprim17ROCPRIM_400000_NS6detail17trampoline_kernelINS0_14default_configENS1_37merge_sort_block_sort_config_selectorIlNS0_10empty_typeEEEZNS1_21merge_sort_block_sortIS3_PlS8_PS5_S9_ZN2at6native12_GLOBAL__N_124unique_dim_cuda_templateIsEESt5tupleIJNSA_6TensorESF_SF_EERKSF_lbbbEUlllE_EE10hipError_tT0_T1_T2_T3_mRjT4_P12ihipStream_tbNS1_7vsmem_tEEUlT_E_NS1_11comp_targetILNS1_3genE2ELNS1_11target_archE906ELNS1_3gpuE6ELNS1_3repE0EEENS1_30default_config_static_selectorELNS0_4arch9wavefront6targetE1EEEvSM_,"axG",@progbits,_ZN7rocprim17ROCPRIM_400000_NS6detail17trampoline_kernelINS0_14default_configENS1_37merge_sort_block_sort_config_selectorIlNS0_10empty_typeEEEZNS1_21merge_sort_block_sortIS3_PlS8_PS5_S9_ZN2at6native12_GLOBAL__N_124unique_dim_cuda_templateIsEESt5tupleIJNSA_6TensorESF_SF_EERKSF_lbbbEUlllE_EE10hipError_tT0_T1_T2_T3_mRjT4_P12ihipStream_tbNS1_7vsmem_tEEUlT_E_NS1_11comp_targetILNS1_3genE2ELNS1_11target_archE906ELNS1_3gpuE6ELNS1_3repE0EEENS1_30default_config_static_selectorELNS0_4arch9wavefront6targetE1EEEvSM_,comdat
	.globl	_ZN7rocprim17ROCPRIM_400000_NS6detail17trampoline_kernelINS0_14default_configENS1_37merge_sort_block_sort_config_selectorIlNS0_10empty_typeEEEZNS1_21merge_sort_block_sortIS3_PlS8_PS5_S9_ZN2at6native12_GLOBAL__N_124unique_dim_cuda_templateIsEESt5tupleIJNSA_6TensorESF_SF_EERKSF_lbbbEUlllE_EE10hipError_tT0_T1_T2_T3_mRjT4_P12ihipStream_tbNS1_7vsmem_tEEUlT_E_NS1_11comp_targetILNS1_3genE2ELNS1_11target_archE906ELNS1_3gpuE6ELNS1_3repE0EEENS1_30default_config_static_selectorELNS0_4arch9wavefront6targetE1EEEvSM_ ; -- Begin function _ZN7rocprim17ROCPRIM_400000_NS6detail17trampoline_kernelINS0_14default_configENS1_37merge_sort_block_sort_config_selectorIlNS0_10empty_typeEEEZNS1_21merge_sort_block_sortIS3_PlS8_PS5_S9_ZN2at6native12_GLOBAL__N_124unique_dim_cuda_templateIsEESt5tupleIJNSA_6TensorESF_SF_EERKSF_lbbbEUlllE_EE10hipError_tT0_T1_T2_T3_mRjT4_P12ihipStream_tbNS1_7vsmem_tEEUlT_E_NS1_11comp_targetILNS1_3genE2ELNS1_11target_archE906ELNS1_3gpuE6ELNS1_3repE0EEENS1_30default_config_static_selectorELNS0_4arch9wavefront6targetE1EEEvSM_
	.p2align	8
	.type	_ZN7rocprim17ROCPRIM_400000_NS6detail17trampoline_kernelINS0_14default_configENS1_37merge_sort_block_sort_config_selectorIlNS0_10empty_typeEEEZNS1_21merge_sort_block_sortIS3_PlS8_PS5_S9_ZN2at6native12_GLOBAL__N_124unique_dim_cuda_templateIsEESt5tupleIJNSA_6TensorESF_SF_EERKSF_lbbbEUlllE_EE10hipError_tT0_T1_T2_T3_mRjT4_P12ihipStream_tbNS1_7vsmem_tEEUlT_E_NS1_11comp_targetILNS1_3genE2ELNS1_11target_archE906ELNS1_3gpuE6ELNS1_3repE0EEENS1_30default_config_static_selectorELNS0_4arch9wavefront6targetE1EEEvSM_,@function
_ZN7rocprim17ROCPRIM_400000_NS6detail17trampoline_kernelINS0_14default_configENS1_37merge_sort_block_sort_config_selectorIlNS0_10empty_typeEEEZNS1_21merge_sort_block_sortIS3_PlS8_PS5_S9_ZN2at6native12_GLOBAL__N_124unique_dim_cuda_templateIsEESt5tupleIJNSA_6TensorESF_SF_EERKSF_lbbbEUlllE_EE10hipError_tT0_T1_T2_T3_mRjT4_P12ihipStream_tbNS1_7vsmem_tEEUlT_E_NS1_11comp_targetILNS1_3genE2ELNS1_11target_archE906ELNS1_3gpuE6ELNS1_3repE0EEENS1_30default_config_static_selectorELNS0_4arch9wavefront6targetE1EEEvSM_: ; @_ZN7rocprim17ROCPRIM_400000_NS6detail17trampoline_kernelINS0_14default_configENS1_37merge_sort_block_sort_config_selectorIlNS0_10empty_typeEEEZNS1_21merge_sort_block_sortIS3_PlS8_PS5_S9_ZN2at6native12_GLOBAL__N_124unique_dim_cuda_templateIsEESt5tupleIJNSA_6TensorESF_SF_EERKSF_lbbbEUlllE_EE10hipError_tT0_T1_T2_T3_mRjT4_P12ihipStream_tbNS1_7vsmem_tEEUlT_E_NS1_11comp_targetILNS1_3genE2ELNS1_11target_archE906ELNS1_3gpuE6ELNS1_3repE0EEENS1_30default_config_static_selectorELNS0_4arch9wavefront6targetE1EEEvSM_
; %bb.0:
	.section	.rodata,"a",@progbits
	.p2align	6, 0x0
	.amdhsa_kernel _ZN7rocprim17ROCPRIM_400000_NS6detail17trampoline_kernelINS0_14default_configENS1_37merge_sort_block_sort_config_selectorIlNS0_10empty_typeEEEZNS1_21merge_sort_block_sortIS3_PlS8_PS5_S9_ZN2at6native12_GLOBAL__N_124unique_dim_cuda_templateIsEESt5tupleIJNSA_6TensorESF_SF_EERKSF_lbbbEUlllE_EE10hipError_tT0_T1_T2_T3_mRjT4_P12ihipStream_tbNS1_7vsmem_tEEUlT_E_NS1_11comp_targetILNS1_3genE2ELNS1_11target_archE906ELNS1_3gpuE6ELNS1_3repE0EEENS1_30default_config_static_selectorELNS0_4arch9wavefront6targetE1EEEvSM_
		.amdhsa_group_segment_fixed_size 0
		.amdhsa_private_segment_fixed_size 0
		.amdhsa_kernarg_size 72
		.amdhsa_user_sgpr_count 2
		.amdhsa_user_sgpr_dispatch_ptr 0
		.amdhsa_user_sgpr_queue_ptr 0
		.amdhsa_user_sgpr_kernarg_segment_ptr 1
		.amdhsa_user_sgpr_dispatch_id 0
		.amdhsa_user_sgpr_kernarg_preload_length 0
		.amdhsa_user_sgpr_kernarg_preload_offset 0
		.amdhsa_user_sgpr_private_segment_size 0
		.amdhsa_uses_dynamic_stack 0
		.amdhsa_enable_private_segment 0
		.amdhsa_system_sgpr_workgroup_id_x 1
		.amdhsa_system_sgpr_workgroup_id_y 0
		.amdhsa_system_sgpr_workgroup_id_z 0
		.amdhsa_system_sgpr_workgroup_info 0
		.amdhsa_system_vgpr_workitem_id 0
		.amdhsa_next_free_vgpr 1
		.amdhsa_next_free_sgpr 0
		.amdhsa_accum_offset 4
		.amdhsa_reserve_vcc 0
		.amdhsa_float_round_mode_32 0
		.amdhsa_float_round_mode_16_64 0
		.amdhsa_float_denorm_mode_32 3
		.amdhsa_float_denorm_mode_16_64 3
		.amdhsa_dx10_clamp 1
		.amdhsa_ieee_mode 1
		.amdhsa_fp16_overflow 0
		.amdhsa_tg_split 0
		.amdhsa_exception_fp_ieee_invalid_op 0
		.amdhsa_exception_fp_denorm_src 0
		.amdhsa_exception_fp_ieee_div_zero 0
		.amdhsa_exception_fp_ieee_overflow 0
		.amdhsa_exception_fp_ieee_underflow 0
		.amdhsa_exception_fp_ieee_inexact 0
		.amdhsa_exception_int_div_zero 0
	.end_amdhsa_kernel
	.section	.text._ZN7rocprim17ROCPRIM_400000_NS6detail17trampoline_kernelINS0_14default_configENS1_37merge_sort_block_sort_config_selectorIlNS0_10empty_typeEEEZNS1_21merge_sort_block_sortIS3_PlS8_PS5_S9_ZN2at6native12_GLOBAL__N_124unique_dim_cuda_templateIsEESt5tupleIJNSA_6TensorESF_SF_EERKSF_lbbbEUlllE_EE10hipError_tT0_T1_T2_T3_mRjT4_P12ihipStream_tbNS1_7vsmem_tEEUlT_E_NS1_11comp_targetILNS1_3genE2ELNS1_11target_archE906ELNS1_3gpuE6ELNS1_3repE0EEENS1_30default_config_static_selectorELNS0_4arch9wavefront6targetE1EEEvSM_,"axG",@progbits,_ZN7rocprim17ROCPRIM_400000_NS6detail17trampoline_kernelINS0_14default_configENS1_37merge_sort_block_sort_config_selectorIlNS0_10empty_typeEEEZNS1_21merge_sort_block_sortIS3_PlS8_PS5_S9_ZN2at6native12_GLOBAL__N_124unique_dim_cuda_templateIsEESt5tupleIJNSA_6TensorESF_SF_EERKSF_lbbbEUlllE_EE10hipError_tT0_T1_T2_T3_mRjT4_P12ihipStream_tbNS1_7vsmem_tEEUlT_E_NS1_11comp_targetILNS1_3genE2ELNS1_11target_archE906ELNS1_3gpuE6ELNS1_3repE0EEENS1_30default_config_static_selectorELNS0_4arch9wavefront6targetE1EEEvSM_,comdat
.Lfunc_end631:
	.size	_ZN7rocprim17ROCPRIM_400000_NS6detail17trampoline_kernelINS0_14default_configENS1_37merge_sort_block_sort_config_selectorIlNS0_10empty_typeEEEZNS1_21merge_sort_block_sortIS3_PlS8_PS5_S9_ZN2at6native12_GLOBAL__N_124unique_dim_cuda_templateIsEESt5tupleIJNSA_6TensorESF_SF_EERKSF_lbbbEUlllE_EE10hipError_tT0_T1_T2_T3_mRjT4_P12ihipStream_tbNS1_7vsmem_tEEUlT_E_NS1_11comp_targetILNS1_3genE2ELNS1_11target_archE906ELNS1_3gpuE6ELNS1_3repE0EEENS1_30default_config_static_selectorELNS0_4arch9wavefront6targetE1EEEvSM_, .Lfunc_end631-_ZN7rocprim17ROCPRIM_400000_NS6detail17trampoline_kernelINS0_14default_configENS1_37merge_sort_block_sort_config_selectorIlNS0_10empty_typeEEEZNS1_21merge_sort_block_sortIS3_PlS8_PS5_S9_ZN2at6native12_GLOBAL__N_124unique_dim_cuda_templateIsEESt5tupleIJNSA_6TensorESF_SF_EERKSF_lbbbEUlllE_EE10hipError_tT0_T1_T2_T3_mRjT4_P12ihipStream_tbNS1_7vsmem_tEEUlT_E_NS1_11comp_targetILNS1_3genE2ELNS1_11target_archE906ELNS1_3gpuE6ELNS1_3repE0EEENS1_30default_config_static_selectorELNS0_4arch9wavefront6targetE1EEEvSM_
                                        ; -- End function
	.set _ZN7rocprim17ROCPRIM_400000_NS6detail17trampoline_kernelINS0_14default_configENS1_37merge_sort_block_sort_config_selectorIlNS0_10empty_typeEEEZNS1_21merge_sort_block_sortIS3_PlS8_PS5_S9_ZN2at6native12_GLOBAL__N_124unique_dim_cuda_templateIsEESt5tupleIJNSA_6TensorESF_SF_EERKSF_lbbbEUlllE_EE10hipError_tT0_T1_T2_T3_mRjT4_P12ihipStream_tbNS1_7vsmem_tEEUlT_E_NS1_11comp_targetILNS1_3genE2ELNS1_11target_archE906ELNS1_3gpuE6ELNS1_3repE0EEENS1_30default_config_static_selectorELNS0_4arch9wavefront6targetE1EEEvSM_.num_vgpr, 0
	.set _ZN7rocprim17ROCPRIM_400000_NS6detail17trampoline_kernelINS0_14default_configENS1_37merge_sort_block_sort_config_selectorIlNS0_10empty_typeEEEZNS1_21merge_sort_block_sortIS3_PlS8_PS5_S9_ZN2at6native12_GLOBAL__N_124unique_dim_cuda_templateIsEESt5tupleIJNSA_6TensorESF_SF_EERKSF_lbbbEUlllE_EE10hipError_tT0_T1_T2_T3_mRjT4_P12ihipStream_tbNS1_7vsmem_tEEUlT_E_NS1_11comp_targetILNS1_3genE2ELNS1_11target_archE906ELNS1_3gpuE6ELNS1_3repE0EEENS1_30default_config_static_selectorELNS0_4arch9wavefront6targetE1EEEvSM_.num_agpr, 0
	.set _ZN7rocprim17ROCPRIM_400000_NS6detail17trampoline_kernelINS0_14default_configENS1_37merge_sort_block_sort_config_selectorIlNS0_10empty_typeEEEZNS1_21merge_sort_block_sortIS3_PlS8_PS5_S9_ZN2at6native12_GLOBAL__N_124unique_dim_cuda_templateIsEESt5tupleIJNSA_6TensorESF_SF_EERKSF_lbbbEUlllE_EE10hipError_tT0_T1_T2_T3_mRjT4_P12ihipStream_tbNS1_7vsmem_tEEUlT_E_NS1_11comp_targetILNS1_3genE2ELNS1_11target_archE906ELNS1_3gpuE6ELNS1_3repE0EEENS1_30default_config_static_selectorELNS0_4arch9wavefront6targetE1EEEvSM_.numbered_sgpr, 0
	.set _ZN7rocprim17ROCPRIM_400000_NS6detail17trampoline_kernelINS0_14default_configENS1_37merge_sort_block_sort_config_selectorIlNS0_10empty_typeEEEZNS1_21merge_sort_block_sortIS3_PlS8_PS5_S9_ZN2at6native12_GLOBAL__N_124unique_dim_cuda_templateIsEESt5tupleIJNSA_6TensorESF_SF_EERKSF_lbbbEUlllE_EE10hipError_tT0_T1_T2_T3_mRjT4_P12ihipStream_tbNS1_7vsmem_tEEUlT_E_NS1_11comp_targetILNS1_3genE2ELNS1_11target_archE906ELNS1_3gpuE6ELNS1_3repE0EEENS1_30default_config_static_selectorELNS0_4arch9wavefront6targetE1EEEvSM_.num_named_barrier, 0
	.set _ZN7rocprim17ROCPRIM_400000_NS6detail17trampoline_kernelINS0_14default_configENS1_37merge_sort_block_sort_config_selectorIlNS0_10empty_typeEEEZNS1_21merge_sort_block_sortIS3_PlS8_PS5_S9_ZN2at6native12_GLOBAL__N_124unique_dim_cuda_templateIsEESt5tupleIJNSA_6TensorESF_SF_EERKSF_lbbbEUlllE_EE10hipError_tT0_T1_T2_T3_mRjT4_P12ihipStream_tbNS1_7vsmem_tEEUlT_E_NS1_11comp_targetILNS1_3genE2ELNS1_11target_archE906ELNS1_3gpuE6ELNS1_3repE0EEENS1_30default_config_static_selectorELNS0_4arch9wavefront6targetE1EEEvSM_.private_seg_size, 0
	.set _ZN7rocprim17ROCPRIM_400000_NS6detail17trampoline_kernelINS0_14default_configENS1_37merge_sort_block_sort_config_selectorIlNS0_10empty_typeEEEZNS1_21merge_sort_block_sortIS3_PlS8_PS5_S9_ZN2at6native12_GLOBAL__N_124unique_dim_cuda_templateIsEESt5tupleIJNSA_6TensorESF_SF_EERKSF_lbbbEUlllE_EE10hipError_tT0_T1_T2_T3_mRjT4_P12ihipStream_tbNS1_7vsmem_tEEUlT_E_NS1_11comp_targetILNS1_3genE2ELNS1_11target_archE906ELNS1_3gpuE6ELNS1_3repE0EEENS1_30default_config_static_selectorELNS0_4arch9wavefront6targetE1EEEvSM_.uses_vcc, 0
	.set _ZN7rocprim17ROCPRIM_400000_NS6detail17trampoline_kernelINS0_14default_configENS1_37merge_sort_block_sort_config_selectorIlNS0_10empty_typeEEEZNS1_21merge_sort_block_sortIS3_PlS8_PS5_S9_ZN2at6native12_GLOBAL__N_124unique_dim_cuda_templateIsEESt5tupleIJNSA_6TensorESF_SF_EERKSF_lbbbEUlllE_EE10hipError_tT0_T1_T2_T3_mRjT4_P12ihipStream_tbNS1_7vsmem_tEEUlT_E_NS1_11comp_targetILNS1_3genE2ELNS1_11target_archE906ELNS1_3gpuE6ELNS1_3repE0EEENS1_30default_config_static_selectorELNS0_4arch9wavefront6targetE1EEEvSM_.uses_flat_scratch, 0
	.set _ZN7rocprim17ROCPRIM_400000_NS6detail17trampoline_kernelINS0_14default_configENS1_37merge_sort_block_sort_config_selectorIlNS0_10empty_typeEEEZNS1_21merge_sort_block_sortIS3_PlS8_PS5_S9_ZN2at6native12_GLOBAL__N_124unique_dim_cuda_templateIsEESt5tupleIJNSA_6TensorESF_SF_EERKSF_lbbbEUlllE_EE10hipError_tT0_T1_T2_T3_mRjT4_P12ihipStream_tbNS1_7vsmem_tEEUlT_E_NS1_11comp_targetILNS1_3genE2ELNS1_11target_archE906ELNS1_3gpuE6ELNS1_3repE0EEENS1_30default_config_static_selectorELNS0_4arch9wavefront6targetE1EEEvSM_.has_dyn_sized_stack, 0
	.set _ZN7rocprim17ROCPRIM_400000_NS6detail17trampoline_kernelINS0_14default_configENS1_37merge_sort_block_sort_config_selectorIlNS0_10empty_typeEEEZNS1_21merge_sort_block_sortIS3_PlS8_PS5_S9_ZN2at6native12_GLOBAL__N_124unique_dim_cuda_templateIsEESt5tupleIJNSA_6TensorESF_SF_EERKSF_lbbbEUlllE_EE10hipError_tT0_T1_T2_T3_mRjT4_P12ihipStream_tbNS1_7vsmem_tEEUlT_E_NS1_11comp_targetILNS1_3genE2ELNS1_11target_archE906ELNS1_3gpuE6ELNS1_3repE0EEENS1_30default_config_static_selectorELNS0_4arch9wavefront6targetE1EEEvSM_.has_recursion, 0
	.set _ZN7rocprim17ROCPRIM_400000_NS6detail17trampoline_kernelINS0_14default_configENS1_37merge_sort_block_sort_config_selectorIlNS0_10empty_typeEEEZNS1_21merge_sort_block_sortIS3_PlS8_PS5_S9_ZN2at6native12_GLOBAL__N_124unique_dim_cuda_templateIsEESt5tupleIJNSA_6TensorESF_SF_EERKSF_lbbbEUlllE_EE10hipError_tT0_T1_T2_T3_mRjT4_P12ihipStream_tbNS1_7vsmem_tEEUlT_E_NS1_11comp_targetILNS1_3genE2ELNS1_11target_archE906ELNS1_3gpuE6ELNS1_3repE0EEENS1_30default_config_static_selectorELNS0_4arch9wavefront6targetE1EEEvSM_.has_indirect_call, 0
	.section	.AMDGPU.csdata,"",@progbits
; Kernel info:
; codeLenInByte = 0
; TotalNumSgprs: 6
; NumVgprs: 0
; NumAgprs: 0
; TotalNumVgprs: 0
; ScratchSize: 0
; MemoryBound: 0
; FloatMode: 240
; IeeeMode: 1
; LDSByteSize: 0 bytes/workgroup (compile time only)
; SGPRBlocks: 0
; VGPRBlocks: 0
; NumSGPRsForWavesPerEU: 6
; NumVGPRsForWavesPerEU: 1
; AccumOffset: 4
; Occupancy: 8
; WaveLimiterHint : 0
; COMPUTE_PGM_RSRC2:SCRATCH_EN: 0
; COMPUTE_PGM_RSRC2:USER_SGPR: 2
; COMPUTE_PGM_RSRC2:TRAP_HANDLER: 0
; COMPUTE_PGM_RSRC2:TGID_X_EN: 1
; COMPUTE_PGM_RSRC2:TGID_Y_EN: 0
; COMPUTE_PGM_RSRC2:TGID_Z_EN: 0
; COMPUTE_PGM_RSRC2:TIDIG_COMP_CNT: 0
; COMPUTE_PGM_RSRC3_GFX90A:ACCUM_OFFSET: 0
; COMPUTE_PGM_RSRC3_GFX90A:TG_SPLIT: 0
	.section	.text._ZN7rocprim17ROCPRIM_400000_NS6detail17trampoline_kernelINS0_14default_configENS1_37merge_sort_block_sort_config_selectorIlNS0_10empty_typeEEEZNS1_21merge_sort_block_sortIS3_PlS8_PS5_S9_ZN2at6native12_GLOBAL__N_124unique_dim_cuda_templateIsEESt5tupleIJNSA_6TensorESF_SF_EERKSF_lbbbEUlllE_EE10hipError_tT0_T1_T2_T3_mRjT4_P12ihipStream_tbNS1_7vsmem_tEEUlT_E_NS1_11comp_targetILNS1_3genE10ELNS1_11target_archE1201ELNS1_3gpuE5ELNS1_3repE0EEENS1_30default_config_static_selectorELNS0_4arch9wavefront6targetE1EEEvSM_,"axG",@progbits,_ZN7rocprim17ROCPRIM_400000_NS6detail17trampoline_kernelINS0_14default_configENS1_37merge_sort_block_sort_config_selectorIlNS0_10empty_typeEEEZNS1_21merge_sort_block_sortIS3_PlS8_PS5_S9_ZN2at6native12_GLOBAL__N_124unique_dim_cuda_templateIsEESt5tupleIJNSA_6TensorESF_SF_EERKSF_lbbbEUlllE_EE10hipError_tT0_T1_T2_T3_mRjT4_P12ihipStream_tbNS1_7vsmem_tEEUlT_E_NS1_11comp_targetILNS1_3genE10ELNS1_11target_archE1201ELNS1_3gpuE5ELNS1_3repE0EEENS1_30default_config_static_selectorELNS0_4arch9wavefront6targetE1EEEvSM_,comdat
	.globl	_ZN7rocprim17ROCPRIM_400000_NS6detail17trampoline_kernelINS0_14default_configENS1_37merge_sort_block_sort_config_selectorIlNS0_10empty_typeEEEZNS1_21merge_sort_block_sortIS3_PlS8_PS5_S9_ZN2at6native12_GLOBAL__N_124unique_dim_cuda_templateIsEESt5tupleIJNSA_6TensorESF_SF_EERKSF_lbbbEUlllE_EE10hipError_tT0_T1_T2_T3_mRjT4_P12ihipStream_tbNS1_7vsmem_tEEUlT_E_NS1_11comp_targetILNS1_3genE10ELNS1_11target_archE1201ELNS1_3gpuE5ELNS1_3repE0EEENS1_30default_config_static_selectorELNS0_4arch9wavefront6targetE1EEEvSM_ ; -- Begin function _ZN7rocprim17ROCPRIM_400000_NS6detail17trampoline_kernelINS0_14default_configENS1_37merge_sort_block_sort_config_selectorIlNS0_10empty_typeEEEZNS1_21merge_sort_block_sortIS3_PlS8_PS5_S9_ZN2at6native12_GLOBAL__N_124unique_dim_cuda_templateIsEESt5tupleIJNSA_6TensorESF_SF_EERKSF_lbbbEUlllE_EE10hipError_tT0_T1_T2_T3_mRjT4_P12ihipStream_tbNS1_7vsmem_tEEUlT_E_NS1_11comp_targetILNS1_3genE10ELNS1_11target_archE1201ELNS1_3gpuE5ELNS1_3repE0EEENS1_30default_config_static_selectorELNS0_4arch9wavefront6targetE1EEEvSM_
	.p2align	8
	.type	_ZN7rocprim17ROCPRIM_400000_NS6detail17trampoline_kernelINS0_14default_configENS1_37merge_sort_block_sort_config_selectorIlNS0_10empty_typeEEEZNS1_21merge_sort_block_sortIS3_PlS8_PS5_S9_ZN2at6native12_GLOBAL__N_124unique_dim_cuda_templateIsEESt5tupleIJNSA_6TensorESF_SF_EERKSF_lbbbEUlllE_EE10hipError_tT0_T1_T2_T3_mRjT4_P12ihipStream_tbNS1_7vsmem_tEEUlT_E_NS1_11comp_targetILNS1_3genE10ELNS1_11target_archE1201ELNS1_3gpuE5ELNS1_3repE0EEENS1_30default_config_static_selectorELNS0_4arch9wavefront6targetE1EEEvSM_,@function
_ZN7rocprim17ROCPRIM_400000_NS6detail17trampoline_kernelINS0_14default_configENS1_37merge_sort_block_sort_config_selectorIlNS0_10empty_typeEEEZNS1_21merge_sort_block_sortIS3_PlS8_PS5_S9_ZN2at6native12_GLOBAL__N_124unique_dim_cuda_templateIsEESt5tupleIJNSA_6TensorESF_SF_EERKSF_lbbbEUlllE_EE10hipError_tT0_T1_T2_T3_mRjT4_P12ihipStream_tbNS1_7vsmem_tEEUlT_E_NS1_11comp_targetILNS1_3genE10ELNS1_11target_archE1201ELNS1_3gpuE5ELNS1_3repE0EEENS1_30default_config_static_selectorELNS0_4arch9wavefront6targetE1EEEvSM_: ; @_ZN7rocprim17ROCPRIM_400000_NS6detail17trampoline_kernelINS0_14default_configENS1_37merge_sort_block_sort_config_selectorIlNS0_10empty_typeEEEZNS1_21merge_sort_block_sortIS3_PlS8_PS5_S9_ZN2at6native12_GLOBAL__N_124unique_dim_cuda_templateIsEESt5tupleIJNSA_6TensorESF_SF_EERKSF_lbbbEUlllE_EE10hipError_tT0_T1_T2_T3_mRjT4_P12ihipStream_tbNS1_7vsmem_tEEUlT_E_NS1_11comp_targetILNS1_3genE10ELNS1_11target_archE1201ELNS1_3gpuE5ELNS1_3repE0EEENS1_30default_config_static_selectorELNS0_4arch9wavefront6targetE1EEEvSM_
; %bb.0:
	.section	.rodata,"a",@progbits
	.p2align	6, 0x0
	.amdhsa_kernel _ZN7rocprim17ROCPRIM_400000_NS6detail17trampoline_kernelINS0_14default_configENS1_37merge_sort_block_sort_config_selectorIlNS0_10empty_typeEEEZNS1_21merge_sort_block_sortIS3_PlS8_PS5_S9_ZN2at6native12_GLOBAL__N_124unique_dim_cuda_templateIsEESt5tupleIJNSA_6TensorESF_SF_EERKSF_lbbbEUlllE_EE10hipError_tT0_T1_T2_T3_mRjT4_P12ihipStream_tbNS1_7vsmem_tEEUlT_E_NS1_11comp_targetILNS1_3genE10ELNS1_11target_archE1201ELNS1_3gpuE5ELNS1_3repE0EEENS1_30default_config_static_selectorELNS0_4arch9wavefront6targetE1EEEvSM_
		.amdhsa_group_segment_fixed_size 0
		.amdhsa_private_segment_fixed_size 0
		.amdhsa_kernarg_size 72
		.amdhsa_user_sgpr_count 2
		.amdhsa_user_sgpr_dispatch_ptr 0
		.amdhsa_user_sgpr_queue_ptr 0
		.amdhsa_user_sgpr_kernarg_segment_ptr 1
		.amdhsa_user_sgpr_dispatch_id 0
		.amdhsa_user_sgpr_kernarg_preload_length 0
		.amdhsa_user_sgpr_kernarg_preload_offset 0
		.amdhsa_user_sgpr_private_segment_size 0
		.amdhsa_uses_dynamic_stack 0
		.amdhsa_enable_private_segment 0
		.amdhsa_system_sgpr_workgroup_id_x 1
		.amdhsa_system_sgpr_workgroup_id_y 0
		.amdhsa_system_sgpr_workgroup_id_z 0
		.amdhsa_system_sgpr_workgroup_info 0
		.amdhsa_system_vgpr_workitem_id 0
		.amdhsa_next_free_vgpr 1
		.amdhsa_next_free_sgpr 0
		.amdhsa_accum_offset 4
		.amdhsa_reserve_vcc 0
		.amdhsa_float_round_mode_32 0
		.amdhsa_float_round_mode_16_64 0
		.amdhsa_float_denorm_mode_32 3
		.amdhsa_float_denorm_mode_16_64 3
		.amdhsa_dx10_clamp 1
		.amdhsa_ieee_mode 1
		.amdhsa_fp16_overflow 0
		.amdhsa_tg_split 0
		.amdhsa_exception_fp_ieee_invalid_op 0
		.amdhsa_exception_fp_denorm_src 0
		.amdhsa_exception_fp_ieee_div_zero 0
		.amdhsa_exception_fp_ieee_overflow 0
		.amdhsa_exception_fp_ieee_underflow 0
		.amdhsa_exception_fp_ieee_inexact 0
		.amdhsa_exception_int_div_zero 0
	.end_amdhsa_kernel
	.section	.text._ZN7rocprim17ROCPRIM_400000_NS6detail17trampoline_kernelINS0_14default_configENS1_37merge_sort_block_sort_config_selectorIlNS0_10empty_typeEEEZNS1_21merge_sort_block_sortIS3_PlS8_PS5_S9_ZN2at6native12_GLOBAL__N_124unique_dim_cuda_templateIsEESt5tupleIJNSA_6TensorESF_SF_EERKSF_lbbbEUlllE_EE10hipError_tT0_T1_T2_T3_mRjT4_P12ihipStream_tbNS1_7vsmem_tEEUlT_E_NS1_11comp_targetILNS1_3genE10ELNS1_11target_archE1201ELNS1_3gpuE5ELNS1_3repE0EEENS1_30default_config_static_selectorELNS0_4arch9wavefront6targetE1EEEvSM_,"axG",@progbits,_ZN7rocprim17ROCPRIM_400000_NS6detail17trampoline_kernelINS0_14default_configENS1_37merge_sort_block_sort_config_selectorIlNS0_10empty_typeEEEZNS1_21merge_sort_block_sortIS3_PlS8_PS5_S9_ZN2at6native12_GLOBAL__N_124unique_dim_cuda_templateIsEESt5tupleIJNSA_6TensorESF_SF_EERKSF_lbbbEUlllE_EE10hipError_tT0_T1_T2_T3_mRjT4_P12ihipStream_tbNS1_7vsmem_tEEUlT_E_NS1_11comp_targetILNS1_3genE10ELNS1_11target_archE1201ELNS1_3gpuE5ELNS1_3repE0EEENS1_30default_config_static_selectorELNS0_4arch9wavefront6targetE1EEEvSM_,comdat
.Lfunc_end632:
	.size	_ZN7rocprim17ROCPRIM_400000_NS6detail17trampoline_kernelINS0_14default_configENS1_37merge_sort_block_sort_config_selectorIlNS0_10empty_typeEEEZNS1_21merge_sort_block_sortIS3_PlS8_PS5_S9_ZN2at6native12_GLOBAL__N_124unique_dim_cuda_templateIsEESt5tupleIJNSA_6TensorESF_SF_EERKSF_lbbbEUlllE_EE10hipError_tT0_T1_T2_T3_mRjT4_P12ihipStream_tbNS1_7vsmem_tEEUlT_E_NS1_11comp_targetILNS1_3genE10ELNS1_11target_archE1201ELNS1_3gpuE5ELNS1_3repE0EEENS1_30default_config_static_selectorELNS0_4arch9wavefront6targetE1EEEvSM_, .Lfunc_end632-_ZN7rocprim17ROCPRIM_400000_NS6detail17trampoline_kernelINS0_14default_configENS1_37merge_sort_block_sort_config_selectorIlNS0_10empty_typeEEEZNS1_21merge_sort_block_sortIS3_PlS8_PS5_S9_ZN2at6native12_GLOBAL__N_124unique_dim_cuda_templateIsEESt5tupleIJNSA_6TensorESF_SF_EERKSF_lbbbEUlllE_EE10hipError_tT0_T1_T2_T3_mRjT4_P12ihipStream_tbNS1_7vsmem_tEEUlT_E_NS1_11comp_targetILNS1_3genE10ELNS1_11target_archE1201ELNS1_3gpuE5ELNS1_3repE0EEENS1_30default_config_static_selectorELNS0_4arch9wavefront6targetE1EEEvSM_
                                        ; -- End function
	.set _ZN7rocprim17ROCPRIM_400000_NS6detail17trampoline_kernelINS0_14default_configENS1_37merge_sort_block_sort_config_selectorIlNS0_10empty_typeEEEZNS1_21merge_sort_block_sortIS3_PlS8_PS5_S9_ZN2at6native12_GLOBAL__N_124unique_dim_cuda_templateIsEESt5tupleIJNSA_6TensorESF_SF_EERKSF_lbbbEUlllE_EE10hipError_tT0_T1_T2_T3_mRjT4_P12ihipStream_tbNS1_7vsmem_tEEUlT_E_NS1_11comp_targetILNS1_3genE10ELNS1_11target_archE1201ELNS1_3gpuE5ELNS1_3repE0EEENS1_30default_config_static_selectorELNS0_4arch9wavefront6targetE1EEEvSM_.num_vgpr, 0
	.set _ZN7rocprim17ROCPRIM_400000_NS6detail17trampoline_kernelINS0_14default_configENS1_37merge_sort_block_sort_config_selectorIlNS0_10empty_typeEEEZNS1_21merge_sort_block_sortIS3_PlS8_PS5_S9_ZN2at6native12_GLOBAL__N_124unique_dim_cuda_templateIsEESt5tupleIJNSA_6TensorESF_SF_EERKSF_lbbbEUlllE_EE10hipError_tT0_T1_T2_T3_mRjT4_P12ihipStream_tbNS1_7vsmem_tEEUlT_E_NS1_11comp_targetILNS1_3genE10ELNS1_11target_archE1201ELNS1_3gpuE5ELNS1_3repE0EEENS1_30default_config_static_selectorELNS0_4arch9wavefront6targetE1EEEvSM_.num_agpr, 0
	.set _ZN7rocprim17ROCPRIM_400000_NS6detail17trampoline_kernelINS0_14default_configENS1_37merge_sort_block_sort_config_selectorIlNS0_10empty_typeEEEZNS1_21merge_sort_block_sortIS3_PlS8_PS5_S9_ZN2at6native12_GLOBAL__N_124unique_dim_cuda_templateIsEESt5tupleIJNSA_6TensorESF_SF_EERKSF_lbbbEUlllE_EE10hipError_tT0_T1_T2_T3_mRjT4_P12ihipStream_tbNS1_7vsmem_tEEUlT_E_NS1_11comp_targetILNS1_3genE10ELNS1_11target_archE1201ELNS1_3gpuE5ELNS1_3repE0EEENS1_30default_config_static_selectorELNS0_4arch9wavefront6targetE1EEEvSM_.numbered_sgpr, 0
	.set _ZN7rocprim17ROCPRIM_400000_NS6detail17trampoline_kernelINS0_14default_configENS1_37merge_sort_block_sort_config_selectorIlNS0_10empty_typeEEEZNS1_21merge_sort_block_sortIS3_PlS8_PS5_S9_ZN2at6native12_GLOBAL__N_124unique_dim_cuda_templateIsEESt5tupleIJNSA_6TensorESF_SF_EERKSF_lbbbEUlllE_EE10hipError_tT0_T1_T2_T3_mRjT4_P12ihipStream_tbNS1_7vsmem_tEEUlT_E_NS1_11comp_targetILNS1_3genE10ELNS1_11target_archE1201ELNS1_3gpuE5ELNS1_3repE0EEENS1_30default_config_static_selectorELNS0_4arch9wavefront6targetE1EEEvSM_.num_named_barrier, 0
	.set _ZN7rocprim17ROCPRIM_400000_NS6detail17trampoline_kernelINS0_14default_configENS1_37merge_sort_block_sort_config_selectorIlNS0_10empty_typeEEEZNS1_21merge_sort_block_sortIS3_PlS8_PS5_S9_ZN2at6native12_GLOBAL__N_124unique_dim_cuda_templateIsEESt5tupleIJNSA_6TensorESF_SF_EERKSF_lbbbEUlllE_EE10hipError_tT0_T1_T2_T3_mRjT4_P12ihipStream_tbNS1_7vsmem_tEEUlT_E_NS1_11comp_targetILNS1_3genE10ELNS1_11target_archE1201ELNS1_3gpuE5ELNS1_3repE0EEENS1_30default_config_static_selectorELNS0_4arch9wavefront6targetE1EEEvSM_.private_seg_size, 0
	.set _ZN7rocprim17ROCPRIM_400000_NS6detail17trampoline_kernelINS0_14default_configENS1_37merge_sort_block_sort_config_selectorIlNS0_10empty_typeEEEZNS1_21merge_sort_block_sortIS3_PlS8_PS5_S9_ZN2at6native12_GLOBAL__N_124unique_dim_cuda_templateIsEESt5tupleIJNSA_6TensorESF_SF_EERKSF_lbbbEUlllE_EE10hipError_tT0_T1_T2_T3_mRjT4_P12ihipStream_tbNS1_7vsmem_tEEUlT_E_NS1_11comp_targetILNS1_3genE10ELNS1_11target_archE1201ELNS1_3gpuE5ELNS1_3repE0EEENS1_30default_config_static_selectorELNS0_4arch9wavefront6targetE1EEEvSM_.uses_vcc, 0
	.set _ZN7rocprim17ROCPRIM_400000_NS6detail17trampoline_kernelINS0_14default_configENS1_37merge_sort_block_sort_config_selectorIlNS0_10empty_typeEEEZNS1_21merge_sort_block_sortIS3_PlS8_PS5_S9_ZN2at6native12_GLOBAL__N_124unique_dim_cuda_templateIsEESt5tupleIJNSA_6TensorESF_SF_EERKSF_lbbbEUlllE_EE10hipError_tT0_T1_T2_T3_mRjT4_P12ihipStream_tbNS1_7vsmem_tEEUlT_E_NS1_11comp_targetILNS1_3genE10ELNS1_11target_archE1201ELNS1_3gpuE5ELNS1_3repE0EEENS1_30default_config_static_selectorELNS0_4arch9wavefront6targetE1EEEvSM_.uses_flat_scratch, 0
	.set _ZN7rocprim17ROCPRIM_400000_NS6detail17trampoline_kernelINS0_14default_configENS1_37merge_sort_block_sort_config_selectorIlNS0_10empty_typeEEEZNS1_21merge_sort_block_sortIS3_PlS8_PS5_S9_ZN2at6native12_GLOBAL__N_124unique_dim_cuda_templateIsEESt5tupleIJNSA_6TensorESF_SF_EERKSF_lbbbEUlllE_EE10hipError_tT0_T1_T2_T3_mRjT4_P12ihipStream_tbNS1_7vsmem_tEEUlT_E_NS1_11comp_targetILNS1_3genE10ELNS1_11target_archE1201ELNS1_3gpuE5ELNS1_3repE0EEENS1_30default_config_static_selectorELNS0_4arch9wavefront6targetE1EEEvSM_.has_dyn_sized_stack, 0
	.set _ZN7rocprim17ROCPRIM_400000_NS6detail17trampoline_kernelINS0_14default_configENS1_37merge_sort_block_sort_config_selectorIlNS0_10empty_typeEEEZNS1_21merge_sort_block_sortIS3_PlS8_PS5_S9_ZN2at6native12_GLOBAL__N_124unique_dim_cuda_templateIsEESt5tupleIJNSA_6TensorESF_SF_EERKSF_lbbbEUlllE_EE10hipError_tT0_T1_T2_T3_mRjT4_P12ihipStream_tbNS1_7vsmem_tEEUlT_E_NS1_11comp_targetILNS1_3genE10ELNS1_11target_archE1201ELNS1_3gpuE5ELNS1_3repE0EEENS1_30default_config_static_selectorELNS0_4arch9wavefront6targetE1EEEvSM_.has_recursion, 0
	.set _ZN7rocprim17ROCPRIM_400000_NS6detail17trampoline_kernelINS0_14default_configENS1_37merge_sort_block_sort_config_selectorIlNS0_10empty_typeEEEZNS1_21merge_sort_block_sortIS3_PlS8_PS5_S9_ZN2at6native12_GLOBAL__N_124unique_dim_cuda_templateIsEESt5tupleIJNSA_6TensorESF_SF_EERKSF_lbbbEUlllE_EE10hipError_tT0_T1_T2_T3_mRjT4_P12ihipStream_tbNS1_7vsmem_tEEUlT_E_NS1_11comp_targetILNS1_3genE10ELNS1_11target_archE1201ELNS1_3gpuE5ELNS1_3repE0EEENS1_30default_config_static_selectorELNS0_4arch9wavefront6targetE1EEEvSM_.has_indirect_call, 0
	.section	.AMDGPU.csdata,"",@progbits
; Kernel info:
; codeLenInByte = 0
; TotalNumSgprs: 6
; NumVgprs: 0
; NumAgprs: 0
; TotalNumVgprs: 0
; ScratchSize: 0
; MemoryBound: 0
; FloatMode: 240
; IeeeMode: 1
; LDSByteSize: 0 bytes/workgroup (compile time only)
; SGPRBlocks: 0
; VGPRBlocks: 0
; NumSGPRsForWavesPerEU: 6
; NumVGPRsForWavesPerEU: 1
; AccumOffset: 4
; Occupancy: 8
; WaveLimiterHint : 0
; COMPUTE_PGM_RSRC2:SCRATCH_EN: 0
; COMPUTE_PGM_RSRC2:USER_SGPR: 2
; COMPUTE_PGM_RSRC2:TRAP_HANDLER: 0
; COMPUTE_PGM_RSRC2:TGID_X_EN: 1
; COMPUTE_PGM_RSRC2:TGID_Y_EN: 0
; COMPUTE_PGM_RSRC2:TGID_Z_EN: 0
; COMPUTE_PGM_RSRC2:TIDIG_COMP_CNT: 0
; COMPUTE_PGM_RSRC3_GFX90A:ACCUM_OFFSET: 0
; COMPUTE_PGM_RSRC3_GFX90A:TG_SPLIT: 0
	.section	.text._ZN7rocprim17ROCPRIM_400000_NS6detail17trampoline_kernelINS0_14default_configENS1_37merge_sort_block_sort_config_selectorIlNS0_10empty_typeEEEZNS1_21merge_sort_block_sortIS3_PlS8_PS5_S9_ZN2at6native12_GLOBAL__N_124unique_dim_cuda_templateIsEESt5tupleIJNSA_6TensorESF_SF_EERKSF_lbbbEUlllE_EE10hipError_tT0_T1_T2_T3_mRjT4_P12ihipStream_tbNS1_7vsmem_tEEUlT_E_NS1_11comp_targetILNS1_3genE10ELNS1_11target_archE1200ELNS1_3gpuE4ELNS1_3repE0EEENS1_30default_config_static_selectorELNS0_4arch9wavefront6targetE1EEEvSM_,"axG",@progbits,_ZN7rocprim17ROCPRIM_400000_NS6detail17trampoline_kernelINS0_14default_configENS1_37merge_sort_block_sort_config_selectorIlNS0_10empty_typeEEEZNS1_21merge_sort_block_sortIS3_PlS8_PS5_S9_ZN2at6native12_GLOBAL__N_124unique_dim_cuda_templateIsEESt5tupleIJNSA_6TensorESF_SF_EERKSF_lbbbEUlllE_EE10hipError_tT0_T1_T2_T3_mRjT4_P12ihipStream_tbNS1_7vsmem_tEEUlT_E_NS1_11comp_targetILNS1_3genE10ELNS1_11target_archE1200ELNS1_3gpuE4ELNS1_3repE0EEENS1_30default_config_static_selectorELNS0_4arch9wavefront6targetE1EEEvSM_,comdat
	.globl	_ZN7rocprim17ROCPRIM_400000_NS6detail17trampoline_kernelINS0_14default_configENS1_37merge_sort_block_sort_config_selectorIlNS0_10empty_typeEEEZNS1_21merge_sort_block_sortIS3_PlS8_PS5_S9_ZN2at6native12_GLOBAL__N_124unique_dim_cuda_templateIsEESt5tupleIJNSA_6TensorESF_SF_EERKSF_lbbbEUlllE_EE10hipError_tT0_T1_T2_T3_mRjT4_P12ihipStream_tbNS1_7vsmem_tEEUlT_E_NS1_11comp_targetILNS1_3genE10ELNS1_11target_archE1200ELNS1_3gpuE4ELNS1_3repE0EEENS1_30default_config_static_selectorELNS0_4arch9wavefront6targetE1EEEvSM_ ; -- Begin function _ZN7rocprim17ROCPRIM_400000_NS6detail17trampoline_kernelINS0_14default_configENS1_37merge_sort_block_sort_config_selectorIlNS0_10empty_typeEEEZNS1_21merge_sort_block_sortIS3_PlS8_PS5_S9_ZN2at6native12_GLOBAL__N_124unique_dim_cuda_templateIsEESt5tupleIJNSA_6TensorESF_SF_EERKSF_lbbbEUlllE_EE10hipError_tT0_T1_T2_T3_mRjT4_P12ihipStream_tbNS1_7vsmem_tEEUlT_E_NS1_11comp_targetILNS1_3genE10ELNS1_11target_archE1200ELNS1_3gpuE4ELNS1_3repE0EEENS1_30default_config_static_selectorELNS0_4arch9wavefront6targetE1EEEvSM_
	.p2align	8
	.type	_ZN7rocprim17ROCPRIM_400000_NS6detail17trampoline_kernelINS0_14default_configENS1_37merge_sort_block_sort_config_selectorIlNS0_10empty_typeEEEZNS1_21merge_sort_block_sortIS3_PlS8_PS5_S9_ZN2at6native12_GLOBAL__N_124unique_dim_cuda_templateIsEESt5tupleIJNSA_6TensorESF_SF_EERKSF_lbbbEUlllE_EE10hipError_tT0_T1_T2_T3_mRjT4_P12ihipStream_tbNS1_7vsmem_tEEUlT_E_NS1_11comp_targetILNS1_3genE10ELNS1_11target_archE1200ELNS1_3gpuE4ELNS1_3repE0EEENS1_30default_config_static_selectorELNS0_4arch9wavefront6targetE1EEEvSM_,@function
_ZN7rocprim17ROCPRIM_400000_NS6detail17trampoline_kernelINS0_14default_configENS1_37merge_sort_block_sort_config_selectorIlNS0_10empty_typeEEEZNS1_21merge_sort_block_sortIS3_PlS8_PS5_S9_ZN2at6native12_GLOBAL__N_124unique_dim_cuda_templateIsEESt5tupleIJNSA_6TensorESF_SF_EERKSF_lbbbEUlllE_EE10hipError_tT0_T1_T2_T3_mRjT4_P12ihipStream_tbNS1_7vsmem_tEEUlT_E_NS1_11comp_targetILNS1_3genE10ELNS1_11target_archE1200ELNS1_3gpuE4ELNS1_3repE0EEENS1_30default_config_static_selectorELNS0_4arch9wavefront6targetE1EEEvSM_: ; @_ZN7rocprim17ROCPRIM_400000_NS6detail17trampoline_kernelINS0_14default_configENS1_37merge_sort_block_sort_config_selectorIlNS0_10empty_typeEEEZNS1_21merge_sort_block_sortIS3_PlS8_PS5_S9_ZN2at6native12_GLOBAL__N_124unique_dim_cuda_templateIsEESt5tupleIJNSA_6TensorESF_SF_EERKSF_lbbbEUlllE_EE10hipError_tT0_T1_T2_T3_mRjT4_P12ihipStream_tbNS1_7vsmem_tEEUlT_E_NS1_11comp_targetILNS1_3genE10ELNS1_11target_archE1200ELNS1_3gpuE4ELNS1_3repE0EEENS1_30default_config_static_selectorELNS0_4arch9wavefront6targetE1EEEvSM_
; %bb.0:
	.section	.rodata,"a",@progbits
	.p2align	6, 0x0
	.amdhsa_kernel _ZN7rocprim17ROCPRIM_400000_NS6detail17trampoline_kernelINS0_14default_configENS1_37merge_sort_block_sort_config_selectorIlNS0_10empty_typeEEEZNS1_21merge_sort_block_sortIS3_PlS8_PS5_S9_ZN2at6native12_GLOBAL__N_124unique_dim_cuda_templateIsEESt5tupleIJNSA_6TensorESF_SF_EERKSF_lbbbEUlllE_EE10hipError_tT0_T1_T2_T3_mRjT4_P12ihipStream_tbNS1_7vsmem_tEEUlT_E_NS1_11comp_targetILNS1_3genE10ELNS1_11target_archE1200ELNS1_3gpuE4ELNS1_3repE0EEENS1_30default_config_static_selectorELNS0_4arch9wavefront6targetE1EEEvSM_
		.amdhsa_group_segment_fixed_size 0
		.amdhsa_private_segment_fixed_size 0
		.amdhsa_kernarg_size 72
		.amdhsa_user_sgpr_count 2
		.amdhsa_user_sgpr_dispatch_ptr 0
		.amdhsa_user_sgpr_queue_ptr 0
		.amdhsa_user_sgpr_kernarg_segment_ptr 1
		.amdhsa_user_sgpr_dispatch_id 0
		.amdhsa_user_sgpr_kernarg_preload_length 0
		.amdhsa_user_sgpr_kernarg_preload_offset 0
		.amdhsa_user_sgpr_private_segment_size 0
		.amdhsa_uses_dynamic_stack 0
		.amdhsa_enable_private_segment 0
		.amdhsa_system_sgpr_workgroup_id_x 1
		.amdhsa_system_sgpr_workgroup_id_y 0
		.amdhsa_system_sgpr_workgroup_id_z 0
		.amdhsa_system_sgpr_workgroup_info 0
		.amdhsa_system_vgpr_workitem_id 0
		.amdhsa_next_free_vgpr 1
		.amdhsa_next_free_sgpr 0
		.amdhsa_accum_offset 4
		.amdhsa_reserve_vcc 0
		.amdhsa_float_round_mode_32 0
		.amdhsa_float_round_mode_16_64 0
		.amdhsa_float_denorm_mode_32 3
		.amdhsa_float_denorm_mode_16_64 3
		.amdhsa_dx10_clamp 1
		.amdhsa_ieee_mode 1
		.amdhsa_fp16_overflow 0
		.amdhsa_tg_split 0
		.amdhsa_exception_fp_ieee_invalid_op 0
		.amdhsa_exception_fp_denorm_src 0
		.amdhsa_exception_fp_ieee_div_zero 0
		.amdhsa_exception_fp_ieee_overflow 0
		.amdhsa_exception_fp_ieee_underflow 0
		.amdhsa_exception_fp_ieee_inexact 0
		.amdhsa_exception_int_div_zero 0
	.end_amdhsa_kernel
	.section	.text._ZN7rocprim17ROCPRIM_400000_NS6detail17trampoline_kernelINS0_14default_configENS1_37merge_sort_block_sort_config_selectorIlNS0_10empty_typeEEEZNS1_21merge_sort_block_sortIS3_PlS8_PS5_S9_ZN2at6native12_GLOBAL__N_124unique_dim_cuda_templateIsEESt5tupleIJNSA_6TensorESF_SF_EERKSF_lbbbEUlllE_EE10hipError_tT0_T1_T2_T3_mRjT4_P12ihipStream_tbNS1_7vsmem_tEEUlT_E_NS1_11comp_targetILNS1_3genE10ELNS1_11target_archE1200ELNS1_3gpuE4ELNS1_3repE0EEENS1_30default_config_static_selectorELNS0_4arch9wavefront6targetE1EEEvSM_,"axG",@progbits,_ZN7rocprim17ROCPRIM_400000_NS6detail17trampoline_kernelINS0_14default_configENS1_37merge_sort_block_sort_config_selectorIlNS0_10empty_typeEEEZNS1_21merge_sort_block_sortIS3_PlS8_PS5_S9_ZN2at6native12_GLOBAL__N_124unique_dim_cuda_templateIsEESt5tupleIJNSA_6TensorESF_SF_EERKSF_lbbbEUlllE_EE10hipError_tT0_T1_T2_T3_mRjT4_P12ihipStream_tbNS1_7vsmem_tEEUlT_E_NS1_11comp_targetILNS1_3genE10ELNS1_11target_archE1200ELNS1_3gpuE4ELNS1_3repE0EEENS1_30default_config_static_selectorELNS0_4arch9wavefront6targetE1EEEvSM_,comdat
.Lfunc_end633:
	.size	_ZN7rocprim17ROCPRIM_400000_NS6detail17trampoline_kernelINS0_14default_configENS1_37merge_sort_block_sort_config_selectorIlNS0_10empty_typeEEEZNS1_21merge_sort_block_sortIS3_PlS8_PS5_S9_ZN2at6native12_GLOBAL__N_124unique_dim_cuda_templateIsEESt5tupleIJNSA_6TensorESF_SF_EERKSF_lbbbEUlllE_EE10hipError_tT0_T1_T2_T3_mRjT4_P12ihipStream_tbNS1_7vsmem_tEEUlT_E_NS1_11comp_targetILNS1_3genE10ELNS1_11target_archE1200ELNS1_3gpuE4ELNS1_3repE0EEENS1_30default_config_static_selectorELNS0_4arch9wavefront6targetE1EEEvSM_, .Lfunc_end633-_ZN7rocprim17ROCPRIM_400000_NS6detail17trampoline_kernelINS0_14default_configENS1_37merge_sort_block_sort_config_selectorIlNS0_10empty_typeEEEZNS1_21merge_sort_block_sortIS3_PlS8_PS5_S9_ZN2at6native12_GLOBAL__N_124unique_dim_cuda_templateIsEESt5tupleIJNSA_6TensorESF_SF_EERKSF_lbbbEUlllE_EE10hipError_tT0_T1_T2_T3_mRjT4_P12ihipStream_tbNS1_7vsmem_tEEUlT_E_NS1_11comp_targetILNS1_3genE10ELNS1_11target_archE1200ELNS1_3gpuE4ELNS1_3repE0EEENS1_30default_config_static_selectorELNS0_4arch9wavefront6targetE1EEEvSM_
                                        ; -- End function
	.set _ZN7rocprim17ROCPRIM_400000_NS6detail17trampoline_kernelINS0_14default_configENS1_37merge_sort_block_sort_config_selectorIlNS0_10empty_typeEEEZNS1_21merge_sort_block_sortIS3_PlS8_PS5_S9_ZN2at6native12_GLOBAL__N_124unique_dim_cuda_templateIsEESt5tupleIJNSA_6TensorESF_SF_EERKSF_lbbbEUlllE_EE10hipError_tT0_T1_T2_T3_mRjT4_P12ihipStream_tbNS1_7vsmem_tEEUlT_E_NS1_11comp_targetILNS1_3genE10ELNS1_11target_archE1200ELNS1_3gpuE4ELNS1_3repE0EEENS1_30default_config_static_selectorELNS0_4arch9wavefront6targetE1EEEvSM_.num_vgpr, 0
	.set _ZN7rocprim17ROCPRIM_400000_NS6detail17trampoline_kernelINS0_14default_configENS1_37merge_sort_block_sort_config_selectorIlNS0_10empty_typeEEEZNS1_21merge_sort_block_sortIS3_PlS8_PS5_S9_ZN2at6native12_GLOBAL__N_124unique_dim_cuda_templateIsEESt5tupleIJNSA_6TensorESF_SF_EERKSF_lbbbEUlllE_EE10hipError_tT0_T1_T2_T3_mRjT4_P12ihipStream_tbNS1_7vsmem_tEEUlT_E_NS1_11comp_targetILNS1_3genE10ELNS1_11target_archE1200ELNS1_3gpuE4ELNS1_3repE0EEENS1_30default_config_static_selectorELNS0_4arch9wavefront6targetE1EEEvSM_.num_agpr, 0
	.set _ZN7rocprim17ROCPRIM_400000_NS6detail17trampoline_kernelINS0_14default_configENS1_37merge_sort_block_sort_config_selectorIlNS0_10empty_typeEEEZNS1_21merge_sort_block_sortIS3_PlS8_PS5_S9_ZN2at6native12_GLOBAL__N_124unique_dim_cuda_templateIsEESt5tupleIJNSA_6TensorESF_SF_EERKSF_lbbbEUlllE_EE10hipError_tT0_T1_T2_T3_mRjT4_P12ihipStream_tbNS1_7vsmem_tEEUlT_E_NS1_11comp_targetILNS1_3genE10ELNS1_11target_archE1200ELNS1_3gpuE4ELNS1_3repE0EEENS1_30default_config_static_selectorELNS0_4arch9wavefront6targetE1EEEvSM_.numbered_sgpr, 0
	.set _ZN7rocprim17ROCPRIM_400000_NS6detail17trampoline_kernelINS0_14default_configENS1_37merge_sort_block_sort_config_selectorIlNS0_10empty_typeEEEZNS1_21merge_sort_block_sortIS3_PlS8_PS5_S9_ZN2at6native12_GLOBAL__N_124unique_dim_cuda_templateIsEESt5tupleIJNSA_6TensorESF_SF_EERKSF_lbbbEUlllE_EE10hipError_tT0_T1_T2_T3_mRjT4_P12ihipStream_tbNS1_7vsmem_tEEUlT_E_NS1_11comp_targetILNS1_3genE10ELNS1_11target_archE1200ELNS1_3gpuE4ELNS1_3repE0EEENS1_30default_config_static_selectorELNS0_4arch9wavefront6targetE1EEEvSM_.num_named_barrier, 0
	.set _ZN7rocprim17ROCPRIM_400000_NS6detail17trampoline_kernelINS0_14default_configENS1_37merge_sort_block_sort_config_selectorIlNS0_10empty_typeEEEZNS1_21merge_sort_block_sortIS3_PlS8_PS5_S9_ZN2at6native12_GLOBAL__N_124unique_dim_cuda_templateIsEESt5tupleIJNSA_6TensorESF_SF_EERKSF_lbbbEUlllE_EE10hipError_tT0_T1_T2_T3_mRjT4_P12ihipStream_tbNS1_7vsmem_tEEUlT_E_NS1_11comp_targetILNS1_3genE10ELNS1_11target_archE1200ELNS1_3gpuE4ELNS1_3repE0EEENS1_30default_config_static_selectorELNS0_4arch9wavefront6targetE1EEEvSM_.private_seg_size, 0
	.set _ZN7rocprim17ROCPRIM_400000_NS6detail17trampoline_kernelINS0_14default_configENS1_37merge_sort_block_sort_config_selectorIlNS0_10empty_typeEEEZNS1_21merge_sort_block_sortIS3_PlS8_PS5_S9_ZN2at6native12_GLOBAL__N_124unique_dim_cuda_templateIsEESt5tupleIJNSA_6TensorESF_SF_EERKSF_lbbbEUlllE_EE10hipError_tT0_T1_T2_T3_mRjT4_P12ihipStream_tbNS1_7vsmem_tEEUlT_E_NS1_11comp_targetILNS1_3genE10ELNS1_11target_archE1200ELNS1_3gpuE4ELNS1_3repE0EEENS1_30default_config_static_selectorELNS0_4arch9wavefront6targetE1EEEvSM_.uses_vcc, 0
	.set _ZN7rocprim17ROCPRIM_400000_NS6detail17trampoline_kernelINS0_14default_configENS1_37merge_sort_block_sort_config_selectorIlNS0_10empty_typeEEEZNS1_21merge_sort_block_sortIS3_PlS8_PS5_S9_ZN2at6native12_GLOBAL__N_124unique_dim_cuda_templateIsEESt5tupleIJNSA_6TensorESF_SF_EERKSF_lbbbEUlllE_EE10hipError_tT0_T1_T2_T3_mRjT4_P12ihipStream_tbNS1_7vsmem_tEEUlT_E_NS1_11comp_targetILNS1_3genE10ELNS1_11target_archE1200ELNS1_3gpuE4ELNS1_3repE0EEENS1_30default_config_static_selectorELNS0_4arch9wavefront6targetE1EEEvSM_.uses_flat_scratch, 0
	.set _ZN7rocprim17ROCPRIM_400000_NS6detail17trampoline_kernelINS0_14default_configENS1_37merge_sort_block_sort_config_selectorIlNS0_10empty_typeEEEZNS1_21merge_sort_block_sortIS3_PlS8_PS5_S9_ZN2at6native12_GLOBAL__N_124unique_dim_cuda_templateIsEESt5tupleIJNSA_6TensorESF_SF_EERKSF_lbbbEUlllE_EE10hipError_tT0_T1_T2_T3_mRjT4_P12ihipStream_tbNS1_7vsmem_tEEUlT_E_NS1_11comp_targetILNS1_3genE10ELNS1_11target_archE1200ELNS1_3gpuE4ELNS1_3repE0EEENS1_30default_config_static_selectorELNS0_4arch9wavefront6targetE1EEEvSM_.has_dyn_sized_stack, 0
	.set _ZN7rocprim17ROCPRIM_400000_NS6detail17trampoline_kernelINS0_14default_configENS1_37merge_sort_block_sort_config_selectorIlNS0_10empty_typeEEEZNS1_21merge_sort_block_sortIS3_PlS8_PS5_S9_ZN2at6native12_GLOBAL__N_124unique_dim_cuda_templateIsEESt5tupleIJNSA_6TensorESF_SF_EERKSF_lbbbEUlllE_EE10hipError_tT0_T1_T2_T3_mRjT4_P12ihipStream_tbNS1_7vsmem_tEEUlT_E_NS1_11comp_targetILNS1_3genE10ELNS1_11target_archE1200ELNS1_3gpuE4ELNS1_3repE0EEENS1_30default_config_static_selectorELNS0_4arch9wavefront6targetE1EEEvSM_.has_recursion, 0
	.set _ZN7rocprim17ROCPRIM_400000_NS6detail17trampoline_kernelINS0_14default_configENS1_37merge_sort_block_sort_config_selectorIlNS0_10empty_typeEEEZNS1_21merge_sort_block_sortIS3_PlS8_PS5_S9_ZN2at6native12_GLOBAL__N_124unique_dim_cuda_templateIsEESt5tupleIJNSA_6TensorESF_SF_EERKSF_lbbbEUlllE_EE10hipError_tT0_T1_T2_T3_mRjT4_P12ihipStream_tbNS1_7vsmem_tEEUlT_E_NS1_11comp_targetILNS1_3genE10ELNS1_11target_archE1200ELNS1_3gpuE4ELNS1_3repE0EEENS1_30default_config_static_selectorELNS0_4arch9wavefront6targetE1EEEvSM_.has_indirect_call, 0
	.section	.AMDGPU.csdata,"",@progbits
; Kernel info:
; codeLenInByte = 0
; TotalNumSgprs: 6
; NumVgprs: 0
; NumAgprs: 0
; TotalNumVgprs: 0
; ScratchSize: 0
; MemoryBound: 0
; FloatMode: 240
; IeeeMode: 1
; LDSByteSize: 0 bytes/workgroup (compile time only)
; SGPRBlocks: 0
; VGPRBlocks: 0
; NumSGPRsForWavesPerEU: 6
; NumVGPRsForWavesPerEU: 1
; AccumOffset: 4
; Occupancy: 8
; WaveLimiterHint : 0
; COMPUTE_PGM_RSRC2:SCRATCH_EN: 0
; COMPUTE_PGM_RSRC2:USER_SGPR: 2
; COMPUTE_PGM_RSRC2:TRAP_HANDLER: 0
; COMPUTE_PGM_RSRC2:TGID_X_EN: 1
; COMPUTE_PGM_RSRC2:TGID_Y_EN: 0
; COMPUTE_PGM_RSRC2:TGID_Z_EN: 0
; COMPUTE_PGM_RSRC2:TIDIG_COMP_CNT: 0
; COMPUTE_PGM_RSRC3_GFX90A:ACCUM_OFFSET: 0
; COMPUTE_PGM_RSRC3_GFX90A:TG_SPLIT: 0
	.section	.text._ZN7rocprim17ROCPRIM_400000_NS6detail17trampoline_kernelINS0_14default_configENS1_37merge_sort_block_sort_config_selectorIlNS0_10empty_typeEEEZNS1_21merge_sort_block_sortIS3_PlS8_PS5_S9_ZN2at6native12_GLOBAL__N_124unique_dim_cuda_templateIsEESt5tupleIJNSA_6TensorESF_SF_EERKSF_lbbbEUlllE_EE10hipError_tT0_T1_T2_T3_mRjT4_P12ihipStream_tbNS1_7vsmem_tEEUlT_E_NS1_11comp_targetILNS1_3genE9ELNS1_11target_archE1100ELNS1_3gpuE3ELNS1_3repE0EEENS1_30default_config_static_selectorELNS0_4arch9wavefront6targetE1EEEvSM_,"axG",@progbits,_ZN7rocprim17ROCPRIM_400000_NS6detail17trampoline_kernelINS0_14default_configENS1_37merge_sort_block_sort_config_selectorIlNS0_10empty_typeEEEZNS1_21merge_sort_block_sortIS3_PlS8_PS5_S9_ZN2at6native12_GLOBAL__N_124unique_dim_cuda_templateIsEESt5tupleIJNSA_6TensorESF_SF_EERKSF_lbbbEUlllE_EE10hipError_tT0_T1_T2_T3_mRjT4_P12ihipStream_tbNS1_7vsmem_tEEUlT_E_NS1_11comp_targetILNS1_3genE9ELNS1_11target_archE1100ELNS1_3gpuE3ELNS1_3repE0EEENS1_30default_config_static_selectorELNS0_4arch9wavefront6targetE1EEEvSM_,comdat
	.globl	_ZN7rocprim17ROCPRIM_400000_NS6detail17trampoline_kernelINS0_14default_configENS1_37merge_sort_block_sort_config_selectorIlNS0_10empty_typeEEEZNS1_21merge_sort_block_sortIS3_PlS8_PS5_S9_ZN2at6native12_GLOBAL__N_124unique_dim_cuda_templateIsEESt5tupleIJNSA_6TensorESF_SF_EERKSF_lbbbEUlllE_EE10hipError_tT0_T1_T2_T3_mRjT4_P12ihipStream_tbNS1_7vsmem_tEEUlT_E_NS1_11comp_targetILNS1_3genE9ELNS1_11target_archE1100ELNS1_3gpuE3ELNS1_3repE0EEENS1_30default_config_static_selectorELNS0_4arch9wavefront6targetE1EEEvSM_ ; -- Begin function _ZN7rocprim17ROCPRIM_400000_NS6detail17trampoline_kernelINS0_14default_configENS1_37merge_sort_block_sort_config_selectorIlNS0_10empty_typeEEEZNS1_21merge_sort_block_sortIS3_PlS8_PS5_S9_ZN2at6native12_GLOBAL__N_124unique_dim_cuda_templateIsEESt5tupleIJNSA_6TensorESF_SF_EERKSF_lbbbEUlllE_EE10hipError_tT0_T1_T2_T3_mRjT4_P12ihipStream_tbNS1_7vsmem_tEEUlT_E_NS1_11comp_targetILNS1_3genE9ELNS1_11target_archE1100ELNS1_3gpuE3ELNS1_3repE0EEENS1_30default_config_static_selectorELNS0_4arch9wavefront6targetE1EEEvSM_
	.p2align	8
	.type	_ZN7rocprim17ROCPRIM_400000_NS6detail17trampoline_kernelINS0_14default_configENS1_37merge_sort_block_sort_config_selectorIlNS0_10empty_typeEEEZNS1_21merge_sort_block_sortIS3_PlS8_PS5_S9_ZN2at6native12_GLOBAL__N_124unique_dim_cuda_templateIsEESt5tupleIJNSA_6TensorESF_SF_EERKSF_lbbbEUlllE_EE10hipError_tT0_T1_T2_T3_mRjT4_P12ihipStream_tbNS1_7vsmem_tEEUlT_E_NS1_11comp_targetILNS1_3genE9ELNS1_11target_archE1100ELNS1_3gpuE3ELNS1_3repE0EEENS1_30default_config_static_selectorELNS0_4arch9wavefront6targetE1EEEvSM_,@function
_ZN7rocprim17ROCPRIM_400000_NS6detail17trampoline_kernelINS0_14default_configENS1_37merge_sort_block_sort_config_selectorIlNS0_10empty_typeEEEZNS1_21merge_sort_block_sortIS3_PlS8_PS5_S9_ZN2at6native12_GLOBAL__N_124unique_dim_cuda_templateIsEESt5tupleIJNSA_6TensorESF_SF_EERKSF_lbbbEUlllE_EE10hipError_tT0_T1_T2_T3_mRjT4_P12ihipStream_tbNS1_7vsmem_tEEUlT_E_NS1_11comp_targetILNS1_3genE9ELNS1_11target_archE1100ELNS1_3gpuE3ELNS1_3repE0EEENS1_30default_config_static_selectorELNS0_4arch9wavefront6targetE1EEEvSM_: ; @_ZN7rocprim17ROCPRIM_400000_NS6detail17trampoline_kernelINS0_14default_configENS1_37merge_sort_block_sort_config_selectorIlNS0_10empty_typeEEEZNS1_21merge_sort_block_sortIS3_PlS8_PS5_S9_ZN2at6native12_GLOBAL__N_124unique_dim_cuda_templateIsEESt5tupleIJNSA_6TensorESF_SF_EERKSF_lbbbEUlllE_EE10hipError_tT0_T1_T2_T3_mRjT4_P12ihipStream_tbNS1_7vsmem_tEEUlT_E_NS1_11comp_targetILNS1_3genE9ELNS1_11target_archE1100ELNS1_3gpuE3ELNS1_3repE0EEENS1_30default_config_static_selectorELNS0_4arch9wavefront6targetE1EEEvSM_
; %bb.0:
	.section	.rodata,"a",@progbits
	.p2align	6, 0x0
	.amdhsa_kernel _ZN7rocprim17ROCPRIM_400000_NS6detail17trampoline_kernelINS0_14default_configENS1_37merge_sort_block_sort_config_selectorIlNS0_10empty_typeEEEZNS1_21merge_sort_block_sortIS3_PlS8_PS5_S9_ZN2at6native12_GLOBAL__N_124unique_dim_cuda_templateIsEESt5tupleIJNSA_6TensorESF_SF_EERKSF_lbbbEUlllE_EE10hipError_tT0_T1_T2_T3_mRjT4_P12ihipStream_tbNS1_7vsmem_tEEUlT_E_NS1_11comp_targetILNS1_3genE9ELNS1_11target_archE1100ELNS1_3gpuE3ELNS1_3repE0EEENS1_30default_config_static_selectorELNS0_4arch9wavefront6targetE1EEEvSM_
		.amdhsa_group_segment_fixed_size 0
		.amdhsa_private_segment_fixed_size 0
		.amdhsa_kernarg_size 72
		.amdhsa_user_sgpr_count 2
		.amdhsa_user_sgpr_dispatch_ptr 0
		.amdhsa_user_sgpr_queue_ptr 0
		.amdhsa_user_sgpr_kernarg_segment_ptr 1
		.amdhsa_user_sgpr_dispatch_id 0
		.amdhsa_user_sgpr_kernarg_preload_length 0
		.amdhsa_user_sgpr_kernarg_preload_offset 0
		.amdhsa_user_sgpr_private_segment_size 0
		.amdhsa_uses_dynamic_stack 0
		.amdhsa_enable_private_segment 0
		.amdhsa_system_sgpr_workgroup_id_x 1
		.amdhsa_system_sgpr_workgroup_id_y 0
		.amdhsa_system_sgpr_workgroup_id_z 0
		.amdhsa_system_sgpr_workgroup_info 0
		.amdhsa_system_vgpr_workitem_id 0
		.amdhsa_next_free_vgpr 1
		.amdhsa_next_free_sgpr 0
		.amdhsa_accum_offset 4
		.amdhsa_reserve_vcc 0
		.amdhsa_float_round_mode_32 0
		.amdhsa_float_round_mode_16_64 0
		.amdhsa_float_denorm_mode_32 3
		.amdhsa_float_denorm_mode_16_64 3
		.amdhsa_dx10_clamp 1
		.amdhsa_ieee_mode 1
		.amdhsa_fp16_overflow 0
		.amdhsa_tg_split 0
		.amdhsa_exception_fp_ieee_invalid_op 0
		.amdhsa_exception_fp_denorm_src 0
		.amdhsa_exception_fp_ieee_div_zero 0
		.amdhsa_exception_fp_ieee_overflow 0
		.amdhsa_exception_fp_ieee_underflow 0
		.amdhsa_exception_fp_ieee_inexact 0
		.amdhsa_exception_int_div_zero 0
	.end_amdhsa_kernel
	.section	.text._ZN7rocprim17ROCPRIM_400000_NS6detail17trampoline_kernelINS0_14default_configENS1_37merge_sort_block_sort_config_selectorIlNS0_10empty_typeEEEZNS1_21merge_sort_block_sortIS3_PlS8_PS5_S9_ZN2at6native12_GLOBAL__N_124unique_dim_cuda_templateIsEESt5tupleIJNSA_6TensorESF_SF_EERKSF_lbbbEUlllE_EE10hipError_tT0_T1_T2_T3_mRjT4_P12ihipStream_tbNS1_7vsmem_tEEUlT_E_NS1_11comp_targetILNS1_3genE9ELNS1_11target_archE1100ELNS1_3gpuE3ELNS1_3repE0EEENS1_30default_config_static_selectorELNS0_4arch9wavefront6targetE1EEEvSM_,"axG",@progbits,_ZN7rocprim17ROCPRIM_400000_NS6detail17trampoline_kernelINS0_14default_configENS1_37merge_sort_block_sort_config_selectorIlNS0_10empty_typeEEEZNS1_21merge_sort_block_sortIS3_PlS8_PS5_S9_ZN2at6native12_GLOBAL__N_124unique_dim_cuda_templateIsEESt5tupleIJNSA_6TensorESF_SF_EERKSF_lbbbEUlllE_EE10hipError_tT0_T1_T2_T3_mRjT4_P12ihipStream_tbNS1_7vsmem_tEEUlT_E_NS1_11comp_targetILNS1_3genE9ELNS1_11target_archE1100ELNS1_3gpuE3ELNS1_3repE0EEENS1_30default_config_static_selectorELNS0_4arch9wavefront6targetE1EEEvSM_,comdat
.Lfunc_end634:
	.size	_ZN7rocprim17ROCPRIM_400000_NS6detail17trampoline_kernelINS0_14default_configENS1_37merge_sort_block_sort_config_selectorIlNS0_10empty_typeEEEZNS1_21merge_sort_block_sortIS3_PlS8_PS5_S9_ZN2at6native12_GLOBAL__N_124unique_dim_cuda_templateIsEESt5tupleIJNSA_6TensorESF_SF_EERKSF_lbbbEUlllE_EE10hipError_tT0_T1_T2_T3_mRjT4_P12ihipStream_tbNS1_7vsmem_tEEUlT_E_NS1_11comp_targetILNS1_3genE9ELNS1_11target_archE1100ELNS1_3gpuE3ELNS1_3repE0EEENS1_30default_config_static_selectorELNS0_4arch9wavefront6targetE1EEEvSM_, .Lfunc_end634-_ZN7rocprim17ROCPRIM_400000_NS6detail17trampoline_kernelINS0_14default_configENS1_37merge_sort_block_sort_config_selectorIlNS0_10empty_typeEEEZNS1_21merge_sort_block_sortIS3_PlS8_PS5_S9_ZN2at6native12_GLOBAL__N_124unique_dim_cuda_templateIsEESt5tupleIJNSA_6TensorESF_SF_EERKSF_lbbbEUlllE_EE10hipError_tT0_T1_T2_T3_mRjT4_P12ihipStream_tbNS1_7vsmem_tEEUlT_E_NS1_11comp_targetILNS1_3genE9ELNS1_11target_archE1100ELNS1_3gpuE3ELNS1_3repE0EEENS1_30default_config_static_selectorELNS0_4arch9wavefront6targetE1EEEvSM_
                                        ; -- End function
	.set _ZN7rocprim17ROCPRIM_400000_NS6detail17trampoline_kernelINS0_14default_configENS1_37merge_sort_block_sort_config_selectorIlNS0_10empty_typeEEEZNS1_21merge_sort_block_sortIS3_PlS8_PS5_S9_ZN2at6native12_GLOBAL__N_124unique_dim_cuda_templateIsEESt5tupleIJNSA_6TensorESF_SF_EERKSF_lbbbEUlllE_EE10hipError_tT0_T1_T2_T3_mRjT4_P12ihipStream_tbNS1_7vsmem_tEEUlT_E_NS1_11comp_targetILNS1_3genE9ELNS1_11target_archE1100ELNS1_3gpuE3ELNS1_3repE0EEENS1_30default_config_static_selectorELNS0_4arch9wavefront6targetE1EEEvSM_.num_vgpr, 0
	.set _ZN7rocprim17ROCPRIM_400000_NS6detail17trampoline_kernelINS0_14default_configENS1_37merge_sort_block_sort_config_selectorIlNS0_10empty_typeEEEZNS1_21merge_sort_block_sortIS3_PlS8_PS5_S9_ZN2at6native12_GLOBAL__N_124unique_dim_cuda_templateIsEESt5tupleIJNSA_6TensorESF_SF_EERKSF_lbbbEUlllE_EE10hipError_tT0_T1_T2_T3_mRjT4_P12ihipStream_tbNS1_7vsmem_tEEUlT_E_NS1_11comp_targetILNS1_3genE9ELNS1_11target_archE1100ELNS1_3gpuE3ELNS1_3repE0EEENS1_30default_config_static_selectorELNS0_4arch9wavefront6targetE1EEEvSM_.num_agpr, 0
	.set _ZN7rocprim17ROCPRIM_400000_NS6detail17trampoline_kernelINS0_14default_configENS1_37merge_sort_block_sort_config_selectorIlNS0_10empty_typeEEEZNS1_21merge_sort_block_sortIS3_PlS8_PS5_S9_ZN2at6native12_GLOBAL__N_124unique_dim_cuda_templateIsEESt5tupleIJNSA_6TensorESF_SF_EERKSF_lbbbEUlllE_EE10hipError_tT0_T1_T2_T3_mRjT4_P12ihipStream_tbNS1_7vsmem_tEEUlT_E_NS1_11comp_targetILNS1_3genE9ELNS1_11target_archE1100ELNS1_3gpuE3ELNS1_3repE0EEENS1_30default_config_static_selectorELNS0_4arch9wavefront6targetE1EEEvSM_.numbered_sgpr, 0
	.set _ZN7rocprim17ROCPRIM_400000_NS6detail17trampoline_kernelINS0_14default_configENS1_37merge_sort_block_sort_config_selectorIlNS0_10empty_typeEEEZNS1_21merge_sort_block_sortIS3_PlS8_PS5_S9_ZN2at6native12_GLOBAL__N_124unique_dim_cuda_templateIsEESt5tupleIJNSA_6TensorESF_SF_EERKSF_lbbbEUlllE_EE10hipError_tT0_T1_T2_T3_mRjT4_P12ihipStream_tbNS1_7vsmem_tEEUlT_E_NS1_11comp_targetILNS1_3genE9ELNS1_11target_archE1100ELNS1_3gpuE3ELNS1_3repE0EEENS1_30default_config_static_selectorELNS0_4arch9wavefront6targetE1EEEvSM_.num_named_barrier, 0
	.set _ZN7rocprim17ROCPRIM_400000_NS6detail17trampoline_kernelINS0_14default_configENS1_37merge_sort_block_sort_config_selectorIlNS0_10empty_typeEEEZNS1_21merge_sort_block_sortIS3_PlS8_PS5_S9_ZN2at6native12_GLOBAL__N_124unique_dim_cuda_templateIsEESt5tupleIJNSA_6TensorESF_SF_EERKSF_lbbbEUlllE_EE10hipError_tT0_T1_T2_T3_mRjT4_P12ihipStream_tbNS1_7vsmem_tEEUlT_E_NS1_11comp_targetILNS1_3genE9ELNS1_11target_archE1100ELNS1_3gpuE3ELNS1_3repE0EEENS1_30default_config_static_selectorELNS0_4arch9wavefront6targetE1EEEvSM_.private_seg_size, 0
	.set _ZN7rocprim17ROCPRIM_400000_NS6detail17trampoline_kernelINS0_14default_configENS1_37merge_sort_block_sort_config_selectorIlNS0_10empty_typeEEEZNS1_21merge_sort_block_sortIS3_PlS8_PS5_S9_ZN2at6native12_GLOBAL__N_124unique_dim_cuda_templateIsEESt5tupleIJNSA_6TensorESF_SF_EERKSF_lbbbEUlllE_EE10hipError_tT0_T1_T2_T3_mRjT4_P12ihipStream_tbNS1_7vsmem_tEEUlT_E_NS1_11comp_targetILNS1_3genE9ELNS1_11target_archE1100ELNS1_3gpuE3ELNS1_3repE0EEENS1_30default_config_static_selectorELNS0_4arch9wavefront6targetE1EEEvSM_.uses_vcc, 0
	.set _ZN7rocprim17ROCPRIM_400000_NS6detail17trampoline_kernelINS0_14default_configENS1_37merge_sort_block_sort_config_selectorIlNS0_10empty_typeEEEZNS1_21merge_sort_block_sortIS3_PlS8_PS5_S9_ZN2at6native12_GLOBAL__N_124unique_dim_cuda_templateIsEESt5tupleIJNSA_6TensorESF_SF_EERKSF_lbbbEUlllE_EE10hipError_tT0_T1_T2_T3_mRjT4_P12ihipStream_tbNS1_7vsmem_tEEUlT_E_NS1_11comp_targetILNS1_3genE9ELNS1_11target_archE1100ELNS1_3gpuE3ELNS1_3repE0EEENS1_30default_config_static_selectorELNS0_4arch9wavefront6targetE1EEEvSM_.uses_flat_scratch, 0
	.set _ZN7rocprim17ROCPRIM_400000_NS6detail17trampoline_kernelINS0_14default_configENS1_37merge_sort_block_sort_config_selectorIlNS0_10empty_typeEEEZNS1_21merge_sort_block_sortIS3_PlS8_PS5_S9_ZN2at6native12_GLOBAL__N_124unique_dim_cuda_templateIsEESt5tupleIJNSA_6TensorESF_SF_EERKSF_lbbbEUlllE_EE10hipError_tT0_T1_T2_T3_mRjT4_P12ihipStream_tbNS1_7vsmem_tEEUlT_E_NS1_11comp_targetILNS1_3genE9ELNS1_11target_archE1100ELNS1_3gpuE3ELNS1_3repE0EEENS1_30default_config_static_selectorELNS0_4arch9wavefront6targetE1EEEvSM_.has_dyn_sized_stack, 0
	.set _ZN7rocprim17ROCPRIM_400000_NS6detail17trampoline_kernelINS0_14default_configENS1_37merge_sort_block_sort_config_selectorIlNS0_10empty_typeEEEZNS1_21merge_sort_block_sortIS3_PlS8_PS5_S9_ZN2at6native12_GLOBAL__N_124unique_dim_cuda_templateIsEESt5tupleIJNSA_6TensorESF_SF_EERKSF_lbbbEUlllE_EE10hipError_tT0_T1_T2_T3_mRjT4_P12ihipStream_tbNS1_7vsmem_tEEUlT_E_NS1_11comp_targetILNS1_3genE9ELNS1_11target_archE1100ELNS1_3gpuE3ELNS1_3repE0EEENS1_30default_config_static_selectorELNS0_4arch9wavefront6targetE1EEEvSM_.has_recursion, 0
	.set _ZN7rocprim17ROCPRIM_400000_NS6detail17trampoline_kernelINS0_14default_configENS1_37merge_sort_block_sort_config_selectorIlNS0_10empty_typeEEEZNS1_21merge_sort_block_sortIS3_PlS8_PS5_S9_ZN2at6native12_GLOBAL__N_124unique_dim_cuda_templateIsEESt5tupleIJNSA_6TensorESF_SF_EERKSF_lbbbEUlllE_EE10hipError_tT0_T1_T2_T3_mRjT4_P12ihipStream_tbNS1_7vsmem_tEEUlT_E_NS1_11comp_targetILNS1_3genE9ELNS1_11target_archE1100ELNS1_3gpuE3ELNS1_3repE0EEENS1_30default_config_static_selectorELNS0_4arch9wavefront6targetE1EEEvSM_.has_indirect_call, 0
	.section	.AMDGPU.csdata,"",@progbits
; Kernel info:
; codeLenInByte = 0
; TotalNumSgprs: 6
; NumVgprs: 0
; NumAgprs: 0
; TotalNumVgprs: 0
; ScratchSize: 0
; MemoryBound: 0
; FloatMode: 240
; IeeeMode: 1
; LDSByteSize: 0 bytes/workgroup (compile time only)
; SGPRBlocks: 0
; VGPRBlocks: 0
; NumSGPRsForWavesPerEU: 6
; NumVGPRsForWavesPerEU: 1
; AccumOffset: 4
; Occupancy: 8
; WaveLimiterHint : 0
; COMPUTE_PGM_RSRC2:SCRATCH_EN: 0
; COMPUTE_PGM_RSRC2:USER_SGPR: 2
; COMPUTE_PGM_RSRC2:TRAP_HANDLER: 0
; COMPUTE_PGM_RSRC2:TGID_X_EN: 1
; COMPUTE_PGM_RSRC2:TGID_Y_EN: 0
; COMPUTE_PGM_RSRC2:TGID_Z_EN: 0
; COMPUTE_PGM_RSRC2:TIDIG_COMP_CNT: 0
; COMPUTE_PGM_RSRC3_GFX90A:ACCUM_OFFSET: 0
; COMPUTE_PGM_RSRC3_GFX90A:TG_SPLIT: 0
	.section	.text._ZN7rocprim17ROCPRIM_400000_NS6detail17trampoline_kernelINS0_14default_configENS1_37merge_sort_block_sort_config_selectorIlNS0_10empty_typeEEEZNS1_21merge_sort_block_sortIS3_PlS8_PS5_S9_ZN2at6native12_GLOBAL__N_124unique_dim_cuda_templateIsEESt5tupleIJNSA_6TensorESF_SF_EERKSF_lbbbEUlllE_EE10hipError_tT0_T1_T2_T3_mRjT4_P12ihipStream_tbNS1_7vsmem_tEEUlT_E_NS1_11comp_targetILNS1_3genE8ELNS1_11target_archE1030ELNS1_3gpuE2ELNS1_3repE0EEENS1_30default_config_static_selectorELNS0_4arch9wavefront6targetE1EEEvSM_,"axG",@progbits,_ZN7rocprim17ROCPRIM_400000_NS6detail17trampoline_kernelINS0_14default_configENS1_37merge_sort_block_sort_config_selectorIlNS0_10empty_typeEEEZNS1_21merge_sort_block_sortIS3_PlS8_PS5_S9_ZN2at6native12_GLOBAL__N_124unique_dim_cuda_templateIsEESt5tupleIJNSA_6TensorESF_SF_EERKSF_lbbbEUlllE_EE10hipError_tT0_T1_T2_T3_mRjT4_P12ihipStream_tbNS1_7vsmem_tEEUlT_E_NS1_11comp_targetILNS1_3genE8ELNS1_11target_archE1030ELNS1_3gpuE2ELNS1_3repE0EEENS1_30default_config_static_selectorELNS0_4arch9wavefront6targetE1EEEvSM_,comdat
	.globl	_ZN7rocprim17ROCPRIM_400000_NS6detail17trampoline_kernelINS0_14default_configENS1_37merge_sort_block_sort_config_selectorIlNS0_10empty_typeEEEZNS1_21merge_sort_block_sortIS3_PlS8_PS5_S9_ZN2at6native12_GLOBAL__N_124unique_dim_cuda_templateIsEESt5tupleIJNSA_6TensorESF_SF_EERKSF_lbbbEUlllE_EE10hipError_tT0_T1_T2_T3_mRjT4_P12ihipStream_tbNS1_7vsmem_tEEUlT_E_NS1_11comp_targetILNS1_3genE8ELNS1_11target_archE1030ELNS1_3gpuE2ELNS1_3repE0EEENS1_30default_config_static_selectorELNS0_4arch9wavefront6targetE1EEEvSM_ ; -- Begin function _ZN7rocprim17ROCPRIM_400000_NS6detail17trampoline_kernelINS0_14default_configENS1_37merge_sort_block_sort_config_selectorIlNS0_10empty_typeEEEZNS1_21merge_sort_block_sortIS3_PlS8_PS5_S9_ZN2at6native12_GLOBAL__N_124unique_dim_cuda_templateIsEESt5tupleIJNSA_6TensorESF_SF_EERKSF_lbbbEUlllE_EE10hipError_tT0_T1_T2_T3_mRjT4_P12ihipStream_tbNS1_7vsmem_tEEUlT_E_NS1_11comp_targetILNS1_3genE8ELNS1_11target_archE1030ELNS1_3gpuE2ELNS1_3repE0EEENS1_30default_config_static_selectorELNS0_4arch9wavefront6targetE1EEEvSM_
	.p2align	8
	.type	_ZN7rocprim17ROCPRIM_400000_NS6detail17trampoline_kernelINS0_14default_configENS1_37merge_sort_block_sort_config_selectorIlNS0_10empty_typeEEEZNS1_21merge_sort_block_sortIS3_PlS8_PS5_S9_ZN2at6native12_GLOBAL__N_124unique_dim_cuda_templateIsEESt5tupleIJNSA_6TensorESF_SF_EERKSF_lbbbEUlllE_EE10hipError_tT0_T1_T2_T3_mRjT4_P12ihipStream_tbNS1_7vsmem_tEEUlT_E_NS1_11comp_targetILNS1_3genE8ELNS1_11target_archE1030ELNS1_3gpuE2ELNS1_3repE0EEENS1_30default_config_static_selectorELNS0_4arch9wavefront6targetE1EEEvSM_,@function
_ZN7rocprim17ROCPRIM_400000_NS6detail17trampoline_kernelINS0_14default_configENS1_37merge_sort_block_sort_config_selectorIlNS0_10empty_typeEEEZNS1_21merge_sort_block_sortIS3_PlS8_PS5_S9_ZN2at6native12_GLOBAL__N_124unique_dim_cuda_templateIsEESt5tupleIJNSA_6TensorESF_SF_EERKSF_lbbbEUlllE_EE10hipError_tT0_T1_T2_T3_mRjT4_P12ihipStream_tbNS1_7vsmem_tEEUlT_E_NS1_11comp_targetILNS1_3genE8ELNS1_11target_archE1030ELNS1_3gpuE2ELNS1_3repE0EEENS1_30default_config_static_selectorELNS0_4arch9wavefront6targetE1EEEvSM_: ; @_ZN7rocprim17ROCPRIM_400000_NS6detail17trampoline_kernelINS0_14default_configENS1_37merge_sort_block_sort_config_selectorIlNS0_10empty_typeEEEZNS1_21merge_sort_block_sortIS3_PlS8_PS5_S9_ZN2at6native12_GLOBAL__N_124unique_dim_cuda_templateIsEESt5tupleIJNSA_6TensorESF_SF_EERKSF_lbbbEUlllE_EE10hipError_tT0_T1_T2_T3_mRjT4_P12ihipStream_tbNS1_7vsmem_tEEUlT_E_NS1_11comp_targetILNS1_3genE8ELNS1_11target_archE1030ELNS1_3gpuE2ELNS1_3repE0EEENS1_30default_config_static_selectorELNS0_4arch9wavefront6targetE1EEEvSM_
; %bb.0:
	.section	.rodata,"a",@progbits
	.p2align	6, 0x0
	.amdhsa_kernel _ZN7rocprim17ROCPRIM_400000_NS6detail17trampoline_kernelINS0_14default_configENS1_37merge_sort_block_sort_config_selectorIlNS0_10empty_typeEEEZNS1_21merge_sort_block_sortIS3_PlS8_PS5_S9_ZN2at6native12_GLOBAL__N_124unique_dim_cuda_templateIsEESt5tupleIJNSA_6TensorESF_SF_EERKSF_lbbbEUlllE_EE10hipError_tT0_T1_T2_T3_mRjT4_P12ihipStream_tbNS1_7vsmem_tEEUlT_E_NS1_11comp_targetILNS1_3genE8ELNS1_11target_archE1030ELNS1_3gpuE2ELNS1_3repE0EEENS1_30default_config_static_selectorELNS0_4arch9wavefront6targetE1EEEvSM_
		.amdhsa_group_segment_fixed_size 0
		.amdhsa_private_segment_fixed_size 0
		.amdhsa_kernarg_size 72
		.amdhsa_user_sgpr_count 2
		.amdhsa_user_sgpr_dispatch_ptr 0
		.amdhsa_user_sgpr_queue_ptr 0
		.amdhsa_user_sgpr_kernarg_segment_ptr 1
		.amdhsa_user_sgpr_dispatch_id 0
		.amdhsa_user_sgpr_kernarg_preload_length 0
		.amdhsa_user_sgpr_kernarg_preload_offset 0
		.amdhsa_user_sgpr_private_segment_size 0
		.amdhsa_uses_dynamic_stack 0
		.amdhsa_enable_private_segment 0
		.amdhsa_system_sgpr_workgroup_id_x 1
		.amdhsa_system_sgpr_workgroup_id_y 0
		.amdhsa_system_sgpr_workgroup_id_z 0
		.amdhsa_system_sgpr_workgroup_info 0
		.amdhsa_system_vgpr_workitem_id 0
		.amdhsa_next_free_vgpr 1
		.amdhsa_next_free_sgpr 0
		.amdhsa_accum_offset 4
		.amdhsa_reserve_vcc 0
		.amdhsa_float_round_mode_32 0
		.amdhsa_float_round_mode_16_64 0
		.amdhsa_float_denorm_mode_32 3
		.amdhsa_float_denorm_mode_16_64 3
		.amdhsa_dx10_clamp 1
		.amdhsa_ieee_mode 1
		.amdhsa_fp16_overflow 0
		.amdhsa_tg_split 0
		.amdhsa_exception_fp_ieee_invalid_op 0
		.amdhsa_exception_fp_denorm_src 0
		.amdhsa_exception_fp_ieee_div_zero 0
		.amdhsa_exception_fp_ieee_overflow 0
		.amdhsa_exception_fp_ieee_underflow 0
		.amdhsa_exception_fp_ieee_inexact 0
		.amdhsa_exception_int_div_zero 0
	.end_amdhsa_kernel
	.section	.text._ZN7rocprim17ROCPRIM_400000_NS6detail17trampoline_kernelINS0_14default_configENS1_37merge_sort_block_sort_config_selectorIlNS0_10empty_typeEEEZNS1_21merge_sort_block_sortIS3_PlS8_PS5_S9_ZN2at6native12_GLOBAL__N_124unique_dim_cuda_templateIsEESt5tupleIJNSA_6TensorESF_SF_EERKSF_lbbbEUlllE_EE10hipError_tT0_T1_T2_T3_mRjT4_P12ihipStream_tbNS1_7vsmem_tEEUlT_E_NS1_11comp_targetILNS1_3genE8ELNS1_11target_archE1030ELNS1_3gpuE2ELNS1_3repE0EEENS1_30default_config_static_selectorELNS0_4arch9wavefront6targetE1EEEvSM_,"axG",@progbits,_ZN7rocprim17ROCPRIM_400000_NS6detail17trampoline_kernelINS0_14default_configENS1_37merge_sort_block_sort_config_selectorIlNS0_10empty_typeEEEZNS1_21merge_sort_block_sortIS3_PlS8_PS5_S9_ZN2at6native12_GLOBAL__N_124unique_dim_cuda_templateIsEESt5tupleIJNSA_6TensorESF_SF_EERKSF_lbbbEUlllE_EE10hipError_tT0_T1_T2_T3_mRjT4_P12ihipStream_tbNS1_7vsmem_tEEUlT_E_NS1_11comp_targetILNS1_3genE8ELNS1_11target_archE1030ELNS1_3gpuE2ELNS1_3repE0EEENS1_30default_config_static_selectorELNS0_4arch9wavefront6targetE1EEEvSM_,comdat
.Lfunc_end635:
	.size	_ZN7rocprim17ROCPRIM_400000_NS6detail17trampoline_kernelINS0_14default_configENS1_37merge_sort_block_sort_config_selectorIlNS0_10empty_typeEEEZNS1_21merge_sort_block_sortIS3_PlS8_PS5_S9_ZN2at6native12_GLOBAL__N_124unique_dim_cuda_templateIsEESt5tupleIJNSA_6TensorESF_SF_EERKSF_lbbbEUlllE_EE10hipError_tT0_T1_T2_T3_mRjT4_P12ihipStream_tbNS1_7vsmem_tEEUlT_E_NS1_11comp_targetILNS1_3genE8ELNS1_11target_archE1030ELNS1_3gpuE2ELNS1_3repE0EEENS1_30default_config_static_selectorELNS0_4arch9wavefront6targetE1EEEvSM_, .Lfunc_end635-_ZN7rocprim17ROCPRIM_400000_NS6detail17trampoline_kernelINS0_14default_configENS1_37merge_sort_block_sort_config_selectorIlNS0_10empty_typeEEEZNS1_21merge_sort_block_sortIS3_PlS8_PS5_S9_ZN2at6native12_GLOBAL__N_124unique_dim_cuda_templateIsEESt5tupleIJNSA_6TensorESF_SF_EERKSF_lbbbEUlllE_EE10hipError_tT0_T1_T2_T3_mRjT4_P12ihipStream_tbNS1_7vsmem_tEEUlT_E_NS1_11comp_targetILNS1_3genE8ELNS1_11target_archE1030ELNS1_3gpuE2ELNS1_3repE0EEENS1_30default_config_static_selectorELNS0_4arch9wavefront6targetE1EEEvSM_
                                        ; -- End function
	.set _ZN7rocprim17ROCPRIM_400000_NS6detail17trampoline_kernelINS0_14default_configENS1_37merge_sort_block_sort_config_selectorIlNS0_10empty_typeEEEZNS1_21merge_sort_block_sortIS3_PlS8_PS5_S9_ZN2at6native12_GLOBAL__N_124unique_dim_cuda_templateIsEESt5tupleIJNSA_6TensorESF_SF_EERKSF_lbbbEUlllE_EE10hipError_tT0_T1_T2_T3_mRjT4_P12ihipStream_tbNS1_7vsmem_tEEUlT_E_NS1_11comp_targetILNS1_3genE8ELNS1_11target_archE1030ELNS1_3gpuE2ELNS1_3repE0EEENS1_30default_config_static_selectorELNS0_4arch9wavefront6targetE1EEEvSM_.num_vgpr, 0
	.set _ZN7rocprim17ROCPRIM_400000_NS6detail17trampoline_kernelINS0_14default_configENS1_37merge_sort_block_sort_config_selectorIlNS0_10empty_typeEEEZNS1_21merge_sort_block_sortIS3_PlS8_PS5_S9_ZN2at6native12_GLOBAL__N_124unique_dim_cuda_templateIsEESt5tupleIJNSA_6TensorESF_SF_EERKSF_lbbbEUlllE_EE10hipError_tT0_T1_T2_T3_mRjT4_P12ihipStream_tbNS1_7vsmem_tEEUlT_E_NS1_11comp_targetILNS1_3genE8ELNS1_11target_archE1030ELNS1_3gpuE2ELNS1_3repE0EEENS1_30default_config_static_selectorELNS0_4arch9wavefront6targetE1EEEvSM_.num_agpr, 0
	.set _ZN7rocprim17ROCPRIM_400000_NS6detail17trampoline_kernelINS0_14default_configENS1_37merge_sort_block_sort_config_selectorIlNS0_10empty_typeEEEZNS1_21merge_sort_block_sortIS3_PlS8_PS5_S9_ZN2at6native12_GLOBAL__N_124unique_dim_cuda_templateIsEESt5tupleIJNSA_6TensorESF_SF_EERKSF_lbbbEUlllE_EE10hipError_tT0_T1_T2_T3_mRjT4_P12ihipStream_tbNS1_7vsmem_tEEUlT_E_NS1_11comp_targetILNS1_3genE8ELNS1_11target_archE1030ELNS1_3gpuE2ELNS1_3repE0EEENS1_30default_config_static_selectorELNS0_4arch9wavefront6targetE1EEEvSM_.numbered_sgpr, 0
	.set _ZN7rocprim17ROCPRIM_400000_NS6detail17trampoline_kernelINS0_14default_configENS1_37merge_sort_block_sort_config_selectorIlNS0_10empty_typeEEEZNS1_21merge_sort_block_sortIS3_PlS8_PS5_S9_ZN2at6native12_GLOBAL__N_124unique_dim_cuda_templateIsEESt5tupleIJNSA_6TensorESF_SF_EERKSF_lbbbEUlllE_EE10hipError_tT0_T1_T2_T3_mRjT4_P12ihipStream_tbNS1_7vsmem_tEEUlT_E_NS1_11comp_targetILNS1_3genE8ELNS1_11target_archE1030ELNS1_3gpuE2ELNS1_3repE0EEENS1_30default_config_static_selectorELNS0_4arch9wavefront6targetE1EEEvSM_.num_named_barrier, 0
	.set _ZN7rocprim17ROCPRIM_400000_NS6detail17trampoline_kernelINS0_14default_configENS1_37merge_sort_block_sort_config_selectorIlNS0_10empty_typeEEEZNS1_21merge_sort_block_sortIS3_PlS8_PS5_S9_ZN2at6native12_GLOBAL__N_124unique_dim_cuda_templateIsEESt5tupleIJNSA_6TensorESF_SF_EERKSF_lbbbEUlllE_EE10hipError_tT0_T1_T2_T3_mRjT4_P12ihipStream_tbNS1_7vsmem_tEEUlT_E_NS1_11comp_targetILNS1_3genE8ELNS1_11target_archE1030ELNS1_3gpuE2ELNS1_3repE0EEENS1_30default_config_static_selectorELNS0_4arch9wavefront6targetE1EEEvSM_.private_seg_size, 0
	.set _ZN7rocprim17ROCPRIM_400000_NS6detail17trampoline_kernelINS0_14default_configENS1_37merge_sort_block_sort_config_selectorIlNS0_10empty_typeEEEZNS1_21merge_sort_block_sortIS3_PlS8_PS5_S9_ZN2at6native12_GLOBAL__N_124unique_dim_cuda_templateIsEESt5tupleIJNSA_6TensorESF_SF_EERKSF_lbbbEUlllE_EE10hipError_tT0_T1_T2_T3_mRjT4_P12ihipStream_tbNS1_7vsmem_tEEUlT_E_NS1_11comp_targetILNS1_3genE8ELNS1_11target_archE1030ELNS1_3gpuE2ELNS1_3repE0EEENS1_30default_config_static_selectorELNS0_4arch9wavefront6targetE1EEEvSM_.uses_vcc, 0
	.set _ZN7rocprim17ROCPRIM_400000_NS6detail17trampoline_kernelINS0_14default_configENS1_37merge_sort_block_sort_config_selectorIlNS0_10empty_typeEEEZNS1_21merge_sort_block_sortIS3_PlS8_PS5_S9_ZN2at6native12_GLOBAL__N_124unique_dim_cuda_templateIsEESt5tupleIJNSA_6TensorESF_SF_EERKSF_lbbbEUlllE_EE10hipError_tT0_T1_T2_T3_mRjT4_P12ihipStream_tbNS1_7vsmem_tEEUlT_E_NS1_11comp_targetILNS1_3genE8ELNS1_11target_archE1030ELNS1_3gpuE2ELNS1_3repE0EEENS1_30default_config_static_selectorELNS0_4arch9wavefront6targetE1EEEvSM_.uses_flat_scratch, 0
	.set _ZN7rocprim17ROCPRIM_400000_NS6detail17trampoline_kernelINS0_14default_configENS1_37merge_sort_block_sort_config_selectorIlNS0_10empty_typeEEEZNS1_21merge_sort_block_sortIS3_PlS8_PS5_S9_ZN2at6native12_GLOBAL__N_124unique_dim_cuda_templateIsEESt5tupleIJNSA_6TensorESF_SF_EERKSF_lbbbEUlllE_EE10hipError_tT0_T1_T2_T3_mRjT4_P12ihipStream_tbNS1_7vsmem_tEEUlT_E_NS1_11comp_targetILNS1_3genE8ELNS1_11target_archE1030ELNS1_3gpuE2ELNS1_3repE0EEENS1_30default_config_static_selectorELNS0_4arch9wavefront6targetE1EEEvSM_.has_dyn_sized_stack, 0
	.set _ZN7rocprim17ROCPRIM_400000_NS6detail17trampoline_kernelINS0_14default_configENS1_37merge_sort_block_sort_config_selectorIlNS0_10empty_typeEEEZNS1_21merge_sort_block_sortIS3_PlS8_PS5_S9_ZN2at6native12_GLOBAL__N_124unique_dim_cuda_templateIsEESt5tupleIJNSA_6TensorESF_SF_EERKSF_lbbbEUlllE_EE10hipError_tT0_T1_T2_T3_mRjT4_P12ihipStream_tbNS1_7vsmem_tEEUlT_E_NS1_11comp_targetILNS1_3genE8ELNS1_11target_archE1030ELNS1_3gpuE2ELNS1_3repE0EEENS1_30default_config_static_selectorELNS0_4arch9wavefront6targetE1EEEvSM_.has_recursion, 0
	.set _ZN7rocprim17ROCPRIM_400000_NS6detail17trampoline_kernelINS0_14default_configENS1_37merge_sort_block_sort_config_selectorIlNS0_10empty_typeEEEZNS1_21merge_sort_block_sortIS3_PlS8_PS5_S9_ZN2at6native12_GLOBAL__N_124unique_dim_cuda_templateIsEESt5tupleIJNSA_6TensorESF_SF_EERKSF_lbbbEUlllE_EE10hipError_tT0_T1_T2_T3_mRjT4_P12ihipStream_tbNS1_7vsmem_tEEUlT_E_NS1_11comp_targetILNS1_3genE8ELNS1_11target_archE1030ELNS1_3gpuE2ELNS1_3repE0EEENS1_30default_config_static_selectorELNS0_4arch9wavefront6targetE1EEEvSM_.has_indirect_call, 0
	.section	.AMDGPU.csdata,"",@progbits
; Kernel info:
; codeLenInByte = 0
; TotalNumSgprs: 6
; NumVgprs: 0
; NumAgprs: 0
; TotalNumVgprs: 0
; ScratchSize: 0
; MemoryBound: 0
; FloatMode: 240
; IeeeMode: 1
; LDSByteSize: 0 bytes/workgroup (compile time only)
; SGPRBlocks: 0
; VGPRBlocks: 0
; NumSGPRsForWavesPerEU: 6
; NumVGPRsForWavesPerEU: 1
; AccumOffset: 4
; Occupancy: 8
; WaveLimiterHint : 0
; COMPUTE_PGM_RSRC2:SCRATCH_EN: 0
; COMPUTE_PGM_RSRC2:USER_SGPR: 2
; COMPUTE_PGM_RSRC2:TRAP_HANDLER: 0
; COMPUTE_PGM_RSRC2:TGID_X_EN: 1
; COMPUTE_PGM_RSRC2:TGID_Y_EN: 0
; COMPUTE_PGM_RSRC2:TGID_Z_EN: 0
; COMPUTE_PGM_RSRC2:TIDIG_COMP_CNT: 0
; COMPUTE_PGM_RSRC3_GFX90A:ACCUM_OFFSET: 0
; COMPUTE_PGM_RSRC3_GFX90A:TG_SPLIT: 0
	.section	.text._ZN7rocprim17ROCPRIM_400000_NS6detail17trampoline_kernelINS0_14default_configENS1_38merge_sort_block_merge_config_selectorIlNS0_10empty_typeEEEZZNS1_27merge_sort_block_merge_implIS3_PlPS5_mZN2at6native12_GLOBAL__N_124unique_dim_cuda_templateIsEESt5tupleIJNSA_6TensorESF_SF_EERKSF_lbbbEUlllE_EE10hipError_tT0_T1_T2_jT3_P12ihipStream_tbPNSt15iterator_traitsISL_E10value_typeEPNSR_ISM_E10value_typeEPSN_NS1_7vsmem_tEENKUlT_SL_SM_SN_E_clIS8_S8_S9_S9_EESK_S10_SL_SM_SN_EUlS10_E_NS1_11comp_targetILNS1_3genE0ELNS1_11target_archE4294967295ELNS1_3gpuE0ELNS1_3repE0EEENS1_48merge_mergepath_partition_config_static_selectorELNS0_4arch9wavefront6targetE1EEEvSM_,"axG",@progbits,_ZN7rocprim17ROCPRIM_400000_NS6detail17trampoline_kernelINS0_14default_configENS1_38merge_sort_block_merge_config_selectorIlNS0_10empty_typeEEEZZNS1_27merge_sort_block_merge_implIS3_PlPS5_mZN2at6native12_GLOBAL__N_124unique_dim_cuda_templateIsEESt5tupleIJNSA_6TensorESF_SF_EERKSF_lbbbEUlllE_EE10hipError_tT0_T1_T2_jT3_P12ihipStream_tbPNSt15iterator_traitsISL_E10value_typeEPNSR_ISM_E10value_typeEPSN_NS1_7vsmem_tEENKUlT_SL_SM_SN_E_clIS8_S8_S9_S9_EESK_S10_SL_SM_SN_EUlS10_E_NS1_11comp_targetILNS1_3genE0ELNS1_11target_archE4294967295ELNS1_3gpuE0ELNS1_3repE0EEENS1_48merge_mergepath_partition_config_static_selectorELNS0_4arch9wavefront6targetE1EEEvSM_,comdat
	.globl	_ZN7rocprim17ROCPRIM_400000_NS6detail17trampoline_kernelINS0_14default_configENS1_38merge_sort_block_merge_config_selectorIlNS0_10empty_typeEEEZZNS1_27merge_sort_block_merge_implIS3_PlPS5_mZN2at6native12_GLOBAL__N_124unique_dim_cuda_templateIsEESt5tupleIJNSA_6TensorESF_SF_EERKSF_lbbbEUlllE_EE10hipError_tT0_T1_T2_jT3_P12ihipStream_tbPNSt15iterator_traitsISL_E10value_typeEPNSR_ISM_E10value_typeEPSN_NS1_7vsmem_tEENKUlT_SL_SM_SN_E_clIS8_S8_S9_S9_EESK_S10_SL_SM_SN_EUlS10_E_NS1_11comp_targetILNS1_3genE0ELNS1_11target_archE4294967295ELNS1_3gpuE0ELNS1_3repE0EEENS1_48merge_mergepath_partition_config_static_selectorELNS0_4arch9wavefront6targetE1EEEvSM_ ; -- Begin function _ZN7rocprim17ROCPRIM_400000_NS6detail17trampoline_kernelINS0_14default_configENS1_38merge_sort_block_merge_config_selectorIlNS0_10empty_typeEEEZZNS1_27merge_sort_block_merge_implIS3_PlPS5_mZN2at6native12_GLOBAL__N_124unique_dim_cuda_templateIsEESt5tupleIJNSA_6TensorESF_SF_EERKSF_lbbbEUlllE_EE10hipError_tT0_T1_T2_jT3_P12ihipStream_tbPNSt15iterator_traitsISL_E10value_typeEPNSR_ISM_E10value_typeEPSN_NS1_7vsmem_tEENKUlT_SL_SM_SN_E_clIS8_S8_S9_S9_EESK_S10_SL_SM_SN_EUlS10_E_NS1_11comp_targetILNS1_3genE0ELNS1_11target_archE4294967295ELNS1_3gpuE0ELNS1_3repE0EEENS1_48merge_mergepath_partition_config_static_selectorELNS0_4arch9wavefront6targetE1EEEvSM_
	.p2align	8
	.type	_ZN7rocprim17ROCPRIM_400000_NS6detail17trampoline_kernelINS0_14default_configENS1_38merge_sort_block_merge_config_selectorIlNS0_10empty_typeEEEZZNS1_27merge_sort_block_merge_implIS3_PlPS5_mZN2at6native12_GLOBAL__N_124unique_dim_cuda_templateIsEESt5tupleIJNSA_6TensorESF_SF_EERKSF_lbbbEUlllE_EE10hipError_tT0_T1_T2_jT3_P12ihipStream_tbPNSt15iterator_traitsISL_E10value_typeEPNSR_ISM_E10value_typeEPSN_NS1_7vsmem_tEENKUlT_SL_SM_SN_E_clIS8_S8_S9_S9_EESK_S10_SL_SM_SN_EUlS10_E_NS1_11comp_targetILNS1_3genE0ELNS1_11target_archE4294967295ELNS1_3gpuE0ELNS1_3repE0EEENS1_48merge_mergepath_partition_config_static_selectorELNS0_4arch9wavefront6targetE1EEEvSM_,@function
_ZN7rocprim17ROCPRIM_400000_NS6detail17trampoline_kernelINS0_14default_configENS1_38merge_sort_block_merge_config_selectorIlNS0_10empty_typeEEEZZNS1_27merge_sort_block_merge_implIS3_PlPS5_mZN2at6native12_GLOBAL__N_124unique_dim_cuda_templateIsEESt5tupleIJNSA_6TensorESF_SF_EERKSF_lbbbEUlllE_EE10hipError_tT0_T1_T2_jT3_P12ihipStream_tbPNSt15iterator_traitsISL_E10value_typeEPNSR_ISM_E10value_typeEPSN_NS1_7vsmem_tEENKUlT_SL_SM_SN_E_clIS8_S8_S9_S9_EESK_S10_SL_SM_SN_EUlS10_E_NS1_11comp_targetILNS1_3genE0ELNS1_11target_archE4294967295ELNS1_3gpuE0ELNS1_3repE0EEENS1_48merge_mergepath_partition_config_static_selectorELNS0_4arch9wavefront6targetE1EEEvSM_: ; @_ZN7rocprim17ROCPRIM_400000_NS6detail17trampoline_kernelINS0_14default_configENS1_38merge_sort_block_merge_config_selectorIlNS0_10empty_typeEEEZZNS1_27merge_sort_block_merge_implIS3_PlPS5_mZN2at6native12_GLOBAL__N_124unique_dim_cuda_templateIsEESt5tupleIJNSA_6TensorESF_SF_EERKSF_lbbbEUlllE_EE10hipError_tT0_T1_T2_jT3_P12ihipStream_tbPNSt15iterator_traitsISL_E10value_typeEPNSR_ISM_E10value_typeEPSN_NS1_7vsmem_tEENKUlT_SL_SM_SN_E_clIS8_S8_S9_S9_EESK_S10_SL_SM_SN_EUlS10_E_NS1_11comp_targetILNS1_3genE0ELNS1_11target_archE4294967295ELNS1_3gpuE0ELNS1_3repE0EEENS1_48merge_mergepath_partition_config_static_selectorELNS0_4arch9wavefront6targetE1EEEvSM_
; %bb.0:
	s_load_dword s3, s[0:1], 0x0
	v_lshl_or_b32 v0, s2, 7, v0
	s_waitcnt lgkmcnt(0)
	v_cmp_gt_u32_e32 vcc, s3, v0
	s_and_saveexec_b64 s[2:3], vcc
	s_cbranch_execz .LBB636_12
; %bb.1:
	s_load_dwordx4 s[12:15], s[0:1], 0x8
	s_load_dwordx8 s[4:11], s[0:1], 0x18
	v_mov_b32_e32 v5, 0
	v_mov_b32_e32 v7, v5
	s_waitcnt lgkmcnt(0)
	s_lshr_b64 s[0:1], s[12:13], 9
	s_and_b32 s0, s0, -2
	s_add_i32 s1, s0, -1
	s_sub_i32 s0, 0, s0
	v_and_b32_e32 v4, s0, v0
	v_lshlrev_b64 v[8:9], 10, v[4:5]
	v_mov_b32_e32 v1, s15
	v_cmp_lt_u64_e32 vcc, s[14:15], v[8:9]
	v_mov_b32_e32 v4, s14
	v_and_b32_e32 v6, s1, v0
	v_cndmask_b32_e32 v3, v9, v1, vcc
	v_cndmask_b32_e32 v2, v8, v4, vcc
	v_lshl_add_u64 v[8:9], v[8:9], 0, s[12:13]
	v_cmp_lt_u64_e32 vcc, s[14:15], v[8:9]
	s_nop 1
	v_cndmask_b32_e32 v11, v9, v1, vcc
	v_cndmask_b32_e32 v10, v8, v4, vcc
	v_lshl_add_u64 v[8:9], v[10:11], 0, s[12:13]
	v_cmp_lt_u64_e32 vcc, s[14:15], v[8:9]
	s_nop 1
	v_cndmask_b32_e32 v14, v8, v4, vcc
	v_cndmask_b32_e32 v1, v9, v1, vcc
	v_sub_co_u32_e32 v8, vcc, v14, v2
	v_lshlrev_b64 v[4:5], 10, v[6:7]
	s_nop 0
	v_subb_co_u32_e32 v9, vcc, v1, v3, vcc
	v_cmp_lt_u64_e32 vcc, v[8:9], v[4:5]
	s_nop 1
	v_cndmask_b32_e32 v13, v5, v9, vcc
	v_cndmask_b32_e32 v12, v4, v8, vcc
	v_sub_co_u32_e32 v6, vcc, v10, v2
	s_nop 1
	v_subb_co_u32_e32 v7, vcc, v11, v3, vcc
	v_sub_co_u32_e32 v4, vcc, v10, v14
	s_nop 1
	v_subb_co_u32_e32 v5, vcc, v11, v1, vcc
	v_lshl_add_u64 v[4:5], v[12:13], 0, v[4:5]
	v_cmp_gt_u64_e32 vcc, v[4:5], v[12:13]
	s_nop 1
	v_cndmask_b32_e64 v5, v5, 0, vcc
	v_cndmask_b32_e64 v4, v4, 0, vcc
	v_cmp_lt_u64_e32 vcc, v[12:13], v[6:7]
	s_nop 1
	v_cndmask_b32_e32 v7, v7, v13, vcc
	v_cndmask_b32_e32 v6, v6, v12, vcc
	v_cmp_lt_u64_e32 vcc, v[4:5], v[6:7]
	s_and_saveexec_b64 s[12:13], vcc
	s_cbranch_execz .LBB636_11
; %bb.2:
	v_cmp_gt_i64_e64 s[0:1], s[6:7], 0
	v_lshl_add_u64 v[10:11], v[10:11], 3, s[4:5]
	v_lshl_add_u64 v[8:9], v[2:3], 3, s[4:5]
	v_cndmask_b32_e64 v1, 0, 1, s[0:1]
	v_lshl_add_u64 v[10:11], v[12:13], 3, v[10:11]
	s_mov_b64 s[14:15], 0
	s_lshl_b64 s[16:17], s[6:7], 1
	v_cmp_ne_u32_e64 s[0:1], 1, v1
	s_branch .LBB636_5
.LBB636_3:                              ;   in Loop: Header=BB636_5 Depth=1
	s_or_b64 exec, exec, s[20:21]
.LBB636_4:                              ;   in Loop: Header=BB636_5 Depth=1
	v_lshl_add_u64 v[14:15], v[12:13], 0, 1
	v_cndmask_b32_e64 v7, v7, v13, s[18:19]
	v_cndmask_b32_e64 v6, v6, v12, s[18:19]
	;; [unrolled: 1-line block ×4, first 2 shown]
	v_cmp_ge_u64_e32 vcc, v[4:5], v[6:7]
	s_or_b64 s[14:15], vcc, s[14:15]
	s_andn2_b64 exec, exec, s[14:15]
	s_cbranch_execz .LBB636_10
.LBB636_5:                              ; =>This Loop Header: Depth=1
                                        ;     Child Loop BB636_8 Depth 2
	v_lshl_add_u64 v[12:13], v[6:7], 0, v[4:5]
	v_lshrrev_b64 v[12:13], 1, v[12:13]
	s_and_b64 vcc, exec, s[0:1]
	s_mov_b64 s[18:19], 0
	s_cbranch_vccnz .LBB636_4
; %bb.6:                                ;   in Loop: Header=BB636_5 Depth=1
	v_not_b32_e32 v15, v13
	v_not_b32_e32 v14, v12
	v_lshl_add_u64 v[14:15], v[14:15], 3, v[10:11]
	v_lshl_add_u64 v[16:17], v[12:13], 3, v[8:9]
	global_load_dwordx2 v[14:15], v[14:15], off
	v_mov_b64_e32 v[18:19], s[8:9]
	global_load_dwordx2 v[16:17], v[16:17], off
	s_mov_b64 s[20:21], 0
	s_mov_b64 s[24:25], s[6:7]
                                        ; implicit-def: $sgpr18_sgpr19
                                        ; implicit-def: $sgpr22_sgpr23
                                        ; implicit-def: $sgpr2_sgpr3
                                        ; implicit-def: $sgpr26_sgpr27
	s_waitcnt vmcnt(1)
	v_mul_lo_u32 v1, s16, v15
	v_mul_lo_u32 v20, s17, v14
	v_mad_u64_u32 v[14:15], s[4:5], s16, v14, v[18:19]
	s_waitcnt vmcnt(0)
	v_mul_lo_u32 v21, s16, v17
	v_mul_lo_u32 v22, s17, v16
	v_mad_u64_u32 v[16:17], s[4:5], s16, v16, v[18:19]
	v_add3_u32 v15, v20, v15, v1
	v_add3_u32 v17, v22, v17, v21
	s_branch .LBB636_8
.LBB636_7:                              ;   in Loop: Header=BB636_8 Depth=2
	s_or_b64 exec, exec, s[30:31]
	s_and_b64 s[4:5], exec, s[22:23]
	s_or_b64 s[20:21], s[4:5], s[20:21]
	s_andn2_b64 s[4:5], s[26:27], exec
	s_and_b64 s[26:27], s[28:29], exec
	s_or_b64 s[26:27], s[4:5], s[26:27]
	s_andn2_b64 s[4:5], s[18:19], exec
	s_and_b64 s[18:19], s[2:3], exec
	s_or_b64 s[18:19], s[4:5], s[18:19]
	s_andn2_b64 exec, exec, s[20:21]
	s_cbranch_execz .LBB636_3
.LBB636_8:                              ;   Parent Loop BB636_5 Depth=1
                                        ; =>  This Inner Loop Header: Depth=2
	global_load_ushort v1, v[14:15], off
	global_load_ushort v18, v[16:17], off
	s_andn2_b64 s[30:31], s[2:3], exec
	s_or_b64 s[22:23], s[22:23], exec
	s_waitcnt vmcnt(0)
	v_cmp_le_i16_e64 s[2:3], v1, v18
	v_cmp_lt_i16_e32 vcc, v1, v18
	s_and_b64 s[2:3], s[2:3], s[26:27]
	s_or_b64 s[28:29], vcc, s[2:3]
	s_and_b64 s[2:3], s[28:29], exec
	v_cmp_eq_u16_e64 s[4:5], v1, v18
	s_or_b64 s[2:3], s[30:31], s[2:3]
	s_and_saveexec_b64 s[30:31], s[4:5]
	s_cbranch_execz .LBB636_7
; %bb.9:                                ;   in Loop: Header=BB636_8 Depth=2
	s_add_u32 s24, s24, -1
	s_addc_u32 s25, s25, -1
	s_cmp_eq_u64 s[24:25], 0
	s_cselect_b64 s[4:5], -1, 0
	s_andn2_b64 s[22:23], s[22:23], exec
	s_and_b64 s[4:5], s[4:5], exec
	v_lshl_add_u64 v[14:15], v[14:15], 0, 2
	v_lshl_add_u64 v[16:17], v[16:17], 0, 2
	s_andn2_b64 s[2:3], s[2:3], exec
	s_or_b64 s[22:23], s[22:23], s[4:5]
                                        ; implicit-def: $sgpr26_sgpr27
	s_branch .LBB636_7
.LBB636_10:
	s_or_b64 exec, exec, s[14:15]
.LBB636_11:
	s_or_b64 exec, exec, s[12:13]
	v_mov_b32_e32 v6, s10
	v_mov_b32_e32 v7, s11
	;; [unrolled: 1-line block ×3, first 2 shown]
	v_lshl_add_u64 v[2:3], v[4:5], 0, v[2:3]
	v_lshl_add_u64 v[0:1], v[0:1], 3, v[6:7]
	global_store_dwordx2 v[0:1], v[2:3], off
.LBB636_12:
	s_endpgm
	.section	.rodata,"a",@progbits
	.p2align	6, 0x0
	.amdhsa_kernel _ZN7rocprim17ROCPRIM_400000_NS6detail17trampoline_kernelINS0_14default_configENS1_38merge_sort_block_merge_config_selectorIlNS0_10empty_typeEEEZZNS1_27merge_sort_block_merge_implIS3_PlPS5_mZN2at6native12_GLOBAL__N_124unique_dim_cuda_templateIsEESt5tupleIJNSA_6TensorESF_SF_EERKSF_lbbbEUlllE_EE10hipError_tT0_T1_T2_jT3_P12ihipStream_tbPNSt15iterator_traitsISL_E10value_typeEPNSR_ISM_E10value_typeEPSN_NS1_7vsmem_tEENKUlT_SL_SM_SN_E_clIS8_S8_S9_S9_EESK_S10_SL_SM_SN_EUlS10_E_NS1_11comp_targetILNS1_3genE0ELNS1_11target_archE4294967295ELNS1_3gpuE0ELNS1_3repE0EEENS1_48merge_mergepath_partition_config_static_selectorELNS0_4arch9wavefront6targetE1EEEvSM_
		.amdhsa_group_segment_fixed_size 0
		.amdhsa_private_segment_fixed_size 0
		.amdhsa_kernarg_size 56
		.amdhsa_user_sgpr_count 2
		.amdhsa_user_sgpr_dispatch_ptr 0
		.amdhsa_user_sgpr_queue_ptr 0
		.amdhsa_user_sgpr_kernarg_segment_ptr 1
		.amdhsa_user_sgpr_dispatch_id 0
		.amdhsa_user_sgpr_kernarg_preload_length 0
		.amdhsa_user_sgpr_kernarg_preload_offset 0
		.amdhsa_user_sgpr_private_segment_size 0
		.amdhsa_uses_dynamic_stack 0
		.amdhsa_enable_private_segment 0
		.amdhsa_system_sgpr_workgroup_id_x 1
		.amdhsa_system_sgpr_workgroup_id_y 0
		.amdhsa_system_sgpr_workgroup_id_z 0
		.amdhsa_system_sgpr_workgroup_info 0
		.amdhsa_system_vgpr_workitem_id 0
		.amdhsa_next_free_vgpr 23
		.amdhsa_next_free_sgpr 32
		.amdhsa_accum_offset 24
		.amdhsa_reserve_vcc 1
		.amdhsa_float_round_mode_32 0
		.amdhsa_float_round_mode_16_64 0
		.amdhsa_float_denorm_mode_32 3
		.amdhsa_float_denorm_mode_16_64 3
		.amdhsa_dx10_clamp 1
		.amdhsa_ieee_mode 1
		.amdhsa_fp16_overflow 0
		.amdhsa_tg_split 0
		.amdhsa_exception_fp_ieee_invalid_op 0
		.amdhsa_exception_fp_denorm_src 0
		.amdhsa_exception_fp_ieee_div_zero 0
		.amdhsa_exception_fp_ieee_overflow 0
		.amdhsa_exception_fp_ieee_underflow 0
		.amdhsa_exception_fp_ieee_inexact 0
		.amdhsa_exception_int_div_zero 0
	.end_amdhsa_kernel
	.section	.text._ZN7rocprim17ROCPRIM_400000_NS6detail17trampoline_kernelINS0_14default_configENS1_38merge_sort_block_merge_config_selectorIlNS0_10empty_typeEEEZZNS1_27merge_sort_block_merge_implIS3_PlPS5_mZN2at6native12_GLOBAL__N_124unique_dim_cuda_templateIsEESt5tupleIJNSA_6TensorESF_SF_EERKSF_lbbbEUlllE_EE10hipError_tT0_T1_T2_jT3_P12ihipStream_tbPNSt15iterator_traitsISL_E10value_typeEPNSR_ISM_E10value_typeEPSN_NS1_7vsmem_tEENKUlT_SL_SM_SN_E_clIS8_S8_S9_S9_EESK_S10_SL_SM_SN_EUlS10_E_NS1_11comp_targetILNS1_3genE0ELNS1_11target_archE4294967295ELNS1_3gpuE0ELNS1_3repE0EEENS1_48merge_mergepath_partition_config_static_selectorELNS0_4arch9wavefront6targetE1EEEvSM_,"axG",@progbits,_ZN7rocprim17ROCPRIM_400000_NS6detail17trampoline_kernelINS0_14default_configENS1_38merge_sort_block_merge_config_selectorIlNS0_10empty_typeEEEZZNS1_27merge_sort_block_merge_implIS3_PlPS5_mZN2at6native12_GLOBAL__N_124unique_dim_cuda_templateIsEESt5tupleIJNSA_6TensorESF_SF_EERKSF_lbbbEUlllE_EE10hipError_tT0_T1_T2_jT3_P12ihipStream_tbPNSt15iterator_traitsISL_E10value_typeEPNSR_ISM_E10value_typeEPSN_NS1_7vsmem_tEENKUlT_SL_SM_SN_E_clIS8_S8_S9_S9_EESK_S10_SL_SM_SN_EUlS10_E_NS1_11comp_targetILNS1_3genE0ELNS1_11target_archE4294967295ELNS1_3gpuE0ELNS1_3repE0EEENS1_48merge_mergepath_partition_config_static_selectorELNS0_4arch9wavefront6targetE1EEEvSM_,comdat
.Lfunc_end636:
	.size	_ZN7rocprim17ROCPRIM_400000_NS6detail17trampoline_kernelINS0_14default_configENS1_38merge_sort_block_merge_config_selectorIlNS0_10empty_typeEEEZZNS1_27merge_sort_block_merge_implIS3_PlPS5_mZN2at6native12_GLOBAL__N_124unique_dim_cuda_templateIsEESt5tupleIJNSA_6TensorESF_SF_EERKSF_lbbbEUlllE_EE10hipError_tT0_T1_T2_jT3_P12ihipStream_tbPNSt15iterator_traitsISL_E10value_typeEPNSR_ISM_E10value_typeEPSN_NS1_7vsmem_tEENKUlT_SL_SM_SN_E_clIS8_S8_S9_S9_EESK_S10_SL_SM_SN_EUlS10_E_NS1_11comp_targetILNS1_3genE0ELNS1_11target_archE4294967295ELNS1_3gpuE0ELNS1_3repE0EEENS1_48merge_mergepath_partition_config_static_selectorELNS0_4arch9wavefront6targetE1EEEvSM_, .Lfunc_end636-_ZN7rocprim17ROCPRIM_400000_NS6detail17trampoline_kernelINS0_14default_configENS1_38merge_sort_block_merge_config_selectorIlNS0_10empty_typeEEEZZNS1_27merge_sort_block_merge_implIS3_PlPS5_mZN2at6native12_GLOBAL__N_124unique_dim_cuda_templateIsEESt5tupleIJNSA_6TensorESF_SF_EERKSF_lbbbEUlllE_EE10hipError_tT0_T1_T2_jT3_P12ihipStream_tbPNSt15iterator_traitsISL_E10value_typeEPNSR_ISM_E10value_typeEPSN_NS1_7vsmem_tEENKUlT_SL_SM_SN_E_clIS8_S8_S9_S9_EESK_S10_SL_SM_SN_EUlS10_E_NS1_11comp_targetILNS1_3genE0ELNS1_11target_archE4294967295ELNS1_3gpuE0ELNS1_3repE0EEENS1_48merge_mergepath_partition_config_static_selectorELNS0_4arch9wavefront6targetE1EEEvSM_
                                        ; -- End function
	.set _ZN7rocprim17ROCPRIM_400000_NS6detail17trampoline_kernelINS0_14default_configENS1_38merge_sort_block_merge_config_selectorIlNS0_10empty_typeEEEZZNS1_27merge_sort_block_merge_implIS3_PlPS5_mZN2at6native12_GLOBAL__N_124unique_dim_cuda_templateIsEESt5tupleIJNSA_6TensorESF_SF_EERKSF_lbbbEUlllE_EE10hipError_tT0_T1_T2_jT3_P12ihipStream_tbPNSt15iterator_traitsISL_E10value_typeEPNSR_ISM_E10value_typeEPSN_NS1_7vsmem_tEENKUlT_SL_SM_SN_E_clIS8_S8_S9_S9_EESK_S10_SL_SM_SN_EUlS10_E_NS1_11comp_targetILNS1_3genE0ELNS1_11target_archE4294967295ELNS1_3gpuE0ELNS1_3repE0EEENS1_48merge_mergepath_partition_config_static_selectorELNS0_4arch9wavefront6targetE1EEEvSM_.num_vgpr, 23
	.set _ZN7rocprim17ROCPRIM_400000_NS6detail17trampoline_kernelINS0_14default_configENS1_38merge_sort_block_merge_config_selectorIlNS0_10empty_typeEEEZZNS1_27merge_sort_block_merge_implIS3_PlPS5_mZN2at6native12_GLOBAL__N_124unique_dim_cuda_templateIsEESt5tupleIJNSA_6TensorESF_SF_EERKSF_lbbbEUlllE_EE10hipError_tT0_T1_T2_jT3_P12ihipStream_tbPNSt15iterator_traitsISL_E10value_typeEPNSR_ISM_E10value_typeEPSN_NS1_7vsmem_tEENKUlT_SL_SM_SN_E_clIS8_S8_S9_S9_EESK_S10_SL_SM_SN_EUlS10_E_NS1_11comp_targetILNS1_3genE0ELNS1_11target_archE4294967295ELNS1_3gpuE0ELNS1_3repE0EEENS1_48merge_mergepath_partition_config_static_selectorELNS0_4arch9wavefront6targetE1EEEvSM_.num_agpr, 0
	.set _ZN7rocprim17ROCPRIM_400000_NS6detail17trampoline_kernelINS0_14default_configENS1_38merge_sort_block_merge_config_selectorIlNS0_10empty_typeEEEZZNS1_27merge_sort_block_merge_implIS3_PlPS5_mZN2at6native12_GLOBAL__N_124unique_dim_cuda_templateIsEESt5tupleIJNSA_6TensorESF_SF_EERKSF_lbbbEUlllE_EE10hipError_tT0_T1_T2_jT3_P12ihipStream_tbPNSt15iterator_traitsISL_E10value_typeEPNSR_ISM_E10value_typeEPSN_NS1_7vsmem_tEENKUlT_SL_SM_SN_E_clIS8_S8_S9_S9_EESK_S10_SL_SM_SN_EUlS10_E_NS1_11comp_targetILNS1_3genE0ELNS1_11target_archE4294967295ELNS1_3gpuE0ELNS1_3repE0EEENS1_48merge_mergepath_partition_config_static_selectorELNS0_4arch9wavefront6targetE1EEEvSM_.numbered_sgpr, 32
	.set _ZN7rocprim17ROCPRIM_400000_NS6detail17trampoline_kernelINS0_14default_configENS1_38merge_sort_block_merge_config_selectorIlNS0_10empty_typeEEEZZNS1_27merge_sort_block_merge_implIS3_PlPS5_mZN2at6native12_GLOBAL__N_124unique_dim_cuda_templateIsEESt5tupleIJNSA_6TensorESF_SF_EERKSF_lbbbEUlllE_EE10hipError_tT0_T1_T2_jT3_P12ihipStream_tbPNSt15iterator_traitsISL_E10value_typeEPNSR_ISM_E10value_typeEPSN_NS1_7vsmem_tEENKUlT_SL_SM_SN_E_clIS8_S8_S9_S9_EESK_S10_SL_SM_SN_EUlS10_E_NS1_11comp_targetILNS1_3genE0ELNS1_11target_archE4294967295ELNS1_3gpuE0ELNS1_3repE0EEENS1_48merge_mergepath_partition_config_static_selectorELNS0_4arch9wavefront6targetE1EEEvSM_.num_named_barrier, 0
	.set _ZN7rocprim17ROCPRIM_400000_NS6detail17trampoline_kernelINS0_14default_configENS1_38merge_sort_block_merge_config_selectorIlNS0_10empty_typeEEEZZNS1_27merge_sort_block_merge_implIS3_PlPS5_mZN2at6native12_GLOBAL__N_124unique_dim_cuda_templateIsEESt5tupleIJNSA_6TensorESF_SF_EERKSF_lbbbEUlllE_EE10hipError_tT0_T1_T2_jT3_P12ihipStream_tbPNSt15iterator_traitsISL_E10value_typeEPNSR_ISM_E10value_typeEPSN_NS1_7vsmem_tEENKUlT_SL_SM_SN_E_clIS8_S8_S9_S9_EESK_S10_SL_SM_SN_EUlS10_E_NS1_11comp_targetILNS1_3genE0ELNS1_11target_archE4294967295ELNS1_3gpuE0ELNS1_3repE0EEENS1_48merge_mergepath_partition_config_static_selectorELNS0_4arch9wavefront6targetE1EEEvSM_.private_seg_size, 0
	.set _ZN7rocprim17ROCPRIM_400000_NS6detail17trampoline_kernelINS0_14default_configENS1_38merge_sort_block_merge_config_selectorIlNS0_10empty_typeEEEZZNS1_27merge_sort_block_merge_implIS3_PlPS5_mZN2at6native12_GLOBAL__N_124unique_dim_cuda_templateIsEESt5tupleIJNSA_6TensorESF_SF_EERKSF_lbbbEUlllE_EE10hipError_tT0_T1_T2_jT3_P12ihipStream_tbPNSt15iterator_traitsISL_E10value_typeEPNSR_ISM_E10value_typeEPSN_NS1_7vsmem_tEENKUlT_SL_SM_SN_E_clIS8_S8_S9_S9_EESK_S10_SL_SM_SN_EUlS10_E_NS1_11comp_targetILNS1_3genE0ELNS1_11target_archE4294967295ELNS1_3gpuE0ELNS1_3repE0EEENS1_48merge_mergepath_partition_config_static_selectorELNS0_4arch9wavefront6targetE1EEEvSM_.uses_vcc, 1
	.set _ZN7rocprim17ROCPRIM_400000_NS6detail17trampoline_kernelINS0_14default_configENS1_38merge_sort_block_merge_config_selectorIlNS0_10empty_typeEEEZZNS1_27merge_sort_block_merge_implIS3_PlPS5_mZN2at6native12_GLOBAL__N_124unique_dim_cuda_templateIsEESt5tupleIJNSA_6TensorESF_SF_EERKSF_lbbbEUlllE_EE10hipError_tT0_T1_T2_jT3_P12ihipStream_tbPNSt15iterator_traitsISL_E10value_typeEPNSR_ISM_E10value_typeEPSN_NS1_7vsmem_tEENKUlT_SL_SM_SN_E_clIS8_S8_S9_S9_EESK_S10_SL_SM_SN_EUlS10_E_NS1_11comp_targetILNS1_3genE0ELNS1_11target_archE4294967295ELNS1_3gpuE0ELNS1_3repE0EEENS1_48merge_mergepath_partition_config_static_selectorELNS0_4arch9wavefront6targetE1EEEvSM_.uses_flat_scratch, 0
	.set _ZN7rocprim17ROCPRIM_400000_NS6detail17trampoline_kernelINS0_14default_configENS1_38merge_sort_block_merge_config_selectorIlNS0_10empty_typeEEEZZNS1_27merge_sort_block_merge_implIS3_PlPS5_mZN2at6native12_GLOBAL__N_124unique_dim_cuda_templateIsEESt5tupleIJNSA_6TensorESF_SF_EERKSF_lbbbEUlllE_EE10hipError_tT0_T1_T2_jT3_P12ihipStream_tbPNSt15iterator_traitsISL_E10value_typeEPNSR_ISM_E10value_typeEPSN_NS1_7vsmem_tEENKUlT_SL_SM_SN_E_clIS8_S8_S9_S9_EESK_S10_SL_SM_SN_EUlS10_E_NS1_11comp_targetILNS1_3genE0ELNS1_11target_archE4294967295ELNS1_3gpuE0ELNS1_3repE0EEENS1_48merge_mergepath_partition_config_static_selectorELNS0_4arch9wavefront6targetE1EEEvSM_.has_dyn_sized_stack, 0
	.set _ZN7rocprim17ROCPRIM_400000_NS6detail17trampoline_kernelINS0_14default_configENS1_38merge_sort_block_merge_config_selectorIlNS0_10empty_typeEEEZZNS1_27merge_sort_block_merge_implIS3_PlPS5_mZN2at6native12_GLOBAL__N_124unique_dim_cuda_templateIsEESt5tupleIJNSA_6TensorESF_SF_EERKSF_lbbbEUlllE_EE10hipError_tT0_T1_T2_jT3_P12ihipStream_tbPNSt15iterator_traitsISL_E10value_typeEPNSR_ISM_E10value_typeEPSN_NS1_7vsmem_tEENKUlT_SL_SM_SN_E_clIS8_S8_S9_S9_EESK_S10_SL_SM_SN_EUlS10_E_NS1_11comp_targetILNS1_3genE0ELNS1_11target_archE4294967295ELNS1_3gpuE0ELNS1_3repE0EEENS1_48merge_mergepath_partition_config_static_selectorELNS0_4arch9wavefront6targetE1EEEvSM_.has_recursion, 0
	.set _ZN7rocprim17ROCPRIM_400000_NS6detail17trampoline_kernelINS0_14default_configENS1_38merge_sort_block_merge_config_selectorIlNS0_10empty_typeEEEZZNS1_27merge_sort_block_merge_implIS3_PlPS5_mZN2at6native12_GLOBAL__N_124unique_dim_cuda_templateIsEESt5tupleIJNSA_6TensorESF_SF_EERKSF_lbbbEUlllE_EE10hipError_tT0_T1_T2_jT3_P12ihipStream_tbPNSt15iterator_traitsISL_E10value_typeEPNSR_ISM_E10value_typeEPSN_NS1_7vsmem_tEENKUlT_SL_SM_SN_E_clIS8_S8_S9_S9_EESK_S10_SL_SM_SN_EUlS10_E_NS1_11comp_targetILNS1_3genE0ELNS1_11target_archE4294967295ELNS1_3gpuE0ELNS1_3repE0EEENS1_48merge_mergepath_partition_config_static_selectorELNS0_4arch9wavefront6targetE1EEEvSM_.has_indirect_call, 0
	.section	.AMDGPU.csdata,"",@progbits
; Kernel info:
; codeLenInByte = 772
; TotalNumSgprs: 38
; NumVgprs: 23
; NumAgprs: 0
; TotalNumVgprs: 23
; ScratchSize: 0
; MemoryBound: 0
; FloatMode: 240
; IeeeMode: 1
; LDSByteSize: 0 bytes/workgroup (compile time only)
; SGPRBlocks: 4
; VGPRBlocks: 2
; NumSGPRsForWavesPerEU: 38
; NumVGPRsForWavesPerEU: 23
; AccumOffset: 24
; Occupancy: 8
; WaveLimiterHint : 0
; COMPUTE_PGM_RSRC2:SCRATCH_EN: 0
; COMPUTE_PGM_RSRC2:USER_SGPR: 2
; COMPUTE_PGM_RSRC2:TRAP_HANDLER: 0
; COMPUTE_PGM_RSRC2:TGID_X_EN: 1
; COMPUTE_PGM_RSRC2:TGID_Y_EN: 0
; COMPUTE_PGM_RSRC2:TGID_Z_EN: 0
; COMPUTE_PGM_RSRC2:TIDIG_COMP_CNT: 0
; COMPUTE_PGM_RSRC3_GFX90A:ACCUM_OFFSET: 5
; COMPUTE_PGM_RSRC3_GFX90A:TG_SPLIT: 0
	.section	.text._ZN7rocprim17ROCPRIM_400000_NS6detail17trampoline_kernelINS0_14default_configENS1_38merge_sort_block_merge_config_selectorIlNS0_10empty_typeEEEZZNS1_27merge_sort_block_merge_implIS3_PlPS5_mZN2at6native12_GLOBAL__N_124unique_dim_cuda_templateIsEESt5tupleIJNSA_6TensorESF_SF_EERKSF_lbbbEUlllE_EE10hipError_tT0_T1_T2_jT3_P12ihipStream_tbPNSt15iterator_traitsISL_E10value_typeEPNSR_ISM_E10value_typeEPSN_NS1_7vsmem_tEENKUlT_SL_SM_SN_E_clIS8_S8_S9_S9_EESK_S10_SL_SM_SN_EUlS10_E_NS1_11comp_targetILNS1_3genE10ELNS1_11target_archE1201ELNS1_3gpuE5ELNS1_3repE0EEENS1_48merge_mergepath_partition_config_static_selectorELNS0_4arch9wavefront6targetE1EEEvSM_,"axG",@progbits,_ZN7rocprim17ROCPRIM_400000_NS6detail17trampoline_kernelINS0_14default_configENS1_38merge_sort_block_merge_config_selectorIlNS0_10empty_typeEEEZZNS1_27merge_sort_block_merge_implIS3_PlPS5_mZN2at6native12_GLOBAL__N_124unique_dim_cuda_templateIsEESt5tupleIJNSA_6TensorESF_SF_EERKSF_lbbbEUlllE_EE10hipError_tT0_T1_T2_jT3_P12ihipStream_tbPNSt15iterator_traitsISL_E10value_typeEPNSR_ISM_E10value_typeEPSN_NS1_7vsmem_tEENKUlT_SL_SM_SN_E_clIS8_S8_S9_S9_EESK_S10_SL_SM_SN_EUlS10_E_NS1_11comp_targetILNS1_3genE10ELNS1_11target_archE1201ELNS1_3gpuE5ELNS1_3repE0EEENS1_48merge_mergepath_partition_config_static_selectorELNS0_4arch9wavefront6targetE1EEEvSM_,comdat
	.globl	_ZN7rocprim17ROCPRIM_400000_NS6detail17trampoline_kernelINS0_14default_configENS1_38merge_sort_block_merge_config_selectorIlNS0_10empty_typeEEEZZNS1_27merge_sort_block_merge_implIS3_PlPS5_mZN2at6native12_GLOBAL__N_124unique_dim_cuda_templateIsEESt5tupleIJNSA_6TensorESF_SF_EERKSF_lbbbEUlllE_EE10hipError_tT0_T1_T2_jT3_P12ihipStream_tbPNSt15iterator_traitsISL_E10value_typeEPNSR_ISM_E10value_typeEPSN_NS1_7vsmem_tEENKUlT_SL_SM_SN_E_clIS8_S8_S9_S9_EESK_S10_SL_SM_SN_EUlS10_E_NS1_11comp_targetILNS1_3genE10ELNS1_11target_archE1201ELNS1_3gpuE5ELNS1_3repE0EEENS1_48merge_mergepath_partition_config_static_selectorELNS0_4arch9wavefront6targetE1EEEvSM_ ; -- Begin function _ZN7rocprim17ROCPRIM_400000_NS6detail17trampoline_kernelINS0_14default_configENS1_38merge_sort_block_merge_config_selectorIlNS0_10empty_typeEEEZZNS1_27merge_sort_block_merge_implIS3_PlPS5_mZN2at6native12_GLOBAL__N_124unique_dim_cuda_templateIsEESt5tupleIJNSA_6TensorESF_SF_EERKSF_lbbbEUlllE_EE10hipError_tT0_T1_T2_jT3_P12ihipStream_tbPNSt15iterator_traitsISL_E10value_typeEPNSR_ISM_E10value_typeEPSN_NS1_7vsmem_tEENKUlT_SL_SM_SN_E_clIS8_S8_S9_S9_EESK_S10_SL_SM_SN_EUlS10_E_NS1_11comp_targetILNS1_3genE10ELNS1_11target_archE1201ELNS1_3gpuE5ELNS1_3repE0EEENS1_48merge_mergepath_partition_config_static_selectorELNS0_4arch9wavefront6targetE1EEEvSM_
	.p2align	8
	.type	_ZN7rocprim17ROCPRIM_400000_NS6detail17trampoline_kernelINS0_14default_configENS1_38merge_sort_block_merge_config_selectorIlNS0_10empty_typeEEEZZNS1_27merge_sort_block_merge_implIS3_PlPS5_mZN2at6native12_GLOBAL__N_124unique_dim_cuda_templateIsEESt5tupleIJNSA_6TensorESF_SF_EERKSF_lbbbEUlllE_EE10hipError_tT0_T1_T2_jT3_P12ihipStream_tbPNSt15iterator_traitsISL_E10value_typeEPNSR_ISM_E10value_typeEPSN_NS1_7vsmem_tEENKUlT_SL_SM_SN_E_clIS8_S8_S9_S9_EESK_S10_SL_SM_SN_EUlS10_E_NS1_11comp_targetILNS1_3genE10ELNS1_11target_archE1201ELNS1_3gpuE5ELNS1_3repE0EEENS1_48merge_mergepath_partition_config_static_selectorELNS0_4arch9wavefront6targetE1EEEvSM_,@function
_ZN7rocprim17ROCPRIM_400000_NS6detail17trampoline_kernelINS0_14default_configENS1_38merge_sort_block_merge_config_selectorIlNS0_10empty_typeEEEZZNS1_27merge_sort_block_merge_implIS3_PlPS5_mZN2at6native12_GLOBAL__N_124unique_dim_cuda_templateIsEESt5tupleIJNSA_6TensorESF_SF_EERKSF_lbbbEUlllE_EE10hipError_tT0_T1_T2_jT3_P12ihipStream_tbPNSt15iterator_traitsISL_E10value_typeEPNSR_ISM_E10value_typeEPSN_NS1_7vsmem_tEENKUlT_SL_SM_SN_E_clIS8_S8_S9_S9_EESK_S10_SL_SM_SN_EUlS10_E_NS1_11comp_targetILNS1_3genE10ELNS1_11target_archE1201ELNS1_3gpuE5ELNS1_3repE0EEENS1_48merge_mergepath_partition_config_static_selectorELNS0_4arch9wavefront6targetE1EEEvSM_: ; @_ZN7rocprim17ROCPRIM_400000_NS6detail17trampoline_kernelINS0_14default_configENS1_38merge_sort_block_merge_config_selectorIlNS0_10empty_typeEEEZZNS1_27merge_sort_block_merge_implIS3_PlPS5_mZN2at6native12_GLOBAL__N_124unique_dim_cuda_templateIsEESt5tupleIJNSA_6TensorESF_SF_EERKSF_lbbbEUlllE_EE10hipError_tT0_T1_T2_jT3_P12ihipStream_tbPNSt15iterator_traitsISL_E10value_typeEPNSR_ISM_E10value_typeEPSN_NS1_7vsmem_tEENKUlT_SL_SM_SN_E_clIS8_S8_S9_S9_EESK_S10_SL_SM_SN_EUlS10_E_NS1_11comp_targetILNS1_3genE10ELNS1_11target_archE1201ELNS1_3gpuE5ELNS1_3repE0EEENS1_48merge_mergepath_partition_config_static_selectorELNS0_4arch9wavefront6targetE1EEEvSM_
; %bb.0:
	.section	.rodata,"a",@progbits
	.p2align	6, 0x0
	.amdhsa_kernel _ZN7rocprim17ROCPRIM_400000_NS6detail17trampoline_kernelINS0_14default_configENS1_38merge_sort_block_merge_config_selectorIlNS0_10empty_typeEEEZZNS1_27merge_sort_block_merge_implIS3_PlPS5_mZN2at6native12_GLOBAL__N_124unique_dim_cuda_templateIsEESt5tupleIJNSA_6TensorESF_SF_EERKSF_lbbbEUlllE_EE10hipError_tT0_T1_T2_jT3_P12ihipStream_tbPNSt15iterator_traitsISL_E10value_typeEPNSR_ISM_E10value_typeEPSN_NS1_7vsmem_tEENKUlT_SL_SM_SN_E_clIS8_S8_S9_S9_EESK_S10_SL_SM_SN_EUlS10_E_NS1_11comp_targetILNS1_3genE10ELNS1_11target_archE1201ELNS1_3gpuE5ELNS1_3repE0EEENS1_48merge_mergepath_partition_config_static_selectorELNS0_4arch9wavefront6targetE1EEEvSM_
		.amdhsa_group_segment_fixed_size 0
		.amdhsa_private_segment_fixed_size 0
		.amdhsa_kernarg_size 56
		.amdhsa_user_sgpr_count 2
		.amdhsa_user_sgpr_dispatch_ptr 0
		.amdhsa_user_sgpr_queue_ptr 0
		.amdhsa_user_sgpr_kernarg_segment_ptr 1
		.amdhsa_user_sgpr_dispatch_id 0
		.amdhsa_user_sgpr_kernarg_preload_length 0
		.amdhsa_user_sgpr_kernarg_preload_offset 0
		.amdhsa_user_sgpr_private_segment_size 0
		.amdhsa_uses_dynamic_stack 0
		.amdhsa_enable_private_segment 0
		.amdhsa_system_sgpr_workgroup_id_x 1
		.amdhsa_system_sgpr_workgroup_id_y 0
		.amdhsa_system_sgpr_workgroup_id_z 0
		.amdhsa_system_sgpr_workgroup_info 0
		.amdhsa_system_vgpr_workitem_id 0
		.amdhsa_next_free_vgpr 1
		.amdhsa_next_free_sgpr 0
		.amdhsa_accum_offset 4
		.amdhsa_reserve_vcc 0
		.amdhsa_float_round_mode_32 0
		.amdhsa_float_round_mode_16_64 0
		.amdhsa_float_denorm_mode_32 3
		.amdhsa_float_denorm_mode_16_64 3
		.amdhsa_dx10_clamp 1
		.amdhsa_ieee_mode 1
		.amdhsa_fp16_overflow 0
		.amdhsa_tg_split 0
		.amdhsa_exception_fp_ieee_invalid_op 0
		.amdhsa_exception_fp_denorm_src 0
		.amdhsa_exception_fp_ieee_div_zero 0
		.amdhsa_exception_fp_ieee_overflow 0
		.amdhsa_exception_fp_ieee_underflow 0
		.amdhsa_exception_fp_ieee_inexact 0
		.amdhsa_exception_int_div_zero 0
	.end_amdhsa_kernel
	.section	.text._ZN7rocprim17ROCPRIM_400000_NS6detail17trampoline_kernelINS0_14default_configENS1_38merge_sort_block_merge_config_selectorIlNS0_10empty_typeEEEZZNS1_27merge_sort_block_merge_implIS3_PlPS5_mZN2at6native12_GLOBAL__N_124unique_dim_cuda_templateIsEESt5tupleIJNSA_6TensorESF_SF_EERKSF_lbbbEUlllE_EE10hipError_tT0_T1_T2_jT3_P12ihipStream_tbPNSt15iterator_traitsISL_E10value_typeEPNSR_ISM_E10value_typeEPSN_NS1_7vsmem_tEENKUlT_SL_SM_SN_E_clIS8_S8_S9_S9_EESK_S10_SL_SM_SN_EUlS10_E_NS1_11comp_targetILNS1_3genE10ELNS1_11target_archE1201ELNS1_3gpuE5ELNS1_3repE0EEENS1_48merge_mergepath_partition_config_static_selectorELNS0_4arch9wavefront6targetE1EEEvSM_,"axG",@progbits,_ZN7rocprim17ROCPRIM_400000_NS6detail17trampoline_kernelINS0_14default_configENS1_38merge_sort_block_merge_config_selectorIlNS0_10empty_typeEEEZZNS1_27merge_sort_block_merge_implIS3_PlPS5_mZN2at6native12_GLOBAL__N_124unique_dim_cuda_templateIsEESt5tupleIJNSA_6TensorESF_SF_EERKSF_lbbbEUlllE_EE10hipError_tT0_T1_T2_jT3_P12ihipStream_tbPNSt15iterator_traitsISL_E10value_typeEPNSR_ISM_E10value_typeEPSN_NS1_7vsmem_tEENKUlT_SL_SM_SN_E_clIS8_S8_S9_S9_EESK_S10_SL_SM_SN_EUlS10_E_NS1_11comp_targetILNS1_3genE10ELNS1_11target_archE1201ELNS1_3gpuE5ELNS1_3repE0EEENS1_48merge_mergepath_partition_config_static_selectorELNS0_4arch9wavefront6targetE1EEEvSM_,comdat
.Lfunc_end637:
	.size	_ZN7rocprim17ROCPRIM_400000_NS6detail17trampoline_kernelINS0_14default_configENS1_38merge_sort_block_merge_config_selectorIlNS0_10empty_typeEEEZZNS1_27merge_sort_block_merge_implIS3_PlPS5_mZN2at6native12_GLOBAL__N_124unique_dim_cuda_templateIsEESt5tupleIJNSA_6TensorESF_SF_EERKSF_lbbbEUlllE_EE10hipError_tT0_T1_T2_jT3_P12ihipStream_tbPNSt15iterator_traitsISL_E10value_typeEPNSR_ISM_E10value_typeEPSN_NS1_7vsmem_tEENKUlT_SL_SM_SN_E_clIS8_S8_S9_S9_EESK_S10_SL_SM_SN_EUlS10_E_NS1_11comp_targetILNS1_3genE10ELNS1_11target_archE1201ELNS1_3gpuE5ELNS1_3repE0EEENS1_48merge_mergepath_partition_config_static_selectorELNS0_4arch9wavefront6targetE1EEEvSM_, .Lfunc_end637-_ZN7rocprim17ROCPRIM_400000_NS6detail17trampoline_kernelINS0_14default_configENS1_38merge_sort_block_merge_config_selectorIlNS0_10empty_typeEEEZZNS1_27merge_sort_block_merge_implIS3_PlPS5_mZN2at6native12_GLOBAL__N_124unique_dim_cuda_templateIsEESt5tupleIJNSA_6TensorESF_SF_EERKSF_lbbbEUlllE_EE10hipError_tT0_T1_T2_jT3_P12ihipStream_tbPNSt15iterator_traitsISL_E10value_typeEPNSR_ISM_E10value_typeEPSN_NS1_7vsmem_tEENKUlT_SL_SM_SN_E_clIS8_S8_S9_S9_EESK_S10_SL_SM_SN_EUlS10_E_NS1_11comp_targetILNS1_3genE10ELNS1_11target_archE1201ELNS1_3gpuE5ELNS1_3repE0EEENS1_48merge_mergepath_partition_config_static_selectorELNS0_4arch9wavefront6targetE1EEEvSM_
                                        ; -- End function
	.set _ZN7rocprim17ROCPRIM_400000_NS6detail17trampoline_kernelINS0_14default_configENS1_38merge_sort_block_merge_config_selectorIlNS0_10empty_typeEEEZZNS1_27merge_sort_block_merge_implIS3_PlPS5_mZN2at6native12_GLOBAL__N_124unique_dim_cuda_templateIsEESt5tupleIJNSA_6TensorESF_SF_EERKSF_lbbbEUlllE_EE10hipError_tT0_T1_T2_jT3_P12ihipStream_tbPNSt15iterator_traitsISL_E10value_typeEPNSR_ISM_E10value_typeEPSN_NS1_7vsmem_tEENKUlT_SL_SM_SN_E_clIS8_S8_S9_S9_EESK_S10_SL_SM_SN_EUlS10_E_NS1_11comp_targetILNS1_3genE10ELNS1_11target_archE1201ELNS1_3gpuE5ELNS1_3repE0EEENS1_48merge_mergepath_partition_config_static_selectorELNS0_4arch9wavefront6targetE1EEEvSM_.num_vgpr, 0
	.set _ZN7rocprim17ROCPRIM_400000_NS6detail17trampoline_kernelINS0_14default_configENS1_38merge_sort_block_merge_config_selectorIlNS0_10empty_typeEEEZZNS1_27merge_sort_block_merge_implIS3_PlPS5_mZN2at6native12_GLOBAL__N_124unique_dim_cuda_templateIsEESt5tupleIJNSA_6TensorESF_SF_EERKSF_lbbbEUlllE_EE10hipError_tT0_T1_T2_jT3_P12ihipStream_tbPNSt15iterator_traitsISL_E10value_typeEPNSR_ISM_E10value_typeEPSN_NS1_7vsmem_tEENKUlT_SL_SM_SN_E_clIS8_S8_S9_S9_EESK_S10_SL_SM_SN_EUlS10_E_NS1_11comp_targetILNS1_3genE10ELNS1_11target_archE1201ELNS1_3gpuE5ELNS1_3repE0EEENS1_48merge_mergepath_partition_config_static_selectorELNS0_4arch9wavefront6targetE1EEEvSM_.num_agpr, 0
	.set _ZN7rocprim17ROCPRIM_400000_NS6detail17trampoline_kernelINS0_14default_configENS1_38merge_sort_block_merge_config_selectorIlNS0_10empty_typeEEEZZNS1_27merge_sort_block_merge_implIS3_PlPS5_mZN2at6native12_GLOBAL__N_124unique_dim_cuda_templateIsEESt5tupleIJNSA_6TensorESF_SF_EERKSF_lbbbEUlllE_EE10hipError_tT0_T1_T2_jT3_P12ihipStream_tbPNSt15iterator_traitsISL_E10value_typeEPNSR_ISM_E10value_typeEPSN_NS1_7vsmem_tEENKUlT_SL_SM_SN_E_clIS8_S8_S9_S9_EESK_S10_SL_SM_SN_EUlS10_E_NS1_11comp_targetILNS1_3genE10ELNS1_11target_archE1201ELNS1_3gpuE5ELNS1_3repE0EEENS1_48merge_mergepath_partition_config_static_selectorELNS0_4arch9wavefront6targetE1EEEvSM_.numbered_sgpr, 0
	.set _ZN7rocprim17ROCPRIM_400000_NS6detail17trampoline_kernelINS0_14default_configENS1_38merge_sort_block_merge_config_selectorIlNS0_10empty_typeEEEZZNS1_27merge_sort_block_merge_implIS3_PlPS5_mZN2at6native12_GLOBAL__N_124unique_dim_cuda_templateIsEESt5tupleIJNSA_6TensorESF_SF_EERKSF_lbbbEUlllE_EE10hipError_tT0_T1_T2_jT3_P12ihipStream_tbPNSt15iterator_traitsISL_E10value_typeEPNSR_ISM_E10value_typeEPSN_NS1_7vsmem_tEENKUlT_SL_SM_SN_E_clIS8_S8_S9_S9_EESK_S10_SL_SM_SN_EUlS10_E_NS1_11comp_targetILNS1_3genE10ELNS1_11target_archE1201ELNS1_3gpuE5ELNS1_3repE0EEENS1_48merge_mergepath_partition_config_static_selectorELNS0_4arch9wavefront6targetE1EEEvSM_.num_named_barrier, 0
	.set _ZN7rocprim17ROCPRIM_400000_NS6detail17trampoline_kernelINS0_14default_configENS1_38merge_sort_block_merge_config_selectorIlNS0_10empty_typeEEEZZNS1_27merge_sort_block_merge_implIS3_PlPS5_mZN2at6native12_GLOBAL__N_124unique_dim_cuda_templateIsEESt5tupleIJNSA_6TensorESF_SF_EERKSF_lbbbEUlllE_EE10hipError_tT0_T1_T2_jT3_P12ihipStream_tbPNSt15iterator_traitsISL_E10value_typeEPNSR_ISM_E10value_typeEPSN_NS1_7vsmem_tEENKUlT_SL_SM_SN_E_clIS8_S8_S9_S9_EESK_S10_SL_SM_SN_EUlS10_E_NS1_11comp_targetILNS1_3genE10ELNS1_11target_archE1201ELNS1_3gpuE5ELNS1_3repE0EEENS1_48merge_mergepath_partition_config_static_selectorELNS0_4arch9wavefront6targetE1EEEvSM_.private_seg_size, 0
	.set _ZN7rocprim17ROCPRIM_400000_NS6detail17trampoline_kernelINS0_14default_configENS1_38merge_sort_block_merge_config_selectorIlNS0_10empty_typeEEEZZNS1_27merge_sort_block_merge_implIS3_PlPS5_mZN2at6native12_GLOBAL__N_124unique_dim_cuda_templateIsEESt5tupleIJNSA_6TensorESF_SF_EERKSF_lbbbEUlllE_EE10hipError_tT0_T1_T2_jT3_P12ihipStream_tbPNSt15iterator_traitsISL_E10value_typeEPNSR_ISM_E10value_typeEPSN_NS1_7vsmem_tEENKUlT_SL_SM_SN_E_clIS8_S8_S9_S9_EESK_S10_SL_SM_SN_EUlS10_E_NS1_11comp_targetILNS1_3genE10ELNS1_11target_archE1201ELNS1_3gpuE5ELNS1_3repE0EEENS1_48merge_mergepath_partition_config_static_selectorELNS0_4arch9wavefront6targetE1EEEvSM_.uses_vcc, 0
	.set _ZN7rocprim17ROCPRIM_400000_NS6detail17trampoline_kernelINS0_14default_configENS1_38merge_sort_block_merge_config_selectorIlNS0_10empty_typeEEEZZNS1_27merge_sort_block_merge_implIS3_PlPS5_mZN2at6native12_GLOBAL__N_124unique_dim_cuda_templateIsEESt5tupleIJNSA_6TensorESF_SF_EERKSF_lbbbEUlllE_EE10hipError_tT0_T1_T2_jT3_P12ihipStream_tbPNSt15iterator_traitsISL_E10value_typeEPNSR_ISM_E10value_typeEPSN_NS1_7vsmem_tEENKUlT_SL_SM_SN_E_clIS8_S8_S9_S9_EESK_S10_SL_SM_SN_EUlS10_E_NS1_11comp_targetILNS1_3genE10ELNS1_11target_archE1201ELNS1_3gpuE5ELNS1_3repE0EEENS1_48merge_mergepath_partition_config_static_selectorELNS0_4arch9wavefront6targetE1EEEvSM_.uses_flat_scratch, 0
	.set _ZN7rocprim17ROCPRIM_400000_NS6detail17trampoline_kernelINS0_14default_configENS1_38merge_sort_block_merge_config_selectorIlNS0_10empty_typeEEEZZNS1_27merge_sort_block_merge_implIS3_PlPS5_mZN2at6native12_GLOBAL__N_124unique_dim_cuda_templateIsEESt5tupleIJNSA_6TensorESF_SF_EERKSF_lbbbEUlllE_EE10hipError_tT0_T1_T2_jT3_P12ihipStream_tbPNSt15iterator_traitsISL_E10value_typeEPNSR_ISM_E10value_typeEPSN_NS1_7vsmem_tEENKUlT_SL_SM_SN_E_clIS8_S8_S9_S9_EESK_S10_SL_SM_SN_EUlS10_E_NS1_11comp_targetILNS1_3genE10ELNS1_11target_archE1201ELNS1_3gpuE5ELNS1_3repE0EEENS1_48merge_mergepath_partition_config_static_selectorELNS0_4arch9wavefront6targetE1EEEvSM_.has_dyn_sized_stack, 0
	.set _ZN7rocprim17ROCPRIM_400000_NS6detail17trampoline_kernelINS0_14default_configENS1_38merge_sort_block_merge_config_selectorIlNS0_10empty_typeEEEZZNS1_27merge_sort_block_merge_implIS3_PlPS5_mZN2at6native12_GLOBAL__N_124unique_dim_cuda_templateIsEESt5tupleIJNSA_6TensorESF_SF_EERKSF_lbbbEUlllE_EE10hipError_tT0_T1_T2_jT3_P12ihipStream_tbPNSt15iterator_traitsISL_E10value_typeEPNSR_ISM_E10value_typeEPSN_NS1_7vsmem_tEENKUlT_SL_SM_SN_E_clIS8_S8_S9_S9_EESK_S10_SL_SM_SN_EUlS10_E_NS1_11comp_targetILNS1_3genE10ELNS1_11target_archE1201ELNS1_3gpuE5ELNS1_3repE0EEENS1_48merge_mergepath_partition_config_static_selectorELNS0_4arch9wavefront6targetE1EEEvSM_.has_recursion, 0
	.set _ZN7rocprim17ROCPRIM_400000_NS6detail17trampoline_kernelINS0_14default_configENS1_38merge_sort_block_merge_config_selectorIlNS0_10empty_typeEEEZZNS1_27merge_sort_block_merge_implIS3_PlPS5_mZN2at6native12_GLOBAL__N_124unique_dim_cuda_templateIsEESt5tupleIJNSA_6TensorESF_SF_EERKSF_lbbbEUlllE_EE10hipError_tT0_T1_T2_jT3_P12ihipStream_tbPNSt15iterator_traitsISL_E10value_typeEPNSR_ISM_E10value_typeEPSN_NS1_7vsmem_tEENKUlT_SL_SM_SN_E_clIS8_S8_S9_S9_EESK_S10_SL_SM_SN_EUlS10_E_NS1_11comp_targetILNS1_3genE10ELNS1_11target_archE1201ELNS1_3gpuE5ELNS1_3repE0EEENS1_48merge_mergepath_partition_config_static_selectorELNS0_4arch9wavefront6targetE1EEEvSM_.has_indirect_call, 0
	.section	.AMDGPU.csdata,"",@progbits
; Kernel info:
; codeLenInByte = 0
; TotalNumSgprs: 6
; NumVgprs: 0
; NumAgprs: 0
; TotalNumVgprs: 0
; ScratchSize: 0
; MemoryBound: 0
; FloatMode: 240
; IeeeMode: 1
; LDSByteSize: 0 bytes/workgroup (compile time only)
; SGPRBlocks: 0
; VGPRBlocks: 0
; NumSGPRsForWavesPerEU: 6
; NumVGPRsForWavesPerEU: 1
; AccumOffset: 4
; Occupancy: 8
; WaveLimiterHint : 0
; COMPUTE_PGM_RSRC2:SCRATCH_EN: 0
; COMPUTE_PGM_RSRC2:USER_SGPR: 2
; COMPUTE_PGM_RSRC2:TRAP_HANDLER: 0
; COMPUTE_PGM_RSRC2:TGID_X_EN: 1
; COMPUTE_PGM_RSRC2:TGID_Y_EN: 0
; COMPUTE_PGM_RSRC2:TGID_Z_EN: 0
; COMPUTE_PGM_RSRC2:TIDIG_COMP_CNT: 0
; COMPUTE_PGM_RSRC3_GFX90A:ACCUM_OFFSET: 0
; COMPUTE_PGM_RSRC3_GFX90A:TG_SPLIT: 0
	.section	.text._ZN7rocprim17ROCPRIM_400000_NS6detail17trampoline_kernelINS0_14default_configENS1_38merge_sort_block_merge_config_selectorIlNS0_10empty_typeEEEZZNS1_27merge_sort_block_merge_implIS3_PlPS5_mZN2at6native12_GLOBAL__N_124unique_dim_cuda_templateIsEESt5tupleIJNSA_6TensorESF_SF_EERKSF_lbbbEUlllE_EE10hipError_tT0_T1_T2_jT3_P12ihipStream_tbPNSt15iterator_traitsISL_E10value_typeEPNSR_ISM_E10value_typeEPSN_NS1_7vsmem_tEENKUlT_SL_SM_SN_E_clIS8_S8_S9_S9_EESK_S10_SL_SM_SN_EUlS10_E_NS1_11comp_targetILNS1_3genE5ELNS1_11target_archE942ELNS1_3gpuE9ELNS1_3repE0EEENS1_48merge_mergepath_partition_config_static_selectorELNS0_4arch9wavefront6targetE1EEEvSM_,"axG",@progbits,_ZN7rocprim17ROCPRIM_400000_NS6detail17trampoline_kernelINS0_14default_configENS1_38merge_sort_block_merge_config_selectorIlNS0_10empty_typeEEEZZNS1_27merge_sort_block_merge_implIS3_PlPS5_mZN2at6native12_GLOBAL__N_124unique_dim_cuda_templateIsEESt5tupleIJNSA_6TensorESF_SF_EERKSF_lbbbEUlllE_EE10hipError_tT0_T1_T2_jT3_P12ihipStream_tbPNSt15iterator_traitsISL_E10value_typeEPNSR_ISM_E10value_typeEPSN_NS1_7vsmem_tEENKUlT_SL_SM_SN_E_clIS8_S8_S9_S9_EESK_S10_SL_SM_SN_EUlS10_E_NS1_11comp_targetILNS1_3genE5ELNS1_11target_archE942ELNS1_3gpuE9ELNS1_3repE0EEENS1_48merge_mergepath_partition_config_static_selectorELNS0_4arch9wavefront6targetE1EEEvSM_,comdat
	.globl	_ZN7rocprim17ROCPRIM_400000_NS6detail17trampoline_kernelINS0_14default_configENS1_38merge_sort_block_merge_config_selectorIlNS0_10empty_typeEEEZZNS1_27merge_sort_block_merge_implIS3_PlPS5_mZN2at6native12_GLOBAL__N_124unique_dim_cuda_templateIsEESt5tupleIJNSA_6TensorESF_SF_EERKSF_lbbbEUlllE_EE10hipError_tT0_T1_T2_jT3_P12ihipStream_tbPNSt15iterator_traitsISL_E10value_typeEPNSR_ISM_E10value_typeEPSN_NS1_7vsmem_tEENKUlT_SL_SM_SN_E_clIS8_S8_S9_S9_EESK_S10_SL_SM_SN_EUlS10_E_NS1_11comp_targetILNS1_3genE5ELNS1_11target_archE942ELNS1_3gpuE9ELNS1_3repE0EEENS1_48merge_mergepath_partition_config_static_selectorELNS0_4arch9wavefront6targetE1EEEvSM_ ; -- Begin function _ZN7rocprim17ROCPRIM_400000_NS6detail17trampoline_kernelINS0_14default_configENS1_38merge_sort_block_merge_config_selectorIlNS0_10empty_typeEEEZZNS1_27merge_sort_block_merge_implIS3_PlPS5_mZN2at6native12_GLOBAL__N_124unique_dim_cuda_templateIsEESt5tupleIJNSA_6TensorESF_SF_EERKSF_lbbbEUlllE_EE10hipError_tT0_T1_T2_jT3_P12ihipStream_tbPNSt15iterator_traitsISL_E10value_typeEPNSR_ISM_E10value_typeEPSN_NS1_7vsmem_tEENKUlT_SL_SM_SN_E_clIS8_S8_S9_S9_EESK_S10_SL_SM_SN_EUlS10_E_NS1_11comp_targetILNS1_3genE5ELNS1_11target_archE942ELNS1_3gpuE9ELNS1_3repE0EEENS1_48merge_mergepath_partition_config_static_selectorELNS0_4arch9wavefront6targetE1EEEvSM_
	.p2align	8
	.type	_ZN7rocprim17ROCPRIM_400000_NS6detail17trampoline_kernelINS0_14default_configENS1_38merge_sort_block_merge_config_selectorIlNS0_10empty_typeEEEZZNS1_27merge_sort_block_merge_implIS3_PlPS5_mZN2at6native12_GLOBAL__N_124unique_dim_cuda_templateIsEESt5tupleIJNSA_6TensorESF_SF_EERKSF_lbbbEUlllE_EE10hipError_tT0_T1_T2_jT3_P12ihipStream_tbPNSt15iterator_traitsISL_E10value_typeEPNSR_ISM_E10value_typeEPSN_NS1_7vsmem_tEENKUlT_SL_SM_SN_E_clIS8_S8_S9_S9_EESK_S10_SL_SM_SN_EUlS10_E_NS1_11comp_targetILNS1_3genE5ELNS1_11target_archE942ELNS1_3gpuE9ELNS1_3repE0EEENS1_48merge_mergepath_partition_config_static_selectorELNS0_4arch9wavefront6targetE1EEEvSM_,@function
_ZN7rocprim17ROCPRIM_400000_NS6detail17trampoline_kernelINS0_14default_configENS1_38merge_sort_block_merge_config_selectorIlNS0_10empty_typeEEEZZNS1_27merge_sort_block_merge_implIS3_PlPS5_mZN2at6native12_GLOBAL__N_124unique_dim_cuda_templateIsEESt5tupleIJNSA_6TensorESF_SF_EERKSF_lbbbEUlllE_EE10hipError_tT0_T1_T2_jT3_P12ihipStream_tbPNSt15iterator_traitsISL_E10value_typeEPNSR_ISM_E10value_typeEPSN_NS1_7vsmem_tEENKUlT_SL_SM_SN_E_clIS8_S8_S9_S9_EESK_S10_SL_SM_SN_EUlS10_E_NS1_11comp_targetILNS1_3genE5ELNS1_11target_archE942ELNS1_3gpuE9ELNS1_3repE0EEENS1_48merge_mergepath_partition_config_static_selectorELNS0_4arch9wavefront6targetE1EEEvSM_: ; @_ZN7rocprim17ROCPRIM_400000_NS6detail17trampoline_kernelINS0_14default_configENS1_38merge_sort_block_merge_config_selectorIlNS0_10empty_typeEEEZZNS1_27merge_sort_block_merge_implIS3_PlPS5_mZN2at6native12_GLOBAL__N_124unique_dim_cuda_templateIsEESt5tupleIJNSA_6TensorESF_SF_EERKSF_lbbbEUlllE_EE10hipError_tT0_T1_T2_jT3_P12ihipStream_tbPNSt15iterator_traitsISL_E10value_typeEPNSR_ISM_E10value_typeEPSN_NS1_7vsmem_tEENKUlT_SL_SM_SN_E_clIS8_S8_S9_S9_EESK_S10_SL_SM_SN_EUlS10_E_NS1_11comp_targetILNS1_3genE5ELNS1_11target_archE942ELNS1_3gpuE9ELNS1_3repE0EEENS1_48merge_mergepath_partition_config_static_selectorELNS0_4arch9wavefront6targetE1EEEvSM_
; %bb.0:
	.section	.rodata,"a",@progbits
	.p2align	6, 0x0
	.amdhsa_kernel _ZN7rocprim17ROCPRIM_400000_NS6detail17trampoline_kernelINS0_14default_configENS1_38merge_sort_block_merge_config_selectorIlNS0_10empty_typeEEEZZNS1_27merge_sort_block_merge_implIS3_PlPS5_mZN2at6native12_GLOBAL__N_124unique_dim_cuda_templateIsEESt5tupleIJNSA_6TensorESF_SF_EERKSF_lbbbEUlllE_EE10hipError_tT0_T1_T2_jT3_P12ihipStream_tbPNSt15iterator_traitsISL_E10value_typeEPNSR_ISM_E10value_typeEPSN_NS1_7vsmem_tEENKUlT_SL_SM_SN_E_clIS8_S8_S9_S9_EESK_S10_SL_SM_SN_EUlS10_E_NS1_11comp_targetILNS1_3genE5ELNS1_11target_archE942ELNS1_3gpuE9ELNS1_3repE0EEENS1_48merge_mergepath_partition_config_static_selectorELNS0_4arch9wavefront6targetE1EEEvSM_
		.amdhsa_group_segment_fixed_size 0
		.amdhsa_private_segment_fixed_size 0
		.amdhsa_kernarg_size 56
		.amdhsa_user_sgpr_count 2
		.amdhsa_user_sgpr_dispatch_ptr 0
		.amdhsa_user_sgpr_queue_ptr 0
		.amdhsa_user_sgpr_kernarg_segment_ptr 1
		.amdhsa_user_sgpr_dispatch_id 0
		.amdhsa_user_sgpr_kernarg_preload_length 0
		.amdhsa_user_sgpr_kernarg_preload_offset 0
		.amdhsa_user_sgpr_private_segment_size 0
		.amdhsa_uses_dynamic_stack 0
		.amdhsa_enable_private_segment 0
		.amdhsa_system_sgpr_workgroup_id_x 1
		.amdhsa_system_sgpr_workgroup_id_y 0
		.amdhsa_system_sgpr_workgroup_id_z 0
		.amdhsa_system_sgpr_workgroup_info 0
		.amdhsa_system_vgpr_workitem_id 0
		.amdhsa_next_free_vgpr 1
		.amdhsa_next_free_sgpr 0
		.amdhsa_accum_offset 4
		.amdhsa_reserve_vcc 0
		.amdhsa_float_round_mode_32 0
		.amdhsa_float_round_mode_16_64 0
		.amdhsa_float_denorm_mode_32 3
		.amdhsa_float_denorm_mode_16_64 3
		.amdhsa_dx10_clamp 1
		.amdhsa_ieee_mode 1
		.amdhsa_fp16_overflow 0
		.amdhsa_tg_split 0
		.amdhsa_exception_fp_ieee_invalid_op 0
		.amdhsa_exception_fp_denorm_src 0
		.amdhsa_exception_fp_ieee_div_zero 0
		.amdhsa_exception_fp_ieee_overflow 0
		.amdhsa_exception_fp_ieee_underflow 0
		.amdhsa_exception_fp_ieee_inexact 0
		.amdhsa_exception_int_div_zero 0
	.end_amdhsa_kernel
	.section	.text._ZN7rocprim17ROCPRIM_400000_NS6detail17trampoline_kernelINS0_14default_configENS1_38merge_sort_block_merge_config_selectorIlNS0_10empty_typeEEEZZNS1_27merge_sort_block_merge_implIS3_PlPS5_mZN2at6native12_GLOBAL__N_124unique_dim_cuda_templateIsEESt5tupleIJNSA_6TensorESF_SF_EERKSF_lbbbEUlllE_EE10hipError_tT0_T1_T2_jT3_P12ihipStream_tbPNSt15iterator_traitsISL_E10value_typeEPNSR_ISM_E10value_typeEPSN_NS1_7vsmem_tEENKUlT_SL_SM_SN_E_clIS8_S8_S9_S9_EESK_S10_SL_SM_SN_EUlS10_E_NS1_11comp_targetILNS1_3genE5ELNS1_11target_archE942ELNS1_3gpuE9ELNS1_3repE0EEENS1_48merge_mergepath_partition_config_static_selectorELNS0_4arch9wavefront6targetE1EEEvSM_,"axG",@progbits,_ZN7rocprim17ROCPRIM_400000_NS6detail17trampoline_kernelINS0_14default_configENS1_38merge_sort_block_merge_config_selectorIlNS0_10empty_typeEEEZZNS1_27merge_sort_block_merge_implIS3_PlPS5_mZN2at6native12_GLOBAL__N_124unique_dim_cuda_templateIsEESt5tupleIJNSA_6TensorESF_SF_EERKSF_lbbbEUlllE_EE10hipError_tT0_T1_T2_jT3_P12ihipStream_tbPNSt15iterator_traitsISL_E10value_typeEPNSR_ISM_E10value_typeEPSN_NS1_7vsmem_tEENKUlT_SL_SM_SN_E_clIS8_S8_S9_S9_EESK_S10_SL_SM_SN_EUlS10_E_NS1_11comp_targetILNS1_3genE5ELNS1_11target_archE942ELNS1_3gpuE9ELNS1_3repE0EEENS1_48merge_mergepath_partition_config_static_selectorELNS0_4arch9wavefront6targetE1EEEvSM_,comdat
.Lfunc_end638:
	.size	_ZN7rocprim17ROCPRIM_400000_NS6detail17trampoline_kernelINS0_14default_configENS1_38merge_sort_block_merge_config_selectorIlNS0_10empty_typeEEEZZNS1_27merge_sort_block_merge_implIS3_PlPS5_mZN2at6native12_GLOBAL__N_124unique_dim_cuda_templateIsEESt5tupleIJNSA_6TensorESF_SF_EERKSF_lbbbEUlllE_EE10hipError_tT0_T1_T2_jT3_P12ihipStream_tbPNSt15iterator_traitsISL_E10value_typeEPNSR_ISM_E10value_typeEPSN_NS1_7vsmem_tEENKUlT_SL_SM_SN_E_clIS8_S8_S9_S9_EESK_S10_SL_SM_SN_EUlS10_E_NS1_11comp_targetILNS1_3genE5ELNS1_11target_archE942ELNS1_3gpuE9ELNS1_3repE0EEENS1_48merge_mergepath_partition_config_static_selectorELNS0_4arch9wavefront6targetE1EEEvSM_, .Lfunc_end638-_ZN7rocprim17ROCPRIM_400000_NS6detail17trampoline_kernelINS0_14default_configENS1_38merge_sort_block_merge_config_selectorIlNS0_10empty_typeEEEZZNS1_27merge_sort_block_merge_implIS3_PlPS5_mZN2at6native12_GLOBAL__N_124unique_dim_cuda_templateIsEESt5tupleIJNSA_6TensorESF_SF_EERKSF_lbbbEUlllE_EE10hipError_tT0_T1_T2_jT3_P12ihipStream_tbPNSt15iterator_traitsISL_E10value_typeEPNSR_ISM_E10value_typeEPSN_NS1_7vsmem_tEENKUlT_SL_SM_SN_E_clIS8_S8_S9_S9_EESK_S10_SL_SM_SN_EUlS10_E_NS1_11comp_targetILNS1_3genE5ELNS1_11target_archE942ELNS1_3gpuE9ELNS1_3repE0EEENS1_48merge_mergepath_partition_config_static_selectorELNS0_4arch9wavefront6targetE1EEEvSM_
                                        ; -- End function
	.set _ZN7rocprim17ROCPRIM_400000_NS6detail17trampoline_kernelINS0_14default_configENS1_38merge_sort_block_merge_config_selectorIlNS0_10empty_typeEEEZZNS1_27merge_sort_block_merge_implIS3_PlPS5_mZN2at6native12_GLOBAL__N_124unique_dim_cuda_templateIsEESt5tupleIJNSA_6TensorESF_SF_EERKSF_lbbbEUlllE_EE10hipError_tT0_T1_T2_jT3_P12ihipStream_tbPNSt15iterator_traitsISL_E10value_typeEPNSR_ISM_E10value_typeEPSN_NS1_7vsmem_tEENKUlT_SL_SM_SN_E_clIS8_S8_S9_S9_EESK_S10_SL_SM_SN_EUlS10_E_NS1_11comp_targetILNS1_3genE5ELNS1_11target_archE942ELNS1_3gpuE9ELNS1_3repE0EEENS1_48merge_mergepath_partition_config_static_selectorELNS0_4arch9wavefront6targetE1EEEvSM_.num_vgpr, 0
	.set _ZN7rocprim17ROCPRIM_400000_NS6detail17trampoline_kernelINS0_14default_configENS1_38merge_sort_block_merge_config_selectorIlNS0_10empty_typeEEEZZNS1_27merge_sort_block_merge_implIS3_PlPS5_mZN2at6native12_GLOBAL__N_124unique_dim_cuda_templateIsEESt5tupleIJNSA_6TensorESF_SF_EERKSF_lbbbEUlllE_EE10hipError_tT0_T1_T2_jT3_P12ihipStream_tbPNSt15iterator_traitsISL_E10value_typeEPNSR_ISM_E10value_typeEPSN_NS1_7vsmem_tEENKUlT_SL_SM_SN_E_clIS8_S8_S9_S9_EESK_S10_SL_SM_SN_EUlS10_E_NS1_11comp_targetILNS1_3genE5ELNS1_11target_archE942ELNS1_3gpuE9ELNS1_3repE0EEENS1_48merge_mergepath_partition_config_static_selectorELNS0_4arch9wavefront6targetE1EEEvSM_.num_agpr, 0
	.set _ZN7rocprim17ROCPRIM_400000_NS6detail17trampoline_kernelINS0_14default_configENS1_38merge_sort_block_merge_config_selectorIlNS0_10empty_typeEEEZZNS1_27merge_sort_block_merge_implIS3_PlPS5_mZN2at6native12_GLOBAL__N_124unique_dim_cuda_templateIsEESt5tupleIJNSA_6TensorESF_SF_EERKSF_lbbbEUlllE_EE10hipError_tT0_T1_T2_jT3_P12ihipStream_tbPNSt15iterator_traitsISL_E10value_typeEPNSR_ISM_E10value_typeEPSN_NS1_7vsmem_tEENKUlT_SL_SM_SN_E_clIS8_S8_S9_S9_EESK_S10_SL_SM_SN_EUlS10_E_NS1_11comp_targetILNS1_3genE5ELNS1_11target_archE942ELNS1_3gpuE9ELNS1_3repE0EEENS1_48merge_mergepath_partition_config_static_selectorELNS0_4arch9wavefront6targetE1EEEvSM_.numbered_sgpr, 0
	.set _ZN7rocprim17ROCPRIM_400000_NS6detail17trampoline_kernelINS0_14default_configENS1_38merge_sort_block_merge_config_selectorIlNS0_10empty_typeEEEZZNS1_27merge_sort_block_merge_implIS3_PlPS5_mZN2at6native12_GLOBAL__N_124unique_dim_cuda_templateIsEESt5tupleIJNSA_6TensorESF_SF_EERKSF_lbbbEUlllE_EE10hipError_tT0_T1_T2_jT3_P12ihipStream_tbPNSt15iterator_traitsISL_E10value_typeEPNSR_ISM_E10value_typeEPSN_NS1_7vsmem_tEENKUlT_SL_SM_SN_E_clIS8_S8_S9_S9_EESK_S10_SL_SM_SN_EUlS10_E_NS1_11comp_targetILNS1_3genE5ELNS1_11target_archE942ELNS1_3gpuE9ELNS1_3repE0EEENS1_48merge_mergepath_partition_config_static_selectorELNS0_4arch9wavefront6targetE1EEEvSM_.num_named_barrier, 0
	.set _ZN7rocprim17ROCPRIM_400000_NS6detail17trampoline_kernelINS0_14default_configENS1_38merge_sort_block_merge_config_selectorIlNS0_10empty_typeEEEZZNS1_27merge_sort_block_merge_implIS3_PlPS5_mZN2at6native12_GLOBAL__N_124unique_dim_cuda_templateIsEESt5tupleIJNSA_6TensorESF_SF_EERKSF_lbbbEUlllE_EE10hipError_tT0_T1_T2_jT3_P12ihipStream_tbPNSt15iterator_traitsISL_E10value_typeEPNSR_ISM_E10value_typeEPSN_NS1_7vsmem_tEENKUlT_SL_SM_SN_E_clIS8_S8_S9_S9_EESK_S10_SL_SM_SN_EUlS10_E_NS1_11comp_targetILNS1_3genE5ELNS1_11target_archE942ELNS1_3gpuE9ELNS1_3repE0EEENS1_48merge_mergepath_partition_config_static_selectorELNS0_4arch9wavefront6targetE1EEEvSM_.private_seg_size, 0
	.set _ZN7rocprim17ROCPRIM_400000_NS6detail17trampoline_kernelINS0_14default_configENS1_38merge_sort_block_merge_config_selectorIlNS0_10empty_typeEEEZZNS1_27merge_sort_block_merge_implIS3_PlPS5_mZN2at6native12_GLOBAL__N_124unique_dim_cuda_templateIsEESt5tupleIJNSA_6TensorESF_SF_EERKSF_lbbbEUlllE_EE10hipError_tT0_T1_T2_jT3_P12ihipStream_tbPNSt15iterator_traitsISL_E10value_typeEPNSR_ISM_E10value_typeEPSN_NS1_7vsmem_tEENKUlT_SL_SM_SN_E_clIS8_S8_S9_S9_EESK_S10_SL_SM_SN_EUlS10_E_NS1_11comp_targetILNS1_3genE5ELNS1_11target_archE942ELNS1_3gpuE9ELNS1_3repE0EEENS1_48merge_mergepath_partition_config_static_selectorELNS0_4arch9wavefront6targetE1EEEvSM_.uses_vcc, 0
	.set _ZN7rocprim17ROCPRIM_400000_NS6detail17trampoline_kernelINS0_14default_configENS1_38merge_sort_block_merge_config_selectorIlNS0_10empty_typeEEEZZNS1_27merge_sort_block_merge_implIS3_PlPS5_mZN2at6native12_GLOBAL__N_124unique_dim_cuda_templateIsEESt5tupleIJNSA_6TensorESF_SF_EERKSF_lbbbEUlllE_EE10hipError_tT0_T1_T2_jT3_P12ihipStream_tbPNSt15iterator_traitsISL_E10value_typeEPNSR_ISM_E10value_typeEPSN_NS1_7vsmem_tEENKUlT_SL_SM_SN_E_clIS8_S8_S9_S9_EESK_S10_SL_SM_SN_EUlS10_E_NS1_11comp_targetILNS1_3genE5ELNS1_11target_archE942ELNS1_3gpuE9ELNS1_3repE0EEENS1_48merge_mergepath_partition_config_static_selectorELNS0_4arch9wavefront6targetE1EEEvSM_.uses_flat_scratch, 0
	.set _ZN7rocprim17ROCPRIM_400000_NS6detail17trampoline_kernelINS0_14default_configENS1_38merge_sort_block_merge_config_selectorIlNS0_10empty_typeEEEZZNS1_27merge_sort_block_merge_implIS3_PlPS5_mZN2at6native12_GLOBAL__N_124unique_dim_cuda_templateIsEESt5tupleIJNSA_6TensorESF_SF_EERKSF_lbbbEUlllE_EE10hipError_tT0_T1_T2_jT3_P12ihipStream_tbPNSt15iterator_traitsISL_E10value_typeEPNSR_ISM_E10value_typeEPSN_NS1_7vsmem_tEENKUlT_SL_SM_SN_E_clIS8_S8_S9_S9_EESK_S10_SL_SM_SN_EUlS10_E_NS1_11comp_targetILNS1_3genE5ELNS1_11target_archE942ELNS1_3gpuE9ELNS1_3repE0EEENS1_48merge_mergepath_partition_config_static_selectorELNS0_4arch9wavefront6targetE1EEEvSM_.has_dyn_sized_stack, 0
	.set _ZN7rocprim17ROCPRIM_400000_NS6detail17trampoline_kernelINS0_14default_configENS1_38merge_sort_block_merge_config_selectorIlNS0_10empty_typeEEEZZNS1_27merge_sort_block_merge_implIS3_PlPS5_mZN2at6native12_GLOBAL__N_124unique_dim_cuda_templateIsEESt5tupleIJNSA_6TensorESF_SF_EERKSF_lbbbEUlllE_EE10hipError_tT0_T1_T2_jT3_P12ihipStream_tbPNSt15iterator_traitsISL_E10value_typeEPNSR_ISM_E10value_typeEPSN_NS1_7vsmem_tEENKUlT_SL_SM_SN_E_clIS8_S8_S9_S9_EESK_S10_SL_SM_SN_EUlS10_E_NS1_11comp_targetILNS1_3genE5ELNS1_11target_archE942ELNS1_3gpuE9ELNS1_3repE0EEENS1_48merge_mergepath_partition_config_static_selectorELNS0_4arch9wavefront6targetE1EEEvSM_.has_recursion, 0
	.set _ZN7rocprim17ROCPRIM_400000_NS6detail17trampoline_kernelINS0_14default_configENS1_38merge_sort_block_merge_config_selectorIlNS0_10empty_typeEEEZZNS1_27merge_sort_block_merge_implIS3_PlPS5_mZN2at6native12_GLOBAL__N_124unique_dim_cuda_templateIsEESt5tupleIJNSA_6TensorESF_SF_EERKSF_lbbbEUlllE_EE10hipError_tT0_T1_T2_jT3_P12ihipStream_tbPNSt15iterator_traitsISL_E10value_typeEPNSR_ISM_E10value_typeEPSN_NS1_7vsmem_tEENKUlT_SL_SM_SN_E_clIS8_S8_S9_S9_EESK_S10_SL_SM_SN_EUlS10_E_NS1_11comp_targetILNS1_3genE5ELNS1_11target_archE942ELNS1_3gpuE9ELNS1_3repE0EEENS1_48merge_mergepath_partition_config_static_selectorELNS0_4arch9wavefront6targetE1EEEvSM_.has_indirect_call, 0
	.section	.AMDGPU.csdata,"",@progbits
; Kernel info:
; codeLenInByte = 0
; TotalNumSgprs: 6
; NumVgprs: 0
; NumAgprs: 0
; TotalNumVgprs: 0
; ScratchSize: 0
; MemoryBound: 0
; FloatMode: 240
; IeeeMode: 1
; LDSByteSize: 0 bytes/workgroup (compile time only)
; SGPRBlocks: 0
; VGPRBlocks: 0
; NumSGPRsForWavesPerEU: 6
; NumVGPRsForWavesPerEU: 1
; AccumOffset: 4
; Occupancy: 8
; WaveLimiterHint : 0
; COMPUTE_PGM_RSRC2:SCRATCH_EN: 0
; COMPUTE_PGM_RSRC2:USER_SGPR: 2
; COMPUTE_PGM_RSRC2:TRAP_HANDLER: 0
; COMPUTE_PGM_RSRC2:TGID_X_EN: 1
; COMPUTE_PGM_RSRC2:TGID_Y_EN: 0
; COMPUTE_PGM_RSRC2:TGID_Z_EN: 0
; COMPUTE_PGM_RSRC2:TIDIG_COMP_CNT: 0
; COMPUTE_PGM_RSRC3_GFX90A:ACCUM_OFFSET: 0
; COMPUTE_PGM_RSRC3_GFX90A:TG_SPLIT: 0
	.section	.text._ZN7rocprim17ROCPRIM_400000_NS6detail17trampoline_kernelINS0_14default_configENS1_38merge_sort_block_merge_config_selectorIlNS0_10empty_typeEEEZZNS1_27merge_sort_block_merge_implIS3_PlPS5_mZN2at6native12_GLOBAL__N_124unique_dim_cuda_templateIsEESt5tupleIJNSA_6TensorESF_SF_EERKSF_lbbbEUlllE_EE10hipError_tT0_T1_T2_jT3_P12ihipStream_tbPNSt15iterator_traitsISL_E10value_typeEPNSR_ISM_E10value_typeEPSN_NS1_7vsmem_tEENKUlT_SL_SM_SN_E_clIS8_S8_S9_S9_EESK_S10_SL_SM_SN_EUlS10_E_NS1_11comp_targetILNS1_3genE4ELNS1_11target_archE910ELNS1_3gpuE8ELNS1_3repE0EEENS1_48merge_mergepath_partition_config_static_selectorELNS0_4arch9wavefront6targetE1EEEvSM_,"axG",@progbits,_ZN7rocprim17ROCPRIM_400000_NS6detail17trampoline_kernelINS0_14default_configENS1_38merge_sort_block_merge_config_selectorIlNS0_10empty_typeEEEZZNS1_27merge_sort_block_merge_implIS3_PlPS5_mZN2at6native12_GLOBAL__N_124unique_dim_cuda_templateIsEESt5tupleIJNSA_6TensorESF_SF_EERKSF_lbbbEUlllE_EE10hipError_tT0_T1_T2_jT3_P12ihipStream_tbPNSt15iterator_traitsISL_E10value_typeEPNSR_ISM_E10value_typeEPSN_NS1_7vsmem_tEENKUlT_SL_SM_SN_E_clIS8_S8_S9_S9_EESK_S10_SL_SM_SN_EUlS10_E_NS1_11comp_targetILNS1_3genE4ELNS1_11target_archE910ELNS1_3gpuE8ELNS1_3repE0EEENS1_48merge_mergepath_partition_config_static_selectorELNS0_4arch9wavefront6targetE1EEEvSM_,comdat
	.globl	_ZN7rocprim17ROCPRIM_400000_NS6detail17trampoline_kernelINS0_14default_configENS1_38merge_sort_block_merge_config_selectorIlNS0_10empty_typeEEEZZNS1_27merge_sort_block_merge_implIS3_PlPS5_mZN2at6native12_GLOBAL__N_124unique_dim_cuda_templateIsEESt5tupleIJNSA_6TensorESF_SF_EERKSF_lbbbEUlllE_EE10hipError_tT0_T1_T2_jT3_P12ihipStream_tbPNSt15iterator_traitsISL_E10value_typeEPNSR_ISM_E10value_typeEPSN_NS1_7vsmem_tEENKUlT_SL_SM_SN_E_clIS8_S8_S9_S9_EESK_S10_SL_SM_SN_EUlS10_E_NS1_11comp_targetILNS1_3genE4ELNS1_11target_archE910ELNS1_3gpuE8ELNS1_3repE0EEENS1_48merge_mergepath_partition_config_static_selectorELNS0_4arch9wavefront6targetE1EEEvSM_ ; -- Begin function _ZN7rocprim17ROCPRIM_400000_NS6detail17trampoline_kernelINS0_14default_configENS1_38merge_sort_block_merge_config_selectorIlNS0_10empty_typeEEEZZNS1_27merge_sort_block_merge_implIS3_PlPS5_mZN2at6native12_GLOBAL__N_124unique_dim_cuda_templateIsEESt5tupleIJNSA_6TensorESF_SF_EERKSF_lbbbEUlllE_EE10hipError_tT0_T1_T2_jT3_P12ihipStream_tbPNSt15iterator_traitsISL_E10value_typeEPNSR_ISM_E10value_typeEPSN_NS1_7vsmem_tEENKUlT_SL_SM_SN_E_clIS8_S8_S9_S9_EESK_S10_SL_SM_SN_EUlS10_E_NS1_11comp_targetILNS1_3genE4ELNS1_11target_archE910ELNS1_3gpuE8ELNS1_3repE0EEENS1_48merge_mergepath_partition_config_static_selectorELNS0_4arch9wavefront6targetE1EEEvSM_
	.p2align	8
	.type	_ZN7rocprim17ROCPRIM_400000_NS6detail17trampoline_kernelINS0_14default_configENS1_38merge_sort_block_merge_config_selectorIlNS0_10empty_typeEEEZZNS1_27merge_sort_block_merge_implIS3_PlPS5_mZN2at6native12_GLOBAL__N_124unique_dim_cuda_templateIsEESt5tupleIJNSA_6TensorESF_SF_EERKSF_lbbbEUlllE_EE10hipError_tT0_T1_T2_jT3_P12ihipStream_tbPNSt15iterator_traitsISL_E10value_typeEPNSR_ISM_E10value_typeEPSN_NS1_7vsmem_tEENKUlT_SL_SM_SN_E_clIS8_S8_S9_S9_EESK_S10_SL_SM_SN_EUlS10_E_NS1_11comp_targetILNS1_3genE4ELNS1_11target_archE910ELNS1_3gpuE8ELNS1_3repE0EEENS1_48merge_mergepath_partition_config_static_selectorELNS0_4arch9wavefront6targetE1EEEvSM_,@function
_ZN7rocprim17ROCPRIM_400000_NS6detail17trampoline_kernelINS0_14default_configENS1_38merge_sort_block_merge_config_selectorIlNS0_10empty_typeEEEZZNS1_27merge_sort_block_merge_implIS3_PlPS5_mZN2at6native12_GLOBAL__N_124unique_dim_cuda_templateIsEESt5tupleIJNSA_6TensorESF_SF_EERKSF_lbbbEUlllE_EE10hipError_tT0_T1_T2_jT3_P12ihipStream_tbPNSt15iterator_traitsISL_E10value_typeEPNSR_ISM_E10value_typeEPSN_NS1_7vsmem_tEENKUlT_SL_SM_SN_E_clIS8_S8_S9_S9_EESK_S10_SL_SM_SN_EUlS10_E_NS1_11comp_targetILNS1_3genE4ELNS1_11target_archE910ELNS1_3gpuE8ELNS1_3repE0EEENS1_48merge_mergepath_partition_config_static_selectorELNS0_4arch9wavefront6targetE1EEEvSM_: ; @_ZN7rocprim17ROCPRIM_400000_NS6detail17trampoline_kernelINS0_14default_configENS1_38merge_sort_block_merge_config_selectorIlNS0_10empty_typeEEEZZNS1_27merge_sort_block_merge_implIS3_PlPS5_mZN2at6native12_GLOBAL__N_124unique_dim_cuda_templateIsEESt5tupleIJNSA_6TensorESF_SF_EERKSF_lbbbEUlllE_EE10hipError_tT0_T1_T2_jT3_P12ihipStream_tbPNSt15iterator_traitsISL_E10value_typeEPNSR_ISM_E10value_typeEPSN_NS1_7vsmem_tEENKUlT_SL_SM_SN_E_clIS8_S8_S9_S9_EESK_S10_SL_SM_SN_EUlS10_E_NS1_11comp_targetILNS1_3genE4ELNS1_11target_archE910ELNS1_3gpuE8ELNS1_3repE0EEENS1_48merge_mergepath_partition_config_static_selectorELNS0_4arch9wavefront6targetE1EEEvSM_
; %bb.0:
	.section	.rodata,"a",@progbits
	.p2align	6, 0x0
	.amdhsa_kernel _ZN7rocprim17ROCPRIM_400000_NS6detail17trampoline_kernelINS0_14default_configENS1_38merge_sort_block_merge_config_selectorIlNS0_10empty_typeEEEZZNS1_27merge_sort_block_merge_implIS3_PlPS5_mZN2at6native12_GLOBAL__N_124unique_dim_cuda_templateIsEESt5tupleIJNSA_6TensorESF_SF_EERKSF_lbbbEUlllE_EE10hipError_tT0_T1_T2_jT3_P12ihipStream_tbPNSt15iterator_traitsISL_E10value_typeEPNSR_ISM_E10value_typeEPSN_NS1_7vsmem_tEENKUlT_SL_SM_SN_E_clIS8_S8_S9_S9_EESK_S10_SL_SM_SN_EUlS10_E_NS1_11comp_targetILNS1_3genE4ELNS1_11target_archE910ELNS1_3gpuE8ELNS1_3repE0EEENS1_48merge_mergepath_partition_config_static_selectorELNS0_4arch9wavefront6targetE1EEEvSM_
		.amdhsa_group_segment_fixed_size 0
		.amdhsa_private_segment_fixed_size 0
		.amdhsa_kernarg_size 56
		.amdhsa_user_sgpr_count 2
		.amdhsa_user_sgpr_dispatch_ptr 0
		.amdhsa_user_sgpr_queue_ptr 0
		.amdhsa_user_sgpr_kernarg_segment_ptr 1
		.amdhsa_user_sgpr_dispatch_id 0
		.amdhsa_user_sgpr_kernarg_preload_length 0
		.amdhsa_user_sgpr_kernarg_preload_offset 0
		.amdhsa_user_sgpr_private_segment_size 0
		.amdhsa_uses_dynamic_stack 0
		.amdhsa_enable_private_segment 0
		.amdhsa_system_sgpr_workgroup_id_x 1
		.amdhsa_system_sgpr_workgroup_id_y 0
		.amdhsa_system_sgpr_workgroup_id_z 0
		.amdhsa_system_sgpr_workgroup_info 0
		.amdhsa_system_vgpr_workitem_id 0
		.amdhsa_next_free_vgpr 1
		.amdhsa_next_free_sgpr 0
		.amdhsa_accum_offset 4
		.amdhsa_reserve_vcc 0
		.amdhsa_float_round_mode_32 0
		.amdhsa_float_round_mode_16_64 0
		.amdhsa_float_denorm_mode_32 3
		.amdhsa_float_denorm_mode_16_64 3
		.amdhsa_dx10_clamp 1
		.amdhsa_ieee_mode 1
		.amdhsa_fp16_overflow 0
		.amdhsa_tg_split 0
		.amdhsa_exception_fp_ieee_invalid_op 0
		.amdhsa_exception_fp_denorm_src 0
		.amdhsa_exception_fp_ieee_div_zero 0
		.amdhsa_exception_fp_ieee_overflow 0
		.amdhsa_exception_fp_ieee_underflow 0
		.amdhsa_exception_fp_ieee_inexact 0
		.amdhsa_exception_int_div_zero 0
	.end_amdhsa_kernel
	.section	.text._ZN7rocprim17ROCPRIM_400000_NS6detail17trampoline_kernelINS0_14default_configENS1_38merge_sort_block_merge_config_selectorIlNS0_10empty_typeEEEZZNS1_27merge_sort_block_merge_implIS3_PlPS5_mZN2at6native12_GLOBAL__N_124unique_dim_cuda_templateIsEESt5tupleIJNSA_6TensorESF_SF_EERKSF_lbbbEUlllE_EE10hipError_tT0_T1_T2_jT3_P12ihipStream_tbPNSt15iterator_traitsISL_E10value_typeEPNSR_ISM_E10value_typeEPSN_NS1_7vsmem_tEENKUlT_SL_SM_SN_E_clIS8_S8_S9_S9_EESK_S10_SL_SM_SN_EUlS10_E_NS1_11comp_targetILNS1_3genE4ELNS1_11target_archE910ELNS1_3gpuE8ELNS1_3repE0EEENS1_48merge_mergepath_partition_config_static_selectorELNS0_4arch9wavefront6targetE1EEEvSM_,"axG",@progbits,_ZN7rocprim17ROCPRIM_400000_NS6detail17trampoline_kernelINS0_14default_configENS1_38merge_sort_block_merge_config_selectorIlNS0_10empty_typeEEEZZNS1_27merge_sort_block_merge_implIS3_PlPS5_mZN2at6native12_GLOBAL__N_124unique_dim_cuda_templateIsEESt5tupleIJNSA_6TensorESF_SF_EERKSF_lbbbEUlllE_EE10hipError_tT0_T1_T2_jT3_P12ihipStream_tbPNSt15iterator_traitsISL_E10value_typeEPNSR_ISM_E10value_typeEPSN_NS1_7vsmem_tEENKUlT_SL_SM_SN_E_clIS8_S8_S9_S9_EESK_S10_SL_SM_SN_EUlS10_E_NS1_11comp_targetILNS1_3genE4ELNS1_11target_archE910ELNS1_3gpuE8ELNS1_3repE0EEENS1_48merge_mergepath_partition_config_static_selectorELNS0_4arch9wavefront6targetE1EEEvSM_,comdat
.Lfunc_end639:
	.size	_ZN7rocprim17ROCPRIM_400000_NS6detail17trampoline_kernelINS0_14default_configENS1_38merge_sort_block_merge_config_selectorIlNS0_10empty_typeEEEZZNS1_27merge_sort_block_merge_implIS3_PlPS5_mZN2at6native12_GLOBAL__N_124unique_dim_cuda_templateIsEESt5tupleIJNSA_6TensorESF_SF_EERKSF_lbbbEUlllE_EE10hipError_tT0_T1_T2_jT3_P12ihipStream_tbPNSt15iterator_traitsISL_E10value_typeEPNSR_ISM_E10value_typeEPSN_NS1_7vsmem_tEENKUlT_SL_SM_SN_E_clIS8_S8_S9_S9_EESK_S10_SL_SM_SN_EUlS10_E_NS1_11comp_targetILNS1_3genE4ELNS1_11target_archE910ELNS1_3gpuE8ELNS1_3repE0EEENS1_48merge_mergepath_partition_config_static_selectorELNS0_4arch9wavefront6targetE1EEEvSM_, .Lfunc_end639-_ZN7rocprim17ROCPRIM_400000_NS6detail17trampoline_kernelINS0_14default_configENS1_38merge_sort_block_merge_config_selectorIlNS0_10empty_typeEEEZZNS1_27merge_sort_block_merge_implIS3_PlPS5_mZN2at6native12_GLOBAL__N_124unique_dim_cuda_templateIsEESt5tupleIJNSA_6TensorESF_SF_EERKSF_lbbbEUlllE_EE10hipError_tT0_T1_T2_jT3_P12ihipStream_tbPNSt15iterator_traitsISL_E10value_typeEPNSR_ISM_E10value_typeEPSN_NS1_7vsmem_tEENKUlT_SL_SM_SN_E_clIS8_S8_S9_S9_EESK_S10_SL_SM_SN_EUlS10_E_NS1_11comp_targetILNS1_3genE4ELNS1_11target_archE910ELNS1_3gpuE8ELNS1_3repE0EEENS1_48merge_mergepath_partition_config_static_selectorELNS0_4arch9wavefront6targetE1EEEvSM_
                                        ; -- End function
	.set _ZN7rocprim17ROCPRIM_400000_NS6detail17trampoline_kernelINS0_14default_configENS1_38merge_sort_block_merge_config_selectorIlNS0_10empty_typeEEEZZNS1_27merge_sort_block_merge_implIS3_PlPS5_mZN2at6native12_GLOBAL__N_124unique_dim_cuda_templateIsEESt5tupleIJNSA_6TensorESF_SF_EERKSF_lbbbEUlllE_EE10hipError_tT0_T1_T2_jT3_P12ihipStream_tbPNSt15iterator_traitsISL_E10value_typeEPNSR_ISM_E10value_typeEPSN_NS1_7vsmem_tEENKUlT_SL_SM_SN_E_clIS8_S8_S9_S9_EESK_S10_SL_SM_SN_EUlS10_E_NS1_11comp_targetILNS1_3genE4ELNS1_11target_archE910ELNS1_3gpuE8ELNS1_3repE0EEENS1_48merge_mergepath_partition_config_static_selectorELNS0_4arch9wavefront6targetE1EEEvSM_.num_vgpr, 0
	.set _ZN7rocprim17ROCPRIM_400000_NS6detail17trampoline_kernelINS0_14default_configENS1_38merge_sort_block_merge_config_selectorIlNS0_10empty_typeEEEZZNS1_27merge_sort_block_merge_implIS3_PlPS5_mZN2at6native12_GLOBAL__N_124unique_dim_cuda_templateIsEESt5tupleIJNSA_6TensorESF_SF_EERKSF_lbbbEUlllE_EE10hipError_tT0_T1_T2_jT3_P12ihipStream_tbPNSt15iterator_traitsISL_E10value_typeEPNSR_ISM_E10value_typeEPSN_NS1_7vsmem_tEENKUlT_SL_SM_SN_E_clIS8_S8_S9_S9_EESK_S10_SL_SM_SN_EUlS10_E_NS1_11comp_targetILNS1_3genE4ELNS1_11target_archE910ELNS1_3gpuE8ELNS1_3repE0EEENS1_48merge_mergepath_partition_config_static_selectorELNS0_4arch9wavefront6targetE1EEEvSM_.num_agpr, 0
	.set _ZN7rocprim17ROCPRIM_400000_NS6detail17trampoline_kernelINS0_14default_configENS1_38merge_sort_block_merge_config_selectorIlNS0_10empty_typeEEEZZNS1_27merge_sort_block_merge_implIS3_PlPS5_mZN2at6native12_GLOBAL__N_124unique_dim_cuda_templateIsEESt5tupleIJNSA_6TensorESF_SF_EERKSF_lbbbEUlllE_EE10hipError_tT0_T1_T2_jT3_P12ihipStream_tbPNSt15iterator_traitsISL_E10value_typeEPNSR_ISM_E10value_typeEPSN_NS1_7vsmem_tEENKUlT_SL_SM_SN_E_clIS8_S8_S9_S9_EESK_S10_SL_SM_SN_EUlS10_E_NS1_11comp_targetILNS1_3genE4ELNS1_11target_archE910ELNS1_3gpuE8ELNS1_3repE0EEENS1_48merge_mergepath_partition_config_static_selectorELNS0_4arch9wavefront6targetE1EEEvSM_.numbered_sgpr, 0
	.set _ZN7rocprim17ROCPRIM_400000_NS6detail17trampoline_kernelINS0_14default_configENS1_38merge_sort_block_merge_config_selectorIlNS0_10empty_typeEEEZZNS1_27merge_sort_block_merge_implIS3_PlPS5_mZN2at6native12_GLOBAL__N_124unique_dim_cuda_templateIsEESt5tupleIJNSA_6TensorESF_SF_EERKSF_lbbbEUlllE_EE10hipError_tT0_T1_T2_jT3_P12ihipStream_tbPNSt15iterator_traitsISL_E10value_typeEPNSR_ISM_E10value_typeEPSN_NS1_7vsmem_tEENKUlT_SL_SM_SN_E_clIS8_S8_S9_S9_EESK_S10_SL_SM_SN_EUlS10_E_NS1_11comp_targetILNS1_3genE4ELNS1_11target_archE910ELNS1_3gpuE8ELNS1_3repE0EEENS1_48merge_mergepath_partition_config_static_selectorELNS0_4arch9wavefront6targetE1EEEvSM_.num_named_barrier, 0
	.set _ZN7rocprim17ROCPRIM_400000_NS6detail17trampoline_kernelINS0_14default_configENS1_38merge_sort_block_merge_config_selectorIlNS0_10empty_typeEEEZZNS1_27merge_sort_block_merge_implIS3_PlPS5_mZN2at6native12_GLOBAL__N_124unique_dim_cuda_templateIsEESt5tupleIJNSA_6TensorESF_SF_EERKSF_lbbbEUlllE_EE10hipError_tT0_T1_T2_jT3_P12ihipStream_tbPNSt15iterator_traitsISL_E10value_typeEPNSR_ISM_E10value_typeEPSN_NS1_7vsmem_tEENKUlT_SL_SM_SN_E_clIS8_S8_S9_S9_EESK_S10_SL_SM_SN_EUlS10_E_NS1_11comp_targetILNS1_3genE4ELNS1_11target_archE910ELNS1_3gpuE8ELNS1_3repE0EEENS1_48merge_mergepath_partition_config_static_selectorELNS0_4arch9wavefront6targetE1EEEvSM_.private_seg_size, 0
	.set _ZN7rocprim17ROCPRIM_400000_NS6detail17trampoline_kernelINS0_14default_configENS1_38merge_sort_block_merge_config_selectorIlNS0_10empty_typeEEEZZNS1_27merge_sort_block_merge_implIS3_PlPS5_mZN2at6native12_GLOBAL__N_124unique_dim_cuda_templateIsEESt5tupleIJNSA_6TensorESF_SF_EERKSF_lbbbEUlllE_EE10hipError_tT0_T1_T2_jT3_P12ihipStream_tbPNSt15iterator_traitsISL_E10value_typeEPNSR_ISM_E10value_typeEPSN_NS1_7vsmem_tEENKUlT_SL_SM_SN_E_clIS8_S8_S9_S9_EESK_S10_SL_SM_SN_EUlS10_E_NS1_11comp_targetILNS1_3genE4ELNS1_11target_archE910ELNS1_3gpuE8ELNS1_3repE0EEENS1_48merge_mergepath_partition_config_static_selectorELNS0_4arch9wavefront6targetE1EEEvSM_.uses_vcc, 0
	.set _ZN7rocprim17ROCPRIM_400000_NS6detail17trampoline_kernelINS0_14default_configENS1_38merge_sort_block_merge_config_selectorIlNS0_10empty_typeEEEZZNS1_27merge_sort_block_merge_implIS3_PlPS5_mZN2at6native12_GLOBAL__N_124unique_dim_cuda_templateIsEESt5tupleIJNSA_6TensorESF_SF_EERKSF_lbbbEUlllE_EE10hipError_tT0_T1_T2_jT3_P12ihipStream_tbPNSt15iterator_traitsISL_E10value_typeEPNSR_ISM_E10value_typeEPSN_NS1_7vsmem_tEENKUlT_SL_SM_SN_E_clIS8_S8_S9_S9_EESK_S10_SL_SM_SN_EUlS10_E_NS1_11comp_targetILNS1_3genE4ELNS1_11target_archE910ELNS1_3gpuE8ELNS1_3repE0EEENS1_48merge_mergepath_partition_config_static_selectorELNS0_4arch9wavefront6targetE1EEEvSM_.uses_flat_scratch, 0
	.set _ZN7rocprim17ROCPRIM_400000_NS6detail17trampoline_kernelINS0_14default_configENS1_38merge_sort_block_merge_config_selectorIlNS0_10empty_typeEEEZZNS1_27merge_sort_block_merge_implIS3_PlPS5_mZN2at6native12_GLOBAL__N_124unique_dim_cuda_templateIsEESt5tupleIJNSA_6TensorESF_SF_EERKSF_lbbbEUlllE_EE10hipError_tT0_T1_T2_jT3_P12ihipStream_tbPNSt15iterator_traitsISL_E10value_typeEPNSR_ISM_E10value_typeEPSN_NS1_7vsmem_tEENKUlT_SL_SM_SN_E_clIS8_S8_S9_S9_EESK_S10_SL_SM_SN_EUlS10_E_NS1_11comp_targetILNS1_3genE4ELNS1_11target_archE910ELNS1_3gpuE8ELNS1_3repE0EEENS1_48merge_mergepath_partition_config_static_selectorELNS0_4arch9wavefront6targetE1EEEvSM_.has_dyn_sized_stack, 0
	.set _ZN7rocprim17ROCPRIM_400000_NS6detail17trampoline_kernelINS0_14default_configENS1_38merge_sort_block_merge_config_selectorIlNS0_10empty_typeEEEZZNS1_27merge_sort_block_merge_implIS3_PlPS5_mZN2at6native12_GLOBAL__N_124unique_dim_cuda_templateIsEESt5tupleIJNSA_6TensorESF_SF_EERKSF_lbbbEUlllE_EE10hipError_tT0_T1_T2_jT3_P12ihipStream_tbPNSt15iterator_traitsISL_E10value_typeEPNSR_ISM_E10value_typeEPSN_NS1_7vsmem_tEENKUlT_SL_SM_SN_E_clIS8_S8_S9_S9_EESK_S10_SL_SM_SN_EUlS10_E_NS1_11comp_targetILNS1_3genE4ELNS1_11target_archE910ELNS1_3gpuE8ELNS1_3repE0EEENS1_48merge_mergepath_partition_config_static_selectorELNS0_4arch9wavefront6targetE1EEEvSM_.has_recursion, 0
	.set _ZN7rocprim17ROCPRIM_400000_NS6detail17trampoline_kernelINS0_14default_configENS1_38merge_sort_block_merge_config_selectorIlNS0_10empty_typeEEEZZNS1_27merge_sort_block_merge_implIS3_PlPS5_mZN2at6native12_GLOBAL__N_124unique_dim_cuda_templateIsEESt5tupleIJNSA_6TensorESF_SF_EERKSF_lbbbEUlllE_EE10hipError_tT0_T1_T2_jT3_P12ihipStream_tbPNSt15iterator_traitsISL_E10value_typeEPNSR_ISM_E10value_typeEPSN_NS1_7vsmem_tEENKUlT_SL_SM_SN_E_clIS8_S8_S9_S9_EESK_S10_SL_SM_SN_EUlS10_E_NS1_11comp_targetILNS1_3genE4ELNS1_11target_archE910ELNS1_3gpuE8ELNS1_3repE0EEENS1_48merge_mergepath_partition_config_static_selectorELNS0_4arch9wavefront6targetE1EEEvSM_.has_indirect_call, 0
	.section	.AMDGPU.csdata,"",@progbits
; Kernel info:
; codeLenInByte = 0
; TotalNumSgprs: 6
; NumVgprs: 0
; NumAgprs: 0
; TotalNumVgprs: 0
; ScratchSize: 0
; MemoryBound: 0
; FloatMode: 240
; IeeeMode: 1
; LDSByteSize: 0 bytes/workgroup (compile time only)
; SGPRBlocks: 0
; VGPRBlocks: 0
; NumSGPRsForWavesPerEU: 6
; NumVGPRsForWavesPerEU: 1
; AccumOffset: 4
; Occupancy: 8
; WaveLimiterHint : 0
; COMPUTE_PGM_RSRC2:SCRATCH_EN: 0
; COMPUTE_PGM_RSRC2:USER_SGPR: 2
; COMPUTE_PGM_RSRC2:TRAP_HANDLER: 0
; COMPUTE_PGM_RSRC2:TGID_X_EN: 1
; COMPUTE_PGM_RSRC2:TGID_Y_EN: 0
; COMPUTE_PGM_RSRC2:TGID_Z_EN: 0
; COMPUTE_PGM_RSRC2:TIDIG_COMP_CNT: 0
; COMPUTE_PGM_RSRC3_GFX90A:ACCUM_OFFSET: 0
; COMPUTE_PGM_RSRC3_GFX90A:TG_SPLIT: 0
	.section	.text._ZN7rocprim17ROCPRIM_400000_NS6detail17trampoline_kernelINS0_14default_configENS1_38merge_sort_block_merge_config_selectorIlNS0_10empty_typeEEEZZNS1_27merge_sort_block_merge_implIS3_PlPS5_mZN2at6native12_GLOBAL__N_124unique_dim_cuda_templateIsEESt5tupleIJNSA_6TensorESF_SF_EERKSF_lbbbEUlllE_EE10hipError_tT0_T1_T2_jT3_P12ihipStream_tbPNSt15iterator_traitsISL_E10value_typeEPNSR_ISM_E10value_typeEPSN_NS1_7vsmem_tEENKUlT_SL_SM_SN_E_clIS8_S8_S9_S9_EESK_S10_SL_SM_SN_EUlS10_E_NS1_11comp_targetILNS1_3genE3ELNS1_11target_archE908ELNS1_3gpuE7ELNS1_3repE0EEENS1_48merge_mergepath_partition_config_static_selectorELNS0_4arch9wavefront6targetE1EEEvSM_,"axG",@progbits,_ZN7rocprim17ROCPRIM_400000_NS6detail17trampoline_kernelINS0_14default_configENS1_38merge_sort_block_merge_config_selectorIlNS0_10empty_typeEEEZZNS1_27merge_sort_block_merge_implIS3_PlPS5_mZN2at6native12_GLOBAL__N_124unique_dim_cuda_templateIsEESt5tupleIJNSA_6TensorESF_SF_EERKSF_lbbbEUlllE_EE10hipError_tT0_T1_T2_jT3_P12ihipStream_tbPNSt15iterator_traitsISL_E10value_typeEPNSR_ISM_E10value_typeEPSN_NS1_7vsmem_tEENKUlT_SL_SM_SN_E_clIS8_S8_S9_S9_EESK_S10_SL_SM_SN_EUlS10_E_NS1_11comp_targetILNS1_3genE3ELNS1_11target_archE908ELNS1_3gpuE7ELNS1_3repE0EEENS1_48merge_mergepath_partition_config_static_selectorELNS0_4arch9wavefront6targetE1EEEvSM_,comdat
	.globl	_ZN7rocprim17ROCPRIM_400000_NS6detail17trampoline_kernelINS0_14default_configENS1_38merge_sort_block_merge_config_selectorIlNS0_10empty_typeEEEZZNS1_27merge_sort_block_merge_implIS3_PlPS5_mZN2at6native12_GLOBAL__N_124unique_dim_cuda_templateIsEESt5tupleIJNSA_6TensorESF_SF_EERKSF_lbbbEUlllE_EE10hipError_tT0_T1_T2_jT3_P12ihipStream_tbPNSt15iterator_traitsISL_E10value_typeEPNSR_ISM_E10value_typeEPSN_NS1_7vsmem_tEENKUlT_SL_SM_SN_E_clIS8_S8_S9_S9_EESK_S10_SL_SM_SN_EUlS10_E_NS1_11comp_targetILNS1_3genE3ELNS1_11target_archE908ELNS1_3gpuE7ELNS1_3repE0EEENS1_48merge_mergepath_partition_config_static_selectorELNS0_4arch9wavefront6targetE1EEEvSM_ ; -- Begin function _ZN7rocprim17ROCPRIM_400000_NS6detail17trampoline_kernelINS0_14default_configENS1_38merge_sort_block_merge_config_selectorIlNS0_10empty_typeEEEZZNS1_27merge_sort_block_merge_implIS3_PlPS5_mZN2at6native12_GLOBAL__N_124unique_dim_cuda_templateIsEESt5tupleIJNSA_6TensorESF_SF_EERKSF_lbbbEUlllE_EE10hipError_tT0_T1_T2_jT3_P12ihipStream_tbPNSt15iterator_traitsISL_E10value_typeEPNSR_ISM_E10value_typeEPSN_NS1_7vsmem_tEENKUlT_SL_SM_SN_E_clIS8_S8_S9_S9_EESK_S10_SL_SM_SN_EUlS10_E_NS1_11comp_targetILNS1_3genE3ELNS1_11target_archE908ELNS1_3gpuE7ELNS1_3repE0EEENS1_48merge_mergepath_partition_config_static_selectorELNS0_4arch9wavefront6targetE1EEEvSM_
	.p2align	8
	.type	_ZN7rocprim17ROCPRIM_400000_NS6detail17trampoline_kernelINS0_14default_configENS1_38merge_sort_block_merge_config_selectorIlNS0_10empty_typeEEEZZNS1_27merge_sort_block_merge_implIS3_PlPS5_mZN2at6native12_GLOBAL__N_124unique_dim_cuda_templateIsEESt5tupleIJNSA_6TensorESF_SF_EERKSF_lbbbEUlllE_EE10hipError_tT0_T1_T2_jT3_P12ihipStream_tbPNSt15iterator_traitsISL_E10value_typeEPNSR_ISM_E10value_typeEPSN_NS1_7vsmem_tEENKUlT_SL_SM_SN_E_clIS8_S8_S9_S9_EESK_S10_SL_SM_SN_EUlS10_E_NS1_11comp_targetILNS1_3genE3ELNS1_11target_archE908ELNS1_3gpuE7ELNS1_3repE0EEENS1_48merge_mergepath_partition_config_static_selectorELNS0_4arch9wavefront6targetE1EEEvSM_,@function
_ZN7rocprim17ROCPRIM_400000_NS6detail17trampoline_kernelINS0_14default_configENS1_38merge_sort_block_merge_config_selectorIlNS0_10empty_typeEEEZZNS1_27merge_sort_block_merge_implIS3_PlPS5_mZN2at6native12_GLOBAL__N_124unique_dim_cuda_templateIsEESt5tupleIJNSA_6TensorESF_SF_EERKSF_lbbbEUlllE_EE10hipError_tT0_T1_T2_jT3_P12ihipStream_tbPNSt15iterator_traitsISL_E10value_typeEPNSR_ISM_E10value_typeEPSN_NS1_7vsmem_tEENKUlT_SL_SM_SN_E_clIS8_S8_S9_S9_EESK_S10_SL_SM_SN_EUlS10_E_NS1_11comp_targetILNS1_3genE3ELNS1_11target_archE908ELNS1_3gpuE7ELNS1_3repE0EEENS1_48merge_mergepath_partition_config_static_selectorELNS0_4arch9wavefront6targetE1EEEvSM_: ; @_ZN7rocprim17ROCPRIM_400000_NS6detail17trampoline_kernelINS0_14default_configENS1_38merge_sort_block_merge_config_selectorIlNS0_10empty_typeEEEZZNS1_27merge_sort_block_merge_implIS3_PlPS5_mZN2at6native12_GLOBAL__N_124unique_dim_cuda_templateIsEESt5tupleIJNSA_6TensorESF_SF_EERKSF_lbbbEUlllE_EE10hipError_tT0_T1_T2_jT3_P12ihipStream_tbPNSt15iterator_traitsISL_E10value_typeEPNSR_ISM_E10value_typeEPSN_NS1_7vsmem_tEENKUlT_SL_SM_SN_E_clIS8_S8_S9_S9_EESK_S10_SL_SM_SN_EUlS10_E_NS1_11comp_targetILNS1_3genE3ELNS1_11target_archE908ELNS1_3gpuE7ELNS1_3repE0EEENS1_48merge_mergepath_partition_config_static_selectorELNS0_4arch9wavefront6targetE1EEEvSM_
; %bb.0:
	.section	.rodata,"a",@progbits
	.p2align	6, 0x0
	.amdhsa_kernel _ZN7rocprim17ROCPRIM_400000_NS6detail17trampoline_kernelINS0_14default_configENS1_38merge_sort_block_merge_config_selectorIlNS0_10empty_typeEEEZZNS1_27merge_sort_block_merge_implIS3_PlPS5_mZN2at6native12_GLOBAL__N_124unique_dim_cuda_templateIsEESt5tupleIJNSA_6TensorESF_SF_EERKSF_lbbbEUlllE_EE10hipError_tT0_T1_T2_jT3_P12ihipStream_tbPNSt15iterator_traitsISL_E10value_typeEPNSR_ISM_E10value_typeEPSN_NS1_7vsmem_tEENKUlT_SL_SM_SN_E_clIS8_S8_S9_S9_EESK_S10_SL_SM_SN_EUlS10_E_NS1_11comp_targetILNS1_3genE3ELNS1_11target_archE908ELNS1_3gpuE7ELNS1_3repE0EEENS1_48merge_mergepath_partition_config_static_selectorELNS0_4arch9wavefront6targetE1EEEvSM_
		.amdhsa_group_segment_fixed_size 0
		.amdhsa_private_segment_fixed_size 0
		.amdhsa_kernarg_size 56
		.amdhsa_user_sgpr_count 2
		.amdhsa_user_sgpr_dispatch_ptr 0
		.amdhsa_user_sgpr_queue_ptr 0
		.amdhsa_user_sgpr_kernarg_segment_ptr 1
		.amdhsa_user_sgpr_dispatch_id 0
		.amdhsa_user_sgpr_kernarg_preload_length 0
		.amdhsa_user_sgpr_kernarg_preload_offset 0
		.amdhsa_user_sgpr_private_segment_size 0
		.amdhsa_uses_dynamic_stack 0
		.amdhsa_enable_private_segment 0
		.amdhsa_system_sgpr_workgroup_id_x 1
		.amdhsa_system_sgpr_workgroup_id_y 0
		.amdhsa_system_sgpr_workgroup_id_z 0
		.amdhsa_system_sgpr_workgroup_info 0
		.amdhsa_system_vgpr_workitem_id 0
		.amdhsa_next_free_vgpr 1
		.amdhsa_next_free_sgpr 0
		.amdhsa_accum_offset 4
		.amdhsa_reserve_vcc 0
		.amdhsa_float_round_mode_32 0
		.amdhsa_float_round_mode_16_64 0
		.amdhsa_float_denorm_mode_32 3
		.amdhsa_float_denorm_mode_16_64 3
		.amdhsa_dx10_clamp 1
		.amdhsa_ieee_mode 1
		.amdhsa_fp16_overflow 0
		.amdhsa_tg_split 0
		.amdhsa_exception_fp_ieee_invalid_op 0
		.amdhsa_exception_fp_denorm_src 0
		.amdhsa_exception_fp_ieee_div_zero 0
		.amdhsa_exception_fp_ieee_overflow 0
		.amdhsa_exception_fp_ieee_underflow 0
		.amdhsa_exception_fp_ieee_inexact 0
		.amdhsa_exception_int_div_zero 0
	.end_amdhsa_kernel
	.section	.text._ZN7rocprim17ROCPRIM_400000_NS6detail17trampoline_kernelINS0_14default_configENS1_38merge_sort_block_merge_config_selectorIlNS0_10empty_typeEEEZZNS1_27merge_sort_block_merge_implIS3_PlPS5_mZN2at6native12_GLOBAL__N_124unique_dim_cuda_templateIsEESt5tupleIJNSA_6TensorESF_SF_EERKSF_lbbbEUlllE_EE10hipError_tT0_T1_T2_jT3_P12ihipStream_tbPNSt15iterator_traitsISL_E10value_typeEPNSR_ISM_E10value_typeEPSN_NS1_7vsmem_tEENKUlT_SL_SM_SN_E_clIS8_S8_S9_S9_EESK_S10_SL_SM_SN_EUlS10_E_NS1_11comp_targetILNS1_3genE3ELNS1_11target_archE908ELNS1_3gpuE7ELNS1_3repE0EEENS1_48merge_mergepath_partition_config_static_selectorELNS0_4arch9wavefront6targetE1EEEvSM_,"axG",@progbits,_ZN7rocprim17ROCPRIM_400000_NS6detail17trampoline_kernelINS0_14default_configENS1_38merge_sort_block_merge_config_selectorIlNS0_10empty_typeEEEZZNS1_27merge_sort_block_merge_implIS3_PlPS5_mZN2at6native12_GLOBAL__N_124unique_dim_cuda_templateIsEESt5tupleIJNSA_6TensorESF_SF_EERKSF_lbbbEUlllE_EE10hipError_tT0_T1_T2_jT3_P12ihipStream_tbPNSt15iterator_traitsISL_E10value_typeEPNSR_ISM_E10value_typeEPSN_NS1_7vsmem_tEENKUlT_SL_SM_SN_E_clIS8_S8_S9_S9_EESK_S10_SL_SM_SN_EUlS10_E_NS1_11comp_targetILNS1_3genE3ELNS1_11target_archE908ELNS1_3gpuE7ELNS1_3repE0EEENS1_48merge_mergepath_partition_config_static_selectorELNS0_4arch9wavefront6targetE1EEEvSM_,comdat
.Lfunc_end640:
	.size	_ZN7rocprim17ROCPRIM_400000_NS6detail17trampoline_kernelINS0_14default_configENS1_38merge_sort_block_merge_config_selectorIlNS0_10empty_typeEEEZZNS1_27merge_sort_block_merge_implIS3_PlPS5_mZN2at6native12_GLOBAL__N_124unique_dim_cuda_templateIsEESt5tupleIJNSA_6TensorESF_SF_EERKSF_lbbbEUlllE_EE10hipError_tT0_T1_T2_jT3_P12ihipStream_tbPNSt15iterator_traitsISL_E10value_typeEPNSR_ISM_E10value_typeEPSN_NS1_7vsmem_tEENKUlT_SL_SM_SN_E_clIS8_S8_S9_S9_EESK_S10_SL_SM_SN_EUlS10_E_NS1_11comp_targetILNS1_3genE3ELNS1_11target_archE908ELNS1_3gpuE7ELNS1_3repE0EEENS1_48merge_mergepath_partition_config_static_selectorELNS0_4arch9wavefront6targetE1EEEvSM_, .Lfunc_end640-_ZN7rocprim17ROCPRIM_400000_NS6detail17trampoline_kernelINS0_14default_configENS1_38merge_sort_block_merge_config_selectorIlNS0_10empty_typeEEEZZNS1_27merge_sort_block_merge_implIS3_PlPS5_mZN2at6native12_GLOBAL__N_124unique_dim_cuda_templateIsEESt5tupleIJNSA_6TensorESF_SF_EERKSF_lbbbEUlllE_EE10hipError_tT0_T1_T2_jT3_P12ihipStream_tbPNSt15iterator_traitsISL_E10value_typeEPNSR_ISM_E10value_typeEPSN_NS1_7vsmem_tEENKUlT_SL_SM_SN_E_clIS8_S8_S9_S9_EESK_S10_SL_SM_SN_EUlS10_E_NS1_11comp_targetILNS1_3genE3ELNS1_11target_archE908ELNS1_3gpuE7ELNS1_3repE0EEENS1_48merge_mergepath_partition_config_static_selectorELNS0_4arch9wavefront6targetE1EEEvSM_
                                        ; -- End function
	.set _ZN7rocprim17ROCPRIM_400000_NS6detail17trampoline_kernelINS0_14default_configENS1_38merge_sort_block_merge_config_selectorIlNS0_10empty_typeEEEZZNS1_27merge_sort_block_merge_implIS3_PlPS5_mZN2at6native12_GLOBAL__N_124unique_dim_cuda_templateIsEESt5tupleIJNSA_6TensorESF_SF_EERKSF_lbbbEUlllE_EE10hipError_tT0_T1_T2_jT3_P12ihipStream_tbPNSt15iterator_traitsISL_E10value_typeEPNSR_ISM_E10value_typeEPSN_NS1_7vsmem_tEENKUlT_SL_SM_SN_E_clIS8_S8_S9_S9_EESK_S10_SL_SM_SN_EUlS10_E_NS1_11comp_targetILNS1_3genE3ELNS1_11target_archE908ELNS1_3gpuE7ELNS1_3repE0EEENS1_48merge_mergepath_partition_config_static_selectorELNS0_4arch9wavefront6targetE1EEEvSM_.num_vgpr, 0
	.set _ZN7rocprim17ROCPRIM_400000_NS6detail17trampoline_kernelINS0_14default_configENS1_38merge_sort_block_merge_config_selectorIlNS0_10empty_typeEEEZZNS1_27merge_sort_block_merge_implIS3_PlPS5_mZN2at6native12_GLOBAL__N_124unique_dim_cuda_templateIsEESt5tupleIJNSA_6TensorESF_SF_EERKSF_lbbbEUlllE_EE10hipError_tT0_T1_T2_jT3_P12ihipStream_tbPNSt15iterator_traitsISL_E10value_typeEPNSR_ISM_E10value_typeEPSN_NS1_7vsmem_tEENKUlT_SL_SM_SN_E_clIS8_S8_S9_S9_EESK_S10_SL_SM_SN_EUlS10_E_NS1_11comp_targetILNS1_3genE3ELNS1_11target_archE908ELNS1_3gpuE7ELNS1_3repE0EEENS1_48merge_mergepath_partition_config_static_selectorELNS0_4arch9wavefront6targetE1EEEvSM_.num_agpr, 0
	.set _ZN7rocprim17ROCPRIM_400000_NS6detail17trampoline_kernelINS0_14default_configENS1_38merge_sort_block_merge_config_selectorIlNS0_10empty_typeEEEZZNS1_27merge_sort_block_merge_implIS3_PlPS5_mZN2at6native12_GLOBAL__N_124unique_dim_cuda_templateIsEESt5tupleIJNSA_6TensorESF_SF_EERKSF_lbbbEUlllE_EE10hipError_tT0_T1_T2_jT3_P12ihipStream_tbPNSt15iterator_traitsISL_E10value_typeEPNSR_ISM_E10value_typeEPSN_NS1_7vsmem_tEENKUlT_SL_SM_SN_E_clIS8_S8_S9_S9_EESK_S10_SL_SM_SN_EUlS10_E_NS1_11comp_targetILNS1_3genE3ELNS1_11target_archE908ELNS1_3gpuE7ELNS1_3repE0EEENS1_48merge_mergepath_partition_config_static_selectorELNS0_4arch9wavefront6targetE1EEEvSM_.numbered_sgpr, 0
	.set _ZN7rocprim17ROCPRIM_400000_NS6detail17trampoline_kernelINS0_14default_configENS1_38merge_sort_block_merge_config_selectorIlNS0_10empty_typeEEEZZNS1_27merge_sort_block_merge_implIS3_PlPS5_mZN2at6native12_GLOBAL__N_124unique_dim_cuda_templateIsEESt5tupleIJNSA_6TensorESF_SF_EERKSF_lbbbEUlllE_EE10hipError_tT0_T1_T2_jT3_P12ihipStream_tbPNSt15iterator_traitsISL_E10value_typeEPNSR_ISM_E10value_typeEPSN_NS1_7vsmem_tEENKUlT_SL_SM_SN_E_clIS8_S8_S9_S9_EESK_S10_SL_SM_SN_EUlS10_E_NS1_11comp_targetILNS1_3genE3ELNS1_11target_archE908ELNS1_3gpuE7ELNS1_3repE0EEENS1_48merge_mergepath_partition_config_static_selectorELNS0_4arch9wavefront6targetE1EEEvSM_.num_named_barrier, 0
	.set _ZN7rocprim17ROCPRIM_400000_NS6detail17trampoline_kernelINS0_14default_configENS1_38merge_sort_block_merge_config_selectorIlNS0_10empty_typeEEEZZNS1_27merge_sort_block_merge_implIS3_PlPS5_mZN2at6native12_GLOBAL__N_124unique_dim_cuda_templateIsEESt5tupleIJNSA_6TensorESF_SF_EERKSF_lbbbEUlllE_EE10hipError_tT0_T1_T2_jT3_P12ihipStream_tbPNSt15iterator_traitsISL_E10value_typeEPNSR_ISM_E10value_typeEPSN_NS1_7vsmem_tEENKUlT_SL_SM_SN_E_clIS8_S8_S9_S9_EESK_S10_SL_SM_SN_EUlS10_E_NS1_11comp_targetILNS1_3genE3ELNS1_11target_archE908ELNS1_3gpuE7ELNS1_3repE0EEENS1_48merge_mergepath_partition_config_static_selectorELNS0_4arch9wavefront6targetE1EEEvSM_.private_seg_size, 0
	.set _ZN7rocprim17ROCPRIM_400000_NS6detail17trampoline_kernelINS0_14default_configENS1_38merge_sort_block_merge_config_selectorIlNS0_10empty_typeEEEZZNS1_27merge_sort_block_merge_implIS3_PlPS5_mZN2at6native12_GLOBAL__N_124unique_dim_cuda_templateIsEESt5tupleIJNSA_6TensorESF_SF_EERKSF_lbbbEUlllE_EE10hipError_tT0_T1_T2_jT3_P12ihipStream_tbPNSt15iterator_traitsISL_E10value_typeEPNSR_ISM_E10value_typeEPSN_NS1_7vsmem_tEENKUlT_SL_SM_SN_E_clIS8_S8_S9_S9_EESK_S10_SL_SM_SN_EUlS10_E_NS1_11comp_targetILNS1_3genE3ELNS1_11target_archE908ELNS1_3gpuE7ELNS1_3repE0EEENS1_48merge_mergepath_partition_config_static_selectorELNS0_4arch9wavefront6targetE1EEEvSM_.uses_vcc, 0
	.set _ZN7rocprim17ROCPRIM_400000_NS6detail17trampoline_kernelINS0_14default_configENS1_38merge_sort_block_merge_config_selectorIlNS0_10empty_typeEEEZZNS1_27merge_sort_block_merge_implIS3_PlPS5_mZN2at6native12_GLOBAL__N_124unique_dim_cuda_templateIsEESt5tupleIJNSA_6TensorESF_SF_EERKSF_lbbbEUlllE_EE10hipError_tT0_T1_T2_jT3_P12ihipStream_tbPNSt15iterator_traitsISL_E10value_typeEPNSR_ISM_E10value_typeEPSN_NS1_7vsmem_tEENKUlT_SL_SM_SN_E_clIS8_S8_S9_S9_EESK_S10_SL_SM_SN_EUlS10_E_NS1_11comp_targetILNS1_3genE3ELNS1_11target_archE908ELNS1_3gpuE7ELNS1_3repE0EEENS1_48merge_mergepath_partition_config_static_selectorELNS0_4arch9wavefront6targetE1EEEvSM_.uses_flat_scratch, 0
	.set _ZN7rocprim17ROCPRIM_400000_NS6detail17trampoline_kernelINS0_14default_configENS1_38merge_sort_block_merge_config_selectorIlNS0_10empty_typeEEEZZNS1_27merge_sort_block_merge_implIS3_PlPS5_mZN2at6native12_GLOBAL__N_124unique_dim_cuda_templateIsEESt5tupleIJNSA_6TensorESF_SF_EERKSF_lbbbEUlllE_EE10hipError_tT0_T1_T2_jT3_P12ihipStream_tbPNSt15iterator_traitsISL_E10value_typeEPNSR_ISM_E10value_typeEPSN_NS1_7vsmem_tEENKUlT_SL_SM_SN_E_clIS8_S8_S9_S9_EESK_S10_SL_SM_SN_EUlS10_E_NS1_11comp_targetILNS1_3genE3ELNS1_11target_archE908ELNS1_3gpuE7ELNS1_3repE0EEENS1_48merge_mergepath_partition_config_static_selectorELNS0_4arch9wavefront6targetE1EEEvSM_.has_dyn_sized_stack, 0
	.set _ZN7rocprim17ROCPRIM_400000_NS6detail17trampoline_kernelINS0_14default_configENS1_38merge_sort_block_merge_config_selectorIlNS0_10empty_typeEEEZZNS1_27merge_sort_block_merge_implIS3_PlPS5_mZN2at6native12_GLOBAL__N_124unique_dim_cuda_templateIsEESt5tupleIJNSA_6TensorESF_SF_EERKSF_lbbbEUlllE_EE10hipError_tT0_T1_T2_jT3_P12ihipStream_tbPNSt15iterator_traitsISL_E10value_typeEPNSR_ISM_E10value_typeEPSN_NS1_7vsmem_tEENKUlT_SL_SM_SN_E_clIS8_S8_S9_S9_EESK_S10_SL_SM_SN_EUlS10_E_NS1_11comp_targetILNS1_3genE3ELNS1_11target_archE908ELNS1_3gpuE7ELNS1_3repE0EEENS1_48merge_mergepath_partition_config_static_selectorELNS0_4arch9wavefront6targetE1EEEvSM_.has_recursion, 0
	.set _ZN7rocprim17ROCPRIM_400000_NS6detail17trampoline_kernelINS0_14default_configENS1_38merge_sort_block_merge_config_selectorIlNS0_10empty_typeEEEZZNS1_27merge_sort_block_merge_implIS3_PlPS5_mZN2at6native12_GLOBAL__N_124unique_dim_cuda_templateIsEESt5tupleIJNSA_6TensorESF_SF_EERKSF_lbbbEUlllE_EE10hipError_tT0_T1_T2_jT3_P12ihipStream_tbPNSt15iterator_traitsISL_E10value_typeEPNSR_ISM_E10value_typeEPSN_NS1_7vsmem_tEENKUlT_SL_SM_SN_E_clIS8_S8_S9_S9_EESK_S10_SL_SM_SN_EUlS10_E_NS1_11comp_targetILNS1_3genE3ELNS1_11target_archE908ELNS1_3gpuE7ELNS1_3repE0EEENS1_48merge_mergepath_partition_config_static_selectorELNS0_4arch9wavefront6targetE1EEEvSM_.has_indirect_call, 0
	.section	.AMDGPU.csdata,"",@progbits
; Kernel info:
; codeLenInByte = 0
; TotalNumSgprs: 6
; NumVgprs: 0
; NumAgprs: 0
; TotalNumVgprs: 0
; ScratchSize: 0
; MemoryBound: 0
; FloatMode: 240
; IeeeMode: 1
; LDSByteSize: 0 bytes/workgroup (compile time only)
; SGPRBlocks: 0
; VGPRBlocks: 0
; NumSGPRsForWavesPerEU: 6
; NumVGPRsForWavesPerEU: 1
; AccumOffset: 4
; Occupancy: 8
; WaveLimiterHint : 0
; COMPUTE_PGM_RSRC2:SCRATCH_EN: 0
; COMPUTE_PGM_RSRC2:USER_SGPR: 2
; COMPUTE_PGM_RSRC2:TRAP_HANDLER: 0
; COMPUTE_PGM_RSRC2:TGID_X_EN: 1
; COMPUTE_PGM_RSRC2:TGID_Y_EN: 0
; COMPUTE_PGM_RSRC2:TGID_Z_EN: 0
; COMPUTE_PGM_RSRC2:TIDIG_COMP_CNT: 0
; COMPUTE_PGM_RSRC3_GFX90A:ACCUM_OFFSET: 0
; COMPUTE_PGM_RSRC3_GFX90A:TG_SPLIT: 0
	.section	.text._ZN7rocprim17ROCPRIM_400000_NS6detail17trampoline_kernelINS0_14default_configENS1_38merge_sort_block_merge_config_selectorIlNS0_10empty_typeEEEZZNS1_27merge_sort_block_merge_implIS3_PlPS5_mZN2at6native12_GLOBAL__N_124unique_dim_cuda_templateIsEESt5tupleIJNSA_6TensorESF_SF_EERKSF_lbbbEUlllE_EE10hipError_tT0_T1_T2_jT3_P12ihipStream_tbPNSt15iterator_traitsISL_E10value_typeEPNSR_ISM_E10value_typeEPSN_NS1_7vsmem_tEENKUlT_SL_SM_SN_E_clIS8_S8_S9_S9_EESK_S10_SL_SM_SN_EUlS10_E_NS1_11comp_targetILNS1_3genE2ELNS1_11target_archE906ELNS1_3gpuE6ELNS1_3repE0EEENS1_48merge_mergepath_partition_config_static_selectorELNS0_4arch9wavefront6targetE1EEEvSM_,"axG",@progbits,_ZN7rocprim17ROCPRIM_400000_NS6detail17trampoline_kernelINS0_14default_configENS1_38merge_sort_block_merge_config_selectorIlNS0_10empty_typeEEEZZNS1_27merge_sort_block_merge_implIS3_PlPS5_mZN2at6native12_GLOBAL__N_124unique_dim_cuda_templateIsEESt5tupleIJNSA_6TensorESF_SF_EERKSF_lbbbEUlllE_EE10hipError_tT0_T1_T2_jT3_P12ihipStream_tbPNSt15iterator_traitsISL_E10value_typeEPNSR_ISM_E10value_typeEPSN_NS1_7vsmem_tEENKUlT_SL_SM_SN_E_clIS8_S8_S9_S9_EESK_S10_SL_SM_SN_EUlS10_E_NS1_11comp_targetILNS1_3genE2ELNS1_11target_archE906ELNS1_3gpuE6ELNS1_3repE0EEENS1_48merge_mergepath_partition_config_static_selectorELNS0_4arch9wavefront6targetE1EEEvSM_,comdat
	.globl	_ZN7rocprim17ROCPRIM_400000_NS6detail17trampoline_kernelINS0_14default_configENS1_38merge_sort_block_merge_config_selectorIlNS0_10empty_typeEEEZZNS1_27merge_sort_block_merge_implIS3_PlPS5_mZN2at6native12_GLOBAL__N_124unique_dim_cuda_templateIsEESt5tupleIJNSA_6TensorESF_SF_EERKSF_lbbbEUlllE_EE10hipError_tT0_T1_T2_jT3_P12ihipStream_tbPNSt15iterator_traitsISL_E10value_typeEPNSR_ISM_E10value_typeEPSN_NS1_7vsmem_tEENKUlT_SL_SM_SN_E_clIS8_S8_S9_S9_EESK_S10_SL_SM_SN_EUlS10_E_NS1_11comp_targetILNS1_3genE2ELNS1_11target_archE906ELNS1_3gpuE6ELNS1_3repE0EEENS1_48merge_mergepath_partition_config_static_selectorELNS0_4arch9wavefront6targetE1EEEvSM_ ; -- Begin function _ZN7rocprim17ROCPRIM_400000_NS6detail17trampoline_kernelINS0_14default_configENS1_38merge_sort_block_merge_config_selectorIlNS0_10empty_typeEEEZZNS1_27merge_sort_block_merge_implIS3_PlPS5_mZN2at6native12_GLOBAL__N_124unique_dim_cuda_templateIsEESt5tupleIJNSA_6TensorESF_SF_EERKSF_lbbbEUlllE_EE10hipError_tT0_T1_T2_jT3_P12ihipStream_tbPNSt15iterator_traitsISL_E10value_typeEPNSR_ISM_E10value_typeEPSN_NS1_7vsmem_tEENKUlT_SL_SM_SN_E_clIS8_S8_S9_S9_EESK_S10_SL_SM_SN_EUlS10_E_NS1_11comp_targetILNS1_3genE2ELNS1_11target_archE906ELNS1_3gpuE6ELNS1_3repE0EEENS1_48merge_mergepath_partition_config_static_selectorELNS0_4arch9wavefront6targetE1EEEvSM_
	.p2align	8
	.type	_ZN7rocprim17ROCPRIM_400000_NS6detail17trampoline_kernelINS0_14default_configENS1_38merge_sort_block_merge_config_selectorIlNS0_10empty_typeEEEZZNS1_27merge_sort_block_merge_implIS3_PlPS5_mZN2at6native12_GLOBAL__N_124unique_dim_cuda_templateIsEESt5tupleIJNSA_6TensorESF_SF_EERKSF_lbbbEUlllE_EE10hipError_tT0_T1_T2_jT3_P12ihipStream_tbPNSt15iterator_traitsISL_E10value_typeEPNSR_ISM_E10value_typeEPSN_NS1_7vsmem_tEENKUlT_SL_SM_SN_E_clIS8_S8_S9_S9_EESK_S10_SL_SM_SN_EUlS10_E_NS1_11comp_targetILNS1_3genE2ELNS1_11target_archE906ELNS1_3gpuE6ELNS1_3repE0EEENS1_48merge_mergepath_partition_config_static_selectorELNS0_4arch9wavefront6targetE1EEEvSM_,@function
_ZN7rocprim17ROCPRIM_400000_NS6detail17trampoline_kernelINS0_14default_configENS1_38merge_sort_block_merge_config_selectorIlNS0_10empty_typeEEEZZNS1_27merge_sort_block_merge_implIS3_PlPS5_mZN2at6native12_GLOBAL__N_124unique_dim_cuda_templateIsEESt5tupleIJNSA_6TensorESF_SF_EERKSF_lbbbEUlllE_EE10hipError_tT0_T1_T2_jT3_P12ihipStream_tbPNSt15iterator_traitsISL_E10value_typeEPNSR_ISM_E10value_typeEPSN_NS1_7vsmem_tEENKUlT_SL_SM_SN_E_clIS8_S8_S9_S9_EESK_S10_SL_SM_SN_EUlS10_E_NS1_11comp_targetILNS1_3genE2ELNS1_11target_archE906ELNS1_3gpuE6ELNS1_3repE0EEENS1_48merge_mergepath_partition_config_static_selectorELNS0_4arch9wavefront6targetE1EEEvSM_: ; @_ZN7rocprim17ROCPRIM_400000_NS6detail17trampoline_kernelINS0_14default_configENS1_38merge_sort_block_merge_config_selectorIlNS0_10empty_typeEEEZZNS1_27merge_sort_block_merge_implIS3_PlPS5_mZN2at6native12_GLOBAL__N_124unique_dim_cuda_templateIsEESt5tupleIJNSA_6TensorESF_SF_EERKSF_lbbbEUlllE_EE10hipError_tT0_T1_T2_jT3_P12ihipStream_tbPNSt15iterator_traitsISL_E10value_typeEPNSR_ISM_E10value_typeEPSN_NS1_7vsmem_tEENKUlT_SL_SM_SN_E_clIS8_S8_S9_S9_EESK_S10_SL_SM_SN_EUlS10_E_NS1_11comp_targetILNS1_3genE2ELNS1_11target_archE906ELNS1_3gpuE6ELNS1_3repE0EEENS1_48merge_mergepath_partition_config_static_selectorELNS0_4arch9wavefront6targetE1EEEvSM_
; %bb.0:
	.section	.rodata,"a",@progbits
	.p2align	6, 0x0
	.amdhsa_kernel _ZN7rocprim17ROCPRIM_400000_NS6detail17trampoline_kernelINS0_14default_configENS1_38merge_sort_block_merge_config_selectorIlNS0_10empty_typeEEEZZNS1_27merge_sort_block_merge_implIS3_PlPS5_mZN2at6native12_GLOBAL__N_124unique_dim_cuda_templateIsEESt5tupleIJNSA_6TensorESF_SF_EERKSF_lbbbEUlllE_EE10hipError_tT0_T1_T2_jT3_P12ihipStream_tbPNSt15iterator_traitsISL_E10value_typeEPNSR_ISM_E10value_typeEPSN_NS1_7vsmem_tEENKUlT_SL_SM_SN_E_clIS8_S8_S9_S9_EESK_S10_SL_SM_SN_EUlS10_E_NS1_11comp_targetILNS1_3genE2ELNS1_11target_archE906ELNS1_3gpuE6ELNS1_3repE0EEENS1_48merge_mergepath_partition_config_static_selectorELNS0_4arch9wavefront6targetE1EEEvSM_
		.amdhsa_group_segment_fixed_size 0
		.amdhsa_private_segment_fixed_size 0
		.amdhsa_kernarg_size 56
		.amdhsa_user_sgpr_count 2
		.amdhsa_user_sgpr_dispatch_ptr 0
		.amdhsa_user_sgpr_queue_ptr 0
		.amdhsa_user_sgpr_kernarg_segment_ptr 1
		.amdhsa_user_sgpr_dispatch_id 0
		.amdhsa_user_sgpr_kernarg_preload_length 0
		.amdhsa_user_sgpr_kernarg_preload_offset 0
		.amdhsa_user_sgpr_private_segment_size 0
		.amdhsa_uses_dynamic_stack 0
		.amdhsa_enable_private_segment 0
		.amdhsa_system_sgpr_workgroup_id_x 1
		.amdhsa_system_sgpr_workgroup_id_y 0
		.amdhsa_system_sgpr_workgroup_id_z 0
		.amdhsa_system_sgpr_workgroup_info 0
		.amdhsa_system_vgpr_workitem_id 0
		.amdhsa_next_free_vgpr 1
		.amdhsa_next_free_sgpr 0
		.amdhsa_accum_offset 4
		.amdhsa_reserve_vcc 0
		.amdhsa_float_round_mode_32 0
		.amdhsa_float_round_mode_16_64 0
		.amdhsa_float_denorm_mode_32 3
		.amdhsa_float_denorm_mode_16_64 3
		.amdhsa_dx10_clamp 1
		.amdhsa_ieee_mode 1
		.amdhsa_fp16_overflow 0
		.amdhsa_tg_split 0
		.amdhsa_exception_fp_ieee_invalid_op 0
		.amdhsa_exception_fp_denorm_src 0
		.amdhsa_exception_fp_ieee_div_zero 0
		.amdhsa_exception_fp_ieee_overflow 0
		.amdhsa_exception_fp_ieee_underflow 0
		.amdhsa_exception_fp_ieee_inexact 0
		.amdhsa_exception_int_div_zero 0
	.end_amdhsa_kernel
	.section	.text._ZN7rocprim17ROCPRIM_400000_NS6detail17trampoline_kernelINS0_14default_configENS1_38merge_sort_block_merge_config_selectorIlNS0_10empty_typeEEEZZNS1_27merge_sort_block_merge_implIS3_PlPS5_mZN2at6native12_GLOBAL__N_124unique_dim_cuda_templateIsEESt5tupleIJNSA_6TensorESF_SF_EERKSF_lbbbEUlllE_EE10hipError_tT0_T1_T2_jT3_P12ihipStream_tbPNSt15iterator_traitsISL_E10value_typeEPNSR_ISM_E10value_typeEPSN_NS1_7vsmem_tEENKUlT_SL_SM_SN_E_clIS8_S8_S9_S9_EESK_S10_SL_SM_SN_EUlS10_E_NS1_11comp_targetILNS1_3genE2ELNS1_11target_archE906ELNS1_3gpuE6ELNS1_3repE0EEENS1_48merge_mergepath_partition_config_static_selectorELNS0_4arch9wavefront6targetE1EEEvSM_,"axG",@progbits,_ZN7rocprim17ROCPRIM_400000_NS6detail17trampoline_kernelINS0_14default_configENS1_38merge_sort_block_merge_config_selectorIlNS0_10empty_typeEEEZZNS1_27merge_sort_block_merge_implIS3_PlPS5_mZN2at6native12_GLOBAL__N_124unique_dim_cuda_templateIsEESt5tupleIJNSA_6TensorESF_SF_EERKSF_lbbbEUlllE_EE10hipError_tT0_T1_T2_jT3_P12ihipStream_tbPNSt15iterator_traitsISL_E10value_typeEPNSR_ISM_E10value_typeEPSN_NS1_7vsmem_tEENKUlT_SL_SM_SN_E_clIS8_S8_S9_S9_EESK_S10_SL_SM_SN_EUlS10_E_NS1_11comp_targetILNS1_3genE2ELNS1_11target_archE906ELNS1_3gpuE6ELNS1_3repE0EEENS1_48merge_mergepath_partition_config_static_selectorELNS0_4arch9wavefront6targetE1EEEvSM_,comdat
.Lfunc_end641:
	.size	_ZN7rocprim17ROCPRIM_400000_NS6detail17trampoline_kernelINS0_14default_configENS1_38merge_sort_block_merge_config_selectorIlNS0_10empty_typeEEEZZNS1_27merge_sort_block_merge_implIS3_PlPS5_mZN2at6native12_GLOBAL__N_124unique_dim_cuda_templateIsEESt5tupleIJNSA_6TensorESF_SF_EERKSF_lbbbEUlllE_EE10hipError_tT0_T1_T2_jT3_P12ihipStream_tbPNSt15iterator_traitsISL_E10value_typeEPNSR_ISM_E10value_typeEPSN_NS1_7vsmem_tEENKUlT_SL_SM_SN_E_clIS8_S8_S9_S9_EESK_S10_SL_SM_SN_EUlS10_E_NS1_11comp_targetILNS1_3genE2ELNS1_11target_archE906ELNS1_3gpuE6ELNS1_3repE0EEENS1_48merge_mergepath_partition_config_static_selectorELNS0_4arch9wavefront6targetE1EEEvSM_, .Lfunc_end641-_ZN7rocprim17ROCPRIM_400000_NS6detail17trampoline_kernelINS0_14default_configENS1_38merge_sort_block_merge_config_selectorIlNS0_10empty_typeEEEZZNS1_27merge_sort_block_merge_implIS3_PlPS5_mZN2at6native12_GLOBAL__N_124unique_dim_cuda_templateIsEESt5tupleIJNSA_6TensorESF_SF_EERKSF_lbbbEUlllE_EE10hipError_tT0_T1_T2_jT3_P12ihipStream_tbPNSt15iterator_traitsISL_E10value_typeEPNSR_ISM_E10value_typeEPSN_NS1_7vsmem_tEENKUlT_SL_SM_SN_E_clIS8_S8_S9_S9_EESK_S10_SL_SM_SN_EUlS10_E_NS1_11comp_targetILNS1_3genE2ELNS1_11target_archE906ELNS1_3gpuE6ELNS1_3repE0EEENS1_48merge_mergepath_partition_config_static_selectorELNS0_4arch9wavefront6targetE1EEEvSM_
                                        ; -- End function
	.set _ZN7rocprim17ROCPRIM_400000_NS6detail17trampoline_kernelINS0_14default_configENS1_38merge_sort_block_merge_config_selectorIlNS0_10empty_typeEEEZZNS1_27merge_sort_block_merge_implIS3_PlPS5_mZN2at6native12_GLOBAL__N_124unique_dim_cuda_templateIsEESt5tupleIJNSA_6TensorESF_SF_EERKSF_lbbbEUlllE_EE10hipError_tT0_T1_T2_jT3_P12ihipStream_tbPNSt15iterator_traitsISL_E10value_typeEPNSR_ISM_E10value_typeEPSN_NS1_7vsmem_tEENKUlT_SL_SM_SN_E_clIS8_S8_S9_S9_EESK_S10_SL_SM_SN_EUlS10_E_NS1_11comp_targetILNS1_3genE2ELNS1_11target_archE906ELNS1_3gpuE6ELNS1_3repE0EEENS1_48merge_mergepath_partition_config_static_selectorELNS0_4arch9wavefront6targetE1EEEvSM_.num_vgpr, 0
	.set _ZN7rocprim17ROCPRIM_400000_NS6detail17trampoline_kernelINS0_14default_configENS1_38merge_sort_block_merge_config_selectorIlNS0_10empty_typeEEEZZNS1_27merge_sort_block_merge_implIS3_PlPS5_mZN2at6native12_GLOBAL__N_124unique_dim_cuda_templateIsEESt5tupleIJNSA_6TensorESF_SF_EERKSF_lbbbEUlllE_EE10hipError_tT0_T1_T2_jT3_P12ihipStream_tbPNSt15iterator_traitsISL_E10value_typeEPNSR_ISM_E10value_typeEPSN_NS1_7vsmem_tEENKUlT_SL_SM_SN_E_clIS8_S8_S9_S9_EESK_S10_SL_SM_SN_EUlS10_E_NS1_11comp_targetILNS1_3genE2ELNS1_11target_archE906ELNS1_3gpuE6ELNS1_3repE0EEENS1_48merge_mergepath_partition_config_static_selectorELNS0_4arch9wavefront6targetE1EEEvSM_.num_agpr, 0
	.set _ZN7rocprim17ROCPRIM_400000_NS6detail17trampoline_kernelINS0_14default_configENS1_38merge_sort_block_merge_config_selectorIlNS0_10empty_typeEEEZZNS1_27merge_sort_block_merge_implIS3_PlPS5_mZN2at6native12_GLOBAL__N_124unique_dim_cuda_templateIsEESt5tupleIJNSA_6TensorESF_SF_EERKSF_lbbbEUlllE_EE10hipError_tT0_T1_T2_jT3_P12ihipStream_tbPNSt15iterator_traitsISL_E10value_typeEPNSR_ISM_E10value_typeEPSN_NS1_7vsmem_tEENKUlT_SL_SM_SN_E_clIS8_S8_S9_S9_EESK_S10_SL_SM_SN_EUlS10_E_NS1_11comp_targetILNS1_3genE2ELNS1_11target_archE906ELNS1_3gpuE6ELNS1_3repE0EEENS1_48merge_mergepath_partition_config_static_selectorELNS0_4arch9wavefront6targetE1EEEvSM_.numbered_sgpr, 0
	.set _ZN7rocprim17ROCPRIM_400000_NS6detail17trampoline_kernelINS0_14default_configENS1_38merge_sort_block_merge_config_selectorIlNS0_10empty_typeEEEZZNS1_27merge_sort_block_merge_implIS3_PlPS5_mZN2at6native12_GLOBAL__N_124unique_dim_cuda_templateIsEESt5tupleIJNSA_6TensorESF_SF_EERKSF_lbbbEUlllE_EE10hipError_tT0_T1_T2_jT3_P12ihipStream_tbPNSt15iterator_traitsISL_E10value_typeEPNSR_ISM_E10value_typeEPSN_NS1_7vsmem_tEENKUlT_SL_SM_SN_E_clIS8_S8_S9_S9_EESK_S10_SL_SM_SN_EUlS10_E_NS1_11comp_targetILNS1_3genE2ELNS1_11target_archE906ELNS1_3gpuE6ELNS1_3repE0EEENS1_48merge_mergepath_partition_config_static_selectorELNS0_4arch9wavefront6targetE1EEEvSM_.num_named_barrier, 0
	.set _ZN7rocprim17ROCPRIM_400000_NS6detail17trampoline_kernelINS0_14default_configENS1_38merge_sort_block_merge_config_selectorIlNS0_10empty_typeEEEZZNS1_27merge_sort_block_merge_implIS3_PlPS5_mZN2at6native12_GLOBAL__N_124unique_dim_cuda_templateIsEESt5tupleIJNSA_6TensorESF_SF_EERKSF_lbbbEUlllE_EE10hipError_tT0_T1_T2_jT3_P12ihipStream_tbPNSt15iterator_traitsISL_E10value_typeEPNSR_ISM_E10value_typeEPSN_NS1_7vsmem_tEENKUlT_SL_SM_SN_E_clIS8_S8_S9_S9_EESK_S10_SL_SM_SN_EUlS10_E_NS1_11comp_targetILNS1_3genE2ELNS1_11target_archE906ELNS1_3gpuE6ELNS1_3repE0EEENS1_48merge_mergepath_partition_config_static_selectorELNS0_4arch9wavefront6targetE1EEEvSM_.private_seg_size, 0
	.set _ZN7rocprim17ROCPRIM_400000_NS6detail17trampoline_kernelINS0_14default_configENS1_38merge_sort_block_merge_config_selectorIlNS0_10empty_typeEEEZZNS1_27merge_sort_block_merge_implIS3_PlPS5_mZN2at6native12_GLOBAL__N_124unique_dim_cuda_templateIsEESt5tupleIJNSA_6TensorESF_SF_EERKSF_lbbbEUlllE_EE10hipError_tT0_T1_T2_jT3_P12ihipStream_tbPNSt15iterator_traitsISL_E10value_typeEPNSR_ISM_E10value_typeEPSN_NS1_7vsmem_tEENKUlT_SL_SM_SN_E_clIS8_S8_S9_S9_EESK_S10_SL_SM_SN_EUlS10_E_NS1_11comp_targetILNS1_3genE2ELNS1_11target_archE906ELNS1_3gpuE6ELNS1_3repE0EEENS1_48merge_mergepath_partition_config_static_selectorELNS0_4arch9wavefront6targetE1EEEvSM_.uses_vcc, 0
	.set _ZN7rocprim17ROCPRIM_400000_NS6detail17trampoline_kernelINS0_14default_configENS1_38merge_sort_block_merge_config_selectorIlNS0_10empty_typeEEEZZNS1_27merge_sort_block_merge_implIS3_PlPS5_mZN2at6native12_GLOBAL__N_124unique_dim_cuda_templateIsEESt5tupleIJNSA_6TensorESF_SF_EERKSF_lbbbEUlllE_EE10hipError_tT0_T1_T2_jT3_P12ihipStream_tbPNSt15iterator_traitsISL_E10value_typeEPNSR_ISM_E10value_typeEPSN_NS1_7vsmem_tEENKUlT_SL_SM_SN_E_clIS8_S8_S9_S9_EESK_S10_SL_SM_SN_EUlS10_E_NS1_11comp_targetILNS1_3genE2ELNS1_11target_archE906ELNS1_3gpuE6ELNS1_3repE0EEENS1_48merge_mergepath_partition_config_static_selectorELNS0_4arch9wavefront6targetE1EEEvSM_.uses_flat_scratch, 0
	.set _ZN7rocprim17ROCPRIM_400000_NS6detail17trampoline_kernelINS0_14default_configENS1_38merge_sort_block_merge_config_selectorIlNS0_10empty_typeEEEZZNS1_27merge_sort_block_merge_implIS3_PlPS5_mZN2at6native12_GLOBAL__N_124unique_dim_cuda_templateIsEESt5tupleIJNSA_6TensorESF_SF_EERKSF_lbbbEUlllE_EE10hipError_tT0_T1_T2_jT3_P12ihipStream_tbPNSt15iterator_traitsISL_E10value_typeEPNSR_ISM_E10value_typeEPSN_NS1_7vsmem_tEENKUlT_SL_SM_SN_E_clIS8_S8_S9_S9_EESK_S10_SL_SM_SN_EUlS10_E_NS1_11comp_targetILNS1_3genE2ELNS1_11target_archE906ELNS1_3gpuE6ELNS1_3repE0EEENS1_48merge_mergepath_partition_config_static_selectorELNS0_4arch9wavefront6targetE1EEEvSM_.has_dyn_sized_stack, 0
	.set _ZN7rocprim17ROCPRIM_400000_NS6detail17trampoline_kernelINS0_14default_configENS1_38merge_sort_block_merge_config_selectorIlNS0_10empty_typeEEEZZNS1_27merge_sort_block_merge_implIS3_PlPS5_mZN2at6native12_GLOBAL__N_124unique_dim_cuda_templateIsEESt5tupleIJNSA_6TensorESF_SF_EERKSF_lbbbEUlllE_EE10hipError_tT0_T1_T2_jT3_P12ihipStream_tbPNSt15iterator_traitsISL_E10value_typeEPNSR_ISM_E10value_typeEPSN_NS1_7vsmem_tEENKUlT_SL_SM_SN_E_clIS8_S8_S9_S9_EESK_S10_SL_SM_SN_EUlS10_E_NS1_11comp_targetILNS1_3genE2ELNS1_11target_archE906ELNS1_3gpuE6ELNS1_3repE0EEENS1_48merge_mergepath_partition_config_static_selectorELNS0_4arch9wavefront6targetE1EEEvSM_.has_recursion, 0
	.set _ZN7rocprim17ROCPRIM_400000_NS6detail17trampoline_kernelINS0_14default_configENS1_38merge_sort_block_merge_config_selectorIlNS0_10empty_typeEEEZZNS1_27merge_sort_block_merge_implIS3_PlPS5_mZN2at6native12_GLOBAL__N_124unique_dim_cuda_templateIsEESt5tupleIJNSA_6TensorESF_SF_EERKSF_lbbbEUlllE_EE10hipError_tT0_T1_T2_jT3_P12ihipStream_tbPNSt15iterator_traitsISL_E10value_typeEPNSR_ISM_E10value_typeEPSN_NS1_7vsmem_tEENKUlT_SL_SM_SN_E_clIS8_S8_S9_S9_EESK_S10_SL_SM_SN_EUlS10_E_NS1_11comp_targetILNS1_3genE2ELNS1_11target_archE906ELNS1_3gpuE6ELNS1_3repE0EEENS1_48merge_mergepath_partition_config_static_selectorELNS0_4arch9wavefront6targetE1EEEvSM_.has_indirect_call, 0
	.section	.AMDGPU.csdata,"",@progbits
; Kernel info:
; codeLenInByte = 0
; TotalNumSgprs: 6
; NumVgprs: 0
; NumAgprs: 0
; TotalNumVgprs: 0
; ScratchSize: 0
; MemoryBound: 0
; FloatMode: 240
; IeeeMode: 1
; LDSByteSize: 0 bytes/workgroup (compile time only)
; SGPRBlocks: 0
; VGPRBlocks: 0
; NumSGPRsForWavesPerEU: 6
; NumVGPRsForWavesPerEU: 1
; AccumOffset: 4
; Occupancy: 8
; WaveLimiterHint : 0
; COMPUTE_PGM_RSRC2:SCRATCH_EN: 0
; COMPUTE_PGM_RSRC2:USER_SGPR: 2
; COMPUTE_PGM_RSRC2:TRAP_HANDLER: 0
; COMPUTE_PGM_RSRC2:TGID_X_EN: 1
; COMPUTE_PGM_RSRC2:TGID_Y_EN: 0
; COMPUTE_PGM_RSRC2:TGID_Z_EN: 0
; COMPUTE_PGM_RSRC2:TIDIG_COMP_CNT: 0
; COMPUTE_PGM_RSRC3_GFX90A:ACCUM_OFFSET: 0
; COMPUTE_PGM_RSRC3_GFX90A:TG_SPLIT: 0
	.section	.text._ZN7rocprim17ROCPRIM_400000_NS6detail17trampoline_kernelINS0_14default_configENS1_38merge_sort_block_merge_config_selectorIlNS0_10empty_typeEEEZZNS1_27merge_sort_block_merge_implIS3_PlPS5_mZN2at6native12_GLOBAL__N_124unique_dim_cuda_templateIsEESt5tupleIJNSA_6TensorESF_SF_EERKSF_lbbbEUlllE_EE10hipError_tT0_T1_T2_jT3_P12ihipStream_tbPNSt15iterator_traitsISL_E10value_typeEPNSR_ISM_E10value_typeEPSN_NS1_7vsmem_tEENKUlT_SL_SM_SN_E_clIS8_S8_S9_S9_EESK_S10_SL_SM_SN_EUlS10_E_NS1_11comp_targetILNS1_3genE9ELNS1_11target_archE1100ELNS1_3gpuE3ELNS1_3repE0EEENS1_48merge_mergepath_partition_config_static_selectorELNS0_4arch9wavefront6targetE1EEEvSM_,"axG",@progbits,_ZN7rocprim17ROCPRIM_400000_NS6detail17trampoline_kernelINS0_14default_configENS1_38merge_sort_block_merge_config_selectorIlNS0_10empty_typeEEEZZNS1_27merge_sort_block_merge_implIS3_PlPS5_mZN2at6native12_GLOBAL__N_124unique_dim_cuda_templateIsEESt5tupleIJNSA_6TensorESF_SF_EERKSF_lbbbEUlllE_EE10hipError_tT0_T1_T2_jT3_P12ihipStream_tbPNSt15iterator_traitsISL_E10value_typeEPNSR_ISM_E10value_typeEPSN_NS1_7vsmem_tEENKUlT_SL_SM_SN_E_clIS8_S8_S9_S9_EESK_S10_SL_SM_SN_EUlS10_E_NS1_11comp_targetILNS1_3genE9ELNS1_11target_archE1100ELNS1_3gpuE3ELNS1_3repE0EEENS1_48merge_mergepath_partition_config_static_selectorELNS0_4arch9wavefront6targetE1EEEvSM_,comdat
	.globl	_ZN7rocprim17ROCPRIM_400000_NS6detail17trampoline_kernelINS0_14default_configENS1_38merge_sort_block_merge_config_selectorIlNS0_10empty_typeEEEZZNS1_27merge_sort_block_merge_implIS3_PlPS5_mZN2at6native12_GLOBAL__N_124unique_dim_cuda_templateIsEESt5tupleIJNSA_6TensorESF_SF_EERKSF_lbbbEUlllE_EE10hipError_tT0_T1_T2_jT3_P12ihipStream_tbPNSt15iterator_traitsISL_E10value_typeEPNSR_ISM_E10value_typeEPSN_NS1_7vsmem_tEENKUlT_SL_SM_SN_E_clIS8_S8_S9_S9_EESK_S10_SL_SM_SN_EUlS10_E_NS1_11comp_targetILNS1_3genE9ELNS1_11target_archE1100ELNS1_3gpuE3ELNS1_3repE0EEENS1_48merge_mergepath_partition_config_static_selectorELNS0_4arch9wavefront6targetE1EEEvSM_ ; -- Begin function _ZN7rocprim17ROCPRIM_400000_NS6detail17trampoline_kernelINS0_14default_configENS1_38merge_sort_block_merge_config_selectorIlNS0_10empty_typeEEEZZNS1_27merge_sort_block_merge_implIS3_PlPS5_mZN2at6native12_GLOBAL__N_124unique_dim_cuda_templateIsEESt5tupleIJNSA_6TensorESF_SF_EERKSF_lbbbEUlllE_EE10hipError_tT0_T1_T2_jT3_P12ihipStream_tbPNSt15iterator_traitsISL_E10value_typeEPNSR_ISM_E10value_typeEPSN_NS1_7vsmem_tEENKUlT_SL_SM_SN_E_clIS8_S8_S9_S9_EESK_S10_SL_SM_SN_EUlS10_E_NS1_11comp_targetILNS1_3genE9ELNS1_11target_archE1100ELNS1_3gpuE3ELNS1_3repE0EEENS1_48merge_mergepath_partition_config_static_selectorELNS0_4arch9wavefront6targetE1EEEvSM_
	.p2align	8
	.type	_ZN7rocprim17ROCPRIM_400000_NS6detail17trampoline_kernelINS0_14default_configENS1_38merge_sort_block_merge_config_selectorIlNS0_10empty_typeEEEZZNS1_27merge_sort_block_merge_implIS3_PlPS5_mZN2at6native12_GLOBAL__N_124unique_dim_cuda_templateIsEESt5tupleIJNSA_6TensorESF_SF_EERKSF_lbbbEUlllE_EE10hipError_tT0_T1_T2_jT3_P12ihipStream_tbPNSt15iterator_traitsISL_E10value_typeEPNSR_ISM_E10value_typeEPSN_NS1_7vsmem_tEENKUlT_SL_SM_SN_E_clIS8_S8_S9_S9_EESK_S10_SL_SM_SN_EUlS10_E_NS1_11comp_targetILNS1_3genE9ELNS1_11target_archE1100ELNS1_3gpuE3ELNS1_3repE0EEENS1_48merge_mergepath_partition_config_static_selectorELNS0_4arch9wavefront6targetE1EEEvSM_,@function
_ZN7rocprim17ROCPRIM_400000_NS6detail17trampoline_kernelINS0_14default_configENS1_38merge_sort_block_merge_config_selectorIlNS0_10empty_typeEEEZZNS1_27merge_sort_block_merge_implIS3_PlPS5_mZN2at6native12_GLOBAL__N_124unique_dim_cuda_templateIsEESt5tupleIJNSA_6TensorESF_SF_EERKSF_lbbbEUlllE_EE10hipError_tT0_T1_T2_jT3_P12ihipStream_tbPNSt15iterator_traitsISL_E10value_typeEPNSR_ISM_E10value_typeEPSN_NS1_7vsmem_tEENKUlT_SL_SM_SN_E_clIS8_S8_S9_S9_EESK_S10_SL_SM_SN_EUlS10_E_NS1_11comp_targetILNS1_3genE9ELNS1_11target_archE1100ELNS1_3gpuE3ELNS1_3repE0EEENS1_48merge_mergepath_partition_config_static_selectorELNS0_4arch9wavefront6targetE1EEEvSM_: ; @_ZN7rocprim17ROCPRIM_400000_NS6detail17trampoline_kernelINS0_14default_configENS1_38merge_sort_block_merge_config_selectorIlNS0_10empty_typeEEEZZNS1_27merge_sort_block_merge_implIS3_PlPS5_mZN2at6native12_GLOBAL__N_124unique_dim_cuda_templateIsEESt5tupleIJNSA_6TensorESF_SF_EERKSF_lbbbEUlllE_EE10hipError_tT0_T1_T2_jT3_P12ihipStream_tbPNSt15iterator_traitsISL_E10value_typeEPNSR_ISM_E10value_typeEPSN_NS1_7vsmem_tEENKUlT_SL_SM_SN_E_clIS8_S8_S9_S9_EESK_S10_SL_SM_SN_EUlS10_E_NS1_11comp_targetILNS1_3genE9ELNS1_11target_archE1100ELNS1_3gpuE3ELNS1_3repE0EEENS1_48merge_mergepath_partition_config_static_selectorELNS0_4arch9wavefront6targetE1EEEvSM_
; %bb.0:
	.section	.rodata,"a",@progbits
	.p2align	6, 0x0
	.amdhsa_kernel _ZN7rocprim17ROCPRIM_400000_NS6detail17trampoline_kernelINS0_14default_configENS1_38merge_sort_block_merge_config_selectorIlNS0_10empty_typeEEEZZNS1_27merge_sort_block_merge_implIS3_PlPS5_mZN2at6native12_GLOBAL__N_124unique_dim_cuda_templateIsEESt5tupleIJNSA_6TensorESF_SF_EERKSF_lbbbEUlllE_EE10hipError_tT0_T1_T2_jT3_P12ihipStream_tbPNSt15iterator_traitsISL_E10value_typeEPNSR_ISM_E10value_typeEPSN_NS1_7vsmem_tEENKUlT_SL_SM_SN_E_clIS8_S8_S9_S9_EESK_S10_SL_SM_SN_EUlS10_E_NS1_11comp_targetILNS1_3genE9ELNS1_11target_archE1100ELNS1_3gpuE3ELNS1_3repE0EEENS1_48merge_mergepath_partition_config_static_selectorELNS0_4arch9wavefront6targetE1EEEvSM_
		.amdhsa_group_segment_fixed_size 0
		.amdhsa_private_segment_fixed_size 0
		.amdhsa_kernarg_size 56
		.amdhsa_user_sgpr_count 2
		.amdhsa_user_sgpr_dispatch_ptr 0
		.amdhsa_user_sgpr_queue_ptr 0
		.amdhsa_user_sgpr_kernarg_segment_ptr 1
		.amdhsa_user_sgpr_dispatch_id 0
		.amdhsa_user_sgpr_kernarg_preload_length 0
		.amdhsa_user_sgpr_kernarg_preload_offset 0
		.amdhsa_user_sgpr_private_segment_size 0
		.amdhsa_uses_dynamic_stack 0
		.amdhsa_enable_private_segment 0
		.amdhsa_system_sgpr_workgroup_id_x 1
		.amdhsa_system_sgpr_workgroup_id_y 0
		.amdhsa_system_sgpr_workgroup_id_z 0
		.amdhsa_system_sgpr_workgroup_info 0
		.amdhsa_system_vgpr_workitem_id 0
		.amdhsa_next_free_vgpr 1
		.amdhsa_next_free_sgpr 0
		.amdhsa_accum_offset 4
		.amdhsa_reserve_vcc 0
		.amdhsa_float_round_mode_32 0
		.amdhsa_float_round_mode_16_64 0
		.amdhsa_float_denorm_mode_32 3
		.amdhsa_float_denorm_mode_16_64 3
		.amdhsa_dx10_clamp 1
		.amdhsa_ieee_mode 1
		.amdhsa_fp16_overflow 0
		.amdhsa_tg_split 0
		.amdhsa_exception_fp_ieee_invalid_op 0
		.amdhsa_exception_fp_denorm_src 0
		.amdhsa_exception_fp_ieee_div_zero 0
		.amdhsa_exception_fp_ieee_overflow 0
		.amdhsa_exception_fp_ieee_underflow 0
		.amdhsa_exception_fp_ieee_inexact 0
		.amdhsa_exception_int_div_zero 0
	.end_amdhsa_kernel
	.section	.text._ZN7rocprim17ROCPRIM_400000_NS6detail17trampoline_kernelINS0_14default_configENS1_38merge_sort_block_merge_config_selectorIlNS0_10empty_typeEEEZZNS1_27merge_sort_block_merge_implIS3_PlPS5_mZN2at6native12_GLOBAL__N_124unique_dim_cuda_templateIsEESt5tupleIJNSA_6TensorESF_SF_EERKSF_lbbbEUlllE_EE10hipError_tT0_T1_T2_jT3_P12ihipStream_tbPNSt15iterator_traitsISL_E10value_typeEPNSR_ISM_E10value_typeEPSN_NS1_7vsmem_tEENKUlT_SL_SM_SN_E_clIS8_S8_S9_S9_EESK_S10_SL_SM_SN_EUlS10_E_NS1_11comp_targetILNS1_3genE9ELNS1_11target_archE1100ELNS1_3gpuE3ELNS1_3repE0EEENS1_48merge_mergepath_partition_config_static_selectorELNS0_4arch9wavefront6targetE1EEEvSM_,"axG",@progbits,_ZN7rocprim17ROCPRIM_400000_NS6detail17trampoline_kernelINS0_14default_configENS1_38merge_sort_block_merge_config_selectorIlNS0_10empty_typeEEEZZNS1_27merge_sort_block_merge_implIS3_PlPS5_mZN2at6native12_GLOBAL__N_124unique_dim_cuda_templateIsEESt5tupleIJNSA_6TensorESF_SF_EERKSF_lbbbEUlllE_EE10hipError_tT0_T1_T2_jT3_P12ihipStream_tbPNSt15iterator_traitsISL_E10value_typeEPNSR_ISM_E10value_typeEPSN_NS1_7vsmem_tEENKUlT_SL_SM_SN_E_clIS8_S8_S9_S9_EESK_S10_SL_SM_SN_EUlS10_E_NS1_11comp_targetILNS1_3genE9ELNS1_11target_archE1100ELNS1_3gpuE3ELNS1_3repE0EEENS1_48merge_mergepath_partition_config_static_selectorELNS0_4arch9wavefront6targetE1EEEvSM_,comdat
.Lfunc_end642:
	.size	_ZN7rocprim17ROCPRIM_400000_NS6detail17trampoline_kernelINS0_14default_configENS1_38merge_sort_block_merge_config_selectorIlNS0_10empty_typeEEEZZNS1_27merge_sort_block_merge_implIS3_PlPS5_mZN2at6native12_GLOBAL__N_124unique_dim_cuda_templateIsEESt5tupleIJNSA_6TensorESF_SF_EERKSF_lbbbEUlllE_EE10hipError_tT0_T1_T2_jT3_P12ihipStream_tbPNSt15iterator_traitsISL_E10value_typeEPNSR_ISM_E10value_typeEPSN_NS1_7vsmem_tEENKUlT_SL_SM_SN_E_clIS8_S8_S9_S9_EESK_S10_SL_SM_SN_EUlS10_E_NS1_11comp_targetILNS1_3genE9ELNS1_11target_archE1100ELNS1_3gpuE3ELNS1_3repE0EEENS1_48merge_mergepath_partition_config_static_selectorELNS0_4arch9wavefront6targetE1EEEvSM_, .Lfunc_end642-_ZN7rocprim17ROCPRIM_400000_NS6detail17trampoline_kernelINS0_14default_configENS1_38merge_sort_block_merge_config_selectorIlNS0_10empty_typeEEEZZNS1_27merge_sort_block_merge_implIS3_PlPS5_mZN2at6native12_GLOBAL__N_124unique_dim_cuda_templateIsEESt5tupleIJNSA_6TensorESF_SF_EERKSF_lbbbEUlllE_EE10hipError_tT0_T1_T2_jT3_P12ihipStream_tbPNSt15iterator_traitsISL_E10value_typeEPNSR_ISM_E10value_typeEPSN_NS1_7vsmem_tEENKUlT_SL_SM_SN_E_clIS8_S8_S9_S9_EESK_S10_SL_SM_SN_EUlS10_E_NS1_11comp_targetILNS1_3genE9ELNS1_11target_archE1100ELNS1_3gpuE3ELNS1_3repE0EEENS1_48merge_mergepath_partition_config_static_selectorELNS0_4arch9wavefront6targetE1EEEvSM_
                                        ; -- End function
	.set _ZN7rocprim17ROCPRIM_400000_NS6detail17trampoline_kernelINS0_14default_configENS1_38merge_sort_block_merge_config_selectorIlNS0_10empty_typeEEEZZNS1_27merge_sort_block_merge_implIS3_PlPS5_mZN2at6native12_GLOBAL__N_124unique_dim_cuda_templateIsEESt5tupleIJNSA_6TensorESF_SF_EERKSF_lbbbEUlllE_EE10hipError_tT0_T1_T2_jT3_P12ihipStream_tbPNSt15iterator_traitsISL_E10value_typeEPNSR_ISM_E10value_typeEPSN_NS1_7vsmem_tEENKUlT_SL_SM_SN_E_clIS8_S8_S9_S9_EESK_S10_SL_SM_SN_EUlS10_E_NS1_11comp_targetILNS1_3genE9ELNS1_11target_archE1100ELNS1_3gpuE3ELNS1_3repE0EEENS1_48merge_mergepath_partition_config_static_selectorELNS0_4arch9wavefront6targetE1EEEvSM_.num_vgpr, 0
	.set _ZN7rocprim17ROCPRIM_400000_NS6detail17trampoline_kernelINS0_14default_configENS1_38merge_sort_block_merge_config_selectorIlNS0_10empty_typeEEEZZNS1_27merge_sort_block_merge_implIS3_PlPS5_mZN2at6native12_GLOBAL__N_124unique_dim_cuda_templateIsEESt5tupleIJNSA_6TensorESF_SF_EERKSF_lbbbEUlllE_EE10hipError_tT0_T1_T2_jT3_P12ihipStream_tbPNSt15iterator_traitsISL_E10value_typeEPNSR_ISM_E10value_typeEPSN_NS1_7vsmem_tEENKUlT_SL_SM_SN_E_clIS8_S8_S9_S9_EESK_S10_SL_SM_SN_EUlS10_E_NS1_11comp_targetILNS1_3genE9ELNS1_11target_archE1100ELNS1_3gpuE3ELNS1_3repE0EEENS1_48merge_mergepath_partition_config_static_selectorELNS0_4arch9wavefront6targetE1EEEvSM_.num_agpr, 0
	.set _ZN7rocprim17ROCPRIM_400000_NS6detail17trampoline_kernelINS0_14default_configENS1_38merge_sort_block_merge_config_selectorIlNS0_10empty_typeEEEZZNS1_27merge_sort_block_merge_implIS3_PlPS5_mZN2at6native12_GLOBAL__N_124unique_dim_cuda_templateIsEESt5tupleIJNSA_6TensorESF_SF_EERKSF_lbbbEUlllE_EE10hipError_tT0_T1_T2_jT3_P12ihipStream_tbPNSt15iterator_traitsISL_E10value_typeEPNSR_ISM_E10value_typeEPSN_NS1_7vsmem_tEENKUlT_SL_SM_SN_E_clIS8_S8_S9_S9_EESK_S10_SL_SM_SN_EUlS10_E_NS1_11comp_targetILNS1_3genE9ELNS1_11target_archE1100ELNS1_3gpuE3ELNS1_3repE0EEENS1_48merge_mergepath_partition_config_static_selectorELNS0_4arch9wavefront6targetE1EEEvSM_.numbered_sgpr, 0
	.set _ZN7rocprim17ROCPRIM_400000_NS6detail17trampoline_kernelINS0_14default_configENS1_38merge_sort_block_merge_config_selectorIlNS0_10empty_typeEEEZZNS1_27merge_sort_block_merge_implIS3_PlPS5_mZN2at6native12_GLOBAL__N_124unique_dim_cuda_templateIsEESt5tupleIJNSA_6TensorESF_SF_EERKSF_lbbbEUlllE_EE10hipError_tT0_T1_T2_jT3_P12ihipStream_tbPNSt15iterator_traitsISL_E10value_typeEPNSR_ISM_E10value_typeEPSN_NS1_7vsmem_tEENKUlT_SL_SM_SN_E_clIS8_S8_S9_S9_EESK_S10_SL_SM_SN_EUlS10_E_NS1_11comp_targetILNS1_3genE9ELNS1_11target_archE1100ELNS1_3gpuE3ELNS1_3repE0EEENS1_48merge_mergepath_partition_config_static_selectorELNS0_4arch9wavefront6targetE1EEEvSM_.num_named_barrier, 0
	.set _ZN7rocprim17ROCPRIM_400000_NS6detail17trampoline_kernelINS0_14default_configENS1_38merge_sort_block_merge_config_selectorIlNS0_10empty_typeEEEZZNS1_27merge_sort_block_merge_implIS3_PlPS5_mZN2at6native12_GLOBAL__N_124unique_dim_cuda_templateIsEESt5tupleIJNSA_6TensorESF_SF_EERKSF_lbbbEUlllE_EE10hipError_tT0_T1_T2_jT3_P12ihipStream_tbPNSt15iterator_traitsISL_E10value_typeEPNSR_ISM_E10value_typeEPSN_NS1_7vsmem_tEENKUlT_SL_SM_SN_E_clIS8_S8_S9_S9_EESK_S10_SL_SM_SN_EUlS10_E_NS1_11comp_targetILNS1_3genE9ELNS1_11target_archE1100ELNS1_3gpuE3ELNS1_3repE0EEENS1_48merge_mergepath_partition_config_static_selectorELNS0_4arch9wavefront6targetE1EEEvSM_.private_seg_size, 0
	.set _ZN7rocprim17ROCPRIM_400000_NS6detail17trampoline_kernelINS0_14default_configENS1_38merge_sort_block_merge_config_selectorIlNS0_10empty_typeEEEZZNS1_27merge_sort_block_merge_implIS3_PlPS5_mZN2at6native12_GLOBAL__N_124unique_dim_cuda_templateIsEESt5tupleIJNSA_6TensorESF_SF_EERKSF_lbbbEUlllE_EE10hipError_tT0_T1_T2_jT3_P12ihipStream_tbPNSt15iterator_traitsISL_E10value_typeEPNSR_ISM_E10value_typeEPSN_NS1_7vsmem_tEENKUlT_SL_SM_SN_E_clIS8_S8_S9_S9_EESK_S10_SL_SM_SN_EUlS10_E_NS1_11comp_targetILNS1_3genE9ELNS1_11target_archE1100ELNS1_3gpuE3ELNS1_3repE0EEENS1_48merge_mergepath_partition_config_static_selectorELNS0_4arch9wavefront6targetE1EEEvSM_.uses_vcc, 0
	.set _ZN7rocprim17ROCPRIM_400000_NS6detail17trampoline_kernelINS0_14default_configENS1_38merge_sort_block_merge_config_selectorIlNS0_10empty_typeEEEZZNS1_27merge_sort_block_merge_implIS3_PlPS5_mZN2at6native12_GLOBAL__N_124unique_dim_cuda_templateIsEESt5tupleIJNSA_6TensorESF_SF_EERKSF_lbbbEUlllE_EE10hipError_tT0_T1_T2_jT3_P12ihipStream_tbPNSt15iterator_traitsISL_E10value_typeEPNSR_ISM_E10value_typeEPSN_NS1_7vsmem_tEENKUlT_SL_SM_SN_E_clIS8_S8_S9_S9_EESK_S10_SL_SM_SN_EUlS10_E_NS1_11comp_targetILNS1_3genE9ELNS1_11target_archE1100ELNS1_3gpuE3ELNS1_3repE0EEENS1_48merge_mergepath_partition_config_static_selectorELNS0_4arch9wavefront6targetE1EEEvSM_.uses_flat_scratch, 0
	.set _ZN7rocprim17ROCPRIM_400000_NS6detail17trampoline_kernelINS0_14default_configENS1_38merge_sort_block_merge_config_selectorIlNS0_10empty_typeEEEZZNS1_27merge_sort_block_merge_implIS3_PlPS5_mZN2at6native12_GLOBAL__N_124unique_dim_cuda_templateIsEESt5tupleIJNSA_6TensorESF_SF_EERKSF_lbbbEUlllE_EE10hipError_tT0_T1_T2_jT3_P12ihipStream_tbPNSt15iterator_traitsISL_E10value_typeEPNSR_ISM_E10value_typeEPSN_NS1_7vsmem_tEENKUlT_SL_SM_SN_E_clIS8_S8_S9_S9_EESK_S10_SL_SM_SN_EUlS10_E_NS1_11comp_targetILNS1_3genE9ELNS1_11target_archE1100ELNS1_3gpuE3ELNS1_3repE0EEENS1_48merge_mergepath_partition_config_static_selectorELNS0_4arch9wavefront6targetE1EEEvSM_.has_dyn_sized_stack, 0
	.set _ZN7rocprim17ROCPRIM_400000_NS6detail17trampoline_kernelINS0_14default_configENS1_38merge_sort_block_merge_config_selectorIlNS0_10empty_typeEEEZZNS1_27merge_sort_block_merge_implIS3_PlPS5_mZN2at6native12_GLOBAL__N_124unique_dim_cuda_templateIsEESt5tupleIJNSA_6TensorESF_SF_EERKSF_lbbbEUlllE_EE10hipError_tT0_T1_T2_jT3_P12ihipStream_tbPNSt15iterator_traitsISL_E10value_typeEPNSR_ISM_E10value_typeEPSN_NS1_7vsmem_tEENKUlT_SL_SM_SN_E_clIS8_S8_S9_S9_EESK_S10_SL_SM_SN_EUlS10_E_NS1_11comp_targetILNS1_3genE9ELNS1_11target_archE1100ELNS1_3gpuE3ELNS1_3repE0EEENS1_48merge_mergepath_partition_config_static_selectorELNS0_4arch9wavefront6targetE1EEEvSM_.has_recursion, 0
	.set _ZN7rocprim17ROCPRIM_400000_NS6detail17trampoline_kernelINS0_14default_configENS1_38merge_sort_block_merge_config_selectorIlNS0_10empty_typeEEEZZNS1_27merge_sort_block_merge_implIS3_PlPS5_mZN2at6native12_GLOBAL__N_124unique_dim_cuda_templateIsEESt5tupleIJNSA_6TensorESF_SF_EERKSF_lbbbEUlllE_EE10hipError_tT0_T1_T2_jT3_P12ihipStream_tbPNSt15iterator_traitsISL_E10value_typeEPNSR_ISM_E10value_typeEPSN_NS1_7vsmem_tEENKUlT_SL_SM_SN_E_clIS8_S8_S9_S9_EESK_S10_SL_SM_SN_EUlS10_E_NS1_11comp_targetILNS1_3genE9ELNS1_11target_archE1100ELNS1_3gpuE3ELNS1_3repE0EEENS1_48merge_mergepath_partition_config_static_selectorELNS0_4arch9wavefront6targetE1EEEvSM_.has_indirect_call, 0
	.section	.AMDGPU.csdata,"",@progbits
; Kernel info:
; codeLenInByte = 0
; TotalNumSgprs: 6
; NumVgprs: 0
; NumAgprs: 0
; TotalNumVgprs: 0
; ScratchSize: 0
; MemoryBound: 0
; FloatMode: 240
; IeeeMode: 1
; LDSByteSize: 0 bytes/workgroup (compile time only)
; SGPRBlocks: 0
; VGPRBlocks: 0
; NumSGPRsForWavesPerEU: 6
; NumVGPRsForWavesPerEU: 1
; AccumOffset: 4
; Occupancy: 8
; WaveLimiterHint : 0
; COMPUTE_PGM_RSRC2:SCRATCH_EN: 0
; COMPUTE_PGM_RSRC2:USER_SGPR: 2
; COMPUTE_PGM_RSRC2:TRAP_HANDLER: 0
; COMPUTE_PGM_RSRC2:TGID_X_EN: 1
; COMPUTE_PGM_RSRC2:TGID_Y_EN: 0
; COMPUTE_PGM_RSRC2:TGID_Z_EN: 0
; COMPUTE_PGM_RSRC2:TIDIG_COMP_CNT: 0
; COMPUTE_PGM_RSRC3_GFX90A:ACCUM_OFFSET: 0
; COMPUTE_PGM_RSRC3_GFX90A:TG_SPLIT: 0
	.section	.text._ZN7rocprim17ROCPRIM_400000_NS6detail17trampoline_kernelINS0_14default_configENS1_38merge_sort_block_merge_config_selectorIlNS0_10empty_typeEEEZZNS1_27merge_sort_block_merge_implIS3_PlPS5_mZN2at6native12_GLOBAL__N_124unique_dim_cuda_templateIsEESt5tupleIJNSA_6TensorESF_SF_EERKSF_lbbbEUlllE_EE10hipError_tT0_T1_T2_jT3_P12ihipStream_tbPNSt15iterator_traitsISL_E10value_typeEPNSR_ISM_E10value_typeEPSN_NS1_7vsmem_tEENKUlT_SL_SM_SN_E_clIS8_S8_S9_S9_EESK_S10_SL_SM_SN_EUlS10_E_NS1_11comp_targetILNS1_3genE8ELNS1_11target_archE1030ELNS1_3gpuE2ELNS1_3repE0EEENS1_48merge_mergepath_partition_config_static_selectorELNS0_4arch9wavefront6targetE1EEEvSM_,"axG",@progbits,_ZN7rocprim17ROCPRIM_400000_NS6detail17trampoline_kernelINS0_14default_configENS1_38merge_sort_block_merge_config_selectorIlNS0_10empty_typeEEEZZNS1_27merge_sort_block_merge_implIS3_PlPS5_mZN2at6native12_GLOBAL__N_124unique_dim_cuda_templateIsEESt5tupleIJNSA_6TensorESF_SF_EERKSF_lbbbEUlllE_EE10hipError_tT0_T1_T2_jT3_P12ihipStream_tbPNSt15iterator_traitsISL_E10value_typeEPNSR_ISM_E10value_typeEPSN_NS1_7vsmem_tEENKUlT_SL_SM_SN_E_clIS8_S8_S9_S9_EESK_S10_SL_SM_SN_EUlS10_E_NS1_11comp_targetILNS1_3genE8ELNS1_11target_archE1030ELNS1_3gpuE2ELNS1_3repE0EEENS1_48merge_mergepath_partition_config_static_selectorELNS0_4arch9wavefront6targetE1EEEvSM_,comdat
	.globl	_ZN7rocprim17ROCPRIM_400000_NS6detail17trampoline_kernelINS0_14default_configENS1_38merge_sort_block_merge_config_selectorIlNS0_10empty_typeEEEZZNS1_27merge_sort_block_merge_implIS3_PlPS5_mZN2at6native12_GLOBAL__N_124unique_dim_cuda_templateIsEESt5tupleIJNSA_6TensorESF_SF_EERKSF_lbbbEUlllE_EE10hipError_tT0_T1_T2_jT3_P12ihipStream_tbPNSt15iterator_traitsISL_E10value_typeEPNSR_ISM_E10value_typeEPSN_NS1_7vsmem_tEENKUlT_SL_SM_SN_E_clIS8_S8_S9_S9_EESK_S10_SL_SM_SN_EUlS10_E_NS1_11comp_targetILNS1_3genE8ELNS1_11target_archE1030ELNS1_3gpuE2ELNS1_3repE0EEENS1_48merge_mergepath_partition_config_static_selectorELNS0_4arch9wavefront6targetE1EEEvSM_ ; -- Begin function _ZN7rocprim17ROCPRIM_400000_NS6detail17trampoline_kernelINS0_14default_configENS1_38merge_sort_block_merge_config_selectorIlNS0_10empty_typeEEEZZNS1_27merge_sort_block_merge_implIS3_PlPS5_mZN2at6native12_GLOBAL__N_124unique_dim_cuda_templateIsEESt5tupleIJNSA_6TensorESF_SF_EERKSF_lbbbEUlllE_EE10hipError_tT0_T1_T2_jT3_P12ihipStream_tbPNSt15iterator_traitsISL_E10value_typeEPNSR_ISM_E10value_typeEPSN_NS1_7vsmem_tEENKUlT_SL_SM_SN_E_clIS8_S8_S9_S9_EESK_S10_SL_SM_SN_EUlS10_E_NS1_11comp_targetILNS1_3genE8ELNS1_11target_archE1030ELNS1_3gpuE2ELNS1_3repE0EEENS1_48merge_mergepath_partition_config_static_selectorELNS0_4arch9wavefront6targetE1EEEvSM_
	.p2align	8
	.type	_ZN7rocprim17ROCPRIM_400000_NS6detail17trampoline_kernelINS0_14default_configENS1_38merge_sort_block_merge_config_selectorIlNS0_10empty_typeEEEZZNS1_27merge_sort_block_merge_implIS3_PlPS5_mZN2at6native12_GLOBAL__N_124unique_dim_cuda_templateIsEESt5tupleIJNSA_6TensorESF_SF_EERKSF_lbbbEUlllE_EE10hipError_tT0_T1_T2_jT3_P12ihipStream_tbPNSt15iterator_traitsISL_E10value_typeEPNSR_ISM_E10value_typeEPSN_NS1_7vsmem_tEENKUlT_SL_SM_SN_E_clIS8_S8_S9_S9_EESK_S10_SL_SM_SN_EUlS10_E_NS1_11comp_targetILNS1_3genE8ELNS1_11target_archE1030ELNS1_3gpuE2ELNS1_3repE0EEENS1_48merge_mergepath_partition_config_static_selectorELNS0_4arch9wavefront6targetE1EEEvSM_,@function
_ZN7rocprim17ROCPRIM_400000_NS6detail17trampoline_kernelINS0_14default_configENS1_38merge_sort_block_merge_config_selectorIlNS0_10empty_typeEEEZZNS1_27merge_sort_block_merge_implIS3_PlPS5_mZN2at6native12_GLOBAL__N_124unique_dim_cuda_templateIsEESt5tupleIJNSA_6TensorESF_SF_EERKSF_lbbbEUlllE_EE10hipError_tT0_T1_T2_jT3_P12ihipStream_tbPNSt15iterator_traitsISL_E10value_typeEPNSR_ISM_E10value_typeEPSN_NS1_7vsmem_tEENKUlT_SL_SM_SN_E_clIS8_S8_S9_S9_EESK_S10_SL_SM_SN_EUlS10_E_NS1_11comp_targetILNS1_3genE8ELNS1_11target_archE1030ELNS1_3gpuE2ELNS1_3repE0EEENS1_48merge_mergepath_partition_config_static_selectorELNS0_4arch9wavefront6targetE1EEEvSM_: ; @_ZN7rocprim17ROCPRIM_400000_NS6detail17trampoline_kernelINS0_14default_configENS1_38merge_sort_block_merge_config_selectorIlNS0_10empty_typeEEEZZNS1_27merge_sort_block_merge_implIS3_PlPS5_mZN2at6native12_GLOBAL__N_124unique_dim_cuda_templateIsEESt5tupleIJNSA_6TensorESF_SF_EERKSF_lbbbEUlllE_EE10hipError_tT0_T1_T2_jT3_P12ihipStream_tbPNSt15iterator_traitsISL_E10value_typeEPNSR_ISM_E10value_typeEPSN_NS1_7vsmem_tEENKUlT_SL_SM_SN_E_clIS8_S8_S9_S9_EESK_S10_SL_SM_SN_EUlS10_E_NS1_11comp_targetILNS1_3genE8ELNS1_11target_archE1030ELNS1_3gpuE2ELNS1_3repE0EEENS1_48merge_mergepath_partition_config_static_selectorELNS0_4arch9wavefront6targetE1EEEvSM_
; %bb.0:
	.section	.rodata,"a",@progbits
	.p2align	6, 0x0
	.amdhsa_kernel _ZN7rocprim17ROCPRIM_400000_NS6detail17trampoline_kernelINS0_14default_configENS1_38merge_sort_block_merge_config_selectorIlNS0_10empty_typeEEEZZNS1_27merge_sort_block_merge_implIS3_PlPS5_mZN2at6native12_GLOBAL__N_124unique_dim_cuda_templateIsEESt5tupleIJNSA_6TensorESF_SF_EERKSF_lbbbEUlllE_EE10hipError_tT0_T1_T2_jT3_P12ihipStream_tbPNSt15iterator_traitsISL_E10value_typeEPNSR_ISM_E10value_typeEPSN_NS1_7vsmem_tEENKUlT_SL_SM_SN_E_clIS8_S8_S9_S9_EESK_S10_SL_SM_SN_EUlS10_E_NS1_11comp_targetILNS1_3genE8ELNS1_11target_archE1030ELNS1_3gpuE2ELNS1_3repE0EEENS1_48merge_mergepath_partition_config_static_selectorELNS0_4arch9wavefront6targetE1EEEvSM_
		.amdhsa_group_segment_fixed_size 0
		.amdhsa_private_segment_fixed_size 0
		.amdhsa_kernarg_size 56
		.amdhsa_user_sgpr_count 2
		.amdhsa_user_sgpr_dispatch_ptr 0
		.amdhsa_user_sgpr_queue_ptr 0
		.amdhsa_user_sgpr_kernarg_segment_ptr 1
		.amdhsa_user_sgpr_dispatch_id 0
		.amdhsa_user_sgpr_kernarg_preload_length 0
		.amdhsa_user_sgpr_kernarg_preload_offset 0
		.amdhsa_user_sgpr_private_segment_size 0
		.amdhsa_uses_dynamic_stack 0
		.amdhsa_enable_private_segment 0
		.amdhsa_system_sgpr_workgroup_id_x 1
		.amdhsa_system_sgpr_workgroup_id_y 0
		.amdhsa_system_sgpr_workgroup_id_z 0
		.amdhsa_system_sgpr_workgroup_info 0
		.amdhsa_system_vgpr_workitem_id 0
		.amdhsa_next_free_vgpr 1
		.amdhsa_next_free_sgpr 0
		.amdhsa_accum_offset 4
		.amdhsa_reserve_vcc 0
		.amdhsa_float_round_mode_32 0
		.amdhsa_float_round_mode_16_64 0
		.amdhsa_float_denorm_mode_32 3
		.amdhsa_float_denorm_mode_16_64 3
		.amdhsa_dx10_clamp 1
		.amdhsa_ieee_mode 1
		.amdhsa_fp16_overflow 0
		.amdhsa_tg_split 0
		.amdhsa_exception_fp_ieee_invalid_op 0
		.amdhsa_exception_fp_denorm_src 0
		.amdhsa_exception_fp_ieee_div_zero 0
		.amdhsa_exception_fp_ieee_overflow 0
		.amdhsa_exception_fp_ieee_underflow 0
		.amdhsa_exception_fp_ieee_inexact 0
		.amdhsa_exception_int_div_zero 0
	.end_amdhsa_kernel
	.section	.text._ZN7rocprim17ROCPRIM_400000_NS6detail17trampoline_kernelINS0_14default_configENS1_38merge_sort_block_merge_config_selectorIlNS0_10empty_typeEEEZZNS1_27merge_sort_block_merge_implIS3_PlPS5_mZN2at6native12_GLOBAL__N_124unique_dim_cuda_templateIsEESt5tupleIJNSA_6TensorESF_SF_EERKSF_lbbbEUlllE_EE10hipError_tT0_T1_T2_jT3_P12ihipStream_tbPNSt15iterator_traitsISL_E10value_typeEPNSR_ISM_E10value_typeEPSN_NS1_7vsmem_tEENKUlT_SL_SM_SN_E_clIS8_S8_S9_S9_EESK_S10_SL_SM_SN_EUlS10_E_NS1_11comp_targetILNS1_3genE8ELNS1_11target_archE1030ELNS1_3gpuE2ELNS1_3repE0EEENS1_48merge_mergepath_partition_config_static_selectorELNS0_4arch9wavefront6targetE1EEEvSM_,"axG",@progbits,_ZN7rocprim17ROCPRIM_400000_NS6detail17trampoline_kernelINS0_14default_configENS1_38merge_sort_block_merge_config_selectorIlNS0_10empty_typeEEEZZNS1_27merge_sort_block_merge_implIS3_PlPS5_mZN2at6native12_GLOBAL__N_124unique_dim_cuda_templateIsEESt5tupleIJNSA_6TensorESF_SF_EERKSF_lbbbEUlllE_EE10hipError_tT0_T1_T2_jT3_P12ihipStream_tbPNSt15iterator_traitsISL_E10value_typeEPNSR_ISM_E10value_typeEPSN_NS1_7vsmem_tEENKUlT_SL_SM_SN_E_clIS8_S8_S9_S9_EESK_S10_SL_SM_SN_EUlS10_E_NS1_11comp_targetILNS1_3genE8ELNS1_11target_archE1030ELNS1_3gpuE2ELNS1_3repE0EEENS1_48merge_mergepath_partition_config_static_selectorELNS0_4arch9wavefront6targetE1EEEvSM_,comdat
.Lfunc_end643:
	.size	_ZN7rocprim17ROCPRIM_400000_NS6detail17trampoline_kernelINS0_14default_configENS1_38merge_sort_block_merge_config_selectorIlNS0_10empty_typeEEEZZNS1_27merge_sort_block_merge_implIS3_PlPS5_mZN2at6native12_GLOBAL__N_124unique_dim_cuda_templateIsEESt5tupleIJNSA_6TensorESF_SF_EERKSF_lbbbEUlllE_EE10hipError_tT0_T1_T2_jT3_P12ihipStream_tbPNSt15iterator_traitsISL_E10value_typeEPNSR_ISM_E10value_typeEPSN_NS1_7vsmem_tEENKUlT_SL_SM_SN_E_clIS8_S8_S9_S9_EESK_S10_SL_SM_SN_EUlS10_E_NS1_11comp_targetILNS1_3genE8ELNS1_11target_archE1030ELNS1_3gpuE2ELNS1_3repE0EEENS1_48merge_mergepath_partition_config_static_selectorELNS0_4arch9wavefront6targetE1EEEvSM_, .Lfunc_end643-_ZN7rocprim17ROCPRIM_400000_NS6detail17trampoline_kernelINS0_14default_configENS1_38merge_sort_block_merge_config_selectorIlNS0_10empty_typeEEEZZNS1_27merge_sort_block_merge_implIS3_PlPS5_mZN2at6native12_GLOBAL__N_124unique_dim_cuda_templateIsEESt5tupleIJNSA_6TensorESF_SF_EERKSF_lbbbEUlllE_EE10hipError_tT0_T1_T2_jT3_P12ihipStream_tbPNSt15iterator_traitsISL_E10value_typeEPNSR_ISM_E10value_typeEPSN_NS1_7vsmem_tEENKUlT_SL_SM_SN_E_clIS8_S8_S9_S9_EESK_S10_SL_SM_SN_EUlS10_E_NS1_11comp_targetILNS1_3genE8ELNS1_11target_archE1030ELNS1_3gpuE2ELNS1_3repE0EEENS1_48merge_mergepath_partition_config_static_selectorELNS0_4arch9wavefront6targetE1EEEvSM_
                                        ; -- End function
	.set _ZN7rocprim17ROCPRIM_400000_NS6detail17trampoline_kernelINS0_14default_configENS1_38merge_sort_block_merge_config_selectorIlNS0_10empty_typeEEEZZNS1_27merge_sort_block_merge_implIS3_PlPS5_mZN2at6native12_GLOBAL__N_124unique_dim_cuda_templateIsEESt5tupleIJNSA_6TensorESF_SF_EERKSF_lbbbEUlllE_EE10hipError_tT0_T1_T2_jT3_P12ihipStream_tbPNSt15iterator_traitsISL_E10value_typeEPNSR_ISM_E10value_typeEPSN_NS1_7vsmem_tEENKUlT_SL_SM_SN_E_clIS8_S8_S9_S9_EESK_S10_SL_SM_SN_EUlS10_E_NS1_11comp_targetILNS1_3genE8ELNS1_11target_archE1030ELNS1_3gpuE2ELNS1_3repE0EEENS1_48merge_mergepath_partition_config_static_selectorELNS0_4arch9wavefront6targetE1EEEvSM_.num_vgpr, 0
	.set _ZN7rocprim17ROCPRIM_400000_NS6detail17trampoline_kernelINS0_14default_configENS1_38merge_sort_block_merge_config_selectorIlNS0_10empty_typeEEEZZNS1_27merge_sort_block_merge_implIS3_PlPS5_mZN2at6native12_GLOBAL__N_124unique_dim_cuda_templateIsEESt5tupleIJNSA_6TensorESF_SF_EERKSF_lbbbEUlllE_EE10hipError_tT0_T1_T2_jT3_P12ihipStream_tbPNSt15iterator_traitsISL_E10value_typeEPNSR_ISM_E10value_typeEPSN_NS1_7vsmem_tEENKUlT_SL_SM_SN_E_clIS8_S8_S9_S9_EESK_S10_SL_SM_SN_EUlS10_E_NS1_11comp_targetILNS1_3genE8ELNS1_11target_archE1030ELNS1_3gpuE2ELNS1_3repE0EEENS1_48merge_mergepath_partition_config_static_selectorELNS0_4arch9wavefront6targetE1EEEvSM_.num_agpr, 0
	.set _ZN7rocprim17ROCPRIM_400000_NS6detail17trampoline_kernelINS0_14default_configENS1_38merge_sort_block_merge_config_selectorIlNS0_10empty_typeEEEZZNS1_27merge_sort_block_merge_implIS3_PlPS5_mZN2at6native12_GLOBAL__N_124unique_dim_cuda_templateIsEESt5tupleIJNSA_6TensorESF_SF_EERKSF_lbbbEUlllE_EE10hipError_tT0_T1_T2_jT3_P12ihipStream_tbPNSt15iterator_traitsISL_E10value_typeEPNSR_ISM_E10value_typeEPSN_NS1_7vsmem_tEENKUlT_SL_SM_SN_E_clIS8_S8_S9_S9_EESK_S10_SL_SM_SN_EUlS10_E_NS1_11comp_targetILNS1_3genE8ELNS1_11target_archE1030ELNS1_3gpuE2ELNS1_3repE0EEENS1_48merge_mergepath_partition_config_static_selectorELNS0_4arch9wavefront6targetE1EEEvSM_.numbered_sgpr, 0
	.set _ZN7rocprim17ROCPRIM_400000_NS6detail17trampoline_kernelINS0_14default_configENS1_38merge_sort_block_merge_config_selectorIlNS0_10empty_typeEEEZZNS1_27merge_sort_block_merge_implIS3_PlPS5_mZN2at6native12_GLOBAL__N_124unique_dim_cuda_templateIsEESt5tupleIJNSA_6TensorESF_SF_EERKSF_lbbbEUlllE_EE10hipError_tT0_T1_T2_jT3_P12ihipStream_tbPNSt15iterator_traitsISL_E10value_typeEPNSR_ISM_E10value_typeEPSN_NS1_7vsmem_tEENKUlT_SL_SM_SN_E_clIS8_S8_S9_S9_EESK_S10_SL_SM_SN_EUlS10_E_NS1_11comp_targetILNS1_3genE8ELNS1_11target_archE1030ELNS1_3gpuE2ELNS1_3repE0EEENS1_48merge_mergepath_partition_config_static_selectorELNS0_4arch9wavefront6targetE1EEEvSM_.num_named_barrier, 0
	.set _ZN7rocprim17ROCPRIM_400000_NS6detail17trampoline_kernelINS0_14default_configENS1_38merge_sort_block_merge_config_selectorIlNS0_10empty_typeEEEZZNS1_27merge_sort_block_merge_implIS3_PlPS5_mZN2at6native12_GLOBAL__N_124unique_dim_cuda_templateIsEESt5tupleIJNSA_6TensorESF_SF_EERKSF_lbbbEUlllE_EE10hipError_tT0_T1_T2_jT3_P12ihipStream_tbPNSt15iterator_traitsISL_E10value_typeEPNSR_ISM_E10value_typeEPSN_NS1_7vsmem_tEENKUlT_SL_SM_SN_E_clIS8_S8_S9_S9_EESK_S10_SL_SM_SN_EUlS10_E_NS1_11comp_targetILNS1_3genE8ELNS1_11target_archE1030ELNS1_3gpuE2ELNS1_3repE0EEENS1_48merge_mergepath_partition_config_static_selectorELNS0_4arch9wavefront6targetE1EEEvSM_.private_seg_size, 0
	.set _ZN7rocprim17ROCPRIM_400000_NS6detail17trampoline_kernelINS0_14default_configENS1_38merge_sort_block_merge_config_selectorIlNS0_10empty_typeEEEZZNS1_27merge_sort_block_merge_implIS3_PlPS5_mZN2at6native12_GLOBAL__N_124unique_dim_cuda_templateIsEESt5tupleIJNSA_6TensorESF_SF_EERKSF_lbbbEUlllE_EE10hipError_tT0_T1_T2_jT3_P12ihipStream_tbPNSt15iterator_traitsISL_E10value_typeEPNSR_ISM_E10value_typeEPSN_NS1_7vsmem_tEENKUlT_SL_SM_SN_E_clIS8_S8_S9_S9_EESK_S10_SL_SM_SN_EUlS10_E_NS1_11comp_targetILNS1_3genE8ELNS1_11target_archE1030ELNS1_3gpuE2ELNS1_3repE0EEENS1_48merge_mergepath_partition_config_static_selectorELNS0_4arch9wavefront6targetE1EEEvSM_.uses_vcc, 0
	.set _ZN7rocprim17ROCPRIM_400000_NS6detail17trampoline_kernelINS0_14default_configENS1_38merge_sort_block_merge_config_selectorIlNS0_10empty_typeEEEZZNS1_27merge_sort_block_merge_implIS3_PlPS5_mZN2at6native12_GLOBAL__N_124unique_dim_cuda_templateIsEESt5tupleIJNSA_6TensorESF_SF_EERKSF_lbbbEUlllE_EE10hipError_tT0_T1_T2_jT3_P12ihipStream_tbPNSt15iterator_traitsISL_E10value_typeEPNSR_ISM_E10value_typeEPSN_NS1_7vsmem_tEENKUlT_SL_SM_SN_E_clIS8_S8_S9_S9_EESK_S10_SL_SM_SN_EUlS10_E_NS1_11comp_targetILNS1_3genE8ELNS1_11target_archE1030ELNS1_3gpuE2ELNS1_3repE0EEENS1_48merge_mergepath_partition_config_static_selectorELNS0_4arch9wavefront6targetE1EEEvSM_.uses_flat_scratch, 0
	.set _ZN7rocprim17ROCPRIM_400000_NS6detail17trampoline_kernelINS0_14default_configENS1_38merge_sort_block_merge_config_selectorIlNS0_10empty_typeEEEZZNS1_27merge_sort_block_merge_implIS3_PlPS5_mZN2at6native12_GLOBAL__N_124unique_dim_cuda_templateIsEESt5tupleIJNSA_6TensorESF_SF_EERKSF_lbbbEUlllE_EE10hipError_tT0_T1_T2_jT3_P12ihipStream_tbPNSt15iterator_traitsISL_E10value_typeEPNSR_ISM_E10value_typeEPSN_NS1_7vsmem_tEENKUlT_SL_SM_SN_E_clIS8_S8_S9_S9_EESK_S10_SL_SM_SN_EUlS10_E_NS1_11comp_targetILNS1_3genE8ELNS1_11target_archE1030ELNS1_3gpuE2ELNS1_3repE0EEENS1_48merge_mergepath_partition_config_static_selectorELNS0_4arch9wavefront6targetE1EEEvSM_.has_dyn_sized_stack, 0
	.set _ZN7rocprim17ROCPRIM_400000_NS6detail17trampoline_kernelINS0_14default_configENS1_38merge_sort_block_merge_config_selectorIlNS0_10empty_typeEEEZZNS1_27merge_sort_block_merge_implIS3_PlPS5_mZN2at6native12_GLOBAL__N_124unique_dim_cuda_templateIsEESt5tupleIJNSA_6TensorESF_SF_EERKSF_lbbbEUlllE_EE10hipError_tT0_T1_T2_jT3_P12ihipStream_tbPNSt15iterator_traitsISL_E10value_typeEPNSR_ISM_E10value_typeEPSN_NS1_7vsmem_tEENKUlT_SL_SM_SN_E_clIS8_S8_S9_S9_EESK_S10_SL_SM_SN_EUlS10_E_NS1_11comp_targetILNS1_3genE8ELNS1_11target_archE1030ELNS1_3gpuE2ELNS1_3repE0EEENS1_48merge_mergepath_partition_config_static_selectorELNS0_4arch9wavefront6targetE1EEEvSM_.has_recursion, 0
	.set _ZN7rocprim17ROCPRIM_400000_NS6detail17trampoline_kernelINS0_14default_configENS1_38merge_sort_block_merge_config_selectorIlNS0_10empty_typeEEEZZNS1_27merge_sort_block_merge_implIS3_PlPS5_mZN2at6native12_GLOBAL__N_124unique_dim_cuda_templateIsEESt5tupleIJNSA_6TensorESF_SF_EERKSF_lbbbEUlllE_EE10hipError_tT0_T1_T2_jT3_P12ihipStream_tbPNSt15iterator_traitsISL_E10value_typeEPNSR_ISM_E10value_typeEPSN_NS1_7vsmem_tEENKUlT_SL_SM_SN_E_clIS8_S8_S9_S9_EESK_S10_SL_SM_SN_EUlS10_E_NS1_11comp_targetILNS1_3genE8ELNS1_11target_archE1030ELNS1_3gpuE2ELNS1_3repE0EEENS1_48merge_mergepath_partition_config_static_selectorELNS0_4arch9wavefront6targetE1EEEvSM_.has_indirect_call, 0
	.section	.AMDGPU.csdata,"",@progbits
; Kernel info:
; codeLenInByte = 0
; TotalNumSgprs: 6
; NumVgprs: 0
; NumAgprs: 0
; TotalNumVgprs: 0
; ScratchSize: 0
; MemoryBound: 0
; FloatMode: 240
; IeeeMode: 1
; LDSByteSize: 0 bytes/workgroup (compile time only)
; SGPRBlocks: 0
; VGPRBlocks: 0
; NumSGPRsForWavesPerEU: 6
; NumVGPRsForWavesPerEU: 1
; AccumOffset: 4
; Occupancy: 8
; WaveLimiterHint : 0
; COMPUTE_PGM_RSRC2:SCRATCH_EN: 0
; COMPUTE_PGM_RSRC2:USER_SGPR: 2
; COMPUTE_PGM_RSRC2:TRAP_HANDLER: 0
; COMPUTE_PGM_RSRC2:TGID_X_EN: 1
; COMPUTE_PGM_RSRC2:TGID_Y_EN: 0
; COMPUTE_PGM_RSRC2:TGID_Z_EN: 0
; COMPUTE_PGM_RSRC2:TIDIG_COMP_CNT: 0
; COMPUTE_PGM_RSRC3_GFX90A:ACCUM_OFFSET: 0
; COMPUTE_PGM_RSRC3_GFX90A:TG_SPLIT: 0
	.section	.text._ZN7rocprim17ROCPRIM_400000_NS6detail17trampoline_kernelINS0_14default_configENS1_38merge_sort_block_merge_config_selectorIlNS0_10empty_typeEEEZZNS1_27merge_sort_block_merge_implIS3_PlPS5_mZN2at6native12_GLOBAL__N_124unique_dim_cuda_templateIsEESt5tupleIJNSA_6TensorESF_SF_EERKSF_lbbbEUlllE_EE10hipError_tT0_T1_T2_jT3_P12ihipStream_tbPNSt15iterator_traitsISL_E10value_typeEPNSR_ISM_E10value_typeEPSN_NS1_7vsmem_tEENKUlT_SL_SM_SN_E_clIS8_S8_S9_S9_EESK_S10_SL_SM_SN_EUlS10_E0_NS1_11comp_targetILNS1_3genE0ELNS1_11target_archE4294967295ELNS1_3gpuE0ELNS1_3repE0EEENS1_38merge_mergepath_config_static_selectorELNS0_4arch9wavefront6targetE1EEEvSM_,"axG",@progbits,_ZN7rocprim17ROCPRIM_400000_NS6detail17trampoline_kernelINS0_14default_configENS1_38merge_sort_block_merge_config_selectorIlNS0_10empty_typeEEEZZNS1_27merge_sort_block_merge_implIS3_PlPS5_mZN2at6native12_GLOBAL__N_124unique_dim_cuda_templateIsEESt5tupleIJNSA_6TensorESF_SF_EERKSF_lbbbEUlllE_EE10hipError_tT0_T1_T2_jT3_P12ihipStream_tbPNSt15iterator_traitsISL_E10value_typeEPNSR_ISM_E10value_typeEPSN_NS1_7vsmem_tEENKUlT_SL_SM_SN_E_clIS8_S8_S9_S9_EESK_S10_SL_SM_SN_EUlS10_E0_NS1_11comp_targetILNS1_3genE0ELNS1_11target_archE4294967295ELNS1_3gpuE0ELNS1_3repE0EEENS1_38merge_mergepath_config_static_selectorELNS0_4arch9wavefront6targetE1EEEvSM_,comdat
	.globl	_ZN7rocprim17ROCPRIM_400000_NS6detail17trampoline_kernelINS0_14default_configENS1_38merge_sort_block_merge_config_selectorIlNS0_10empty_typeEEEZZNS1_27merge_sort_block_merge_implIS3_PlPS5_mZN2at6native12_GLOBAL__N_124unique_dim_cuda_templateIsEESt5tupleIJNSA_6TensorESF_SF_EERKSF_lbbbEUlllE_EE10hipError_tT0_T1_T2_jT3_P12ihipStream_tbPNSt15iterator_traitsISL_E10value_typeEPNSR_ISM_E10value_typeEPSN_NS1_7vsmem_tEENKUlT_SL_SM_SN_E_clIS8_S8_S9_S9_EESK_S10_SL_SM_SN_EUlS10_E0_NS1_11comp_targetILNS1_3genE0ELNS1_11target_archE4294967295ELNS1_3gpuE0ELNS1_3repE0EEENS1_38merge_mergepath_config_static_selectorELNS0_4arch9wavefront6targetE1EEEvSM_ ; -- Begin function _ZN7rocprim17ROCPRIM_400000_NS6detail17trampoline_kernelINS0_14default_configENS1_38merge_sort_block_merge_config_selectorIlNS0_10empty_typeEEEZZNS1_27merge_sort_block_merge_implIS3_PlPS5_mZN2at6native12_GLOBAL__N_124unique_dim_cuda_templateIsEESt5tupleIJNSA_6TensorESF_SF_EERKSF_lbbbEUlllE_EE10hipError_tT0_T1_T2_jT3_P12ihipStream_tbPNSt15iterator_traitsISL_E10value_typeEPNSR_ISM_E10value_typeEPSN_NS1_7vsmem_tEENKUlT_SL_SM_SN_E_clIS8_S8_S9_S9_EESK_S10_SL_SM_SN_EUlS10_E0_NS1_11comp_targetILNS1_3genE0ELNS1_11target_archE4294967295ELNS1_3gpuE0ELNS1_3repE0EEENS1_38merge_mergepath_config_static_selectorELNS0_4arch9wavefront6targetE1EEEvSM_
	.p2align	8
	.type	_ZN7rocprim17ROCPRIM_400000_NS6detail17trampoline_kernelINS0_14default_configENS1_38merge_sort_block_merge_config_selectorIlNS0_10empty_typeEEEZZNS1_27merge_sort_block_merge_implIS3_PlPS5_mZN2at6native12_GLOBAL__N_124unique_dim_cuda_templateIsEESt5tupleIJNSA_6TensorESF_SF_EERKSF_lbbbEUlllE_EE10hipError_tT0_T1_T2_jT3_P12ihipStream_tbPNSt15iterator_traitsISL_E10value_typeEPNSR_ISM_E10value_typeEPSN_NS1_7vsmem_tEENKUlT_SL_SM_SN_E_clIS8_S8_S9_S9_EESK_S10_SL_SM_SN_EUlS10_E0_NS1_11comp_targetILNS1_3genE0ELNS1_11target_archE4294967295ELNS1_3gpuE0ELNS1_3repE0EEENS1_38merge_mergepath_config_static_selectorELNS0_4arch9wavefront6targetE1EEEvSM_,@function
_ZN7rocprim17ROCPRIM_400000_NS6detail17trampoline_kernelINS0_14default_configENS1_38merge_sort_block_merge_config_selectorIlNS0_10empty_typeEEEZZNS1_27merge_sort_block_merge_implIS3_PlPS5_mZN2at6native12_GLOBAL__N_124unique_dim_cuda_templateIsEESt5tupleIJNSA_6TensorESF_SF_EERKSF_lbbbEUlllE_EE10hipError_tT0_T1_T2_jT3_P12ihipStream_tbPNSt15iterator_traitsISL_E10value_typeEPNSR_ISM_E10value_typeEPSN_NS1_7vsmem_tEENKUlT_SL_SM_SN_E_clIS8_S8_S9_S9_EESK_S10_SL_SM_SN_EUlS10_E0_NS1_11comp_targetILNS1_3genE0ELNS1_11target_archE4294967295ELNS1_3gpuE0ELNS1_3repE0EEENS1_38merge_mergepath_config_static_selectorELNS0_4arch9wavefront6targetE1EEEvSM_: ; @_ZN7rocprim17ROCPRIM_400000_NS6detail17trampoline_kernelINS0_14default_configENS1_38merge_sort_block_merge_config_selectorIlNS0_10empty_typeEEEZZNS1_27merge_sort_block_merge_implIS3_PlPS5_mZN2at6native12_GLOBAL__N_124unique_dim_cuda_templateIsEESt5tupleIJNSA_6TensorESF_SF_EERKSF_lbbbEUlllE_EE10hipError_tT0_T1_T2_jT3_P12ihipStream_tbPNSt15iterator_traitsISL_E10value_typeEPNSR_ISM_E10value_typeEPSN_NS1_7vsmem_tEENKUlT_SL_SM_SN_E_clIS8_S8_S9_S9_EESK_S10_SL_SM_SN_EUlS10_E0_NS1_11comp_targetILNS1_3genE0ELNS1_11target_archE4294967295ELNS1_3gpuE0ELNS1_3repE0EEENS1_38merge_mergepath_config_static_selectorELNS0_4arch9wavefront6targetE1EEEvSM_
; %bb.0:
	s_load_dwordx2 s[22:23], s[0:1], 0x58
	s_load_dword s5, s[0:1], 0x38
	s_add_u32 s18, s0, 0x58
	s_addc_u32 s19, s1, 0
	s_waitcnt lgkmcnt(0)
	s_mul_i32 s4, s23, s4
	s_add_i32 s3, s4, s3
	s_mul_i32 s3, s3, s22
	s_add_i32 s20, s3, s2
	s_cmp_ge_u32 s20, s5
	s_cbranch_scc1 .LBB644_138
; %bb.1:
	s_load_dwordx2 s[12:13], s[0:1], 0x50
	s_load_dwordx4 s[4:7], s[0:1], 0x8
	s_load_dwordx4 s[8:11], s[0:1], 0x28
	s_mov_b32 s21, 0
	s_lshl_b64 s[14:15], s[20:21], 3
	s_waitcnt lgkmcnt(0)
	s_add_u32 s16, s12, s14
	s_addc_u32 s17, s13, s15
	s_load_dwordx4 s[12:15], s[16:17], 0x0
	s_lshr_b64 s[16:17], s[10:11], 9
	s_and_b32 s3, s16, -2
	s_sub_i32 s33, 0, s3
	s_and_b32 s26, s20, s33
	s_mov_b32 s27, s21
	s_lshl_b64 s[24:25], s[26:27], 10
	s_lshl_b64 s[16:17], s[20:21], 10
	s_sub_u32 s3, s16, s24
	s_subb_u32 s23, s17, s25
	s_lshl_b64 s[26:27], s[26:27], 11
	s_add_u32 s26, s26, s10
	s_addc_u32 s27, s27, s11
	s_add_u32 s3, s26, s3
	s_addc_u32 s23, s27, s23
	s_waitcnt lgkmcnt(0)
	s_sub_u32 s28, s3, s14
	s_subb_u32 s15, s23, s15
	s_add_u32 s28, s28, 0x400
	s_addc_u32 s29, s15, 0
	v_mov_b64_e32 v[2:3], s[28:29]
	v_cmp_lt_u64_e32 vcc, s[8:9], v[2:3]
	s_and_b64 s[30:31], vcc, exec
	s_cselect_b32 s15, s8, s28
	s_or_b32 s28, s20, s33
	s_cmp_lg_u32 s28, -1
	s_cbranch_scc1 .LBB644_3
; %bb.2:
	s_sub_u32 s24, s26, s24
	s_subb_u32 s25, s27, s25
	v_mov_b64_e32 v[2:3], s[24:25]
	v_cmp_lt_u64_e32 vcc, s[8:9], v[2:3]
	s_and_b64 s[14:15], vcc, exec
	s_cselect_b32 s14, s8, s24
	s_add_u32 s10, s24, s10
	s_addc_u32 s11, s25, s11
	v_mov_b64_e32 v[2:3], s[10:11]
	v_cmp_lt_u64_e32 vcc, s[8:9], v[2:3]
	s_and_b64 s[24:25], vcc, exec
	s_cselect_b32 s15, s8, s10
.LBB644_3:
	s_lshr_b64 s[24:25], s[8:9], 10
	s_cmp_lg_u64 s[24:25], s[20:21]
	s_cselect_b64 s[10:11], -1, 0
	s_sub_u32 s26, s3, s12
	s_subb_u32 s27, s23, s13
	v_mov_b64_e32 v[2:3], s[26:27]
	v_cmp_lt_u64_e32 vcc, s[8:9], v[2:3]
	s_and_b64 s[28:29], vcc, exec
	s_cselect_b32 s26, s8, s26
	s_cselect_b32 s27, s9, s27
	s_sub_i32 s9, s14, s12
	s_sub_i32 s23, s15, s26
	s_lshl_b64 s[12:13], s[12:13], 3
	s_add_u32 s12, s4, s12
	s_addc_u32 s13, s5, s13
	s_lshl_b64 s[14:15], s[26:27], 3
	s_add_u32 s4, s4, s14
	s_addc_u32 s5, s5, s15
	s_cmp_lt_u32 s2, s22
	v_mov_b32_e32 v19, 0
	s_cselect_b32 s2, 12, 18
	global_load_dword v1, v19, s[18:19] offset:14
	s_add_u32 s2, s18, s2
	s_addc_u32 s3, s19, 0
	global_load_ushort v2, v19, s[2:3]
	s_cmp_eq_u64 s[24:25], s[20:21]
	v_lshlrev_b32_e32 v18, 3, v0
	s_waitcnt vmcnt(1)
	v_lshrrev_b32_e32 v3, 16, v1
	v_and_b32_e32 v1, 0xffff, v1
	v_mul_lo_u32 v1, v1, v3
	s_waitcnt vmcnt(0)
	v_mul_lo_u32 v1, v1, v2
	s_cbranch_scc1 .LBB644_5
; %bb.4:
	v_subrev_co_u32_e32 v4, vcc, s9, v0
	v_mov_b32_e32 v5, v19
	v_lshl_add_u64 v[2:3], s[12:13], 0, v[18:19]
	v_lshl_add_u64 v[4:5], v[4:5], 3, s[4:5]
	v_add_u32_e32 v6, v1, v0
	v_cndmask_b32_e32 v3, v5, v3, vcc
	v_cndmask_b32_e32 v2, v4, v2, vcc
	v_mov_b32_e32 v7, v19
	v_subrev_co_u32_e32 v8, vcc, s9, v6
	v_mov_b32_e32 v9, v19
	v_lshl_add_u64 v[4:5], v[6:7], 3, s[12:13]
	v_lshl_add_u64 v[8:9], v[8:9], 3, s[4:5]
	v_cndmask_b32_e32 v4, v8, v4, vcc
	v_add_u32_e32 v8, v6, v1
	v_cndmask_b32_e32 v5, v9, v5, vcc
	v_mov_b32_e32 v9, v19
	v_subrev_co_u32_e32 v10, vcc, s9, v8
	v_mov_b32_e32 v11, v19
	v_lshl_add_u64 v[6:7], v[8:9], 3, s[12:13]
	v_lshl_add_u64 v[10:11], v[10:11], 3, s[4:5]
	v_cndmask_b32_e32 v6, v10, v6, vcc
	v_add_u32_e32 v10, v8, v1
	;; [unrolled: 8-line block ×5, first 2 shown]
	v_cndmask_b32_e32 v13, v17, v13, vcc
	v_mov_b32_e32 v17, v19
	v_subrev_co_u32_e32 v20, vcc, s9, v16
	v_mov_b32_e32 v21, v19
	v_lshl_add_u64 v[14:15], v[16:17], 3, s[12:13]
	v_lshl_add_u64 v[20:21], v[20:21], 3, s[4:5]
	v_add_u32_e32 v16, v16, v1
	v_cndmask_b32_e32 v15, v21, v15, vcc
	v_cndmask_b32_e32 v14, v20, v14, vcc
	v_lshl_add_u64 v[20:21], v[16:17], 3, s[12:13]
	v_subrev_co_u32_e32 v16, vcc, s9, v16
	v_lshl_add_u64 v[16:17], v[16:17], 3, s[4:5]
	s_nop 0
	v_cndmask_b32_e32 v17, v17, v21, vcc
	v_cndmask_b32_e32 v16, v16, v20, vcc
	global_load_dwordx2 v[2:3], v[2:3], off
	s_add_i32 s33, s9, s23
	global_load_dwordx2 v[4:5], v[4:5], off
	s_nop 0
	global_load_dwordx2 v[6:7], v[6:7], off
	s_nop 0
	global_load_dwordx2 v[8:9], v[8:9], off
	s_nop 0
	global_load_dwordx2 v[10:11], v[10:11], off
	s_nop 0
	global_load_dwordx2 v[12:13], v[12:13], off
	s_nop 0
	global_load_dwordx2 v[14:15], v[14:15], off
	s_nop 0
	global_load_dwordx2 v[16:17], v[16:17], off
	s_cbranch_execz .LBB644_6
	s_branch .LBB644_23
.LBB644_5:
                                        ; implicit-def: $vgpr2_vgpr3_vgpr4_vgpr5_vgpr6_vgpr7_vgpr8_vgpr9_vgpr10_vgpr11_vgpr12_vgpr13_vgpr14_vgpr15_vgpr16_vgpr17
                                        ; implicit-def: $sgpr33
.LBB644_6:
	s_add_i32 s33, s9, s23
	s_waitcnt vmcnt(7)
	v_mov_b32_e32 v2, 0
	v_cmp_gt_u32_e32 vcc, s33, v0
	v_mov_b32_e32 v3, v2
	s_waitcnt vmcnt(6)
	v_mov_b32_e32 v4, v2
	v_mov_b32_e32 v5, v2
	s_waitcnt vmcnt(5)
	v_mov_b32_e32 v6, v2
	;; [unrolled: 3-line block ×7, first 2 shown]
	v_mov_b32_e32 v17, v2
	s_and_saveexec_b64 s[2:3], vcc
	s_cbranch_execz .LBB644_8
; %bb.7:
	v_mov_b32_e32 v19, v2
	v_subrev_co_u32_e32 v6, vcc, s9, v0
	v_mov_b32_e32 v7, v2
	v_lshl_add_u64 v[4:5], s[12:13], 0, v[18:19]
	v_lshl_add_u64 v[6:7], v[6:7], 3, s[4:5]
	v_cndmask_b32_e32 v5, v7, v5, vcc
	v_cndmask_b32_e32 v4, v6, v4, vcc
	global_load_dwordx2 v[20:21], v[4:5], off
	v_mov_b32_e32 v22, v2
	v_mov_b32_e32 v23, v2
	;; [unrolled: 1-line block ×14, first 2 shown]
	s_waitcnt vmcnt(0)
	v_mov_b64_e32 v[2:3], v[20:21]
	v_mov_b64_e32 v[4:5], v[22:23]
	v_mov_b64_e32 v[6:7], v[24:25]
	v_mov_b64_e32 v[8:9], v[26:27]
	v_mov_b64_e32 v[10:11], v[28:29]
	v_mov_b64_e32 v[12:13], v[30:31]
	v_mov_b64_e32 v[14:15], v[32:33]
	v_mov_b64_e32 v[16:17], v[34:35]
.LBB644_8:
	s_or_b64 exec, exec, s[2:3]
	v_add_u32_e32 v20, v1, v0
	v_cmp_gt_u32_e32 vcc, s33, v20
	s_and_saveexec_b64 s[2:3], vcc
	s_cbranch_execz .LBB644_10
; %bb.9:
	v_mov_b32_e32 v21, 0
	v_subrev_co_u32_e32 v22, vcc, s9, v20
	v_mov_b32_e32 v23, v21
	v_lshl_add_u64 v[4:5], v[20:21], 3, s[12:13]
	v_lshl_add_u64 v[22:23], v[22:23], 3, s[4:5]
	v_cndmask_b32_e32 v5, v23, v5, vcc
	v_cndmask_b32_e32 v4, v22, v4, vcc
	global_load_dwordx2 v[4:5], v[4:5], off
.LBB644_10:
	s_or_b64 exec, exec, s[2:3]
	v_add_u32_e32 v20, v20, v1
	v_cmp_gt_u32_e32 vcc, s33, v20
	s_and_saveexec_b64 s[2:3], vcc
	s_cbranch_execz .LBB644_12
; %bb.11:
	v_mov_b32_e32 v21, 0
	v_subrev_co_u32_e32 v22, vcc, s9, v20
	v_mov_b32_e32 v23, v21
	v_lshl_add_u64 v[6:7], v[20:21], 3, s[12:13]
	v_lshl_add_u64 v[22:23], v[22:23], 3, s[4:5]
	v_cndmask_b32_e32 v7, v23, v7, vcc
	v_cndmask_b32_e32 v6, v22, v6, vcc
	global_load_dwordx2 v[6:7], v[6:7], off
.LBB644_12:
	;; [unrolled: 15-line block ×6, first 2 shown]
	s_or_b64 exec, exec, s[2:3]
	v_add_u32_e32 v20, v20, v1
	v_cmp_gt_u32_e32 vcc, s33, v20
	s_and_saveexec_b64 s[2:3], vcc
	s_cbranch_execz .LBB644_22
; %bb.21:
	v_mov_b32_e32 v21, 0
	v_lshl_add_u64 v[16:17], v[20:21], 3, s[12:13]
	v_subrev_co_u32_e32 v20, vcc, s9, v20
	v_lshl_add_u64 v[20:21], v[20:21], 3, s[4:5]
	s_nop 0
	v_cndmask_b32_e32 v17, v21, v17, vcc
	v_cndmask_b32_e32 v16, v20, v16, vcc
	global_load_dwordx2 v[16:17], v[16:17], off
.LBB644_22:
	s_or_b64 exec, exec, s[2:3]
.LBB644_23:
	s_load_dwordx4 s[12:15], s[0:1], 0x40
	v_min_u32_e32 v1, s33, v18
	v_sub_u32_e64 v24, v1, s23 clamp
	v_min_u32_e32 v19, s9, v1
	v_cmp_lt_u32_e32 vcc, v24, v19
	s_waitcnt vmcnt(0)
	ds_write2st64_b64 v18, v[2:3], v[4:5] offset1:2
	ds_write2st64_b64 v18, v[6:7], v[8:9] offset0:4 offset1:6
	ds_write2st64_b64 v18, v[10:11], v[12:13] offset0:8 offset1:10
	;; [unrolled: 1-line block ×3, first 2 shown]
	s_waitcnt lgkmcnt(0)
	s_barrier
	s_and_saveexec_b64 s[18:19], vcc
	s_cbranch_execz .LBB644_33
; %bb.24:
	v_lshlrev_b32_e32 v20, 3, v1
	v_cmp_gt_i64_e64 s[0:1], s[12:13], 0
	v_lshl_add_u32 v25, s9, 3, v20
	s_mov_b64 s[20:21], 0
	v_cndmask_b32_e64 v20, 0, 1, s[0:1]
	s_lshl_b64 s[22:23], s[12:13], 1
	v_cmp_ne_u32_e64 s[0:1], 1, v20
	s_branch .LBB644_27
.LBB644_25:                             ;   in Loop: Header=BB644_27 Depth=1
	s_or_b64 exec, exec, s[26:27]
.LBB644_26:                             ;   in Loop: Header=BB644_27 Depth=1
	v_add_u32_e32 v20, 1, v26
	v_cndmask_b32_e64 v19, v19, v26, s[24:25]
	v_cndmask_b32_e64 v24, v20, v24, s[24:25]
	v_cmp_ge_u32_e32 vcc, v24, v19
	s_or_b64 s[20:21], vcc, s[20:21]
	s_andn2_b64 exec, exec, s[20:21]
	s_cbranch_execz .LBB644_32
.LBB644_27:                             ; =>This Loop Header: Depth=1
                                        ;     Child Loop BB644_30 Depth 2
	v_add_u32_e32 v20, v19, v24
	v_lshrrev_b32_e32 v26, 1, v20
	s_and_b64 vcc, exec, s[0:1]
	s_mov_b64 s[24:25], 0
	s_cbranch_vccnz .LBB644_26
; %bb.28:                               ;   in Loop: Header=BB644_27 Depth=1
	v_not_b32_e32 v20, v26
	v_lshl_add_u32 v20, v20, 3, v25
	ds_read_b64 v[20:21], v20
	v_lshlrev_b32_e32 v27, 3, v26
	ds_read_b64 v[28:29], v27
	v_mov_b64_e32 v[22:23], s[14:15]
	s_mov_b64 s[26:27], 0
	s_waitcnt lgkmcnt(1)
	v_mul_lo_u32 v27, s22, v21
	v_mul_lo_u32 v30, s23, v20
	v_mad_u64_u32 v[20:21], s[2:3], s22, v20, v[22:23]
	v_add3_u32 v21, v30, v21, v27
	s_waitcnt lgkmcnt(0)
	v_mul_lo_u32 v27, s22, v29
	v_mul_lo_u32 v29, s23, v28
	v_mad_u64_u32 v[22:23], s[2:3], s22, v28, v[22:23]
	v_add3_u32 v23, v29, v23, v27
	s_mov_b64 s[30:31], s[12:13]
                                        ; implicit-def: $sgpr24_sgpr25
                                        ; implicit-def: $sgpr28_sgpr29
                                        ; implicit-def: $sgpr2_sgpr3
                                        ; implicit-def: $sgpr34_sgpr35
	s_branch .LBB644_30
.LBB644_29:                             ;   in Loop: Header=BB644_30 Depth=2
	s_or_b64 exec, exec, s[38:39]
	s_and_b64 s[4:5], exec, s[28:29]
	s_or_b64 s[26:27], s[4:5], s[26:27]
	s_andn2_b64 s[4:5], s[34:35], exec
	s_and_b64 s[34:35], s[36:37], exec
	s_or_b64 s[34:35], s[4:5], s[34:35]
	s_andn2_b64 s[4:5], s[24:25], exec
	s_and_b64 s[24:25], s[2:3], exec
	s_or_b64 s[24:25], s[4:5], s[24:25]
	s_andn2_b64 exec, exec, s[26:27]
	s_cbranch_execz .LBB644_25
.LBB644_30:                             ;   Parent Loop BB644_27 Depth=1
                                        ; =>  This Inner Loop Header: Depth=2
	global_load_ushort v27, v[20:21], off
	global_load_ushort v28, v[22:23], off
	s_andn2_b64 s[38:39], s[2:3], exec
	s_or_b64 s[28:29], s[28:29], exec
	s_waitcnt vmcnt(0)
	v_cmp_le_i16_e64 s[2:3], v27, v28
	v_cmp_lt_i16_e32 vcc, v27, v28
	s_and_b64 s[2:3], s[2:3], s[34:35]
	s_or_b64 s[36:37], vcc, s[2:3]
	s_and_b64 s[2:3], s[36:37], exec
	v_cmp_eq_u16_e64 s[4:5], v27, v28
	s_or_b64 s[2:3], s[38:39], s[2:3]
	s_and_saveexec_b64 s[38:39], s[4:5]
	s_cbranch_execz .LBB644_29
; %bb.31:                               ;   in Loop: Header=BB644_30 Depth=2
	s_add_u32 s30, s30, -1
	s_addc_u32 s31, s31, -1
	s_cmp_eq_u64 s[30:31], 0
	s_cselect_b64 s[4:5], -1, 0
	s_andn2_b64 s[28:29], s[28:29], exec
	s_and_b64 s[4:5], s[4:5], exec
	v_lshl_add_u64 v[20:21], v[20:21], 0, 2
	v_lshl_add_u64 v[22:23], v[22:23], 0, 2
	s_andn2_b64 s[2:3], s[2:3], exec
	s_or_b64 s[28:29], s[28:29], s[4:5]
                                        ; implicit-def: $sgpr34_sgpr35
	s_branch .LBB644_29
.LBB644_32:
	s_or_b64 exec, exec, s[20:21]
.LBB644_33:
	s_or_b64 exec, exec, s[18:19]
	v_sub_u32_e32 v1, v1, v24
	v_add_u32_e32 v20, s9, v1
	v_cmp_ge_u32_e32 vcc, s9, v24
	v_cmp_ge_u32_e64 s[0:1], s33, v20
	s_or_b64 s[0:1], vcc, s[0:1]
	s_and_saveexec_b64 s[4:5], s[0:1]
	s_cbranch_execz .LBB644_124
; %bb.34:
	v_cmp_le_u32_e32 vcc, s9, v24
	v_cmp_gt_u32_e64 s[0:1], s9, v24
                                        ; implicit-def: $vgpr2_vgpr3
	s_and_saveexec_b64 s[2:3], s[0:1]
; %bb.35:
	v_lshlrev_b32_e32 v1, 3, v24
	ds_read_b64 v[2:3], v1
; %bb.36:
	s_or_b64 exec, exec, s[2:3]
	v_cmp_le_u32_e64 s[20:21], s33, v20
	v_cmp_gt_u32_e64 s[0:1], s33, v20
                                        ; implicit-def: $vgpr14_vgpr15
	s_and_saveexec_b64 s[2:3], s[0:1]
; %bb.37:
	v_lshlrev_b32_e32 v1, 3, v20
	ds_read_b64 v[14:15], v1
; %bb.38:
	s_or_b64 exec, exec, s[2:3]
	v_cmp_gt_i64_e64 s[18:19], s[12:13], 0
	s_nor_b64 s[0:1], vcc, s[20:21]
	s_and_saveexec_b64 s[22:23], s[0:1]
	s_cbranch_execz .LBB644_47
; %bb.39:
	s_andn2_b64 vcc, exec, s[18:19]
	s_cbranch_vccnz .LBB644_45
; %bb.40:
	s_waitcnt lgkmcnt(0)
	v_mul_lo_u32 v1, v15, s12
	v_mul_lo_u32 v6, v14, s13
	v_mad_u64_u32 v[4:5], s[0:1], v14, s12, 0
	v_add3_u32 v5, v5, v6, v1
	v_mul_lo_u32 v1, v3, s12
	v_mul_lo_u32 v8, v2, s13
	v_mad_u64_u32 v[6:7], s[0:1], v2, s12, 0
	v_add3_u32 v7, v7, v8, v1
	v_lshl_add_u64 v[4:5], v[4:5], 1, s[14:15]
	v_lshl_add_u64 v[6:7], v[6:7], 1, s[14:15]
	s_mov_b64 s[24:25], 0
	s_mov_b64 s[30:31], s[12:13]
                                        ; implicit-def: $sgpr26_sgpr27
                                        ; implicit-def: $sgpr28_sgpr29
                                        ; implicit-def: $sgpr0_sgpr1
                                        ; implicit-def: $sgpr34_sgpr35
	s_branch .LBB644_42
.LBB644_41:                             ;   in Loop: Header=BB644_42 Depth=1
	s_or_b64 exec, exec, s[38:39]
	s_and_b64 s[2:3], exec, s[28:29]
	s_or_b64 s[24:25], s[2:3], s[24:25]
	s_andn2_b64 s[2:3], s[34:35], exec
	s_and_b64 s[34:35], s[36:37], exec
	s_or_b64 s[34:35], s[2:3], s[34:35]
	s_andn2_b64 s[2:3], s[26:27], exec
	s_and_b64 s[26:27], s[0:1], exec
	s_or_b64 s[26:27], s[2:3], s[26:27]
	s_andn2_b64 exec, exec, s[24:25]
	s_cbranch_execz .LBB644_44
.LBB644_42:                             ; =>This Inner Loop Header: Depth=1
	global_load_ushort v1, v[4:5], off
	global_load_ushort v8, v[6:7], off
	s_andn2_b64 s[38:39], s[0:1], exec
	s_or_b64 s[28:29], s[28:29], exec
	s_waitcnt vmcnt(0)
	v_cmp_le_i16_e64 s[0:1], v1, v8
	v_cmp_lt_i16_e32 vcc, v1, v8
	s_and_b64 s[0:1], s[0:1], s[34:35]
	s_or_b64 s[36:37], vcc, s[0:1]
	s_and_b64 s[0:1], s[36:37], exec
	v_cmp_eq_u16_e64 s[2:3], v1, v8
	s_or_b64 s[0:1], s[38:39], s[0:1]
	s_and_saveexec_b64 s[38:39], s[2:3]
	s_cbranch_execz .LBB644_41
; %bb.43:                               ;   in Loop: Header=BB644_42 Depth=1
	s_add_u32 s30, s30, -1
	s_addc_u32 s31, s31, -1
	s_cmp_eq_u64 s[30:31], 0
	s_cselect_b64 s[2:3], -1, 0
	s_andn2_b64 s[28:29], s[28:29], exec
	s_and_b64 s[2:3], s[2:3], exec
	v_lshl_add_u64 v[4:5], v[4:5], 0, 2
	v_lshl_add_u64 v[6:7], v[6:7], 0, 2
	s_andn2_b64 s[0:1], s[0:1], exec
	s_or_b64 s[28:29], s[28:29], s[2:3]
                                        ; implicit-def: $sgpr34_sgpr35
	s_branch .LBB644_41
.LBB644_44:
	s_or_b64 exec, exec, s[24:25]
	s_xor_b64 s[0:1], s[26:27], -1
	s_branch .LBB644_46
.LBB644_45:
	s_mov_b64 s[0:1], -1
.LBB644_46:
	s_andn2_b64 s[2:3], s[20:21], exec
	s_and_b64 s[0:1], s[0:1], exec
	s_or_b64 s[20:21], s[2:3], s[0:1]
.LBB644_47:
	s_or_b64 exec, exec, s[22:23]
	v_mov_b32_e32 v4, s33
	v_mov_b32_e32 v5, s9
	v_cndmask_b32_e64 v1, v20, v24, s[20:21]
	v_cndmask_b32_e64 v4, v4, v5, s[20:21]
	v_add_u32_e32 v6, 1, v1
	v_add_u32_e32 v1, -1, v4
	v_min_u32_e32 v1, v6, v1
	v_lshlrev_b32_e32 v1, 3, v1
	ds_read_b64 v[4:5], v1
	v_cndmask_b32_e64 v8, v6, v20, s[20:21]
	v_cndmask_b32_e64 v9, v24, v6, s[20:21]
	v_cmp_gt_u32_e32 vcc, s33, v8
	s_mov_b64 s[24:25], -1
	s_waitcnt lgkmcnt(0)
	v_cndmask_b32_e64 v1, v5, v15, s[20:21]
	v_cndmask_b32_e64 v16, v4, v14, s[20:21]
	;; [unrolled: 1-line block ×4, first 2 shown]
	s_mov_b64 s[22:23], -1
	s_and_saveexec_b64 s[26:27], vcc
	s_cbranch_execz .LBB644_58
; %bb.48:
	v_cmp_gt_u32_e32 vcc, s9, v9
	s_mov_b64 s[0:1], 0
	s_and_saveexec_b64 s[22:23], vcc
	s_cbranch_execz .LBB644_57
; %bb.49:
	s_andn2_b64 vcc, exec, s[18:19]
	s_cbranch_vccnz .LBB644_55
; %bb.50:
	v_mul_lo_u32 v6, v1, s12
	v_mul_lo_u32 v7, v16, s13
	v_mad_u64_u32 v[4:5], s[0:1], v16, s12, 0
	v_add3_u32 v5, v5, v7, v6
	v_mul_lo_u32 v10, v17, s12
	v_mul_lo_u32 v11, v19, s13
	v_mad_u64_u32 v[6:7], s[0:1], v19, s12, 0
	v_add3_u32 v7, v7, v11, v10
	v_lshl_add_u64 v[4:5], v[4:5], 1, s[14:15]
	v_lshl_add_u64 v[6:7], v[6:7], 1, s[14:15]
	s_mov_b64 s[28:29], 0
	s_mov_b64 s[36:37], s[12:13]
                                        ; implicit-def: $sgpr30_sgpr31
                                        ; implicit-def: $sgpr34_sgpr35
                                        ; implicit-def: $sgpr0_sgpr1
                                        ; implicit-def: $sgpr38_sgpr39
	s_branch .LBB644_52
.LBB644_51:                             ;   in Loop: Header=BB644_52 Depth=1
	s_or_b64 exec, exec, s[42:43]
	s_and_b64 s[2:3], exec, s[34:35]
	s_or_b64 s[28:29], s[2:3], s[28:29]
	s_andn2_b64 s[2:3], s[38:39], exec
	s_and_b64 s[38:39], s[40:41], exec
	s_or_b64 s[38:39], s[2:3], s[38:39]
	s_andn2_b64 s[2:3], s[30:31], exec
	s_and_b64 s[30:31], s[0:1], exec
	s_or_b64 s[30:31], s[2:3], s[30:31]
	s_andn2_b64 exec, exec, s[28:29]
	s_cbranch_execz .LBB644_54
.LBB644_52:                             ; =>This Inner Loop Header: Depth=1
	global_load_ushort v10, v[4:5], off
	global_load_ushort v11, v[6:7], off
	s_andn2_b64 s[42:43], s[0:1], exec
	s_or_b64 s[34:35], s[34:35], exec
	s_waitcnt vmcnt(0)
	v_cmp_le_i16_e64 s[0:1], v10, v11
	v_cmp_lt_i16_e32 vcc, v10, v11
	s_and_b64 s[0:1], s[0:1], s[38:39]
	s_or_b64 s[40:41], vcc, s[0:1]
	s_and_b64 s[0:1], s[40:41], exec
	v_cmp_eq_u16_e64 s[2:3], v10, v11
	s_or_b64 s[0:1], s[42:43], s[0:1]
	s_and_saveexec_b64 s[42:43], s[2:3]
	s_cbranch_execz .LBB644_51
; %bb.53:                               ;   in Loop: Header=BB644_52 Depth=1
	s_add_u32 s36, s36, -1
	s_addc_u32 s37, s37, -1
	s_cmp_eq_u64 s[36:37], 0
	s_cselect_b64 s[2:3], -1, 0
	s_andn2_b64 s[34:35], s[34:35], exec
	s_and_b64 s[2:3], s[2:3], exec
	v_lshl_add_u64 v[4:5], v[4:5], 0, 2
	v_lshl_add_u64 v[6:7], v[6:7], 0, 2
	s_andn2_b64 s[0:1], s[0:1], exec
	s_or_b64 s[34:35], s[34:35], s[2:3]
                                        ; implicit-def: $sgpr38_sgpr39
	s_branch .LBB644_51
.LBB644_54:
	s_or_b64 exec, exec, s[28:29]
	s_xor_b64 s[0:1], s[30:31], -1
	s_branch .LBB644_56
.LBB644_55:
	s_mov_b64 s[0:1], -1
.LBB644_56:
	s_and_b64 s[0:1], s[0:1], exec
.LBB644_57:
	s_or_b64 exec, exec, s[22:23]
	s_orn2_b64 s[22:23], s[0:1], exec
.LBB644_58:
	s_or_b64 exec, exec, s[26:27]
	v_mov_b32_e32 v5, s33
	v_mov_b32_e32 v6, s9
	v_cndmask_b32_e64 v4, v8, v9, s[22:23]
	v_cndmask_b32_e64 v5, v5, v6, s[22:23]
	v_add_u32_e32 v6, 1, v4
	v_add_u32_e32 v4, -1, v5
	v_min_u32_e32 v4, v6, v4
	v_lshlrev_b32_e32 v4, 3, v4
	ds_read_b64 v[4:5], v4
	v_cndmask_b32_e64 v10, v6, v8, s[22:23]
	v_cndmask_b32_e64 v11, v9, v6, s[22:23]
	v_cmp_gt_u32_e32 vcc, s33, v10
	s_waitcnt lgkmcnt(0)
	v_cndmask_b32_e64 v20, v5, v1, s[22:23]
	v_cndmask_b32_e64 v21, v4, v16, s[22:23]
	;; [unrolled: 1-line block ×4, first 2 shown]
	s_and_saveexec_b64 s[26:27], vcc
	s_cbranch_execz .LBB644_69
; %bb.59:
	v_cmp_gt_u32_e32 vcc, s9, v11
	s_mov_b64 s[0:1], 0
	s_and_saveexec_b64 s[24:25], vcc
	s_cbranch_execz .LBB644_68
; %bb.60:
	s_andn2_b64 vcc, exec, s[18:19]
	s_cbranch_vccnz .LBB644_66
; %bb.61:
	v_mul_lo_u32 v6, v20, s12
	v_mul_lo_u32 v7, v21, s13
	v_mad_u64_u32 v[4:5], s[0:1], v21, s12, 0
	v_add3_u32 v5, v5, v7, v6
	v_mul_lo_u32 v8, v22, s12
	v_mul_lo_u32 v9, v23, s13
	v_mad_u64_u32 v[6:7], s[0:1], v23, s12, 0
	v_add3_u32 v7, v7, v9, v8
	v_lshl_add_u64 v[4:5], v[4:5], 1, s[14:15]
	v_lshl_add_u64 v[6:7], v[6:7], 1, s[14:15]
	s_mov_b64 s[28:29], 0
	s_mov_b64 s[36:37], s[12:13]
                                        ; implicit-def: $sgpr30_sgpr31
                                        ; implicit-def: $sgpr34_sgpr35
                                        ; implicit-def: $sgpr0_sgpr1
                                        ; implicit-def: $sgpr38_sgpr39
	s_branch .LBB644_63
.LBB644_62:                             ;   in Loop: Header=BB644_63 Depth=1
	s_or_b64 exec, exec, s[42:43]
	s_and_b64 s[2:3], exec, s[34:35]
	s_or_b64 s[28:29], s[2:3], s[28:29]
	s_andn2_b64 s[2:3], s[38:39], exec
	s_and_b64 s[38:39], s[40:41], exec
	s_or_b64 s[38:39], s[2:3], s[38:39]
	s_andn2_b64 s[2:3], s[30:31], exec
	s_and_b64 s[30:31], s[0:1], exec
	s_or_b64 s[30:31], s[2:3], s[30:31]
	s_andn2_b64 exec, exec, s[28:29]
	s_cbranch_execz .LBB644_65
.LBB644_63:                             ; =>This Inner Loop Header: Depth=1
	global_load_ushort v8, v[4:5], off
	global_load_ushort v9, v[6:7], off
	s_andn2_b64 s[42:43], s[0:1], exec
	s_or_b64 s[34:35], s[34:35], exec
	s_waitcnt vmcnt(0)
	v_cmp_le_i16_e64 s[0:1], v8, v9
	v_cmp_lt_i16_e32 vcc, v8, v9
	s_and_b64 s[0:1], s[0:1], s[38:39]
	s_or_b64 s[40:41], vcc, s[0:1]
	s_and_b64 s[0:1], s[40:41], exec
	v_cmp_eq_u16_e64 s[2:3], v8, v9
	s_or_b64 s[0:1], s[42:43], s[0:1]
	s_and_saveexec_b64 s[42:43], s[2:3]
	s_cbranch_execz .LBB644_62
; %bb.64:                               ;   in Loop: Header=BB644_63 Depth=1
	s_add_u32 s36, s36, -1
	s_addc_u32 s37, s37, -1
	s_cmp_eq_u64 s[36:37], 0
	s_cselect_b64 s[2:3], -1, 0
	s_andn2_b64 s[34:35], s[34:35], exec
	s_and_b64 s[2:3], s[2:3], exec
	v_lshl_add_u64 v[4:5], v[4:5], 0, 2
	v_lshl_add_u64 v[6:7], v[6:7], 0, 2
	s_andn2_b64 s[0:1], s[0:1], exec
	s_or_b64 s[34:35], s[34:35], s[2:3]
                                        ; implicit-def: $sgpr38_sgpr39
	s_branch .LBB644_62
.LBB644_65:
	s_or_b64 exec, exec, s[28:29]
	s_xor_b64 s[0:1], s[30:31], -1
	s_branch .LBB644_67
.LBB644_66:
	s_mov_b64 s[0:1], -1
.LBB644_67:
	s_and_b64 s[0:1], s[0:1], exec
.LBB644_68:
	s_or_b64 exec, exec, s[24:25]
	s_orn2_b64 s[24:25], s[0:1], exec
.LBB644_69:
	s_or_b64 exec, exec, s[26:27]
	v_mov_b32_e32 v5, s33
	v_mov_b32_e32 v6, s9
	v_cndmask_b32_e64 v4, v10, v11, s[24:25]
	v_cndmask_b32_e64 v5, v5, v6, s[24:25]
	v_add_u32_e32 v6, 1, v4
	v_add_u32_e32 v4, -1, v5
	v_min_u32_e32 v4, v6, v4
	v_lshlrev_b32_e32 v4, 3, v4
	ds_read_b64 v[4:5], v4
	v_cndmask_b32_e64 v12, v6, v10, s[24:25]
	v_cndmask_b32_e64 v13, v11, v6, s[24:25]
	v_cmp_gt_u32_e32 vcc, s33, v12
	s_mov_b64 s[28:29], -1
	s_waitcnt lgkmcnt(0)
	v_cndmask_b32_e64 v8, v5, v20, s[24:25]
	v_cndmask_b32_e64 v24, v4, v21, s[24:25]
	;; [unrolled: 1-line block ×4, first 2 shown]
	s_mov_b64 s[26:27], -1
	s_and_saveexec_b64 s[30:31], vcc
	s_cbranch_execz .LBB644_80
; %bb.70:
	v_cmp_gt_u32_e32 vcc, s9, v13
	s_mov_b64 s[0:1], 0
	s_and_saveexec_b64 s[26:27], vcc
	s_cbranch_execz .LBB644_79
; %bb.71:
	s_andn2_b64 vcc, exec, s[18:19]
	s_cbranch_vccnz .LBB644_77
; %bb.72:
	v_mul_lo_u32 v6, v8, s12
	v_mul_lo_u32 v7, v24, s13
	v_mad_u64_u32 v[4:5], s[0:1], v24, s12, 0
	v_add3_u32 v5, v5, v7, v6
	v_mul_lo_u32 v10, v9, s12
	v_mul_lo_u32 v11, v25, s13
	v_mad_u64_u32 v[6:7], s[0:1], v25, s12, 0
	v_add3_u32 v7, v7, v11, v10
	v_lshl_add_u64 v[4:5], v[4:5], 1, s[14:15]
	v_lshl_add_u64 v[6:7], v[6:7], 1, s[14:15]
	s_mov_b64 s[34:35], 0
	s_mov_b64 s[40:41], s[12:13]
                                        ; implicit-def: $sgpr36_sgpr37
                                        ; implicit-def: $sgpr38_sgpr39
                                        ; implicit-def: $sgpr0_sgpr1
                                        ; implicit-def: $sgpr42_sgpr43
	s_branch .LBB644_74
.LBB644_73:                             ;   in Loop: Header=BB644_74 Depth=1
	s_or_b64 exec, exec, s[46:47]
	s_and_b64 s[2:3], exec, s[38:39]
	s_or_b64 s[34:35], s[2:3], s[34:35]
	s_andn2_b64 s[2:3], s[42:43], exec
	s_and_b64 s[42:43], s[44:45], exec
	s_or_b64 s[42:43], s[2:3], s[42:43]
	s_andn2_b64 s[2:3], s[36:37], exec
	s_and_b64 s[36:37], s[0:1], exec
	s_or_b64 s[36:37], s[2:3], s[36:37]
	s_andn2_b64 exec, exec, s[34:35]
	s_cbranch_execz .LBB644_76
.LBB644_74:                             ; =>This Inner Loop Header: Depth=1
	global_load_ushort v10, v[4:5], off
	global_load_ushort v11, v[6:7], off
	s_andn2_b64 s[46:47], s[0:1], exec
	s_or_b64 s[38:39], s[38:39], exec
	s_waitcnt vmcnt(0)
	v_cmp_le_i16_e64 s[0:1], v10, v11
	v_cmp_lt_i16_e32 vcc, v10, v11
	s_and_b64 s[0:1], s[0:1], s[42:43]
	s_or_b64 s[44:45], vcc, s[0:1]
	s_and_b64 s[0:1], s[44:45], exec
	v_cmp_eq_u16_e64 s[2:3], v10, v11
	s_or_b64 s[0:1], s[46:47], s[0:1]
	s_and_saveexec_b64 s[46:47], s[2:3]
	s_cbranch_execz .LBB644_73
; %bb.75:                               ;   in Loop: Header=BB644_74 Depth=1
	s_add_u32 s40, s40, -1
	s_addc_u32 s41, s41, -1
	s_cmp_eq_u64 s[40:41], 0
	s_cselect_b64 s[2:3], -1, 0
	s_andn2_b64 s[38:39], s[38:39], exec
	s_and_b64 s[2:3], s[2:3], exec
	v_lshl_add_u64 v[4:5], v[4:5], 0, 2
	v_lshl_add_u64 v[6:7], v[6:7], 0, 2
	s_andn2_b64 s[0:1], s[0:1], exec
	s_or_b64 s[38:39], s[38:39], s[2:3]
                                        ; implicit-def: $sgpr42_sgpr43
	s_branch .LBB644_73
.LBB644_76:
	s_or_b64 exec, exec, s[34:35]
	s_xor_b64 s[0:1], s[36:37], -1
	s_branch .LBB644_78
.LBB644_77:
	s_mov_b64 s[0:1], -1
.LBB644_78:
	s_and_b64 s[0:1], s[0:1], exec
.LBB644_79:
	s_or_b64 exec, exec, s[26:27]
	s_orn2_b64 s[26:27], s[0:1], exec
.LBB644_80:
	s_or_b64 exec, exec, s[30:31]
	v_mov_b32_e32 v5, s33
	v_mov_b32_e32 v6, s9
	v_cndmask_b32_e64 v4, v12, v13, s[26:27]
	v_cndmask_b32_e64 v5, v5, v6, s[26:27]
	v_add_u32_e32 v6, 1, v4
	v_add_u32_e32 v4, -1, v5
	v_min_u32_e32 v4, v6, v4
	v_lshlrev_b32_e32 v4, 3, v4
	ds_read_b64 v[4:5], v4
	v_cndmask_b32_e64 v30, v6, v12, s[26:27]
	v_cndmask_b32_e64 v31, v13, v6, s[26:27]
	v_cmp_gt_u32_e32 vcc, s33, v30
	s_waitcnt lgkmcnt(0)
	v_cndmask_b32_e64 v10, v5, v8, s[26:27]
	v_cndmask_b32_e64 v26, v4, v24, s[26:27]
	;; [unrolled: 1-line block ×4, first 2 shown]
	s_and_saveexec_b64 s[30:31], vcc
	s_cbranch_execz .LBB644_91
; %bb.81:
	v_cmp_gt_u32_e32 vcc, s9, v31
	s_mov_b64 s[0:1], 0
	s_and_saveexec_b64 s[28:29], vcc
	s_cbranch_execz .LBB644_90
; %bb.82:
	s_andn2_b64 vcc, exec, s[18:19]
	s_cbranch_vccnz .LBB644_88
; %bb.83:
	v_mul_lo_u32 v6, v10, s12
	v_mul_lo_u32 v7, v26, s13
	v_mad_u64_u32 v[4:5], s[0:1], v26, s12, 0
	v_add3_u32 v5, v5, v7, v6
	v_mul_lo_u32 v12, v11, s12
	v_mul_lo_u32 v13, v27, s13
	v_mad_u64_u32 v[6:7], s[0:1], v27, s12, 0
	v_add3_u32 v7, v7, v13, v12
	v_lshl_add_u64 v[4:5], v[4:5], 1, s[14:15]
	v_lshl_add_u64 v[6:7], v[6:7], 1, s[14:15]
	s_mov_b64 s[34:35], 0
	s_mov_b64 s[40:41], s[12:13]
                                        ; implicit-def: $sgpr36_sgpr37
                                        ; implicit-def: $sgpr38_sgpr39
                                        ; implicit-def: $sgpr0_sgpr1
                                        ; implicit-def: $sgpr42_sgpr43
	s_branch .LBB644_85
.LBB644_84:                             ;   in Loop: Header=BB644_85 Depth=1
	s_or_b64 exec, exec, s[46:47]
	s_and_b64 s[2:3], exec, s[38:39]
	s_or_b64 s[34:35], s[2:3], s[34:35]
	s_andn2_b64 s[2:3], s[42:43], exec
	s_and_b64 s[42:43], s[44:45], exec
	s_or_b64 s[42:43], s[2:3], s[42:43]
	s_andn2_b64 s[2:3], s[36:37], exec
	s_and_b64 s[36:37], s[0:1], exec
	s_or_b64 s[36:37], s[2:3], s[36:37]
	s_andn2_b64 exec, exec, s[34:35]
	s_cbranch_execz .LBB644_87
.LBB644_85:                             ; =>This Inner Loop Header: Depth=1
	global_load_ushort v12, v[4:5], off
	global_load_ushort v13, v[6:7], off
	s_andn2_b64 s[46:47], s[0:1], exec
	s_or_b64 s[38:39], s[38:39], exec
	s_waitcnt vmcnt(0)
	v_cmp_le_i16_e64 s[0:1], v12, v13
	v_cmp_lt_i16_e32 vcc, v12, v13
	s_and_b64 s[0:1], s[0:1], s[42:43]
	s_or_b64 s[44:45], vcc, s[0:1]
	s_and_b64 s[0:1], s[44:45], exec
	v_cmp_eq_u16_e64 s[2:3], v12, v13
	s_or_b64 s[0:1], s[46:47], s[0:1]
	s_and_saveexec_b64 s[46:47], s[2:3]
	s_cbranch_execz .LBB644_84
; %bb.86:                               ;   in Loop: Header=BB644_85 Depth=1
	s_add_u32 s40, s40, -1
	s_addc_u32 s41, s41, -1
	s_cmp_eq_u64 s[40:41], 0
	s_cselect_b64 s[2:3], -1, 0
	s_andn2_b64 s[38:39], s[38:39], exec
	s_and_b64 s[2:3], s[2:3], exec
	v_lshl_add_u64 v[4:5], v[4:5], 0, 2
	v_lshl_add_u64 v[6:7], v[6:7], 0, 2
	s_andn2_b64 s[0:1], s[0:1], exec
	s_or_b64 s[38:39], s[38:39], s[2:3]
                                        ; implicit-def: $sgpr42_sgpr43
	s_branch .LBB644_84
.LBB644_87:
	s_or_b64 exec, exec, s[34:35]
	s_xor_b64 s[0:1], s[36:37], -1
	s_branch .LBB644_89
.LBB644_88:
	s_mov_b64 s[0:1], -1
.LBB644_89:
	s_and_b64 s[0:1], s[0:1], exec
.LBB644_90:
	s_or_b64 exec, exec, s[28:29]
	s_orn2_b64 s[28:29], s[0:1], exec
.LBB644_91:
	s_or_b64 exec, exec, s[30:31]
	v_mov_b32_e32 v5, s33
	v_mov_b32_e32 v6, s9
	v_cndmask_b32_e64 v4, v30, v31, s[28:29]
	v_cndmask_b32_e64 v5, v5, v6, s[28:29]
	v_add_u32_e32 v6, 1, v4
	v_add_u32_e32 v4, -1, v5
	v_min_u32_e32 v4, v6, v4
	v_lshlrev_b32_e32 v4, 3, v4
	ds_read_b64 v[4:5], v4
	v_cndmask_b32_e64 v32, v6, v30, s[28:29]
	v_cndmask_b32_e64 v36, v31, v6, s[28:29]
	v_cmp_gt_u32_e32 vcc, s33, v32
	s_mov_b64 s[30:31], -1
	s_waitcnt lgkmcnt(0)
	v_cndmask_b32_e64 v12, v5, v10, s[28:29]
	v_cndmask_b32_e64 v28, v4, v26, s[28:29]
	;; [unrolled: 1-line block ×4, first 2 shown]
	s_mov_b64 s[34:35], -1
	s_and_saveexec_b64 s[36:37], vcc
	s_cbranch_execz .LBB644_102
; %bb.92:
	v_cmp_gt_u32_e32 vcc, s9, v36
	s_mov_b64 s[0:1], 0
	s_and_saveexec_b64 s[34:35], vcc
	s_cbranch_execz .LBB644_101
; %bb.93:
	s_andn2_b64 vcc, exec, s[18:19]
	s_cbranch_vccnz .LBB644_99
; %bb.94:
	v_mul_lo_u32 v6, v12, s12
	v_mul_lo_u32 v7, v28, s13
	v_mad_u64_u32 v[4:5], s[0:1], v28, s12, 0
	v_add3_u32 v5, v5, v7, v6
	v_mul_lo_u32 v30, v13, s12
	v_mul_lo_u32 v31, v29, s13
	v_mad_u64_u32 v[6:7], s[0:1], v29, s12, 0
	v_add3_u32 v7, v7, v31, v30
	v_lshl_add_u64 v[4:5], v[4:5], 1, s[14:15]
	v_lshl_add_u64 v[6:7], v[6:7], 1, s[14:15]
	s_mov_b64 s[38:39], 0
	s_mov_b64 s[44:45], s[12:13]
                                        ; implicit-def: $sgpr40_sgpr41
                                        ; implicit-def: $sgpr42_sgpr43
                                        ; implicit-def: $sgpr0_sgpr1
                                        ; implicit-def: $sgpr46_sgpr47
	s_branch .LBB644_96
.LBB644_95:                             ;   in Loop: Header=BB644_96 Depth=1
	s_or_b64 exec, exec, s[50:51]
	s_and_b64 s[2:3], exec, s[42:43]
	s_or_b64 s[38:39], s[2:3], s[38:39]
	s_andn2_b64 s[2:3], s[46:47], exec
	s_and_b64 s[46:47], s[48:49], exec
	s_or_b64 s[46:47], s[2:3], s[46:47]
	s_andn2_b64 s[2:3], s[40:41], exec
	s_and_b64 s[40:41], s[0:1], exec
	s_or_b64 s[40:41], s[2:3], s[40:41]
	s_andn2_b64 exec, exec, s[38:39]
	s_cbranch_execz .LBB644_98
.LBB644_96:                             ; =>This Inner Loop Header: Depth=1
	global_load_ushort v30, v[4:5], off
	global_load_ushort v31, v[6:7], off
	s_andn2_b64 s[50:51], s[0:1], exec
	s_or_b64 s[42:43], s[42:43], exec
	s_waitcnt vmcnt(0)
	v_cmp_le_i16_e64 s[0:1], v30, v31
	v_cmp_lt_i16_e32 vcc, v30, v31
	s_and_b64 s[0:1], s[0:1], s[46:47]
	s_or_b64 s[48:49], vcc, s[0:1]
	s_and_b64 s[0:1], s[48:49], exec
	v_cmp_eq_u16_e64 s[2:3], v30, v31
	s_or_b64 s[0:1], s[50:51], s[0:1]
	s_and_saveexec_b64 s[50:51], s[2:3]
	s_cbranch_execz .LBB644_95
; %bb.97:                               ;   in Loop: Header=BB644_96 Depth=1
	s_add_u32 s44, s44, -1
	s_addc_u32 s45, s45, -1
	s_cmp_eq_u64 s[44:45], 0
	s_cselect_b64 s[2:3], -1, 0
	s_andn2_b64 s[42:43], s[42:43], exec
	s_and_b64 s[2:3], s[2:3], exec
	v_lshl_add_u64 v[4:5], v[4:5], 0, 2
	v_lshl_add_u64 v[6:7], v[6:7], 0, 2
	s_andn2_b64 s[0:1], s[0:1], exec
	s_or_b64 s[42:43], s[42:43], s[2:3]
                                        ; implicit-def: $sgpr46_sgpr47
	s_branch .LBB644_95
.LBB644_98:
	s_or_b64 exec, exec, s[38:39]
	s_xor_b64 s[0:1], s[40:41], -1
	s_branch .LBB644_100
.LBB644_99:
	s_mov_b64 s[0:1], -1
.LBB644_100:
	s_and_b64 s[0:1], s[0:1], exec
.LBB644_101:
	s_or_b64 exec, exec, s[34:35]
	s_orn2_b64 s[34:35], s[0:1], exec
.LBB644_102:
	s_or_b64 exec, exec, s[36:37]
	v_mov_b32_e32 v5, s33
	v_mov_b32_e32 v6, s9
	v_cndmask_b32_e64 v4, v32, v36, s[34:35]
	v_cndmask_b32_e64 v5, v5, v6, s[34:35]
	v_add_u32_e32 v6, 1, v4
	v_add_u32_e32 v4, -1, v5
	v_min_u32_e32 v4, v6, v4
	v_lshlrev_b32_e32 v4, 3, v4
	ds_read_b64 v[4:5], v4
	v_cndmask_b32_e64 v33, v6, v32, s[34:35]
	v_cndmask_b32_e64 v32, v36, v6, s[34:35]
	v_cmp_gt_u32_e32 vcc, s33, v33
	s_waitcnt lgkmcnt(0)
	v_cndmask_b32_e64 v30, v5, v12, s[34:35]
	v_cndmask_b32_e64 v31, v4, v28, s[34:35]
	v_cndmask_b32_e64 v34, v13, v5, s[34:35]
	v_cndmask_b32_e64 v35, v29, v4, s[34:35]
	s_and_saveexec_b64 s[36:37], vcc
	s_cbranch_execz .LBB644_113
; %bb.103:
	v_cmp_gt_u32_e32 vcc, s9, v32
	s_mov_b64 s[0:1], 0
	s_and_saveexec_b64 s[30:31], vcc
	s_cbranch_execz .LBB644_112
; %bb.104:
	s_andn2_b64 vcc, exec, s[18:19]
	s_cbranch_vccnz .LBB644_110
; %bb.105:
	v_mul_lo_u32 v6, v30, s12
	v_mul_lo_u32 v7, v31, s13
	v_mad_u64_u32 v[4:5], s[0:1], v31, s12, 0
	v_add3_u32 v5, v5, v7, v6
	v_mul_lo_u32 v36, v34, s12
	v_mul_lo_u32 v37, v35, s13
	v_mad_u64_u32 v[6:7], s[0:1], v35, s12, 0
	v_add3_u32 v7, v7, v37, v36
	v_lshl_add_u64 v[4:5], v[4:5], 1, s[14:15]
	v_lshl_add_u64 v[6:7], v[6:7], 1, s[14:15]
	s_mov_b64 s[38:39], 0
	s_mov_b64 s[44:45], s[12:13]
                                        ; implicit-def: $sgpr40_sgpr41
                                        ; implicit-def: $sgpr42_sgpr43
                                        ; implicit-def: $sgpr0_sgpr1
                                        ; implicit-def: $sgpr46_sgpr47
	s_branch .LBB644_107
.LBB644_106:                            ;   in Loop: Header=BB644_107 Depth=1
	s_or_b64 exec, exec, s[50:51]
	s_and_b64 s[2:3], exec, s[42:43]
	s_or_b64 s[38:39], s[2:3], s[38:39]
	s_andn2_b64 s[2:3], s[46:47], exec
	s_and_b64 s[46:47], s[48:49], exec
	s_or_b64 s[46:47], s[2:3], s[46:47]
	s_andn2_b64 s[2:3], s[40:41], exec
	s_and_b64 s[40:41], s[0:1], exec
	s_or_b64 s[40:41], s[2:3], s[40:41]
	s_andn2_b64 exec, exec, s[38:39]
	s_cbranch_execz .LBB644_109
.LBB644_107:                            ; =>This Inner Loop Header: Depth=1
	global_load_ushort v36, v[4:5], off
	global_load_ushort v37, v[6:7], off
	s_andn2_b64 s[50:51], s[0:1], exec
	s_or_b64 s[42:43], s[42:43], exec
	s_waitcnt vmcnt(0)
	v_cmp_le_i16_e64 s[0:1], v36, v37
	v_cmp_lt_i16_e32 vcc, v36, v37
	s_and_b64 s[0:1], s[0:1], s[46:47]
	s_or_b64 s[48:49], vcc, s[0:1]
	s_and_b64 s[0:1], s[48:49], exec
	v_cmp_eq_u16_e64 s[2:3], v36, v37
	s_or_b64 s[0:1], s[50:51], s[0:1]
	s_and_saveexec_b64 s[50:51], s[2:3]
	s_cbranch_execz .LBB644_106
; %bb.108:                              ;   in Loop: Header=BB644_107 Depth=1
	s_add_u32 s44, s44, -1
	s_addc_u32 s45, s45, -1
	s_cmp_eq_u64 s[44:45], 0
	s_cselect_b64 s[2:3], -1, 0
	s_andn2_b64 s[42:43], s[42:43], exec
	s_and_b64 s[2:3], s[2:3], exec
	v_lshl_add_u64 v[4:5], v[4:5], 0, 2
	v_lshl_add_u64 v[6:7], v[6:7], 0, 2
	s_andn2_b64 s[0:1], s[0:1], exec
	s_or_b64 s[42:43], s[42:43], s[2:3]
                                        ; implicit-def: $sgpr46_sgpr47
	s_branch .LBB644_106
.LBB644_109:
	s_or_b64 exec, exec, s[38:39]
	s_xor_b64 s[0:1], s[40:41], -1
	s_branch .LBB644_111
.LBB644_110:
	s_mov_b64 s[0:1], -1
.LBB644_111:
	s_and_b64 s[0:1], s[0:1], exec
.LBB644_112:
	s_or_b64 exec, exec, s[30:31]
	s_orn2_b64 s[30:31], s[0:1], exec
.LBB644_113:
	s_or_b64 exec, exec, s[36:37]
	v_cndmask_b32_e64 v5, v1, v17, s[22:23]
	v_cndmask_b32_e64 v4, v16, v19, s[22:23]
	v_mov_b32_e32 v16, s33
	v_mov_b32_e32 v17, s9
	v_cndmask_b32_e64 v1, v33, v32, s[30:31]
	v_cndmask_b32_e64 v16, v16, v17, s[30:31]
	v_add_u32_e32 v1, 1, v1
	v_add_u32_e32 v16, -1, v16
	v_min_u32_e32 v16, v1, v16
	v_lshlrev_b32_e32 v16, 3, v16
	v_cndmask_b32_e64 v7, v20, v22, s[24:25]
	v_cndmask_b32_e64 v6, v21, v23, s[24:25]
	ds_read_b64 v[20:21], v16
	v_cndmask_b32_e64 v19, v1, v33, s[30:31]
	v_cndmask_b32_e64 v13, v12, v13, s[34:35]
	;; [unrolled: 1-line block ×11, first 2 shown]
	s_waitcnt lgkmcnt(0)
	v_cndmask_b32_e64 v17, v34, v21, s[30:31]
	v_cndmask_b32_e64 v16, v35, v20, s[30:31]
	v_cmp_gt_u32_e32 vcc, s33, v19
	s_and_saveexec_b64 s[20:21], vcc
	s_cbranch_execz .LBB644_123
; %bb.114:
	v_cndmask_b32_e64 v1, v32, v1, s[30:31]
	v_cndmask_b32_e64 v21, v21, v30, s[30:31]
	;; [unrolled: 1-line block ×3, first 2 shown]
	v_cmp_gt_u32_e32 vcc, s9, v1
	s_and_saveexec_b64 s[22:23], vcc
	s_cbranch_execz .LBB644_122
; %bb.115:
	s_andn2_b64 vcc, exec, s[18:19]
	s_cbranch_vccnz .LBB644_121
; %bb.116:
	v_mul_lo_u32 v1, v21, s12
	v_mul_lo_u32 v19, v20, s13
	v_mad_u64_u32 v[22:23], s[0:1], v20, s12, 0
	v_add3_u32 v23, v23, v19, v1
	v_mul_lo_u32 v1, v17, s12
	v_mul_lo_u32 v19, v16, s13
	v_mad_u64_u32 v[24:25], s[0:1], v16, s12, 0
	v_add3_u32 v25, v25, v19, v1
	v_lshl_add_u64 v[22:23], v[22:23], 1, s[14:15]
	v_lshl_add_u64 v[24:25], v[24:25], 1, s[14:15]
	s_mov_b64 s[14:15], 0
                                        ; implicit-def: $sgpr18_sgpr19
                                        ; implicit-def: $sgpr24_sgpr25
                                        ; implicit-def: $sgpr0_sgpr1
                                        ; implicit-def: $sgpr26_sgpr27
	s_branch .LBB644_118
.LBB644_117:                            ;   in Loop: Header=BB644_118 Depth=1
	s_or_b64 exec, exec, s[30:31]
	s_and_b64 s[2:3], exec, s[24:25]
	s_or_b64 s[14:15], s[2:3], s[14:15]
	s_andn2_b64 s[2:3], s[26:27], exec
	s_and_b64 s[26:27], s[28:29], exec
	s_or_b64 s[26:27], s[2:3], s[26:27]
	s_andn2_b64 s[2:3], s[18:19], exec
	s_and_b64 s[18:19], s[0:1], exec
	s_or_b64 s[18:19], s[2:3], s[18:19]
	s_andn2_b64 exec, exec, s[14:15]
	s_cbranch_execz .LBB644_120
.LBB644_118:                            ; =>This Inner Loop Header: Depth=1
	global_load_ushort v1, v[22:23], off
	global_load_ushort v19, v[24:25], off
	s_andn2_b64 s[30:31], s[0:1], exec
	s_or_b64 s[24:25], s[24:25], exec
	s_waitcnt vmcnt(0)
	v_cmp_le_i16_e64 s[0:1], v1, v19
	v_cmp_lt_i16_e32 vcc, v1, v19
	s_and_b64 s[0:1], s[0:1], s[26:27]
	s_or_b64 s[28:29], vcc, s[0:1]
	s_and_b64 s[0:1], s[28:29], exec
	v_cmp_eq_u16_e64 s[2:3], v1, v19
	s_or_b64 s[0:1], s[30:31], s[0:1]
	s_and_saveexec_b64 s[30:31], s[2:3]
	s_cbranch_execz .LBB644_117
; %bb.119:                              ;   in Loop: Header=BB644_118 Depth=1
	s_add_u32 s12, s12, -1
	s_addc_u32 s13, s13, -1
	s_cmp_eq_u64 s[12:13], 0
	s_cselect_b64 s[2:3], -1, 0
	s_andn2_b64 s[24:25], s[24:25], exec
	s_and_b64 s[2:3], s[2:3], exec
	v_lshl_add_u64 v[22:23], v[22:23], 0, 2
	v_lshl_add_u64 v[24:25], v[24:25], 0, 2
	s_andn2_b64 s[0:1], s[0:1], exec
	s_or_b64 s[24:25], s[24:25], s[2:3]
                                        ; implicit-def: $sgpr26_sgpr27
	s_branch .LBB644_117
.LBB644_120:
	s_or_b64 exec, exec, s[14:15]
	v_cndmask_b32_e64 v17, v17, v21, s[18:19]
	v_cndmask_b32_e64 v16, v16, v20, s[18:19]
.LBB644_121:
	v_mov_b64_e32 v[20:21], v[16:17]
.LBB644_122:
	s_or_b64 exec, exec, s[22:23]
	v_mov_b64_e32 v[16:17], v[20:21]
.LBB644_123:
	s_or_b64 exec, exec, s[20:21]
.LBB644_124:
	s_or_b64 exec, exec, s[4:5]
	v_lshrrev_b32_e32 v1, 2, v0
	v_lshlrev_b32_e32 v19, 3, v18
	v_lshl_add_u32 v19, v1, 3, v19
	v_and_b32_e32 v1, 24, v1
	v_or_b32_e32 v23, 0x80, v0
	v_add_u32_e32 v24, v1, v18
	v_lshrrev_b32_e32 v1, 2, v23
	v_and_b32_e32 v1, 56, v1
	v_or_b32_e32 v22, 0x100, v0
	s_barrier
	s_barrier
	ds_write2_b64 v19, v[2:3], v[4:5] offset1:1
	ds_write2_b64 v19, v[6:7], v[8:9] offset0:2 offset1:3
	ds_write2_b64 v19, v[10:11], v[12:13] offset0:4 offset1:5
	;; [unrolled: 1-line block ×3, first 2 shown]
	v_add_u32_e32 v4, v1, v18
	v_lshrrev_b32_e32 v1, 2, v22
	v_and_b32_e32 v1, 0x58, v1
	v_or_b32_e32 v21, 0x180, v0
	v_add_u32_e32 v5, v1, v18
	v_lshrrev_b32_e32 v1, 2, v21
	v_and_b32_e32 v1, 0x78, v1
	v_or_b32_e32 v20, 0x200, v0
	;; [unrolled: 4-line block ×4, first 2 shown]
	v_add_u32_e32 v25, v1, v18
	v_lshrrev_b32_e32 v1, 2, v16
	v_and_b32_e32 v1, 0xd8, v1
	s_lshl_b64 s[0:1], s[16:17], 3
	v_add_u32_e32 v26, v1, v18
	v_or_b32_e32 v1, 0x380, v0
	s_add_u32 s0, s6, s0
	v_lshrrev_b32_e32 v2, 2, v1
	s_addc_u32 s1, s7, s1
	v_and_b32_e32 v2, 0xf8, v2
	v_mov_b32_e32 v19, 0
	v_add_u32_e32 v27, v2, v18
	v_lshl_add_u64 v[2:3], s[0:1], 0, v[18:19]
	s_and_b64 vcc, exec, s[10:11]
	s_waitcnt lgkmcnt(0)
	s_cbranch_vccz .LBB644_126
; %bb.125:
	s_barrier
	ds_read_b64 v[8:9], v24
	ds_read_b64 v[10:11], v4 offset:1024
	ds_read_b64 v[12:13], v5 offset:2048
	ds_read_b64 v[14:15], v6 offset:3072
	ds_read_b64 v[28:29], v7 offset:4096
	ds_read_b64 v[30:31], v25 offset:5120
	ds_read_b64 v[32:33], v26 offset:6144
	ds_read_b64 v[18:19], v27 offset:7168
	s_waitcnt lgkmcnt(7)
	global_store_dwordx2 v[2:3], v[8:9], off
	s_waitcnt lgkmcnt(6)
	global_store_dwordx2 v[2:3], v[10:11], off offset:1024
	s_waitcnt lgkmcnt(5)
	global_store_dwordx2 v[2:3], v[12:13], off offset:2048
	;; [unrolled: 2-line block ×3, first 2 shown]
	v_add_co_u32_e32 v8, vcc, 0x1000, v2
	s_nop 1
	v_addc_co_u32_e32 v9, vcc, 0, v3, vcc
	s_waitcnt lgkmcnt(3)
	global_store_dwordx2 v[8:9], v[28:29], off
	s_waitcnt lgkmcnt(2)
	global_store_dwordx2 v[8:9], v[30:31], off offset:1024
	s_waitcnt lgkmcnt(1)
	global_store_dwordx2 v[8:9], v[32:33], off offset:2048
	s_mov_b64 s[0:1], -1
	s_cbranch_execz .LBB644_127
	s_branch .LBB644_136
.LBB644_126:
	s_mov_b64 s[0:1], 0
                                        ; implicit-def: $vgpr18_vgpr19
.LBB644_127:
	s_barrier
	s_waitcnt lgkmcnt(0)
	ds_read_b64 v[14:15], v4 offset:1024
	ds_read_b64 v[12:13], v5 offset:2048
	;; [unrolled: 1-line block ×7, first 2 shown]
	s_sub_i32 s2, s8, s16
	v_cmp_gt_u32_e32 vcc, s2, v0
	s_and_saveexec_b64 s[0:1], vcc
	s_cbranch_execnz .LBB644_139
; %bb.128:
	s_or_b64 exec, exec, s[0:1]
	v_cmp_gt_u32_e32 vcc, s2, v23
	s_and_saveexec_b64 s[0:1], vcc
	s_cbranch_execnz .LBB644_140
.LBB644_129:
	s_or_b64 exec, exec, s[0:1]
	v_cmp_gt_u32_e32 vcc, s2, v22
	s_and_saveexec_b64 s[0:1], vcc
	s_cbranch_execnz .LBB644_141
.LBB644_130:
	s_or_b64 exec, exec, s[0:1]
	v_cmp_gt_u32_e32 vcc, s2, v21
	s_and_saveexec_b64 s[0:1], vcc
	s_cbranch_execnz .LBB644_142
.LBB644_131:
	s_or_b64 exec, exec, s[0:1]
	v_cmp_gt_u32_e32 vcc, s2, v20
	s_and_saveexec_b64 s[0:1], vcc
	s_cbranch_execnz .LBB644_143
.LBB644_132:
	s_or_b64 exec, exec, s[0:1]
	v_cmp_gt_u32_e32 vcc, s2, v17
	s_and_saveexec_b64 s[0:1], vcc
	s_cbranch_execnz .LBB644_144
.LBB644_133:
	s_or_b64 exec, exec, s[0:1]
	v_cmp_gt_u32_e32 vcc, s2, v16
	s_and_saveexec_b64 s[0:1], vcc
	s_cbranch_execz .LBB644_135
.LBB644_134:
	s_waitcnt lgkmcnt(2)
	v_add_co_u32_e32 v6, vcc, 0x1000, v2
	s_nop 1
	v_addc_co_u32_e32 v7, vcc, 0, v3, vcc
	s_waitcnt lgkmcnt(1)
	global_store_dwordx2 v[6:7], v[4:5], off offset:2048
.LBB644_135:
	s_or_b64 exec, exec, s[0:1]
	v_cmp_gt_u32_e64 s[0:1], s2, v1
.LBB644_136:
	s_and_saveexec_b64 s[2:3], s[0:1]
	s_cbranch_execz .LBB644_138
; %bb.137:
	v_add_co_u32_e32 v0, vcc, 0x1000, v2
	s_nop 1
	v_addc_co_u32_e32 v1, vcc, 0, v3, vcc
	s_waitcnt lgkmcnt(0)
	global_store_dwordx2 v[0:1], v[18:19], off offset:3072
.LBB644_138:
	s_endpgm
.LBB644_139:
	ds_read_b64 v[24:25], v24
	s_waitcnt lgkmcnt(0)
	global_store_dwordx2 v[2:3], v[24:25], off
	s_or_b64 exec, exec, s[0:1]
	v_cmp_gt_u32_e32 vcc, s2, v23
	s_and_saveexec_b64 s[0:1], vcc
	s_cbranch_execz .LBB644_129
.LBB644_140:
	s_waitcnt lgkmcnt(6)
	global_store_dwordx2 v[2:3], v[14:15], off offset:1024
	s_or_b64 exec, exec, s[0:1]
	v_cmp_gt_u32_e32 vcc, s2, v22
	s_and_saveexec_b64 s[0:1], vcc
	s_cbranch_execz .LBB644_130
.LBB644_141:
	s_waitcnt lgkmcnt(5)
	global_store_dwordx2 v[2:3], v[12:13], off offset:2048
	s_or_b64 exec, exec, s[0:1]
	v_cmp_gt_u32_e32 vcc, s2, v21
	s_and_saveexec_b64 s[0:1], vcc
	s_cbranch_execz .LBB644_131
.LBB644_142:
	s_waitcnt lgkmcnt(4)
	global_store_dwordx2 v[2:3], v[10:11], off offset:3072
	s_or_b64 exec, exec, s[0:1]
	v_cmp_gt_u32_e32 vcc, s2, v20
	s_and_saveexec_b64 s[0:1], vcc
	s_cbranch_execz .LBB644_132
.LBB644_143:
	s_waitcnt lgkmcnt(4)
	v_add_co_u32_e32 v10, vcc, 0x1000, v2
	s_nop 1
	v_addc_co_u32_e32 v11, vcc, 0, v3, vcc
	s_waitcnt lgkmcnt(3)
	global_store_dwordx2 v[10:11], v[8:9], off
	s_or_b64 exec, exec, s[0:1]
	v_cmp_gt_u32_e32 vcc, s2, v17
	s_and_saveexec_b64 s[0:1], vcc
	s_cbranch_execz .LBB644_133
.LBB644_144:
	s_waitcnt lgkmcnt(3)
	v_add_co_u32_e32 v8, vcc, 0x1000, v2
	s_nop 1
	v_addc_co_u32_e32 v9, vcc, 0, v3, vcc
	s_waitcnt lgkmcnt(2)
	global_store_dwordx2 v[8:9], v[6:7], off offset:1024
	s_or_b64 exec, exec, s[0:1]
	v_cmp_gt_u32_e32 vcc, s2, v16
	s_and_saveexec_b64 s[0:1], vcc
	s_cbranch_execnz .LBB644_134
	s_branch .LBB644_135
	.section	.rodata,"a",@progbits
	.p2align	6, 0x0
	.amdhsa_kernel _ZN7rocprim17ROCPRIM_400000_NS6detail17trampoline_kernelINS0_14default_configENS1_38merge_sort_block_merge_config_selectorIlNS0_10empty_typeEEEZZNS1_27merge_sort_block_merge_implIS3_PlPS5_mZN2at6native12_GLOBAL__N_124unique_dim_cuda_templateIsEESt5tupleIJNSA_6TensorESF_SF_EERKSF_lbbbEUlllE_EE10hipError_tT0_T1_T2_jT3_P12ihipStream_tbPNSt15iterator_traitsISL_E10value_typeEPNSR_ISM_E10value_typeEPSN_NS1_7vsmem_tEENKUlT_SL_SM_SN_E_clIS8_S8_S9_S9_EESK_S10_SL_SM_SN_EUlS10_E0_NS1_11comp_targetILNS1_3genE0ELNS1_11target_archE4294967295ELNS1_3gpuE0ELNS1_3repE0EEENS1_38merge_mergepath_config_static_selectorELNS0_4arch9wavefront6targetE1EEEvSM_
		.amdhsa_group_segment_fixed_size 8448
		.amdhsa_private_segment_fixed_size 0
		.amdhsa_kernarg_size 344
		.amdhsa_user_sgpr_count 2
		.amdhsa_user_sgpr_dispatch_ptr 0
		.amdhsa_user_sgpr_queue_ptr 0
		.amdhsa_user_sgpr_kernarg_segment_ptr 1
		.amdhsa_user_sgpr_dispatch_id 0
		.amdhsa_user_sgpr_kernarg_preload_length 0
		.amdhsa_user_sgpr_kernarg_preload_offset 0
		.amdhsa_user_sgpr_private_segment_size 0
		.amdhsa_uses_dynamic_stack 0
		.amdhsa_enable_private_segment 0
		.amdhsa_system_sgpr_workgroup_id_x 1
		.amdhsa_system_sgpr_workgroup_id_y 1
		.amdhsa_system_sgpr_workgroup_id_z 1
		.amdhsa_system_sgpr_workgroup_info 0
		.amdhsa_system_vgpr_workitem_id 0
		.amdhsa_next_free_vgpr 38
		.amdhsa_next_free_sgpr 52
		.amdhsa_accum_offset 40
		.amdhsa_reserve_vcc 1
		.amdhsa_float_round_mode_32 0
		.amdhsa_float_round_mode_16_64 0
		.amdhsa_float_denorm_mode_32 3
		.amdhsa_float_denorm_mode_16_64 3
		.amdhsa_dx10_clamp 1
		.amdhsa_ieee_mode 1
		.amdhsa_fp16_overflow 0
		.amdhsa_tg_split 0
		.amdhsa_exception_fp_ieee_invalid_op 0
		.amdhsa_exception_fp_denorm_src 0
		.amdhsa_exception_fp_ieee_div_zero 0
		.amdhsa_exception_fp_ieee_overflow 0
		.amdhsa_exception_fp_ieee_underflow 0
		.amdhsa_exception_fp_ieee_inexact 0
		.amdhsa_exception_int_div_zero 0
	.end_amdhsa_kernel
	.section	.text._ZN7rocprim17ROCPRIM_400000_NS6detail17trampoline_kernelINS0_14default_configENS1_38merge_sort_block_merge_config_selectorIlNS0_10empty_typeEEEZZNS1_27merge_sort_block_merge_implIS3_PlPS5_mZN2at6native12_GLOBAL__N_124unique_dim_cuda_templateIsEESt5tupleIJNSA_6TensorESF_SF_EERKSF_lbbbEUlllE_EE10hipError_tT0_T1_T2_jT3_P12ihipStream_tbPNSt15iterator_traitsISL_E10value_typeEPNSR_ISM_E10value_typeEPSN_NS1_7vsmem_tEENKUlT_SL_SM_SN_E_clIS8_S8_S9_S9_EESK_S10_SL_SM_SN_EUlS10_E0_NS1_11comp_targetILNS1_3genE0ELNS1_11target_archE4294967295ELNS1_3gpuE0ELNS1_3repE0EEENS1_38merge_mergepath_config_static_selectorELNS0_4arch9wavefront6targetE1EEEvSM_,"axG",@progbits,_ZN7rocprim17ROCPRIM_400000_NS6detail17trampoline_kernelINS0_14default_configENS1_38merge_sort_block_merge_config_selectorIlNS0_10empty_typeEEEZZNS1_27merge_sort_block_merge_implIS3_PlPS5_mZN2at6native12_GLOBAL__N_124unique_dim_cuda_templateIsEESt5tupleIJNSA_6TensorESF_SF_EERKSF_lbbbEUlllE_EE10hipError_tT0_T1_T2_jT3_P12ihipStream_tbPNSt15iterator_traitsISL_E10value_typeEPNSR_ISM_E10value_typeEPSN_NS1_7vsmem_tEENKUlT_SL_SM_SN_E_clIS8_S8_S9_S9_EESK_S10_SL_SM_SN_EUlS10_E0_NS1_11comp_targetILNS1_3genE0ELNS1_11target_archE4294967295ELNS1_3gpuE0ELNS1_3repE0EEENS1_38merge_mergepath_config_static_selectorELNS0_4arch9wavefront6targetE1EEEvSM_,comdat
.Lfunc_end644:
	.size	_ZN7rocprim17ROCPRIM_400000_NS6detail17trampoline_kernelINS0_14default_configENS1_38merge_sort_block_merge_config_selectorIlNS0_10empty_typeEEEZZNS1_27merge_sort_block_merge_implIS3_PlPS5_mZN2at6native12_GLOBAL__N_124unique_dim_cuda_templateIsEESt5tupleIJNSA_6TensorESF_SF_EERKSF_lbbbEUlllE_EE10hipError_tT0_T1_T2_jT3_P12ihipStream_tbPNSt15iterator_traitsISL_E10value_typeEPNSR_ISM_E10value_typeEPSN_NS1_7vsmem_tEENKUlT_SL_SM_SN_E_clIS8_S8_S9_S9_EESK_S10_SL_SM_SN_EUlS10_E0_NS1_11comp_targetILNS1_3genE0ELNS1_11target_archE4294967295ELNS1_3gpuE0ELNS1_3repE0EEENS1_38merge_mergepath_config_static_selectorELNS0_4arch9wavefront6targetE1EEEvSM_, .Lfunc_end644-_ZN7rocprim17ROCPRIM_400000_NS6detail17trampoline_kernelINS0_14default_configENS1_38merge_sort_block_merge_config_selectorIlNS0_10empty_typeEEEZZNS1_27merge_sort_block_merge_implIS3_PlPS5_mZN2at6native12_GLOBAL__N_124unique_dim_cuda_templateIsEESt5tupleIJNSA_6TensorESF_SF_EERKSF_lbbbEUlllE_EE10hipError_tT0_T1_T2_jT3_P12ihipStream_tbPNSt15iterator_traitsISL_E10value_typeEPNSR_ISM_E10value_typeEPSN_NS1_7vsmem_tEENKUlT_SL_SM_SN_E_clIS8_S8_S9_S9_EESK_S10_SL_SM_SN_EUlS10_E0_NS1_11comp_targetILNS1_3genE0ELNS1_11target_archE4294967295ELNS1_3gpuE0ELNS1_3repE0EEENS1_38merge_mergepath_config_static_selectorELNS0_4arch9wavefront6targetE1EEEvSM_
                                        ; -- End function
	.set _ZN7rocprim17ROCPRIM_400000_NS6detail17trampoline_kernelINS0_14default_configENS1_38merge_sort_block_merge_config_selectorIlNS0_10empty_typeEEEZZNS1_27merge_sort_block_merge_implIS3_PlPS5_mZN2at6native12_GLOBAL__N_124unique_dim_cuda_templateIsEESt5tupleIJNSA_6TensorESF_SF_EERKSF_lbbbEUlllE_EE10hipError_tT0_T1_T2_jT3_P12ihipStream_tbPNSt15iterator_traitsISL_E10value_typeEPNSR_ISM_E10value_typeEPSN_NS1_7vsmem_tEENKUlT_SL_SM_SN_E_clIS8_S8_S9_S9_EESK_S10_SL_SM_SN_EUlS10_E0_NS1_11comp_targetILNS1_3genE0ELNS1_11target_archE4294967295ELNS1_3gpuE0ELNS1_3repE0EEENS1_38merge_mergepath_config_static_selectorELNS0_4arch9wavefront6targetE1EEEvSM_.num_vgpr, 38
	.set _ZN7rocprim17ROCPRIM_400000_NS6detail17trampoline_kernelINS0_14default_configENS1_38merge_sort_block_merge_config_selectorIlNS0_10empty_typeEEEZZNS1_27merge_sort_block_merge_implIS3_PlPS5_mZN2at6native12_GLOBAL__N_124unique_dim_cuda_templateIsEESt5tupleIJNSA_6TensorESF_SF_EERKSF_lbbbEUlllE_EE10hipError_tT0_T1_T2_jT3_P12ihipStream_tbPNSt15iterator_traitsISL_E10value_typeEPNSR_ISM_E10value_typeEPSN_NS1_7vsmem_tEENKUlT_SL_SM_SN_E_clIS8_S8_S9_S9_EESK_S10_SL_SM_SN_EUlS10_E0_NS1_11comp_targetILNS1_3genE0ELNS1_11target_archE4294967295ELNS1_3gpuE0ELNS1_3repE0EEENS1_38merge_mergepath_config_static_selectorELNS0_4arch9wavefront6targetE1EEEvSM_.num_agpr, 0
	.set _ZN7rocprim17ROCPRIM_400000_NS6detail17trampoline_kernelINS0_14default_configENS1_38merge_sort_block_merge_config_selectorIlNS0_10empty_typeEEEZZNS1_27merge_sort_block_merge_implIS3_PlPS5_mZN2at6native12_GLOBAL__N_124unique_dim_cuda_templateIsEESt5tupleIJNSA_6TensorESF_SF_EERKSF_lbbbEUlllE_EE10hipError_tT0_T1_T2_jT3_P12ihipStream_tbPNSt15iterator_traitsISL_E10value_typeEPNSR_ISM_E10value_typeEPSN_NS1_7vsmem_tEENKUlT_SL_SM_SN_E_clIS8_S8_S9_S9_EESK_S10_SL_SM_SN_EUlS10_E0_NS1_11comp_targetILNS1_3genE0ELNS1_11target_archE4294967295ELNS1_3gpuE0ELNS1_3repE0EEENS1_38merge_mergepath_config_static_selectorELNS0_4arch9wavefront6targetE1EEEvSM_.numbered_sgpr, 52
	.set _ZN7rocprim17ROCPRIM_400000_NS6detail17trampoline_kernelINS0_14default_configENS1_38merge_sort_block_merge_config_selectorIlNS0_10empty_typeEEEZZNS1_27merge_sort_block_merge_implIS3_PlPS5_mZN2at6native12_GLOBAL__N_124unique_dim_cuda_templateIsEESt5tupleIJNSA_6TensorESF_SF_EERKSF_lbbbEUlllE_EE10hipError_tT0_T1_T2_jT3_P12ihipStream_tbPNSt15iterator_traitsISL_E10value_typeEPNSR_ISM_E10value_typeEPSN_NS1_7vsmem_tEENKUlT_SL_SM_SN_E_clIS8_S8_S9_S9_EESK_S10_SL_SM_SN_EUlS10_E0_NS1_11comp_targetILNS1_3genE0ELNS1_11target_archE4294967295ELNS1_3gpuE0ELNS1_3repE0EEENS1_38merge_mergepath_config_static_selectorELNS0_4arch9wavefront6targetE1EEEvSM_.num_named_barrier, 0
	.set _ZN7rocprim17ROCPRIM_400000_NS6detail17trampoline_kernelINS0_14default_configENS1_38merge_sort_block_merge_config_selectorIlNS0_10empty_typeEEEZZNS1_27merge_sort_block_merge_implIS3_PlPS5_mZN2at6native12_GLOBAL__N_124unique_dim_cuda_templateIsEESt5tupleIJNSA_6TensorESF_SF_EERKSF_lbbbEUlllE_EE10hipError_tT0_T1_T2_jT3_P12ihipStream_tbPNSt15iterator_traitsISL_E10value_typeEPNSR_ISM_E10value_typeEPSN_NS1_7vsmem_tEENKUlT_SL_SM_SN_E_clIS8_S8_S9_S9_EESK_S10_SL_SM_SN_EUlS10_E0_NS1_11comp_targetILNS1_3genE0ELNS1_11target_archE4294967295ELNS1_3gpuE0ELNS1_3repE0EEENS1_38merge_mergepath_config_static_selectorELNS0_4arch9wavefront6targetE1EEEvSM_.private_seg_size, 0
	.set _ZN7rocprim17ROCPRIM_400000_NS6detail17trampoline_kernelINS0_14default_configENS1_38merge_sort_block_merge_config_selectorIlNS0_10empty_typeEEEZZNS1_27merge_sort_block_merge_implIS3_PlPS5_mZN2at6native12_GLOBAL__N_124unique_dim_cuda_templateIsEESt5tupleIJNSA_6TensorESF_SF_EERKSF_lbbbEUlllE_EE10hipError_tT0_T1_T2_jT3_P12ihipStream_tbPNSt15iterator_traitsISL_E10value_typeEPNSR_ISM_E10value_typeEPSN_NS1_7vsmem_tEENKUlT_SL_SM_SN_E_clIS8_S8_S9_S9_EESK_S10_SL_SM_SN_EUlS10_E0_NS1_11comp_targetILNS1_3genE0ELNS1_11target_archE4294967295ELNS1_3gpuE0ELNS1_3repE0EEENS1_38merge_mergepath_config_static_selectorELNS0_4arch9wavefront6targetE1EEEvSM_.uses_vcc, 1
	.set _ZN7rocprim17ROCPRIM_400000_NS6detail17trampoline_kernelINS0_14default_configENS1_38merge_sort_block_merge_config_selectorIlNS0_10empty_typeEEEZZNS1_27merge_sort_block_merge_implIS3_PlPS5_mZN2at6native12_GLOBAL__N_124unique_dim_cuda_templateIsEESt5tupleIJNSA_6TensorESF_SF_EERKSF_lbbbEUlllE_EE10hipError_tT0_T1_T2_jT3_P12ihipStream_tbPNSt15iterator_traitsISL_E10value_typeEPNSR_ISM_E10value_typeEPSN_NS1_7vsmem_tEENKUlT_SL_SM_SN_E_clIS8_S8_S9_S9_EESK_S10_SL_SM_SN_EUlS10_E0_NS1_11comp_targetILNS1_3genE0ELNS1_11target_archE4294967295ELNS1_3gpuE0ELNS1_3repE0EEENS1_38merge_mergepath_config_static_selectorELNS0_4arch9wavefront6targetE1EEEvSM_.uses_flat_scratch, 0
	.set _ZN7rocprim17ROCPRIM_400000_NS6detail17trampoline_kernelINS0_14default_configENS1_38merge_sort_block_merge_config_selectorIlNS0_10empty_typeEEEZZNS1_27merge_sort_block_merge_implIS3_PlPS5_mZN2at6native12_GLOBAL__N_124unique_dim_cuda_templateIsEESt5tupleIJNSA_6TensorESF_SF_EERKSF_lbbbEUlllE_EE10hipError_tT0_T1_T2_jT3_P12ihipStream_tbPNSt15iterator_traitsISL_E10value_typeEPNSR_ISM_E10value_typeEPSN_NS1_7vsmem_tEENKUlT_SL_SM_SN_E_clIS8_S8_S9_S9_EESK_S10_SL_SM_SN_EUlS10_E0_NS1_11comp_targetILNS1_3genE0ELNS1_11target_archE4294967295ELNS1_3gpuE0ELNS1_3repE0EEENS1_38merge_mergepath_config_static_selectorELNS0_4arch9wavefront6targetE1EEEvSM_.has_dyn_sized_stack, 0
	.set _ZN7rocprim17ROCPRIM_400000_NS6detail17trampoline_kernelINS0_14default_configENS1_38merge_sort_block_merge_config_selectorIlNS0_10empty_typeEEEZZNS1_27merge_sort_block_merge_implIS3_PlPS5_mZN2at6native12_GLOBAL__N_124unique_dim_cuda_templateIsEESt5tupleIJNSA_6TensorESF_SF_EERKSF_lbbbEUlllE_EE10hipError_tT0_T1_T2_jT3_P12ihipStream_tbPNSt15iterator_traitsISL_E10value_typeEPNSR_ISM_E10value_typeEPSN_NS1_7vsmem_tEENKUlT_SL_SM_SN_E_clIS8_S8_S9_S9_EESK_S10_SL_SM_SN_EUlS10_E0_NS1_11comp_targetILNS1_3genE0ELNS1_11target_archE4294967295ELNS1_3gpuE0ELNS1_3repE0EEENS1_38merge_mergepath_config_static_selectorELNS0_4arch9wavefront6targetE1EEEvSM_.has_recursion, 0
	.set _ZN7rocprim17ROCPRIM_400000_NS6detail17trampoline_kernelINS0_14default_configENS1_38merge_sort_block_merge_config_selectorIlNS0_10empty_typeEEEZZNS1_27merge_sort_block_merge_implIS3_PlPS5_mZN2at6native12_GLOBAL__N_124unique_dim_cuda_templateIsEESt5tupleIJNSA_6TensorESF_SF_EERKSF_lbbbEUlllE_EE10hipError_tT0_T1_T2_jT3_P12ihipStream_tbPNSt15iterator_traitsISL_E10value_typeEPNSR_ISM_E10value_typeEPSN_NS1_7vsmem_tEENKUlT_SL_SM_SN_E_clIS8_S8_S9_S9_EESK_S10_SL_SM_SN_EUlS10_E0_NS1_11comp_targetILNS1_3genE0ELNS1_11target_archE4294967295ELNS1_3gpuE0ELNS1_3repE0EEENS1_38merge_mergepath_config_static_selectorELNS0_4arch9wavefront6targetE1EEEvSM_.has_indirect_call, 0
	.section	.AMDGPU.csdata,"",@progbits
; Kernel info:
; codeLenInByte = 6496
; TotalNumSgprs: 58
; NumVgprs: 38
; NumAgprs: 0
; TotalNumVgprs: 38
; ScratchSize: 0
; MemoryBound: 0
; FloatMode: 240
; IeeeMode: 1
; LDSByteSize: 8448 bytes/workgroup (compile time only)
; SGPRBlocks: 7
; VGPRBlocks: 4
; NumSGPRsForWavesPerEU: 58
; NumVGPRsForWavesPerEU: 38
; AccumOffset: 40
; Occupancy: 8
; WaveLimiterHint : 1
; COMPUTE_PGM_RSRC2:SCRATCH_EN: 0
; COMPUTE_PGM_RSRC2:USER_SGPR: 2
; COMPUTE_PGM_RSRC2:TRAP_HANDLER: 0
; COMPUTE_PGM_RSRC2:TGID_X_EN: 1
; COMPUTE_PGM_RSRC2:TGID_Y_EN: 1
; COMPUTE_PGM_RSRC2:TGID_Z_EN: 1
; COMPUTE_PGM_RSRC2:TIDIG_COMP_CNT: 0
; COMPUTE_PGM_RSRC3_GFX90A:ACCUM_OFFSET: 9
; COMPUTE_PGM_RSRC3_GFX90A:TG_SPLIT: 0
	.section	.text._ZN7rocprim17ROCPRIM_400000_NS6detail17trampoline_kernelINS0_14default_configENS1_38merge_sort_block_merge_config_selectorIlNS0_10empty_typeEEEZZNS1_27merge_sort_block_merge_implIS3_PlPS5_mZN2at6native12_GLOBAL__N_124unique_dim_cuda_templateIsEESt5tupleIJNSA_6TensorESF_SF_EERKSF_lbbbEUlllE_EE10hipError_tT0_T1_T2_jT3_P12ihipStream_tbPNSt15iterator_traitsISL_E10value_typeEPNSR_ISM_E10value_typeEPSN_NS1_7vsmem_tEENKUlT_SL_SM_SN_E_clIS8_S8_S9_S9_EESK_S10_SL_SM_SN_EUlS10_E0_NS1_11comp_targetILNS1_3genE10ELNS1_11target_archE1201ELNS1_3gpuE5ELNS1_3repE0EEENS1_38merge_mergepath_config_static_selectorELNS0_4arch9wavefront6targetE1EEEvSM_,"axG",@progbits,_ZN7rocprim17ROCPRIM_400000_NS6detail17trampoline_kernelINS0_14default_configENS1_38merge_sort_block_merge_config_selectorIlNS0_10empty_typeEEEZZNS1_27merge_sort_block_merge_implIS3_PlPS5_mZN2at6native12_GLOBAL__N_124unique_dim_cuda_templateIsEESt5tupleIJNSA_6TensorESF_SF_EERKSF_lbbbEUlllE_EE10hipError_tT0_T1_T2_jT3_P12ihipStream_tbPNSt15iterator_traitsISL_E10value_typeEPNSR_ISM_E10value_typeEPSN_NS1_7vsmem_tEENKUlT_SL_SM_SN_E_clIS8_S8_S9_S9_EESK_S10_SL_SM_SN_EUlS10_E0_NS1_11comp_targetILNS1_3genE10ELNS1_11target_archE1201ELNS1_3gpuE5ELNS1_3repE0EEENS1_38merge_mergepath_config_static_selectorELNS0_4arch9wavefront6targetE1EEEvSM_,comdat
	.globl	_ZN7rocprim17ROCPRIM_400000_NS6detail17trampoline_kernelINS0_14default_configENS1_38merge_sort_block_merge_config_selectorIlNS0_10empty_typeEEEZZNS1_27merge_sort_block_merge_implIS3_PlPS5_mZN2at6native12_GLOBAL__N_124unique_dim_cuda_templateIsEESt5tupleIJNSA_6TensorESF_SF_EERKSF_lbbbEUlllE_EE10hipError_tT0_T1_T2_jT3_P12ihipStream_tbPNSt15iterator_traitsISL_E10value_typeEPNSR_ISM_E10value_typeEPSN_NS1_7vsmem_tEENKUlT_SL_SM_SN_E_clIS8_S8_S9_S9_EESK_S10_SL_SM_SN_EUlS10_E0_NS1_11comp_targetILNS1_3genE10ELNS1_11target_archE1201ELNS1_3gpuE5ELNS1_3repE0EEENS1_38merge_mergepath_config_static_selectorELNS0_4arch9wavefront6targetE1EEEvSM_ ; -- Begin function _ZN7rocprim17ROCPRIM_400000_NS6detail17trampoline_kernelINS0_14default_configENS1_38merge_sort_block_merge_config_selectorIlNS0_10empty_typeEEEZZNS1_27merge_sort_block_merge_implIS3_PlPS5_mZN2at6native12_GLOBAL__N_124unique_dim_cuda_templateIsEESt5tupleIJNSA_6TensorESF_SF_EERKSF_lbbbEUlllE_EE10hipError_tT0_T1_T2_jT3_P12ihipStream_tbPNSt15iterator_traitsISL_E10value_typeEPNSR_ISM_E10value_typeEPSN_NS1_7vsmem_tEENKUlT_SL_SM_SN_E_clIS8_S8_S9_S9_EESK_S10_SL_SM_SN_EUlS10_E0_NS1_11comp_targetILNS1_3genE10ELNS1_11target_archE1201ELNS1_3gpuE5ELNS1_3repE0EEENS1_38merge_mergepath_config_static_selectorELNS0_4arch9wavefront6targetE1EEEvSM_
	.p2align	8
	.type	_ZN7rocprim17ROCPRIM_400000_NS6detail17trampoline_kernelINS0_14default_configENS1_38merge_sort_block_merge_config_selectorIlNS0_10empty_typeEEEZZNS1_27merge_sort_block_merge_implIS3_PlPS5_mZN2at6native12_GLOBAL__N_124unique_dim_cuda_templateIsEESt5tupleIJNSA_6TensorESF_SF_EERKSF_lbbbEUlllE_EE10hipError_tT0_T1_T2_jT3_P12ihipStream_tbPNSt15iterator_traitsISL_E10value_typeEPNSR_ISM_E10value_typeEPSN_NS1_7vsmem_tEENKUlT_SL_SM_SN_E_clIS8_S8_S9_S9_EESK_S10_SL_SM_SN_EUlS10_E0_NS1_11comp_targetILNS1_3genE10ELNS1_11target_archE1201ELNS1_3gpuE5ELNS1_3repE0EEENS1_38merge_mergepath_config_static_selectorELNS0_4arch9wavefront6targetE1EEEvSM_,@function
_ZN7rocprim17ROCPRIM_400000_NS6detail17trampoline_kernelINS0_14default_configENS1_38merge_sort_block_merge_config_selectorIlNS0_10empty_typeEEEZZNS1_27merge_sort_block_merge_implIS3_PlPS5_mZN2at6native12_GLOBAL__N_124unique_dim_cuda_templateIsEESt5tupleIJNSA_6TensorESF_SF_EERKSF_lbbbEUlllE_EE10hipError_tT0_T1_T2_jT3_P12ihipStream_tbPNSt15iterator_traitsISL_E10value_typeEPNSR_ISM_E10value_typeEPSN_NS1_7vsmem_tEENKUlT_SL_SM_SN_E_clIS8_S8_S9_S9_EESK_S10_SL_SM_SN_EUlS10_E0_NS1_11comp_targetILNS1_3genE10ELNS1_11target_archE1201ELNS1_3gpuE5ELNS1_3repE0EEENS1_38merge_mergepath_config_static_selectorELNS0_4arch9wavefront6targetE1EEEvSM_: ; @_ZN7rocprim17ROCPRIM_400000_NS6detail17trampoline_kernelINS0_14default_configENS1_38merge_sort_block_merge_config_selectorIlNS0_10empty_typeEEEZZNS1_27merge_sort_block_merge_implIS3_PlPS5_mZN2at6native12_GLOBAL__N_124unique_dim_cuda_templateIsEESt5tupleIJNSA_6TensorESF_SF_EERKSF_lbbbEUlllE_EE10hipError_tT0_T1_T2_jT3_P12ihipStream_tbPNSt15iterator_traitsISL_E10value_typeEPNSR_ISM_E10value_typeEPSN_NS1_7vsmem_tEENKUlT_SL_SM_SN_E_clIS8_S8_S9_S9_EESK_S10_SL_SM_SN_EUlS10_E0_NS1_11comp_targetILNS1_3genE10ELNS1_11target_archE1201ELNS1_3gpuE5ELNS1_3repE0EEENS1_38merge_mergepath_config_static_selectorELNS0_4arch9wavefront6targetE1EEEvSM_
; %bb.0:
	.section	.rodata,"a",@progbits
	.p2align	6, 0x0
	.amdhsa_kernel _ZN7rocprim17ROCPRIM_400000_NS6detail17trampoline_kernelINS0_14default_configENS1_38merge_sort_block_merge_config_selectorIlNS0_10empty_typeEEEZZNS1_27merge_sort_block_merge_implIS3_PlPS5_mZN2at6native12_GLOBAL__N_124unique_dim_cuda_templateIsEESt5tupleIJNSA_6TensorESF_SF_EERKSF_lbbbEUlllE_EE10hipError_tT0_T1_T2_jT3_P12ihipStream_tbPNSt15iterator_traitsISL_E10value_typeEPNSR_ISM_E10value_typeEPSN_NS1_7vsmem_tEENKUlT_SL_SM_SN_E_clIS8_S8_S9_S9_EESK_S10_SL_SM_SN_EUlS10_E0_NS1_11comp_targetILNS1_3genE10ELNS1_11target_archE1201ELNS1_3gpuE5ELNS1_3repE0EEENS1_38merge_mergepath_config_static_selectorELNS0_4arch9wavefront6targetE1EEEvSM_
		.amdhsa_group_segment_fixed_size 0
		.amdhsa_private_segment_fixed_size 0
		.amdhsa_kernarg_size 88
		.amdhsa_user_sgpr_count 2
		.amdhsa_user_sgpr_dispatch_ptr 0
		.amdhsa_user_sgpr_queue_ptr 0
		.amdhsa_user_sgpr_kernarg_segment_ptr 1
		.amdhsa_user_sgpr_dispatch_id 0
		.amdhsa_user_sgpr_kernarg_preload_length 0
		.amdhsa_user_sgpr_kernarg_preload_offset 0
		.amdhsa_user_sgpr_private_segment_size 0
		.amdhsa_uses_dynamic_stack 0
		.amdhsa_enable_private_segment 0
		.amdhsa_system_sgpr_workgroup_id_x 1
		.amdhsa_system_sgpr_workgroup_id_y 0
		.amdhsa_system_sgpr_workgroup_id_z 0
		.amdhsa_system_sgpr_workgroup_info 0
		.amdhsa_system_vgpr_workitem_id 0
		.amdhsa_next_free_vgpr 1
		.amdhsa_next_free_sgpr 0
		.amdhsa_accum_offset 4
		.amdhsa_reserve_vcc 0
		.amdhsa_float_round_mode_32 0
		.amdhsa_float_round_mode_16_64 0
		.amdhsa_float_denorm_mode_32 3
		.amdhsa_float_denorm_mode_16_64 3
		.amdhsa_dx10_clamp 1
		.amdhsa_ieee_mode 1
		.amdhsa_fp16_overflow 0
		.amdhsa_tg_split 0
		.amdhsa_exception_fp_ieee_invalid_op 0
		.amdhsa_exception_fp_denorm_src 0
		.amdhsa_exception_fp_ieee_div_zero 0
		.amdhsa_exception_fp_ieee_overflow 0
		.amdhsa_exception_fp_ieee_underflow 0
		.amdhsa_exception_fp_ieee_inexact 0
		.amdhsa_exception_int_div_zero 0
	.end_amdhsa_kernel
	.section	.text._ZN7rocprim17ROCPRIM_400000_NS6detail17trampoline_kernelINS0_14default_configENS1_38merge_sort_block_merge_config_selectorIlNS0_10empty_typeEEEZZNS1_27merge_sort_block_merge_implIS3_PlPS5_mZN2at6native12_GLOBAL__N_124unique_dim_cuda_templateIsEESt5tupleIJNSA_6TensorESF_SF_EERKSF_lbbbEUlllE_EE10hipError_tT0_T1_T2_jT3_P12ihipStream_tbPNSt15iterator_traitsISL_E10value_typeEPNSR_ISM_E10value_typeEPSN_NS1_7vsmem_tEENKUlT_SL_SM_SN_E_clIS8_S8_S9_S9_EESK_S10_SL_SM_SN_EUlS10_E0_NS1_11comp_targetILNS1_3genE10ELNS1_11target_archE1201ELNS1_3gpuE5ELNS1_3repE0EEENS1_38merge_mergepath_config_static_selectorELNS0_4arch9wavefront6targetE1EEEvSM_,"axG",@progbits,_ZN7rocprim17ROCPRIM_400000_NS6detail17trampoline_kernelINS0_14default_configENS1_38merge_sort_block_merge_config_selectorIlNS0_10empty_typeEEEZZNS1_27merge_sort_block_merge_implIS3_PlPS5_mZN2at6native12_GLOBAL__N_124unique_dim_cuda_templateIsEESt5tupleIJNSA_6TensorESF_SF_EERKSF_lbbbEUlllE_EE10hipError_tT0_T1_T2_jT3_P12ihipStream_tbPNSt15iterator_traitsISL_E10value_typeEPNSR_ISM_E10value_typeEPSN_NS1_7vsmem_tEENKUlT_SL_SM_SN_E_clIS8_S8_S9_S9_EESK_S10_SL_SM_SN_EUlS10_E0_NS1_11comp_targetILNS1_3genE10ELNS1_11target_archE1201ELNS1_3gpuE5ELNS1_3repE0EEENS1_38merge_mergepath_config_static_selectorELNS0_4arch9wavefront6targetE1EEEvSM_,comdat
.Lfunc_end645:
	.size	_ZN7rocprim17ROCPRIM_400000_NS6detail17trampoline_kernelINS0_14default_configENS1_38merge_sort_block_merge_config_selectorIlNS0_10empty_typeEEEZZNS1_27merge_sort_block_merge_implIS3_PlPS5_mZN2at6native12_GLOBAL__N_124unique_dim_cuda_templateIsEESt5tupleIJNSA_6TensorESF_SF_EERKSF_lbbbEUlllE_EE10hipError_tT0_T1_T2_jT3_P12ihipStream_tbPNSt15iterator_traitsISL_E10value_typeEPNSR_ISM_E10value_typeEPSN_NS1_7vsmem_tEENKUlT_SL_SM_SN_E_clIS8_S8_S9_S9_EESK_S10_SL_SM_SN_EUlS10_E0_NS1_11comp_targetILNS1_3genE10ELNS1_11target_archE1201ELNS1_3gpuE5ELNS1_3repE0EEENS1_38merge_mergepath_config_static_selectorELNS0_4arch9wavefront6targetE1EEEvSM_, .Lfunc_end645-_ZN7rocprim17ROCPRIM_400000_NS6detail17trampoline_kernelINS0_14default_configENS1_38merge_sort_block_merge_config_selectorIlNS0_10empty_typeEEEZZNS1_27merge_sort_block_merge_implIS3_PlPS5_mZN2at6native12_GLOBAL__N_124unique_dim_cuda_templateIsEESt5tupleIJNSA_6TensorESF_SF_EERKSF_lbbbEUlllE_EE10hipError_tT0_T1_T2_jT3_P12ihipStream_tbPNSt15iterator_traitsISL_E10value_typeEPNSR_ISM_E10value_typeEPSN_NS1_7vsmem_tEENKUlT_SL_SM_SN_E_clIS8_S8_S9_S9_EESK_S10_SL_SM_SN_EUlS10_E0_NS1_11comp_targetILNS1_3genE10ELNS1_11target_archE1201ELNS1_3gpuE5ELNS1_3repE0EEENS1_38merge_mergepath_config_static_selectorELNS0_4arch9wavefront6targetE1EEEvSM_
                                        ; -- End function
	.set _ZN7rocprim17ROCPRIM_400000_NS6detail17trampoline_kernelINS0_14default_configENS1_38merge_sort_block_merge_config_selectorIlNS0_10empty_typeEEEZZNS1_27merge_sort_block_merge_implIS3_PlPS5_mZN2at6native12_GLOBAL__N_124unique_dim_cuda_templateIsEESt5tupleIJNSA_6TensorESF_SF_EERKSF_lbbbEUlllE_EE10hipError_tT0_T1_T2_jT3_P12ihipStream_tbPNSt15iterator_traitsISL_E10value_typeEPNSR_ISM_E10value_typeEPSN_NS1_7vsmem_tEENKUlT_SL_SM_SN_E_clIS8_S8_S9_S9_EESK_S10_SL_SM_SN_EUlS10_E0_NS1_11comp_targetILNS1_3genE10ELNS1_11target_archE1201ELNS1_3gpuE5ELNS1_3repE0EEENS1_38merge_mergepath_config_static_selectorELNS0_4arch9wavefront6targetE1EEEvSM_.num_vgpr, 0
	.set _ZN7rocprim17ROCPRIM_400000_NS6detail17trampoline_kernelINS0_14default_configENS1_38merge_sort_block_merge_config_selectorIlNS0_10empty_typeEEEZZNS1_27merge_sort_block_merge_implIS3_PlPS5_mZN2at6native12_GLOBAL__N_124unique_dim_cuda_templateIsEESt5tupleIJNSA_6TensorESF_SF_EERKSF_lbbbEUlllE_EE10hipError_tT0_T1_T2_jT3_P12ihipStream_tbPNSt15iterator_traitsISL_E10value_typeEPNSR_ISM_E10value_typeEPSN_NS1_7vsmem_tEENKUlT_SL_SM_SN_E_clIS8_S8_S9_S9_EESK_S10_SL_SM_SN_EUlS10_E0_NS1_11comp_targetILNS1_3genE10ELNS1_11target_archE1201ELNS1_3gpuE5ELNS1_3repE0EEENS1_38merge_mergepath_config_static_selectorELNS0_4arch9wavefront6targetE1EEEvSM_.num_agpr, 0
	.set _ZN7rocprim17ROCPRIM_400000_NS6detail17trampoline_kernelINS0_14default_configENS1_38merge_sort_block_merge_config_selectorIlNS0_10empty_typeEEEZZNS1_27merge_sort_block_merge_implIS3_PlPS5_mZN2at6native12_GLOBAL__N_124unique_dim_cuda_templateIsEESt5tupleIJNSA_6TensorESF_SF_EERKSF_lbbbEUlllE_EE10hipError_tT0_T1_T2_jT3_P12ihipStream_tbPNSt15iterator_traitsISL_E10value_typeEPNSR_ISM_E10value_typeEPSN_NS1_7vsmem_tEENKUlT_SL_SM_SN_E_clIS8_S8_S9_S9_EESK_S10_SL_SM_SN_EUlS10_E0_NS1_11comp_targetILNS1_3genE10ELNS1_11target_archE1201ELNS1_3gpuE5ELNS1_3repE0EEENS1_38merge_mergepath_config_static_selectorELNS0_4arch9wavefront6targetE1EEEvSM_.numbered_sgpr, 0
	.set _ZN7rocprim17ROCPRIM_400000_NS6detail17trampoline_kernelINS0_14default_configENS1_38merge_sort_block_merge_config_selectorIlNS0_10empty_typeEEEZZNS1_27merge_sort_block_merge_implIS3_PlPS5_mZN2at6native12_GLOBAL__N_124unique_dim_cuda_templateIsEESt5tupleIJNSA_6TensorESF_SF_EERKSF_lbbbEUlllE_EE10hipError_tT0_T1_T2_jT3_P12ihipStream_tbPNSt15iterator_traitsISL_E10value_typeEPNSR_ISM_E10value_typeEPSN_NS1_7vsmem_tEENKUlT_SL_SM_SN_E_clIS8_S8_S9_S9_EESK_S10_SL_SM_SN_EUlS10_E0_NS1_11comp_targetILNS1_3genE10ELNS1_11target_archE1201ELNS1_3gpuE5ELNS1_3repE0EEENS1_38merge_mergepath_config_static_selectorELNS0_4arch9wavefront6targetE1EEEvSM_.num_named_barrier, 0
	.set _ZN7rocprim17ROCPRIM_400000_NS6detail17trampoline_kernelINS0_14default_configENS1_38merge_sort_block_merge_config_selectorIlNS0_10empty_typeEEEZZNS1_27merge_sort_block_merge_implIS3_PlPS5_mZN2at6native12_GLOBAL__N_124unique_dim_cuda_templateIsEESt5tupleIJNSA_6TensorESF_SF_EERKSF_lbbbEUlllE_EE10hipError_tT0_T1_T2_jT3_P12ihipStream_tbPNSt15iterator_traitsISL_E10value_typeEPNSR_ISM_E10value_typeEPSN_NS1_7vsmem_tEENKUlT_SL_SM_SN_E_clIS8_S8_S9_S9_EESK_S10_SL_SM_SN_EUlS10_E0_NS1_11comp_targetILNS1_3genE10ELNS1_11target_archE1201ELNS1_3gpuE5ELNS1_3repE0EEENS1_38merge_mergepath_config_static_selectorELNS0_4arch9wavefront6targetE1EEEvSM_.private_seg_size, 0
	.set _ZN7rocprim17ROCPRIM_400000_NS6detail17trampoline_kernelINS0_14default_configENS1_38merge_sort_block_merge_config_selectorIlNS0_10empty_typeEEEZZNS1_27merge_sort_block_merge_implIS3_PlPS5_mZN2at6native12_GLOBAL__N_124unique_dim_cuda_templateIsEESt5tupleIJNSA_6TensorESF_SF_EERKSF_lbbbEUlllE_EE10hipError_tT0_T1_T2_jT3_P12ihipStream_tbPNSt15iterator_traitsISL_E10value_typeEPNSR_ISM_E10value_typeEPSN_NS1_7vsmem_tEENKUlT_SL_SM_SN_E_clIS8_S8_S9_S9_EESK_S10_SL_SM_SN_EUlS10_E0_NS1_11comp_targetILNS1_3genE10ELNS1_11target_archE1201ELNS1_3gpuE5ELNS1_3repE0EEENS1_38merge_mergepath_config_static_selectorELNS0_4arch9wavefront6targetE1EEEvSM_.uses_vcc, 0
	.set _ZN7rocprim17ROCPRIM_400000_NS6detail17trampoline_kernelINS0_14default_configENS1_38merge_sort_block_merge_config_selectorIlNS0_10empty_typeEEEZZNS1_27merge_sort_block_merge_implIS3_PlPS5_mZN2at6native12_GLOBAL__N_124unique_dim_cuda_templateIsEESt5tupleIJNSA_6TensorESF_SF_EERKSF_lbbbEUlllE_EE10hipError_tT0_T1_T2_jT3_P12ihipStream_tbPNSt15iterator_traitsISL_E10value_typeEPNSR_ISM_E10value_typeEPSN_NS1_7vsmem_tEENKUlT_SL_SM_SN_E_clIS8_S8_S9_S9_EESK_S10_SL_SM_SN_EUlS10_E0_NS1_11comp_targetILNS1_3genE10ELNS1_11target_archE1201ELNS1_3gpuE5ELNS1_3repE0EEENS1_38merge_mergepath_config_static_selectorELNS0_4arch9wavefront6targetE1EEEvSM_.uses_flat_scratch, 0
	.set _ZN7rocprim17ROCPRIM_400000_NS6detail17trampoline_kernelINS0_14default_configENS1_38merge_sort_block_merge_config_selectorIlNS0_10empty_typeEEEZZNS1_27merge_sort_block_merge_implIS3_PlPS5_mZN2at6native12_GLOBAL__N_124unique_dim_cuda_templateIsEESt5tupleIJNSA_6TensorESF_SF_EERKSF_lbbbEUlllE_EE10hipError_tT0_T1_T2_jT3_P12ihipStream_tbPNSt15iterator_traitsISL_E10value_typeEPNSR_ISM_E10value_typeEPSN_NS1_7vsmem_tEENKUlT_SL_SM_SN_E_clIS8_S8_S9_S9_EESK_S10_SL_SM_SN_EUlS10_E0_NS1_11comp_targetILNS1_3genE10ELNS1_11target_archE1201ELNS1_3gpuE5ELNS1_3repE0EEENS1_38merge_mergepath_config_static_selectorELNS0_4arch9wavefront6targetE1EEEvSM_.has_dyn_sized_stack, 0
	.set _ZN7rocprim17ROCPRIM_400000_NS6detail17trampoline_kernelINS0_14default_configENS1_38merge_sort_block_merge_config_selectorIlNS0_10empty_typeEEEZZNS1_27merge_sort_block_merge_implIS3_PlPS5_mZN2at6native12_GLOBAL__N_124unique_dim_cuda_templateIsEESt5tupleIJNSA_6TensorESF_SF_EERKSF_lbbbEUlllE_EE10hipError_tT0_T1_T2_jT3_P12ihipStream_tbPNSt15iterator_traitsISL_E10value_typeEPNSR_ISM_E10value_typeEPSN_NS1_7vsmem_tEENKUlT_SL_SM_SN_E_clIS8_S8_S9_S9_EESK_S10_SL_SM_SN_EUlS10_E0_NS1_11comp_targetILNS1_3genE10ELNS1_11target_archE1201ELNS1_3gpuE5ELNS1_3repE0EEENS1_38merge_mergepath_config_static_selectorELNS0_4arch9wavefront6targetE1EEEvSM_.has_recursion, 0
	.set _ZN7rocprim17ROCPRIM_400000_NS6detail17trampoline_kernelINS0_14default_configENS1_38merge_sort_block_merge_config_selectorIlNS0_10empty_typeEEEZZNS1_27merge_sort_block_merge_implIS3_PlPS5_mZN2at6native12_GLOBAL__N_124unique_dim_cuda_templateIsEESt5tupleIJNSA_6TensorESF_SF_EERKSF_lbbbEUlllE_EE10hipError_tT0_T1_T2_jT3_P12ihipStream_tbPNSt15iterator_traitsISL_E10value_typeEPNSR_ISM_E10value_typeEPSN_NS1_7vsmem_tEENKUlT_SL_SM_SN_E_clIS8_S8_S9_S9_EESK_S10_SL_SM_SN_EUlS10_E0_NS1_11comp_targetILNS1_3genE10ELNS1_11target_archE1201ELNS1_3gpuE5ELNS1_3repE0EEENS1_38merge_mergepath_config_static_selectorELNS0_4arch9wavefront6targetE1EEEvSM_.has_indirect_call, 0
	.section	.AMDGPU.csdata,"",@progbits
; Kernel info:
; codeLenInByte = 0
; TotalNumSgprs: 6
; NumVgprs: 0
; NumAgprs: 0
; TotalNumVgprs: 0
; ScratchSize: 0
; MemoryBound: 0
; FloatMode: 240
; IeeeMode: 1
; LDSByteSize: 0 bytes/workgroup (compile time only)
; SGPRBlocks: 0
; VGPRBlocks: 0
; NumSGPRsForWavesPerEU: 6
; NumVGPRsForWavesPerEU: 1
; AccumOffset: 4
; Occupancy: 8
; WaveLimiterHint : 0
; COMPUTE_PGM_RSRC2:SCRATCH_EN: 0
; COMPUTE_PGM_RSRC2:USER_SGPR: 2
; COMPUTE_PGM_RSRC2:TRAP_HANDLER: 0
; COMPUTE_PGM_RSRC2:TGID_X_EN: 1
; COMPUTE_PGM_RSRC2:TGID_Y_EN: 0
; COMPUTE_PGM_RSRC2:TGID_Z_EN: 0
; COMPUTE_PGM_RSRC2:TIDIG_COMP_CNT: 0
; COMPUTE_PGM_RSRC3_GFX90A:ACCUM_OFFSET: 0
; COMPUTE_PGM_RSRC3_GFX90A:TG_SPLIT: 0
	.section	.text._ZN7rocprim17ROCPRIM_400000_NS6detail17trampoline_kernelINS0_14default_configENS1_38merge_sort_block_merge_config_selectorIlNS0_10empty_typeEEEZZNS1_27merge_sort_block_merge_implIS3_PlPS5_mZN2at6native12_GLOBAL__N_124unique_dim_cuda_templateIsEESt5tupleIJNSA_6TensorESF_SF_EERKSF_lbbbEUlllE_EE10hipError_tT0_T1_T2_jT3_P12ihipStream_tbPNSt15iterator_traitsISL_E10value_typeEPNSR_ISM_E10value_typeEPSN_NS1_7vsmem_tEENKUlT_SL_SM_SN_E_clIS8_S8_S9_S9_EESK_S10_SL_SM_SN_EUlS10_E0_NS1_11comp_targetILNS1_3genE5ELNS1_11target_archE942ELNS1_3gpuE9ELNS1_3repE0EEENS1_38merge_mergepath_config_static_selectorELNS0_4arch9wavefront6targetE1EEEvSM_,"axG",@progbits,_ZN7rocprim17ROCPRIM_400000_NS6detail17trampoline_kernelINS0_14default_configENS1_38merge_sort_block_merge_config_selectorIlNS0_10empty_typeEEEZZNS1_27merge_sort_block_merge_implIS3_PlPS5_mZN2at6native12_GLOBAL__N_124unique_dim_cuda_templateIsEESt5tupleIJNSA_6TensorESF_SF_EERKSF_lbbbEUlllE_EE10hipError_tT0_T1_T2_jT3_P12ihipStream_tbPNSt15iterator_traitsISL_E10value_typeEPNSR_ISM_E10value_typeEPSN_NS1_7vsmem_tEENKUlT_SL_SM_SN_E_clIS8_S8_S9_S9_EESK_S10_SL_SM_SN_EUlS10_E0_NS1_11comp_targetILNS1_3genE5ELNS1_11target_archE942ELNS1_3gpuE9ELNS1_3repE0EEENS1_38merge_mergepath_config_static_selectorELNS0_4arch9wavefront6targetE1EEEvSM_,comdat
	.globl	_ZN7rocprim17ROCPRIM_400000_NS6detail17trampoline_kernelINS0_14default_configENS1_38merge_sort_block_merge_config_selectorIlNS0_10empty_typeEEEZZNS1_27merge_sort_block_merge_implIS3_PlPS5_mZN2at6native12_GLOBAL__N_124unique_dim_cuda_templateIsEESt5tupleIJNSA_6TensorESF_SF_EERKSF_lbbbEUlllE_EE10hipError_tT0_T1_T2_jT3_P12ihipStream_tbPNSt15iterator_traitsISL_E10value_typeEPNSR_ISM_E10value_typeEPSN_NS1_7vsmem_tEENKUlT_SL_SM_SN_E_clIS8_S8_S9_S9_EESK_S10_SL_SM_SN_EUlS10_E0_NS1_11comp_targetILNS1_3genE5ELNS1_11target_archE942ELNS1_3gpuE9ELNS1_3repE0EEENS1_38merge_mergepath_config_static_selectorELNS0_4arch9wavefront6targetE1EEEvSM_ ; -- Begin function _ZN7rocprim17ROCPRIM_400000_NS6detail17trampoline_kernelINS0_14default_configENS1_38merge_sort_block_merge_config_selectorIlNS0_10empty_typeEEEZZNS1_27merge_sort_block_merge_implIS3_PlPS5_mZN2at6native12_GLOBAL__N_124unique_dim_cuda_templateIsEESt5tupleIJNSA_6TensorESF_SF_EERKSF_lbbbEUlllE_EE10hipError_tT0_T1_T2_jT3_P12ihipStream_tbPNSt15iterator_traitsISL_E10value_typeEPNSR_ISM_E10value_typeEPSN_NS1_7vsmem_tEENKUlT_SL_SM_SN_E_clIS8_S8_S9_S9_EESK_S10_SL_SM_SN_EUlS10_E0_NS1_11comp_targetILNS1_3genE5ELNS1_11target_archE942ELNS1_3gpuE9ELNS1_3repE0EEENS1_38merge_mergepath_config_static_selectorELNS0_4arch9wavefront6targetE1EEEvSM_
	.p2align	8
	.type	_ZN7rocprim17ROCPRIM_400000_NS6detail17trampoline_kernelINS0_14default_configENS1_38merge_sort_block_merge_config_selectorIlNS0_10empty_typeEEEZZNS1_27merge_sort_block_merge_implIS3_PlPS5_mZN2at6native12_GLOBAL__N_124unique_dim_cuda_templateIsEESt5tupleIJNSA_6TensorESF_SF_EERKSF_lbbbEUlllE_EE10hipError_tT0_T1_T2_jT3_P12ihipStream_tbPNSt15iterator_traitsISL_E10value_typeEPNSR_ISM_E10value_typeEPSN_NS1_7vsmem_tEENKUlT_SL_SM_SN_E_clIS8_S8_S9_S9_EESK_S10_SL_SM_SN_EUlS10_E0_NS1_11comp_targetILNS1_3genE5ELNS1_11target_archE942ELNS1_3gpuE9ELNS1_3repE0EEENS1_38merge_mergepath_config_static_selectorELNS0_4arch9wavefront6targetE1EEEvSM_,@function
_ZN7rocprim17ROCPRIM_400000_NS6detail17trampoline_kernelINS0_14default_configENS1_38merge_sort_block_merge_config_selectorIlNS0_10empty_typeEEEZZNS1_27merge_sort_block_merge_implIS3_PlPS5_mZN2at6native12_GLOBAL__N_124unique_dim_cuda_templateIsEESt5tupleIJNSA_6TensorESF_SF_EERKSF_lbbbEUlllE_EE10hipError_tT0_T1_T2_jT3_P12ihipStream_tbPNSt15iterator_traitsISL_E10value_typeEPNSR_ISM_E10value_typeEPSN_NS1_7vsmem_tEENKUlT_SL_SM_SN_E_clIS8_S8_S9_S9_EESK_S10_SL_SM_SN_EUlS10_E0_NS1_11comp_targetILNS1_3genE5ELNS1_11target_archE942ELNS1_3gpuE9ELNS1_3repE0EEENS1_38merge_mergepath_config_static_selectorELNS0_4arch9wavefront6targetE1EEEvSM_: ; @_ZN7rocprim17ROCPRIM_400000_NS6detail17trampoline_kernelINS0_14default_configENS1_38merge_sort_block_merge_config_selectorIlNS0_10empty_typeEEEZZNS1_27merge_sort_block_merge_implIS3_PlPS5_mZN2at6native12_GLOBAL__N_124unique_dim_cuda_templateIsEESt5tupleIJNSA_6TensorESF_SF_EERKSF_lbbbEUlllE_EE10hipError_tT0_T1_T2_jT3_P12ihipStream_tbPNSt15iterator_traitsISL_E10value_typeEPNSR_ISM_E10value_typeEPSN_NS1_7vsmem_tEENKUlT_SL_SM_SN_E_clIS8_S8_S9_S9_EESK_S10_SL_SM_SN_EUlS10_E0_NS1_11comp_targetILNS1_3genE5ELNS1_11target_archE942ELNS1_3gpuE9ELNS1_3repE0EEENS1_38merge_mergepath_config_static_selectorELNS0_4arch9wavefront6targetE1EEEvSM_
; %bb.0:
	.section	.rodata,"a",@progbits
	.p2align	6, 0x0
	.amdhsa_kernel _ZN7rocprim17ROCPRIM_400000_NS6detail17trampoline_kernelINS0_14default_configENS1_38merge_sort_block_merge_config_selectorIlNS0_10empty_typeEEEZZNS1_27merge_sort_block_merge_implIS3_PlPS5_mZN2at6native12_GLOBAL__N_124unique_dim_cuda_templateIsEESt5tupleIJNSA_6TensorESF_SF_EERKSF_lbbbEUlllE_EE10hipError_tT0_T1_T2_jT3_P12ihipStream_tbPNSt15iterator_traitsISL_E10value_typeEPNSR_ISM_E10value_typeEPSN_NS1_7vsmem_tEENKUlT_SL_SM_SN_E_clIS8_S8_S9_S9_EESK_S10_SL_SM_SN_EUlS10_E0_NS1_11comp_targetILNS1_3genE5ELNS1_11target_archE942ELNS1_3gpuE9ELNS1_3repE0EEENS1_38merge_mergepath_config_static_selectorELNS0_4arch9wavefront6targetE1EEEvSM_
		.amdhsa_group_segment_fixed_size 0
		.amdhsa_private_segment_fixed_size 0
		.amdhsa_kernarg_size 88
		.amdhsa_user_sgpr_count 2
		.amdhsa_user_sgpr_dispatch_ptr 0
		.amdhsa_user_sgpr_queue_ptr 0
		.amdhsa_user_sgpr_kernarg_segment_ptr 1
		.amdhsa_user_sgpr_dispatch_id 0
		.amdhsa_user_sgpr_kernarg_preload_length 0
		.amdhsa_user_sgpr_kernarg_preload_offset 0
		.amdhsa_user_sgpr_private_segment_size 0
		.amdhsa_uses_dynamic_stack 0
		.amdhsa_enable_private_segment 0
		.amdhsa_system_sgpr_workgroup_id_x 1
		.amdhsa_system_sgpr_workgroup_id_y 0
		.amdhsa_system_sgpr_workgroup_id_z 0
		.amdhsa_system_sgpr_workgroup_info 0
		.amdhsa_system_vgpr_workitem_id 0
		.amdhsa_next_free_vgpr 1
		.amdhsa_next_free_sgpr 0
		.amdhsa_accum_offset 4
		.amdhsa_reserve_vcc 0
		.amdhsa_float_round_mode_32 0
		.amdhsa_float_round_mode_16_64 0
		.amdhsa_float_denorm_mode_32 3
		.amdhsa_float_denorm_mode_16_64 3
		.amdhsa_dx10_clamp 1
		.amdhsa_ieee_mode 1
		.amdhsa_fp16_overflow 0
		.amdhsa_tg_split 0
		.amdhsa_exception_fp_ieee_invalid_op 0
		.amdhsa_exception_fp_denorm_src 0
		.amdhsa_exception_fp_ieee_div_zero 0
		.amdhsa_exception_fp_ieee_overflow 0
		.amdhsa_exception_fp_ieee_underflow 0
		.amdhsa_exception_fp_ieee_inexact 0
		.amdhsa_exception_int_div_zero 0
	.end_amdhsa_kernel
	.section	.text._ZN7rocprim17ROCPRIM_400000_NS6detail17trampoline_kernelINS0_14default_configENS1_38merge_sort_block_merge_config_selectorIlNS0_10empty_typeEEEZZNS1_27merge_sort_block_merge_implIS3_PlPS5_mZN2at6native12_GLOBAL__N_124unique_dim_cuda_templateIsEESt5tupleIJNSA_6TensorESF_SF_EERKSF_lbbbEUlllE_EE10hipError_tT0_T1_T2_jT3_P12ihipStream_tbPNSt15iterator_traitsISL_E10value_typeEPNSR_ISM_E10value_typeEPSN_NS1_7vsmem_tEENKUlT_SL_SM_SN_E_clIS8_S8_S9_S9_EESK_S10_SL_SM_SN_EUlS10_E0_NS1_11comp_targetILNS1_3genE5ELNS1_11target_archE942ELNS1_3gpuE9ELNS1_3repE0EEENS1_38merge_mergepath_config_static_selectorELNS0_4arch9wavefront6targetE1EEEvSM_,"axG",@progbits,_ZN7rocprim17ROCPRIM_400000_NS6detail17trampoline_kernelINS0_14default_configENS1_38merge_sort_block_merge_config_selectorIlNS0_10empty_typeEEEZZNS1_27merge_sort_block_merge_implIS3_PlPS5_mZN2at6native12_GLOBAL__N_124unique_dim_cuda_templateIsEESt5tupleIJNSA_6TensorESF_SF_EERKSF_lbbbEUlllE_EE10hipError_tT0_T1_T2_jT3_P12ihipStream_tbPNSt15iterator_traitsISL_E10value_typeEPNSR_ISM_E10value_typeEPSN_NS1_7vsmem_tEENKUlT_SL_SM_SN_E_clIS8_S8_S9_S9_EESK_S10_SL_SM_SN_EUlS10_E0_NS1_11comp_targetILNS1_3genE5ELNS1_11target_archE942ELNS1_3gpuE9ELNS1_3repE0EEENS1_38merge_mergepath_config_static_selectorELNS0_4arch9wavefront6targetE1EEEvSM_,comdat
.Lfunc_end646:
	.size	_ZN7rocprim17ROCPRIM_400000_NS6detail17trampoline_kernelINS0_14default_configENS1_38merge_sort_block_merge_config_selectorIlNS0_10empty_typeEEEZZNS1_27merge_sort_block_merge_implIS3_PlPS5_mZN2at6native12_GLOBAL__N_124unique_dim_cuda_templateIsEESt5tupleIJNSA_6TensorESF_SF_EERKSF_lbbbEUlllE_EE10hipError_tT0_T1_T2_jT3_P12ihipStream_tbPNSt15iterator_traitsISL_E10value_typeEPNSR_ISM_E10value_typeEPSN_NS1_7vsmem_tEENKUlT_SL_SM_SN_E_clIS8_S8_S9_S9_EESK_S10_SL_SM_SN_EUlS10_E0_NS1_11comp_targetILNS1_3genE5ELNS1_11target_archE942ELNS1_3gpuE9ELNS1_3repE0EEENS1_38merge_mergepath_config_static_selectorELNS0_4arch9wavefront6targetE1EEEvSM_, .Lfunc_end646-_ZN7rocprim17ROCPRIM_400000_NS6detail17trampoline_kernelINS0_14default_configENS1_38merge_sort_block_merge_config_selectorIlNS0_10empty_typeEEEZZNS1_27merge_sort_block_merge_implIS3_PlPS5_mZN2at6native12_GLOBAL__N_124unique_dim_cuda_templateIsEESt5tupleIJNSA_6TensorESF_SF_EERKSF_lbbbEUlllE_EE10hipError_tT0_T1_T2_jT3_P12ihipStream_tbPNSt15iterator_traitsISL_E10value_typeEPNSR_ISM_E10value_typeEPSN_NS1_7vsmem_tEENKUlT_SL_SM_SN_E_clIS8_S8_S9_S9_EESK_S10_SL_SM_SN_EUlS10_E0_NS1_11comp_targetILNS1_3genE5ELNS1_11target_archE942ELNS1_3gpuE9ELNS1_3repE0EEENS1_38merge_mergepath_config_static_selectorELNS0_4arch9wavefront6targetE1EEEvSM_
                                        ; -- End function
	.set _ZN7rocprim17ROCPRIM_400000_NS6detail17trampoline_kernelINS0_14default_configENS1_38merge_sort_block_merge_config_selectorIlNS0_10empty_typeEEEZZNS1_27merge_sort_block_merge_implIS3_PlPS5_mZN2at6native12_GLOBAL__N_124unique_dim_cuda_templateIsEESt5tupleIJNSA_6TensorESF_SF_EERKSF_lbbbEUlllE_EE10hipError_tT0_T1_T2_jT3_P12ihipStream_tbPNSt15iterator_traitsISL_E10value_typeEPNSR_ISM_E10value_typeEPSN_NS1_7vsmem_tEENKUlT_SL_SM_SN_E_clIS8_S8_S9_S9_EESK_S10_SL_SM_SN_EUlS10_E0_NS1_11comp_targetILNS1_3genE5ELNS1_11target_archE942ELNS1_3gpuE9ELNS1_3repE0EEENS1_38merge_mergepath_config_static_selectorELNS0_4arch9wavefront6targetE1EEEvSM_.num_vgpr, 0
	.set _ZN7rocprim17ROCPRIM_400000_NS6detail17trampoline_kernelINS0_14default_configENS1_38merge_sort_block_merge_config_selectorIlNS0_10empty_typeEEEZZNS1_27merge_sort_block_merge_implIS3_PlPS5_mZN2at6native12_GLOBAL__N_124unique_dim_cuda_templateIsEESt5tupleIJNSA_6TensorESF_SF_EERKSF_lbbbEUlllE_EE10hipError_tT0_T1_T2_jT3_P12ihipStream_tbPNSt15iterator_traitsISL_E10value_typeEPNSR_ISM_E10value_typeEPSN_NS1_7vsmem_tEENKUlT_SL_SM_SN_E_clIS8_S8_S9_S9_EESK_S10_SL_SM_SN_EUlS10_E0_NS1_11comp_targetILNS1_3genE5ELNS1_11target_archE942ELNS1_3gpuE9ELNS1_3repE0EEENS1_38merge_mergepath_config_static_selectorELNS0_4arch9wavefront6targetE1EEEvSM_.num_agpr, 0
	.set _ZN7rocprim17ROCPRIM_400000_NS6detail17trampoline_kernelINS0_14default_configENS1_38merge_sort_block_merge_config_selectorIlNS0_10empty_typeEEEZZNS1_27merge_sort_block_merge_implIS3_PlPS5_mZN2at6native12_GLOBAL__N_124unique_dim_cuda_templateIsEESt5tupleIJNSA_6TensorESF_SF_EERKSF_lbbbEUlllE_EE10hipError_tT0_T1_T2_jT3_P12ihipStream_tbPNSt15iterator_traitsISL_E10value_typeEPNSR_ISM_E10value_typeEPSN_NS1_7vsmem_tEENKUlT_SL_SM_SN_E_clIS8_S8_S9_S9_EESK_S10_SL_SM_SN_EUlS10_E0_NS1_11comp_targetILNS1_3genE5ELNS1_11target_archE942ELNS1_3gpuE9ELNS1_3repE0EEENS1_38merge_mergepath_config_static_selectorELNS0_4arch9wavefront6targetE1EEEvSM_.numbered_sgpr, 0
	.set _ZN7rocprim17ROCPRIM_400000_NS6detail17trampoline_kernelINS0_14default_configENS1_38merge_sort_block_merge_config_selectorIlNS0_10empty_typeEEEZZNS1_27merge_sort_block_merge_implIS3_PlPS5_mZN2at6native12_GLOBAL__N_124unique_dim_cuda_templateIsEESt5tupleIJNSA_6TensorESF_SF_EERKSF_lbbbEUlllE_EE10hipError_tT0_T1_T2_jT3_P12ihipStream_tbPNSt15iterator_traitsISL_E10value_typeEPNSR_ISM_E10value_typeEPSN_NS1_7vsmem_tEENKUlT_SL_SM_SN_E_clIS8_S8_S9_S9_EESK_S10_SL_SM_SN_EUlS10_E0_NS1_11comp_targetILNS1_3genE5ELNS1_11target_archE942ELNS1_3gpuE9ELNS1_3repE0EEENS1_38merge_mergepath_config_static_selectorELNS0_4arch9wavefront6targetE1EEEvSM_.num_named_barrier, 0
	.set _ZN7rocprim17ROCPRIM_400000_NS6detail17trampoline_kernelINS0_14default_configENS1_38merge_sort_block_merge_config_selectorIlNS0_10empty_typeEEEZZNS1_27merge_sort_block_merge_implIS3_PlPS5_mZN2at6native12_GLOBAL__N_124unique_dim_cuda_templateIsEESt5tupleIJNSA_6TensorESF_SF_EERKSF_lbbbEUlllE_EE10hipError_tT0_T1_T2_jT3_P12ihipStream_tbPNSt15iterator_traitsISL_E10value_typeEPNSR_ISM_E10value_typeEPSN_NS1_7vsmem_tEENKUlT_SL_SM_SN_E_clIS8_S8_S9_S9_EESK_S10_SL_SM_SN_EUlS10_E0_NS1_11comp_targetILNS1_3genE5ELNS1_11target_archE942ELNS1_3gpuE9ELNS1_3repE0EEENS1_38merge_mergepath_config_static_selectorELNS0_4arch9wavefront6targetE1EEEvSM_.private_seg_size, 0
	.set _ZN7rocprim17ROCPRIM_400000_NS6detail17trampoline_kernelINS0_14default_configENS1_38merge_sort_block_merge_config_selectorIlNS0_10empty_typeEEEZZNS1_27merge_sort_block_merge_implIS3_PlPS5_mZN2at6native12_GLOBAL__N_124unique_dim_cuda_templateIsEESt5tupleIJNSA_6TensorESF_SF_EERKSF_lbbbEUlllE_EE10hipError_tT0_T1_T2_jT3_P12ihipStream_tbPNSt15iterator_traitsISL_E10value_typeEPNSR_ISM_E10value_typeEPSN_NS1_7vsmem_tEENKUlT_SL_SM_SN_E_clIS8_S8_S9_S9_EESK_S10_SL_SM_SN_EUlS10_E0_NS1_11comp_targetILNS1_3genE5ELNS1_11target_archE942ELNS1_3gpuE9ELNS1_3repE0EEENS1_38merge_mergepath_config_static_selectorELNS0_4arch9wavefront6targetE1EEEvSM_.uses_vcc, 0
	.set _ZN7rocprim17ROCPRIM_400000_NS6detail17trampoline_kernelINS0_14default_configENS1_38merge_sort_block_merge_config_selectorIlNS0_10empty_typeEEEZZNS1_27merge_sort_block_merge_implIS3_PlPS5_mZN2at6native12_GLOBAL__N_124unique_dim_cuda_templateIsEESt5tupleIJNSA_6TensorESF_SF_EERKSF_lbbbEUlllE_EE10hipError_tT0_T1_T2_jT3_P12ihipStream_tbPNSt15iterator_traitsISL_E10value_typeEPNSR_ISM_E10value_typeEPSN_NS1_7vsmem_tEENKUlT_SL_SM_SN_E_clIS8_S8_S9_S9_EESK_S10_SL_SM_SN_EUlS10_E0_NS1_11comp_targetILNS1_3genE5ELNS1_11target_archE942ELNS1_3gpuE9ELNS1_3repE0EEENS1_38merge_mergepath_config_static_selectorELNS0_4arch9wavefront6targetE1EEEvSM_.uses_flat_scratch, 0
	.set _ZN7rocprim17ROCPRIM_400000_NS6detail17trampoline_kernelINS0_14default_configENS1_38merge_sort_block_merge_config_selectorIlNS0_10empty_typeEEEZZNS1_27merge_sort_block_merge_implIS3_PlPS5_mZN2at6native12_GLOBAL__N_124unique_dim_cuda_templateIsEESt5tupleIJNSA_6TensorESF_SF_EERKSF_lbbbEUlllE_EE10hipError_tT0_T1_T2_jT3_P12ihipStream_tbPNSt15iterator_traitsISL_E10value_typeEPNSR_ISM_E10value_typeEPSN_NS1_7vsmem_tEENKUlT_SL_SM_SN_E_clIS8_S8_S9_S9_EESK_S10_SL_SM_SN_EUlS10_E0_NS1_11comp_targetILNS1_3genE5ELNS1_11target_archE942ELNS1_3gpuE9ELNS1_3repE0EEENS1_38merge_mergepath_config_static_selectorELNS0_4arch9wavefront6targetE1EEEvSM_.has_dyn_sized_stack, 0
	.set _ZN7rocprim17ROCPRIM_400000_NS6detail17trampoline_kernelINS0_14default_configENS1_38merge_sort_block_merge_config_selectorIlNS0_10empty_typeEEEZZNS1_27merge_sort_block_merge_implIS3_PlPS5_mZN2at6native12_GLOBAL__N_124unique_dim_cuda_templateIsEESt5tupleIJNSA_6TensorESF_SF_EERKSF_lbbbEUlllE_EE10hipError_tT0_T1_T2_jT3_P12ihipStream_tbPNSt15iterator_traitsISL_E10value_typeEPNSR_ISM_E10value_typeEPSN_NS1_7vsmem_tEENKUlT_SL_SM_SN_E_clIS8_S8_S9_S9_EESK_S10_SL_SM_SN_EUlS10_E0_NS1_11comp_targetILNS1_3genE5ELNS1_11target_archE942ELNS1_3gpuE9ELNS1_3repE0EEENS1_38merge_mergepath_config_static_selectorELNS0_4arch9wavefront6targetE1EEEvSM_.has_recursion, 0
	.set _ZN7rocprim17ROCPRIM_400000_NS6detail17trampoline_kernelINS0_14default_configENS1_38merge_sort_block_merge_config_selectorIlNS0_10empty_typeEEEZZNS1_27merge_sort_block_merge_implIS3_PlPS5_mZN2at6native12_GLOBAL__N_124unique_dim_cuda_templateIsEESt5tupleIJNSA_6TensorESF_SF_EERKSF_lbbbEUlllE_EE10hipError_tT0_T1_T2_jT3_P12ihipStream_tbPNSt15iterator_traitsISL_E10value_typeEPNSR_ISM_E10value_typeEPSN_NS1_7vsmem_tEENKUlT_SL_SM_SN_E_clIS8_S8_S9_S9_EESK_S10_SL_SM_SN_EUlS10_E0_NS1_11comp_targetILNS1_3genE5ELNS1_11target_archE942ELNS1_3gpuE9ELNS1_3repE0EEENS1_38merge_mergepath_config_static_selectorELNS0_4arch9wavefront6targetE1EEEvSM_.has_indirect_call, 0
	.section	.AMDGPU.csdata,"",@progbits
; Kernel info:
; codeLenInByte = 0
; TotalNumSgprs: 6
; NumVgprs: 0
; NumAgprs: 0
; TotalNumVgprs: 0
; ScratchSize: 0
; MemoryBound: 0
; FloatMode: 240
; IeeeMode: 1
; LDSByteSize: 0 bytes/workgroup (compile time only)
; SGPRBlocks: 0
; VGPRBlocks: 0
; NumSGPRsForWavesPerEU: 6
; NumVGPRsForWavesPerEU: 1
; AccumOffset: 4
; Occupancy: 8
; WaveLimiterHint : 0
; COMPUTE_PGM_RSRC2:SCRATCH_EN: 0
; COMPUTE_PGM_RSRC2:USER_SGPR: 2
; COMPUTE_PGM_RSRC2:TRAP_HANDLER: 0
; COMPUTE_PGM_RSRC2:TGID_X_EN: 1
; COMPUTE_PGM_RSRC2:TGID_Y_EN: 0
; COMPUTE_PGM_RSRC2:TGID_Z_EN: 0
; COMPUTE_PGM_RSRC2:TIDIG_COMP_CNT: 0
; COMPUTE_PGM_RSRC3_GFX90A:ACCUM_OFFSET: 0
; COMPUTE_PGM_RSRC3_GFX90A:TG_SPLIT: 0
	.section	.text._ZN7rocprim17ROCPRIM_400000_NS6detail17trampoline_kernelINS0_14default_configENS1_38merge_sort_block_merge_config_selectorIlNS0_10empty_typeEEEZZNS1_27merge_sort_block_merge_implIS3_PlPS5_mZN2at6native12_GLOBAL__N_124unique_dim_cuda_templateIsEESt5tupleIJNSA_6TensorESF_SF_EERKSF_lbbbEUlllE_EE10hipError_tT0_T1_T2_jT3_P12ihipStream_tbPNSt15iterator_traitsISL_E10value_typeEPNSR_ISM_E10value_typeEPSN_NS1_7vsmem_tEENKUlT_SL_SM_SN_E_clIS8_S8_S9_S9_EESK_S10_SL_SM_SN_EUlS10_E0_NS1_11comp_targetILNS1_3genE4ELNS1_11target_archE910ELNS1_3gpuE8ELNS1_3repE0EEENS1_38merge_mergepath_config_static_selectorELNS0_4arch9wavefront6targetE1EEEvSM_,"axG",@progbits,_ZN7rocprim17ROCPRIM_400000_NS6detail17trampoline_kernelINS0_14default_configENS1_38merge_sort_block_merge_config_selectorIlNS0_10empty_typeEEEZZNS1_27merge_sort_block_merge_implIS3_PlPS5_mZN2at6native12_GLOBAL__N_124unique_dim_cuda_templateIsEESt5tupleIJNSA_6TensorESF_SF_EERKSF_lbbbEUlllE_EE10hipError_tT0_T1_T2_jT3_P12ihipStream_tbPNSt15iterator_traitsISL_E10value_typeEPNSR_ISM_E10value_typeEPSN_NS1_7vsmem_tEENKUlT_SL_SM_SN_E_clIS8_S8_S9_S9_EESK_S10_SL_SM_SN_EUlS10_E0_NS1_11comp_targetILNS1_3genE4ELNS1_11target_archE910ELNS1_3gpuE8ELNS1_3repE0EEENS1_38merge_mergepath_config_static_selectorELNS0_4arch9wavefront6targetE1EEEvSM_,comdat
	.globl	_ZN7rocprim17ROCPRIM_400000_NS6detail17trampoline_kernelINS0_14default_configENS1_38merge_sort_block_merge_config_selectorIlNS0_10empty_typeEEEZZNS1_27merge_sort_block_merge_implIS3_PlPS5_mZN2at6native12_GLOBAL__N_124unique_dim_cuda_templateIsEESt5tupleIJNSA_6TensorESF_SF_EERKSF_lbbbEUlllE_EE10hipError_tT0_T1_T2_jT3_P12ihipStream_tbPNSt15iterator_traitsISL_E10value_typeEPNSR_ISM_E10value_typeEPSN_NS1_7vsmem_tEENKUlT_SL_SM_SN_E_clIS8_S8_S9_S9_EESK_S10_SL_SM_SN_EUlS10_E0_NS1_11comp_targetILNS1_3genE4ELNS1_11target_archE910ELNS1_3gpuE8ELNS1_3repE0EEENS1_38merge_mergepath_config_static_selectorELNS0_4arch9wavefront6targetE1EEEvSM_ ; -- Begin function _ZN7rocprim17ROCPRIM_400000_NS6detail17trampoline_kernelINS0_14default_configENS1_38merge_sort_block_merge_config_selectorIlNS0_10empty_typeEEEZZNS1_27merge_sort_block_merge_implIS3_PlPS5_mZN2at6native12_GLOBAL__N_124unique_dim_cuda_templateIsEESt5tupleIJNSA_6TensorESF_SF_EERKSF_lbbbEUlllE_EE10hipError_tT0_T1_T2_jT3_P12ihipStream_tbPNSt15iterator_traitsISL_E10value_typeEPNSR_ISM_E10value_typeEPSN_NS1_7vsmem_tEENKUlT_SL_SM_SN_E_clIS8_S8_S9_S9_EESK_S10_SL_SM_SN_EUlS10_E0_NS1_11comp_targetILNS1_3genE4ELNS1_11target_archE910ELNS1_3gpuE8ELNS1_3repE0EEENS1_38merge_mergepath_config_static_selectorELNS0_4arch9wavefront6targetE1EEEvSM_
	.p2align	8
	.type	_ZN7rocprim17ROCPRIM_400000_NS6detail17trampoline_kernelINS0_14default_configENS1_38merge_sort_block_merge_config_selectorIlNS0_10empty_typeEEEZZNS1_27merge_sort_block_merge_implIS3_PlPS5_mZN2at6native12_GLOBAL__N_124unique_dim_cuda_templateIsEESt5tupleIJNSA_6TensorESF_SF_EERKSF_lbbbEUlllE_EE10hipError_tT0_T1_T2_jT3_P12ihipStream_tbPNSt15iterator_traitsISL_E10value_typeEPNSR_ISM_E10value_typeEPSN_NS1_7vsmem_tEENKUlT_SL_SM_SN_E_clIS8_S8_S9_S9_EESK_S10_SL_SM_SN_EUlS10_E0_NS1_11comp_targetILNS1_3genE4ELNS1_11target_archE910ELNS1_3gpuE8ELNS1_3repE0EEENS1_38merge_mergepath_config_static_selectorELNS0_4arch9wavefront6targetE1EEEvSM_,@function
_ZN7rocprim17ROCPRIM_400000_NS6detail17trampoline_kernelINS0_14default_configENS1_38merge_sort_block_merge_config_selectorIlNS0_10empty_typeEEEZZNS1_27merge_sort_block_merge_implIS3_PlPS5_mZN2at6native12_GLOBAL__N_124unique_dim_cuda_templateIsEESt5tupleIJNSA_6TensorESF_SF_EERKSF_lbbbEUlllE_EE10hipError_tT0_T1_T2_jT3_P12ihipStream_tbPNSt15iterator_traitsISL_E10value_typeEPNSR_ISM_E10value_typeEPSN_NS1_7vsmem_tEENKUlT_SL_SM_SN_E_clIS8_S8_S9_S9_EESK_S10_SL_SM_SN_EUlS10_E0_NS1_11comp_targetILNS1_3genE4ELNS1_11target_archE910ELNS1_3gpuE8ELNS1_3repE0EEENS1_38merge_mergepath_config_static_selectorELNS0_4arch9wavefront6targetE1EEEvSM_: ; @_ZN7rocprim17ROCPRIM_400000_NS6detail17trampoline_kernelINS0_14default_configENS1_38merge_sort_block_merge_config_selectorIlNS0_10empty_typeEEEZZNS1_27merge_sort_block_merge_implIS3_PlPS5_mZN2at6native12_GLOBAL__N_124unique_dim_cuda_templateIsEESt5tupleIJNSA_6TensorESF_SF_EERKSF_lbbbEUlllE_EE10hipError_tT0_T1_T2_jT3_P12ihipStream_tbPNSt15iterator_traitsISL_E10value_typeEPNSR_ISM_E10value_typeEPSN_NS1_7vsmem_tEENKUlT_SL_SM_SN_E_clIS8_S8_S9_S9_EESK_S10_SL_SM_SN_EUlS10_E0_NS1_11comp_targetILNS1_3genE4ELNS1_11target_archE910ELNS1_3gpuE8ELNS1_3repE0EEENS1_38merge_mergepath_config_static_selectorELNS0_4arch9wavefront6targetE1EEEvSM_
; %bb.0:
	.section	.rodata,"a",@progbits
	.p2align	6, 0x0
	.amdhsa_kernel _ZN7rocprim17ROCPRIM_400000_NS6detail17trampoline_kernelINS0_14default_configENS1_38merge_sort_block_merge_config_selectorIlNS0_10empty_typeEEEZZNS1_27merge_sort_block_merge_implIS3_PlPS5_mZN2at6native12_GLOBAL__N_124unique_dim_cuda_templateIsEESt5tupleIJNSA_6TensorESF_SF_EERKSF_lbbbEUlllE_EE10hipError_tT0_T1_T2_jT3_P12ihipStream_tbPNSt15iterator_traitsISL_E10value_typeEPNSR_ISM_E10value_typeEPSN_NS1_7vsmem_tEENKUlT_SL_SM_SN_E_clIS8_S8_S9_S9_EESK_S10_SL_SM_SN_EUlS10_E0_NS1_11comp_targetILNS1_3genE4ELNS1_11target_archE910ELNS1_3gpuE8ELNS1_3repE0EEENS1_38merge_mergepath_config_static_selectorELNS0_4arch9wavefront6targetE1EEEvSM_
		.amdhsa_group_segment_fixed_size 0
		.amdhsa_private_segment_fixed_size 0
		.amdhsa_kernarg_size 88
		.amdhsa_user_sgpr_count 2
		.amdhsa_user_sgpr_dispatch_ptr 0
		.amdhsa_user_sgpr_queue_ptr 0
		.amdhsa_user_sgpr_kernarg_segment_ptr 1
		.amdhsa_user_sgpr_dispatch_id 0
		.amdhsa_user_sgpr_kernarg_preload_length 0
		.amdhsa_user_sgpr_kernarg_preload_offset 0
		.amdhsa_user_sgpr_private_segment_size 0
		.amdhsa_uses_dynamic_stack 0
		.amdhsa_enable_private_segment 0
		.amdhsa_system_sgpr_workgroup_id_x 1
		.amdhsa_system_sgpr_workgroup_id_y 0
		.amdhsa_system_sgpr_workgroup_id_z 0
		.amdhsa_system_sgpr_workgroup_info 0
		.amdhsa_system_vgpr_workitem_id 0
		.amdhsa_next_free_vgpr 1
		.amdhsa_next_free_sgpr 0
		.amdhsa_accum_offset 4
		.amdhsa_reserve_vcc 0
		.amdhsa_float_round_mode_32 0
		.amdhsa_float_round_mode_16_64 0
		.amdhsa_float_denorm_mode_32 3
		.amdhsa_float_denorm_mode_16_64 3
		.amdhsa_dx10_clamp 1
		.amdhsa_ieee_mode 1
		.amdhsa_fp16_overflow 0
		.amdhsa_tg_split 0
		.amdhsa_exception_fp_ieee_invalid_op 0
		.amdhsa_exception_fp_denorm_src 0
		.amdhsa_exception_fp_ieee_div_zero 0
		.amdhsa_exception_fp_ieee_overflow 0
		.amdhsa_exception_fp_ieee_underflow 0
		.amdhsa_exception_fp_ieee_inexact 0
		.amdhsa_exception_int_div_zero 0
	.end_amdhsa_kernel
	.section	.text._ZN7rocprim17ROCPRIM_400000_NS6detail17trampoline_kernelINS0_14default_configENS1_38merge_sort_block_merge_config_selectorIlNS0_10empty_typeEEEZZNS1_27merge_sort_block_merge_implIS3_PlPS5_mZN2at6native12_GLOBAL__N_124unique_dim_cuda_templateIsEESt5tupleIJNSA_6TensorESF_SF_EERKSF_lbbbEUlllE_EE10hipError_tT0_T1_T2_jT3_P12ihipStream_tbPNSt15iterator_traitsISL_E10value_typeEPNSR_ISM_E10value_typeEPSN_NS1_7vsmem_tEENKUlT_SL_SM_SN_E_clIS8_S8_S9_S9_EESK_S10_SL_SM_SN_EUlS10_E0_NS1_11comp_targetILNS1_3genE4ELNS1_11target_archE910ELNS1_3gpuE8ELNS1_3repE0EEENS1_38merge_mergepath_config_static_selectorELNS0_4arch9wavefront6targetE1EEEvSM_,"axG",@progbits,_ZN7rocprim17ROCPRIM_400000_NS6detail17trampoline_kernelINS0_14default_configENS1_38merge_sort_block_merge_config_selectorIlNS0_10empty_typeEEEZZNS1_27merge_sort_block_merge_implIS3_PlPS5_mZN2at6native12_GLOBAL__N_124unique_dim_cuda_templateIsEESt5tupleIJNSA_6TensorESF_SF_EERKSF_lbbbEUlllE_EE10hipError_tT0_T1_T2_jT3_P12ihipStream_tbPNSt15iterator_traitsISL_E10value_typeEPNSR_ISM_E10value_typeEPSN_NS1_7vsmem_tEENKUlT_SL_SM_SN_E_clIS8_S8_S9_S9_EESK_S10_SL_SM_SN_EUlS10_E0_NS1_11comp_targetILNS1_3genE4ELNS1_11target_archE910ELNS1_3gpuE8ELNS1_3repE0EEENS1_38merge_mergepath_config_static_selectorELNS0_4arch9wavefront6targetE1EEEvSM_,comdat
.Lfunc_end647:
	.size	_ZN7rocprim17ROCPRIM_400000_NS6detail17trampoline_kernelINS0_14default_configENS1_38merge_sort_block_merge_config_selectorIlNS0_10empty_typeEEEZZNS1_27merge_sort_block_merge_implIS3_PlPS5_mZN2at6native12_GLOBAL__N_124unique_dim_cuda_templateIsEESt5tupleIJNSA_6TensorESF_SF_EERKSF_lbbbEUlllE_EE10hipError_tT0_T1_T2_jT3_P12ihipStream_tbPNSt15iterator_traitsISL_E10value_typeEPNSR_ISM_E10value_typeEPSN_NS1_7vsmem_tEENKUlT_SL_SM_SN_E_clIS8_S8_S9_S9_EESK_S10_SL_SM_SN_EUlS10_E0_NS1_11comp_targetILNS1_3genE4ELNS1_11target_archE910ELNS1_3gpuE8ELNS1_3repE0EEENS1_38merge_mergepath_config_static_selectorELNS0_4arch9wavefront6targetE1EEEvSM_, .Lfunc_end647-_ZN7rocprim17ROCPRIM_400000_NS6detail17trampoline_kernelINS0_14default_configENS1_38merge_sort_block_merge_config_selectorIlNS0_10empty_typeEEEZZNS1_27merge_sort_block_merge_implIS3_PlPS5_mZN2at6native12_GLOBAL__N_124unique_dim_cuda_templateIsEESt5tupleIJNSA_6TensorESF_SF_EERKSF_lbbbEUlllE_EE10hipError_tT0_T1_T2_jT3_P12ihipStream_tbPNSt15iterator_traitsISL_E10value_typeEPNSR_ISM_E10value_typeEPSN_NS1_7vsmem_tEENKUlT_SL_SM_SN_E_clIS8_S8_S9_S9_EESK_S10_SL_SM_SN_EUlS10_E0_NS1_11comp_targetILNS1_3genE4ELNS1_11target_archE910ELNS1_3gpuE8ELNS1_3repE0EEENS1_38merge_mergepath_config_static_selectorELNS0_4arch9wavefront6targetE1EEEvSM_
                                        ; -- End function
	.set _ZN7rocprim17ROCPRIM_400000_NS6detail17trampoline_kernelINS0_14default_configENS1_38merge_sort_block_merge_config_selectorIlNS0_10empty_typeEEEZZNS1_27merge_sort_block_merge_implIS3_PlPS5_mZN2at6native12_GLOBAL__N_124unique_dim_cuda_templateIsEESt5tupleIJNSA_6TensorESF_SF_EERKSF_lbbbEUlllE_EE10hipError_tT0_T1_T2_jT3_P12ihipStream_tbPNSt15iterator_traitsISL_E10value_typeEPNSR_ISM_E10value_typeEPSN_NS1_7vsmem_tEENKUlT_SL_SM_SN_E_clIS8_S8_S9_S9_EESK_S10_SL_SM_SN_EUlS10_E0_NS1_11comp_targetILNS1_3genE4ELNS1_11target_archE910ELNS1_3gpuE8ELNS1_3repE0EEENS1_38merge_mergepath_config_static_selectorELNS0_4arch9wavefront6targetE1EEEvSM_.num_vgpr, 0
	.set _ZN7rocprim17ROCPRIM_400000_NS6detail17trampoline_kernelINS0_14default_configENS1_38merge_sort_block_merge_config_selectorIlNS0_10empty_typeEEEZZNS1_27merge_sort_block_merge_implIS3_PlPS5_mZN2at6native12_GLOBAL__N_124unique_dim_cuda_templateIsEESt5tupleIJNSA_6TensorESF_SF_EERKSF_lbbbEUlllE_EE10hipError_tT0_T1_T2_jT3_P12ihipStream_tbPNSt15iterator_traitsISL_E10value_typeEPNSR_ISM_E10value_typeEPSN_NS1_7vsmem_tEENKUlT_SL_SM_SN_E_clIS8_S8_S9_S9_EESK_S10_SL_SM_SN_EUlS10_E0_NS1_11comp_targetILNS1_3genE4ELNS1_11target_archE910ELNS1_3gpuE8ELNS1_3repE0EEENS1_38merge_mergepath_config_static_selectorELNS0_4arch9wavefront6targetE1EEEvSM_.num_agpr, 0
	.set _ZN7rocprim17ROCPRIM_400000_NS6detail17trampoline_kernelINS0_14default_configENS1_38merge_sort_block_merge_config_selectorIlNS0_10empty_typeEEEZZNS1_27merge_sort_block_merge_implIS3_PlPS5_mZN2at6native12_GLOBAL__N_124unique_dim_cuda_templateIsEESt5tupleIJNSA_6TensorESF_SF_EERKSF_lbbbEUlllE_EE10hipError_tT0_T1_T2_jT3_P12ihipStream_tbPNSt15iterator_traitsISL_E10value_typeEPNSR_ISM_E10value_typeEPSN_NS1_7vsmem_tEENKUlT_SL_SM_SN_E_clIS8_S8_S9_S9_EESK_S10_SL_SM_SN_EUlS10_E0_NS1_11comp_targetILNS1_3genE4ELNS1_11target_archE910ELNS1_3gpuE8ELNS1_3repE0EEENS1_38merge_mergepath_config_static_selectorELNS0_4arch9wavefront6targetE1EEEvSM_.numbered_sgpr, 0
	.set _ZN7rocprim17ROCPRIM_400000_NS6detail17trampoline_kernelINS0_14default_configENS1_38merge_sort_block_merge_config_selectorIlNS0_10empty_typeEEEZZNS1_27merge_sort_block_merge_implIS3_PlPS5_mZN2at6native12_GLOBAL__N_124unique_dim_cuda_templateIsEESt5tupleIJNSA_6TensorESF_SF_EERKSF_lbbbEUlllE_EE10hipError_tT0_T1_T2_jT3_P12ihipStream_tbPNSt15iterator_traitsISL_E10value_typeEPNSR_ISM_E10value_typeEPSN_NS1_7vsmem_tEENKUlT_SL_SM_SN_E_clIS8_S8_S9_S9_EESK_S10_SL_SM_SN_EUlS10_E0_NS1_11comp_targetILNS1_3genE4ELNS1_11target_archE910ELNS1_3gpuE8ELNS1_3repE0EEENS1_38merge_mergepath_config_static_selectorELNS0_4arch9wavefront6targetE1EEEvSM_.num_named_barrier, 0
	.set _ZN7rocprim17ROCPRIM_400000_NS6detail17trampoline_kernelINS0_14default_configENS1_38merge_sort_block_merge_config_selectorIlNS0_10empty_typeEEEZZNS1_27merge_sort_block_merge_implIS3_PlPS5_mZN2at6native12_GLOBAL__N_124unique_dim_cuda_templateIsEESt5tupleIJNSA_6TensorESF_SF_EERKSF_lbbbEUlllE_EE10hipError_tT0_T1_T2_jT3_P12ihipStream_tbPNSt15iterator_traitsISL_E10value_typeEPNSR_ISM_E10value_typeEPSN_NS1_7vsmem_tEENKUlT_SL_SM_SN_E_clIS8_S8_S9_S9_EESK_S10_SL_SM_SN_EUlS10_E0_NS1_11comp_targetILNS1_3genE4ELNS1_11target_archE910ELNS1_3gpuE8ELNS1_3repE0EEENS1_38merge_mergepath_config_static_selectorELNS0_4arch9wavefront6targetE1EEEvSM_.private_seg_size, 0
	.set _ZN7rocprim17ROCPRIM_400000_NS6detail17trampoline_kernelINS0_14default_configENS1_38merge_sort_block_merge_config_selectorIlNS0_10empty_typeEEEZZNS1_27merge_sort_block_merge_implIS3_PlPS5_mZN2at6native12_GLOBAL__N_124unique_dim_cuda_templateIsEESt5tupleIJNSA_6TensorESF_SF_EERKSF_lbbbEUlllE_EE10hipError_tT0_T1_T2_jT3_P12ihipStream_tbPNSt15iterator_traitsISL_E10value_typeEPNSR_ISM_E10value_typeEPSN_NS1_7vsmem_tEENKUlT_SL_SM_SN_E_clIS8_S8_S9_S9_EESK_S10_SL_SM_SN_EUlS10_E0_NS1_11comp_targetILNS1_3genE4ELNS1_11target_archE910ELNS1_3gpuE8ELNS1_3repE0EEENS1_38merge_mergepath_config_static_selectorELNS0_4arch9wavefront6targetE1EEEvSM_.uses_vcc, 0
	.set _ZN7rocprim17ROCPRIM_400000_NS6detail17trampoline_kernelINS0_14default_configENS1_38merge_sort_block_merge_config_selectorIlNS0_10empty_typeEEEZZNS1_27merge_sort_block_merge_implIS3_PlPS5_mZN2at6native12_GLOBAL__N_124unique_dim_cuda_templateIsEESt5tupleIJNSA_6TensorESF_SF_EERKSF_lbbbEUlllE_EE10hipError_tT0_T1_T2_jT3_P12ihipStream_tbPNSt15iterator_traitsISL_E10value_typeEPNSR_ISM_E10value_typeEPSN_NS1_7vsmem_tEENKUlT_SL_SM_SN_E_clIS8_S8_S9_S9_EESK_S10_SL_SM_SN_EUlS10_E0_NS1_11comp_targetILNS1_3genE4ELNS1_11target_archE910ELNS1_3gpuE8ELNS1_3repE0EEENS1_38merge_mergepath_config_static_selectorELNS0_4arch9wavefront6targetE1EEEvSM_.uses_flat_scratch, 0
	.set _ZN7rocprim17ROCPRIM_400000_NS6detail17trampoline_kernelINS0_14default_configENS1_38merge_sort_block_merge_config_selectorIlNS0_10empty_typeEEEZZNS1_27merge_sort_block_merge_implIS3_PlPS5_mZN2at6native12_GLOBAL__N_124unique_dim_cuda_templateIsEESt5tupleIJNSA_6TensorESF_SF_EERKSF_lbbbEUlllE_EE10hipError_tT0_T1_T2_jT3_P12ihipStream_tbPNSt15iterator_traitsISL_E10value_typeEPNSR_ISM_E10value_typeEPSN_NS1_7vsmem_tEENKUlT_SL_SM_SN_E_clIS8_S8_S9_S9_EESK_S10_SL_SM_SN_EUlS10_E0_NS1_11comp_targetILNS1_3genE4ELNS1_11target_archE910ELNS1_3gpuE8ELNS1_3repE0EEENS1_38merge_mergepath_config_static_selectorELNS0_4arch9wavefront6targetE1EEEvSM_.has_dyn_sized_stack, 0
	.set _ZN7rocprim17ROCPRIM_400000_NS6detail17trampoline_kernelINS0_14default_configENS1_38merge_sort_block_merge_config_selectorIlNS0_10empty_typeEEEZZNS1_27merge_sort_block_merge_implIS3_PlPS5_mZN2at6native12_GLOBAL__N_124unique_dim_cuda_templateIsEESt5tupleIJNSA_6TensorESF_SF_EERKSF_lbbbEUlllE_EE10hipError_tT0_T1_T2_jT3_P12ihipStream_tbPNSt15iterator_traitsISL_E10value_typeEPNSR_ISM_E10value_typeEPSN_NS1_7vsmem_tEENKUlT_SL_SM_SN_E_clIS8_S8_S9_S9_EESK_S10_SL_SM_SN_EUlS10_E0_NS1_11comp_targetILNS1_3genE4ELNS1_11target_archE910ELNS1_3gpuE8ELNS1_3repE0EEENS1_38merge_mergepath_config_static_selectorELNS0_4arch9wavefront6targetE1EEEvSM_.has_recursion, 0
	.set _ZN7rocprim17ROCPRIM_400000_NS6detail17trampoline_kernelINS0_14default_configENS1_38merge_sort_block_merge_config_selectorIlNS0_10empty_typeEEEZZNS1_27merge_sort_block_merge_implIS3_PlPS5_mZN2at6native12_GLOBAL__N_124unique_dim_cuda_templateIsEESt5tupleIJNSA_6TensorESF_SF_EERKSF_lbbbEUlllE_EE10hipError_tT0_T1_T2_jT3_P12ihipStream_tbPNSt15iterator_traitsISL_E10value_typeEPNSR_ISM_E10value_typeEPSN_NS1_7vsmem_tEENKUlT_SL_SM_SN_E_clIS8_S8_S9_S9_EESK_S10_SL_SM_SN_EUlS10_E0_NS1_11comp_targetILNS1_3genE4ELNS1_11target_archE910ELNS1_3gpuE8ELNS1_3repE0EEENS1_38merge_mergepath_config_static_selectorELNS0_4arch9wavefront6targetE1EEEvSM_.has_indirect_call, 0
	.section	.AMDGPU.csdata,"",@progbits
; Kernel info:
; codeLenInByte = 0
; TotalNumSgprs: 6
; NumVgprs: 0
; NumAgprs: 0
; TotalNumVgprs: 0
; ScratchSize: 0
; MemoryBound: 0
; FloatMode: 240
; IeeeMode: 1
; LDSByteSize: 0 bytes/workgroup (compile time only)
; SGPRBlocks: 0
; VGPRBlocks: 0
; NumSGPRsForWavesPerEU: 6
; NumVGPRsForWavesPerEU: 1
; AccumOffset: 4
; Occupancy: 8
; WaveLimiterHint : 0
; COMPUTE_PGM_RSRC2:SCRATCH_EN: 0
; COMPUTE_PGM_RSRC2:USER_SGPR: 2
; COMPUTE_PGM_RSRC2:TRAP_HANDLER: 0
; COMPUTE_PGM_RSRC2:TGID_X_EN: 1
; COMPUTE_PGM_RSRC2:TGID_Y_EN: 0
; COMPUTE_PGM_RSRC2:TGID_Z_EN: 0
; COMPUTE_PGM_RSRC2:TIDIG_COMP_CNT: 0
; COMPUTE_PGM_RSRC3_GFX90A:ACCUM_OFFSET: 0
; COMPUTE_PGM_RSRC3_GFX90A:TG_SPLIT: 0
	.section	.text._ZN7rocprim17ROCPRIM_400000_NS6detail17trampoline_kernelINS0_14default_configENS1_38merge_sort_block_merge_config_selectorIlNS0_10empty_typeEEEZZNS1_27merge_sort_block_merge_implIS3_PlPS5_mZN2at6native12_GLOBAL__N_124unique_dim_cuda_templateIsEESt5tupleIJNSA_6TensorESF_SF_EERKSF_lbbbEUlllE_EE10hipError_tT0_T1_T2_jT3_P12ihipStream_tbPNSt15iterator_traitsISL_E10value_typeEPNSR_ISM_E10value_typeEPSN_NS1_7vsmem_tEENKUlT_SL_SM_SN_E_clIS8_S8_S9_S9_EESK_S10_SL_SM_SN_EUlS10_E0_NS1_11comp_targetILNS1_3genE3ELNS1_11target_archE908ELNS1_3gpuE7ELNS1_3repE0EEENS1_38merge_mergepath_config_static_selectorELNS0_4arch9wavefront6targetE1EEEvSM_,"axG",@progbits,_ZN7rocprim17ROCPRIM_400000_NS6detail17trampoline_kernelINS0_14default_configENS1_38merge_sort_block_merge_config_selectorIlNS0_10empty_typeEEEZZNS1_27merge_sort_block_merge_implIS3_PlPS5_mZN2at6native12_GLOBAL__N_124unique_dim_cuda_templateIsEESt5tupleIJNSA_6TensorESF_SF_EERKSF_lbbbEUlllE_EE10hipError_tT0_T1_T2_jT3_P12ihipStream_tbPNSt15iterator_traitsISL_E10value_typeEPNSR_ISM_E10value_typeEPSN_NS1_7vsmem_tEENKUlT_SL_SM_SN_E_clIS8_S8_S9_S9_EESK_S10_SL_SM_SN_EUlS10_E0_NS1_11comp_targetILNS1_3genE3ELNS1_11target_archE908ELNS1_3gpuE7ELNS1_3repE0EEENS1_38merge_mergepath_config_static_selectorELNS0_4arch9wavefront6targetE1EEEvSM_,comdat
	.globl	_ZN7rocprim17ROCPRIM_400000_NS6detail17trampoline_kernelINS0_14default_configENS1_38merge_sort_block_merge_config_selectorIlNS0_10empty_typeEEEZZNS1_27merge_sort_block_merge_implIS3_PlPS5_mZN2at6native12_GLOBAL__N_124unique_dim_cuda_templateIsEESt5tupleIJNSA_6TensorESF_SF_EERKSF_lbbbEUlllE_EE10hipError_tT0_T1_T2_jT3_P12ihipStream_tbPNSt15iterator_traitsISL_E10value_typeEPNSR_ISM_E10value_typeEPSN_NS1_7vsmem_tEENKUlT_SL_SM_SN_E_clIS8_S8_S9_S9_EESK_S10_SL_SM_SN_EUlS10_E0_NS1_11comp_targetILNS1_3genE3ELNS1_11target_archE908ELNS1_3gpuE7ELNS1_3repE0EEENS1_38merge_mergepath_config_static_selectorELNS0_4arch9wavefront6targetE1EEEvSM_ ; -- Begin function _ZN7rocprim17ROCPRIM_400000_NS6detail17trampoline_kernelINS0_14default_configENS1_38merge_sort_block_merge_config_selectorIlNS0_10empty_typeEEEZZNS1_27merge_sort_block_merge_implIS3_PlPS5_mZN2at6native12_GLOBAL__N_124unique_dim_cuda_templateIsEESt5tupleIJNSA_6TensorESF_SF_EERKSF_lbbbEUlllE_EE10hipError_tT0_T1_T2_jT3_P12ihipStream_tbPNSt15iterator_traitsISL_E10value_typeEPNSR_ISM_E10value_typeEPSN_NS1_7vsmem_tEENKUlT_SL_SM_SN_E_clIS8_S8_S9_S9_EESK_S10_SL_SM_SN_EUlS10_E0_NS1_11comp_targetILNS1_3genE3ELNS1_11target_archE908ELNS1_3gpuE7ELNS1_3repE0EEENS1_38merge_mergepath_config_static_selectorELNS0_4arch9wavefront6targetE1EEEvSM_
	.p2align	8
	.type	_ZN7rocprim17ROCPRIM_400000_NS6detail17trampoline_kernelINS0_14default_configENS1_38merge_sort_block_merge_config_selectorIlNS0_10empty_typeEEEZZNS1_27merge_sort_block_merge_implIS3_PlPS5_mZN2at6native12_GLOBAL__N_124unique_dim_cuda_templateIsEESt5tupleIJNSA_6TensorESF_SF_EERKSF_lbbbEUlllE_EE10hipError_tT0_T1_T2_jT3_P12ihipStream_tbPNSt15iterator_traitsISL_E10value_typeEPNSR_ISM_E10value_typeEPSN_NS1_7vsmem_tEENKUlT_SL_SM_SN_E_clIS8_S8_S9_S9_EESK_S10_SL_SM_SN_EUlS10_E0_NS1_11comp_targetILNS1_3genE3ELNS1_11target_archE908ELNS1_3gpuE7ELNS1_3repE0EEENS1_38merge_mergepath_config_static_selectorELNS0_4arch9wavefront6targetE1EEEvSM_,@function
_ZN7rocprim17ROCPRIM_400000_NS6detail17trampoline_kernelINS0_14default_configENS1_38merge_sort_block_merge_config_selectorIlNS0_10empty_typeEEEZZNS1_27merge_sort_block_merge_implIS3_PlPS5_mZN2at6native12_GLOBAL__N_124unique_dim_cuda_templateIsEESt5tupleIJNSA_6TensorESF_SF_EERKSF_lbbbEUlllE_EE10hipError_tT0_T1_T2_jT3_P12ihipStream_tbPNSt15iterator_traitsISL_E10value_typeEPNSR_ISM_E10value_typeEPSN_NS1_7vsmem_tEENKUlT_SL_SM_SN_E_clIS8_S8_S9_S9_EESK_S10_SL_SM_SN_EUlS10_E0_NS1_11comp_targetILNS1_3genE3ELNS1_11target_archE908ELNS1_3gpuE7ELNS1_3repE0EEENS1_38merge_mergepath_config_static_selectorELNS0_4arch9wavefront6targetE1EEEvSM_: ; @_ZN7rocprim17ROCPRIM_400000_NS6detail17trampoline_kernelINS0_14default_configENS1_38merge_sort_block_merge_config_selectorIlNS0_10empty_typeEEEZZNS1_27merge_sort_block_merge_implIS3_PlPS5_mZN2at6native12_GLOBAL__N_124unique_dim_cuda_templateIsEESt5tupleIJNSA_6TensorESF_SF_EERKSF_lbbbEUlllE_EE10hipError_tT0_T1_T2_jT3_P12ihipStream_tbPNSt15iterator_traitsISL_E10value_typeEPNSR_ISM_E10value_typeEPSN_NS1_7vsmem_tEENKUlT_SL_SM_SN_E_clIS8_S8_S9_S9_EESK_S10_SL_SM_SN_EUlS10_E0_NS1_11comp_targetILNS1_3genE3ELNS1_11target_archE908ELNS1_3gpuE7ELNS1_3repE0EEENS1_38merge_mergepath_config_static_selectorELNS0_4arch9wavefront6targetE1EEEvSM_
; %bb.0:
	.section	.rodata,"a",@progbits
	.p2align	6, 0x0
	.amdhsa_kernel _ZN7rocprim17ROCPRIM_400000_NS6detail17trampoline_kernelINS0_14default_configENS1_38merge_sort_block_merge_config_selectorIlNS0_10empty_typeEEEZZNS1_27merge_sort_block_merge_implIS3_PlPS5_mZN2at6native12_GLOBAL__N_124unique_dim_cuda_templateIsEESt5tupleIJNSA_6TensorESF_SF_EERKSF_lbbbEUlllE_EE10hipError_tT0_T1_T2_jT3_P12ihipStream_tbPNSt15iterator_traitsISL_E10value_typeEPNSR_ISM_E10value_typeEPSN_NS1_7vsmem_tEENKUlT_SL_SM_SN_E_clIS8_S8_S9_S9_EESK_S10_SL_SM_SN_EUlS10_E0_NS1_11comp_targetILNS1_3genE3ELNS1_11target_archE908ELNS1_3gpuE7ELNS1_3repE0EEENS1_38merge_mergepath_config_static_selectorELNS0_4arch9wavefront6targetE1EEEvSM_
		.amdhsa_group_segment_fixed_size 0
		.amdhsa_private_segment_fixed_size 0
		.amdhsa_kernarg_size 88
		.amdhsa_user_sgpr_count 2
		.amdhsa_user_sgpr_dispatch_ptr 0
		.amdhsa_user_sgpr_queue_ptr 0
		.amdhsa_user_sgpr_kernarg_segment_ptr 1
		.amdhsa_user_sgpr_dispatch_id 0
		.amdhsa_user_sgpr_kernarg_preload_length 0
		.amdhsa_user_sgpr_kernarg_preload_offset 0
		.amdhsa_user_sgpr_private_segment_size 0
		.amdhsa_uses_dynamic_stack 0
		.amdhsa_enable_private_segment 0
		.amdhsa_system_sgpr_workgroup_id_x 1
		.amdhsa_system_sgpr_workgroup_id_y 0
		.amdhsa_system_sgpr_workgroup_id_z 0
		.amdhsa_system_sgpr_workgroup_info 0
		.amdhsa_system_vgpr_workitem_id 0
		.amdhsa_next_free_vgpr 1
		.amdhsa_next_free_sgpr 0
		.amdhsa_accum_offset 4
		.amdhsa_reserve_vcc 0
		.amdhsa_float_round_mode_32 0
		.amdhsa_float_round_mode_16_64 0
		.amdhsa_float_denorm_mode_32 3
		.amdhsa_float_denorm_mode_16_64 3
		.amdhsa_dx10_clamp 1
		.amdhsa_ieee_mode 1
		.amdhsa_fp16_overflow 0
		.amdhsa_tg_split 0
		.amdhsa_exception_fp_ieee_invalid_op 0
		.amdhsa_exception_fp_denorm_src 0
		.amdhsa_exception_fp_ieee_div_zero 0
		.amdhsa_exception_fp_ieee_overflow 0
		.amdhsa_exception_fp_ieee_underflow 0
		.amdhsa_exception_fp_ieee_inexact 0
		.amdhsa_exception_int_div_zero 0
	.end_amdhsa_kernel
	.section	.text._ZN7rocprim17ROCPRIM_400000_NS6detail17trampoline_kernelINS0_14default_configENS1_38merge_sort_block_merge_config_selectorIlNS0_10empty_typeEEEZZNS1_27merge_sort_block_merge_implIS3_PlPS5_mZN2at6native12_GLOBAL__N_124unique_dim_cuda_templateIsEESt5tupleIJNSA_6TensorESF_SF_EERKSF_lbbbEUlllE_EE10hipError_tT0_T1_T2_jT3_P12ihipStream_tbPNSt15iterator_traitsISL_E10value_typeEPNSR_ISM_E10value_typeEPSN_NS1_7vsmem_tEENKUlT_SL_SM_SN_E_clIS8_S8_S9_S9_EESK_S10_SL_SM_SN_EUlS10_E0_NS1_11comp_targetILNS1_3genE3ELNS1_11target_archE908ELNS1_3gpuE7ELNS1_3repE0EEENS1_38merge_mergepath_config_static_selectorELNS0_4arch9wavefront6targetE1EEEvSM_,"axG",@progbits,_ZN7rocprim17ROCPRIM_400000_NS6detail17trampoline_kernelINS0_14default_configENS1_38merge_sort_block_merge_config_selectorIlNS0_10empty_typeEEEZZNS1_27merge_sort_block_merge_implIS3_PlPS5_mZN2at6native12_GLOBAL__N_124unique_dim_cuda_templateIsEESt5tupleIJNSA_6TensorESF_SF_EERKSF_lbbbEUlllE_EE10hipError_tT0_T1_T2_jT3_P12ihipStream_tbPNSt15iterator_traitsISL_E10value_typeEPNSR_ISM_E10value_typeEPSN_NS1_7vsmem_tEENKUlT_SL_SM_SN_E_clIS8_S8_S9_S9_EESK_S10_SL_SM_SN_EUlS10_E0_NS1_11comp_targetILNS1_3genE3ELNS1_11target_archE908ELNS1_3gpuE7ELNS1_3repE0EEENS1_38merge_mergepath_config_static_selectorELNS0_4arch9wavefront6targetE1EEEvSM_,comdat
.Lfunc_end648:
	.size	_ZN7rocprim17ROCPRIM_400000_NS6detail17trampoline_kernelINS0_14default_configENS1_38merge_sort_block_merge_config_selectorIlNS0_10empty_typeEEEZZNS1_27merge_sort_block_merge_implIS3_PlPS5_mZN2at6native12_GLOBAL__N_124unique_dim_cuda_templateIsEESt5tupleIJNSA_6TensorESF_SF_EERKSF_lbbbEUlllE_EE10hipError_tT0_T1_T2_jT3_P12ihipStream_tbPNSt15iterator_traitsISL_E10value_typeEPNSR_ISM_E10value_typeEPSN_NS1_7vsmem_tEENKUlT_SL_SM_SN_E_clIS8_S8_S9_S9_EESK_S10_SL_SM_SN_EUlS10_E0_NS1_11comp_targetILNS1_3genE3ELNS1_11target_archE908ELNS1_3gpuE7ELNS1_3repE0EEENS1_38merge_mergepath_config_static_selectorELNS0_4arch9wavefront6targetE1EEEvSM_, .Lfunc_end648-_ZN7rocprim17ROCPRIM_400000_NS6detail17trampoline_kernelINS0_14default_configENS1_38merge_sort_block_merge_config_selectorIlNS0_10empty_typeEEEZZNS1_27merge_sort_block_merge_implIS3_PlPS5_mZN2at6native12_GLOBAL__N_124unique_dim_cuda_templateIsEESt5tupleIJNSA_6TensorESF_SF_EERKSF_lbbbEUlllE_EE10hipError_tT0_T1_T2_jT3_P12ihipStream_tbPNSt15iterator_traitsISL_E10value_typeEPNSR_ISM_E10value_typeEPSN_NS1_7vsmem_tEENKUlT_SL_SM_SN_E_clIS8_S8_S9_S9_EESK_S10_SL_SM_SN_EUlS10_E0_NS1_11comp_targetILNS1_3genE3ELNS1_11target_archE908ELNS1_3gpuE7ELNS1_3repE0EEENS1_38merge_mergepath_config_static_selectorELNS0_4arch9wavefront6targetE1EEEvSM_
                                        ; -- End function
	.set _ZN7rocprim17ROCPRIM_400000_NS6detail17trampoline_kernelINS0_14default_configENS1_38merge_sort_block_merge_config_selectorIlNS0_10empty_typeEEEZZNS1_27merge_sort_block_merge_implIS3_PlPS5_mZN2at6native12_GLOBAL__N_124unique_dim_cuda_templateIsEESt5tupleIJNSA_6TensorESF_SF_EERKSF_lbbbEUlllE_EE10hipError_tT0_T1_T2_jT3_P12ihipStream_tbPNSt15iterator_traitsISL_E10value_typeEPNSR_ISM_E10value_typeEPSN_NS1_7vsmem_tEENKUlT_SL_SM_SN_E_clIS8_S8_S9_S9_EESK_S10_SL_SM_SN_EUlS10_E0_NS1_11comp_targetILNS1_3genE3ELNS1_11target_archE908ELNS1_3gpuE7ELNS1_3repE0EEENS1_38merge_mergepath_config_static_selectorELNS0_4arch9wavefront6targetE1EEEvSM_.num_vgpr, 0
	.set _ZN7rocprim17ROCPRIM_400000_NS6detail17trampoline_kernelINS0_14default_configENS1_38merge_sort_block_merge_config_selectorIlNS0_10empty_typeEEEZZNS1_27merge_sort_block_merge_implIS3_PlPS5_mZN2at6native12_GLOBAL__N_124unique_dim_cuda_templateIsEESt5tupleIJNSA_6TensorESF_SF_EERKSF_lbbbEUlllE_EE10hipError_tT0_T1_T2_jT3_P12ihipStream_tbPNSt15iterator_traitsISL_E10value_typeEPNSR_ISM_E10value_typeEPSN_NS1_7vsmem_tEENKUlT_SL_SM_SN_E_clIS8_S8_S9_S9_EESK_S10_SL_SM_SN_EUlS10_E0_NS1_11comp_targetILNS1_3genE3ELNS1_11target_archE908ELNS1_3gpuE7ELNS1_3repE0EEENS1_38merge_mergepath_config_static_selectorELNS0_4arch9wavefront6targetE1EEEvSM_.num_agpr, 0
	.set _ZN7rocprim17ROCPRIM_400000_NS6detail17trampoline_kernelINS0_14default_configENS1_38merge_sort_block_merge_config_selectorIlNS0_10empty_typeEEEZZNS1_27merge_sort_block_merge_implIS3_PlPS5_mZN2at6native12_GLOBAL__N_124unique_dim_cuda_templateIsEESt5tupleIJNSA_6TensorESF_SF_EERKSF_lbbbEUlllE_EE10hipError_tT0_T1_T2_jT3_P12ihipStream_tbPNSt15iterator_traitsISL_E10value_typeEPNSR_ISM_E10value_typeEPSN_NS1_7vsmem_tEENKUlT_SL_SM_SN_E_clIS8_S8_S9_S9_EESK_S10_SL_SM_SN_EUlS10_E0_NS1_11comp_targetILNS1_3genE3ELNS1_11target_archE908ELNS1_3gpuE7ELNS1_3repE0EEENS1_38merge_mergepath_config_static_selectorELNS0_4arch9wavefront6targetE1EEEvSM_.numbered_sgpr, 0
	.set _ZN7rocprim17ROCPRIM_400000_NS6detail17trampoline_kernelINS0_14default_configENS1_38merge_sort_block_merge_config_selectorIlNS0_10empty_typeEEEZZNS1_27merge_sort_block_merge_implIS3_PlPS5_mZN2at6native12_GLOBAL__N_124unique_dim_cuda_templateIsEESt5tupleIJNSA_6TensorESF_SF_EERKSF_lbbbEUlllE_EE10hipError_tT0_T1_T2_jT3_P12ihipStream_tbPNSt15iterator_traitsISL_E10value_typeEPNSR_ISM_E10value_typeEPSN_NS1_7vsmem_tEENKUlT_SL_SM_SN_E_clIS8_S8_S9_S9_EESK_S10_SL_SM_SN_EUlS10_E0_NS1_11comp_targetILNS1_3genE3ELNS1_11target_archE908ELNS1_3gpuE7ELNS1_3repE0EEENS1_38merge_mergepath_config_static_selectorELNS0_4arch9wavefront6targetE1EEEvSM_.num_named_barrier, 0
	.set _ZN7rocprim17ROCPRIM_400000_NS6detail17trampoline_kernelINS0_14default_configENS1_38merge_sort_block_merge_config_selectorIlNS0_10empty_typeEEEZZNS1_27merge_sort_block_merge_implIS3_PlPS5_mZN2at6native12_GLOBAL__N_124unique_dim_cuda_templateIsEESt5tupleIJNSA_6TensorESF_SF_EERKSF_lbbbEUlllE_EE10hipError_tT0_T1_T2_jT3_P12ihipStream_tbPNSt15iterator_traitsISL_E10value_typeEPNSR_ISM_E10value_typeEPSN_NS1_7vsmem_tEENKUlT_SL_SM_SN_E_clIS8_S8_S9_S9_EESK_S10_SL_SM_SN_EUlS10_E0_NS1_11comp_targetILNS1_3genE3ELNS1_11target_archE908ELNS1_3gpuE7ELNS1_3repE0EEENS1_38merge_mergepath_config_static_selectorELNS0_4arch9wavefront6targetE1EEEvSM_.private_seg_size, 0
	.set _ZN7rocprim17ROCPRIM_400000_NS6detail17trampoline_kernelINS0_14default_configENS1_38merge_sort_block_merge_config_selectorIlNS0_10empty_typeEEEZZNS1_27merge_sort_block_merge_implIS3_PlPS5_mZN2at6native12_GLOBAL__N_124unique_dim_cuda_templateIsEESt5tupleIJNSA_6TensorESF_SF_EERKSF_lbbbEUlllE_EE10hipError_tT0_T1_T2_jT3_P12ihipStream_tbPNSt15iterator_traitsISL_E10value_typeEPNSR_ISM_E10value_typeEPSN_NS1_7vsmem_tEENKUlT_SL_SM_SN_E_clIS8_S8_S9_S9_EESK_S10_SL_SM_SN_EUlS10_E0_NS1_11comp_targetILNS1_3genE3ELNS1_11target_archE908ELNS1_3gpuE7ELNS1_3repE0EEENS1_38merge_mergepath_config_static_selectorELNS0_4arch9wavefront6targetE1EEEvSM_.uses_vcc, 0
	.set _ZN7rocprim17ROCPRIM_400000_NS6detail17trampoline_kernelINS0_14default_configENS1_38merge_sort_block_merge_config_selectorIlNS0_10empty_typeEEEZZNS1_27merge_sort_block_merge_implIS3_PlPS5_mZN2at6native12_GLOBAL__N_124unique_dim_cuda_templateIsEESt5tupleIJNSA_6TensorESF_SF_EERKSF_lbbbEUlllE_EE10hipError_tT0_T1_T2_jT3_P12ihipStream_tbPNSt15iterator_traitsISL_E10value_typeEPNSR_ISM_E10value_typeEPSN_NS1_7vsmem_tEENKUlT_SL_SM_SN_E_clIS8_S8_S9_S9_EESK_S10_SL_SM_SN_EUlS10_E0_NS1_11comp_targetILNS1_3genE3ELNS1_11target_archE908ELNS1_3gpuE7ELNS1_3repE0EEENS1_38merge_mergepath_config_static_selectorELNS0_4arch9wavefront6targetE1EEEvSM_.uses_flat_scratch, 0
	.set _ZN7rocprim17ROCPRIM_400000_NS6detail17trampoline_kernelINS0_14default_configENS1_38merge_sort_block_merge_config_selectorIlNS0_10empty_typeEEEZZNS1_27merge_sort_block_merge_implIS3_PlPS5_mZN2at6native12_GLOBAL__N_124unique_dim_cuda_templateIsEESt5tupleIJNSA_6TensorESF_SF_EERKSF_lbbbEUlllE_EE10hipError_tT0_T1_T2_jT3_P12ihipStream_tbPNSt15iterator_traitsISL_E10value_typeEPNSR_ISM_E10value_typeEPSN_NS1_7vsmem_tEENKUlT_SL_SM_SN_E_clIS8_S8_S9_S9_EESK_S10_SL_SM_SN_EUlS10_E0_NS1_11comp_targetILNS1_3genE3ELNS1_11target_archE908ELNS1_3gpuE7ELNS1_3repE0EEENS1_38merge_mergepath_config_static_selectorELNS0_4arch9wavefront6targetE1EEEvSM_.has_dyn_sized_stack, 0
	.set _ZN7rocprim17ROCPRIM_400000_NS6detail17trampoline_kernelINS0_14default_configENS1_38merge_sort_block_merge_config_selectorIlNS0_10empty_typeEEEZZNS1_27merge_sort_block_merge_implIS3_PlPS5_mZN2at6native12_GLOBAL__N_124unique_dim_cuda_templateIsEESt5tupleIJNSA_6TensorESF_SF_EERKSF_lbbbEUlllE_EE10hipError_tT0_T1_T2_jT3_P12ihipStream_tbPNSt15iterator_traitsISL_E10value_typeEPNSR_ISM_E10value_typeEPSN_NS1_7vsmem_tEENKUlT_SL_SM_SN_E_clIS8_S8_S9_S9_EESK_S10_SL_SM_SN_EUlS10_E0_NS1_11comp_targetILNS1_3genE3ELNS1_11target_archE908ELNS1_3gpuE7ELNS1_3repE0EEENS1_38merge_mergepath_config_static_selectorELNS0_4arch9wavefront6targetE1EEEvSM_.has_recursion, 0
	.set _ZN7rocprim17ROCPRIM_400000_NS6detail17trampoline_kernelINS0_14default_configENS1_38merge_sort_block_merge_config_selectorIlNS0_10empty_typeEEEZZNS1_27merge_sort_block_merge_implIS3_PlPS5_mZN2at6native12_GLOBAL__N_124unique_dim_cuda_templateIsEESt5tupleIJNSA_6TensorESF_SF_EERKSF_lbbbEUlllE_EE10hipError_tT0_T1_T2_jT3_P12ihipStream_tbPNSt15iterator_traitsISL_E10value_typeEPNSR_ISM_E10value_typeEPSN_NS1_7vsmem_tEENKUlT_SL_SM_SN_E_clIS8_S8_S9_S9_EESK_S10_SL_SM_SN_EUlS10_E0_NS1_11comp_targetILNS1_3genE3ELNS1_11target_archE908ELNS1_3gpuE7ELNS1_3repE0EEENS1_38merge_mergepath_config_static_selectorELNS0_4arch9wavefront6targetE1EEEvSM_.has_indirect_call, 0
	.section	.AMDGPU.csdata,"",@progbits
; Kernel info:
; codeLenInByte = 0
; TotalNumSgprs: 6
; NumVgprs: 0
; NumAgprs: 0
; TotalNumVgprs: 0
; ScratchSize: 0
; MemoryBound: 0
; FloatMode: 240
; IeeeMode: 1
; LDSByteSize: 0 bytes/workgroup (compile time only)
; SGPRBlocks: 0
; VGPRBlocks: 0
; NumSGPRsForWavesPerEU: 6
; NumVGPRsForWavesPerEU: 1
; AccumOffset: 4
; Occupancy: 8
; WaveLimiterHint : 0
; COMPUTE_PGM_RSRC2:SCRATCH_EN: 0
; COMPUTE_PGM_RSRC2:USER_SGPR: 2
; COMPUTE_PGM_RSRC2:TRAP_HANDLER: 0
; COMPUTE_PGM_RSRC2:TGID_X_EN: 1
; COMPUTE_PGM_RSRC2:TGID_Y_EN: 0
; COMPUTE_PGM_RSRC2:TGID_Z_EN: 0
; COMPUTE_PGM_RSRC2:TIDIG_COMP_CNT: 0
; COMPUTE_PGM_RSRC3_GFX90A:ACCUM_OFFSET: 0
; COMPUTE_PGM_RSRC3_GFX90A:TG_SPLIT: 0
	.section	.text._ZN7rocprim17ROCPRIM_400000_NS6detail17trampoline_kernelINS0_14default_configENS1_38merge_sort_block_merge_config_selectorIlNS0_10empty_typeEEEZZNS1_27merge_sort_block_merge_implIS3_PlPS5_mZN2at6native12_GLOBAL__N_124unique_dim_cuda_templateIsEESt5tupleIJNSA_6TensorESF_SF_EERKSF_lbbbEUlllE_EE10hipError_tT0_T1_T2_jT3_P12ihipStream_tbPNSt15iterator_traitsISL_E10value_typeEPNSR_ISM_E10value_typeEPSN_NS1_7vsmem_tEENKUlT_SL_SM_SN_E_clIS8_S8_S9_S9_EESK_S10_SL_SM_SN_EUlS10_E0_NS1_11comp_targetILNS1_3genE2ELNS1_11target_archE906ELNS1_3gpuE6ELNS1_3repE0EEENS1_38merge_mergepath_config_static_selectorELNS0_4arch9wavefront6targetE1EEEvSM_,"axG",@progbits,_ZN7rocprim17ROCPRIM_400000_NS6detail17trampoline_kernelINS0_14default_configENS1_38merge_sort_block_merge_config_selectorIlNS0_10empty_typeEEEZZNS1_27merge_sort_block_merge_implIS3_PlPS5_mZN2at6native12_GLOBAL__N_124unique_dim_cuda_templateIsEESt5tupleIJNSA_6TensorESF_SF_EERKSF_lbbbEUlllE_EE10hipError_tT0_T1_T2_jT3_P12ihipStream_tbPNSt15iterator_traitsISL_E10value_typeEPNSR_ISM_E10value_typeEPSN_NS1_7vsmem_tEENKUlT_SL_SM_SN_E_clIS8_S8_S9_S9_EESK_S10_SL_SM_SN_EUlS10_E0_NS1_11comp_targetILNS1_3genE2ELNS1_11target_archE906ELNS1_3gpuE6ELNS1_3repE0EEENS1_38merge_mergepath_config_static_selectorELNS0_4arch9wavefront6targetE1EEEvSM_,comdat
	.globl	_ZN7rocprim17ROCPRIM_400000_NS6detail17trampoline_kernelINS0_14default_configENS1_38merge_sort_block_merge_config_selectorIlNS0_10empty_typeEEEZZNS1_27merge_sort_block_merge_implIS3_PlPS5_mZN2at6native12_GLOBAL__N_124unique_dim_cuda_templateIsEESt5tupleIJNSA_6TensorESF_SF_EERKSF_lbbbEUlllE_EE10hipError_tT0_T1_T2_jT3_P12ihipStream_tbPNSt15iterator_traitsISL_E10value_typeEPNSR_ISM_E10value_typeEPSN_NS1_7vsmem_tEENKUlT_SL_SM_SN_E_clIS8_S8_S9_S9_EESK_S10_SL_SM_SN_EUlS10_E0_NS1_11comp_targetILNS1_3genE2ELNS1_11target_archE906ELNS1_3gpuE6ELNS1_3repE0EEENS1_38merge_mergepath_config_static_selectorELNS0_4arch9wavefront6targetE1EEEvSM_ ; -- Begin function _ZN7rocprim17ROCPRIM_400000_NS6detail17trampoline_kernelINS0_14default_configENS1_38merge_sort_block_merge_config_selectorIlNS0_10empty_typeEEEZZNS1_27merge_sort_block_merge_implIS3_PlPS5_mZN2at6native12_GLOBAL__N_124unique_dim_cuda_templateIsEESt5tupleIJNSA_6TensorESF_SF_EERKSF_lbbbEUlllE_EE10hipError_tT0_T1_T2_jT3_P12ihipStream_tbPNSt15iterator_traitsISL_E10value_typeEPNSR_ISM_E10value_typeEPSN_NS1_7vsmem_tEENKUlT_SL_SM_SN_E_clIS8_S8_S9_S9_EESK_S10_SL_SM_SN_EUlS10_E0_NS1_11comp_targetILNS1_3genE2ELNS1_11target_archE906ELNS1_3gpuE6ELNS1_3repE0EEENS1_38merge_mergepath_config_static_selectorELNS0_4arch9wavefront6targetE1EEEvSM_
	.p2align	8
	.type	_ZN7rocprim17ROCPRIM_400000_NS6detail17trampoline_kernelINS0_14default_configENS1_38merge_sort_block_merge_config_selectorIlNS0_10empty_typeEEEZZNS1_27merge_sort_block_merge_implIS3_PlPS5_mZN2at6native12_GLOBAL__N_124unique_dim_cuda_templateIsEESt5tupleIJNSA_6TensorESF_SF_EERKSF_lbbbEUlllE_EE10hipError_tT0_T1_T2_jT3_P12ihipStream_tbPNSt15iterator_traitsISL_E10value_typeEPNSR_ISM_E10value_typeEPSN_NS1_7vsmem_tEENKUlT_SL_SM_SN_E_clIS8_S8_S9_S9_EESK_S10_SL_SM_SN_EUlS10_E0_NS1_11comp_targetILNS1_3genE2ELNS1_11target_archE906ELNS1_3gpuE6ELNS1_3repE0EEENS1_38merge_mergepath_config_static_selectorELNS0_4arch9wavefront6targetE1EEEvSM_,@function
_ZN7rocprim17ROCPRIM_400000_NS6detail17trampoline_kernelINS0_14default_configENS1_38merge_sort_block_merge_config_selectorIlNS0_10empty_typeEEEZZNS1_27merge_sort_block_merge_implIS3_PlPS5_mZN2at6native12_GLOBAL__N_124unique_dim_cuda_templateIsEESt5tupleIJNSA_6TensorESF_SF_EERKSF_lbbbEUlllE_EE10hipError_tT0_T1_T2_jT3_P12ihipStream_tbPNSt15iterator_traitsISL_E10value_typeEPNSR_ISM_E10value_typeEPSN_NS1_7vsmem_tEENKUlT_SL_SM_SN_E_clIS8_S8_S9_S9_EESK_S10_SL_SM_SN_EUlS10_E0_NS1_11comp_targetILNS1_3genE2ELNS1_11target_archE906ELNS1_3gpuE6ELNS1_3repE0EEENS1_38merge_mergepath_config_static_selectorELNS0_4arch9wavefront6targetE1EEEvSM_: ; @_ZN7rocprim17ROCPRIM_400000_NS6detail17trampoline_kernelINS0_14default_configENS1_38merge_sort_block_merge_config_selectorIlNS0_10empty_typeEEEZZNS1_27merge_sort_block_merge_implIS3_PlPS5_mZN2at6native12_GLOBAL__N_124unique_dim_cuda_templateIsEESt5tupleIJNSA_6TensorESF_SF_EERKSF_lbbbEUlllE_EE10hipError_tT0_T1_T2_jT3_P12ihipStream_tbPNSt15iterator_traitsISL_E10value_typeEPNSR_ISM_E10value_typeEPSN_NS1_7vsmem_tEENKUlT_SL_SM_SN_E_clIS8_S8_S9_S9_EESK_S10_SL_SM_SN_EUlS10_E0_NS1_11comp_targetILNS1_3genE2ELNS1_11target_archE906ELNS1_3gpuE6ELNS1_3repE0EEENS1_38merge_mergepath_config_static_selectorELNS0_4arch9wavefront6targetE1EEEvSM_
; %bb.0:
	.section	.rodata,"a",@progbits
	.p2align	6, 0x0
	.amdhsa_kernel _ZN7rocprim17ROCPRIM_400000_NS6detail17trampoline_kernelINS0_14default_configENS1_38merge_sort_block_merge_config_selectorIlNS0_10empty_typeEEEZZNS1_27merge_sort_block_merge_implIS3_PlPS5_mZN2at6native12_GLOBAL__N_124unique_dim_cuda_templateIsEESt5tupleIJNSA_6TensorESF_SF_EERKSF_lbbbEUlllE_EE10hipError_tT0_T1_T2_jT3_P12ihipStream_tbPNSt15iterator_traitsISL_E10value_typeEPNSR_ISM_E10value_typeEPSN_NS1_7vsmem_tEENKUlT_SL_SM_SN_E_clIS8_S8_S9_S9_EESK_S10_SL_SM_SN_EUlS10_E0_NS1_11comp_targetILNS1_3genE2ELNS1_11target_archE906ELNS1_3gpuE6ELNS1_3repE0EEENS1_38merge_mergepath_config_static_selectorELNS0_4arch9wavefront6targetE1EEEvSM_
		.amdhsa_group_segment_fixed_size 0
		.amdhsa_private_segment_fixed_size 0
		.amdhsa_kernarg_size 88
		.amdhsa_user_sgpr_count 2
		.amdhsa_user_sgpr_dispatch_ptr 0
		.amdhsa_user_sgpr_queue_ptr 0
		.amdhsa_user_sgpr_kernarg_segment_ptr 1
		.amdhsa_user_sgpr_dispatch_id 0
		.amdhsa_user_sgpr_kernarg_preload_length 0
		.amdhsa_user_sgpr_kernarg_preload_offset 0
		.amdhsa_user_sgpr_private_segment_size 0
		.amdhsa_uses_dynamic_stack 0
		.amdhsa_enable_private_segment 0
		.amdhsa_system_sgpr_workgroup_id_x 1
		.amdhsa_system_sgpr_workgroup_id_y 0
		.amdhsa_system_sgpr_workgroup_id_z 0
		.amdhsa_system_sgpr_workgroup_info 0
		.amdhsa_system_vgpr_workitem_id 0
		.amdhsa_next_free_vgpr 1
		.amdhsa_next_free_sgpr 0
		.amdhsa_accum_offset 4
		.amdhsa_reserve_vcc 0
		.amdhsa_float_round_mode_32 0
		.amdhsa_float_round_mode_16_64 0
		.amdhsa_float_denorm_mode_32 3
		.amdhsa_float_denorm_mode_16_64 3
		.amdhsa_dx10_clamp 1
		.amdhsa_ieee_mode 1
		.amdhsa_fp16_overflow 0
		.amdhsa_tg_split 0
		.amdhsa_exception_fp_ieee_invalid_op 0
		.amdhsa_exception_fp_denorm_src 0
		.amdhsa_exception_fp_ieee_div_zero 0
		.amdhsa_exception_fp_ieee_overflow 0
		.amdhsa_exception_fp_ieee_underflow 0
		.amdhsa_exception_fp_ieee_inexact 0
		.amdhsa_exception_int_div_zero 0
	.end_amdhsa_kernel
	.section	.text._ZN7rocprim17ROCPRIM_400000_NS6detail17trampoline_kernelINS0_14default_configENS1_38merge_sort_block_merge_config_selectorIlNS0_10empty_typeEEEZZNS1_27merge_sort_block_merge_implIS3_PlPS5_mZN2at6native12_GLOBAL__N_124unique_dim_cuda_templateIsEESt5tupleIJNSA_6TensorESF_SF_EERKSF_lbbbEUlllE_EE10hipError_tT0_T1_T2_jT3_P12ihipStream_tbPNSt15iterator_traitsISL_E10value_typeEPNSR_ISM_E10value_typeEPSN_NS1_7vsmem_tEENKUlT_SL_SM_SN_E_clIS8_S8_S9_S9_EESK_S10_SL_SM_SN_EUlS10_E0_NS1_11comp_targetILNS1_3genE2ELNS1_11target_archE906ELNS1_3gpuE6ELNS1_3repE0EEENS1_38merge_mergepath_config_static_selectorELNS0_4arch9wavefront6targetE1EEEvSM_,"axG",@progbits,_ZN7rocprim17ROCPRIM_400000_NS6detail17trampoline_kernelINS0_14default_configENS1_38merge_sort_block_merge_config_selectorIlNS0_10empty_typeEEEZZNS1_27merge_sort_block_merge_implIS3_PlPS5_mZN2at6native12_GLOBAL__N_124unique_dim_cuda_templateIsEESt5tupleIJNSA_6TensorESF_SF_EERKSF_lbbbEUlllE_EE10hipError_tT0_T1_T2_jT3_P12ihipStream_tbPNSt15iterator_traitsISL_E10value_typeEPNSR_ISM_E10value_typeEPSN_NS1_7vsmem_tEENKUlT_SL_SM_SN_E_clIS8_S8_S9_S9_EESK_S10_SL_SM_SN_EUlS10_E0_NS1_11comp_targetILNS1_3genE2ELNS1_11target_archE906ELNS1_3gpuE6ELNS1_3repE0EEENS1_38merge_mergepath_config_static_selectorELNS0_4arch9wavefront6targetE1EEEvSM_,comdat
.Lfunc_end649:
	.size	_ZN7rocprim17ROCPRIM_400000_NS6detail17trampoline_kernelINS0_14default_configENS1_38merge_sort_block_merge_config_selectorIlNS0_10empty_typeEEEZZNS1_27merge_sort_block_merge_implIS3_PlPS5_mZN2at6native12_GLOBAL__N_124unique_dim_cuda_templateIsEESt5tupleIJNSA_6TensorESF_SF_EERKSF_lbbbEUlllE_EE10hipError_tT0_T1_T2_jT3_P12ihipStream_tbPNSt15iterator_traitsISL_E10value_typeEPNSR_ISM_E10value_typeEPSN_NS1_7vsmem_tEENKUlT_SL_SM_SN_E_clIS8_S8_S9_S9_EESK_S10_SL_SM_SN_EUlS10_E0_NS1_11comp_targetILNS1_3genE2ELNS1_11target_archE906ELNS1_3gpuE6ELNS1_3repE0EEENS1_38merge_mergepath_config_static_selectorELNS0_4arch9wavefront6targetE1EEEvSM_, .Lfunc_end649-_ZN7rocprim17ROCPRIM_400000_NS6detail17trampoline_kernelINS0_14default_configENS1_38merge_sort_block_merge_config_selectorIlNS0_10empty_typeEEEZZNS1_27merge_sort_block_merge_implIS3_PlPS5_mZN2at6native12_GLOBAL__N_124unique_dim_cuda_templateIsEESt5tupleIJNSA_6TensorESF_SF_EERKSF_lbbbEUlllE_EE10hipError_tT0_T1_T2_jT3_P12ihipStream_tbPNSt15iterator_traitsISL_E10value_typeEPNSR_ISM_E10value_typeEPSN_NS1_7vsmem_tEENKUlT_SL_SM_SN_E_clIS8_S8_S9_S9_EESK_S10_SL_SM_SN_EUlS10_E0_NS1_11comp_targetILNS1_3genE2ELNS1_11target_archE906ELNS1_3gpuE6ELNS1_3repE0EEENS1_38merge_mergepath_config_static_selectorELNS0_4arch9wavefront6targetE1EEEvSM_
                                        ; -- End function
	.set _ZN7rocprim17ROCPRIM_400000_NS6detail17trampoline_kernelINS0_14default_configENS1_38merge_sort_block_merge_config_selectorIlNS0_10empty_typeEEEZZNS1_27merge_sort_block_merge_implIS3_PlPS5_mZN2at6native12_GLOBAL__N_124unique_dim_cuda_templateIsEESt5tupleIJNSA_6TensorESF_SF_EERKSF_lbbbEUlllE_EE10hipError_tT0_T1_T2_jT3_P12ihipStream_tbPNSt15iterator_traitsISL_E10value_typeEPNSR_ISM_E10value_typeEPSN_NS1_7vsmem_tEENKUlT_SL_SM_SN_E_clIS8_S8_S9_S9_EESK_S10_SL_SM_SN_EUlS10_E0_NS1_11comp_targetILNS1_3genE2ELNS1_11target_archE906ELNS1_3gpuE6ELNS1_3repE0EEENS1_38merge_mergepath_config_static_selectorELNS0_4arch9wavefront6targetE1EEEvSM_.num_vgpr, 0
	.set _ZN7rocprim17ROCPRIM_400000_NS6detail17trampoline_kernelINS0_14default_configENS1_38merge_sort_block_merge_config_selectorIlNS0_10empty_typeEEEZZNS1_27merge_sort_block_merge_implIS3_PlPS5_mZN2at6native12_GLOBAL__N_124unique_dim_cuda_templateIsEESt5tupleIJNSA_6TensorESF_SF_EERKSF_lbbbEUlllE_EE10hipError_tT0_T1_T2_jT3_P12ihipStream_tbPNSt15iterator_traitsISL_E10value_typeEPNSR_ISM_E10value_typeEPSN_NS1_7vsmem_tEENKUlT_SL_SM_SN_E_clIS8_S8_S9_S9_EESK_S10_SL_SM_SN_EUlS10_E0_NS1_11comp_targetILNS1_3genE2ELNS1_11target_archE906ELNS1_3gpuE6ELNS1_3repE0EEENS1_38merge_mergepath_config_static_selectorELNS0_4arch9wavefront6targetE1EEEvSM_.num_agpr, 0
	.set _ZN7rocprim17ROCPRIM_400000_NS6detail17trampoline_kernelINS0_14default_configENS1_38merge_sort_block_merge_config_selectorIlNS0_10empty_typeEEEZZNS1_27merge_sort_block_merge_implIS3_PlPS5_mZN2at6native12_GLOBAL__N_124unique_dim_cuda_templateIsEESt5tupleIJNSA_6TensorESF_SF_EERKSF_lbbbEUlllE_EE10hipError_tT0_T1_T2_jT3_P12ihipStream_tbPNSt15iterator_traitsISL_E10value_typeEPNSR_ISM_E10value_typeEPSN_NS1_7vsmem_tEENKUlT_SL_SM_SN_E_clIS8_S8_S9_S9_EESK_S10_SL_SM_SN_EUlS10_E0_NS1_11comp_targetILNS1_3genE2ELNS1_11target_archE906ELNS1_3gpuE6ELNS1_3repE0EEENS1_38merge_mergepath_config_static_selectorELNS0_4arch9wavefront6targetE1EEEvSM_.numbered_sgpr, 0
	.set _ZN7rocprim17ROCPRIM_400000_NS6detail17trampoline_kernelINS0_14default_configENS1_38merge_sort_block_merge_config_selectorIlNS0_10empty_typeEEEZZNS1_27merge_sort_block_merge_implIS3_PlPS5_mZN2at6native12_GLOBAL__N_124unique_dim_cuda_templateIsEESt5tupleIJNSA_6TensorESF_SF_EERKSF_lbbbEUlllE_EE10hipError_tT0_T1_T2_jT3_P12ihipStream_tbPNSt15iterator_traitsISL_E10value_typeEPNSR_ISM_E10value_typeEPSN_NS1_7vsmem_tEENKUlT_SL_SM_SN_E_clIS8_S8_S9_S9_EESK_S10_SL_SM_SN_EUlS10_E0_NS1_11comp_targetILNS1_3genE2ELNS1_11target_archE906ELNS1_3gpuE6ELNS1_3repE0EEENS1_38merge_mergepath_config_static_selectorELNS0_4arch9wavefront6targetE1EEEvSM_.num_named_barrier, 0
	.set _ZN7rocprim17ROCPRIM_400000_NS6detail17trampoline_kernelINS0_14default_configENS1_38merge_sort_block_merge_config_selectorIlNS0_10empty_typeEEEZZNS1_27merge_sort_block_merge_implIS3_PlPS5_mZN2at6native12_GLOBAL__N_124unique_dim_cuda_templateIsEESt5tupleIJNSA_6TensorESF_SF_EERKSF_lbbbEUlllE_EE10hipError_tT0_T1_T2_jT3_P12ihipStream_tbPNSt15iterator_traitsISL_E10value_typeEPNSR_ISM_E10value_typeEPSN_NS1_7vsmem_tEENKUlT_SL_SM_SN_E_clIS8_S8_S9_S9_EESK_S10_SL_SM_SN_EUlS10_E0_NS1_11comp_targetILNS1_3genE2ELNS1_11target_archE906ELNS1_3gpuE6ELNS1_3repE0EEENS1_38merge_mergepath_config_static_selectorELNS0_4arch9wavefront6targetE1EEEvSM_.private_seg_size, 0
	.set _ZN7rocprim17ROCPRIM_400000_NS6detail17trampoline_kernelINS0_14default_configENS1_38merge_sort_block_merge_config_selectorIlNS0_10empty_typeEEEZZNS1_27merge_sort_block_merge_implIS3_PlPS5_mZN2at6native12_GLOBAL__N_124unique_dim_cuda_templateIsEESt5tupleIJNSA_6TensorESF_SF_EERKSF_lbbbEUlllE_EE10hipError_tT0_T1_T2_jT3_P12ihipStream_tbPNSt15iterator_traitsISL_E10value_typeEPNSR_ISM_E10value_typeEPSN_NS1_7vsmem_tEENKUlT_SL_SM_SN_E_clIS8_S8_S9_S9_EESK_S10_SL_SM_SN_EUlS10_E0_NS1_11comp_targetILNS1_3genE2ELNS1_11target_archE906ELNS1_3gpuE6ELNS1_3repE0EEENS1_38merge_mergepath_config_static_selectorELNS0_4arch9wavefront6targetE1EEEvSM_.uses_vcc, 0
	.set _ZN7rocprim17ROCPRIM_400000_NS6detail17trampoline_kernelINS0_14default_configENS1_38merge_sort_block_merge_config_selectorIlNS0_10empty_typeEEEZZNS1_27merge_sort_block_merge_implIS3_PlPS5_mZN2at6native12_GLOBAL__N_124unique_dim_cuda_templateIsEESt5tupleIJNSA_6TensorESF_SF_EERKSF_lbbbEUlllE_EE10hipError_tT0_T1_T2_jT3_P12ihipStream_tbPNSt15iterator_traitsISL_E10value_typeEPNSR_ISM_E10value_typeEPSN_NS1_7vsmem_tEENKUlT_SL_SM_SN_E_clIS8_S8_S9_S9_EESK_S10_SL_SM_SN_EUlS10_E0_NS1_11comp_targetILNS1_3genE2ELNS1_11target_archE906ELNS1_3gpuE6ELNS1_3repE0EEENS1_38merge_mergepath_config_static_selectorELNS0_4arch9wavefront6targetE1EEEvSM_.uses_flat_scratch, 0
	.set _ZN7rocprim17ROCPRIM_400000_NS6detail17trampoline_kernelINS0_14default_configENS1_38merge_sort_block_merge_config_selectorIlNS0_10empty_typeEEEZZNS1_27merge_sort_block_merge_implIS3_PlPS5_mZN2at6native12_GLOBAL__N_124unique_dim_cuda_templateIsEESt5tupleIJNSA_6TensorESF_SF_EERKSF_lbbbEUlllE_EE10hipError_tT0_T1_T2_jT3_P12ihipStream_tbPNSt15iterator_traitsISL_E10value_typeEPNSR_ISM_E10value_typeEPSN_NS1_7vsmem_tEENKUlT_SL_SM_SN_E_clIS8_S8_S9_S9_EESK_S10_SL_SM_SN_EUlS10_E0_NS1_11comp_targetILNS1_3genE2ELNS1_11target_archE906ELNS1_3gpuE6ELNS1_3repE0EEENS1_38merge_mergepath_config_static_selectorELNS0_4arch9wavefront6targetE1EEEvSM_.has_dyn_sized_stack, 0
	.set _ZN7rocprim17ROCPRIM_400000_NS6detail17trampoline_kernelINS0_14default_configENS1_38merge_sort_block_merge_config_selectorIlNS0_10empty_typeEEEZZNS1_27merge_sort_block_merge_implIS3_PlPS5_mZN2at6native12_GLOBAL__N_124unique_dim_cuda_templateIsEESt5tupleIJNSA_6TensorESF_SF_EERKSF_lbbbEUlllE_EE10hipError_tT0_T1_T2_jT3_P12ihipStream_tbPNSt15iterator_traitsISL_E10value_typeEPNSR_ISM_E10value_typeEPSN_NS1_7vsmem_tEENKUlT_SL_SM_SN_E_clIS8_S8_S9_S9_EESK_S10_SL_SM_SN_EUlS10_E0_NS1_11comp_targetILNS1_3genE2ELNS1_11target_archE906ELNS1_3gpuE6ELNS1_3repE0EEENS1_38merge_mergepath_config_static_selectorELNS0_4arch9wavefront6targetE1EEEvSM_.has_recursion, 0
	.set _ZN7rocprim17ROCPRIM_400000_NS6detail17trampoline_kernelINS0_14default_configENS1_38merge_sort_block_merge_config_selectorIlNS0_10empty_typeEEEZZNS1_27merge_sort_block_merge_implIS3_PlPS5_mZN2at6native12_GLOBAL__N_124unique_dim_cuda_templateIsEESt5tupleIJNSA_6TensorESF_SF_EERKSF_lbbbEUlllE_EE10hipError_tT0_T1_T2_jT3_P12ihipStream_tbPNSt15iterator_traitsISL_E10value_typeEPNSR_ISM_E10value_typeEPSN_NS1_7vsmem_tEENKUlT_SL_SM_SN_E_clIS8_S8_S9_S9_EESK_S10_SL_SM_SN_EUlS10_E0_NS1_11comp_targetILNS1_3genE2ELNS1_11target_archE906ELNS1_3gpuE6ELNS1_3repE0EEENS1_38merge_mergepath_config_static_selectorELNS0_4arch9wavefront6targetE1EEEvSM_.has_indirect_call, 0
	.section	.AMDGPU.csdata,"",@progbits
; Kernel info:
; codeLenInByte = 0
; TotalNumSgprs: 6
; NumVgprs: 0
; NumAgprs: 0
; TotalNumVgprs: 0
; ScratchSize: 0
; MemoryBound: 0
; FloatMode: 240
; IeeeMode: 1
; LDSByteSize: 0 bytes/workgroup (compile time only)
; SGPRBlocks: 0
; VGPRBlocks: 0
; NumSGPRsForWavesPerEU: 6
; NumVGPRsForWavesPerEU: 1
; AccumOffset: 4
; Occupancy: 8
; WaveLimiterHint : 0
; COMPUTE_PGM_RSRC2:SCRATCH_EN: 0
; COMPUTE_PGM_RSRC2:USER_SGPR: 2
; COMPUTE_PGM_RSRC2:TRAP_HANDLER: 0
; COMPUTE_PGM_RSRC2:TGID_X_EN: 1
; COMPUTE_PGM_RSRC2:TGID_Y_EN: 0
; COMPUTE_PGM_RSRC2:TGID_Z_EN: 0
; COMPUTE_PGM_RSRC2:TIDIG_COMP_CNT: 0
; COMPUTE_PGM_RSRC3_GFX90A:ACCUM_OFFSET: 0
; COMPUTE_PGM_RSRC3_GFX90A:TG_SPLIT: 0
	.section	.text._ZN7rocprim17ROCPRIM_400000_NS6detail17trampoline_kernelINS0_14default_configENS1_38merge_sort_block_merge_config_selectorIlNS0_10empty_typeEEEZZNS1_27merge_sort_block_merge_implIS3_PlPS5_mZN2at6native12_GLOBAL__N_124unique_dim_cuda_templateIsEESt5tupleIJNSA_6TensorESF_SF_EERKSF_lbbbEUlllE_EE10hipError_tT0_T1_T2_jT3_P12ihipStream_tbPNSt15iterator_traitsISL_E10value_typeEPNSR_ISM_E10value_typeEPSN_NS1_7vsmem_tEENKUlT_SL_SM_SN_E_clIS8_S8_S9_S9_EESK_S10_SL_SM_SN_EUlS10_E0_NS1_11comp_targetILNS1_3genE9ELNS1_11target_archE1100ELNS1_3gpuE3ELNS1_3repE0EEENS1_38merge_mergepath_config_static_selectorELNS0_4arch9wavefront6targetE1EEEvSM_,"axG",@progbits,_ZN7rocprim17ROCPRIM_400000_NS6detail17trampoline_kernelINS0_14default_configENS1_38merge_sort_block_merge_config_selectorIlNS0_10empty_typeEEEZZNS1_27merge_sort_block_merge_implIS3_PlPS5_mZN2at6native12_GLOBAL__N_124unique_dim_cuda_templateIsEESt5tupleIJNSA_6TensorESF_SF_EERKSF_lbbbEUlllE_EE10hipError_tT0_T1_T2_jT3_P12ihipStream_tbPNSt15iterator_traitsISL_E10value_typeEPNSR_ISM_E10value_typeEPSN_NS1_7vsmem_tEENKUlT_SL_SM_SN_E_clIS8_S8_S9_S9_EESK_S10_SL_SM_SN_EUlS10_E0_NS1_11comp_targetILNS1_3genE9ELNS1_11target_archE1100ELNS1_3gpuE3ELNS1_3repE0EEENS1_38merge_mergepath_config_static_selectorELNS0_4arch9wavefront6targetE1EEEvSM_,comdat
	.globl	_ZN7rocprim17ROCPRIM_400000_NS6detail17trampoline_kernelINS0_14default_configENS1_38merge_sort_block_merge_config_selectorIlNS0_10empty_typeEEEZZNS1_27merge_sort_block_merge_implIS3_PlPS5_mZN2at6native12_GLOBAL__N_124unique_dim_cuda_templateIsEESt5tupleIJNSA_6TensorESF_SF_EERKSF_lbbbEUlllE_EE10hipError_tT0_T1_T2_jT3_P12ihipStream_tbPNSt15iterator_traitsISL_E10value_typeEPNSR_ISM_E10value_typeEPSN_NS1_7vsmem_tEENKUlT_SL_SM_SN_E_clIS8_S8_S9_S9_EESK_S10_SL_SM_SN_EUlS10_E0_NS1_11comp_targetILNS1_3genE9ELNS1_11target_archE1100ELNS1_3gpuE3ELNS1_3repE0EEENS1_38merge_mergepath_config_static_selectorELNS0_4arch9wavefront6targetE1EEEvSM_ ; -- Begin function _ZN7rocprim17ROCPRIM_400000_NS6detail17trampoline_kernelINS0_14default_configENS1_38merge_sort_block_merge_config_selectorIlNS0_10empty_typeEEEZZNS1_27merge_sort_block_merge_implIS3_PlPS5_mZN2at6native12_GLOBAL__N_124unique_dim_cuda_templateIsEESt5tupleIJNSA_6TensorESF_SF_EERKSF_lbbbEUlllE_EE10hipError_tT0_T1_T2_jT3_P12ihipStream_tbPNSt15iterator_traitsISL_E10value_typeEPNSR_ISM_E10value_typeEPSN_NS1_7vsmem_tEENKUlT_SL_SM_SN_E_clIS8_S8_S9_S9_EESK_S10_SL_SM_SN_EUlS10_E0_NS1_11comp_targetILNS1_3genE9ELNS1_11target_archE1100ELNS1_3gpuE3ELNS1_3repE0EEENS1_38merge_mergepath_config_static_selectorELNS0_4arch9wavefront6targetE1EEEvSM_
	.p2align	8
	.type	_ZN7rocprim17ROCPRIM_400000_NS6detail17trampoline_kernelINS0_14default_configENS1_38merge_sort_block_merge_config_selectorIlNS0_10empty_typeEEEZZNS1_27merge_sort_block_merge_implIS3_PlPS5_mZN2at6native12_GLOBAL__N_124unique_dim_cuda_templateIsEESt5tupleIJNSA_6TensorESF_SF_EERKSF_lbbbEUlllE_EE10hipError_tT0_T1_T2_jT3_P12ihipStream_tbPNSt15iterator_traitsISL_E10value_typeEPNSR_ISM_E10value_typeEPSN_NS1_7vsmem_tEENKUlT_SL_SM_SN_E_clIS8_S8_S9_S9_EESK_S10_SL_SM_SN_EUlS10_E0_NS1_11comp_targetILNS1_3genE9ELNS1_11target_archE1100ELNS1_3gpuE3ELNS1_3repE0EEENS1_38merge_mergepath_config_static_selectorELNS0_4arch9wavefront6targetE1EEEvSM_,@function
_ZN7rocprim17ROCPRIM_400000_NS6detail17trampoline_kernelINS0_14default_configENS1_38merge_sort_block_merge_config_selectorIlNS0_10empty_typeEEEZZNS1_27merge_sort_block_merge_implIS3_PlPS5_mZN2at6native12_GLOBAL__N_124unique_dim_cuda_templateIsEESt5tupleIJNSA_6TensorESF_SF_EERKSF_lbbbEUlllE_EE10hipError_tT0_T1_T2_jT3_P12ihipStream_tbPNSt15iterator_traitsISL_E10value_typeEPNSR_ISM_E10value_typeEPSN_NS1_7vsmem_tEENKUlT_SL_SM_SN_E_clIS8_S8_S9_S9_EESK_S10_SL_SM_SN_EUlS10_E0_NS1_11comp_targetILNS1_3genE9ELNS1_11target_archE1100ELNS1_3gpuE3ELNS1_3repE0EEENS1_38merge_mergepath_config_static_selectorELNS0_4arch9wavefront6targetE1EEEvSM_: ; @_ZN7rocprim17ROCPRIM_400000_NS6detail17trampoline_kernelINS0_14default_configENS1_38merge_sort_block_merge_config_selectorIlNS0_10empty_typeEEEZZNS1_27merge_sort_block_merge_implIS3_PlPS5_mZN2at6native12_GLOBAL__N_124unique_dim_cuda_templateIsEESt5tupleIJNSA_6TensorESF_SF_EERKSF_lbbbEUlllE_EE10hipError_tT0_T1_T2_jT3_P12ihipStream_tbPNSt15iterator_traitsISL_E10value_typeEPNSR_ISM_E10value_typeEPSN_NS1_7vsmem_tEENKUlT_SL_SM_SN_E_clIS8_S8_S9_S9_EESK_S10_SL_SM_SN_EUlS10_E0_NS1_11comp_targetILNS1_3genE9ELNS1_11target_archE1100ELNS1_3gpuE3ELNS1_3repE0EEENS1_38merge_mergepath_config_static_selectorELNS0_4arch9wavefront6targetE1EEEvSM_
; %bb.0:
	.section	.rodata,"a",@progbits
	.p2align	6, 0x0
	.amdhsa_kernel _ZN7rocprim17ROCPRIM_400000_NS6detail17trampoline_kernelINS0_14default_configENS1_38merge_sort_block_merge_config_selectorIlNS0_10empty_typeEEEZZNS1_27merge_sort_block_merge_implIS3_PlPS5_mZN2at6native12_GLOBAL__N_124unique_dim_cuda_templateIsEESt5tupleIJNSA_6TensorESF_SF_EERKSF_lbbbEUlllE_EE10hipError_tT0_T1_T2_jT3_P12ihipStream_tbPNSt15iterator_traitsISL_E10value_typeEPNSR_ISM_E10value_typeEPSN_NS1_7vsmem_tEENKUlT_SL_SM_SN_E_clIS8_S8_S9_S9_EESK_S10_SL_SM_SN_EUlS10_E0_NS1_11comp_targetILNS1_3genE9ELNS1_11target_archE1100ELNS1_3gpuE3ELNS1_3repE0EEENS1_38merge_mergepath_config_static_selectorELNS0_4arch9wavefront6targetE1EEEvSM_
		.amdhsa_group_segment_fixed_size 0
		.amdhsa_private_segment_fixed_size 0
		.amdhsa_kernarg_size 88
		.amdhsa_user_sgpr_count 2
		.amdhsa_user_sgpr_dispatch_ptr 0
		.amdhsa_user_sgpr_queue_ptr 0
		.amdhsa_user_sgpr_kernarg_segment_ptr 1
		.amdhsa_user_sgpr_dispatch_id 0
		.amdhsa_user_sgpr_kernarg_preload_length 0
		.amdhsa_user_sgpr_kernarg_preload_offset 0
		.amdhsa_user_sgpr_private_segment_size 0
		.amdhsa_uses_dynamic_stack 0
		.amdhsa_enable_private_segment 0
		.amdhsa_system_sgpr_workgroup_id_x 1
		.amdhsa_system_sgpr_workgroup_id_y 0
		.amdhsa_system_sgpr_workgroup_id_z 0
		.amdhsa_system_sgpr_workgroup_info 0
		.amdhsa_system_vgpr_workitem_id 0
		.amdhsa_next_free_vgpr 1
		.amdhsa_next_free_sgpr 0
		.amdhsa_accum_offset 4
		.amdhsa_reserve_vcc 0
		.amdhsa_float_round_mode_32 0
		.amdhsa_float_round_mode_16_64 0
		.amdhsa_float_denorm_mode_32 3
		.amdhsa_float_denorm_mode_16_64 3
		.amdhsa_dx10_clamp 1
		.amdhsa_ieee_mode 1
		.amdhsa_fp16_overflow 0
		.amdhsa_tg_split 0
		.amdhsa_exception_fp_ieee_invalid_op 0
		.amdhsa_exception_fp_denorm_src 0
		.amdhsa_exception_fp_ieee_div_zero 0
		.amdhsa_exception_fp_ieee_overflow 0
		.amdhsa_exception_fp_ieee_underflow 0
		.amdhsa_exception_fp_ieee_inexact 0
		.amdhsa_exception_int_div_zero 0
	.end_amdhsa_kernel
	.section	.text._ZN7rocprim17ROCPRIM_400000_NS6detail17trampoline_kernelINS0_14default_configENS1_38merge_sort_block_merge_config_selectorIlNS0_10empty_typeEEEZZNS1_27merge_sort_block_merge_implIS3_PlPS5_mZN2at6native12_GLOBAL__N_124unique_dim_cuda_templateIsEESt5tupleIJNSA_6TensorESF_SF_EERKSF_lbbbEUlllE_EE10hipError_tT0_T1_T2_jT3_P12ihipStream_tbPNSt15iterator_traitsISL_E10value_typeEPNSR_ISM_E10value_typeEPSN_NS1_7vsmem_tEENKUlT_SL_SM_SN_E_clIS8_S8_S9_S9_EESK_S10_SL_SM_SN_EUlS10_E0_NS1_11comp_targetILNS1_3genE9ELNS1_11target_archE1100ELNS1_3gpuE3ELNS1_3repE0EEENS1_38merge_mergepath_config_static_selectorELNS0_4arch9wavefront6targetE1EEEvSM_,"axG",@progbits,_ZN7rocprim17ROCPRIM_400000_NS6detail17trampoline_kernelINS0_14default_configENS1_38merge_sort_block_merge_config_selectorIlNS0_10empty_typeEEEZZNS1_27merge_sort_block_merge_implIS3_PlPS5_mZN2at6native12_GLOBAL__N_124unique_dim_cuda_templateIsEESt5tupleIJNSA_6TensorESF_SF_EERKSF_lbbbEUlllE_EE10hipError_tT0_T1_T2_jT3_P12ihipStream_tbPNSt15iterator_traitsISL_E10value_typeEPNSR_ISM_E10value_typeEPSN_NS1_7vsmem_tEENKUlT_SL_SM_SN_E_clIS8_S8_S9_S9_EESK_S10_SL_SM_SN_EUlS10_E0_NS1_11comp_targetILNS1_3genE9ELNS1_11target_archE1100ELNS1_3gpuE3ELNS1_3repE0EEENS1_38merge_mergepath_config_static_selectorELNS0_4arch9wavefront6targetE1EEEvSM_,comdat
.Lfunc_end650:
	.size	_ZN7rocprim17ROCPRIM_400000_NS6detail17trampoline_kernelINS0_14default_configENS1_38merge_sort_block_merge_config_selectorIlNS0_10empty_typeEEEZZNS1_27merge_sort_block_merge_implIS3_PlPS5_mZN2at6native12_GLOBAL__N_124unique_dim_cuda_templateIsEESt5tupleIJNSA_6TensorESF_SF_EERKSF_lbbbEUlllE_EE10hipError_tT0_T1_T2_jT3_P12ihipStream_tbPNSt15iterator_traitsISL_E10value_typeEPNSR_ISM_E10value_typeEPSN_NS1_7vsmem_tEENKUlT_SL_SM_SN_E_clIS8_S8_S9_S9_EESK_S10_SL_SM_SN_EUlS10_E0_NS1_11comp_targetILNS1_3genE9ELNS1_11target_archE1100ELNS1_3gpuE3ELNS1_3repE0EEENS1_38merge_mergepath_config_static_selectorELNS0_4arch9wavefront6targetE1EEEvSM_, .Lfunc_end650-_ZN7rocprim17ROCPRIM_400000_NS6detail17trampoline_kernelINS0_14default_configENS1_38merge_sort_block_merge_config_selectorIlNS0_10empty_typeEEEZZNS1_27merge_sort_block_merge_implIS3_PlPS5_mZN2at6native12_GLOBAL__N_124unique_dim_cuda_templateIsEESt5tupleIJNSA_6TensorESF_SF_EERKSF_lbbbEUlllE_EE10hipError_tT0_T1_T2_jT3_P12ihipStream_tbPNSt15iterator_traitsISL_E10value_typeEPNSR_ISM_E10value_typeEPSN_NS1_7vsmem_tEENKUlT_SL_SM_SN_E_clIS8_S8_S9_S9_EESK_S10_SL_SM_SN_EUlS10_E0_NS1_11comp_targetILNS1_3genE9ELNS1_11target_archE1100ELNS1_3gpuE3ELNS1_3repE0EEENS1_38merge_mergepath_config_static_selectorELNS0_4arch9wavefront6targetE1EEEvSM_
                                        ; -- End function
	.set _ZN7rocprim17ROCPRIM_400000_NS6detail17trampoline_kernelINS0_14default_configENS1_38merge_sort_block_merge_config_selectorIlNS0_10empty_typeEEEZZNS1_27merge_sort_block_merge_implIS3_PlPS5_mZN2at6native12_GLOBAL__N_124unique_dim_cuda_templateIsEESt5tupleIJNSA_6TensorESF_SF_EERKSF_lbbbEUlllE_EE10hipError_tT0_T1_T2_jT3_P12ihipStream_tbPNSt15iterator_traitsISL_E10value_typeEPNSR_ISM_E10value_typeEPSN_NS1_7vsmem_tEENKUlT_SL_SM_SN_E_clIS8_S8_S9_S9_EESK_S10_SL_SM_SN_EUlS10_E0_NS1_11comp_targetILNS1_3genE9ELNS1_11target_archE1100ELNS1_3gpuE3ELNS1_3repE0EEENS1_38merge_mergepath_config_static_selectorELNS0_4arch9wavefront6targetE1EEEvSM_.num_vgpr, 0
	.set _ZN7rocprim17ROCPRIM_400000_NS6detail17trampoline_kernelINS0_14default_configENS1_38merge_sort_block_merge_config_selectorIlNS0_10empty_typeEEEZZNS1_27merge_sort_block_merge_implIS3_PlPS5_mZN2at6native12_GLOBAL__N_124unique_dim_cuda_templateIsEESt5tupleIJNSA_6TensorESF_SF_EERKSF_lbbbEUlllE_EE10hipError_tT0_T1_T2_jT3_P12ihipStream_tbPNSt15iterator_traitsISL_E10value_typeEPNSR_ISM_E10value_typeEPSN_NS1_7vsmem_tEENKUlT_SL_SM_SN_E_clIS8_S8_S9_S9_EESK_S10_SL_SM_SN_EUlS10_E0_NS1_11comp_targetILNS1_3genE9ELNS1_11target_archE1100ELNS1_3gpuE3ELNS1_3repE0EEENS1_38merge_mergepath_config_static_selectorELNS0_4arch9wavefront6targetE1EEEvSM_.num_agpr, 0
	.set _ZN7rocprim17ROCPRIM_400000_NS6detail17trampoline_kernelINS0_14default_configENS1_38merge_sort_block_merge_config_selectorIlNS0_10empty_typeEEEZZNS1_27merge_sort_block_merge_implIS3_PlPS5_mZN2at6native12_GLOBAL__N_124unique_dim_cuda_templateIsEESt5tupleIJNSA_6TensorESF_SF_EERKSF_lbbbEUlllE_EE10hipError_tT0_T1_T2_jT3_P12ihipStream_tbPNSt15iterator_traitsISL_E10value_typeEPNSR_ISM_E10value_typeEPSN_NS1_7vsmem_tEENKUlT_SL_SM_SN_E_clIS8_S8_S9_S9_EESK_S10_SL_SM_SN_EUlS10_E0_NS1_11comp_targetILNS1_3genE9ELNS1_11target_archE1100ELNS1_3gpuE3ELNS1_3repE0EEENS1_38merge_mergepath_config_static_selectorELNS0_4arch9wavefront6targetE1EEEvSM_.numbered_sgpr, 0
	.set _ZN7rocprim17ROCPRIM_400000_NS6detail17trampoline_kernelINS0_14default_configENS1_38merge_sort_block_merge_config_selectorIlNS0_10empty_typeEEEZZNS1_27merge_sort_block_merge_implIS3_PlPS5_mZN2at6native12_GLOBAL__N_124unique_dim_cuda_templateIsEESt5tupleIJNSA_6TensorESF_SF_EERKSF_lbbbEUlllE_EE10hipError_tT0_T1_T2_jT3_P12ihipStream_tbPNSt15iterator_traitsISL_E10value_typeEPNSR_ISM_E10value_typeEPSN_NS1_7vsmem_tEENKUlT_SL_SM_SN_E_clIS8_S8_S9_S9_EESK_S10_SL_SM_SN_EUlS10_E0_NS1_11comp_targetILNS1_3genE9ELNS1_11target_archE1100ELNS1_3gpuE3ELNS1_3repE0EEENS1_38merge_mergepath_config_static_selectorELNS0_4arch9wavefront6targetE1EEEvSM_.num_named_barrier, 0
	.set _ZN7rocprim17ROCPRIM_400000_NS6detail17trampoline_kernelINS0_14default_configENS1_38merge_sort_block_merge_config_selectorIlNS0_10empty_typeEEEZZNS1_27merge_sort_block_merge_implIS3_PlPS5_mZN2at6native12_GLOBAL__N_124unique_dim_cuda_templateIsEESt5tupleIJNSA_6TensorESF_SF_EERKSF_lbbbEUlllE_EE10hipError_tT0_T1_T2_jT3_P12ihipStream_tbPNSt15iterator_traitsISL_E10value_typeEPNSR_ISM_E10value_typeEPSN_NS1_7vsmem_tEENKUlT_SL_SM_SN_E_clIS8_S8_S9_S9_EESK_S10_SL_SM_SN_EUlS10_E0_NS1_11comp_targetILNS1_3genE9ELNS1_11target_archE1100ELNS1_3gpuE3ELNS1_3repE0EEENS1_38merge_mergepath_config_static_selectorELNS0_4arch9wavefront6targetE1EEEvSM_.private_seg_size, 0
	.set _ZN7rocprim17ROCPRIM_400000_NS6detail17trampoline_kernelINS0_14default_configENS1_38merge_sort_block_merge_config_selectorIlNS0_10empty_typeEEEZZNS1_27merge_sort_block_merge_implIS3_PlPS5_mZN2at6native12_GLOBAL__N_124unique_dim_cuda_templateIsEESt5tupleIJNSA_6TensorESF_SF_EERKSF_lbbbEUlllE_EE10hipError_tT0_T1_T2_jT3_P12ihipStream_tbPNSt15iterator_traitsISL_E10value_typeEPNSR_ISM_E10value_typeEPSN_NS1_7vsmem_tEENKUlT_SL_SM_SN_E_clIS8_S8_S9_S9_EESK_S10_SL_SM_SN_EUlS10_E0_NS1_11comp_targetILNS1_3genE9ELNS1_11target_archE1100ELNS1_3gpuE3ELNS1_3repE0EEENS1_38merge_mergepath_config_static_selectorELNS0_4arch9wavefront6targetE1EEEvSM_.uses_vcc, 0
	.set _ZN7rocprim17ROCPRIM_400000_NS6detail17trampoline_kernelINS0_14default_configENS1_38merge_sort_block_merge_config_selectorIlNS0_10empty_typeEEEZZNS1_27merge_sort_block_merge_implIS3_PlPS5_mZN2at6native12_GLOBAL__N_124unique_dim_cuda_templateIsEESt5tupleIJNSA_6TensorESF_SF_EERKSF_lbbbEUlllE_EE10hipError_tT0_T1_T2_jT3_P12ihipStream_tbPNSt15iterator_traitsISL_E10value_typeEPNSR_ISM_E10value_typeEPSN_NS1_7vsmem_tEENKUlT_SL_SM_SN_E_clIS8_S8_S9_S9_EESK_S10_SL_SM_SN_EUlS10_E0_NS1_11comp_targetILNS1_3genE9ELNS1_11target_archE1100ELNS1_3gpuE3ELNS1_3repE0EEENS1_38merge_mergepath_config_static_selectorELNS0_4arch9wavefront6targetE1EEEvSM_.uses_flat_scratch, 0
	.set _ZN7rocprim17ROCPRIM_400000_NS6detail17trampoline_kernelINS0_14default_configENS1_38merge_sort_block_merge_config_selectorIlNS0_10empty_typeEEEZZNS1_27merge_sort_block_merge_implIS3_PlPS5_mZN2at6native12_GLOBAL__N_124unique_dim_cuda_templateIsEESt5tupleIJNSA_6TensorESF_SF_EERKSF_lbbbEUlllE_EE10hipError_tT0_T1_T2_jT3_P12ihipStream_tbPNSt15iterator_traitsISL_E10value_typeEPNSR_ISM_E10value_typeEPSN_NS1_7vsmem_tEENKUlT_SL_SM_SN_E_clIS8_S8_S9_S9_EESK_S10_SL_SM_SN_EUlS10_E0_NS1_11comp_targetILNS1_3genE9ELNS1_11target_archE1100ELNS1_3gpuE3ELNS1_3repE0EEENS1_38merge_mergepath_config_static_selectorELNS0_4arch9wavefront6targetE1EEEvSM_.has_dyn_sized_stack, 0
	.set _ZN7rocprim17ROCPRIM_400000_NS6detail17trampoline_kernelINS0_14default_configENS1_38merge_sort_block_merge_config_selectorIlNS0_10empty_typeEEEZZNS1_27merge_sort_block_merge_implIS3_PlPS5_mZN2at6native12_GLOBAL__N_124unique_dim_cuda_templateIsEESt5tupleIJNSA_6TensorESF_SF_EERKSF_lbbbEUlllE_EE10hipError_tT0_T1_T2_jT3_P12ihipStream_tbPNSt15iterator_traitsISL_E10value_typeEPNSR_ISM_E10value_typeEPSN_NS1_7vsmem_tEENKUlT_SL_SM_SN_E_clIS8_S8_S9_S9_EESK_S10_SL_SM_SN_EUlS10_E0_NS1_11comp_targetILNS1_3genE9ELNS1_11target_archE1100ELNS1_3gpuE3ELNS1_3repE0EEENS1_38merge_mergepath_config_static_selectorELNS0_4arch9wavefront6targetE1EEEvSM_.has_recursion, 0
	.set _ZN7rocprim17ROCPRIM_400000_NS6detail17trampoline_kernelINS0_14default_configENS1_38merge_sort_block_merge_config_selectorIlNS0_10empty_typeEEEZZNS1_27merge_sort_block_merge_implIS3_PlPS5_mZN2at6native12_GLOBAL__N_124unique_dim_cuda_templateIsEESt5tupleIJNSA_6TensorESF_SF_EERKSF_lbbbEUlllE_EE10hipError_tT0_T1_T2_jT3_P12ihipStream_tbPNSt15iterator_traitsISL_E10value_typeEPNSR_ISM_E10value_typeEPSN_NS1_7vsmem_tEENKUlT_SL_SM_SN_E_clIS8_S8_S9_S9_EESK_S10_SL_SM_SN_EUlS10_E0_NS1_11comp_targetILNS1_3genE9ELNS1_11target_archE1100ELNS1_3gpuE3ELNS1_3repE0EEENS1_38merge_mergepath_config_static_selectorELNS0_4arch9wavefront6targetE1EEEvSM_.has_indirect_call, 0
	.section	.AMDGPU.csdata,"",@progbits
; Kernel info:
; codeLenInByte = 0
; TotalNumSgprs: 6
; NumVgprs: 0
; NumAgprs: 0
; TotalNumVgprs: 0
; ScratchSize: 0
; MemoryBound: 0
; FloatMode: 240
; IeeeMode: 1
; LDSByteSize: 0 bytes/workgroup (compile time only)
; SGPRBlocks: 0
; VGPRBlocks: 0
; NumSGPRsForWavesPerEU: 6
; NumVGPRsForWavesPerEU: 1
; AccumOffset: 4
; Occupancy: 8
; WaveLimiterHint : 0
; COMPUTE_PGM_RSRC2:SCRATCH_EN: 0
; COMPUTE_PGM_RSRC2:USER_SGPR: 2
; COMPUTE_PGM_RSRC2:TRAP_HANDLER: 0
; COMPUTE_PGM_RSRC2:TGID_X_EN: 1
; COMPUTE_PGM_RSRC2:TGID_Y_EN: 0
; COMPUTE_PGM_RSRC2:TGID_Z_EN: 0
; COMPUTE_PGM_RSRC2:TIDIG_COMP_CNT: 0
; COMPUTE_PGM_RSRC3_GFX90A:ACCUM_OFFSET: 0
; COMPUTE_PGM_RSRC3_GFX90A:TG_SPLIT: 0
	.section	.text._ZN7rocprim17ROCPRIM_400000_NS6detail17trampoline_kernelINS0_14default_configENS1_38merge_sort_block_merge_config_selectorIlNS0_10empty_typeEEEZZNS1_27merge_sort_block_merge_implIS3_PlPS5_mZN2at6native12_GLOBAL__N_124unique_dim_cuda_templateIsEESt5tupleIJNSA_6TensorESF_SF_EERKSF_lbbbEUlllE_EE10hipError_tT0_T1_T2_jT3_P12ihipStream_tbPNSt15iterator_traitsISL_E10value_typeEPNSR_ISM_E10value_typeEPSN_NS1_7vsmem_tEENKUlT_SL_SM_SN_E_clIS8_S8_S9_S9_EESK_S10_SL_SM_SN_EUlS10_E0_NS1_11comp_targetILNS1_3genE8ELNS1_11target_archE1030ELNS1_3gpuE2ELNS1_3repE0EEENS1_38merge_mergepath_config_static_selectorELNS0_4arch9wavefront6targetE1EEEvSM_,"axG",@progbits,_ZN7rocprim17ROCPRIM_400000_NS6detail17trampoline_kernelINS0_14default_configENS1_38merge_sort_block_merge_config_selectorIlNS0_10empty_typeEEEZZNS1_27merge_sort_block_merge_implIS3_PlPS5_mZN2at6native12_GLOBAL__N_124unique_dim_cuda_templateIsEESt5tupleIJNSA_6TensorESF_SF_EERKSF_lbbbEUlllE_EE10hipError_tT0_T1_T2_jT3_P12ihipStream_tbPNSt15iterator_traitsISL_E10value_typeEPNSR_ISM_E10value_typeEPSN_NS1_7vsmem_tEENKUlT_SL_SM_SN_E_clIS8_S8_S9_S9_EESK_S10_SL_SM_SN_EUlS10_E0_NS1_11comp_targetILNS1_3genE8ELNS1_11target_archE1030ELNS1_3gpuE2ELNS1_3repE0EEENS1_38merge_mergepath_config_static_selectorELNS0_4arch9wavefront6targetE1EEEvSM_,comdat
	.globl	_ZN7rocprim17ROCPRIM_400000_NS6detail17trampoline_kernelINS0_14default_configENS1_38merge_sort_block_merge_config_selectorIlNS0_10empty_typeEEEZZNS1_27merge_sort_block_merge_implIS3_PlPS5_mZN2at6native12_GLOBAL__N_124unique_dim_cuda_templateIsEESt5tupleIJNSA_6TensorESF_SF_EERKSF_lbbbEUlllE_EE10hipError_tT0_T1_T2_jT3_P12ihipStream_tbPNSt15iterator_traitsISL_E10value_typeEPNSR_ISM_E10value_typeEPSN_NS1_7vsmem_tEENKUlT_SL_SM_SN_E_clIS8_S8_S9_S9_EESK_S10_SL_SM_SN_EUlS10_E0_NS1_11comp_targetILNS1_3genE8ELNS1_11target_archE1030ELNS1_3gpuE2ELNS1_3repE0EEENS1_38merge_mergepath_config_static_selectorELNS0_4arch9wavefront6targetE1EEEvSM_ ; -- Begin function _ZN7rocprim17ROCPRIM_400000_NS6detail17trampoline_kernelINS0_14default_configENS1_38merge_sort_block_merge_config_selectorIlNS0_10empty_typeEEEZZNS1_27merge_sort_block_merge_implIS3_PlPS5_mZN2at6native12_GLOBAL__N_124unique_dim_cuda_templateIsEESt5tupleIJNSA_6TensorESF_SF_EERKSF_lbbbEUlllE_EE10hipError_tT0_T1_T2_jT3_P12ihipStream_tbPNSt15iterator_traitsISL_E10value_typeEPNSR_ISM_E10value_typeEPSN_NS1_7vsmem_tEENKUlT_SL_SM_SN_E_clIS8_S8_S9_S9_EESK_S10_SL_SM_SN_EUlS10_E0_NS1_11comp_targetILNS1_3genE8ELNS1_11target_archE1030ELNS1_3gpuE2ELNS1_3repE0EEENS1_38merge_mergepath_config_static_selectorELNS0_4arch9wavefront6targetE1EEEvSM_
	.p2align	8
	.type	_ZN7rocprim17ROCPRIM_400000_NS6detail17trampoline_kernelINS0_14default_configENS1_38merge_sort_block_merge_config_selectorIlNS0_10empty_typeEEEZZNS1_27merge_sort_block_merge_implIS3_PlPS5_mZN2at6native12_GLOBAL__N_124unique_dim_cuda_templateIsEESt5tupleIJNSA_6TensorESF_SF_EERKSF_lbbbEUlllE_EE10hipError_tT0_T1_T2_jT3_P12ihipStream_tbPNSt15iterator_traitsISL_E10value_typeEPNSR_ISM_E10value_typeEPSN_NS1_7vsmem_tEENKUlT_SL_SM_SN_E_clIS8_S8_S9_S9_EESK_S10_SL_SM_SN_EUlS10_E0_NS1_11comp_targetILNS1_3genE8ELNS1_11target_archE1030ELNS1_3gpuE2ELNS1_3repE0EEENS1_38merge_mergepath_config_static_selectorELNS0_4arch9wavefront6targetE1EEEvSM_,@function
_ZN7rocprim17ROCPRIM_400000_NS6detail17trampoline_kernelINS0_14default_configENS1_38merge_sort_block_merge_config_selectorIlNS0_10empty_typeEEEZZNS1_27merge_sort_block_merge_implIS3_PlPS5_mZN2at6native12_GLOBAL__N_124unique_dim_cuda_templateIsEESt5tupleIJNSA_6TensorESF_SF_EERKSF_lbbbEUlllE_EE10hipError_tT0_T1_T2_jT3_P12ihipStream_tbPNSt15iterator_traitsISL_E10value_typeEPNSR_ISM_E10value_typeEPSN_NS1_7vsmem_tEENKUlT_SL_SM_SN_E_clIS8_S8_S9_S9_EESK_S10_SL_SM_SN_EUlS10_E0_NS1_11comp_targetILNS1_3genE8ELNS1_11target_archE1030ELNS1_3gpuE2ELNS1_3repE0EEENS1_38merge_mergepath_config_static_selectorELNS0_4arch9wavefront6targetE1EEEvSM_: ; @_ZN7rocprim17ROCPRIM_400000_NS6detail17trampoline_kernelINS0_14default_configENS1_38merge_sort_block_merge_config_selectorIlNS0_10empty_typeEEEZZNS1_27merge_sort_block_merge_implIS3_PlPS5_mZN2at6native12_GLOBAL__N_124unique_dim_cuda_templateIsEESt5tupleIJNSA_6TensorESF_SF_EERKSF_lbbbEUlllE_EE10hipError_tT0_T1_T2_jT3_P12ihipStream_tbPNSt15iterator_traitsISL_E10value_typeEPNSR_ISM_E10value_typeEPSN_NS1_7vsmem_tEENKUlT_SL_SM_SN_E_clIS8_S8_S9_S9_EESK_S10_SL_SM_SN_EUlS10_E0_NS1_11comp_targetILNS1_3genE8ELNS1_11target_archE1030ELNS1_3gpuE2ELNS1_3repE0EEENS1_38merge_mergepath_config_static_selectorELNS0_4arch9wavefront6targetE1EEEvSM_
; %bb.0:
	.section	.rodata,"a",@progbits
	.p2align	6, 0x0
	.amdhsa_kernel _ZN7rocprim17ROCPRIM_400000_NS6detail17trampoline_kernelINS0_14default_configENS1_38merge_sort_block_merge_config_selectorIlNS0_10empty_typeEEEZZNS1_27merge_sort_block_merge_implIS3_PlPS5_mZN2at6native12_GLOBAL__N_124unique_dim_cuda_templateIsEESt5tupleIJNSA_6TensorESF_SF_EERKSF_lbbbEUlllE_EE10hipError_tT0_T1_T2_jT3_P12ihipStream_tbPNSt15iterator_traitsISL_E10value_typeEPNSR_ISM_E10value_typeEPSN_NS1_7vsmem_tEENKUlT_SL_SM_SN_E_clIS8_S8_S9_S9_EESK_S10_SL_SM_SN_EUlS10_E0_NS1_11comp_targetILNS1_3genE8ELNS1_11target_archE1030ELNS1_3gpuE2ELNS1_3repE0EEENS1_38merge_mergepath_config_static_selectorELNS0_4arch9wavefront6targetE1EEEvSM_
		.amdhsa_group_segment_fixed_size 0
		.amdhsa_private_segment_fixed_size 0
		.amdhsa_kernarg_size 88
		.amdhsa_user_sgpr_count 2
		.amdhsa_user_sgpr_dispatch_ptr 0
		.amdhsa_user_sgpr_queue_ptr 0
		.amdhsa_user_sgpr_kernarg_segment_ptr 1
		.amdhsa_user_sgpr_dispatch_id 0
		.amdhsa_user_sgpr_kernarg_preload_length 0
		.amdhsa_user_sgpr_kernarg_preload_offset 0
		.amdhsa_user_sgpr_private_segment_size 0
		.amdhsa_uses_dynamic_stack 0
		.amdhsa_enable_private_segment 0
		.amdhsa_system_sgpr_workgroup_id_x 1
		.amdhsa_system_sgpr_workgroup_id_y 0
		.amdhsa_system_sgpr_workgroup_id_z 0
		.amdhsa_system_sgpr_workgroup_info 0
		.amdhsa_system_vgpr_workitem_id 0
		.amdhsa_next_free_vgpr 1
		.amdhsa_next_free_sgpr 0
		.amdhsa_accum_offset 4
		.amdhsa_reserve_vcc 0
		.amdhsa_float_round_mode_32 0
		.amdhsa_float_round_mode_16_64 0
		.amdhsa_float_denorm_mode_32 3
		.amdhsa_float_denorm_mode_16_64 3
		.amdhsa_dx10_clamp 1
		.amdhsa_ieee_mode 1
		.amdhsa_fp16_overflow 0
		.amdhsa_tg_split 0
		.amdhsa_exception_fp_ieee_invalid_op 0
		.amdhsa_exception_fp_denorm_src 0
		.amdhsa_exception_fp_ieee_div_zero 0
		.amdhsa_exception_fp_ieee_overflow 0
		.amdhsa_exception_fp_ieee_underflow 0
		.amdhsa_exception_fp_ieee_inexact 0
		.amdhsa_exception_int_div_zero 0
	.end_amdhsa_kernel
	.section	.text._ZN7rocprim17ROCPRIM_400000_NS6detail17trampoline_kernelINS0_14default_configENS1_38merge_sort_block_merge_config_selectorIlNS0_10empty_typeEEEZZNS1_27merge_sort_block_merge_implIS3_PlPS5_mZN2at6native12_GLOBAL__N_124unique_dim_cuda_templateIsEESt5tupleIJNSA_6TensorESF_SF_EERKSF_lbbbEUlllE_EE10hipError_tT0_T1_T2_jT3_P12ihipStream_tbPNSt15iterator_traitsISL_E10value_typeEPNSR_ISM_E10value_typeEPSN_NS1_7vsmem_tEENKUlT_SL_SM_SN_E_clIS8_S8_S9_S9_EESK_S10_SL_SM_SN_EUlS10_E0_NS1_11comp_targetILNS1_3genE8ELNS1_11target_archE1030ELNS1_3gpuE2ELNS1_3repE0EEENS1_38merge_mergepath_config_static_selectorELNS0_4arch9wavefront6targetE1EEEvSM_,"axG",@progbits,_ZN7rocprim17ROCPRIM_400000_NS6detail17trampoline_kernelINS0_14default_configENS1_38merge_sort_block_merge_config_selectorIlNS0_10empty_typeEEEZZNS1_27merge_sort_block_merge_implIS3_PlPS5_mZN2at6native12_GLOBAL__N_124unique_dim_cuda_templateIsEESt5tupleIJNSA_6TensorESF_SF_EERKSF_lbbbEUlllE_EE10hipError_tT0_T1_T2_jT3_P12ihipStream_tbPNSt15iterator_traitsISL_E10value_typeEPNSR_ISM_E10value_typeEPSN_NS1_7vsmem_tEENKUlT_SL_SM_SN_E_clIS8_S8_S9_S9_EESK_S10_SL_SM_SN_EUlS10_E0_NS1_11comp_targetILNS1_3genE8ELNS1_11target_archE1030ELNS1_3gpuE2ELNS1_3repE0EEENS1_38merge_mergepath_config_static_selectorELNS0_4arch9wavefront6targetE1EEEvSM_,comdat
.Lfunc_end651:
	.size	_ZN7rocprim17ROCPRIM_400000_NS6detail17trampoline_kernelINS0_14default_configENS1_38merge_sort_block_merge_config_selectorIlNS0_10empty_typeEEEZZNS1_27merge_sort_block_merge_implIS3_PlPS5_mZN2at6native12_GLOBAL__N_124unique_dim_cuda_templateIsEESt5tupleIJNSA_6TensorESF_SF_EERKSF_lbbbEUlllE_EE10hipError_tT0_T1_T2_jT3_P12ihipStream_tbPNSt15iterator_traitsISL_E10value_typeEPNSR_ISM_E10value_typeEPSN_NS1_7vsmem_tEENKUlT_SL_SM_SN_E_clIS8_S8_S9_S9_EESK_S10_SL_SM_SN_EUlS10_E0_NS1_11comp_targetILNS1_3genE8ELNS1_11target_archE1030ELNS1_3gpuE2ELNS1_3repE0EEENS1_38merge_mergepath_config_static_selectorELNS0_4arch9wavefront6targetE1EEEvSM_, .Lfunc_end651-_ZN7rocprim17ROCPRIM_400000_NS6detail17trampoline_kernelINS0_14default_configENS1_38merge_sort_block_merge_config_selectorIlNS0_10empty_typeEEEZZNS1_27merge_sort_block_merge_implIS3_PlPS5_mZN2at6native12_GLOBAL__N_124unique_dim_cuda_templateIsEESt5tupleIJNSA_6TensorESF_SF_EERKSF_lbbbEUlllE_EE10hipError_tT0_T1_T2_jT3_P12ihipStream_tbPNSt15iterator_traitsISL_E10value_typeEPNSR_ISM_E10value_typeEPSN_NS1_7vsmem_tEENKUlT_SL_SM_SN_E_clIS8_S8_S9_S9_EESK_S10_SL_SM_SN_EUlS10_E0_NS1_11comp_targetILNS1_3genE8ELNS1_11target_archE1030ELNS1_3gpuE2ELNS1_3repE0EEENS1_38merge_mergepath_config_static_selectorELNS0_4arch9wavefront6targetE1EEEvSM_
                                        ; -- End function
	.set _ZN7rocprim17ROCPRIM_400000_NS6detail17trampoline_kernelINS0_14default_configENS1_38merge_sort_block_merge_config_selectorIlNS0_10empty_typeEEEZZNS1_27merge_sort_block_merge_implIS3_PlPS5_mZN2at6native12_GLOBAL__N_124unique_dim_cuda_templateIsEESt5tupleIJNSA_6TensorESF_SF_EERKSF_lbbbEUlllE_EE10hipError_tT0_T1_T2_jT3_P12ihipStream_tbPNSt15iterator_traitsISL_E10value_typeEPNSR_ISM_E10value_typeEPSN_NS1_7vsmem_tEENKUlT_SL_SM_SN_E_clIS8_S8_S9_S9_EESK_S10_SL_SM_SN_EUlS10_E0_NS1_11comp_targetILNS1_3genE8ELNS1_11target_archE1030ELNS1_3gpuE2ELNS1_3repE0EEENS1_38merge_mergepath_config_static_selectorELNS0_4arch9wavefront6targetE1EEEvSM_.num_vgpr, 0
	.set _ZN7rocprim17ROCPRIM_400000_NS6detail17trampoline_kernelINS0_14default_configENS1_38merge_sort_block_merge_config_selectorIlNS0_10empty_typeEEEZZNS1_27merge_sort_block_merge_implIS3_PlPS5_mZN2at6native12_GLOBAL__N_124unique_dim_cuda_templateIsEESt5tupleIJNSA_6TensorESF_SF_EERKSF_lbbbEUlllE_EE10hipError_tT0_T1_T2_jT3_P12ihipStream_tbPNSt15iterator_traitsISL_E10value_typeEPNSR_ISM_E10value_typeEPSN_NS1_7vsmem_tEENKUlT_SL_SM_SN_E_clIS8_S8_S9_S9_EESK_S10_SL_SM_SN_EUlS10_E0_NS1_11comp_targetILNS1_3genE8ELNS1_11target_archE1030ELNS1_3gpuE2ELNS1_3repE0EEENS1_38merge_mergepath_config_static_selectorELNS0_4arch9wavefront6targetE1EEEvSM_.num_agpr, 0
	.set _ZN7rocprim17ROCPRIM_400000_NS6detail17trampoline_kernelINS0_14default_configENS1_38merge_sort_block_merge_config_selectorIlNS0_10empty_typeEEEZZNS1_27merge_sort_block_merge_implIS3_PlPS5_mZN2at6native12_GLOBAL__N_124unique_dim_cuda_templateIsEESt5tupleIJNSA_6TensorESF_SF_EERKSF_lbbbEUlllE_EE10hipError_tT0_T1_T2_jT3_P12ihipStream_tbPNSt15iterator_traitsISL_E10value_typeEPNSR_ISM_E10value_typeEPSN_NS1_7vsmem_tEENKUlT_SL_SM_SN_E_clIS8_S8_S9_S9_EESK_S10_SL_SM_SN_EUlS10_E0_NS1_11comp_targetILNS1_3genE8ELNS1_11target_archE1030ELNS1_3gpuE2ELNS1_3repE0EEENS1_38merge_mergepath_config_static_selectorELNS0_4arch9wavefront6targetE1EEEvSM_.numbered_sgpr, 0
	.set _ZN7rocprim17ROCPRIM_400000_NS6detail17trampoline_kernelINS0_14default_configENS1_38merge_sort_block_merge_config_selectorIlNS0_10empty_typeEEEZZNS1_27merge_sort_block_merge_implIS3_PlPS5_mZN2at6native12_GLOBAL__N_124unique_dim_cuda_templateIsEESt5tupleIJNSA_6TensorESF_SF_EERKSF_lbbbEUlllE_EE10hipError_tT0_T1_T2_jT3_P12ihipStream_tbPNSt15iterator_traitsISL_E10value_typeEPNSR_ISM_E10value_typeEPSN_NS1_7vsmem_tEENKUlT_SL_SM_SN_E_clIS8_S8_S9_S9_EESK_S10_SL_SM_SN_EUlS10_E0_NS1_11comp_targetILNS1_3genE8ELNS1_11target_archE1030ELNS1_3gpuE2ELNS1_3repE0EEENS1_38merge_mergepath_config_static_selectorELNS0_4arch9wavefront6targetE1EEEvSM_.num_named_barrier, 0
	.set _ZN7rocprim17ROCPRIM_400000_NS6detail17trampoline_kernelINS0_14default_configENS1_38merge_sort_block_merge_config_selectorIlNS0_10empty_typeEEEZZNS1_27merge_sort_block_merge_implIS3_PlPS5_mZN2at6native12_GLOBAL__N_124unique_dim_cuda_templateIsEESt5tupleIJNSA_6TensorESF_SF_EERKSF_lbbbEUlllE_EE10hipError_tT0_T1_T2_jT3_P12ihipStream_tbPNSt15iterator_traitsISL_E10value_typeEPNSR_ISM_E10value_typeEPSN_NS1_7vsmem_tEENKUlT_SL_SM_SN_E_clIS8_S8_S9_S9_EESK_S10_SL_SM_SN_EUlS10_E0_NS1_11comp_targetILNS1_3genE8ELNS1_11target_archE1030ELNS1_3gpuE2ELNS1_3repE0EEENS1_38merge_mergepath_config_static_selectorELNS0_4arch9wavefront6targetE1EEEvSM_.private_seg_size, 0
	.set _ZN7rocprim17ROCPRIM_400000_NS6detail17trampoline_kernelINS0_14default_configENS1_38merge_sort_block_merge_config_selectorIlNS0_10empty_typeEEEZZNS1_27merge_sort_block_merge_implIS3_PlPS5_mZN2at6native12_GLOBAL__N_124unique_dim_cuda_templateIsEESt5tupleIJNSA_6TensorESF_SF_EERKSF_lbbbEUlllE_EE10hipError_tT0_T1_T2_jT3_P12ihipStream_tbPNSt15iterator_traitsISL_E10value_typeEPNSR_ISM_E10value_typeEPSN_NS1_7vsmem_tEENKUlT_SL_SM_SN_E_clIS8_S8_S9_S9_EESK_S10_SL_SM_SN_EUlS10_E0_NS1_11comp_targetILNS1_3genE8ELNS1_11target_archE1030ELNS1_3gpuE2ELNS1_3repE0EEENS1_38merge_mergepath_config_static_selectorELNS0_4arch9wavefront6targetE1EEEvSM_.uses_vcc, 0
	.set _ZN7rocprim17ROCPRIM_400000_NS6detail17trampoline_kernelINS0_14default_configENS1_38merge_sort_block_merge_config_selectorIlNS0_10empty_typeEEEZZNS1_27merge_sort_block_merge_implIS3_PlPS5_mZN2at6native12_GLOBAL__N_124unique_dim_cuda_templateIsEESt5tupleIJNSA_6TensorESF_SF_EERKSF_lbbbEUlllE_EE10hipError_tT0_T1_T2_jT3_P12ihipStream_tbPNSt15iterator_traitsISL_E10value_typeEPNSR_ISM_E10value_typeEPSN_NS1_7vsmem_tEENKUlT_SL_SM_SN_E_clIS8_S8_S9_S9_EESK_S10_SL_SM_SN_EUlS10_E0_NS1_11comp_targetILNS1_3genE8ELNS1_11target_archE1030ELNS1_3gpuE2ELNS1_3repE0EEENS1_38merge_mergepath_config_static_selectorELNS0_4arch9wavefront6targetE1EEEvSM_.uses_flat_scratch, 0
	.set _ZN7rocprim17ROCPRIM_400000_NS6detail17trampoline_kernelINS0_14default_configENS1_38merge_sort_block_merge_config_selectorIlNS0_10empty_typeEEEZZNS1_27merge_sort_block_merge_implIS3_PlPS5_mZN2at6native12_GLOBAL__N_124unique_dim_cuda_templateIsEESt5tupleIJNSA_6TensorESF_SF_EERKSF_lbbbEUlllE_EE10hipError_tT0_T1_T2_jT3_P12ihipStream_tbPNSt15iterator_traitsISL_E10value_typeEPNSR_ISM_E10value_typeEPSN_NS1_7vsmem_tEENKUlT_SL_SM_SN_E_clIS8_S8_S9_S9_EESK_S10_SL_SM_SN_EUlS10_E0_NS1_11comp_targetILNS1_3genE8ELNS1_11target_archE1030ELNS1_3gpuE2ELNS1_3repE0EEENS1_38merge_mergepath_config_static_selectorELNS0_4arch9wavefront6targetE1EEEvSM_.has_dyn_sized_stack, 0
	.set _ZN7rocprim17ROCPRIM_400000_NS6detail17trampoline_kernelINS0_14default_configENS1_38merge_sort_block_merge_config_selectorIlNS0_10empty_typeEEEZZNS1_27merge_sort_block_merge_implIS3_PlPS5_mZN2at6native12_GLOBAL__N_124unique_dim_cuda_templateIsEESt5tupleIJNSA_6TensorESF_SF_EERKSF_lbbbEUlllE_EE10hipError_tT0_T1_T2_jT3_P12ihipStream_tbPNSt15iterator_traitsISL_E10value_typeEPNSR_ISM_E10value_typeEPSN_NS1_7vsmem_tEENKUlT_SL_SM_SN_E_clIS8_S8_S9_S9_EESK_S10_SL_SM_SN_EUlS10_E0_NS1_11comp_targetILNS1_3genE8ELNS1_11target_archE1030ELNS1_3gpuE2ELNS1_3repE0EEENS1_38merge_mergepath_config_static_selectorELNS0_4arch9wavefront6targetE1EEEvSM_.has_recursion, 0
	.set _ZN7rocprim17ROCPRIM_400000_NS6detail17trampoline_kernelINS0_14default_configENS1_38merge_sort_block_merge_config_selectorIlNS0_10empty_typeEEEZZNS1_27merge_sort_block_merge_implIS3_PlPS5_mZN2at6native12_GLOBAL__N_124unique_dim_cuda_templateIsEESt5tupleIJNSA_6TensorESF_SF_EERKSF_lbbbEUlllE_EE10hipError_tT0_T1_T2_jT3_P12ihipStream_tbPNSt15iterator_traitsISL_E10value_typeEPNSR_ISM_E10value_typeEPSN_NS1_7vsmem_tEENKUlT_SL_SM_SN_E_clIS8_S8_S9_S9_EESK_S10_SL_SM_SN_EUlS10_E0_NS1_11comp_targetILNS1_3genE8ELNS1_11target_archE1030ELNS1_3gpuE2ELNS1_3repE0EEENS1_38merge_mergepath_config_static_selectorELNS0_4arch9wavefront6targetE1EEEvSM_.has_indirect_call, 0
	.section	.AMDGPU.csdata,"",@progbits
; Kernel info:
; codeLenInByte = 0
; TotalNumSgprs: 6
; NumVgprs: 0
; NumAgprs: 0
; TotalNumVgprs: 0
; ScratchSize: 0
; MemoryBound: 0
; FloatMode: 240
; IeeeMode: 1
; LDSByteSize: 0 bytes/workgroup (compile time only)
; SGPRBlocks: 0
; VGPRBlocks: 0
; NumSGPRsForWavesPerEU: 6
; NumVGPRsForWavesPerEU: 1
; AccumOffset: 4
; Occupancy: 8
; WaveLimiterHint : 0
; COMPUTE_PGM_RSRC2:SCRATCH_EN: 0
; COMPUTE_PGM_RSRC2:USER_SGPR: 2
; COMPUTE_PGM_RSRC2:TRAP_HANDLER: 0
; COMPUTE_PGM_RSRC2:TGID_X_EN: 1
; COMPUTE_PGM_RSRC2:TGID_Y_EN: 0
; COMPUTE_PGM_RSRC2:TGID_Z_EN: 0
; COMPUTE_PGM_RSRC2:TIDIG_COMP_CNT: 0
; COMPUTE_PGM_RSRC3_GFX90A:ACCUM_OFFSET: 0
; COMPUTE_PGM_RSRC3_GFX90A:TG_SPLIT: 0
	.section	.text._ZN7rocprim17ROCPRIM_400000_NS6detail17trampoline_kernelINS0_14default_configENS1_38merge_sort_block_merge_config_selectorIlNS0_10empty_typeEEEZZNS1_27merge_sort_block_merge_implIS3_PlPS5_mZN2at6native12_GLOBAL__N_124unique_dim_cuda_templateIsEESt5tupleIJNSA_6TensorESF_SF_EERKSF_lbbbEUlllE_EE10hipError_tT0_T1_T2_jT3_P12ihipStream_tbPNSt15iterator_traitsISL_E10value_typeEPNSR_ISM_E10value_typeEPSN_NS1_7vsmem_tEENKUlT_SL_SM_SN_E_clIS8_S8_S9_S9_EESK_S10_SL_SM_SN_EUlS10_E1_NS1_11comp_targetILNS1_3genE0ELNS1_11target_archE4294967295ELNS1_3gpuE0ELNS1_3repE0EEENS1_36merge_oddeven_config_static_selectorELNS0_4arch9wavefront6targetE1EEEvSM_,"axG",@progbits,_ZN7rocprim17ROCPRIM_400000_NS6detail17trampoline_kernelINS0_14default_configENS1_38merge_sort_block_merge_config_selectorIlNS0_10empty_typeEEEZZNS1_27merge_sort_block_merge_implIS3_PlPS5_mZN2at6native12_GLOBAL__N_124unique_dim_cuda_templateIsEESt5tupleIJNSA_6TensorESF_SF_EERKSF_lbbbEUlllE_EE10hipError_tT0_T1_T2_jT3_P12ihipStream_tbPNSt15iterator_traitsISL_E10value_typeEPNSR_ISM_E10value_typeEPSN_NS1_7vsmem_tEENKUlT_SL_SM_SN_E_clIS8_S8_S9_S9_EESK_S10_SL_SM_SN_EUlS10_E1_NS1_11comp_targetILNS1_3genE0ELNS1_11target_archE4294967295ELNS1_3gpuE0ELNS1_3repE0EEENS1_36merge_oddeven_config_static_selectorELNS0_4arch9wavefront6targetE1EEEvSM_,comdat
	.globl	_ZN7rocprim17ROCPRIM_400000_NS6detail17trampoline_kernelINS0_14default_configENS1_38merge_sort_block_merge_config_selectorIlNS0_10empty_typeEEEZZNS1_27merge_sort_block_merge_implIS3_PlPS5_mZN2at6native12_GLOBAL__N_124unique_dim_cuda_templateIsEESt5tupleIJNSA_6TensorESF_SF_EERKSF_lbbbEUlllE_EE10hipError_tT0_T1_T2_jT3_P12ihipStream_tbPNSt15iterator_traitsISL_E10value_typeEPNSR_ISM_E10value_typeEPSN_NS1_7vsmem_tEENKUlT_SL_SM_SN_E_clIS8_S8_S9_S9_EESK_S10_SL_SM_SN_EUlS10_E1_NS1_11comp_targetILNS1_3genE0ELNS1_11target_archE4294967295ELNS1_3gpuE0ELNS1_3repE0EEENS1_36merge_oddeven_config_static_selectorELNS0_4arch9wavefront6targetE1EEEvSM_ ; -- Begin function _ZN7rocprim17ROCPRIM_400000_NS6detail17trampoline_kernelINS0_14default_configENS1_38merge_sort_block_merge_config_selectorIlNS0_10empty_typeEEEZZNS1_27merge_sort_block_merge_implIS3_PlPS5_mZN2at6native12_GLOBAL__N_124unique_dim_cuda_templateIsEESt5tupleIJNSA_6TensorESF_SF_EERKSF_lbbbEUlllE_EE10hipError_tT0_T1_T2_jT3_P12ihipStream_tbPNSt15iterator_traitsISL_E10value_typeEPNSR_ISM_E10value_typeEPSN_NS1_7vsmem_tEENKUlT_SL_SM_SN_E_clIS8_S8_S9_S9_EESK_S10_SL_SM_SN_EUlS10_E1_NS1_11comp_targetILNS1_3genE0ELNS1_11target_archE4294967295ELNS1_3gpuE0ELNS1_3repE0EEENS1_36merge_oddeven_config_static_selectorELNS0_4arch9wavefront6targetE1EEEvSM_
	.p2align	8
	.type	_ZN7rocprim17ROCPRIM_400000_NS6detail17trampoline_kernelINS0_14default_configENS1_38merge_sort_block_merge_config_selectorIlNS0_10empty_typeEEEZZNS1_27merge_sort_block_merge_implIS3_PlPS5_mZN2at6native12_GLOBAL__N_124unique_dim_cuda_templateIsEESt5tupleIJNSA_6TensorESF_SF_EERKSF_lbbbEUlllE_EE10hipError_tT0_T1_T2_jT3_P12ihipStream_tbPNSt15iterator_traitsISL_E10value_typeEPNSR_ISM_E10value_typeEPSN_NS1_7vsmem_tEENKUlT_SL_SM_SN_E_clIS8_S8_S9_S9_EESK_S10_SL_SM_SN_EUlS10_E1_NS1_11comp_targetILNS1_3genE0ELNS1_11target_archE4294967295ELNS1_3gpuE0ELNS1_3repE0EEENS1_36merge_oddeven_config_static_selectorELNS0_4arch9wavefront6targetE1EEEvSM_,@function
_ZN7rocprim17ROCPRIM_400000_NS6detail17trampoline_kernelINS0_14default_configENS1_38merge_sort_block_merge_config_selectorIlNS0_10empty_typeEEEZZNS1_27merge_sort_block_merge_implIS3_PlPS5_mZN2at6native12_GLOBAL__N_124unique_dim_cuda_templateIsEESt5tupleIJNSA_6TensorESF_SF_EERKSF_lbbbEUlllE_EE10hipError_tT0_T1_T2_jT3_P12ihipStream_tbPNSt15iterator_traitsISL_E10value_typeEPNSR_ISM_E10value_typeEPSN_NS1_7vsmem_tEENKUlT_SL_SM_SN_E_clIS8_S8_S9_S9_EESK_S10_SL_SM_SN_EUlS10_E1_NS1_11comp_targetILNS1_3genE0ELNS1_11target_archE4294967295ELNS1_3gpuE0ELNS1_3repE0EEENS1_36merge_oddeven_config_static_selectorELNS0_4arch9wavefront6targetE1EEEvSM_: ; @_ZN7rocprim17ROCPRIM_400000_NS6detail17trampoline_kernelINS0_14default_configENS1_38merge_sort_block_merge_config_selectorIlNS0_10empty_typeEEEZZNS1_27merge_sort_block_merge_implIS3_PlPS5_mZN2at6native12_GLOBAL__N_124unique_dim_cuda_templateIsEESt5tupleIJNSA_6TensorESF_SF_EERKSF_lbbbEUlllE_EE10hipError_tT0_T1_T2_jT3_P12ihipStream_tbPNSt15iterator_traitsISL_E10value_typeEPNSR_ISM_E10value_typeEPSN_NS1_7vsmem_tEENKUlT_SL_SM_SN_E_clIS8_S8_S9_S9_EESK_S10_SL_SM_SN_EUlS10_E1_NS1_11comp_targetILNS1_3genE0ELNS1_11target_archE4294967295ELNS1_3gpuE0ELNS1_3repE0EEENS1_36merge_oddeven_config_static_selectorELNS0_4arch9wavefront6targetE1EEEvSM_
; %bb.0:
	s_load_dword s22, s[0:1], 0x20
	s_waitcnt lgkmcnt(0)
	s_lshr_b32 s3, s22, 8
	s_cmp_lg_u32 s2, s3
	s_cselect_b64 s[12:13], -1, 0
	s_cmp_eq_u32 s2, s3
	s_cselect_b64 s[6:7], -1, 0
	s_lshl_b32 s20, s2, 8
	s_sub_i32 s3, s22, s20
	v_cmp_gt_u32_e64 s[4:5], s3, v0
	s_or_b64 s[8:9], s[12:13], s[4:5]
	s_and_saveexec_b64 s[10:11], s[8:9]
	s_cbranch_execz .LBB652_54
; %bb.1:
	s_load_dwordx4 s[8:11], s[0:1], 0x0
	s_load_dword s23, s[0:1], 0x28
	s_mov_b32 s21, 0
	s_lshl_b64 s[14:15], s[20:21], 3
	v_lshlrev_b32_e32 v1, 3, v0
	s_waitcnt lgkmcnt(0)
	s_add_u32 s14, s8, s14
	s_addc_u32 s15, s9, s15
	global_load_dwordx2 v[2:3], v1, s[14:15]
	s_lshr_b32 s3, s23, 8
	s_sub_i32 s14, 0, s3
	s_and_b32 s2, s2, s14
	s_and_b32 s3, s2, s3
	s_cmp_lg_u32 s3, 0
	s_cselect_b64 s[16:17], -1, 0
	s_lshl_b32 s21, s2, 8
	s_sub_i32 s2, 0, s23
	s_cmp_eq_u32 s3, 0
	s_cselect_b32 s33, s23, s2
	s_add_i32 s33, s33, s21
	s_cmp_lt_u32 s33, s22
	s_cbranch_scc1 .LBB652_3
; %bb.2:
	v_add_u32_e32 v4, s20, v0
	v_cmp_gt_u32_e32 vcc, s22, v4
	s_or_b64 s[12:13], vcc, s[12:13]
	s_and_b64 s[18:19], s[12:13], exec
	s_cbranch_execz .LBB652_4
	s_branch .LBB652_52
.LBB652_3:
	s_mov_b64 s[18:19], 0
                                        ; implicit-def: $vgpr4
.LBB652_4:
	s_load_dwordx4 s[12:15], s[0:1], 0x30
	s_min_u32 s44, s33, s22
	s_add_i32 s0, s44, s23
	s_min_u32 s45, s0, s22
	s_min_u32 s0, s21, s44
	v_add_u32_e32 v0, s20, v0
	s_add_i32 s21, s21, s44
	v_subrev_u32_e32 v0, s21, v0
	v_add_u32_e32 v14, s0, v0
	s_waitcnt lgkmcnt(0)
	v_cmp_gt_i64_e64 s[20:21], s[12:13], 0
	s_and_b64 vcc, exec, s[6:7]
	s_cbranch_vccz .LBB652_26
; %bb.5:
                                        ; implicit-def: $vgpr4
	s_and_saveexec_b64 s[22:23], s[4:5]
	s_cbranch_execz .LBB652_29
; %bb.6:
	s_cmp_ge_u32 s33, s45
	v_mov_b32_e32 v15, s44
	s_cbranch_scc1 .LBB652_28
; %bb.7:
	s_waitcnt vmcnt(0)
	v_mul_lo_u32 v0, v3, s12
	v_mul_lo_u32 v1, v2, s13
	v_mad_u64_u32 v[4:5], s[0:1], v2, s12, 0
	v_cndmask_b32_e64 v6, 0, 1, s[16:17]
	v_add3_u32 v5, v5, v1, v0
	v_cmp_ne_u32_e64 s[0:1], 1, v6
	v_cndmask_b32_e64 v6, 0, 1, s[20:21]
	v_mov_b64_e32 v[0:1], s[14:15]
	v_lshl_add_u64 v[4:5], v[4:5], 1, s[14:15]
	s_lshl_b64 s[26:27], s[12:13], 1
	s_mov_b64 s[24:25], 0
	v_mov_b32_e32 v16, s45
	v_mov_b32_e32 v15, s44
	;; [unrolled: 1-line block ×3, first 2 shown]
	v_cmp_ne_u32_e64 s[2:3], 1, v6
	s_branch .LBB652_10
.LBB652_8:                              ;   in Loop: Header=BB652_10 Depth=1
	s_or_b64 exec, exec, s[30:31]
.LBB652_9:                              ;   in Loop: Header=BB652_10 Depth=1
	s_waitcnt vmcnt(0)
	v_add_u32_e32 v8, 1, v6
	v_cndmask_b32_e64 v16, v6, v16, s[28:29]
	v_cndmask_b32_e64 v15, v15, v8, s[28:29]
	v_cmp_ge_u32_e32 vcc, v15, v16
	s_or_b64 s[24:25], vcc, s[24:25]
	s_andn2_b64 exec, exec, s[24:25]
	s_cbranch_execz .LBB652_27
.LBB652_10:                             ; =>This Loop Header: Depth=1
                                        ;     Child Loop BB652_14 Depth 2
                                        ;     Child Loop BB652_23 Depth 2
	v_add_u32_e32 v6, v15, v16
	v_lshrrev_b32_e32 v6, 1, v6
	v_lshl_add_u64 v[8:9], v[6:7], 3, s[8:9]
	global_load_dwordx2 v[8:9], v[8:9], off
	s_and_b64 vcc, exec, s[0:1]
	s_mov_b64 s[4:5], -1
                                        ; implicit-def: $sgpr28_sgpr29
	s_cbranch_vccnz .LBB652_19
; %bb.11:                               ;   in Loop: Header=BB652_10 Depth=1
	s_and_b64 vcc, exec, s[2:3]
	s_cbranch_vccnz .LBB652_17
; %bb.12:                               ;   in Loop: Header=BB652_10 Depth=1
	s_waitcnt vmcnt(0)
	v_mad_u64_u32 v[10:11], s[4:5], s26, v8, v[0:1]
	v_mul_lo_u32 v12, s26, v9
	v_mul_lo_u32 v13, s27, v8
	v_add3_u32 v11, v13, v11, v12
	s_mov_b64 s[28:29], 0
	s_mov_b64 s[36:37], s[12:13]
	v_mov_b64_e32 v[12:13], v[4:5]
                                        ; implicit-def: $sgpr30_sgpr31
                                        ; implicit-def: $sgpr34_sgpr35
                                        ; implicit-def: $sgpr4_sgpr5
                                        ; implicit-def: $sgpr38_sgpr39
	s_branch .LBB652_14
.LBB652_13:                             ;   in Loop: Header=BB652_14 Depth=2
	s_or_b64 exec, exec, s[42:43]
	s_and_b64 s[6:7], exec, s[34:35]
	s_or_b64 s[28:29], s[6:7], s[28:29]
	s_andn2_b64 s[6:7], s[38:39], exec
	s_and_b64 s[38:39], s[40:41], exec
	s_or_b64 s[38:39], s[6:7], s[38:39]
	s_andn2_b64 s[6:7], s[30:31], exec
	s_and_b64 s[30:31], s[4:5], exec
	s_or_b64 s[30:31], s[6:7], s[30:31]
	s_andn2_b64 exec, exec, s[28:29]
	s_cbranch_execz .LBB652_16
.LBB652_14:                             ;   Parent Loop BB652_10 Depth=1
                                        ; =>  This Inner Loop Header: Depth=2
	global_load_ushort v17, v[12:13], off
	global_load_ushort v18, v[10:11], off
	s_andn2_b64 s[42:43], s[4:5], exec
	s_or_b64 s[34:35], s[34:35], exec
	s_waitcnt vmcnt(0)
	v_cmp_le_i16_e64 s[4:5], v17, v18
	v_cmp_lt_i16_e32 vcc, v17, v18
	s_and_b64 s[4:5], s[4:5], s[38:39]
	s_or_b64 s[40:41], vcc, s[4:5]
	s_and_b64 s[4:5], s[40:41], exec
	v_cmp_eq_u16_e64 s[6:7], v17, v18
	s_or_b64 s[4:5], s[42:43], s[4:5]
	s_and_saveexec_b64 s[42:43], s[6:7]
	s_cbranch_execz .LBB652_13
; %bb.15:                               ;   in Loop: Header=BB652_14 Depth=2
	s_add_u32 s36, s36, -1
	s_addc_u32 s37, s37, -1
	s_cmp_eq_u64 s[36:37], 0
	s_cselect_b64 s[6:7], -1, 0
	s_andn2_b64 s[34:35], s[34:35], exec
	s_and_b64 s[6:7], s[6:7], exec
	v_lshl_add_u64 v[12:13], v[12:13], 0, 2
	v_lshl_add_u64 v[10:11], v[10:11], 0, 2
	s_andn2_b64 s[4:5], s[4:5], exec
	s_or_b64 s[34:35], s[34:35], s[6:7]
                                        ; implicit-def: $sgpr38_sgpr39
	s_branch .LBB652_13
.LBB652_16:                             ;   in Loop: Header=BB652_10 Depth=1
	s_or_b64 exec, exec, s[28:29]
	s_xor_b64 s[28:29], s[30:31], -1
	s_branch .LBB652_18
.LBB652_17:                             ;   in Loop: Header=BB652_10 Depth=1
	s_mov_b64 s[28:29], -1
.LBB652_18:                             ;   in Loop: Header=BB652_10 Depth=1
	s_mov_b64 s[4:5], 0
.LBB652_19:                             ;   in Loop: Header=BB652_10 Depth=1
	s_andn2_b64 vcc, exec, s[4:5]
	s_cbranch_vccnz .LBB652_9
; %bb.20:                               ;   in Loop: Header=BB652_10 Depth=1
	s_and_b64 vcc, exec, s[2:3]
	s_cbranch_vccnz .LBB652_25
; %bb.21:                               ;   in Loop: Header=BB652_10 Depth=1
	s_waitcnt vmcnt(0)
	v_mad_u64_u32 v[10:11], s[4:5], s26, v8, v[0:1]
	v_mul_lo_u32 v9, s26, v9
	v_mul_lo_u32 v8, s27, v8
	v_add3_u32 v11, v8, v11, v9
	s_mov_b64 s[30:31], 0
	s_mov_b64 s[36:37], s[12:13]
	v_mov_b64_e32 v[8:9], v[4:5]
                                        ; implicit-def: $sgpr28_sgpr29
                                        ; implicit-def: $sgpr34_sgpr35
                                        ; implicit-def: $sgpr4_sgpr5
                                        ; implicit-def: $sgpr38_sgpr39
	s_branch .LBB652_23
.LBB652_22:                             ;   in Loop: Header=BB652_23 Depth=2
	s_or_b64 exec, exec, s[42:43]
	s_and_b64 s[6:7], exec, s[34:35]
	s_or_b64 s[30:31], s[6:7], s[30:31]
	s_andn2_b64 s[6:7], s[38:39], exec
	s_and_b64 s[38:39], s[40:41], exec
	s_or_b64 s[38:39], s[6:7], s[38:39]
	s_andn2_b64 s[6:7], s[28:29], exec
	s_and_b64 s[28:29], s[4:5], exec
	s_or_b64 s[28:29], s[6:7], s[28:29]
	s_andn2_b64 exec, exec, s[30:31]
	s_cbranch_execz .LBB652_8
.LBB652_23:                             ;   Parent Loop BB652_10 Depth=1
                                        ; =>  This Inner Loop Header: Depth=2
	global_load_ushort v12, v[10:11], off
	global_load_ushort v13, v[8:9], off
	s_andn2_b64 s[42:43], s[4:5], exec
	s_or_b64 s[34:35], s[34:35], exec
	s_waitcnt vmcnt(0)
	v_cmp_le_i16_e64 s[4:5], v12, v13
	v_cmp_lt_i16_e32 vcc, v12, v13
	s_and_b64 s[4:5], s[4:5], s[38:39]
	s_or_b64 s[40:41], vcc, s[4:5]
	s_and_b64 s[4:5], s[40:41], exec
	v_cmp_eq_u16_e64 s[6:7], v12, v13
	s_or_b64 s[4:5], s[42:43], s[4:5]
	s_and_saveexec_b64 s[42:43], s[6:7]
	s_cbranch_execz .LBB652_22
; %bb.24:                               ;   in Loop: Header=BB652_23 Depth=2
	s_add_u32 s36, s36, -1
	s_addc_u32 s37, s37, -1
	s_cmp_eq_u64 s[36:37], 0
	s_cselect_b64 s[6:7], -1, 0
	s_andn2_b64 s[34:35], s[34:35], exec
	s_and_b64 s[6:7], s[6:7], exec
	v_lshl_add_u64 v[10:11], v[10:11], 0, 2
	v_lshl_add_u64 v[8:9], v[8:9], 0, 2
	s_andn2_b64 s[4:5], s[4:5], exec
	s_or_b64 s[34:35], s[34:35], s[6:7]
                                        ; implicit-def: $sgpr38_sgpr39
	s_branch .LBB652_22
.LBB652_25:                             ;   in Loop: Header=BB652_10 Depth=1
	s_mov_b64 s[28:29], 0
	s_branch .LBB652_9
.LBB652_26:
                                        ; implicit-def: $vgpr4
	s_cbranch_execnz .LBB652_30
	s_branch .LBB652_52
.LBB652_27:
	s_or_b64 exec, exec, s[24:25]
.LBB652_28:
	v_add_u32_e32 v4, v15, v14
	s_or_b64 s[18:19], s[18:19], exec
.LBB652_29:
	s_or_b64 exec, exec, s[22:23]
	s_branch .LBB652_52
.LBB652_30:
	s_cmp_ge_u32 s33, s45
	v_mov_b32_e32 v15, s44
	s_cbranch_scc1 .LBB652_51
; %bb.31:
	s_waitcnt vmcnt(0)
	v_mul_lo_u32 v0, v3, s12
	v_mul_lo_u32 v1, v2, s13
	v_mad_u64_u32 v[4:5], s[0:1], v2, s12, 0
	v_cndmask_b32_e64 v6, 0, 1, s[16:17]
	v_add3_u32 v5, v5, v1, v0
	v_cmp_ne_u32_e64 s[0:1], 1, v6
	v_cndmask_b32_e64 v6, 0, 1, s[20:21]
	v_mov_b64_e32 v[0:1], s[14:15]
	v_lshl_add_u64 v[4:5], v[4:5], 1, s[14:15]
	s_lshl_b64 s[18:19], s[12:13], 1
	s_mov_b64 s[14:15], 0
	v_mov_b32_e32 v16, s45
	v_mov_b32_e32 v15, s44
	;; [unrolled: 1-line block ×3, first 2 shown]
	v_cmp_ne_u32_e64 s[2:3], 1, v6
	s_branch .LBB652_34
.LBB652_32:                             ;   in Loop: Header=BB652_34 Depth=1
	s_or_b64 exec, exec, s[20:21]
.LBB652_33:                             ;   in Loop: Header=BB652_34 Depth=1
	s_waitcnt vmcnt(0)
	v_add_u32_e32 v8, 1, v6
	v_cndmask_b32_e64 v16, v6, v16, s[16:17]
	v_cndmask_b32_e64 v15, v15, v8, s[16:17]
	v_cmp_ge_u32_e32 vcc, v15, v16
	s_or_b64 s[14:15], vcc, s[14:15]
	s_andn2_b64 exec, exec, s[14:15]
	s_cbranch_execz .LBB652_50
.LBB652_34:                             ; =>This Loop Header: Depth=1
                                        ;     Child Loop BB652_38 Depth 2
                                        ;     Child Loop BB652_47 Depth 2
	v_add_u32_e32 v6, v15, v16
	v_lshrrev_b32_e32 v6, 1, v6
	v_lshl_add_u64 v[8:9], v[6:7], 3, s[8:9]
	global_load_dwordx2 v[8:9], v[8:9], off
	s_and_b64 vcc, exec, s[0:1]
	s_mov_b64 s[4:5], -1
                                        ; implicit-def: $sgpr16_sgpr17
	s_cbranch_vccnz .LBB652_43
; %bb.35:                               ;   in Loop: Header=BB652_34 Depth=1
	s_and_b64 vcc, exec, s[2:3]
	s_cbranch_vccnz .LBB652_41
; %bb.36:                               ;   in Loop: Header=BB652_34 Depth=1
	s_waitcnt vmcnt(0)
	v_mad_u64_u32 v[10:11], s[4:5], s18, v8, v[0:1]
	v_mul_lo_u32 v12, s18, v9
	v_mul_lo_u32 v13, s19, v8
	v_add3_u32 v11, v13, v11, v12
	s_mov_b64 s[16:17], 0
	s_mov_b64 s[24:25], s[12:13]
	v_mov_b64_e32 v[12:13], v[4:5]
                                        ; implicit-def: $sgpr20_sgpr21
                                        ; implicit-def: $sgpr22_sgpr23
                                        ; implicit-def: $sgpr4_sgpr5
                                        ; implicit-def: $sgpr26_sgpr27
	s_branch .LBB652_38
.LBB652_37:                             ;   in Loop: Header=BB652_38 Depth=2
	s_or_b64 exec, exec, s[30:31]
	s_and_b64 s[6:7], exec, s[22:23]
	s_or_b64 s[16:17], s[6:7], s[16:17]
	s_andn2_b64 s[6:7], s[26:27], exec
	s_and_b64 s[26:27], s[28:29], exec
	s_or_b64 s[26:27], s[6:7], s[26:27]
	s_andn2_b64 s[6:7], s[20:21], exec
	s_and_b64 s[20:21], s[4:5], exec
	s_or_b64 s[20:21], s[6:7], s[20:21]
	s_andn2_b64 exec, exec, s[16:17]
	s_cbranch_execz .LBB652_40
.LBB652_38:                             ;   Parent Loop BB652_34 Depth=1
                                        ; =>  This Inner Loop Header: Depth=2
	global_load_ushort v17, v[12:13], off
	global_load_ushort v18, v[10:11], off
	s_andn2_b64 s[30:31], s[4:5], exec
	s_or_b64 s[22:23], s[22:23], exec
	s_waitcnt vmcnt(0)
	v_cmp_le_i16_e64 s[4:5], v17, v18
	v_cmp_lt_i16_e32 vcc, v17, v18
	s_and_b64 s[4:5], s[4:5], s[26:27]
	s_or_b64 s[28:29], vcc, s[4:5]
	s_and_b64 s[4:5], s[28:29], exec
	v_cmp_eq_u16_e64 s[6:7], v17, v18
	s_or_b64 s[4:5], s[30:31], s[4:5]
	s_and_saveexec_b64 s[30:31], s[6:7]
	s_cbranch_execz .LBB652_37
; %bb.39:                               ;   in Loop: Header=BB652_38 Depth=2
	s_add_u32 s24, s24, -1
	s_addc_u32 s25, s25, -1
	s_cmp_eq_u64 s[24:25], 0
	s_cselect_b64 s[6:7], -1, 0
	s_andn2_b64 s[22:23], s[22:23], exec
	s_and_b64 s[6:7], s[6:7], exec
	v_lshl_add_u64 v[12:13], v[12:13], 0, 2
	v_lshl_add_u64 v[10:11], v[10:11], 0, 2
	s_andn2_b64 s[4:5], s[4:5], exec
	s_or_b64 s[22:23], s[22:23], s[6:7]
                                        ; implicit-def: $sgpr26_sgpr27
	s_branch .LBB652_37
.LBB652_40:                             ;   in Loop: Header=BB652_34 Depth=1
	s_or_b64 exec, exec, s[16:17]
	s_xor_b64 s[16:17], s[20:21], -1
	s_branch .LBB652_42
.LBB652_41:                             ;   in Loop: Header=BB652_34 Depth=1
	s_mov_b64 s[16:17], -1
.LBB652_42:                             ;   in Loop: Header=BB652_34 Depth=1
	s_mov_b64 s[4:5], 0
.LBB652_43:                             ;   in Loop: Header=BB652_34 Depth=1
	s_andn2_b64 vcc, exec, s[4:5]
	s_cbranch_vccnz .LBB652_33
; %bb.44:                               ;   in Loop: Header=BB652_34 Depth=1
	s_and_b64 vcc, exec, s[2:3]
	s_cbranch_vccnz .LBB652_49
; %bb.45:                               ;   in Loop: Header=BB652_34 Depth=1
	s_waitcnt vmcnt(0)
	v_mad_u64_u32 v[10:11], s[4:5], s18, v8, v[0:1]
	v_mul_lo_u32 v9, s18, v9
	v_mul_lo_u32 v8, s19, v8
	v_add3_u32 v11, v8, v11, v9
	s_mov_b64 s[20:21], 0
	s_mov_b64 s[24:25], s[12:13]
	v_mov_b64_e32 v[8:9], v[4:5]
                                        ; implicit-def: $sgpr16_sgpr17
                                        ; implicit-def: $sgpr22_sgpr23
                                        ; implicit-def: $sgpr4_sgpr5
                                        ; implicit-def: $sgpr26_sgpr27
	s_branch .LBB652_47
.LBB652_46:                             ;   in Loop: Header=BB652_47 Depth=2
	s_or_b64 exec, exec, s[30:31]
	s_and_b64 s[6:7], exec, s[22:23]
	s_or_b64 s[20:21], s[6:7], s[20:21]
	s_andn2_b64 s[6:7], s[26:27], exec
	s_and_b64 s[26:27], s[28:29], exec
	s_or_b64 s[26:27], s[6:7], s[26:27]
	s_andn2_b64 s[6:7], s[16:17], exec
	s_and_b64 s[16:17], s[4:5], exec
	s_or_b64 s[16:17], s[6:7], s[16:17]
	s_andn2_b64 exec, exec, s[20:21]
	s_cbranch_execz .LBB652_32
.LBB652_47:                             ;   Parent Loop BB652_34 Depth=1
                                        ; =>  This Inner Loop Header: Depth=2
	global_load_ushort v12, v[10:11], off
	global_load_ushort v13, v[8:9], off
	s_andn2_b64 s[30:31], s[4:5], exec
	s_or_b64 s[22:23], s[22:23], exec
	s_waitcnt vmcnt(0)
	v_cmp_le_i16_e64 s[4:5], v12, v13
	v_cmp_lt_i16_e32 vcc, v12, v13
	s_and_b64 s[4:5], s[4:5], s[26:27]
	s_or_b64 s[28:29], vcc, s[4:5]
	s_and_b64 s[4:5], s[28:29], exec
	v_cmp_eq_u16_e64 s[6:7], v12, v13
	s_or_b64 s[4:5], s[30:31], s[4:5]
	s_and_saveexec_b64 s[30:31], s[6:7]
	s_cbranch_execz .LBB652_46
; %bb.48:                               ;   in Loop: Header=BB652_47 Depth=2
	s_add_u32 s24, s24, -1
	s_addc_u32 s25, s25, -1
	s_cmp_eq_u64 s[24:25], 0
	s_cselect_b64 s[6:7], -1, 0
	s_andn2_b64 s[22:23], s[22:23], exec
	s_and_b64 s[6:7], s[6:7], exec
	v_lshl_add_u64 v[10:11], v[10:11], 0, 2
	v_lshl_add_u64 v[8:9], v[8:9], 0, 2
	s_andn2_b64 s[4:5], s[4:5], exec
	s_or_b64 s[22:23], s[22:23], s[6:7]
                                        ; implicit-def: $sgpr26_sgpr27
	s_branch .LBB652_46
.LBB652_49:                             ;   in Loop: Header=BB652_34 Depth=1
	s_mov_b64 s[16:17], 0
	s_branch .LBB652_33
.LBB652_50:
	s_or_b64 exec, exec, s[14:15]
.LBB652_51:
	v_add_u32_e32 v4, v15, v14
	s_mov_b64 s[18:19], -1
.LBB652_52:
	s_and_b64 exec, exec, s[18:19]
	s_cbranch_execz .LBB652_54
; %bb.53:
	v_mov_b32_e32 v0, s10
	v_mov_b32_e32 v1, s11
	;; [unrolled: 1-line block ×3, first 2 shown]
	v_lshl_add_u64 v[0:1], v[4:5], 3, v[0:1]
	s_waitcnt vmcnt(0)
	global_store_dwordx2 v[0:1], v[2:3], off
.LBB652_54:
	s_endpgm
	.section	.rodata,"a",@progbits
	.p2align	6, 0x0
	.amdhsa_kernel _ZN7rocprim17ROCPRIM_400000_NS6detail17trampoline_kernelINS0_14default_configENS1_38merge_sort_block_merge_config_selectorIlNS0_10empty_typeEEEZZNS1_27merge_sort_block_merge_implIS3_PlPS5_mZN2at6native12_GLOBAL__N_124unique_dim_cuda_templateIsEESt5tupleIJNSA_6TensorESF_SF_EERKSF_lbbbEUlllE_EE10hipError_tT0_T1_T2_jT3_P12ihipStream_tbPNSt15iterator_traitsISL_E10value_typeEPNSR_ISM_E10value_typeEPSN_NS1_7vsmem_tEENKUlT_SL_SM_SN_E_clIS8_S8_S9_S9_EESK_S10_SL_SM_SN_EUlS10_E1_NS1_11comp_targetILNS1_3genE0ELNS1_11target_archE4294967295ELNS1_3gpuE0ELNS1_3repE0EEENS1_36merge_oddeven_config_static_selectorELNS0_4arch9wavefront6targetE1EEEvSM_
		.amdhsa_group_segment_fixed_size 0
		.amdhsa_private_segment_fixed_size 0
		.amdhsa_kernarg_size 64
		.amdhsa_user_sgpr_count 2
		.amdhsa_user_sgpr_dispatch_ptr 0
		.amdhsa_user_sgpr_queue_ptr 0
		.amdhsa_user_sgpr_kernarg_segment_ptr 1
		.amdhsa_user_sgpr_dispatch_id 0
		.amdhsa_user_sgpr_kernarg_preload_length 0
		.amdhsa_user_sgpr_kernarg_preload_offset 0
		.amdhsa_user_sgpr_private_segment_size 0
		.amdhsa_uses_dynamic_stack 0
		.amdhsa_enable_private_segment 0
		.amdhsa_system_sgpr_workgroup_id_x 1
		.amdhsa_system_sgpr_workgroup_id_y 0
		.amdhsa_system_sgpr_workgroup_id_z 0
		.amdhsa_system_sgpr_workgroup_info 0
		.amdhsa_system_vgpr_workitem_id 0
		.amdhsa_next_free_vgpr 19
		.amdhsa_next_free_sgpr 46
		.amdhsa_accum_offset 20
		.amdhsa_reserve_vcc 1
		.amdhsa_float_round_mode_32 0
		.amdhsa_float_round_mode_16_64 0
		.amdhsa_float_denorm_mode_32 3
		.amdhsa_float_denorm_mode_16_64 3
		.amdhsa_dx10_clamp 1
		.amdhsa_ieee_mode 1
		.amdhsa_fp16_overflow 0
		.amdhsa_tg_split 0
		.amdhsa_exception_fp_ieee_invalid_op 0
		.amdhsa_exception_fp_denorm_src 0
		.amdhsa_exception_fp_ieee_div_zero 0
		.amdhsa_exception_fp_ieee_overflow 0
		.amdhsa_exception_fp_ieee_underflow 0
		.amdhsa_exception_fp_ieee_inexact 0
		.amdhsa_exception_int_div_zero 0
	.end_amdhsa_kernel
	.section	.text._ZN7rocprim17ROCPRIM_400000_NS6detail17trampoline_kernelINS0_14default_configENS1_38merge_sort_block_merge_config_selectorIlNS0_10empty_typeEEEZZNS1_27merge_sort_block_merge_implIS3_PlPS5_mZN2at6native12_GLOBAL__N_124unique_dim_cuda_templateIsEESt5tupleIJNSA_6TensorESF_SF_EERKSF_lbbbEUlllE_EE10hipError_tT0_T1_T2_jT3_P12ihipStream_tbPNSt15iterator_traitsISL_E10value_typeEPNSR_ISM_E10value_typeEPSN_NS1_7vsmem_tEENKUlT_SL_SM_SN_E_clIS8_S8_S9_S9_EESK_S10_SL_SM_SN_EUlS10_E1_NS1_11comp_targetILNS1_3genE0ELNS1_11target_archE4294967295ELNS1_3gpuE0ELNS1_3repE0EEENS1_36merge_oddeven_config_static_selectorELNS0_4arch9wavefront6targetE1EEEvSM_,"axG",@progbits,_ZN7rocprim17ROCPRIM_400000_NS6detail17trampoline_kernelINS0_14default_configENS1_38merge_sort_block_merge_config_selectorIlNS0_10empty_typeEEEZZNS1_27merge_sort_block_merge_implIS3_PlPS5_mZN2at6native12_GLOBAL__N_124unique_dim_cuda_templateIsEESt5tupleIJNSA_6TensorESF_SF_EERKSF_lbbbEUlllE_EE10hipError_tT0_T1_T2_jT3_P12ihipStream_tbPNSt15iterator_traitsISL_E10value_typeEPNSR_ISM_E10value_typeEPSN_NS1_7vsmem_tEENKUlT_SL_SM_SN_E_clIS8_S8_S9_S9_EESK_S10_SL_SM_SN_EUlS10_E1_NS1_11comp_targetILNS1_3genE0ELNS1_11target_archE4294967295ELNS1_3gpuE0ELNS1_3repE0EEENS1_36merge_oddeven_config_static_selectorELNS0_4arch9wavefront6targetE1EEEvSM_,comdat
.Lfunc_end652:
	.size	_ZN7rocprim17ROCPRIM_400000_NS6detail17trampoline_kernelINS0_14default_configENS1_38merge_sort_block_merge_config_selectorIlNS0_10empty_typeEEEZZNS1_27merge_sort_block_merge_implIS3_PlPS5_mZN2at6native12_GLOBAL__N_124unique_dim_cuda_templateIsEESt5tupleIJNSA_6TensorESF_SF_EERKSF_lbbbEUlllE_EE10hipError_tT0_T1_T2_jT3_P12ihipStream_tbPNSt15iterator_traitsISL_E10value_typeEPNSR_ISM_E10value_typeEPSN_NS1_7vsmem_tEENKUlT_SL_SM_SN_E_clIS8_S8_S9_S9_EESK_S10_SL_SM_SN_EUlS10_E1_NS1_11comp_targetILNS1_3genE0ELNS1_11target_archE4294967295ELNS1_3gpuE0ELNS1_3repE0EEENS1_36merge_oddeven_config_static_selectorELNS0_4arch9wavefront6targetE1EEEvSM_, .Lfunc_end652-_ZN7rocprim17ROCPRIM_400000_NS6detail17trampoline_kernelINS0_14default_configENS1_38merge_sort_block_merge_config_selectorIlNS0_10empty_typeEEEZZNS1_27merge_sort_block_merge_implIS3_PlPS5_mZN2at6native12_GLOBAL__N_124unique_dim_cuda_templateIsEESt5tupleIJNSA_6TensorESF_SF_EERKSF_lbbbEUlllE_EE10hipError_tT0_T1_T2_jT3_P12ihipStream_tbPNSt15iterator_traitsISL_E10value_typeEPNSR_ISM_E10value_typeEPSN_NS1_7vsmem_tEENKUlT_SL_SM_SN_E_clIS8_S8_S9_S9_EESK_S10_SL_SM_SN_EUlS10_E1_NS1_11comp_targetILNS1_3genE0ELNS1_11target_archE4294967295ELNS1_3gpuE0ELNS1_3repE0EEENS1_36merge_oddeven_config_static_selectorELNS0_4arch9wavefront6targetE1EEEvSM_
                                        ; -- End function
	.set _ZN7rocprim17ROCPRIM_400000_NS6detail17trampoline_kernelINS0_14default_configENS1_38merge_sort_block_merge_config_selectorIlNS0_10empty_typeEEEZZNS1_27merge_sort_block_merge_implIS3_PlPS5_mZN2at6native12_GLOBAL__N_124unique_dim_cuda_templateIsEESt5tupleIJNSA_6TensorESF_SF_EERKSF_lbbbEUlllE_EE10hipError_tT0_T1_T2_jT3_P12ihipStream_tbPNSt15iterator_traitsISL_E10value_typeEPNSR_ISM_E10value_typeEPSN_NS1_7vsmem_tEENKUlT_SL_SM_SN_E_clIS8_S8_S9_S9_EESK_S10_SL_SM_SN_EUlS10_E1_NS1_11comp_targetILNS1_3genE0ELNS1_11target_archE4294967295ELNS1_3gpuE0ELNS1_3repE0EEENS1_36merge_oddeven_config_static_selectorELNS0_4arch9wavefront6targetE1EEEvSM_.num_vgpr, 19
	.set _ZN7rocprim17ROCPRIM_400000_NS6detail17trampoline_kernelINS0_14default_configENS1_38merge_sort_block_merge_config_selectorIlNS0_10empty_typeEEEZZNS1_27merge_sort_block_merge_implIS3_PlPS5_mZN2at6native12_GLOBAL__N_124unique_dim_cuda_templateIsEESt5tupleIJNSA_6TensorESF_SF_EERKSF_lbbbEUlllE_EE10hipError_tT0_T1_T2_jT3_P12ihipStream_tbPNSt15iterator_traitsISL_E10value_typeEPNSR_ISM_E10value_typeEPSN_NS1_7vsmem_tEENKUlT_SL_SM_SN_E_clIS8_S8_S9_S9_EESK_S10_SL_SM_SN_EUlS10_E1_NS1_11comp_targetILNS1_3genE0ELNS1_11target_archE4294967295ELNS1_3gpuE0ELNS1_3repE0EEENS1_36merge_oddeven_config_static_selectorELNS0_4arch9wavefront6targetE1EEEvSM_.num_agpr, 0
	.set _ZN7rocprim17ROCPRIM_400000_NS6detail17trampoline_kernelINS0_14default_configENS1_38merge_sort_block_merge_config_selectorIlNS0_10empty_typeEEEZZNS1_27merge_sort_block_merge_implIS3_PlPS5_mZN2at6native12_GLOBAL__N_124unique_dim_cuda_templateIsEESt5tupleIJNSA_6TensorESF_SF_EERKSF_lbbbEUlllE_EE10hipError_tT0_T1_T2_jT3_P12ihipStream_tbPNSt15iterator_traitsISL_E10value_typeEPNSR_ISM_E10value_typeEPSN_NS1_7vsmem_tEENKUlT_SL_SM_SN_E_clIS8_S8_S9_S9_EESK_S10_SL_SM_SN_EUlS10_E1_NS1_11comp_targetILNS1_3genE0ELNS1_11target_archE4294967295ELNS1_3gpuE0ELNS1_3repE0EEENS1_36merge_oddeven_config_static_selectorELNS0_4arch9wavefront6targetE1EEEvSM_.numbered_sgpr, 46
	.set _ZN7rocprim17ROCPRIM_400000_NS6detail17trampoline_kernelINS0_14default_configENS1_38merge_sort_block_merge_config_selectorIlNS0_10empty_typeEEEZZNS1_27merge_sort_block_merge_implIS3_PlPS5_mZN2at6native12_GLOBAL__N_124unique_dim_cuda_templateIsEESt5tupleIJNSA_6TensorESF_SF_EERKSF_lbbbEUlllE_EE10hipError_tT0_T1_T2_jT3_P12ihipStream_tbPNSt15iterator_traitsISL_E10value_typeEPNSR_ISM_E10value_typeEPSN_NS1_7vsmem_tEENKUlT_SL_SM_SN_E_clIS8_S8_S9_S9_EESK_S10_SL_SM_SN_EUlS10_E1_NS1_11comp_targetILNS1_3genE0ELNS1_11target_archE4294967295ELNS1_3gpuE0ELNS1_3repE0EEENS1_36merge_oddeven_config_static_selectorELNS0_4arch9wavefront6targetE1EEEvSM_.num_named_barrier, 0
	.set _ZN7rocprim17ROCPRIM_400000_NS6detail17trampoline_kernelINS0_14default_configENS1_38merge_sort_block_merge_config_selectorIlNS0_10empty_typeEEEZZNS1_27merge_sort_block_merge_implIS3_PlPS5_mZN2at6native12_GLOBAL__N_124unique_dim_cuda_templateIsEESt5tupleIJNSA_6TensorESF_SF_EERKSF_lbbbEUlllE_EE10hipError_tT0_T1_T2_jT3_P12ihipStream_tbPNSt15iterator_traitsISL_E10value_typeEPNSR_ISM_E10value_typeEPSN_NS1_7vsmem_tEENKUlT_SL_SM_SN_E_clIS8_S8_S9_S9_EESK_S10_SL_SM_SN_EUlS10_E1_NS1_11comp_targetILNS1_3genE0ELNS1_11target_archE4294967295ELNS1_3gpuE0ELNS1_3repE0EEENS1_36merge_oddeven_config_static_selectorELNS0_4arch9wavefront6targetE1EEEvSM_.private_seg_size, 0
	.set _ZN7rocprim17ROCPRIM_400000_NS6detail17trampoline_kernelINS0_14default_configENS1_38merge_sort_block_merge_config_selectorIlNS0_10empty_typeEEEZZNS1_27merge_sort_block_merge_implIS3_PlPS5_mZN2at6native12_GLOBAL__N_124unique_dim_cuda_templateIsEESt5tupleIJNSA_6TensorESF_SF_EERKSF_lbbbEUlllE_EE10hipError_tT0_T1_T2_jT3_P12ihipStream_tbPNSt15iterator_traitsISL_E10value_typeEPNSR_ISM_E10value_typeEPSN_NS1_7vsmem_tEENKUlT_SL_SM_SN_E_clIS8_S8_S9_S9_EESK_S10_SL_SM_SN_EUlS10_E1_NS1_11comp_targetILNS1_3genE0ELNS1_11target_archE4294967295ELNS1_3gpuE0ELNS1_3repE0EEENS1_36merge_oddeven_config_static_selectorELNS0_4arch9wavefront6targetE1EEEvSM_.uses_vcc, 1
	.set _ZN7rocprim17ROCPRIM_400000_NS6detail17trampoline_kernelINS0_14default_configENS1_38merge_sort_block_merge_config_selectorIlNS0_10empty_typeEEEZZNS1_27merge_sort_block_merge_implIS3_PlPS5_mZN2at6native12_GLOBAL__N_124unique_dim_cuda_templateIsEESt5tupleIJNSA_6TensorESF_SF_EERKSF_lbbbEUlllE_EE10hipError_tT0_T1_T2_jT3_P12ihipStream_tbPNSt15iterator_traitsISL_E10value_typeEPNSR_ISM_E10value_typeEPSN_NS1_7vsmem_tEENKUlT_SL_SM_SN_E_clIS8_S8_S9_S9_EESK_S10_SL_SM_SN_EUlS10_E1_NS1_11comp_targetILNS1_3genE0ELNS1_11target_archE4294967295ELNS1_3gpuE0ELNS1_3repE0EEENS1_36merge_oddeven_config_static_selectorELNS0_4arch9wavefront6targetE1EEEvSM_.uses_flat_scratch, 0
	.set _ZN7rocprim17ROCPRIM_400000_NS6detail17trampoline_kernelINS0_14default_configENS1_38merge_sort_block_merge_config_selectorIlNS0_10empty_typeEEEZZNS1_27merge_sort_block_merge_implIS3_PlPS5_mZN2at6native12_GLOBAL__N_124unique_dim_cuda_templateIsEESt5tupleIJNSA_6TensorESF_SF_EERKSF_lbbbEUlllE_EE10hipError_tT0_T1_T2_jT3_P12ihipStream_tbPNSt15iterator_traitsISL_E10value_typeEPNSR_ISM_E10value_typeEPSN_NS1_7vsmem_tEENKUlT_SL_SM_SN_E_clIS8_S8_S9_S9_EESK_S10_SL_SM_SN_EUlS10_E1_NS1_11comp_targetILNS1_3genE0ELNS1_11target_archE4294967295ELNS1_3gpuE0ELNS1_3repE0EEENS1_36merge_oddeven_config_static_selectorELNS0_4arch9wavefront6targetE1EEEvSM_.has_dyn_sized_stack, 0
	.set _ZN7rocprim17ROCPRIM_400000_NS6detail17trampoline_kernelINS0_14default_configENS1_38merge_sort_block_merge_config_selectorIlNS0_10empty_typeEEEZZNS1_27merge_sort_block_merge_implIS3_PlPS5_mZN2at6native12_GLOBAL__N_124unique_dim_cuda_templateIsEESt5tupleIJNSA_6TensorESF_SF_EERKSF_lbbbEUlllE_EE10hipError_tT0_T1_T2_jT3_P12ihipStream_tbPNSt15iterator_traitsISL_E10value_typeEPNSR_ISM_E10value_typeEPSN_NS1_7vsmem_tEENKUlT_SL_SM_SN_E_clIS8_S8_S9_S9_EESK_S10_SL_SM_SN_EUlS10_E1_NS1_11comp_targetILNS1_3genE0ELNS1_11target_archE4294967295ELNS1_3gpuE0ELNS1_3repE0EEENS1_36merge_oddeven_config_static_selectorELNS0_4arch9wavefront6targetE1EEEvSM_.has_recursion, 0
	.set _ZN7rocprim17ROCPRIM_400000_NS6detail17trampoline_kernelINS0_14default_configENS1_38merge_sort_block_merge_config_selectorIlNS0_10empty_typeEEEZZNS1_27merge_sort_block_merge_implIS3_PlPS5_mZN2at6native12_GLOBAL__N_124unique_dim_cuda_templateIsEESt5tupleIJNSA_6TensorESF_SF_EERKSF_lbbbEUlllE_EE10hipError_tT0_T1_T2_jT3_P12ihipStream_tbPNSt15iterator_traitsISL_E10value_typeEPNSR_ISM_E10value_typeEPSN_NS1_7vsmem_tEENKUlT_SL_SM_SN_E_clIS8_S8_S9_S9_EESK_S10_SL_SM_SN_EUlS10_E1_NS1_11comp_targetILNS1_3genE0ELNS1_11target_archE4294967295ELNS1_3gpuE0ELNS1_3repE0EEENS1_36merge_oddeven_config_static_selectorELNS0_4arch9wavefront6targetE1EEEvSM_.has_indirect_call, 0
	.section	.AMDGPU.csdata,"",@progbits
; Kernel info:
; codeLenInByte = 1716
; TotalNumSgprs: 52
; NumVgprs: 19
; NumAgprs: 0
; TotalNumVgprs: 19
; ScratchSize: 0
; MemoryBound: 0
; FloatMode: 240
; IeeeMode: 1
; LDSByteSize: 0 bytes/workgroup (compile time only)
; SGPRBlocks: 6
; VGPRBlocks: 2
; NumSGPRsForWavesPerEU: 52
; NumVGPRsForWavesPerEU: 19
; AccumOffset: 20
; Occupancy: 8
; WaveLimiterHint : 0
; COMPUTE_PGM_RSRC2:SCRATCH_EN: 0
; COMPUTE_PGM_RSRC2:USER_SGPR: 2
; COMPUTE_PGM_RSRC2:TRAP_HANDLER: 0
; COMPUTE_PGM_RSRC2:TGID_X_EN: 1
; COMPUTE_PGM_RSRC2:TGID_Y_EN: 0
; COMPUTE_PGM_RSRC2:TGID_Z_EN: 0
; COMPUTE_PGM_RSRC2:TIDIG_COMP_CNT: 0
; COMPUTE_PGM_RSRC3_GFX90A:ACCUM_OFFSET: 4
; COMPUTE_PGM_RSRC3_GFX90A:TG_SPLIT: 0
	.section	.text._ZN7rocprim17ROCPRIM_400000_NS6detail17trampoline_kernelINS0_14default_configENS1_38merge_sort_block_merge_config_selectorIlNS0_10empty_typeEEEZZNS1_27merge_sort_block_merge_implIS3_PlPS5_mZN2at6native12_GLOBAL__N_124unique_dim_cuda_templateIsEESt5tupleIJNSA_6TensorESF_SF_EERKSF_lbbbEUlllE_EE10hipError_tT0_T1_T2_jT3_P12ihipStream_tbPNSt15iterator_traitsISL_E10value_typeEPNSR_ISM_E10value_typeEPSN_NS1_7vsmem_tEENKUlT_SL_SM_SN_E_clIS8_S8_S9_S9_EESK_S10_SL_SM_SN_EUlS10_E1_NS1_11comp_targetILNS1_3genE10ELNS1_11target_archE1201ELNS1_3gpuE5ELNS1_3repE0EEENS1_36merge_oddeven_config_static_selectorELNS0_4arch9wavefront6targetE1EEEvSM_,"axG",@progbits,_ZN7rocprim17ROCPRIM_400000_NS6detail17trampoline_kernelINS0_14default_configENS1_38merge_sort_block_merge_config_selectorIlNS0_10empty_typeEEEZZNS1_27merge_sort_block_merge_implIS3_PlPS5_mZN2at6native12_GLOBAL__N_124unique_dim_cuda_templateIsEESt5tupleIJNSA_6TensorESF_SF_EERKSF_lbbbEUlllE_EE10hipError_tT0_T1_T2_jT3_P12ihipStream_tbPNSt15iterator_traitsISL_E10value_typeEPNSR_ISM_E10value_typeEPSN_NS1_7vsmem_tEENKUlT_SL_SM_SN_E_clIS8_S8_S9_S9_EESK_S10_SL_SM_SN_EUlS10_E1_NS1_11comp_targetILNS1_3genE10ELNS1_11target_archE1201ELNS1_3gpuE5ELNS1_3repE0EEENS1_36merge_oddeven_config_static_selectorELNS0_4arch9wavefront6targetE1EEEvSM_,comdat
	.globl	_ZN7rocprim17ROCPRIM_400000_NS6detail17trampoline_kernelINS0_14default_configENS1_38merge_sort_block_merge_config_selectorIlNS0_10empty_typeEEEZZNS1_27merge_sort_block_merge_implIS3_PlPS5_mZN2at6native12_GLOBAL__N_124unique_dim_cuda_templateIsEESt5tupleIJNSA_6TensorESF_SF_EERKSF_lbbbEUlllE_EE10hipError_tT0_T1_T2_jT3_P12ihipStream_tbPNSt15iterator_traitsISL_E10value_typeEPNSR_ISM_E10value_typeEPSN_NS1_7vsmem_tEENKUlT_SL_SM_SN_E_clIS8_S8_S9_S9_EESK_S10_SL_SM_SN_EUlS10_E1_NS1_11comp_targetILNS1_3genE10ELNS1_11target_archE1201ELNS1_3gpuE5ELNS1_3repE0EEENS1_36merge_oddeven_config_static_selectorELNS0_4arch9wavefront6targetE1EEEvSM_ ; -- Begin function _ZN7rocprim17ROCPRIM_400000_NS6detail17trampoline_kernelINS0_14default_configENS1_38merge_sort_block_merge_config_selectorIlNS0_10empty_typeEEEZZNS1_27merge_sort_block_merge_implIS3_PlPS5_mZN2at6native12_GLOBAL__N_124unique_dim_cuda_templateIsEESt5tupleIJNSA_6TensorESF_SF_EERKSF_lbbbEUlllE_EE10hipError_tT0_T1_T2_jT3_P12ihipStream_tbPNSt15iterator_traitsISL_E10value_typeEPNSR_ISM_E10value_typeEPSN_NS1_7vsmem_tEENKUlT_SL_SM_SN_E_clIS8_S8_S9_S9_EESK_S10_SL_SM_SN_EUlS10_E1_NS1_11comp_targetILNS1_3genE10ELNS1_11target_archE1201ELNS1_3gpuE5ELNS1_3repE0EEENS1_36merge_oddeven_config_static_selectorELNS0_4arch9wavefront6targetE1EEEvSM_
	.p2align	8
	.type	_ZN7rocprim17ROCPRIM_400000_NS6detail17trampoline_kernelINS0_14default_configENS1_38merge_sort_block_merge_config_selectorIlNS0_10empty_typeEEEZZNS1_27merge_sort_block_merge_implIS3_PlPS5_mZN2at6native12_GLOBAL__N_124unique_dim_cuda_templateIsEESt5tupleIJNSA_6TensorESF_SF_EERKSF_lbbbEUlllE_EE10hipError_tT0_T1_T2_jT3_P12ihipStream_tbPNSt15iterator_traitsISL_E10value_typeEPNSR_ISM_E10value_typeEPSN_NS1_7vsmem_tEENKUlT_SL_SM_SN_E_clIS8_S8_S9_S9_EESK_S10_SL_SM_SN_EUlS10_E1_NS1_11comp_targetILNS1_3genE10ELNS1_11target_archE1201ELNS1_3gpuE5ELNS1_3repE0EEENS1_36merge_oddeven_config_static_selectorELNS0_4arch9wavefront6targetE1EEEvSM_,@function
_ZN7rocprim17ROCPRIM_400000_NS6detail17trampoline_kernelINS0_14default_configENS1_38merge_sort_block_merge_config_selectorIlNS0_10empty_typeEEEZZNS1_27merge_sort_block_merge_implIS3_PlPS5_mZN2at6native12_GLOBAL__N_124unique_dim_cuda_templateIsEESt5tupleIJNSA_6TensorESF_SF_EERKSF_lbbbEUlllE_EE10hipError_tT0_T1_T2_jT3_P12ihipStream_tbPNSt15iterator_traitsISL_E10value_typeEPNSR_ISM_E10value_typeEPSN_NS1_7vsmem_tEENKUlT_SL_SM_SN_E_clIS8_S8_S9_S9_EESK_S10_SL_SM_SN_EUlS10_E1_NS1_11comp_targetILNS1_3genE10ELNS1_11target_archE1201ELNS1_3gpuE5ELNS1_3repE0EEENS1_36merge_oddeven_config_static_selectorELNS0_4arch9wavefront6targetE1EEEvSM_: ; @_ZN7rocprim17ROCPRIM_400000_NS6detail17trampoline_kernelINS0_14default_configENS1_38merge_sort_block_merge_config_selectorIlNS0_10empty_typeEEEZZNS1_27merge_sort_block_merge_implIS3_PlPS5_mZN2at6native12_GLOBAL__N_124unique_dim_cuda_templateIsEESt5tupleIJNSA_6TensorESF_SF_EERKSF_lbbbEUlllE_EE10hipError_tT0_T1_T2_jT3_P12ihipStream_tbPNSt15iterator_traitsISL_E10value_typeEPNSR_ISM_E10value_typeEPSN_NS1_7vsmem_tEENKUlT_SL_SM_SN_E_clIS8_S8_S9_S9_EESK_S10_SL_SM_SN_EUlS10_E1_NS1_11comp_targetILNS1_3genE10ELNS1_11target_archE1201ELNS1_3gpuE5ELNS1_3repE0EEENS1_36merge_oddeven_config_static_selectorELNS0_4arch9wavefront6targetE1EEEvSM_
; %bb.0:
	.section	.rodata,"a",@progbits
	.p2align	6, 0x0
	.amdhsa_kernel _ZN7rocprim17ROCPRIM_400000_NS6detail17trampoline_kernelINS0_14default_configENS1_38merge_sort_block_merge_config_selectorIlNS0_10empty_typeEEEZZNS1_27merge_sort_block_merge_implIS3_PlPS5_mZN2at6native12_GLOBAL__N_124unique_dim_cuda_templateIsEESt5tupleIJNSA_6TensorESF_SF_EERKSF_lbbbEUlllE_EE10hipError_tT0_T1_T2_jT3_P12ihipStream_tbPNSt15iterator_traitsISL_E10value_typeEPNSR_ISM_E10value_typeEPSN_NS1_7vsmem_tEENKUlT_SL_SM_SN_E_clIS8_S8_S9_S9_EESK_S10_SL_SM_SN_EUlS10_E1_NS1_11comp_targetILNS1_3genE10ELNS1_11target_archE1201ELNS1_3gpuE5ELNS1_3repE0EEENS1_36merge_oddeven_config_static_selectorELNS0_4arch9wavefront6targetE1EEEvSM_
		.amdhsa_group_segment_fixed_size 0
		.amdhsa_private_segment_fixed_size 0
		.amdhsa_kernarg_size 64
		.amdhsa_user_sgpr_count 2
		.amdhsa_user_sgpr_dispatch_ptr 0
		.amdhsa_user_sgpr_queue_ptr 0
		.amdhsa_user_sgpr_kernarg_segment_ptr 1
		.amdhsa_user_sgpr_dispatch_id 0
		.amdhsa_user_sgpr_kernarg_preload_length 0
		.amdhsa_user_sgpr_kernarg_preload_offset 0
		.amdhsa_user_sgpr_private_segment_size 0
		.amdhsa_uses_dynamic_stack 0
		.amdhsa_enable_private_segment 0
		.amdhsa_system_sgpr_workgroup_id_x 1
		.amdhsa_system_sgpr_workgroup_id_y 0
		.amdhsa_system_sgpr_workgroup_id_z 0
		.amdhsa_system_sgpr_workgroup_info 0
		.amdhsa_system_vgpr_workitem_id 0
		.amdhsa_next_free_vgpr 1
		.amdhsa_next_free_sgpr 0
		.amdhsa_accum_offset 4
		.amdhsa_reserve_vcc 0
		.amdhsa_float_round_mode_32 0
		.amdhsa_float_round_mode_16_64 0
		.amdhsa_float_denorm_mode_32 3
		.amdhsa_float_denorm_mode_16_64 3
		.amdhsa_dx10_clamp 1
		.amdhsa_ieee_mode 1
		.amdhsa_fp16_overflow 0
		.amdhsa_tg_split 0
		.amdhsa_exception_fp_ieee_invalid_op 0
		.amdhsa_exception_fp_denorm_src 0
		.amdhsa_exception_fp_ieee_div_zero 0
		.amdhsa_exception_fp_ieee_overflow 0
		.amdhsa_exception_fp_ieee_underflow 0
		.amdhsa_exception_fp_ieee_inexact 0
		.amdhsa_exception_int_div_zero 0
	.end_amdhsa_kernel
	.section	.text._ZN7rocprim17ROCPRIM_400000_NS6detail17trampoline_kernelINS0_14default_configENS1_38merge_sort_block_merge_config_selectorIlNS0_10empty_typeEEEZZNS1_27merge_sort_block_merge_implIS3_PlPS5_mZN2at6native12_GLOBAL__N_124unique_dim_cuda_templateIsEESt5tupleIJNSA_6TensorESF_SF_EERKSF_lbbbEUlllE_EE10hipError_tT0_T1_T2_jT3_P12ihipStream_tbPNSt15iterator_traitsISL_E10value_typeEPNSR_ISM_E10value_typeEPSN_NS1_7vsmem_tEENKUlT_SL_SM_SN_E_clIS8_S8_S9_S9_EESK_S10_SL_SM_SN_EUlS10_E1_NS1_11comp_targetILNS1_3genE10ELNS1_11target_archE1201ELNS1_3gpuE5ELNS1_3repE0EEENS1_36merge_oddeven_config_static_selectorELNS0_4arch9wavefront6targetE1EEEvSM_,"axG",@progbits,_ZN7rocprim17ROCPRIM_400000_NS6detail17trampoline_kernelINS0_14default_configENS1_38merge_sort_block_merge_config_selectorIlNS0_10empty_typeEEEZZNS1_27merge_sort_block_merge_implIS3_PlPS5_mZN2at6native12_GLOBAL__N_124unique_dim_cuda_templateIsEESt5tupleIJNSA_6TensorESF_SF_EERKSF_lbbbEUlllE_EE10hipError_tT0_T1_T2_jT3_P12ihipStream_tbPNSt15iterator_traitsISL_E10value_typeEPNSR_ISM_E10value_typeEPSN_NS1_7vsmem_tEENKUlT_SL_SM_SN_E_clIS8_S8_S9_S9_EESK_S10_SL_SM_SN_EUlS10_E1_NS1_11comp_targetILNS1_3genE10ELNS1_11target_archE1201ELNS1_3gpuE5ELNS1_3repE0EEENS1_36merge_oddeven_config_static_selectorELNS0_4arch9wavefront6targetE1EEEvSM_,comdat
.Lfunc_end653:
	.size	_ZN7rocprim17ROCPRIM_400000_NS6detail17trampoline_kernelINS0_14default_configENS1_38merge_sort_block_merge_config_selectorIlNS0_10empty_typeEEEZZNS1_27merge_sort_block_merge_implIS3_PlPS5_mZN2at6native12_GLOBAL__N_124unique_dim_cuda_templateIsEESt5tupleIJNSA_6TensorESF_SF_EERKSF_lbbbEUlllE_EE10hipError_tT0_T1_T2_jT3_P12ihipStream_tbPNSt15iterator_traitsISL_E10value_typeEPNSR_ISM_E10value_typeEPSN_NS1_7vsmem_tEENKUlT_SL_SM_SN_E_clIS8_S8_S9_S9_EESK_S10_SL_SM_SN_EUlS10_E1_NS1_11comp_targetILNS1_3genE10ELNS1_11target_archE1201ELNS1_3gpuE5ELNS1_3repE0EEENS1_36merge_oddeven_config_static_selectorELNS0_4arch9wavefront6targetE1EEEvSM_, .Lfunc_end653-_ZN7rocprim17ROCPRIM_400000_NS6detail17trampoline_kernelINS0_14default_configENS1_38merge_sort_block_merge_config_selectorIlNS0_10empty_typeEEEZZNS1_27merge_sort_block_merge_implIS3_PlPS5_mZN2at6native12_GLOBAL__N_124unique_dim_cuda_templateIsEESt5tupleIJNSA_6TensorESF_SF_EERKSF_lbbbEUlllE_EE10hipError_tT0_T1_T2_jT3_P12ihipStream_tbPNSt15iterator_traitsISL_E10value_typeEPNSR_ISM_E10value_typeEPSN_NS1_7vsmem_tEENKUlT_SL_SM_SN_E_clIS8_S8_S9_S9_EESK_S10_SL_SM_SN_EUlS10_E1_NS1_11comp_targetILNS1_3genE10ELNS1_11target_archE1201ELNS1_3gpuE5ELNS1_3repE0EEENS1_36merge_oddeven_config_static_selectorELNS0_4arch9wavefront6targetE1EEEvSM_
                                        ; -- End function
	.set _ZN7rocprim17ROCPRIM_400000_NS6detail17trampoline_kernelINS0_14default_configENS1_38merge_sort_block_merge_config_selectorIlNS0_10empty_typeEEEZZNS1_27merge_sort_block_merge_implIS3_PlPS5_mZN2at6native12_GLOBAL__N_124unique_dim_cuda_templateIsEESt5tupleIJNSA_6TensorESF_SF_EERKSF_lbbbEUlllE_EE10hipError_tT0_T1_T2_jT3_P12ihipStream_tbPNSt15iterator_traitsISL_E10value_typeEPNSR_ISM_E10value_typeEPSN_NS1_7vsmem_tEENKUlT_SL_SM_SN_E_clIS8_S8_S9_S9_EESK_S10_SL_SM_SN_EUlS10_E1_NS1_11comp_targetILNS1_3genE10ELNS1_11target_archE1201ELNS1_3gpuE5ELNS1_3repE0EEENS1_36merge_oddeven_config_static_selectorELNS0_4arch9wavefront6targetE1EEEvSM_.num_vgpr, 0
	.set _ZN7rocprim17ROCPRIM_400000_NS6detail17trampoline_kernelINS0_14default_configENS1_38merge_sort_block_merge_config_selectorIlNS0_10empty_typeEEEZZNS1_27merge_sort_block_merge_implIS3_PlPS5_mZN2at6native12_GLOBAL__N_124unique_dim_cuda_templateIsEESt5tupleIJNSA_6TensorESF_SF_EERKSF_lbbbEUlllE_EE10hipError_tT0_T1_T2_jT3_P12ihipStream_tbPNSt15iterator_traitsISL_E10value_typeEPNSR_ISM_E10value_typeEPSN_NS1_7vsmem_tEENKUlT_SL_SM_SN_E_clIS8_S8_S9_S9_EESK_S10_SL_SM_SN_EUlS10_E1_NS1_11comp_targetILNS1_3genE10ELNS1_11target_archE1201ELNS1_3gpuE5ELNS1_3repE0EEENS1_36merge_oddeven_config_static_selectorELNS0_4arch9wavefront6targetE1EEEvSM_.num_agpr, 0
	.set _ZN7rocprim17ROCPRIM_400000_NS6detail17trampoline_kernelINS0_14default_configENS1_38merge_sort_block_merge_config_selectorIlNS0_10empty_typeEEEZZNS1_27merge_sort_block_merge_implIS3_PlPS5_mZN2at6native12_GLOBAL__N_124unique_dim_cuda_templateIsEESt5tupleIJNSA_6TensorESF_SF_EERKSF_lbbbEUlllE_EE10hipError_tT0_T1_T2_jT3_P12ihipStream_tbPNSt15iterator_traitsISL_E10value_typeEPNSR_ISM_E10value_typeEPSN_NS1_7vsmem_tEENKUlT_SL_SM_SN_E_clIS8_S8_S9_S9_EESK_S10_SL_SM_SN_EUlS10_E1_NS1_11comp_targetILNS1_3genE10ELNS1_11target_archE1201ELNS1_3gpuE5ELNS1_3repE0EEENS1_36merge_oddeven_config_static_selectorELNS0_4arch9wavefront6targetE1EEEvSM_.numbered_sgpr, 0
	.set _ZN7rocprim17ROCPRIM_400000_NS6detail17trampoline_kernelINS0_14default_configENS1_38merge_sort_block_merge_config_selectorIlNS0_10empty_typeEEEZZNS1_27merge_sort_block_merge_implIS3_PlPS5_mZN2at6native12_GLOBAL__N_124unique_dim_cuda_templateIsEESt5tupleIJNSA_6TensorESF_SF_EERKSF_lbbbEUlllE_EE10hipError_tT0_T1_T2_jT3_P12ihipStream_tbPNSt15iterator_traitsISL_E10value_typeEPNSR_ISM_E10value_typeEPSN_NS1_7vsmem_tEENKUlT_SL_SM_SN_E_clIS8_S8_S9_S9_EESK_S10_SL_SM_SN_EUlS10_E1_NS1_11comp_targetILNS1_3genE10ELNS1_11target_archE1201ELNS1_3gpuE5ELNS1_3repE0EEENS1_36merge_oddeven_config_static_selectorELNS0_4arch9wavefront6targetE1EEEvSM_.num_named_barrier, 0
	.set _ZN7rocprim17ROCPRIM_400000_NS6detail17trampoline_kernelINS0_14default_configENS1_38merge_sort_block_merge_config_selectorIlNS0_10empty_typeEEEZZNS1_27merge_sort_block_merge_implIS3_PlPS5_mZN2at6native12_GLOBAL__N_124unique_dim_cuda_templateIsEESt5tupleIJNSA_6TensorESF_SF_EERKSF_lbbbEUlllE_EE10hipError_tT0_T1_T2_jT3_P12ihipStream_tbPNSt15iterator_traitsISL_E10value_typeEPNSR_ISM_E10value_typeEPSN_NS1_7vsmem_tEENKUlT_SL_SM_SN_E_clIS8_S8_S9_S9_EESK_S10_SL_SM_SN_EUlS10_E1_NS1_11comp_targetILNS1_3genE10ELNS1_11target_archE1201ELNS1_3gpuE5ELNS1_3repE0EEENS1_36merge_oddeven_config_static_selectorELNS0_4arch9wavefront6targetE1EEEvSM_.private_seg_size, 0
	.set _ZN7rocprim17ROCPRIM_400000_NS6detail17trampoline_kernelINS0_14default_configENS1_38merge_sort_block_merge_config_selectorIlNS0_10empty_typeEEEZZNS1_27merge_sort_block_merge_implIS3_PlPS5_mZN2at6native12_GLOBAL__N_124unique_dim_cuda_templateIsEESt5tupleIJNSA_6TensorESF_SF_EERKSF_lbbbEUlllE_EE10hipError_tT0_T1_T2_jT3_P12ihipStream_tbPNSt15iterator_traitsISL_E10value_typeEPNSR_ISM_E10value_typeEPSN_NS1_7vsmem_tEENKUlT_SL_SM_SN_E_clIS8_S8_S9_S9_EESK_S10_SL_SM_SN_EUlS10_E1_NS1_11comp_targetILNS1_3genE10ELNS1_11target_archE1201ELNS1_3gpuE5ELNS1_3repE0EEENS1_36merge_oddeven_config_static_selectorELNS0_4arch9wavefront6targetE1EEEvSM_.uses_vcc, 0
	.set _ZN7rocprim17ROCPRIM_400000_NS6detail17trampoline_kernelINS0_14default_configENS1_38merge_sort_block_merge_config_selectorIlNS0_10empty_typeEEEZZNS1_27merge_sort_block_merge_implIS3_PlPS5_mZN2at6native12_GLOBAL__N_124unique_dim_cuda_templateIsEESt5tupleIJNSA_6TensorESF_SF_EERKSF_lbbbEUlllE_EE10hipError_tT0_T1_T2_jT3_P12ihipStream_tbPNSt15iterator_traitsISL_E10value_typeEPNSR_ISM_E10value_typeEPSN_NS1_7vsmem_tEENKUlT_SL_SM_SN_E_clIS8_S8_S9_S9_EESK_S10_SL_SM_SN_EUlS10_E1_NS1_11comp_targetILNS1_3genE10ELNS1_11target_archE1201ELNS1_3gpuE5ELNS1_3repE0EEENS1_36merge_oddeven_config_static_selectorELNS0_4arch9wavefront6targetE1EEEvSM_.uses_flat_scratch, 0
	.set _ZN7rocprim17ROCPRIM_400000_NS6detail17trampoline_kernelINS0_14default_configENS1_38merge_sort_block_merge_config_selectorIlNS0_10empty_typeEEEZZNS1_27merge_sort_block_merge_implIS3_PlPS5_mZN2at6native12_GLOBAL__N_124unique_dim_cuda_templateIsEESt5tupleIJNSA_6TensorESF_SF_EERKSF_lbbbEUlllE_EE10hipError_tT0_T1_T2_jT3_P12ihipStream_tbPNSt15iterator_traitsISL_E10value_typeEPNSR_ISM_E10value_typeEPSN_NS1_7vsmem_tEENKUlT_SL_SM_SN_E_clIS8_S8_S9_S9_EESK_S10_SL_SM_SN_EUlS10_E1_NS1_11comp_targetILNS1_3genE10ELNS1_11target_archE1201ELNS1_3gpuE5ELNS1_3repE0EEENS1_36merge_oddeven_config_static_selectorELNS0_4arch9wavefront6targetE1EEEvSM_.has_dyn_sized_stack, 0
	.set _ZN7rocprim17ROCPRIM_400000_NS6detail17trampoline_kernelINS0_14default_configENS1_38merge_sort_block_merge_config_selectorIlNS0_10empty_typeEEEZZNS1_27merge_sort_block_merge_implIS3_PlPS5_mZN2at6native12_GLOBAL__N_124unique_dim_cuda_templateIsEESt5tupleIJNSA_6TensorESF_SF_EERKSF_lbbbEUlllE_EE10hipError_tT0_T1_T2_jT3_P12ihipStream_tbPNSt15iterator_traitsISL_E10value_typeEPNSR_ISM_E10value_typeEPSN_NS1_7vsmem_tEENKUlT_SL_SM_SN_E_clIS8_S8_S9_S9_EESK_S10_SL_SM_SN_EUlS10_E1_NS1_11comp_targetILNS1_3genE10ELNS1_11target_archE1201ELNS1_3gpuE5ELNS1_3repE0EEENS1_36merge_oddeven_config_static_selectorELNS0_4arch9wavefront6targetE1EEEvSM_.has_recursion, 0
	.set _ZN7rocprim17ROCPRIM_400000_NS6detail17trampoline_kernelINS0_14default_configENS1_38merge_sort_block_merge_config_selectorIlNS0_10empty_typeEEEZZNS1_27merge_sort_block_merge_implIS3_PlPS5_mZN2at6native12_GLOBAL__N_124unique_dim_cuda_templateIsEESt5tupleIJNSA_6TensorESF_SF_EERKSF_lbbbEUlllE_EE10hipError_tT0_T1_T2_jT3_P12ihipStream_tbPNSt15iterator_traitsISL_E10value_typeEPNSR_ISM_E10value_typeEPSN_NS1_7vsmem_tEENKUlT_SL_SM_SN_E_clIS8_S8_S9_S9_EESK_S10_SL_SM_SN_EUlS10_E1_NS1_11comp_targetILNS1_3genE10ELNS1_11target_archE1201ELNS1_3gpuE5ELNS1_3repE0EEENS1_36merge_oddeven_config_static_selectorELNS0_4arch9wavefront6targetE1EEEvSM_.has_indirect_call, 0
	.section	.AMDGPU.csdata,"",@progbits
; Kernel info:
; codeLenInByte = 0
; TotalNumSgprs: 6
; NumVgprs: 0
; NumAgprs: 0
; TotalNumVgprs: 0
; ScratchSize: 0
; MemoryBound: 0
; FloatMode: 240
; IeeeMode: 1
; LDSByteSize: 0 bytes/workgroup (compile time only)
; SGPRBlocks: 0
; VGPRBlocks: 0
; NumSGPRsForWavesPerEU: 6
; NumVGPRsForWavesPerEU: 1
; AccumOffset: 4
; Occupancy: 8
; WaveLimiterHint : 0
; COMPUTE_PGM_RSRC2:SCRATCH_EN: 0
; COMPUTE_PGM_RSRC2:USER_SGPR: 2
; COMPUTE_PGM_RSRC2:TRAP_HANDLER: 0
; COMPUTE_PGM_RSRC2:TGID_X_EN: 1
; COMPUTE_PGM_RSRC2:TGID_Y_EN: 0
; COMPUTE_PGM_RSRC2:TGID_Z_EN: 0
; COMPUTE_PGM_RSRC2:TIDIG_COMP_CNT: 0
; COMPUTE_PGM_RSRC3_GFX90A:ACCUM_OFFSET: 0
; COMPUTE_PGM_RSRC3_GFX90A:TG_SPLIT: 0
	.section	.text._ZN7rocprim17ROCPRIM_400000_NS6detail17trampoline_kernelINS0_14default_configENS1_38merge_sort_block_merge_config_selectorIlNS0_10empty_typeEEEZZNS1_27merge_sort_block_merge_implIS3_PlPS5_mZN2at6native12_GLOBAL__N_124unique_dim_cuda_templateIsEESt5tupleIJNSA_6TensorESF_SF_EERKSF_lbbbEUlllE_EE10hipError_tT0_T1_T2_jT3_P12ihipStream_tbPNSt15iterator_traitsISL_E10value_typeEPNSR_ISM_E10value_typeEPSN_NS1_7vsmem_tEENKUlT_SL_SM_SN_E_clIS8_S8_S9_S9_EESK_S10_SL_SM_SN_EUlS10_E1_NS1_11comp_targetILNS1_3genE5ELNS1_11target_archE942ELNS1_3gpuE9ELNS1_3repE0EEENS1_36merge_oddeven_config_static_selectorELNS0_4arch9wavefront6targetE1EEEvSM_,"axG",@progbits,_ZN7rocprim17ROCPRIM_400000_NS6detail17trampoline_kernelINS0_14default_configENS1_38merge_sort_block_merge_config_selectorIlNS0_10empty_typeEEEZZNS1_27merge_sort_block_merge_implIS3_PlPS5_mZN2at6native12_GLOBAL__N_124unique_dim_cuda_templateIsEESt5tupleIJNSA_6TensorESF_SF_EERKSF_lbbbEUlllE_EE10hipError_tT0_T1_T2_jT3_P12ihipStream_tbPNSt15iterator_traitsISL_E10value_typeEPNSR_ISM_E10value_typeEPSN_NS1_7vsmem_tEENKUlT_SL_SM_SN_E_clIS8_S8_S9_S9_EESK_S10_SL_SM_SN_EUlS10_E1_NS1_11comp_targetILNS1_3genE5ELNS1_11target_archE942ELNS1_3gpuE9ELNS1_3repE0EEENS1_36merge_oddeven_config_static_selectorELNS0_4arch9wavefront6targetE1EEEvSM_,comdat
	.globl	_ZN7rocprim17ROCPRIM_400000_NS6detail17trampoline_kernelINS0_14default_configENS1_38merge_sort_block_merge_config_selectorIlNS0_10empty_typeEEEZZNS1_27merge_sort_block_merge_implIS3_PlPS5_mZN2at6native12_GLOBAL__N_124unique_dim_cuda_templateIsEESt5tupleIJNSA_6TensorESF_SF_EERKSF_lbbbEUlllE_EE10hipError_tT0_T1_T2_jT3_P12ihipStream_tbPNSt15iterator_traitsISL_E10value_typeEPNSR_ISM_E10value_typeEPSN_NS1_7vsmem_tEENKUlT_SL_SM_SN_E_clIS8_S8_S9_S9_EESK_S10_SL_SM_SN_EUlS10_E1_NS1_11comp_targetILNS1_3genE5ELNS1_11target_archE942ELNS1_3gpuE9ELNS1_3repE0EEENS1_36merge_oddeven_config_static_selectorELNS0_4arch9wavefront6targetE1EEEvSM_ ; -- Begin function _ZN7rocprim17ROCPRIM_400000_NS6detail17trampoline_kernelINS0_14default_configENS1_38merge_sort_block_merge_config_selectorIlNS0_10empty_typeEEEZZNS1_27merge_sort_block_merge_implIS3_PlPS5_mZN2at6native12_GLOBAL__N_124unique_dim_cuda_templateIsEESt5tupleIJNSA_6TensorESF_SF_EERKSF_lbbbEUlllE_EE10hipError_tT0_T1_T2_jT3_P12ihipStream_tbPNSt15iterator_traitsISL_E10value_typeEPNSR_ISM_E10value_typeEPSN_NS1_7vsmem_tEENKUlT_SL_SM_SN_E_clIS8_S8_S9_S9_EESK_S10_SL_SM_SN_EUlS10_E1_NS1_11comp_targetILNS1_3genE5ELNS1_11target_archE942ELNS1_3gpuE9ELNS1_3repE0EEENS1_36merge_oddeven_config_static_selectorELNS0_4arch9wavefront6targetE1EEEvSM_
	.p2align	8
	.type	_ZN7rocprim17ROCPRIM_400000_NS6detail17trampoline_kernelINS0_14default_configENS1_38merge_sort_block_merge_config_selectorIlNS0_10empty_typeEEEZZNS1_27merge_sort_block_merge_implIS3_PlPS5_mZN2at6native12_GLOBAL__N_124unique_dim_cuda_templateIsEESt5tupleIJNSA_6TensorESF_SF_EERKSF_lbbbEUlllE_EE10hipError_tT0_T1_T2_jT3_P12ihipStream_tbPNSt15iterator_traitsISL_E10value_typeEPNSR_ISM_E10value_typeEPSN_NS1_7vsmem_tEENKUlT_SL_SM_SN_E_clIS8_S8_S9_S9_EESK_S10_SL_SM_SN_EUlS10_E1_NS1_11comp_targetILNS1_3genE5ELNS1_11target_archE942ELNS1_3gpuE9ELNS1_3repE0EEENS1_36merge_oddeven_config_static_selectorELNS0_4arch9wavefront6targetE1EEEvSM_,@function
_ZN7rocprim17ROCPRIM_400000_NS6detail17trampoline_kernelINS0_14default_configENS1_38merge_sort_block_merge_config_selectorIlNS0_10empty_typeEEEZZNS1_27merge_sort_block_merge_implIS3_PlPS5_mZN2at6native12_GLOBAL__N_124unique_dim_cuda_templateIsEESt5tupleIJNSA_6TensorESF_SF_EERKSF_lbbbEUlllE_EE10hipError_tT0_T1_T2_jT3_P12ihipStream_tbPNSt15iterator_traitsISL_E10value_typeEPNSR_ISM_E10value_typeEPSN_NS1_7vsmem_tEENKUlT_SL_SM_SN_E_clIS8_S8_S9_S9_EESK_S10_SL_SM_SN_EUlS10_E1_NS1_11comp_targetILNS1_3genE5ELNS1_11target_archE942ELNS1_3gpuE9ELNS1_3repE0EEENS1_36merge_oddeven_config_static_selectorELNS0_4arch9wavefront6targetE1EEEvSM_: ; @_ZN7rocprim17ROCPRIM_400000_NS6detail17trampoline_kernelINS0_14default_configENS1_38merge_sort_block_merge_config_selectorIlNS0_10empty_typeEEEZZNS1_27merge_sort_block_merge_implIS3_PlPS5_mZN2at6native12_GLOBAL__N_124unique_dim_cuda_templateIsEESt5tupleIJNSA_6TensorESF_SF_EERKSF_lbbbEUlllE_EE10hipError_tT0_T1_T2_jT3_P12ihipStream_tbPNSt15iterator_traitsISL_E10value_typeEPNSR_ISM_E10value_typeEPSN_NS1_7vsmem_tEENKUlT_SL_SM_SN_E_clIS8_S8_S9_S9_EESK_S10_SL_SM_SN_EUlS10_E1_NS1_11comp_targetILNS1_3genE5ELNS1_11target_archE942ELNS1_3gpuE9ELNS1_3repE0EEENS1_36merge_oddeven_config_static_selectorELNS0_4arch9wavefront6targetE1EEEvSM_
; %bb.0:
	.section	.rodata,"a",@progbits
	.p2align	6, 0x0
	.amdhsa_kernel _ZN7rocprim17ROCPRIM_400000_NS6detail17trampoline_kernelINS0_14default_configENS1_38merge_sort_block_merge_config_selectorIlNS0_10empty_typeEEEZZNS1_27merge_sort_block_merge_implIS3_PlPS5_mZN2at6native12_GLOBAL__N_124unique_dim_cuda_templateIsEESt5tupleIJNSA_6TensorESF_SF_EERKSF_lbbbEUlllE_EE10hipError_tT0_T1_T2_jT3_P12ihipStream_tbPNSt15iterator_traitsISL_E10value_typeEPNSR_ISM_E10value_typeEPSN_NS1_7vsmem_tEENKUlT_SL_SM_SN_E_clIS8_S8_S9_S9_EESK_S10_SL_SM_SN_EUlS10_E1_NS1_11comp_targetILNS1_3genE5ELNS1_11target_archE942ELNS1_3gpuE9ELNS1_3repE0EEENS1_36merge_oddeven_config_static_selectorELNS0_4arch9wavefront6targetE1EEEvSM_
		.amdhsa_group_segment_fixed_size 0
		.amdhsa_private_segment_fixed_size 0
		.amdhsa_kernarg_size 64
		.amdhsa_user_sgpr_count 2
		.amdhsa_user_sgpr_dispatch_ptr 0
		.amdhsa_user_sgpr_queue_ptr 0
		.amdhsa_user_sgpr_kernarg_segment_ptr 1
		.amdhsa_user_sgpr_dispatch_id 0
		.amdhsa_user_sgpr_kernarg_preload_length 0
		.amdhsa_user_sgpr_kernarg_preload_offset 0
		.amdhsa_user_sgpr_private_segment_size 0
		.amdhsa_uses_dynamic_stack 0
		.amdhsa_enable_private_segment 0
		.amdhsa_system_sgpr_workgroup_id_x 1
		.amdhsa_system_sgpr_workgroup_id_y 0
		.amdhsa_system_sgpr_workgroup_id_z 0
		.amdhsa_system_sgpr_workgroup_info 0
		.amdhsa_system_vgpr_workitem_id 0
		.amdhsa_next_free_vgpr 1
		.amdhsa_next_free_sgpr 0
		.amdhsa_accum_offset 4
		.amdhsa_reserve_vcc 0
		.amdhsa_float_round_mode_32 0
		.amdhsa_float_round_mode_16_64 0
		.amdhsa_float_denorm_mode_32 3
		.amdhsa_float_denorm_mode_16_64 3
		.amdhsa_dx10_clamp 1
		.amdhsa_ieee_mode 1
		.amdhsa_fp16_overflow 0
		.amdhsa_tg_split 0
		.amdhsa_exception_fp_ieee_invalid_op 0
		.amdhsa_exception_fp_denorm_src 0
		.amdhsa_exception_fp_ieee_div_zero 0
		.amdhsa_exception_fp_ieee_overflow 0
		.amdhsa_exception_fp_ieee_underflow 0
		.amdhsa_exception_fp_ieee_inexact 0
		.amdhsa_exception_int_div_zero 0
	.end_amdhsa_kernel
	.section	.text._ZN7rocprim17ROCPRIM_400000_NS6detail17trampoline_kernelINS0_14default_configENS1_38merge_sort_block_merge_config_selectorIlNS0_10empty_typeEEEZZNS1_27merge_sort_block_merge_implIS3_PlPS5_mZN2at6native12_GLOBAL__N_124unique_dim_cuda_templateIsEESt5tupleIJNSA_6TensorESF_SF_EERKSF_lbbbEUlllE_EE10hipError_tT0_T1_T2_jT3_P12ihipStream_tbPNSt15iterator_traitsISL_E10value_typeEPNSR_ISM_E10value_typeEPSN_NS1_7vsmem_tEENKUlT_SL_SM_SN_E_clIS8_S8_S9_S9_EESK_S10_SL_SM_SN_EUlS10_E1_NS1_11comp_targetILNS1_3genE5ELNS1_11target_archE942ELNS1_3gpuE9ELNS1_3repE0EEENS1_36merge_oddeven_config_static_selectorELNS0_4arch9wavefront6targetE1EEEvSM_,"axG",@progbits,_ZN7rocprim17ROCPRIM_400000_NS6detail17trampoline_kernelINS0_14default_configENS1_38merge_sort_block_merge_config_selectorIlNS0_10empty_typeEEEZZNS1_27merge_sort_block_merge_implIS3_PlPS5_mZN2at6native12_GLOBAL__N_124unique_dim_cuda_templateIsEESt5tupleIJNSA_6TensorESF_SF_EERKSF_lbbbEUlllE_EE10hipError_tT0_T1_T2_jT3_P12ihipStream_tbPNSt15iterator_traitsISL_E10value_typeEPNSR_ISM_E10value_typeEPSN_NS1_7vsmem_tEENKUlT_SL_SM_SN_E_clIS8_S8_S9_S9_EESK_S10_SL_SM_SN_EUlS10_E1_NS1_11comp_targetILNS1_3genE5ELNS1_11target_archE942ELNS1_3gpuE9ELNS1_3repE0EEENS1_36merge_oddeven_config_static_selectorELNS0_4arch9wavefront6targetE1EEEvSM_,comdat
.Lfunc_end654:
	.size	_ZN7rocprim17ROCPRIM_400000_NS6detail17trampoline_kernelINS0_14default_configENS1_38merge_sort_block_merge_config_selectorIlNS0_10empty_typeEEEZZNS1_27merge_sort_block_merge_implIS3_PlPS5_mZN2at6native12_GLOBAL__N_124unique_dim_cuda_templateIsEESt5tupleIJNSA_6TensorESF_SF_EERKSF_lbbbEUlllE_EE10hipError_tT0_T1_T2_jT3_P12ihipStream_tbPNSt15iterator_traitsISL_E10value_typeEPNSR_ISM_E10value_typeEPSN_NS1_7vsmem_tEENKUlT_SL_SM_SN_E_clIS8_S8_S9_S9_EESK_S10_SL_SM_SN_EUlS10_E1_NS1_11comp_targetILNS1_3genE5ELNS1_11target_archE942ELNS1_3gpuE9ELNS1_3repE0EEENS1_36merge_oddeven_config_static_selectorELNS0_4arch9wavefront6targetE1EEEvSM_, .Lfunc_end654-_ZN7rocprim17ROCPRIM_400000_NS6detail17trampoline_kernelINS0_14default_configENS1_38merge_sort_block_merge_config_selectorIlNS0_10empty_typeEEEZZNS1_27merge_sort_block_merge_implIS3_PlPS5_mZN2at6native12_GLOBAL__N_124unique_dim_cuda_templateIsEESt5tupleIJNSA_6TensorESF_SF_EERKSF_lbbbEUlllE_EE10hipError_tT0_T1_T2_jT3_P12ihipStream_tbPNSt15iterator_traitsISL_E10value_typeEPNSR_ISM_E10value_typeEPSN_NS1_7vsmem_tEENKUlT_SL_SM_SN_E_clIS8_S8_S9_S9_EESK_S10_SL_SM_SN_EUlS10_E1_NS1_11comp_targetILNS1_3genE5ELNS1_11target_archE942ELNS1_3gpuE9ELNS1_3repE0EEENS1_36merge_oddeven_config_static_selectorELNS0_4arch9wavefront6targetE1EEEvSM_
                                        ; -- End function
	.set _ZN7rocprim17ROCPRIM_400000_NS6detail17trampoline_kernelINS0_14default_configENS1_38merge_sort_block_merge_config_selectorIlNS0_10empty_typeEEEZZNS1_27merge_sort_block_merge_implIS3_PlPS5_mZN2at6native12_GLOBAL__N_124unique_dim_cuda_templateIsEESt5tupleIJNSA_6TensorESF_SF_EERKSF_lbbbEUlllE_EE10hipError_tT0_T1_T2_jT3_P12ihipStream_tbPNSt15iterator_traitsISL_E10value_typeEPNSR_ISM_E10value_typeEPSN_NS1_7vsmem_tEENKUlT_SL_SM_SN_E_clIS8_S8_S9_S9_EESK_S10_SL_SM_SN_EUlS10_E1_NS1_11comp_targetILNS1_3genE5ELNS1_11target_archE942ELNS1_3gpuE9ELNS1_3repE0EEENS1_36merge_oddeven_config_static_selectorELNS0_4arch9wavefront6targetE1EEEvSM_.num_vgpr, 0
	.set _ZN7rocprim17ROCPRIM_400000_NS6detail17trampoline_kernelINS0_14default_configENS1_38merge_sort_block_merge_config_selectorIlNS0_10empty_typeEEEZZNS1_27merge_sort_block_merge_implIS3_PlPS5_mZN2at6native12_GLOBAL__N_124unique_dim_cuda_templateIsEESt5tupleIJNSA_6TensorESF_SF_EERKSF_lbbbEUlllE_EE10hipError_tT0_T1_T2_jT3_P12ihipStream_tbPNSt15iterator_traitsISL_E10value_typeEPNSR_ISM_E10value_typeEPSN_NS1_7vsmem_tEENKUlT_SL_SM_SN_E_clIS8_S8_S9_S9_EESK_S10_SL_SM_SN_EUlS10_E1_NS1_11comp_targetILNS1_3genE5ELNS1_11target_archE942ELNS1_3gpuE9ELNS1_3repE0EEENS1_36merge_oddeven_config_static_selectorELNS0_4arch9wavefront6targetE1EEEvSM_.num_agpr, 0
	.set _ZN7rocprim17ROCPRIM_400000_NS6detail17trampoline_kernelINS0_14default_configENS1_38merge_sort_block_merge_config_selectorIlNS0_10empty_typeEEEZZNS1_27merge_sort_block_merge_implIS3_PlPS5_mZN2at6native12_GLOBAL__N_124unique_dim_cuda_templateIsEESt5tupleIJNSA_6TensorESF_SF_EERKSF_lbbbEUlllE_EE10hipError_tT0_T1_T2_jT3_P12ihipStream_tbPNSt15iterator_traitsISL_E10value_typeEPNSR_ISM_E10value_typeEPSN_NS1_7vsmem_tEENKUlT_SL_SM_SN_E_clIS8_S8_S9_S9_EESK_S10_SL_SM_SN_EUlS10_E1_NS1_11comp_targetILNS1_3genE5ELNS1_11target_archE942ELNS1_3gpuE9ELNS1_3repE0EEENS1_36merge_oddeven_config_static_selectorELNS0_4arch9wavefront6targetE1EEEvSM_.numbered_sgpr, 0
	.set _ZN7rocprim17ROCPRIM_400000_NS6detail17trampoline_kernelINS0_14default_configENS1_38merge_sort_block_merge_config_selectorIlNS0_10empty_typeEEEZZNS1_27merge_sort_block_merge_implIS3_PlPS5_mZN2at6native12_GLOBAL__N_124unique_dim_cuda_templateIsEESt5tupleIJNSA_6TensorESF_SF_EERKSF_lbbbEUlllE_EE10hipError_tT0_T1_T2_jT3_P12ihipStream_tbPNSt15iterator_traitsISL_E10value_typeEPNSR_ISM_E10value_typeEPSN_NS1_7vsmem_tEENKUlT_SL_SM_SN_E_clIS8_S8_S9_S9_EESK_S10_SL_SM_SN_EUlS10_E1_NS1_11comp_targetILNS1_3genE5ELNS1_11target_archE942ELNS1_3gpuE9ELNS1_3repE0EEENS1_36merge_oddeven_config_static_selectorELNS0_4arch9wavefront6targetE1EEEvSM_.num_named_barrier, 0
	.set _ZN7rocprim17ROCPRIM_400000_NS6detail17trampoline_kernelINS0_14default_configENS1_38merge_sort_block_merge_config_selectorIlNS0_10empty_typeEEEZZNS1_27merge_sort_block_merge_implIS3_PlPS5_mZN2at6native12_GLOBAL__N_124unique_dim_cuda_templateIsEESt5tupleIJNSA_6TensorESF_SF_EERKSF_lbbbEUlllE_EE10hipError_tT0_T1_T2_jT3_P12ihipStream_tbPNSt15iterator_traitsISL_E10value_typeEPNSR_ISM_E10value_typeEPSN_NS1_7vsmem_tEENKUlT_SL_SM_SN_E_clIS8_S8_S9_S9_EESK_S10_SL_SM_SN_EUlS10_E1_NS1_11comp_targetILNS1_3genE5ELNS1_11target_archE942ELNS1_3gpuE9ELNS1_3repE0EEENS1_36merge_oddeven_config_static_selectorELNS0_4arch9wavefront6targetE1EEEvSM_.private_seg_size, 0
	.set _ZN7rocprim17ROCPRIM_400000_NS6detail17trampoline_kernelINS0_14default_configENS1_38merge_sort_block_merge_config_selectorIlNS0_10empty_typeEEEZZNS1_27merge_sort_block_merge_implIS3_PlPS5_mZN2at6native12_GLOBAL__N_124unique_dim_cuda_templateIsEESt5tupleIJNSA_6TensorESF_SF_EERKSF_lbbbEUlllE_EE10hipError_tT0_T1_T2_jT3_P12ihipStream_tbPNSt15iterator_traitsISL_E10value_typeEPNSR_ISM_E10value_typeEPSN_NS1_7vsmem_tEENKUlT_SL_SM_SN_E_clIS8_S8_S9_S9_EESK_S10_SL_SM_SN_EUlS10_E1_NS1_11comp_targetILNS1_3genE5ELNS1_11target_archE942ELNS1_3gpuE9ELNS1_3repE0EEENS1_36merge_oddeven_config_static_selectorELNS0_4arch9wavefront6targetE1EEEvSM_.uses_vcc, 0
	.set _ZN7rocprim17ROCPRIM_400000_NS6detail17trampoline_kernelINS0_14default_configENS1_38merge_sort_block_merge_config_selectorIlNS0_10empty_typeEEEZZNS1_27merge_sort_block_merge_implIS3_PlPS5_mZN2at6native12_GLOBAL__N_124unique_dim_cuda_templateIsEESt5tupleIJNSA_6TensorESF_SF_EERKSF_lbbbEUlllE_EE10hipError_tT0_T1_T2_jT3_P12ihipStream_tbPNSt15iterator_traitsISL_E10value_typeEPNSR_ISM_E10value_typeEPSN_NS1_7vsmem_tEENKUlT_SL_SM_SN_E_clIS8_S8_S9_S9_EESK_S10_SL_SM_SN_EUlS10_E1_NS1_11comp_targetILNS1_3genE5ELNS1_11target_archE942ELNS1_3gpuE9ELNS1_3repE0EEENS1_36merge_oddeven_config_static_selectorELNS0_4arch9wavefront6targetE1EEEvSM_.uses_flat_scratch, 0
	.set _ZN7rocprim17ROCPRIM_400000_NS6detail17trampoline_kernelINS0_14default_configENS1_38merge_sort_block_merge_config_selectorIlNS0_10empty_typeEEEZZNS1_27merge_sort_block_merge_implIS3_PlPS5_mZN2at6native12_GLOBAL__N_124unique_dim_cuda_templateIsEESt5tupleIJNSA_6TensorESF_SF_EERKSF_lbbbEUlllE_EE10hipError_tT0_T1_T2_jT3_P12ihipStream_tbPNSt15iterator_traitsISL_E10value_typeEPNSR_ISM_E10value_typeEPSN_NS1_7vsmem_tEENKUlT_SL_SM_SN_E_clIS8_S8_S9_S9_EESK_S10_SL_SM_SN_EUlS10_E1_NS1_11comp_targetILNS1_3genE5ELNS1_11target_archE942ELNS1_3gpuE9ELNS1_3repE0EEENS1_36merge_oddeven_config_static_selectorELNS0_4arch9wavefront6targetE1EEEvSM_.has_dyn_sized_stack, 0
	.set _ZN7rocprim17ROCPRIM_400000_NS6detail17trampoline_kernelINS0_14default_configENS1_38merge_sort_block_merge_config_selectorIlNS0_10empty_typeEEEZZNS1_27merge_sort_block_merge_implIS3_PlPS5_mZN2at6native12_GLOBAL__N_124unique_dim_cuda_templateIsEESt5tupleIJNSA_6TensorESF_SF_EERKSF_lbbbEUlllE_EE10hipError_tT0_T1_T2_jT3_P12ihipStream_tbPNSt15iterator_traitsISL_E10value_typeEPNSR_ISM_E10value_typeEPSN_NS1_7vsmem_tEENKUlT_SL_SM_SN_E_clIS8_S8_S9_S9_EESK_S10_SL_SM_SN_EUlS10_E1_NS1_11comp_targetILNS1_3genE5ELNS1_11target_archE942ELNS1_3gpuE9ELNS1_3repE0EEENS1_36merge_oddeven_config_static_selectorELNS0_4arch9wavefront6targetE1EEEvSM_.has_recursion, 0
	.set _ZN7rocprim17ROCPRIM_400000_NS6detail17trampoline_kernelINS0_14default_configENS1_38merge_sort_block_merge_config_selectorIlNS0_10empty_typeEEEZZNS1_27merge_sort_block_merge_implIS3_PlPS5_mZN2at6native12_GLOBAL__N_124unique_dim_cuda_templateIsEESt5tupleIJNSA_6TensorESF_SF_EERKSF_lbbbEUlllE_EE10hipError_tT0_T1_T2_jT3_P12ihipStream_tbPNSt15iterator_traitsISL_E10value_typeEPNSR_ISM_E10value_typeEPSN_NS1_7vsmem_tEENKUlT_SL_SM_SN_E_clIS8_S8_S9_S9_EESK_S10_SL_SM_SN_EUlS10_E1_NS1_11comp_targetILNS1_3genE5ELNS1_11target_archE942ELNS1_3gpuE9ELNS1_3repE0EEENS1_36merge_oddeven_config_static_selectorELNS0_4arch9wavefront6targetE1EEEvSM_.has_indirect_call, 0
	.section	.AMDGPU.csdata,"",@progbits
; Kernel info:
; codeLenInByte = 0
; TotalNumSgprs: 6
; NumVgprs: 0
; NumAgprs: 0
; TotalNumVgprs: 0
; ScratchSize: 0
; MemoryBound: 0
; FloatMode: 240
; IeeeMode: 1
; LDSByteSize: 0 bytes/workgroup (compile time only)
; SGPRBlocks: 0
; VGPRBlocks: 0
; NumSGPRsForWavesPerEU: 6
; NumVGPRsForWavesPerEU: 1
; AccumOffset: 4
; Occupancy: 8
; WaveLimiterHint : 0
; COMPUTE_PGM_RSRC2:SCRATCH_EN: 0
; COMPUTE_PGM_RSRC2:USER_SGPR: 2
; COMPUTE_PGM_RSRC2:TRAP_HANDLER: 0
; COMPUTE_PGM_RSRC2:TGID_X_EN: 1
; COMPUTE_PGM_RSRC2:TGID_Y_EN: 0
; COMPUTE_PGM_RSRC2:TGID_Z_EN: 0
; COMPUTE_PGM_RSRC2:TIDIG_COMP_CNT: 0
; COMPUTE_PGM_RSRC3_GFX90A:ACCUM_OFFSET: 0
; COMPUTE_PGM_RSRC3_GFX90A:TG_SPLIT: 0
	.section	.text._ZN7rocprim17ROCPRIM_400000_NS6detail17trampoline_kernelINS0_14default_configENS1_38merge_sort_block_merge_config_selectorIlNS0_10empty_typeEEEZZNS1_27merge_sort_block_merge_implIS3_PlPS5_mZN2at6native12_GLOBAL__N_124unique_dim_cuda_templateIsEESt5tupleIJNSA_6TensorESF_SF_EERKSF_lbbbEUlllE_EE10hipError_tT0_T1_T2_jT3_P12ihipStream_tbPNSt15iterator_traitsISL_E10value_typeEPNSR_ISM_E10value_typeEPSN_NS1_7vsmem_tEENKUlT_SL_SM_SN_E_clIS8_S8_S9_S9_EESK_S10_SL_SM_SN_EUlS10_E1_NS1_11comp_targetILNS1_3genE4ELNS1_11target_archE910ELNS1_3gpuE8ELNS1_3repE0EEENS1_36merge_oddeven_config_static_selectorELNS0_4arch9wavefront6targetE1EEEvSM_,"axG",@progbits,_ZN7rocprim17ROCPRIM_400000_NS6detail17trampoline_kernelINS0_14default_configENS1_38merge_sort_block_merge_config_selectorIlNS0_10empty_typeEEEZZNS1_27merge_sort_block_merge_implIS3_PlPS5_mZN2at6native12_GLOBAL__N_124unique_dim_cuda_templateIsEESt5tupleIJNSA_6TensorESF_SF_EERKSF_lbbbEUlllE_EE10hipError_tT0_T1_T2_jT3_P12ihipStream_tbPNSt15iterator_traitsISL_E10value_typeEPNSR_ISM_E10value_typeEPSN_NS1_7vsmem_tEENKUlT_SL_SM_SN_E_clIS8_S8_S9_S9_EESK_S10_SL_SM_SN_EUlS10_E1_NS1_11comp_targetILNS1_3genE4ELNS1_11target_archE910ELNS1_3gpuE8ELNS1_3repE0EEENS1_36merge_oddeven_config_static_selectorELNS0_4arch9wavefront6targetE1EEEvSM_,comdat
	.globl	_ZN7rocprim17ROCPRIM_400000_NS6detail17trampoline_kernelINS0_14default_configENS1_38merge_sort_block_merge_config_selectorIlNS0_10empty_typeEEEZZNS1_27merge_sort_block_merge_implIS3_PlPS5_mZN2at6native12_GLOBAL__N_124unique_dim_cuda_templateIsEESt5tupleIJNSA_6TensorESF_SF_EERKSF_lbbbEUlllE_EE10hipError_tT0_T1_T2_jT3_P12ihipStream_tbPNSt15iterator_traitsISL_E10value_typeEPNSR_ISM_E10value_typeEPSN_NS1_7vsmem_tEENKUlT_SL_SM_SN_E_clIS8_S8_S9_S9_EESK_S10_SL_SM_SN_EUlS10_E1_NS1_11comp_targetILNS1_3genE4ELNS1_11target_archE910ELNS1_3gpuE8ELNS1_3repE0EEENS1_36merge_oddeven_config_static_selectorELNS0_4arch9wavefront6targetE1EEEvSM_ ; -- Begin function _ZN7rocprim17ROCPRIM_400000_NS6detail17trampoline_kernelINS0_14default_configENS1_38merge_sort_block_merge_config_selectorIlNS0_10empty_typeEEEZZNS1_27merge_sort_block_merge_implIS3_PlPS5_mZN2at6native12_GLOBAL__N_124unique_dim_cuda_templateIsEESt5tupleIJNSA_6TensorESF_SF_EERKSF_lbbbEUlllE_EE10hipError_tT0_T1_T2_jT3_P12ihipStream_tbPNSt15iterator_traitsISL_E10value_typeEPNSR_ISM_E10value_typeEPSN_NS1_7vsmem_tEENKUlT_SL_SM_SN_E_clIS8_S8_S9_S9_EESK_S10_SL_SM_SN_EUlS10_E1_NS1_11comp_targetILNS1_3genE4ELNS1_11target_archE910ELNS1_3gpuE8ELNS1_3repE0EEENS1_36merge_oddeven_config_static_selectorELNS0_4arch9wavefront6targetE1EEEvSM_
	.p2align	8
	.type	_ZN7rocprim17ROCPRIM_400000_NS6detail17trampoline_kernelINS0_14default_configENS1_38merge_sort_block_merge_config_selectorIlNS0_10empty_typeEEEZZNS1_27merge_sort_block_merge_implIS3_PlPS5_mZN2at6native12_GLOBAL__N_124unique_dim_cuda_templateIsEESt5tupleIJNSA_6TensorESF_SF_EERKSF_lbbbEUlllE_EE10hipError_tT0_T1_T2_jT3_P12ihipStream_tbPNSt15iterator_traitsISL_E10value_typeEPNSR_ISM_E10value_typeEPSN_NS1_7vsmem_tEENKUlT_SL_SM_SN_E_clIS8_S8_S9_S9_EESK_S10_SL_SM_SN_EUlS10_E1_NS1_11comp_targetILNS1_3genE4ELNS1_11target_archE910ELNS1_3gpuE8ELNS1_3repE0EEENS1_36merge_oddeven_config_static_selectorELNS0_4arch9wavefront6targetE1EEEvSM_,@function
_ZN7rocprim17ROCPRIM_400000_NS6detail17trampoline_kernelINS0_14default_configENS1_38merge_sort_block_merge_config_selectorIlNS0_10empty_typeEEEZZNS1_27merge_sort_block_merge_implIS3_PlPS5_mZN2at6native12_GLOBAL__N_124unique_dim_cuda_templateIsEESt5tupleIJNSA_6TensorESF_SF_EERKSF_lbbbEUlllE_EE10hipError_tT0_T1_T2_jT3_P12ihipStream_tbPNSt15iterator_traitsISL_E10value_typeEPNSR_ISM_E10value_typeEPSN_NS1_7vsmem_tEENKUlT_SL_SM_SN_E_clIS8_S8_S9_S9_EESK_S10_SL_SM_SN_EUlS10_E1_NS1_11comp_targetILNS1_3genE4ELNS1_11target_archE910ELNS1_3gpuE8ELNS1_3repE0EEENS1_36merge_oddeven_config_static_selectorELNS0_4arch9wavefront6targetE1EEEvSM_: ; @_ZN7rocprim17ROCPRIM_400000_NS6detail17trampoline_kernelINS0_14default_configENS1_38merge_sort_block_merge_config_selectorIlNS0_10empty_typeEEEZZNS1_27merge_sort_block_merge_implIS3_PlPS5_mZN2at6native12_GLOBAL__N_124unique_dim_cuda_templateIsEESt5tupleIJNSA_6TensorESF_SF_EERKSF_lbbbEUlllE_EE10hipError_tT0_T1_T2_jT3_P12ihipStream_tbPNSt15iterator_traitsISL_E10value_typeEPNSR_ISM_E10value_typeEPSN_NS1_7vsmem_tEENKUlT_SL_SM_SN_E_clIS8_S8_S9_S9_EESK_S10_SL_SM_SN_EUlS10_E1_NS1_11comp_targetILNS1_3genE4ELNS1_11target_archE910ELNS1_3gpuE8ELNS1_3repE0EEENS1_36merge_oddeven_config_static_selectorELNS0_4arch9wavefront6targetE1EEEvSM_
; %bb.0:
	.section	.rodata,"a",@progbits
	.p2align	6, 0x0
	.amdhsa_kernel _ZN7rocprim17ROCPRIM_400000_NS6detail17trampoline_kernelINS0_14default_configENS1_38merge_sort_block_merge_config_selectorIlNS0_10empty_typeEEEZZNS1_27merge_sort_block_merge_implIS3_PlPS5_mZN2at6native12_GLOBAL__N_124unique_dim_cuda_templateIsEESt5tupleIJNSA_6TensorESF_SF_EERKSF_lbbbEUlllE_EE10hipError_tT0_T1_T2_jT3_P12ihipStream_tbPNSt15iterator_traitsISL_E10value_typeEPNSR_ISM_E10value_typeEPSN_NS1_7vsmem_tEENKUlT_SL_SM_SN_E_clIS8_S8_S9_S9_EESK_S10_SL_SM_SN_EUlS10_E1_NS1_11comp_targetILNS1_3genE4ELNS1_11target_archE910ELNS1_3gpuE8ELNS1_3repE0EEENS1_36merge_oddeven_config_static_selectorELNS0_4arch9wavefront6targetE1EEEvSM_
		.amdhsa_group_segment_fixed_size 0
		.amdhsa_private_segment_fixed_size 0
		.amdhsa_kernarg_size 64
		.amdhsa_user_sgpr_count 2
		.amdhsa_user_sgpr_dispatch_ptr 0
		.amdhsa_user_sgpr_queue_ptr 0
		.amdhsa_user_sgpr_kernarg_segment_ptr 1
		.amdhsa_user_sgpr_dispatch_id 0
		.amdhsa_user_sgpr_kernarg_preload_length 0
		.amdhsa_user_sgpr_kernarg_preload_offset 0
		.amdhsa_user_sgpr_private_segment_size 0
		.amdhsa_uses_dynamic_stack 0
		.amdhsa_enable_private_segment 0
		.amdhsa_system_sgpr_workgroup_id_x 1
		.amdhsa_system_sgpr_workgroup_id_y 0
		.amdhsa_system_sgpr_workgroup_id_z 0
		.amdhsa_system_sgpr_workgroup_info 0
		.amdhsa_system_vgpr_workitem_id 0
		.amdhsa_next_free_vgpr 1
		.amdhsa_next_free_sgpr 0
		.amdhsa_accum_offset 4
		.amdhsa_reserve_vcc 0
		.amdhsa_float_round_mode_32 0
		.amdhsa_float_round_mode_16_64 0
		.amdhsa_float_denorm_mode_32 3
		.amdhsa_float_denorm_mode_16_64 3
		.amdhsa_dx10_clamp 1
		.amdhsa_ieee_mode 1
		.amdhsa_fp16_overflow 0
		.amdhsa_tg_split 0
		.amdhsa_exception_fp_ieee_invalid_op 0
		.amdhsa_exception_fp_denorm_src 0
		.amdhsa_exception_fp_ieee_div_zero 0
		.amdhsa_exception_fp_ieee_overflow 0
		.amdhsa_exception_fp_ieee_underflow 0
		.amdhsa_exception_fp_ieee_inexact 0
		.amdhsa_exception_int_div_zero 0
	.end_amdhsa_kernel
	.section	.text._ZN7rocprim17ROCPRIM_400000_NS6detail17trampoline_kernelINS0_14default_configENS1_38merge_sort_block_merge_config_selectorIlNS0_10empty_typeEEEZZNS1_27merge_sort_block_merge_implIS3_PlPS5_mZN2at6native12_GLOBAL__N_124unique_dim_cuda_templateIsEESt5tupleIJNSA_6TensorESF_SF_EERKSF_lbbbEUlllE_EE10hipError_tT0_T1_T2_jT3_P12ihipStream_tbPNSt15iterator_traitsISL_E10value_typeEPNSR_ISM_E10value_typeEPSN_NS1_7vsmem_tEENKUlT_SL_SM_SN_E_clIS8_S8_S9_S9_EESK_S10_SL_SM_SN_EUlS10_E1_NS1_11comp_targetILNS1_3genE4ELNS1_11target_archE910ELNS1_3gpuE8ELNS1_3repE0EEENS1_36merge_oddeven_config_static_selectorELNS0_4arch9wavefront6targetE1EEEvSM_,"axG",@progbits,_ZN7rocprim17ROCPRIM_400000_NS6detail17trampoline_kernelINS0_14default_configENS1_38merge_sort_block_merge_config_selectorIlNS0_10empty_typeEEEZZNS1_27merge_sort_block_merge_implIS3_PlPS5_mZN2at6native12_GLOBAL__N_124unique_dim_cuda_templateIsEESt5tupleIJNSA_6TensorESF_SF_EERKSF_lbbbEUlllE_EE10hipError_tT0_T1_T2_jT3_P12ihipStream_tbPNSt15iterator_traitsISL_E10value_typeEPNSR_ISM_E10value_typeEPSN_NS1_7vsmem_tEENKUlT_SL_SM_SN_E_clIS8_S8_S9_S9_EESK_S10_SL_SM_SN_EUlS10_E1_NS1_11comp_targetILNS1_3genE4ELNS1_11target_archE910ELNS1_3gpuE8ELNS1_3repE0EEENS1_36merge_oddeven_config_static_selectorELNS0_4arch9wavefront6targetE1EEEvSM_,comdat
.Lfunc_end655:
	.size	_ZN7rocprim17ROCPRIM_400000_NS6detail17trampoline_kernelINS0_14default_configENS1_38merge_sort_block_merge_config_selectorIlNS0_10empty_typeEEEZZNS1_27merge_sort_block_merge_implIS3_PlPS5_mZN2at6native12_GLOBAL__N_124unique_dim_cuda_templateIsEESt5tupleIJNSA_6TensorESF_SF_EERKSF_lbbbEUlllE_EE10hipError_tT0_T1_T2_jT3_P12ihipStream_tbPNSt15iterator_traitsISL_E10value_typeEPNSR_ISM_E10value_typeEPSN_NS1_7vsmem_tEENKUlT_SL_SM_SN_E_clIS8_S8_S9_S9_EESK_S10_SL_SM_SN_EUlS10_E1_NS1_11comp_targetILNS1_3genE4ELNS1_11target_archE910ELNS1_3gpuE8ELNS1_3repE0EEENS1_36merge_oddeven_config_static_selectorELNS0_4arch9wavefront6targetE1EEEvSM_, .Lfunc_end655-_ZN7rocprim17ROCPRIM_400000_NS6detail17trampoline_kernelINS0_14default_configENS1_38merge_sort_block_merge_config_selectorIlNS0_10empty_typeEEEZZNS1_27merge_sort_block_merge_implIS3_PlPS5_mZN2at6native12_GLOBAL__N_124unique_dim_cuda_templateIsEESt5tupleIJNSA_6TensorESF_SF_EERKSF_lbbbEUlllE_EE10hipError_tT0_T1_T2_jT3_P12ihipStream_tbPNSt15iterator_traitsISL_E10value_typeEPNSR_ISM_E10value_typeEPSN_NS1_7vsmem_tEENKUlT_SL_SM_SN_E_clIS8_S8_S9_S9_EESK_S10_SL_SM_SN_EUlS10_E1_NS1_11comp_targetILNS1_3genE4ELNS1_11target_archE910ELNS1_3gpuE8ELNS1_3repE0EEENS1_36merge_oddeven_config_static_selectorELNS0_4arch9wavefront6targetE1EEEvSM_
                                        ; -- End function
	.set _ZN7rocprim17ROCPRIM_400000_NS6detail17trampoline_kernelINS0_14default_configENS1_38merge_sort_block_merge_config_selectorIlNS0_10empty_typeEEEZZNS1_27merge_sort_block_merge_implIS3_PlPS5_mZN2at6native12_GLOBAL__N_124unique_dim_cuda_templateIsEESt5tupleIJNSA_6TensorESF_SF_EERKSF_lbbbEUlllE_EE10hipError_tT0_T1_T2_jT3_P12ihipStream_tbPNSt15iterator_traitsISL_E10value_typeEPNSR_ISM_E10value_typeEPSN_NS1_7vsmem_tEENKUlT_SL_SM_SN_E_clIS8_S8_S9_S9_EESK_S10_SL_SM_SN_EUlS10_E1_NS1_11comp_targetILNS1_3genE4ELNS1_11target_archE910ELNS1_3gpuE8ELNS1_3repE0EEENS1_36merge_oddeven_config_static_selectorELNS0_4arch9wavefront6targetE1EEEvSM_.num_vgpr, 0
	.set _ZN7rocprim17ROCPRIM_400000_NS6detail17trampoline_kernelINS0_14default_configENS1_38merge_sort_block_merge_config_selectorIlNS0_10empty_typeEEEZZNS1_27merge_sort_block_merge_implIS3_PlPS5_mZN2at6native12_GLOBAL__N_124unique_dim_cuda_templateIsEESt5tupleIJNSA_6TensorESF_SF_EERKSF_lbbbEUlllE_EE10hipError_tT0_T1_T2_jT3_P12ihipStream_tbPNSt15iterator_traitsISL_E10value_typeEPNSR_ISM_E10value_typeEPSN_NS1_7vsmem_tEENKUlT_SL_SM_SN_E_clIS8_S8_S9_S9_EESK_S10_SL_SM_SN_EUlS10_E1_NS1_11comp_targetILNS1_3genE4ELNS1_11target_archE910ELNS1_3gpuE8ELNS1_3repE0EEENS1_36merge_oddeven_config_static_selectorELNS0_4arch9wavefront6targetE1EEEvSM_.num_agpr, 0
	.set _ZN7rocprim17ROCPRIM_400000_NS6detail17trampoline_kernelINS0_14default_configENS1_38merge_sort_block_merge_config_selectorIlNS0_10empty_typeEEEZZNS1_27merge_sort_block_merge_implIS3_PlPS5_mZN2at6native12_GLOBAL__N_124unique_dim_cuda_templateIsEESt5tupleIJNSA_6TensorESF_SF_EERKSF_lbbbEUlllE_EE10hipError_tT0_T1_T2_jT3_P12ihipStream_tbPNSt15iterator_traitsISL_E10value_typeEPNSR_ISM_E10value_typeEPSN_NS1_7vsmem_tEENKUlT_SL_SM_SN_E_clIS8_S8_S9_S9_EESK_S10_SL_SM_SN_EUlS10_E1_NS1_11comp_targetILNS1_3genE4ELNS1_11target_archE910ELNS1_3gpuE8ELNS1_3repE0EEENS1_36merge_oddeven_config_static_selectorELNS0_4arch9wavefront6targetE1EEEvSM_.numbered_sgpr, 0
	.set _ZN7rocprim17ROCPRIM_400000_NS6detail17trampoline_kernelINS0_14default_configENS1_38merge_sort_block_merge_config_selectorIlNS0_10empty_typeEEEZZNS1_27merge_sort_block_merge_implIS3_PlPS5_mZN2at6native12_GLOBAL__N_124unique_dim_cuda_templateIsEESt5tupleIJNSA_6TensorESF_SF_EERKSF_lbbbEUlllE_EE10hipError_tT0_T1_T2_jT3_P12ihipStream_tbPNSt15iterator_traitsISL_E10value_typeEPNSR_ISM_E10value_typeEPSN_NS1_7vsmem_tEENKUlT_SL_SM_SN_E_clIS8_S8_S9_S9_EESK_S10_SL_SM_SN_EUlS10_E1_NS1_11comp_targetILNS1_3genE4ELNS1_11target_archE910ELNS1_3gpuE8ELNS1_3repE0EEENS1_36merge_oddeven_config_static_selectorELNS0_4arch9wavefront6targetE1EEEvSM_.num_named_barrier, 0
	.set _ZN7rocprim17ROCPRIM_400000_NS6detail17trampoline_kernelINS0_14default_configENS1_38merge_sort_block_merge_config_selectorIlNS0_10empty_typeEEEZZNS1_27merge_sort_block_merge_implIS3_PlPS5_mZN2at6native12_GLOBAL__N_124unique_dim_cuda_templateIsEESt5tupleIJNSA_6TensorESF_SF_EERKSF_lbbbEUlllE_EE10hipError_tT0_T1_T2_jT3_P12ihipStream_tbPNSt15iterator_traitsISL_E10value_typeEPNSR_ISM_E10value_typeEPSN_NS1_7vsmem_tEENKUlT_SL_SM_SN_E_clIS8_S8_S9_S9_EESK_S10_SL_SM_SN_EUlS10_E1_NS1_11comp_targetILNS1_3genE4ELNS1_11target_archE910ELNS1_3gpuE8ELNS1_3repE0EEENS1_36merge_oddeven_config_static_selectorELNS0_4arch9wavefront6targetE1EEEvSM_.private_seg_size, 0
	.set _ZN7rocprim17ROCPRIM_400000_NS6detail17trampoline_kernelINS0_14default_configENS1_38merge_sort_block_merge_config_selectorIlNS0_10empty_typeEEEZZNS1_27merge_sort_block_merge_implIS3_PlPS5_mZN2at6native12_GLOBAL__N_124unique_dim_cuda_templateIsEESt5tupleIJNSA_6TensorESF_SF_EERKSF_lbbbEUlllE_EE10hipError_tT0_T1_T2_jT3_P12ihipStream_tbPNSt15iterator_traitsISL_E10value_typeEPNSR_ISM_E10value_typeEPSN_NS1_7vsmem_tEENKUlT_SL_SM_SN_E_clIS8_S8_S9_S9_EESK_S10_SL_SM_SN_EUlS10_E1_NS1_11comp_targetILNS1_3genE4ELNS1_11target_archE910ELNS1_3gpuE8ELNS1_3repE0EEENS1_36merge_oddeven_config_static_selectorELNS0_4arch9wavefront6targetE1EEEvSM_.uses_vcc, 0
	.set _ZN7rocprim17ROCPRIM_400000_NS6detail17trampoline_kernelINS0_14default_configENS1_38merge_sort_block_merge_config_selectorIlNS0_10empty_typeEEEZZNS1_27merge_sort_block_merge_implIS3_PlPS5_mZN2at6native12_GLOBAL__N_124unique_dim_cuda_templateIsEESt5tupleIJNSA_6TensorESF_SF_EERKSF_lbbbEUlllE_EE10hipError_tT0_T1_T2_jT3_P12ihipStream_tbPNSt15iterator_traitsISL_E10value_typeEPNSR_ISM_E10value_typeEPSN_NS1_7vsmem_tEENKUlT_SL_SM_SN_E_clIS8_S8_S9_S9_EESK_S10_SL_SM_SN_EUlS10_E1_NS1_11comp_targetILNS1_3genE4ELNS1_11target_archE910ELNS1_3gpuE8ELNS1_3repE0EEENS1_36merge_oddeven_config_static_selectorELNS0_4arch9wavefront6targetE1EEEvSM_.uses_flat_scratch, 0
	.set _ZN7rocprim17ROCPRIM_400000_NS6detail17trampoline_kernelINS0_14default_configENS1_38merge_sort_block_merge_config_selectorIlNS0_10empty_typeEEEZZNS1_27merge_sort_block_merge_implIS3_PlPS5_mZN2at6native12_GLOBAL__N_124unique_dim_cuda_templateIsEESt5tupleIJNSA_6TensorESF_SF_EERKSF_lbbbEUlllE_EE10hipError_tT0_T1_T2_jT3_P12ihipStream_tbPNSt15iterator_traitsISL_E10value_typeEPNSR_ISM_E10value_typeEPSN_NS1_7vsmem_tEENKUlT_SL_SM_SN_E_clIS8_S8_S9_S9_EESK_S10_SL_SM_SN_EUlS10_E1_NS1_11comp_targetILNS1_3genE4ELNS1_11target_archE910ELNS1_3gpuE8ELNS1_3repE0EEENS1_36merge_oddeven_config_static_selectorELNS0_4arch9wavefront6targetE1EEEvSM_.has_dyn_sized_stack, 0
	.set _ZN7rocprim17ROCPRIM_400000_NS6detail17trampoline_kernelINS0_14default_configENS1_38merge_sort_block_merge_config_selectorIlNS0_10empty_typeEEEZZNS1_27merge_sort_block_merge_implIS3_PlPS5_mZN2at6native12_GLOBAL__N_124unique_dim_cuda_templateIsEESt5tupleIJNSA_6TensorESF_SF_EERKSF_lbbbEUlllE_EE10hipError_tT0_T1_T2_jT3_P12ihipStream_tbPNSt15iterator_traitsISL_E10value_typeEPNSR_ISM_E10value_typeEPSN_NS1_7vsmem_tEENKUlT_SL_SM_SN_E_clIS8_S8_S9_S9_EESK_S10_SL_SM_SN_EUlS10_E1_NS1_11comp_targetILNS1_3genE4ELNS1_11target_archE910ELNS1_3gpuE8ELNS1_3repE0EEENS1_36merge_oddeven_config_static_selectorELNS0_4arch9wavefront6targetE1EEEvSM_.has_recursion, 0
	.set _ZN7rocprim17ROCPRIM_400000_NS6detail17trampoline_kernelINS0_14default_configENS1_38merge_sort_block_merge_config_selectorIlNS0_10empty_typeEEEZZNS1_27merge_sort_block_merge_implIS3_PlPS5_mZN2at6native12_GLOBAL__N_124unique_dim_cuda_templateIsEESt5tupleIJNSA_6TensorESF_SF_EERKSF_lbbbEUlllE_EE10hipError_tT0_T1_T2_jT3_P12ihipStream_tbPNSt15iterator_traitsISL_E10value_typeEPNSR_ISM_E10value_typeEPSN_NS1_7vsmem_tEENKUlT_SL_SM_SN_E_clIS8_S8_S9_S9_EESK_S10_SL_SM_SN_EUlS10_E1_NS1_11comp_targetILNS1_3genE4ELNS1_11target_archE910ELNS1_3gpuE8ELNS1_3repE0EEENS1_36merge_oddeven_config_static_selectorELNS0_4arch9wavefront6targetE1EEEvSM_.has_indirect_call, 0
	.section	.AMDGPU.csdata,"",@progbits
; Kernel info:
; codeLenInByte = 0
; TotalNumSgprs: 6
; NumVgprs: 0
; NumAgprs: 0
; TotalNumVgprs: 0
; ScratchSize: 0
; MemoryBound: 0
; FloatMode: 240
; IeeeMode: 1
; LDSByteSize: 0 bytes/workgroup (compile time only)
; SGPRBlocks: 0
; VGPRBlocks: 0
; NumSGPRsForWavesPerEU: 6
; NumVGPRsForWavesPerEU: 1
; AccumOffset: 4
; Occupancy: 8
; WaveLimiterHint : 0
; COMPUTE_PGM_RSRC2:SCRATCH_EN: 0
; COMPUTE_PGM_RSRC2:USER_SGPR: 2
; COMPUTE_PGM_RSRC2:TRAP_HANDLER: 0
; COMPUTE_PGM_RSRC2:TGID_X_EN: 1
; COMPUTE_PGM_RSRC2:TGID_Y_EN: 0
; COMPUTE_PGM_RSRC2:TGID_Z_EN: 0
; COMPUTE_PGM_RSRC2:TIDIG_COMP_CNT: 0
; COMPUTE_PGM_RSRC3_GFX90A:ACCUM_OFFSET: 0
; COMPUTE_PGM_RSRC3_GFX90A:TG_SPLIT: 0
	.section	.text._ZN7rocprim17ROCPRIM_400000_NS6detail17trampoline_kernelINS0_14default_configENS1_38merge_sort_block_merge_config_selectorIlNS0_10empty_typeEEEZZNS1_27merge_sort_block_merge_implIS3_PlPS5_mZN2at6native12_GLOBAL__N_124unique_dim_cuda_templateIsEESt5tupleIJNSA_6TensorESF_SF_EERKSF_lbbbEUlllE_EE10hipError_tT0_T1_T2_jT3_P12ihipStream_tbPNSt15iterator_traitsISL_E10value_typeEPNSR_ISM_E10value_typeEPSN_NS1_7vsmem_tEENKUlT_SL_SM_SN_E_clIS8_S8_S9_S9_EESK_S10_SL_SM_SN_EUlS10_E1_NS1_11comp_targetILNS1_3genE3ELNS1_11target_archE908ELNS1_3gpuE7ELNS1_3repE0EEENS1_36merge_oddeven_config_static_selectorELNS0_4arch9wavefront6targetE1EEEvSM_,"axG",@progbits,_ZN7rocprim17ROCPRIM_400000_NS6detail17trampoline_kernelINS0_14default_configENS1_38merge_sort_block_merge_config_selectorIlNS0_10empty_typeEEEZZNS1_27merge_sort_block_merge_implIS3_PlPS5_mZN2at6native12_GLOBAL__N_124unique_dim_cuda_templateIsEESt5tupleIJNSA_6TensorESF_SF_EERKSF_lbbbEUlllE_EE10hipError_tT0_T1_T2_jT3_P12ihipStream_tbPNSt15iterator_traitsISL_E10value_typeEPNSR_ISM_E10value_typeEPSN_NS1_7vsmem_tEENKUlT_SL_SM_SN_E_clIS8_S8_S9_S9_EESK_S10_SL_SM_SN_EUlS10_E1_NS1_11comp_targetILNS1_3genE3ELNS1_11target_archE908ELNS1_3gpuE7ELNS1_3repE0EEENS1_36merge_oddeven_config_static_selectorELNS0_4arch9wavefront6targetE1EEEvSM_,comdat
	.globl	_ZN7rocprim17ROCPRIM_400000_NS6detail17trampoline_kernelINS0_14default_configENS1_38merge_sort_block_merge_config_selectorIlNS0_10empty_typeEEEZZNS1_27merge_sort_block_merge_implIS3_PlPS5_mZN2at6native12_GLOBAL__N_124unique_dim_cuda_templateIsEESt5tupleIJNSA_6TensorESF_SF_EERKSF_lbbbEUlllE_EE10hipError_tT0_T1_T2_jT3_P12ihipStream_tbPNSt15iterator_traitsISL_E10value_typeEPNSR_ISM_E10value_typeEPSN_NS1_7vsmem_tEENKUlT_SL_SM_SN_E_clIS8_S8_S9_S9_EESK_S10_SL_SM_SN_EUlS10_E1_NS1_11comp_targetILNS1_3genE3ELNS1_11target_archE908ELNS1_3gpuE7ELNS1_3repE0EEENS1_36merge_oddeven_config_static_selectorELNS0_4arch9wavefront6targetE1EEEvSM_ ; -- Begin function _ZN7rocprim17ROCPRIM_400000_NS6detail17trampoline_kernelINS0_14default_configENS1_38merge_sort_block_merge_config_selectorIlNS0_10empty_typeEEEZZNS1_27merge_sort_block_merge_implIS3_PlPS5_mZN2at6native12_GLOBAL__N_124unique_dim_cuda_templateIsEESt5tupleIJNSA_6TensorESF_SF_EERKSF_lbbbEUlllE_EE10hipError_tT0_T1_T2_jT3_P12ihipStream_tbPNSt15iterator_traitsISL_E10value_typeEPNSR_ISM_E10value_typeEPSN_NS1_7vsmem_tEENKUlT_SL_SM_SN_E_clIS8_S8_S9_S9_EESK_S10_SL_SM_SN_EUlS10_E1_NS1_11comp_targetILNS1_3genE3ELNS1_11target_archE908ELNS1_3gpuE7ELNS1_3repE0EEENS1_36merge_oddeven_config_static_selectorELNS0_4arch9wavefront6targetE1EEEvSM_
	.p2align	8
	.type	_ZN7rocprim17ROCPRIM_400000_NS6detail17trampoline_kernelINS0_14default_configENS1_38merge_sort_block_merge_config_selectorIlNS0_10empty_typeEEEZZNS1_27merge_sort_block_merge_implIS3_PlPS5_mZN2at6native12_GLOBAL__N_124unique_dim_cuda_templateIsEESt5tupleIJNSA_6TensorESF_SF_EERKSF_lbbbEUlllE_EE10hipError_tT0_T1_T2_jT3_P12ihipStream_tbPNSt15iterator_traitsISL_E10value_typeEPNSR_ISM_E10value_typeEPSN_NS1_7vsmem_tEENKUlT_SL_SM_SN_E_clIS8_S8_S9_S9_EESK_S10_SL_SM_SN_EUlS10_E1_NS1_11comp_targetILNS1_3genE3ELNS1_11target_archE908ELNS1_3gpuE7ELNS1_3repE0EEENS1_36merge_oddeven_config_static_selectorELNS0_4arch9wavefront6targetE1EEEvSM_,@function
_ZN7rocprim17ROCPRIM_400000_NS6detail17trampoline_kernelINS0_14default_configENS1_38merge_sort_block_merge_config_selectorIlNS0_10empty_typeEEEZZNS1_27merge_sort_block_merge_implIS3_PlPS5_mZN2at6native12_GLOBAL__N_124unique_dim_cuda_templateIsEESt5tupleIJNSA_6TensorESF_SF_EERKSF_lbbbEUlllE_EE10hipError_tT0_T1_T2_jT3_P12ihipStream_tbPNSt15iterator_traitsISL_E10value_typeEPNSR_ISM_E10value_typeEPSN_NS1_7vsmem_tEENKUlT_SL_SM_SN_E_clIS8_S8_S9_S9_EESK_S10_SL_SM_SN_EUlS10_E1_NS1_11comp_targetILNS1_3genE3ELNS1_11target_archE908ELNS1_3gpuE7ELNS1_3repE0EEENS1_36merge_oddeven_config_static_selectorELNS0_4arch9wavefront6targetE1EEEvSM_: ; @_ZN7rocprim17ROCPRIM_400000_NS6detail17trampoline_kernelINS0_14default_configENS1_38merge_sort_block_merge_config_selectorIlNS0_10empty_typeEEEZZNS1_27merge_sort_block_merge_implIS3_PlPS5_mZN2at6native12_GLOBAL__N_124unique_dim_cuda_templateIsEESt5tupleIJNSA_6TensorESF_SF_EERKSF_lbbbEUlllE_EE10hipError_tT0_T1_T2_jT3_P12ihipStream_tbPNSt15iterator_traitsISL_E10value_typeEPNSR_ISM_E10value_typeEPSN_NS1_7vsmem_tEENKUlT_SL_SM_SN_E_clIS8_S8_S9_S9_EESK_S10_SL_SM_SN_EUlS10_E1_NS1_11comp_targetILNS1_3genE3ELNS1_11target_archE908ELNS1_3gpuE7ELNS1_3repE0EEENS1_36merge_oddeven_config_static_selectorELNS0_4arch9wavefront6targetE1EEEvSM_
; %bb.0:
	.section	.rodata,"a",@progbits
	.p2align	6, 0x0
	.amdhsa_kernel _ZN7rocprim17ROCPRIM_400000_NS6detail17trampoline_kernelINS0_14default_configENS1_38merge_sort_block_merge_config_selectorIlNS0_10empty_typeEEEZZNS1_27merge_sort_block_merge_implIS3_PlPS5_mZN2at6native12_GLOBAL__N_124unique_dim_cuda_templateIsEESt5tupleIJNSA_6TensorESF_SF_EERKSF_lbbbEUlllE_EE10hipError_tT0_T1_T2_jT3_P12ihipStream_tbPNSt15iterator_traitsISL_E10value_typeEPNSR_ISM_E10value_typeEPSN_NS1_7vsmem_tEENKUlT_SL_SM_SN_E_clIS8_S8_S9_S9_EESK_S10_SL_SM_SN_EUlS10_E1_NS1_11comp_targetILNS1_3genE3ELNS1_11target_archE908ELNS1_3gpuE7ELNS1_3repE0EEENS1_36merge_oddeven_config_static_selectorELNS0_4arch9wavefront6targetE1EEEvSM_
		.amdhsa_group_segment_fixed_size 0
		.amdhsa_private_segment_fixed_size 0
		.amdhsa_kernarg_size 64
		.amdhsa_user_sgpr_count 2
		.amdhsa_user_sgpr_dispatch_ptr 0
		.amdhsa_user_sgpr_queue_ptr 0
		.amdhsa_user_sgpr_kernarg_segment_ptr 1
		.amdhsa_user_sgpr_dispatch_id 0
		.amdhsa_user_sgpr_kernarg_preload_length 0
		.amdhsa_user_sgpr_kernarg_preload_offset 0
		.amdhsa_user_sgpr_private_segment_size 0
		.amdhsa_uses_dynamic_stack 0
		.amdhsa_enable_private_segment 0
		.amdhsa_system_sgpr_workgroup_id_x 1
		.amdhsa_system_sgpr_workgroup_id_y 0
		.amdhsa_system_sgpr_workgroup_id_z 0
		.amdhsa_system_sgpr_workgroup_info 0
		.amdhsa_system_vgpr_workitem_id 0
		.amdhsa_next_free_vgpr 1
		.amdhsa_next_free_sgpr 0
		.amdhsa_accum_offset 4
		.amdhsa_reserve_vcc 0
		.amdhsa_float_round_mode_32 0
		.amdhsa_float_round_mode_16_64 0
		.amdhsa_float_denorm_mode_32 3
		.amdhsa_float_denorm_mode_16_64 3
		.amdhsa_dx10_clamp 1
		.amdhsa_ieee_mode 1
		.amdhsa_fp16_overflow 0
		.amdhsa_tg_split 0
		.amdhsa_exception_fp_ieee_invalid_op 0
		.amdhsa_exception_fp_denorm_src 0
		.amdhsa_exception_fp_ieee_div_zero 0
		.amdhsa_exception_fp_ieee_overflow 0
		.amdhsa_exception_fp_ieee_underflow 0
		.amdhsa_exception_fp_ieee_inexact 0
		.amdhsa_exception_int_div_zero 0
	.end_amdhsa_kernel
	.section	.text._ZN7rocprim17ROCPRIM_400000_NS6detail17trampoline_kernelINS0_14default_configENS1_38merge_sort_block_merge_config_selectorIlNS0_10empty_typeEEEZZNS1_27merge_sort_block_merge_implIS3_PlPS5_mZN2at6native12_GLOBAL__N_124unique_dim_cuda_templateIsEESt5tupleIJNSA_6TensorESF_SF_EERKSF_lbbbEUlllE_EE10hipError_tT0_T1_T2_jT3_P12ihipStream_tbPNSt15iterator_traitsISL_E10value_typeEPNSR_ISM_E10value_typeEPSN_NS1_7vsmem_tEENKUlT_SL_SM_SN_E_clIS8_S8_S9_S9_EESK_S10_SL_SM_SN_EUlS10_E1_NS1_11comp_targetILNS1_3genE3ELNS1_11target_archE908ELNS1_3gpuE7ELNS1_3repE0EEENS1_36merge_oddeven_config_static_selectorELNS0_4arch9wavefront6targetE1EEEvSM_,"axG",@progbits,_ZN7rocprim17ROCPRIM_400000_NS6detail17trampoline_kernelINS0_14default_configENS1_38merge_sort_block_merge_config_selectorIlNS0_10empty_typeEEEZZNS1_27merge_sort_block_merge_implIS3_PlPS5_mZN2at6native12_GLOBAL__N_124unique_dim_cuda_templateIsEESt5tupleIJNSA_6TensorESF_SF_EERKSF_lbbbEUlllE_EE10hipError_tT0_T1_T2_jT3_P12ihipStream_tbPNSt15iterator_traitsISL_E10value_typeEPNSR_ISM_E10value_typeEPSN_NS1_7vsmem_tEENKUlT_SL_SM_SN_E_clIS8_S8_S9_S9_EESK_S10_SL_SM_SN_EUlS10_E1_NS1_11comp_targetILNS1_3genE3ELNS1_11target_archE908ELNS1_3gpuE7ELNS1_3repE0EEENS1_36merge_oddeven_config_static_selectorELNS0_4arch9wavefront6targetE1EEEvSM_,comdat
.Lfunc_end656:
	.size	_ZN7rocprim17ROCPRIM_400000_NS6detail17trampoline_kernelINS0_14default_configENS1_38merge_sort_block_merge_config_selectorIlNS0_10empty_typeEEEZZNS1_27merge_sort_block_merge_implIS3_PlPS5_mZN2at6native12_GLOBAL__N_124unique_dim_cuda_templateIsEESt5tupleIJNSA_6TensorESF_SF_EERKSF_lbbbEUlllE_EE10hipError_tT0_T1_T2_jT3_P12ihipStream_tbPNSt15iterator_traitsISL_E10value_typeEPNSR_ISM_E10value_typeEPSN_NS1_7vsmem_tEENKUlT_SL_SM_SN_E_clIS8_S8_S9_S9_EESK_S10_SL_SM_SN_EUlS10_E1_NS1_11comp_targetILNS1_3genE3ELNS1_11target_archE908ELNS1_3gpuE7ELNS1_3repE0EEENS1_36merge_oddeven_config_static_selectorELNS0_4arch9wavefront6targetE1EEEvSM_, .Lfunc_end656-_ZN7rocprim17ROCPRIM_400000_NS6detail17trampoline_kernelINS0_14default_configENS1_38merge_sort_block_merge_config_selectorIlNS0_10empty_typeEEEZZNS1_27merge_sort_block_merge_implIS3_PlPS5_mZN2at6native12_GLOBAL__N_124unique_dim_cuda_templateIsEESt5tupleIJNSA_6TensorESF_SF_EERKSF_lbbbEUlllE_EE10hipError_tT0_T1_T2_jT3_P12ihipStream_tbPNSt15iterator_traitsISL_E10value_typeEPNSR_ISM_E10value_typeEPSN_NS1_7vsmem_tEENKUlT_SL_SM_SN_E_clIS8_S8_S9_S9_EESK_S10_SL_SM_SN_EUlS10_E1_NS1_11comp_targetILNS1_3genE3ELNS1_11target_archE908ELNS1_3gpuE7ELNS1_3repE0EEENS1_36merge_oddeven_config_static_selectorELNS0_4arch9wavefront6targetE1EEEvSM_
                                        ; -- End function
	.set _ZN7rocprim17ROCPRIM_400000_NS6detail17trampoline_kernelINS0_14default_configENS1_38merge_sort_block_merge_config_selectorIlNS0_10empty_typeEEEZZNS1_27merge_sort_block_merge_implIS3_PlPS5_mZN2at6native12_GLOBAL__N_124unique_dim_cuda_templateIsEESt5tupleIJNSA_6TensorESF_SF_EERKSF_lbbbEUlllE_EE10hipError_tT0_T1_T2_jT3_P12ihipStream_tbPNSt15iterator_traitsISL_E10value_typeEPNSR_ISM_E10value_typeEPSN_NS1_7vsmem_tEENKUlT_SL_SM_SN_E_clIS8_S8_S9_S9_EESK_S10_SL_SM_SN_EUlS10_E1_NS1_11comp_targetILNS1_3genE3ELNS1_11target_archE908ELNS1_3gpuE7ELNS1_3repE0EEENS1_36merge_oddeven_config_static_selectorELNS0_4arch9wavefront6targetE1EEEvSM_.num_vgpr, 0
	.set _ZN7rocprim17ROCPRIM_400000_NS6detail17trampoline_kernelINS0_14default_configENS1_38merge_sort_block_merge_config_selectorIlNS0_10empty_typeEEEZZNS1_27merge_sort_block_merge_implIS3_PlPS5_mZN2at6native12_GLOBAL__N_124unique_dim_cuda_templateIsEESt5tupleIJNSA_6TensorESF_SF_EERKSF_lbbbEUlllE_EE10hipError_tT0_T1_T2_jT3_P12ihipStream_tbPNSt15iterator_traitsISL_E10value_typeEPNSR_ISM_E10value_typeEPSN_NS1_7vsmem_tEENKUlT_SL_SM_SN_E_clIS8_S8_S9_S9_EESK_S10_SL_SM_SN_EUlS10_E1_NS1_11comp_targetILNS1_3genE3ELNS1_11target_archE908ELNS1_3gpuE7ELNS1_3repE0EEENS1_36merge_oddeven_config_static_selectorELNS0_4arch9wavefront6targetE1EEEvSM_.num_agpr, 0
	.set _ZN7rocprim17ROCPRIM_400000_NS6detail17trampoline_kernelINS0_14default_configENS1_38merge_sort_block_merge_config_selectorIlNS0_10empty_typeEEEZZNS1_27merge_sort_block_merge_implIS3_PlPS5_mZN2at6native12_GLOBAL__N_124unique_dim_cuda_templateIsEESt5tupleIJNSA_6TensorESF_SF_EERKSF_lbbbEUlllE_EE10hipError_tT0_T1_T2_jT3_P12ihipStream_tbPNSt15iterator_traitsISL_E10value_typeEPNSR_ISM_E10value_typeEPSN_NS1_7vsmem_tEENKUlT_SL_SM_SN_E_clIS8_S8_S9_S9_EESK_S10_SL_SM_SN_EUlS10_E1_NS1_11comp_targetILNS1_3genE3ELNS1_11target_archE908ELNS1_3gpuE7ELNS1_3repE0EEENS1_36merge_oddeven_config_static_selectorELNS0_4arch9wavefront6targetE1EEEvSM_.numbered_sgpr, 0
	.set _ZN7rocprim17ROCPRIM_400000_NS6detail17trampoline_kernelINS0_14default_configENS1_38merge_sort_block_merge_config_selectorIlNS0_10empty_typeEEEZZNS1_27merge_sort_block_merge_implIS3_PlPS5_mZN2at6native12_GLOBAL__N_124unique_dim_cuda_templateIsEESt5tupleIJNSA_6TensorESF_SF_EERKSF_lbbbEUlllE_EE10hipError_tT0_T1_T2_jT3_P12ihipStream_tbPNSt15iterator_traitsISL_E10value_typeEPNSR_ISM_E10value_typeEPSN_NS1_7vsmem_tEENKUlT_SL_SM_SN_E_clIS8_S8_S9_S9_EESK_S10_SL_SM_SN_EUlS10_E1_NS1_11comp_targetILNS1_3genE3ELNS1_11target_archE908ELNS1_3gpuE7ELNS1_3repE0EEENS1_36merge_oddeven_config_static_selectorELNS0_4arch9wavefront6targetE1EEEvSM_.num_named_barrier, 0
	.set _ZN7rocprim17ROCPRIM_400000_NS6detail17trampoline_kernelINS0_14default_configENS1_38merge_sort_block_merge_config_selectorIlNS0_10empty_typeEEEZZNS1_27merge_sort_block_merge_implIS3_PlPS5_mZN2at6native12_GLOBAL__N_124unique_dim_cuda_templateIsEESt5tupleIJNSA_6TensorESF_SF_EERKSF_lbbbEUlllE_EE10hipError_tT0_T1_T2_jT3_P12ihipStream_tbPNSt15iterator_traitsISL_E10value_typeEPNSR_ISM_E10value_typeEPSN_NS1_7vsmem_tEENKUlT_SL_SM_SN_E_clIS8_S8_S9_S9_EESK_S10_SL_SM_SN_EUlS10_E1_NS1_11comp_targetILNS1_3genE3ELNS1_11target_archE908ELNS1_3gpuE7ELNS1_3repE0EEENS1_36merge_oddeven_config_static_selectorELNS0_4arch9wavefront6targetE1EEEvSM_.private_seg_size, 0
	.set _ZN7rocprim17ROCPRIM_400000_NS6detail17trampoline_kernelINS0_14default_configENS1_38merge_sort_block_merge_config_selectorIlNS0_10empty_typeEEEZZNS1_27merge_sort_block_merge_implIS3_PlPS5_mZN2at6native12_GLOBAL__N_124unique_dim_cuda_templateIsEESt5tupleIJNSA_6TensorESF_SF_EERKSF_lbbbEUlllE_EE10hipError_tT0_T1_T2_jT3_P12ihipStream_tbPNSt15iterator_traitsISL_E10value_typeEPNSR_ISM_E10value_typeEPSN_NS1_7vsmem_tEENKUlT_SL_SM_SN_E_clIS8_S8_S9_S9_EESK_S10_SL_SM_SN_EUlS10_E1_NS1_11comp_targetILNS1_3genE3ELNS1_11target_archE908ELNS1_3gpuE7ELNS1_3repE0EEENS1_36merge_oddeven_config_static_selectorELNS0_4arch9wavefront6targetE1EEEvSM_.uses_vcc, 0
	.set _ZN7rocprim17ROCPRIM_400000_NS6detail17trampoline_kernelINS0_14default_configENS1_38merge_sort_block_merge_config_selectorIlNS0_10empty_typeEEEZZNS1_27merge_sort_block_merge_implIS3_PlPS5_mZN2at6native12_GLOBAL__N_124unique_dim_cuda_templateIsEESt5tupleIJNSA_6TensorESF_SF_EERKSF_lbbbEUlllE_EE10hipError_tT0_T1_T2_jT3_P12ihipStream_tbPNSt15iterator_traitsISL_E10value_typeEPNSR_ISM_E10value_typeEPSN_NS1_7vsmem_tEENKUlT_SL_SM_SN_E_clIS8_S8_S9_S9_EESK_S10_SL_SM_SN_EUlS10_E1_NS1_11comp_targetILNS1_3genE3ELNS1_11target_archE908ELNS1_3gpuE7ELNS1_3repE0EEENS1_36merge_oddeven_config_static_selectorELNS0_4arch9wavefront6targetE1EEEvSM_.uses_flat_scratch, 0
	.set _ZN7rocprim17ROCPRIM_400000_NS6detail17trampoline_kernelINS0_14default_configENS1_38merge_sort_block_merge_config_selectorIlNS0_10empty_typeEEEZZNS1_27merge_sort_block_merge_implIS3_PlPS5_mZN2at6native12_GLOBAL__N_124unique_dim_cuda_templateIsEESt5tupleIJNSA_6TensorESF_SF_EERKSF_lbbbEUlllE_EE10hipError_tT0_T1_T2_jT3_P12ihipStream_tbPNSt15iterator_traitsISL_E10value_typeEPNSR_ISM_E10value_typeEPSN_NS1_7vsmem_tEENKUlT_SL_SM_SN_E_clIS8_S8_S9_S9_EESK_S10_SL_SM_SN_EUlS10_E1_NS1_11comp_targetILNS1_3genE3ELNS1_11target_archE908ELNS1_3gpuE7ELNS1_3repE0EEENS1_36merge_oddeven_config_static_selectorELNS0_4arch9wavefront6targetE1EEEvSM_.has_dyn_sized_stack, 0
	.set _ZN7rocprim17ROCPRIM_400000_NS6detail17trampoline_kernelINS0_14default_configENS1_38merge_sort_block_merge_config_selectorIlNS0_10empty_typeEEEZZNS1_27merge_sort_block_merge_implIS3_PlPS5_mZN2at6native12_GLOBAL__N_124unique_dim_cuda_templateIsEESt5tupleIJNSA_6TensorESF_SF_EERKSF_lbbbEUlllE_EE10hipError_tT0_T1_T2_jT3_P12ihipStream_tbPNSt15iterator_traitsISL_E10value_typeEPNSR_ISM_E10value_typeEPSN_NS1_7vsmem_tEENKUlT_SL_SM_SN_E_clIS8_S8_S9_S9_EESK_S10_SL_SM_SN_EUlS10_E1_NS1_11comp_targetILNS1_3genE3ELNS1_11target_archE908ELNS1_3gpuE7ELNS1_3repE0EEENS1_36merge_oddeven_config_static_selectorELNS0_4arch9wavefront6targetE1EEEvSM_.has_recursion, 0
	.set _ZN7rocprim17ROCPRIM_400000_NS6detail17trampoline_kernelINS0_14default_configENS1_38merge_sort_block_merge_config_selectorIlNS0_10empty_typeEEEZZNS1_27merge_sort_block_merge_implIS3_PlPS5_mZN2at6native12_GLOBAL__N_124unique_dim_cuda_templateIsEESt5tupleIJNSA_6TensorESF_SF_EERKSF_lbbbEUlllE_EE10hipError_tT0_T1_T2_jT3_P12ihipStream_tbPNSt15iterator_traitsISL_E10value_typeEPNSR_ISM_E10value_typeEPSN_NS1_7vsmem_tEENKUlT_SL_SM_SN_E_clIS8_S8_S9_S9_EESK_S10_SL_SM_SN_EUlS10_E1_NS1_11comp_targetILNS1_3genE3ELNS1_11target_archE908ELNS1_3gpuE7ELNS1_3repE0EEENS1_36merge_oddeven_config_static_selectorELNS0_4arch9wavefront6targetE1EEEvSM_.has_indirect_call, 0
	.section	.AMDGPU.csdata,"",@progbits
; Kernel info:
; codeLenInByte = 0
; TotalNumSgprs: 6
; NumVgprs: 0
; NumAgprs: 0
; TotalNumVgprs: 0
; ScratchSize: 0
; MemoryBound: 0
; FloatMode: 240
; IeeeMode: 1
; LDSByteSize: 0 bytes/workgroup (compile time only)
; SGPRBlocks: 0
; VGPRBlocks: 0
; NumSGPRsForWavesPerEU: 6
; NumVGPRsForWavesPerEU: 1
; AccumOffset: 4
; Occupancy: 8
; WaveLimiterHint : 0
; COMPUTE_PGM_RSRC2:SCRATCH_EN: 0
; COMPUTE_PGM_RSRC2:USER_SGPR: 2
; COMPUTE_PGM_RSRC2:TRAP_HANDLER: 0
; COMPUTE_PGM_RSRC2:TGID_X_EN: 1
; COMPUTE_PGM_RSRC2:TGID_Y_EN: 0
; COMPUTE_PGM_RSRC2:TGID_Z_EN: 0
; COMPUTE_PGM_RSRC2:TIDIG_COMP_CNT: 0
; COMPUTE_PGM_RSRC3_GFX90A:ACCUM_OFFSET: 0
; COMPUTE_PGM_RSRC3_GFX90A:TG_SPLIT: 0
	.section	.text._ZN7rocprim17ROCPRIM_400000_NS6detail17trampoline_kernelINS0_14default_configENS1_38merge_sort_block_merge_config_selectorIlNS0_10empty_typeEEEZZNS1_27merge_sort_block_merge_implIS3_PlPS5_mZN2at6native12_GLOBAL__N_124unique_dim_cuda_templateIsEESt5tupleIJNSA_6TensorESF_SF_EERKSF_lbbbEUlllE_EE10hipError_tT0_T1_T2_jT3_P12ihipStream_tbPNSt15iterator_traitsISL_E10value_typeEPNSR_ISM_E10value_typeEPSN_NS1_7vsmem_tEENKUlT_SL_SM_SN_E_clIS8_S8_S9_S9_EESK_S10_SL_SM_SN_EUlS10_E1_NS1_11comp_targetILNS1_3genE2ELNS1_11target_archE906ELNS1_3gpuE6ELNS1_3repE0EEENS1_36merge_oddeven_config_static_selectorELNS0_4arch9wavefront6targetE1EEEvSM_,"axG",@progbits,_ZN7rocprim17ROCPRIM_400000_NS6detail17trampoline_kernelINS0_14default_configENS1_38merge_sort_block_merge_config_selectorIlNS0_10empty_typeEEEZZNS1_27merge_sort_block_merge_implIS3_PlPS5_mZN2at6native12_GLOBAL__N_124unique_dim_cuda_templateIsEESt5tupleIJNSA_6TensorESF_SF_EERKSF_lbbbEUlllE_EE10hipError_tT0_T1_T2_jT3_P12ihipStream_tbPNSt15iterator_traitsISL_E10value_typeEPNSR_ISM_E10value_typeEPSN_NS1_7vsmem_tEENKUlT_SL_SM_SN_E_clIS8_S8_S9_S9_EESK_S10_SL_SM_SN_EUlS10_E1_NS1_11comp_targetILNS1_3genE2ELNS1_11target_archE906ELNS1_3gpuE6ELNS1_3repE0EEENS1_36merge_oddeven_config_static_selectorELNS0_4arch9wavefront6targetE1EEEvSM_,comdat
	.globl	_ZN7rocprim17ROCPRIM_400000_NS6detail17trampoline_kernelINS0_14default_configENS1_38merge_sort_block_merge_config_selectorIlNS0_10empty_typeEEEZZNS1_27merge_sort_block_merge_implIS3_PlPS5_mZN2at6native12_GLOBAL__N_124unique_dim_cuda_templateIsEESt5tupleIJNSA_6TensorESF_SF_EERKSF_lbbbEUlllE_EE10hipError_tT0_T1_T2_jT3_P12ihipStream_tbPNSt15iterator_traitsISL_E10value_typeEPNSR_ISM_E10value_typeEPSN_NS1_7vsmem_tEENKUlT_SL_SM_SN_E_clIS8_S8_S9_S9_EESK_S10_SL_SM_SN_EUlS10_E1_NS1_11comp_targetILNS1_3genE2ELNS1_11target_archE906ELNS1_3gpuE6ELNS1_3repE0EEENS1_36merge_oddeven_config_static_selectorELNS0_4arch9wavefront6targetE1EEEvSM_ ; -- Begin function _ZN7rocprim17ROCPRIM_400000_NS6detail17trampoline_kernelINS0_14default_configENS1_38merge_sort_block_merge_config_selectorIlNS0_10empty_typeEEEZZNS1_27merge_sort_block_merge_implIS3_PlPS5_mZN2at6native12_GLOBAL__N_124unique_dim_cuda_templateIsEESt5tupleIJNSA_6TensorESF_SF_EERKSF_lbbbEUlllE_EE10hipError_tT0_T1_T2_jT3_P12ihipStream_tbPNSt15iterator_traitsISL_E10value_typeEPNSR_ISM_E10value_typeEPSN_NS1_7vsmem_tEENKUlT_SL_SM_SN_E_clIS8_S8_S9_S9_EESK_S10_SL_SM_SN_EUlS10_E1_NS1_11comp_targetILNS1_3genE2ELNS1_11target_archE906ELNS1_3gpuE6ELNS1_3repE0EEENS1_36merge_oddeven_config_static_selectorELNS0_4arch9wavefront6targetE1EEEvSM_
	.p2align	8
	.type	_ZN7rocprim17ROCPRIM_400000_NS6detail17trampoline_kernelINS0_14default_configENS1_38merge_sort_block_merge_config_selectorIlNS0_10empty_typeEEEZZNS1_27merge_sort_block_merge_implIS3_PlPS5_mZN2at6native12_GLOBAL__N_124unique_dim_cuda_templateIsEESt5tupleIJNSA_6TensorESF_SF_EERKSF_lbbbEUlllE_EE10hipError_tT0_T1_T2_jT3_P12ihipStream_tbPNSt15iterator_traitsISL_E10value_typeEPNSR_ISM_E10value_typeEPSN_NS1_7vsmem_tEENKUlT_SL_SM_SN_E_clIS8_S8_S9_S9_EESK_S10_SL_SM_SN_EUlS10_E1_NS1_11comp_targetILNS1_3genE2ELNS1_11target_archE906ELNS1_3gpuE6ELNS1_3repE0EEENS1_36merge_oddeven_config_static_selectorELNS0_4arch9wavefront6targetE1EEEvSM_,@function
_ZN7rocprim17ROCPRIM_400000_NS6detail17trampoline_kernelINS0_14default_configENS1_38merge_sort_block_merge_config_selectorIlNS0_10empty_typeEEEZZNS1_27merge_sort_block_merge_implIS3_PlPS5_mZN2at6native12_GLOBAL__N_124unique_dim_cuda_templateIsEESt5tupleIJNSA_6TensorESF_SF_EERKSF_lbbbEUlllE_EE10hipError_tT0_T1_T2_jT3_P12ihipStream_tbPNSt15iterator_traitsISL_E10value_typeEPNSR_ISM_E10value_typeEPSN_NS1_7vsmem_tEENKUlT_SL_SM_SN_E_clIS8_S8_S9_S9_EESK_S10_SL_SM_SN_EUlS10_E1_NS1_11comp_targetILNS1_3genE2ELNS1_11target_archE906ELNS1_3gpuE6ELNS1_3repE0EEENS1_36merge_oddeven_config_static_selectorELNS0_4arch9wavefront6targetE1EEEvSM_: ; @_ZN7rocprim17ROCPRIM_400000_NS6detail17trampoline_kernelINS0_14default_configENS1_38merge_sort_block_merge_config_selectorIlNS0_10empty_typeEEEZZNS1_27merge_sort_block_merge_implIS3_PlPS5_mZN2at6native12_GLOBAL__N_124unique_dim_cuda_templateIsEESt5tupleIJNSA_6TensorESF_SF_EERKSF_lbbbEUlllE_EE10hipError_tT0_T1_T2_jT3_P12ihipStream_tbPNSt15iterator_traitsISL_E10value_typeEPNSR_ISM_E10value_typeEPSN_NS1_7vsmem_tEENKUlT_SL_SM_SN_E_clIS8_S8_S9_S9_EESK_S10_SL_SM_SN_EUlS10_E1_NS1_11comp_targetILNS1_3genE2ELNS1_11target_archE906ELNS1_3gpuE6ELNS1_3repE0EEENS1_36merge_oddeven_config_static_selectorELNS0_4arch9wavefront6targetE1EEEvSM_
; %bb.0:
	.section	.rodata,"a",@progbits
	.p2align	6, 0x0
	.amdhsa_kernel _ZN7rocprim17ROCPRIM_400000_NS6detail17trampoline_kernelINS0_14default_configENS1_38merge_sort_block_merge_config_selectorIlNS0_10empty_typeEEEZZNS1_27merge_sort_block_merge_implIS3_PlPS5_mZN2at6native12_GLOBAL__N_124unique_dim_cuda_templateIsEESt5tupleIJNSA_6TensorESF_SF_EERKSF_lbbbEUlllE_EE10hipError_tT0_T1_T2_jT3_P12ihipStream_tbPNSt15iterator_traitsISL_E10value_typeEPNSR_ISM_E10value_typeEPSN_NS1_7vsmem_tEENKUlT_SL_SM_SN_E_clIS8_S8_S9_S9_EESK_S10_SL_SM_SN_EUlS10_E1_NS1_11comp_targetILNS1_3genE2ELNS1_11target_archE906ELNS1_3gpuE6ELNS1_3repE0EEENS1_36merge_oddeven_config_static_selectorELNS0_4arch9wavefront6targetE1EEEvSM_
		.amdhsa_group_segment_fixed_size 0
		.amdhsa_private_segment_fixed_size 0
		.amdhsa_kernarg_size 64
		.amdhsa_user_sgpr_count 2
		.amdhsa_user_sgpr_dispatch_ptr 0
		.amdhsa_user_sgpr_queue_ptr 0
		.amdhsa_user_sgpr_kernarg_segment_ptr 1
		.amdhsa_user_sgpr_dispatch_id 0
		.amdhsa_user_sgpr_kernarg_preload_length 0
		.amdhsa_user_sgpr_kernarg_preload_offset 0
		.amdhsa_user_sgpr_private_segment_size 0
		.amdhsa_uses_dynamic_stack 0
		.amdhsa_enable_private_segment 0
		.amdhsa_system_sgpr_workgroup_id_x 1
		.amdhsa_system_sgpr_workgroup_id_y 0
		.amdhsa_system_sgpr_workgroup_id_z 0
		.amdhsa_system_sgpr_workgroup_info 0
		.amdhsa_system_vgpr_workitem_id 0
		.amdhsa_next_free_vgpr 1
		.amdhsa_next_free_sgpr 0
		.amdhsa_accum_offset 4
		.amdhsa_reserve_vcc 0
		.amdhsa_float_round_mode_32 0
		.amdhsa_float_round_mode_16_64 0
		.amdhsa_float_denorm_mode_32 3
		.amdhsa_float_denorm_mode_16_64 3
		.amdhsa_dx10_clamp 1
		.amdhsa_ieee_mode 1
		.amdhsa_fp16_overflow 0
		.amdhsa_tg_split 0
		.amdhsa_exception_fp_ieee_invalid_op 0
		.amdhsa_exception_fp_denorm_src 0
		.amdhsa_exception_fp_ieee_div_zero 0
		.amdhsa_exception_fp_ieee_overflow 0
		.amdhsa_exception_fp_ieee_underflow 0
		.amdhsa_exception_fp_ieee_inexact 0
		.amdhsa_exception_int_div_zero 0
	.end_amdhsa_kernel
	.section	.text._ZN7rocprim17ROCPRIM_400000_NS6detail17trampoline_kernelINS0_14default_configENS1_38merge_sort_block_merge_config_selectorIlNS0_10empty_typeEEEZZNS1_27merge_sort_block_merge_implIS3_PlPS5_mZN2at6native12_GLOBAL__N_124unique_dim_cuda_templateIsEESt5tupleIJNSA_6TensorESF_SF_EERKSF_lbbbEUlllE_EE10hipError_tT0_T1_T2_jT3_P12ihipStream_tbPNSt15iterator_traitsISL_E10value_typeEPNSR_ISM_E10value_typeEPSN_NS1_7vsmem_tEENKUlT_SL_SM_SN_E_clIS8_S8_S9_S9_EESK_S10_SL_SM_SN_EUlS10_E1_NS1_11comp_targetILNS1_3genE2ELNS1_11target_archE906ELNS1_3gpuE6ELNS1_3repE0EEENS1_36merge_oddeven_config_static_selectorELNS0_4arch9wavefront6targetE1EEEvSM_,"axG",@progbits,_ZN7rocprim17ROCPRIM_400000_NS6detail17trampoline_kernelINS0_14default_configENS1_38merge_sort_block_merge_config_selectorIlNS0_10empty_typeEEEZZNS1_27merge_sort_block_merge_implIS3_PlPS5_mZN2at6native12_GLOBAL__N_124unique_dim_cuda_templateIsEESt5tupleIJNSA_6TensorESF_SF_EERKSF_lbbbEUlllE_EE10hipError_tT0_T1_T2_jT3_P12ihipStream_tbPNSt15iterator_traitsISL_E10value_typeEPNSR_ISM_E10value_typeEPSN_NS1_7vsmem_tEENKUlT_SL_SM_SN_E_clIS8_S8_S9_S9_EESK_S10_SL_SM_SN_EUlS10_E1_NS1_11comp_targetILNS1_3genE2ELNS1_11target_archE906ELNS1_3gpuE6ELNS1_3repE0EEENS1_36merge_oddeven_config_static_selectorELNS0_4arch9wavefront6targetE1EEEvSM_,comdat
.Lfunc_end657:
	.size	_ZN7rocprim17ROCPRIM_400000_NS6detail17trampoline_kernelINS0_14default_configENS1_38merge_sort_block_merge_config_selectorIlNS0_10empty_typeEEEZZNS1_27merge_sort_block_merge_implIS3_PlPS5_mZN2at6native12_GLOBAL__N_124unique_dim_cuda_templateIsEESt5tupleIJNSA_6TensorESF_SF_EERKSF_lbbbEUlllE_EE10hipError_tT0_T1_T2_jT3_P12ihipStream_tbPNSt15iterator_traitsISL_E10value_typeEPNSR_ISM_E10value_typeEPSN_NS1_7vsmem_tEENKUlT_SL_SM_SN_E_clIS8_S8_S9_S9_EESK_S10_SL_SM_SN_EUlS10_E1_NS1_11comp_targetILNS1_3genE2ELNS1_11target_archE906ELNS1_3gpuE6ELNS1_3repE0EEENS1_36merge_oddeven_config_static_selectorELNS0_4arch9wavefront6targetE1EEEvSM_, .Lfunc_end657-_ZN7rocprim17ROCPRIM_400000_NS6detail17trampoline_kernelINS0_14default_configENS1_38merge_sort_block_merge_config_selectorIlNS0_10empty_typeEEEZZNS1_27merge_sort_block_merge_implIS3_PlPS5_mZN2at6native12_GLOBAL__N_124unique_dim_cuda_templateIsEESt5tupleIJNSA_6TensorESF_SF_EERKSF_lbbbEUlllE_EE10hipError_tT0_T1_T2_jT3_P12ihipStream_tbPNSt15iterator_traitsISL_E10value_typeEPNSR_ISM_E10value_typeEPSN_NS1_7vsmem_tEENKUlT_SL_SM_SN_E_clIS8_S8_S9_S9_EESK_S10_SL_SM_SN_EUlS10_E1_NS1_11comp_targetILNS1_3genE2ELNS1_11target_archE906ELNS1_3gpuE6ELNS1_3repE0EEENS1_36merge_oddeven_config_static_selectorELNS0_4arch9wavefront6targetE1EEEvSM_
                                        ; -- End function
	.set _ZN7rocprim17ROCPRIM_400000_NS6detail17trampoline_kernelINS0_14default_configENS1_38merge_sort_block_merge_config_selectorIlNS0_10empty_typeEEEZZNS1_27merge_sort_block_merge_implIS3_PlPS5_mZN2at6native12_GLOBAL__N_124unique_dim_cuda_templateIsEESt5tupleIJNSA_6TensorESF_SF_EERKSF_lbbbEUlllE_EE10hipError_tT0_T1_T2_jT3_P12ihipStream_tbPNSt15iterator_traitsISL_E10value_typeEPNSR_ISM_E10value_typeEPSN_NS1_7vsmem_tEENKUlT_SL_SM_SN_E_clIS8_S8_S9_S9_EESK_S10_SL_SM_SN_EUlS10_E1_NS1_11comp_targetILNS1_3genE2ELNS1_11target_archE906ELNS1_3gpuE6ELNS1_3repE0EEENS1_36merge_oddeven_config_static_selectorELNS0_4arch9wavefront6targetE1EEEvSM_.num_vgpr, 0
	.set _ZN7rocprim17ROCPRIM_400000_NS6detail17trampoline_kernelINS0_14default_configENS1_38merge_sort_block_merge_config_selectorIlNS0_10empty_typeEEEZZNS1_27merge_sort_block_merge_implIS3_PlPS5_mZN2at6native12_GLOBAL__N_124unique_dim_cuda_templateIsEESt5tupleIJNSA_6TensorESF_SF_EERKSF_lbbbEUlllE_EE10hipError_tT0_T1_T2_jT3_P12ihipStream_tbPNSt15iterator_traitsISL_E10value_typeEPNSR_ISM_E10value_typeEPSN_NS1_7vsmem_tEENKUlT_SL_SM_SN_E_clIS8_S8_S9_S9_EESK_S10_SL_SM_SN_EUlS10_E1_NS1_11comp_targetILNS1_3genE2ELNS1_11target_archE906ELNS1_3gpuE6ELNS1_3repE0EEENS1_36merge_oddeven_config_static_selectorELNS0_4arch9wavefront6targetE1EEEvSM_.num_agpr, 0
	.set _ZN7rocprim17ROCPRIM_400000_NS6detail17trampoline_kernelINS0_14default_configENS1_38merge_sort_block_merge_config_selectorIlNS0_10empty_typeEEEZZNS1_27merge_sort_block_merge_implIS3_PlPS5_mZN2at6native12_GLOBAL__N_124unique_dim_cuda_templateIsEESt5tupleIJNSA_6TensorESF_SF_EERKSF_lbbbEUlllE_EE10hipError_tT0_T1_T2_jT3_P12ihipStream_tbPNSt15iterator_traitsISL_E10value_typeEPNSR_ISM_E10value_typeEPSN_NS1_7vsmem_tEENKUlT_SL_SM_SN_E_clIS8_S8_S9_S9_EESK_S10_SL_SM_SN_EUlS10_E1_NS1_11comp_targetILNS1_3genE2ELNS1_11target_archE906ELNS1_3gpuE6ELNS1_3repE0EEENS1_36merge_oddeven_config_static_selectorELNS0_4arch9wavefront6targetE1EEEvSM_.numbered_sgpr, 0
	.set _ZN7rocprim17ROCPRIM_400000_NS6detail17trampoline_kernelINS0_14default_configENS1_38merge_sort_block_merge_config_selectorIlNS0_10empty_typeEEEZZNS1_27merge_sort_block_merge_implIS3_PlPS5_mZN2at6native12_GLOBAL__N_124unique_dim_cuda_templateIsEESt5tupleIJNSA_6TensorESF_SF_EERKSF_lbbbEUlllE_EE10hipError_tT0_T1_T2_jT3_P12ihipStream_tbPNSt15iterator_traitsISL_E10value_typeEPNSR_ISM_E10value_typeEPSN_NS1_7vsmem_tEENKUlT_SL_SM_SN_E_clIS8_S8_S9_S9_EESK_S10_SL_SM_SN_EUlS10_E1_NS1_11comp_targetILNS1_3genE2ELNS1_11target_archE906ELNS1_3gpuE6ELNS1_3repE0EEENS1_36merge_oddeven_config_static_selectorELNS0_4arch9wavefront6targetE1EEEvSM_.num_named_barrier, 0
	.set _ZN7rocprim17ROCPRIM_400000_NS6detail17trampoline_kernelINS0_14default_configENS1_38merge_sort_block_merge_config_selectorIlNS0_10empty_typeEEEZZNS1_27merge_sort_block_merge_implIS3_PlPS5_mZN2at6native12_GLOBAL__N_124unique_dim_cuda_templateIsEESt5tupleIJNSA_6TensorESF_SF_EERKSF_lbbbEUlllE_EE10hipError_tT0_T1_T2_jT3_P12ihipStream_tbPNSt15iterator_traitsISL_E10value_typeEPNSR_ISM_E10value_typeEPSN_NS1_7vsmem_tEENKUlT_SL_SM_SN_E_clIS8_S8_S9_S9_EESK_S10_SL_SM_SN_EUlS10_E1_NS1_11comp_targetILNS1_3genE2ELNS1_11target_archE906ELNS1_3gpuE6ELNS1_3repE0EEENS1_36merge_oddeven_config_static_selectorELNS0_4arch9wavefront6targetE1EEEvSM_.private_seg_size, 0
	.set _ZN7rocprim17ROCPRIM_400000_NS6detail17trampoline_kernelINS0_14default_configENS1_38merge_sort_block_merge_config_selectorIlNS0_10empty_typeEEEZZNS1_27merge_sort_block_merge_implIS3_PlPS5_mZN2at6native12_GLOBAL__N_124unique_dim_cuda_templateIsEESt5tupleIJNSA_6TensorESF_SF_EERKSF_lbbbEUlllE_EE10hipError_tT0_T1_T2_jT3_P12ihipStream_tbPNSt15iterator_traitsISL_E10value_typeEPNSR_ISM_E10value_typeEPSN_NS1_7vsmem_tEENKUlT_SL_SM_SN_E_clIS8_S8_S9_S9_EESK_S10_SL_SM_SN_EUlS10_E1_NS1_11comp_targetILNS1_3genE2ELNS1_11target_archE906ELNS1_3gpuE6ELNS1_3repE0EEENS1_36merge_oddeven_config_static_selectorELNS0_4arch9wavefront6targetE1EEEvSM_.uses_vcc, 0
	.set _ZN7rocprim17ROCPRIM_400000_NS6detail17trampoline_kernelINS0_14default_configENS1_38merge_sort_block_merge_config_selectorIlNS0_10empty_typeEEEZZNS1_27merge_sort_block_merge_implIS3_PlPS5_mZN2at6native12_GLOBAL__N_124unique_dim_cuda_templateIsEESt5tupleIJNSA_6TensorESF_SF_EERKSF_lbbbEUlllE_EE10hipError_tT0_T1_T2_jT3_P12ihipStream_tbPNSt15iterator_traitsISL_E10value_typeEPNSR_ISM_E10value_typeEPSN_NS1_7vsmem_tEENKUlT_SL_SM_SN_E_clIS8_S8_S9_S9_EESK_S10_SL_SM_SN_EUlS10_E1_NS1_11comp_targetILNS1_3genE2ELNS1_11target_archE906ELNS1_3gpuE6ELNS1_3repE0EEENS1_36merge_oddeven_config_static_selectorELNS0_4arch9wavefront6targetE1EEEvSM_.uses_flat_scratch, 0
	.set _ZN7rocprim17ROCPRIM_400000_NS6detail17trampoline_kernelINS0_14default_configENS1_38merge_sort_block_merge_config_selectorIlNS0_10empty_typeEEEZZNS1_27merge_sort_block_merge_implIS3_PlPS5_mZN2at6native12_GLOBAL__N_124unique_dim_cuda_templateIsEESt5tupleIJNSA_6TensorESF_SF_EERKSF_lbbbEUlllE_EE10hipError_tT0_T1_T2_jT3_P12ihipStream_tbPNSt15iterator_traitsISL_E10value_typeEPNSR_ISM_E10value_typeEPSN_NS1_7vsmem_tEENKUlT_SL_SM_SN_E_clIS8_S8_S9_S9_EESK_S10_SL_SM_SN_EUlS10_E1_NS1_11comp_targetILNS1_3genE2ELNS1_11target_archE906ELNS1_3gpuE6ELNS1_3repE0EEENS1_36merge_oddeven_config_static_selectorELNS0_4arch9wavefront6targetE1EEEvSM_.has_dyn_sized_stack, 0
	.set _ZN7rocprim17ROCPRIM_400000_NS6detail17trampoline_kernelINS0_14default_configENS1_38merge_sort_block_merge_config_selectorIlNS0_10empty_typeEEEZZNS1_27merge_sort_block_merge_implIS3_PlPS5_mZN2at6native12_GLOBAL__N_124unique_dim_cuda_templateIsEESt5tupleIJNSA_6TensorESF_SF_EERKSF_lbbbEUlllE_EE10hipError_tT0_T1_T2_jT3_P12ihipStream_tbPNSt15iterator_traitsISL_E10value_typeEPNSR_ISM_E10value_typeEPSN_NS1_7vsmem_tEENKUlT_SL_SM_SN_E_clIS8_S8_S9_S9_EESK_S10_SL_SM_SN_EUlS10_E1_NS1_11comp_targetILNS1_3genE2ELNS1_11target_archE906ELNS1_3gpuE6ELNS1_3repE0EEENS1_36merge_oddeven_config_static_selectorELNS0_4arch9wavefront6targetE1EEEvSM_.has_recursion, 0
	.set _ZN7rocprim17ROCPRIM_400000_NS6detail17trampoline_kernelINS0_14default_configENS1_38merge_sort_block_merge_config_selectorIlNS0_10empty_typeEEEZZNS1_27merge_sort_block_merge_implIS3_PlPS5_mZN2at6native12_GLOBAL__N_124unique_dim_cuda_templateIsEESt5tupleIJNSA_6TensorESF_SF_EERKSF_lbbbEUlllE_EE10hipError_tT0_T1_T2_jT3_P12ihipStream_tbPNSt15iterator_traitsISL_E10value_typeEPNSR_ISM_E10value_typeEPSN_NS1_7vsmem_tEENKUlT_SL_SM_SN_E_clIS8_S8_S9_S9_EESK_S10_SL_SM_SN_EUlS10_E1_NS1_11comp_targetILNS1_3genE2ELNS1_11target_archE906ELNS1_3gpuE6ELNS1_3repE0EEENS1_36merge_oddeven_config_static_selectorELNS0_4arch9wavefront6targetE1EEEvSM_.has_indirect_call, 0
	.section	.AMDGPU.csdata,"",@progbits
; Kernel info:
; codeLenInByte = 0
; TotalNumSgprs: 6
; NumVgprs: 0
; NumAgprs: 0
; TotalNumVgprs: 0
; ScratchSize: 0
; MemoryBound: 0
; FloatMode: 240
; IeeeMode: 1
; LDSByteSize: 0 bytes/workgroup (compile time only)
; SGPRBlocks: 0
; VGPRBlocks: 0
; NumSGPRsForWavesPerEU: 6
; NumVGPRsForWavesPerEU: 1
; AccumOffset: 4
; Occupancy: 8
; WaveLimiterHint : 0
; COMPUTE_PGM_RSRC2:SCRATCH_EN: 0
; COMPUTE_PGM_RSRC2:USER_SGPR: 2
; COMPUTE_PGM_RSRC2:TRAP_HANDLER: 0
; COMPUTE_PGM_RSRC2:TGID_X_EN: 1
; COMPUTE_PGM_RSRC2:TGID_Y_EN: 0
; COMPUTE_PGM_RSRC2:TGID_Z_EN: 0
; COMPUTE_PGM_RSRC2:TIDIG_COMP_CNT: 0
; COMPUTE_PGM_RSRC3_GFX90A:ACCUM_OFFSET: 0
; COMPUTE_PGM_RSRC3_GFX90A:TG_SPLIT: 0
	.section	.text._ZN7rocprim17ROCPRIM_400000_NS6detail17trampoline_kernelINS0_14default_configENS1_38merge_sort_block_merge_config_selectorIlNS0_10empty_typeEEEZZNS1_27merge_sort_block_merge_implIS3_PlPS5_mZN2at6native12_GLOBAL__N_124unique_dim_cuda_templateIsEESt5tupleIJNSA_6TensorESF_SF_EERKSF_lbbbEUlllE_EE10hipError_tT0_T1_T2_jT3_P12ihipStream_tbPNSt15iterator_traitsISL_E10value_typeEPNSR_ISM_E10value_typeEPSN_NS1_7vsmem_tEENKUlT_SL_SM_SN_E_clIS8_S8_S9_S9_EESK_S10_SL_SM_SN_EUlS10_E1_NS1_11comp_targetILNS1_3genE9ELNS1_11target_archE1100ELNS1_3gpuE3ELNS1_3repE0EEENS1_36merge_oddeven_config_static_selectorELNS0_4arch9wavefront6targetE1EEEvSM_,"axG",@progbits,_ZN7rocprim17ROCPRIM_400000_NS6detail17trampoline_kernelINS0_14default_configENS1_38merge_sort_block_merge_config_selectorIlNS0_10empty_typeEEEZZNS1_27merge_sort_block_merge_implIS3_PlPS5_mZN2at6native12_GLOBAL__N_124unique_dim_cuda_templateIsEESt5tupleIJNSA_6TensorESF_SF_EERKSF_lbbbEUlllE_EE10hipError_tT0_T1_T2_jT3_P12ihipStream_tbPNSt15iterator_traitsISL_E10value_typeEPNSR_ISM_E10value_typeEPSN_NS1_7vsmem_tEENKUlT_SL_SM_SN_E_clIS8_S8_S9_S9_EESK_S10_SL_SM_SN_EUlS10_E1_NS1_11comp_targetILNS1_3genE9ELNS1_11target_archE1100ELNS1_3gpuE3ELNS1_3repE0EEENS1_36merge_oddeven_config_static_selectorELNS0_4arch9wavefront6targetE1EEEvSM_,comdat
	.globl	_ZN7rocprim17ROCPRIM_400000_NS6detail17trampoline_kernelINS0_14default_configENS1_38merge_sort_block_merge_config_selectorIlNS0_10empty_typeEEEZZNS1_27merge_sort_block_merge_implIS3_PlPS5_mZN2at6native12_GLOBAL__N_124unique_dim_cuda_templateIsEESt5tupleIJNSA_6TensorESF_SF_EERKSF_lbbbEUlllE_EE10hipError_tT0_T1_T2_jT3_P12ihipStream_tbPNSt15iterator_traitsISL_E10value_typeEPNSR_ISM_E10value_typeEPSN_NS1_7vsmem_tEENKUlT_SL_SM_SN_E_clIS8_S8_S9_S9_EESK_S10_SL_SM_SN_EUlS10_E1_NS1_11comp_targetILNS1_3genE9ELNS1_11target_archE1100ELNS1_3gpuE3ELNS1_3repE0EEENS1_36merge_oddeven_config_static_selectorELNS0_4arch9wavefront6targetE1EEEvSM_ ; -- Begin function _ZN7rocprim17ROCPRIM_400000_NS6detail17trampoline_kernelINS0_14default_configENS1_38merge_sort_block_merge_config_selectorIlNS0_10empty_typeEEEZZNS1_27merge_sort_block_merge_implIS3_PlPS5_mZN2at6native12_GLOBAL__N_124unique_dim_cuda_templateIsEESt5tupleIJNSA_6TensorESF_SF_EERKSF_lbbbEUlllE_EE10hipError_tT0_T1_T2_jT3_P12ihipStream_tbPNSt15iterator_traitsISL_E10value_typeEPNSR_ISM_E10value_typeEPSN_NS1_7vsmem_tEENKUlT_SL_SM_SN_E_clIS8_S8_S9_S9_EESK_S10_SL_SM_SN_EUlS10_E1_NS1_11comp_targetILNS1_3genE9ELNS1_11target_archE1100ELNS1_3gpuE3ELNS1_3repE0EEENS1_36merge_oddeven_config_static_selectorELNS0_4arch9wavefront6targetE1EEEvSM_
	.p2align	8
	.type	_ZN7rocprim17ROCPRIM_400000_NS6detail17trampoline_kernelINS0_14default_configENS1_38merge_sort_block_merge_config_selectorIlNS0_10empty_typeEEEZZNS1_27merge_sort_block_merge_implIS3_PlPS5_mZN2at6native12_GLOBAL__N_124unique_dim_cuda_templateIsEESt5tupleIJNSA_6TensorESF_SF_EERKSF_lbbbEUlllE_EE10hipError_tT0_T1_T2_jT3_P12ihipStream_tbPNSt15iterator_traitsISL_E10value_typeEPNSR_ISM_E10value_typeEPSN_NS1_7vsmem_tEENKUlT_SL_SM_SN_E_clIS8_S8_S9_S9_EESK_S10_SL_SM_SN_EUlS10_E1_NS1_11comp_targetILNS1_3genE9ELNS1_11target_archE1100ELNS1_3gpuE3ELNS1_3repE0EEENS1_36merge_oddeven_config_static_selectorELNS0_4arch9wavefront6targetE1EEEvSM_,@function
_ZN7rocprim17ROCPRIM_400000_NS6detail17trampoline_kernelINS0_14default_configENS1_38merge_sort_block_merge_config_selectorIlNS0_10empty_typeEEEZZNS1_27merge_sort_block_merge_implIS3_PlPS5_mZN2at6native12_GLOBAL__N_124unique_dim_cuda_templateIsEESt5tupleIJNSA_6TensorESF_SF_EERKSF_lbbbEUlllE_EE10hipError_tT0_T1_T2_jT3_P12ihipStream_tbPNSt15iterator_traitsISL_E10value_typeEPNSR_ISM_E10value_typeEPSN_NS1_7vsmem_tEENKUlT_SL_SM_SN_E_clIS8_S8_S9_S9_EESK_S10_SL_SM_SN_EUlS10_E1_NS1_11comp_targetILNS1_3genE9ELNS1_11target_archE1100ELNS1_3gpuE3ELNS1_3repE0EEENS1_36merge_oddeven_config_static_selectorELNS0_4arch9wavefront6targetE1EEEvSM_: ; @_ZN7rocprim17ROCPRIM_400000_NS6detail17trampoline_kernelINS0_14default_configENS1_38merge_sort_block_merge_config_selectorIlNS0_10empty_typeEEEZZNS1_27merge_sort_block_merge_implIS3_PlPS5_mZN2at6native12_GLOBAL__N_124unique_dim_cuda_templateIsEESt5tupleIJNSA_6TensorESF_SF_EERKSF_lbbbEUlllE_EE10hipError_tT0_T1_T2_jT3_P12ihipStream_tbPNSt15iterator_traitsISL_E10value_typeEPNSR_ISM_E10value_typeEPSN_NS1_7vsmem_tEENKUlT_SL_SM_SN_E_clIS8_S8_S9_S9_EESK_S10_SL_SM_SN_EUlS10_E1_NS1_11comp_targetILNS1_3genE9ELNS1_11target_archE1100ELNS1_3gpuE3ELNS1_3repE0EEENS1_36merge_oddeven_config_static_selectorELNS0_4arch9wavefront6targetE1EEEvSM_
; %bb.0:
	.section	.rodata,"a",@progbits
	.p2align	6, 0x0
	.amdhsa_kernel _ZN7rocprim17ROCPRIM_400000_NS6detail17trampoline_kernelINS0_14default_configENS1_38merge_sort_block_merge_config_selectorIlNS0_10empty_typeEEEZZNS1_27merge_sort_block_merge_implIS3_PlPS5_mZN2at6native12_GLOBAL__N_124unique_dim_cuda_templateIsEESt5tupleIJNSA_6TensorESF_SF_EERKSF_lbbbEUlllE_EE10hipError_tT0_T1_T2_jT3_P12ihipStream_tbPNSt15iterator_traitsISL_E10value_typeEPNSR_ISM_E10value_typeEPSN_NS1_7vsmem_tEENKUlT_SL_SM_SN_E_clIS8_S8_S9_S9_EESK_S10_SL_SM_SN_EUlS10_E1_NS1_11comp_targetILNS1_3genE9ELNS1_11target_archE1100ELNS1_3gpuE3ELNS1_3repE0EEENS1_36merge_oddeven_config_static_selectorELNS0_4arch9wavefront6targetE1EEEvSM_
		.amdhsa_group_segment_fixed_size 0
		.amdhsa_private_segment_fixed_size 0
		.amdhsa_kernarg_size 64
		.amdhsa_user_sgpr_count 2
		.amdhsa_user_sgpr_dispatch_ptr 0
		.amdhsa_user_sgpr_queue_ptr 0
		.amdhsa_user_sgpr_kernarg_segment_ptr 1
		.amdhsa_user_sgpr_dispatch_id 0
		.amdhsa_user_sgpr_kernarg_preload_length 0
		.amdhsa_user_sgpr_kernarg_preload_offset 0
		.amdhsa_user_sgpr_private_segment_size 0
		.amdhsa_uses_dynamic_stack 0
		.amdhsa_enable_private_segment 0
		.amdhsa_system_sgpr_workgroup_id_x 1
		.amdhsa_system_sgpr_workgroup_id_y 0
		.amdhsa_system_sgpr_workgroup_id_z 0
		.amdhsa_system_sgpr_workgroup_info 0
		.amdhsa_system_vgpr_workitem_id 0
		.amdhsa_next_free_vgpr 1
		.amdhsa_next_free_sgpr 0
		.amdhsa_accum_offset 4
		.amdhsa_reserve_vcc 0
		.amdhsa_float_round_mode_32 0
		.amdhsa_float_round_mode_16_64 0
		.amdhsa_float_denorm_mode_32 3
		.amdhsa_float_denorm_mode_16_64 3
		.amdhsa_dx10_clamp 1
		.amdhsa_ieee_mode 1
		.amdhsa_fp16_overflow 0
		.amdhsa_tg_split 0
		.amdhsa_exception_fp_ieee_invalid_op 0
		.amdhsa_exception_fp_denorm_src 0
		.amdhsa_exception_fp_ieee_div_zero 0
		.amdhsa_exception_fp_ieee_overflow 0
		.amdhsa_exception_fp_ieee_underflow 0
		.amdhsa_exception_fp_ieee_inexact 0
		.amdhsa_exception_int_div_zero 0
	.end_amdhsa_kernel
	.section	.text._ZN7rocprim17ROCPRIM_400000_NS6detail17trampoline_kernelINS0_14default_configENS1_38merge_sort_block_merge_config_selectorIlNS0_10empty_typeEEEZZNS1_27merge_sort_block_merge_implIS3_PlPS5_mZN2at6native12_GLOBAL__N_124unique_dim_cuda_templateIsEESt5tupleIJNSA_6TensorESF_SF_EERKSF_lbbbEUlllE_EE10hipError_tT0_T1_T2_jT3_P12ihipStream_tbPNSt15iterator_traitsISL_E10value_typeEPNSR_ISM_E10value_typeEPSN_NS1_7vsmem_tEENKUlT_SL_SM_SN_E_clIS8_S8_S9_S9_EESK_S10_SL_SM_SN_EUlS10_E1_NS1_11comp_targetILNS1_3genE9ELNS1_11target_archE1100ELNS1_3gpuE3ELNS1_3repE0EEENS1_36merge_oddeven_config_static_selectorELNS0_4arch9wavefront6targetE1EEEvSM_,"axG",@progbits,_ZN7rocprim17ROCPRIM_400000_NS6detail17trampoline_kernelINS0_14default_configENS1_38merge_sort_block_merge_config_selectorIlNS0_10empty_typeEEEZZNS1_27merge_sort_block_merge_implIS3_PlPS5_mZN2at6native12_GLOBAL__N_124unique_dim_cuda_templateIsEESt5tupleIJNSA_6TensorESF_SF_EERKSF_lbbbEUlllE_EE10hipError_tT0_T1_T2_jT3_P12ihipStream_tbPNSt15iterator_traitsISL_E10value_typeEPNSR_ISM_E10value_typeEPSN_NS1_7vsmem_tEENKUlT_SL_SM_SN_E_clIS8_S8_S9_S9_EESK_S10_SL_SM_SN_EUlS10_E1_NS1_11comp_targetILNS1_3genE9ELNS1_11target_archE1100ELNS1_3gpuE3ELNS1_3repE0EEENS1_36merge_oddeven_config_static_selectorELNS0_4arch9wavefront6targetE1EEEvSM_,comdat
.Lfunc_end658:
	.size	_ZN7rocprim17ROCPRIM_400000_NS6detail17trampoline_kernelINS0_14default_configENS1_38merge_sort_block_merge_config_selectorIlNS0_10empty_typeEEEZZNS1_27merge_sort_block_merge_implIS3_PlPS5_mZN2at6native12_GLOBAL__N_124unique_dim_cuda_templateIsEESt5tupleIJNSA_6TensorESF_SF_EERKSF_lbbbEUlllE_EE10hipError_tT0_T1_T2_jT3_P12ihipStream_tbPNSt15iterator_traitsISL_E10value_typeEPNSR_ISM_E10value_typeEPSN_NS1_7vsmem_tEENKUlT_SL_SM_SN_E_clIS8_S8_S9_S9_EESK_S10_SL_SM_SN_EUlS10_E1_NS1_11comp_targetILNS1_3genE9ELNS1_11target_archE1100ELNS1_3gpuE3ELNS1_3repE0EEENS1_36merge_oddeven_config_static_selectorELNS0_4arch9wavefront6targetE1EEEvSM_, .Lfunc_end658-_ZN7rocprim17ROCPRIM_400000_NS6detail17trampoline_kernelINS0_14default_configENS1_38merge_sort_block_merge_config_selectorIlNS0_10empty_typeEEEZZNS1_27merge_sort_block_merge_implIS3_PlPS5_mZN2at6native12_GLOBAL__N_124unique_dim_cuda_templateIsEESt5tupleIJNSA_6TensorESF_SF_EERKSF_lbbbEUlllE_EE10hipError_tT0_T1_T2_jT3_P12ihipStream_tbPNSt15iterator_traitsISL_E10value_typeEPNSR_ISM_E10value_typeEPSN_NS1_7vsmem_tEENKUlT_SL_SM_SN_E_clIS8_S8_S9_S9_EESK_S10_SL_SM_SN_EUlS10_E1_NS1_11comp_targetILNS1_3genE9ELNS1_11target_archE1100ELNS1_3gpuE3ELNS1_3repE0EEENS1_36merge_oddeven_config_static_selectorELNS0_4arch9wavefront6targetE1EEEvSM_
                                        ; -- End function
	.set _ZN7rocprim17ROCPRIM_400000_NS6detail17trampoline_kernelINS0_14default_configENS1_38merge_sort_block_merge_config_selectorIlNS0_10empty_typeEEEZZNS1_27merge_sort_block_merge_implIS3_PlPS5_mZN2at6native12_GLOBAL__N_124unique_dim_cuda_templateIsEESt5tupleIJNSA_6TensorESF_SF_EERKSF_lbbbEUlllE_EE10hipError_tT0_T1_T2_jT3_P12ihipStream_tbPNSt15iterator_traitsISL_E10value_typeEPNSR_ISM_E10value_typeEPSN_NS1_7vsmem_tEENKUlT_SL_SM_SN_E_clIS8_S8_S9_S9_EESK_S10_SL_SM_SN_EUlS10_E1_NS1_11comp_targetILNS1_3genE9ELNS1_11target_archE1100ELNS1_3gpuE3ELNS1_3repE0EEENS1_36merge_oddeven_config_static_selectorELNS0_4arch9wavefront6targetE1EEEvSM_.num_vgpr, 0
	.set _ZN7rocprim17ROCPRIM_400000_NS6detail17trampoline_kernelINS0_14default_configENS1_38merge_sort_block_merge_config_selectorIlNS0_10empty_typeEEEZZNS1_27merge_sort_block_merge_implIS3_PlPS5_mZN2at6native12_GLOBAL__N_124unique_dim_cuda_templateIsEESt5tupleIJNSA_6TensorESF_SF_EERKSF_lbbbEUlllE_EE10hipError_tT0_T1_T2_jT3_P12ihipStream_tbPNSt15iterator_traitsISL_E10value_typeEPNSR_ISM_E10value_typeEPSN_NS1_7vsmem_tEENKUlT_SL_SM_SN_E_clIS8_S8_S9_S9_EESK_S10_SL_SM_SN_EUlS10_E1_NS1_11comp_targetILNS1_3genE9ELNS1_11target_archE1100ELNS1_3gpuE3ELNS1_3repE0EEENS1_36merge_oddeven_config_static_selectorELNS0_4arch9wavefront6targetE1EEEvSM_.num_agpr, 0
	.set _ZN7rocprim17ROCPRIM_400000_NS6detail17trampoline_kernelINS0_14default_configENS1_38merge_sort_block_merge_config_selectorIlNS0_10empty_typeEEEZZNS1_27merge_sort_block_merge_implIS3_PlPS5_mZN2at6native12_GLOBAL__N_124unique_dim_cuda_templateIsEESt5tupleIJNSA_6TensorESF_SF_EERKSF_lbbbEUlllE_EE10hipError_tT0_T1_T2_jT3_P12ihipStream_tbPNSt15iterator_traitsISL_E10value_typeEPNSR_ISM_E10value_typeEPSN_NS1_7vsmem_tEENKUlT_SL_SM_SN_E_clIS8_S8_S9_S9_EESK_S10_SL_SM_SN_EUlS10_E1_NS1_11comp_targetILNS1_3genE9ELNS1_11target_archE1100ELNS1_3gpuE3ELNS1_3repE0EEENS1_36merge_oddeven_config_static_selectorELNS0_4arch9wavefront6targetE1EEEvSM_.numbered_sgpr, 0
	.set _ZN7rocprim17ROCPRIM_400000_NS6detail17trampoline_kernelINS0_14default_configENS1_38merge_sort_block_merge_config_selectorIlNS0_10empty_typeEEEZZNS1_27merge_sort_block_merge_implIS3_PlPS5_mZN2at6native12_GLOBAL__N_124unique_dim_cuda_templateIsEESt5tupleIJNSA_6TensorESF_SF_EERKSF_lbbbEUlllE_EE10hipError_tT0_T1_T2_jT3_P12ihipStream_tbPNSt15iterator_traitsISL_E10value_typeEPNSR_ISM_E10value_typeEPSN_NS1_7vsmem_tEENKUlT_SL_SM_SN_E_clIS8_S8_S9_S9_EESK_S10_SL_SM_SN_EUlS10_E1_NS1_11comp_targetILNS1_3genE9ELNS1_11target_archE1100ELNS1_3gpuE3ELNS1_3repE0EEENS1_36merge_oddeven_config_static_selectorELNS0_4arch9wavefront6targetE1EEEvSM_.num_named_barrier, 0
	.set _ZN7rocprim17ROCPRIM_400000_NS6detail17trampoline_kernelINS0_14default_configENS1_38merge_sort_block_merge_config_selectorIlNS0_10empty_typeEEEZZNS1_27merge_sort_block_merge_implIS3_PlPS5_mZN2at6native12_GLOBAL__N_124unique_dim_cuda_templateIsEESt5tupleIJNSA_6TensorESF_SF_EERKSF_lbbbEUlllE_EE10hipError_tT0_T1_T2_jT3_P12ihipStream_tbPNSt15iterator_traitsISL_E10value_typeEPNSR_ISM_E10value_typeEPSN_NS1_7vsmem_tEENKUlT_SL_SM_SN_E_clIS8_S8_S9_S9_EESK_S10_SL_SM_SN_EUlS10_E1_NS1_11comp_targetILNS1_3genE9ELNS1_11target_archE1100ELNS1_3gpuE3ELNS1_3repE0EEENS1_36merge_oddeven_config_static_selectorELNS0_4arch9wavefront6targetE1EEEvSM_.private_seg_size, 0
	.set _ZN7rocprim17ROCPRIM_400000_NS6detail17trampoline_kernelINS0_14default_configENS1_38merge_sort_block_merge_config_selectorIlNS0_10empty_typeEEEZZNS1_27merge_sort_block_merge_implIS3_PlPS5_mZN2at6native12_GLOBAL__N_124unique_dim_cuda_templateIsEESt5tupleIJNSA_6TensorESF_SF_EERKSF_lbbbEUlllE_EE10hipError_tT0_T1_T2_jT3_P12ihipStream_tbPNSt15iterator_traitsISL_E10value_typeEPNSR_ISM_E10value_typeEPSN_NS1_7vsmem_tEENKUlT_SL_SM_SN_E_clIS8_S8_S9_S9_EESK_S10_SL_SM_SN_EUlS10_E1_NS1_11comp_targetILNS1_3genE9ELNS1_11target_archE1100ELNS1_3gpuE3ELNS1_3repE0EEENS1_36merge_oddeven_config_static_selectorELNS0_4arch9wavefront6targetE1EEEvSM_.uses_vcc, 0
	.set _ZN7rocprim17ROCPRIM_400000_NS6detail17trampoline_kernelINS0_14default_configENS1_38merge_sort_block_merge_config_selectorIlNS0_10empty_typeEEEZZNS1_27merge_sort_block_merge_implIS3_PlPS5_mZN2at6native12_GLOBAL__N_124unique_dim_cuda_templateIsEESt5tupleIJNSA_6TensorESF_SF_EERKSF_lbbbEUlllE_EE10hipError_tT0_T1_T2_jT3_P12ihipStream_tbPNSt15iterator_traitsISL_E10value_typeEPNSR_ISM_E10value_typeEPSN_NS1_7vsmem_tEENKUlT_SL_SM_SN_E_clIS8_S8_S9_S9_EESK_S10_SL_SM_SN_EUlS10_E1_NS1_11comp_targetILNS1_3genE9ELNS1_11target_archE1100ELNS1_3gpuE3ELNS1_3repE0EEENS1_36merge_oddeven_config_static_selectorELNS0_4arch9wavefront6targetE1EEEvSM_.uses_flat_scratch, 0
	.set _ZN7rocprim17ROCPRIM_400000_NS6detail17trampoline_kernelINS0_14default_configENS1_38merge_sort_block_merge_config_selectorIlNS0_10empty_typeEEEZZNS1_27merge_sort_block_merge_implIS3_PlPS5_mZN2at6native12_GLOBAL__N_124unique_dim_cuda_templateIsEESt5tupleIJNSA_6TensorESF_SF_EERKSF_lbbbEUlllE_EE10hipError_tT0_T1_T2_jT3_P12ihipStream_tbPNSt15iterator_traitsISL_E10value_typeEPNSR_ISM_E10value_typeEPSN_NS1_7vsmem_tEENKUlT_SL_SM_SN_E_clIS8_S8_S9_S9_EESK_S10_SL_SM_SN_EUlS10_E1_NS1_11comp_targetILNS1_3genE9ELNS1_11target_archE1100ELNS1_3gpuE3ELNS1_3repE0EEENS1_36merge_oddeven_config_static_selectorELNS0_4arch9wavefront6targetE1EEEvSM_.has_dyn_sized_stack, 0
	.set _ZN7rocprim17ROCPRIM_400000_NS6detail17trampoline_kernelINS0_14default_configENS1_38merge_sort_block_merge_config_selectorIlNS0_10empty_typeEEEZZNS1_27merge_sort_block_merge_implIS3_PlPS5_mZN2at6native12_GLOBAL__N_124unique_dim_cuda_templateIsEESt5tupleIJNSA_6TensorESF_SF_EERKSF_lbbbEUlllE_EE10hipError_tT0_T1_T2_jT3_P12ihipStream_tbPNSt15iterator_traitsISL_E10value_typeEPNSR_ISM_E10value_typeEPSN_NS1_7vsmem_tEENKUlT_SL_SM_SN_E_clIS8_S8_S9_S9_EESK_S10_SL_SM_SN_EUlS10_E1_NS1_11comp_targetILNS1_3genE9ELNS1_11target_archE1100ELNS1_3gpuE3ELNS1_3repE0EEENS1_36merge_oddeven_config_static_selectorELNS0_4arch9wavefront6targetE1EEEvSM_.has_recursion, 0
	.set _ZN7rocprim17ROCPRIM_400000_NS6detail17trampoline_kernelINS0_14default_configENS1_38merge_sort_block_merge_config_selectorIlNS0_10empty_typeEEEZZNS1_27merge_sort_block_merge_implIS3_PlPS5_mZN2at6native12_GLOBAL__N_124unique_dim_cuda_templateIsEESt5tupleIJNSA_6TensorESF_SF_EERKSF_lbbbEUlllE_EE10hipError_tT0_T1_T2_jT3_P12ihipStream_tbPNSt15iterator_traitsISL_E10value_typeEPNSR_ISM_E10value_typeEPSN_NS1_7vsmem_tEENKUlT_SL_SM_SN_E_clIS8_S8_S9_S9_EESK_S10_SL_SM_SN_EUlS10_E1_NS1_11comp_targetILNS1_3genE9ELNS1_11target_archE1100ELNS1_3gpuE3ELNS1_3repE0EEENS1_36merge_oddeven_config_static_selectorELNS0_4arch9wavefront6targetE1EEEvSM_.has_indirect_call, 0
	.section	.AMDGPU.csdata,"",@progbits
; Kernel info:
; codeLenInByte = 0
; TotalNumSgprs: 6
; NumVgprs: 0
; NumAgprs: 0
; TotalNumVgprs: 0
; ScratchSize: 0
; MemoryBound: 0
; FloatMode: 240
; IeeeMode: 1
; LDSByteSize: 0 bytes/workgroup (compile time only)
; SGPRBlocks: 0
; VGPRBlocks: 0
; NumSGPRsForWavesPerEU: 6
; NumVGPRsForWavesPerEU: 1
; AccumOffset: 4
; Occupancy: 8
; WaveLimiterHint : 0
; COMPUTE_PGM_RSRC2:SCRATCH_EN: 0
; COMPUTE_PGM_RSRC2:USER_SGPR: 2
; COMPUTE_PGM_RSRC2:TRAP_HANDLER: 0
; COMPUTE_PGM_RSRC2:TGID_X_EN: 1
; COMPUTE_PGM_RSRC2:TGID_Y_EN: 0
; COMPUTE_PGM_RSRC2:TGID_Z_EN: 0
; COMPUTE_PGM_RSRC2:TIDIG_COMP_CNT: 0
; COMPUTE_PGM_RSRC3_GFX90A:ACCUM_OFFSET: 0
; COMPUTE_PGM_RSRC3_GFX90A:TG_SPLIT: 0
	.section	.text._ZN7rocprim17ROCPRIM_400000_NS6detail17trampoline_kernelINS0_14default_configENS1_38merge_sort_block_merge_config_selectorIlNS0_10empty_typeEEEZZNS1_27merge_sort_block_merge_implIS3_PlPS5_mZN2at6native12_GLOBAL__N_124unique_dim_cuda_templateIsEESt5tupleIJNSA_6TensorESF_SF_EERKSF_lbbbEUlllE_EE10hipError_tT0_T1_T2_jT3_P12ihipStream_tbPNSt15iterator_traitsISL_E10value_typeEPNSR_ISM_E10value_typeEPSN_NS1_7vsmem_tEENKUlT_SL_SM_SN_E_clIS8_S8_S9_S9_EESK_S10_SL_SM_SN_EUlS10_E1_NS1_11comp_targetILNS1_3genE8ELNS1_11target_archE1030ELNS1_3gpuE2ELNS1_3repE0EEENS1_36merge_oddeven_config_static_selectorELNS0_4arch9wavefront6targetE1EEEvSM_,"axG",@progbits,_ZN7rocprim17ROCPRIM_400000_NS6detail17trampoline_kernelINS0_14default_configENS1_38merge_sort_block_merge_config_selectorIlNS0_10empty_typeEEEZZNS1_27merge_sort_block_merge_implIS3_PlPS5_mZN2at6native12_GLOBAL__N_124unique_dim_cuda_templateIsEESt5tupleIJNSA_6TensorESF_SF_EERKSF_lbbbEUlllE_EE10hipError_tT0_T1_T2_jT3_P12ihipStream_tbPNSt15iterator_traitsISL_E10value_typeEPNSR_ISM_E10value_typeEPSN_NS1_7vsmem_tEENKUlT_SL_SM_SN_E_clIS8_S8_S9_S9_EESK_S10_SL_SM_SN_EUlS10_E1_NS1_11comp_targetILNS1_3genE8ELNS1_11target_archE1030ELNS1_3gpuE2ELNS1_3repE0EEENS1_36merge_oddeven_config_static_selectorELNS0_4arch9wavefront6targetE1EEEvSM_,comdat
	.globl	_ZN7rocprim17ROCPRIM_400000_NS6detail17trampoline_kernelINS0_14default_configENS1_38merge_sort_block_merge_config_selectorIlNS0_10empty_typeEEEZZNS1_27merge_sort_block_merge_implIS3_PlPS5_mZN2at6native12_GLOBAL__N_124unique_dim_cuda_templateIsEESt5tupleIJNSA_6TensorESF_SF_EERKSF_lbbbEUlllE_EE10hipError_tT0_T1_T2_jT3_P12ihipStream_tbPNSt15iterator_traitsISL_E10value_typeEPNSR_ISM_E10value_typeEPSN_NS1_7vsmem_tEENKUlT_SL_SM_SN_E_clIS8_S8_S9_S9_EESK_S10_SL_SM_SN_EUlS10_E1_NS1_11comp_targetILNS1_3genE8ELNS1_11target_archE1030ELNS1_3gpuE2ELNS1_3repE0EEENS1_36merge_oddeven_config_static_selectorELNS0_4arch9wavefront6targetE1EEEvSM_ ; -- Begin function _ZN7rocprim17ROCPRIM_400000_NS6detail17trampoline_kernelINS0_14default_configENS1_38merge_sort_block_merge_config_selectorIlNS0_10empty_typeEEEZZNS1_27merge_sort_block_merge_implIS3_PlPS5_mZN2at6native12_GLOBAL__N_124unique_dim_cuda_templateIsEESt5tupleIJNSA_6TensorESF_SF_EERKSF_lbbbEUlllE_EE10hipError_tT0_T1_T2_jT3_P12ihipStream_tbPNSt15iterator_traitsISL_E10value_typeEPNSR_ISM_E10value_typeEPSN_NS1_7vsmem_tEENKUlT_SL_SM_SN_E_clIS8_S8_S9_S9_EESK_S10_SL_SM_SN_EUlS10_E1_NS1_11comp_targetILNS1_3genE8ELNS1_11target_archE1030ELNS1_3gpuE2ELNS1_3repE0EEENS1_36merge_oddeven_config_static_selectorELNS0_4arch9wavefront6targetE1EEEvSM_
	.p2align	8
	.type	_ZN7rocprim17ROCPRIM_400000_NS6detail17trampoline_kernelINS0_14default_configENS1_38merge_sort_block_merge_config_selectorIlNS0_10empty_typeEEEZZNS1_27merge_sort_block_merge_implIS3_PlPS5_mZN2at6native12_GLOBAL__N_124unique_dim_cuda_templateIsEESt5tupleIJNSA_6TensorESF_SF_EERKSF_lbbbEUlllE_EE10hipError_tT0_T1_T2_jT3_P12ihipStream_tbPNSt15iterator_traitsISL_E10value_typeEPNSR_ISM_E10value_typeEPSN_NS1_7vsmem_tEENKUlT_SL_SM_SN_E_clIS8_S8_S9_S9_EESK_S10_SL_SM_SN_EUlS10_E1_NS1_11comp_targetILNS1_3genE8ELNS1_11target_archE1030ELNS1_3gpuE2ELNS1_3repE0EEENS1_36merge_oddeven_config_static_selectorELNS0_4arch9wavefront6targetE1EEEvSM_,@function
_ZN7rocprim17ROCPRIM_400000_NS6detail17trampoline_kernelINS0_14default_configENS1_38merge_sort_block_merge_config_selectorIlNS0_10empty_typeEEEZZNS1_27merge_sort_block_merge_implIS3_PlPS5_mZN2at6native12_GLOBAL__N_124unique_dim_cuda_templateIsEESt5tupleIJNSA_6TensorESF_SF_EERKSF_lbbbEUlllE_EE10hipError_tT0_T1_T2_jT3_P12ihipStream_tbPNSt15iterator_traitsISL_E10value_typeEPNSR_ISM_E10value_typeEPSN_NS1_7vsmem_tEENKUlT_SL_SM_SN_E_clIS8_S8_S9_S9_EESK_S10_SL_SM_SN_EUlS10_E1_NS1_11comp_targetILNS1_3genE8ELNS1_11target_archE1030ELNS1_3gpuE2ELNS1_3repE0EEENS1_36merge_oddeven_config_static_selectorELNS0_4arch9wavefront6targetE1EEEvSM_: ; @_ZN7rocprim17ROCPRIM_400000_NS6detail17trampoline_kernelINS0_14default_configENS1_38merge_sort_block_merge_config_selectorIlNS0_10empty_typeEEEZZNS1_27merge_sort_block_merge_implIS3_PlPS5_mZN2at6native12_GLOBAL__N_124unique_dim_cuda_templateIsEESt5tupleIJNSA_6TensorESF_SF_EERKSF_lbbbEUlllE_EE10hipError_tT0_T1_T2_jT3_P12ihipStream_tbPNSt15iterator_traitsISL_E10value_typeEPNSR_ISM_E10value_typeEPSN_NS1_7vsmem_tEENKUlT_SL_SM_SN_E_clIS8_S8_S9_S9_EESK_S10_SL_SM_SN_EUlS10_E1_NS1_11comp_targetILNS1_3genE8ELNS1_11target_archE1030ELNS1_3gpuE2ELNS1_3repE0EEENS1_36merge_oddeven_config_static_selectorELNS0_4arch9wavefront6targetE1EEEvSM_
; %bb.0:
	.section	.rodata,"a",@progbits
	.p2align	6, 0x0
	.amdhsa_kernel _ZN7rocprim17ROCPRIM_400000_NS6detail17trampoline_kernelINS0_14default_configENS1_38merge_sort_block_merge_config_selectorIlNS0_10empty_typeEEEZZNS1_27merge_sort_block_merge_implIS3_PlPS5_mZN2at6native12_GLOBAL__N_124unique_dim_cuda_templateIsEESt5tupleIJNSA_6TensorESF_SF_EERKSF_lbbbEUlllE_EE10hipError_tT0_T1_T2_jT3_P12ihipStream_tbPNSt15iterator_traitsISL_E10value_typeEPNSR_ISM_E10value_typeEPSN_NS1_7vsmem_tEENKUlT_SL_SM_SN_E_clIS8_S8_S9_S9_EESK_S10_SL_SM_SN_EUlS10_E1_NS1_11comp_targetILNS1_3genE8ELNS1_11target_archE1030ELNS1_3gpuE2ELNS1_3repE0EEENS1_36merge_oddeven_config_static_selectorELNS0_4arch9wavefront6targetE1EEEvSM_
		.amdhsa_group_segment_fixed_size 0
		.amdhsa_private_segment_fixed_size 0
		.amdhsa_kernarg_size 64
		.amdhsa_user_sgpr_count 2
		.amdhsa_user_sgpr_dispatch_ptr 0
		.amdhsa_user_sgpr_queue_ptr 0
		.amdhsa_user_sgpr_kernarg_segment_ptr 1
		.amdhsa_user_sgpr_dispatch_id 0
		.amdhsa_user_sgpr_kernarg_preload_length 0
		.amdhsa_user_sgpr_kernarg_preload_offset 0
		.amdhsa_user_sgpr_private_segment_size 0
		.amdhsa_uses_dynamic_stack 0
		.amdhsa_enable_private_segment 0
		.amdhsa_system_sgpr_workgroup_id_x 1
		.amdhsa_system_sgpr_workgroup_id_y 0
		.amdhsa_system_sgpr_workgroup_id_z 0
		.amdhsa_system_sgpr_workgroup_info 0
		.amdhsa_system_vgpr_workitem_id 0
		.amdhsa_next_free_vgpr 1
		.amdhsa_next_free_sgpr 0
		.amdhsa_accum_offset 4
		.amdhsa_reserve_vcc 0
		.amdhsa_float_round_mode_32 0
		.amdhsa_float_round_mode_16_64 0
		.amdhsa_float_denorm_mode_32 3
		.amdhsa_float_denorm_mode_16_64 3
		.amdhsa_dx10_clamp 1
		.amdhsa_ieee_mode 1
		.amdhsa_fp16_overflow 0
		.amdhsa_tg_split 0
		.amdhsa_exception_fp_ieee_invalid_op 0
		.amdhsa_exception_fp_denorm_src 0
		.amdhsa_exception_fp_ieee_div_zero 0
		.amdhsa_exception_fp_ieee_overflow 0
		.amdhsa_exception_fp_ieee_underflow 0
		.amdhsa_exception_fp_ieee_inexact 0
		.amdhsa_exception_int_div_zero 0
	.end_amdhsa_kernel
	.section	.text._ZN7rocprim17ROCPRIM_400000_NS6detail17trampoline_kernelINS0_14default_configENS1_38merge_sort_block_merge_config_selectorIlNS0_10empty_typeEEEZZNS1_27merge_sort_block_merge_implIS3_PlPS5_mZN2at6native12_GLOBAL__N_124unique_dim_cuda_templateIsEESt5tupleIJNSA_6TensorESF_SF_EERKSF_lbbbEUlllE_EE10hipError_tT0_T1_T2_jT3_P12ihipStream_tbPNSt15iterator_traitsISL_E10value_typeEPNSR_ISM_E10value_typeEPSN_NS1_7vsmem_tEENKUlT_SL_SM_SN_E_clIS8_S8_S9_S9_EESK_S10_SL_SM_SN_EUlS10_E1_NS1_11comp_targetILNS1_3genE8ELNS1_11target_archE1030ELNS1_3gpuE2ELNS1_3repE0EEENS1_36merge_oddeven_config_static_selectorELNS0_4arch9wavefront6targetE1EEEvSM_,"axG",@progbits,_ZN7rocprim17ROCPRIM_400000_NS6detail17trampoline_kernelINS0_14default_configENS1_38merge_sort_block_merge_config_selectorIlNS0_10empty_typeEEEZZNS1_27merge_sort_block_merge_implIS3_PlPS5_mZN2at6native12_GLOBAL__N_124unique_dim_cuda_templateIsEESt5tupleIJNSA_6TensorESF_SF_EERKSF_lbbbEUlllE_EE10hipError_tT0_T1_T2_jT3_P12ihipStream_tbPNSt15iterator_traitsISL_E10value_typeEPNSR_ISM_E10value_typeEPSN_NS1_7vsmem_tEENKUlT_SL_SM_SN_E_clIS8_S8_S9_S9_EESK_S10_SL_SM_SN_EUlS10_E1_NS1_11comp_targetILNS1_3genE8ELNS1_11target_archE1030ELNS1_3gpuE2ELNS1_3repE0EEENS1_36merge_oddeven_config_static_selectorELNS0_4arch9wavefront6targetE1EEEvSM_,comdat
.Lfunc_end659:
	.size	_ZN7rocprim17ROCPRIM_400000_NS6detail17trampoline_kernelINS0_14default_configENS1_38merge_sort_block_merge_config_selectorIlNS0_10empty_typeEEEZZNS1_27merge_sort_block_merge_implIS3_PlPS5_mZN2at6native12_GLOBAL__N_124unique_dim_cuda_templateIsEESt5tupleIJNSA_6TensorESF_SF_EERKSF_lbbbEUlllE_EE10hipError_tT0_T1_T2_jT3_P12ihipStream_tbPNSt15iterator_traitsISL_E10value_typeEPNSR_ISM_E10value_typeEPSN_NS1_7vsmem_tEENKUlT_SL_SM_SN_E_clIS8_S8_S9_S9_EESK_S10_SL_SM_SN_EUlS10_E1_NS1_11comp_targetILNS1_3genE8ELNS1_11target_archE1030ELNS1_3gpuE2ELNS1_3repE0EEENS1_36merge_oddeven_config_static_selectorELNS0_4arch9wavefront6targetE1EEEvSM_, .Lfunc_end659-_ZN7rocprim17ROCPRIM_400000_NS6detail17trampoline_kernelINS0_14default_configENS1_38merge_sort_block_merge_config_selectorIlNS0_10empty_typeEEEZZNS1_27merge_sort_block_merge_implIS3_PlPS5_mZN2at6native12_GLOBAL__N_124unique_dim_cuda_templateIsEESt5tupleIJNSA_6TensorESF_SF_EERKSF_lbbbEUlllE_EE10hipError_tT0_T1_T2_jT3_P12ihipStream_tbPNSt15iterator_traitsISL_E10value_typeEPNSR_ISM_E10value_typeEPSN_NS1_7vsmem_tEENKUlT_SL_SM_SN_E_clIS8_S8_S9_S9_EESK_S10_SL_SM_SN_EUlS10_E1_NS1_11comp_targetILNS1_3genE8ELNS1_11target_archE1030ELNS1_3gpuE2ELNS1_3repE0EEENS1_36merge_oddeven_config_static_selectorELNS0_4arch9wavefront6targetE1EEEvSM_
                                        ; -- End function
	.set _ZN7rocprim17ROCPRIM_400000_NS6detail17trampoline_kernelINS0_14default_configENS1_38merge_sort_block_merge_config_selectorIlNS0_10empty_typeEEEZZNS1_27merge_sort_block_merge_implIS3_PlPS5_mZN2at6native12_GLOBAL__N_124unique_dim_cuda_templateIsEESt5tupleIJNSA_6TensorESF_SF_EERKSF_lbbbEUlllE_EE10hipError_tT0_T1_T2_jT3_P12ihipStream_tbPNSt15iterator_traitsISL_E10value_typeEPNSR_ISM_E10value_typeEPSN_NS1_7vsmem_tEENKUlT_SL_SM_SN_E_clIS8_S8_S9_S9_EESK_S10_SL_SM_SN_EUlS10_E1_NS1_11comp_targetILNS1_3genE8ELNS1_11target_archE1030ELNS1_3gpuE2ELNS1_3repE0EEENS1_36merge_oddeven_config_static_selectorELNS0_4arch9wavefront6targetE1EEEvSM_.num_vgpr, 0
	.set _ZN7rocprim17ROCPRIM_400000_NS6detail17trampoline_kernelINS0_14default_configENS1_38merge_sort_block_merge_config_selectorIlNS0_10empty_typeEEEZZNS1_27merge_sort_block_merge_implIS3_PlPS5_mZN2at6native12_GLOBAL__N_124unique_dim_cuda_templateIsEESt5tupleIJNSA_6TensorESF_SF_EERKSF_lbbbEUlllE_EE10hipError_tT0_T1_T2_jT3_P12ihipStream_tbPNSt15iterator_traitsISL_E10value_typeEPNSR_ISM_E10value_typeEPSN_NS1_7vsmem_tEENKUlT_SL_SM_SN_E_clIS8_S8_S9_S9_EESK_S10_SL_SM_SN_EUlS10_E1_NS1_11comp_targetILNS1_3genE8ELNS1_11target_archE1030ELNS1_3gpuE2ELNS1_3repE0EEENS1_36merge_oddeven_config_static_selectorELNS0_4arch9wavefront6targetE1EEEvSM_.num_agpr, 0
	.set _ZN7rocprim17ROCPRIM_400000_NS6detail17trampoline_kernelINS0_14default_configENS1_38merge_sort_block_merge_config_selectorIlNS0_10empty_typeEEEZZNS1_27merge_sort_block_merge_implIS3_PlPS5_mZN2at6native12_GLOBAL__N_124unique_dim_cuda_templateIsEESt5tupleIJNSA_6TensorESF_SF_EERKSF_lbbbEUlllE_EE10hipError_tT0_T1_T2_jT3_P12ihipStream_tbPNSt15iterator_traitsISL_E10value_typeEPNSR_ISM_E10value_typeEPSN_NS1_7vsmem_tEENKUlT_SL_SM_SN_E_clIS8_S8_S9_S9_EESK_S10_SL_SM_SN_EUlS10_E1_NS1_11comp_targetILNS1_3genE8ELNS1_11target_archE1030ELNS1_3gpuE2ELNS1_3repE0EEENS1_36merge_oddeven_config_static_selectorELNS0_4arch9wavefront6targetE1EEEvSM_.numbered_sgpr, 0
	.set _ZN7rocprim17ROCPRIM_400000_NS6detail17trampoline_kernelINS0_14default_configENS1_38merge_sort_block_merge_config_selectorIlNS0_10empty_typeEEEZZNS1_27merge_sort_block_merge_implIS3_PlPS5_mZN2at6native12_GLOBAL__N_124unique_dim_cuda_templateIsEESt5tupleIJNSA_6TensorESF_SF_EERKSF_lbbbEUlllE_EE10hipError_tT0_T1_T2_jT3_P12ihipStream_tbPNSt15iterator_traitsISL_E10value_typeEPNSR_ISM_E10value_typeEPSN_NS1_7vsmem_tEENKUlT_SL_SM_SN_E_clIS8_S8_S9_S9_EESK_S10_SL_SM_SN_EUlS10_E1_NS1_11comp_targetILNS1_3genE8ELNS1_11target_archE1030ELNS1_3gpuE2ELNS1_3repE0EEENS1_36merge_oddeven_config_static_selectorELNS0_4arch9wavefront6targetE1EEEvSM_.num_named_barrier, 0
	.set _ZN7rocprim17ROCPRIM_400000_NS6detail17trampoline_kernelINS0_14default_configENS1_38merge_sort_block_merge_config_selectorIlNS0_10empty_typeEEEZZNS1_27merge_sort_block_merge_implIS3_PlPS5_mZN2at6native12_GLOBAL__N_124unique_dim_cuda_templateIsEESt5tupleIJNSA_6TensorESF_SF_EERKSF_lbbbEUlllE_EE10hipError_tT0_T1_T2_jT3_P12ihipStream_tbPNSt15iterator_traitsISL_E10value_typeEPNSR_ISM_E10value_typeEPSN_NS1_7vsmem_tEENKUlT_SL_SM_SN_E_clIS8_S8_S9_S9_EESK_S10_SL_SM_SN_EUlS10_E1_NS1_11comp_targetILNS1_3genE8ELNS1_11target_archE1030ELNS1_3gpuE2ELNS1_3repE0EEENS1_36merge_oddeven_config_static_selectorELNS0_4arch9wavefront6targetE1EEEvSM_.private_seg_size, 0
	.set _ZN7rocprim17ROCPRIM_400000_NS6detail17trampoline_kernelINS0_14default_configENS1_38merge_sort_block_merge_config_selectorIlNS0_10empty_typeEEEZZNS1_27merge_sort_block_merge_implIS3_PlPS5_mZN2at6native12_GLOBAL__N_124unique_dim_cuda_templateIsEESt5tupleIJNSA_6TensorESF_SF_EERKSF_lbbbEUlllE_EE10hipError_tT0_T1_T2_jT3_P12ihipStream_tbPNSt15iterator_traitsISL_E10value_typeEPNSR_ISM_E10value_typeEPSN_NS1_7vsmem_tEENKUlT_SL_SM_SN_E_clIS8_S8_S9_S9_EESK_S10_SL_SM_SN_EUlS10_E1_NS1_11comp_targetILNS1_3genE8ELNS1_11target_archE1030ELNS1_3gpuE2ELNS1_3repE0EEENS1_36merge_oddeven_config_static_selectorELNS0_4arch9wavefront6targetE1EEEvSM_.uses_vcc, 0
	.set _ZN7rocprim17ROCPRIM_400000_NS6detail17trampoline_kernelINS0_14default_configENS1_38merge_sort_block_merge_config_selectorIlNS0_10empty_typeEEEZZNS1_27merge_sort_block_merge_implIS3_PlPS5_mZN2at6native12_GLOBAL__N_124unique_dim_cuda_templateIsEESt5tupleIJNSA_6TensorESF_SF_EERKSF_lbbbEUlllE_EE10hipError_tT0_T1_T2_jT3_P12ihipStream_tbPNSt15iterator_traitsISL_E10value_typeEPNSR_ISM_E10value_typeEPSN_NS1_7vsmem_tEENKUlT_SL_SM_SN_E_clIS8_S8_S9_S9_EESK_S10_SL_SM_SN_EUlS10_E1_NS1_11comp_targetILNS1_3genE8ELNS1_11target_archE1030ELNS1_3gpuE2ELNS1_3repE0EEENS1_36merge_oddeven_config_static_selectorELNS0_4arch9wavefront6targetE1EEEvSM_.uses_flat_scratch, 0
	.set _ZN7rocprim17ROCPRIM_400000_NS6detail17trampoline_kernelINS0_14default_configENS1_38merge_sort_block_merge_config_selectorIlNS0_10empty_typeEEEZZNS1_27merge_sort_block_merge_implIS3_PlPS5_mZN2at6native12_GLOBAL__N_124unique_dim_cuda_templateIsEESt5tupleIJNSA_6TensorESF_SF_EERKSF_lbbbEUlllE_EE10hipError_tT0_T1_T2_jT3_P12ihipStream_tbPNSt15iterator_traitsISL_E10value_typeEPNSR_ISM_E10value_typeEPSN_NS1_7vsmem_tEENKUlT_SL_SM_SN_E_clIS8_S8_S9_S9_EESK_S10_SL_SM_SN_EUlS10_E1_NS1_11comp_targetILNS1_3genE8ELNS1_11target_archE1030ELNS1_3gpuE2ELNS1_3repE0EEENS1_36merge_oddeven_config_static_selectorELNS0_4arch9wavefront6targetE1EEEvSM_.has_dyn_sized_stack, 0
	.set _ZN7rocprim17ROCPRIM_400000_NS6detail17trampoline_kernelINS0_14default_configENS1_38merge_sort_block_merge_config_selectorIlNS0_10empty_typeEEEZZNS1_27merge_sort_block_merge_implIS3_PlPS5_mZN2at6native12_GLOBAL__N_124unique_dim_cuda_templateIsEESt5tupleIJNSA_6TensorESF_SF_EERKSF_lbbbEUlllE_EE10hipError_tT0_T1_T2_jT3_P12ihipStream_tbPNSt15iterator_traitsISL_E10value_typeEPNSR_ISM_E10value_typeEPSN_NS1_7vsmem_tEENKUlT_SL_SM_SN_E_clIS8_S8_S9_S9_EESK_S10_SL_SM_SN_EUlS10_E1_NS1_11comp_targetILNS1_3genE8ELNS1_11target_archE1030ELNS1_3gpuE2ELNS1_3repE0EEENS1_36merge_oddeven_config_static_selectorELNS0_4arch9wavefront6targetE1EEEvSM_.has_recursion, 0
	.set _ZN7rocprim17ROCPRIM_400000_NS6detail17trampoline_kernelINS0_14default_configENS1_38merge_sort_block_merge_config_selectorIlNS0_10empty_typeEEEZZNS1_27merge_sort_block_merge_implIS3_PlPS5_mZN2at6native12_GLOBAL__N_124unique_dim_cuda_templateIsEESt5tupleIJNSA_6TensorESF_SF_EERKSF_lbbbEUlllE_EE10hipError_tT0_T1_T2_jT3_P12ihipStream_tbPNSt15iterator_traitsISL_E10value_typeEPNSR_ISM_E10value_typeEPSN_NS1_7vsmem_tEENKUlT_SL_SM_SN_E_clIS8_S8_S9_S9_EESK_S10_SL_SM_SN_EUlS10_E1_NS1_11comp_targetILNS1_3genE8ELNS1_11target_archE1030ELNS1_3gpuE2ELNS1_3repE0EEENS1_36merge_oddeven_config_static_selectorELNS0_4arch9wavefront6targetE1EEEvSM_.has_indirect_call, 0
	.section	.AMDGPU.csdata,"",@progbits
; Kernel info:
; codeLenInByte = 0
; TotalNumSgprs: 6
; NumVgprs: 0
; NumAgprs: 0
; TotalNumVgprs: 0
; ScratchSize: 0
; MemoryBound: 0
; FloatMode: 240
; IeeeMode: 1
; LDSByteSize: 0 bytes/workgroup (compile time only)
; SGPRBlocks: 0
; VGPRBlocks: 0
; NumSGPRsForWavesPerEU: 6
; NumVGPRsForWavesPerEU: 1
; AccumOffset: 4
; Occupancy: 8
; WaveLimiterHint : 0
; COMPUTE_PGM_RSRC2:SCRATCH_EN: 0
; COMPUTE_PGM_RSRC2:USER_SGPR: 2
; COMPUTE_PGM_RSRC2:TRAP_HANDLER: 0
; COMPUTE_PGM_RSRC2:TGID_X_EN: 1
; COMPUTE_PGM_RSRC2:TGID_Y_EN: 0
; COMPUTE_PGM_RSRC2:TGID_Z_EN: 0
; COMPUTE_PGM_RSRC2:TIDIG_COMP_CNT: 0
; COMPUTE_PGM_RSRC3_GFX90A:ACCUM_OFFSET: 0
; COMPUTE_PGM_RSRC3_GFX90A:TG_SPLIT: 0
	.section	.text._ZN7rocprim17ROCPRIM_400000_NS6detail17trampoline_kernelINS0_14default_configENS1_35adjacent_difference_config_selectorILb0ElEEZNS1_24adjacent_difference_implIS3_Lb0ELb0EPlS7_ZN2at6native12_GLOBAL__N_124unique_dim_cuda_templateIsEESt5tupleIJNS8_6TensorESD_SD_EERKSD_lbbbEUlllE1_EE10hipError_tPvRmT2_T3_mT4_P12ihipStream_tbEUlT_E_NS1_11comp_targetILNS1_3genE0ELNS1_11target_archE4294967295ELNS1_3gpuE0ELNS1_3repE0EEENS1_30default_config_static_selectorELNS0_4arch9wavefront6targetE1EEEvT1_,"axG",@progbits,_ZN7rocprim17ROCPRIM_400000_NS6detail17trampoline_kernelINS0_14default_configENS1_35adjacent_difference_config_selectorILb0ElEEZNS1_24adjacent_difference_implIS3_Lb0ELb0EPlS7_ZN2at6native12_GLOBAL__N_124unique_dim_cuda_templateIsEESt5tupleIJNS8_6TensorESD_SD_EERKSD_lbbbEUlllE1_EE10hipError_tPvRmT2_T3_mT4_P12ihipStream_tbEUlT_E_NS1_11comp_targetILNS1_3genE0ELNS1_11target_archE4294967295ELNS1_3gpuE0ELNS1_3repE0EEENS1_30default_config_static_selectorELNS0_4arch9wavefront6targetE1EEEvT1_,comdat
	.globl	_ZN7rocprim17ROCPRIM_400000_NS6detail17trampoline_kernelINS0_14default_configENS1_35adjacent_difference_config_selectorILb0ElEEZNS1_24adjacent_difference_implIS3_Lb0ELb0EPlS7_ZN2at6native12_GLOBAL__N_124unique_dim_cuda_templateIsEESt5tupleIJNS8_6TensorESD_SD_EERKSD_lbbbEUlllE1_EE10hipError_tPvRmT2_T3_mT4_P12ihipStream_tbEUlT_E_NS1_11comp_targetILNS1_3genE0ELNS1_11target_archE4294967295ELNS1_3gpuE0ELNS1_3repE0EEENS1_30default_config_static_selectorELNS0_4arch9wavefront6targetE1EEEvT1_ ; -- Begin function _ZN7rocprim17ROCPRIM_400000_NS6detail17trampoline_kernelINS0_14default_configENS1_35adjacent_difference_config_selectorILb0ElEEZNS1_24adjacent_difference_implIS3_Lb0ELb0EPlS7_ZN2at6native12_GLOBAL__N_124unique_dim_cuda_templateIsEESt5tupleIJNS8_6TensorESD_SD_EERKSD_lbbbEUlllE1_EE10hipError_tPvRmT2_T3_mT4_P12ihipStream_tbEUlT_E_NS1_11comp_targetILNS1_3genE0ELNS1_11target_archE4294967295ELNS1_3gpuE0ELNS1_3repE0EEENS1_30default_config_static_selectorELNS0_4arch9wavefront6targetE1EEEvT1_
	.p2align	8
	.type	_ZN7rocprim17ROCPRIM_400000_NS6detail17trampoline_kernelINS0_14default_configENS1_35adjacent_difference_config_selectorILb0ElEEZNS1_24adjacent_difference_implIS3_Lb0ELb0EPlS7_ZN2at6native12_GLOBAL__N_124unique_dim_cuda_templateIsEESt5tupleIJNS8_6TensorESD_SD_EERKSD_lbbbEUlllE1_EE10hipError_tPvRmT2_T3_mT4_P12ihipStream_tbEUlT_E_NS1_11comp_targetILNS1_3genE0ELNS1_11target_archE4294967295ELNS1_3gpuE0ELNS1_3repE0EEENS1_30default_config_static_selectorELNS0_4arch9wavefront6targetE1EEEvT1_,@function
_ZN7rocprim17ROCPRIM_400000_NS6detail17trampoline_kernelINS0_14default_configENS1_35adjacent_difference_config_selectorILb0ElEEZNS1_24adjacent_difference_implIS3_Lb0ELb0EPlS7_ZN2at6native12_GLOBAL__N_124unique_dim_cuda_templateIsEESt5tupleIJNS8_6TensorESD_SD_EERKSD_lbbbEUlllE1_EE10hipError_tPvRmT2_T3_mT4_P12ihipStream_tbEUlT_E_NS1_11comp_targetILNS1_3genE0ELNS1_11target_archE4294967295ELNS1_3gpuE0ELNS1_3repE0EEENS1_30default_config_static_selectorELNS0_4arch9wavefront6targetE1EEEvT1_: ; @_ZN7rocprim17ROCPRIM_400000_NS6detail17trampoline_kernelINS0_14default_configENS1_35adjacent_difference_config_selectorILb0ElEEZNS1_24adjacent_difference_implIS3_Lb0ELb0EPlS7_ZN2at6native12_GLOBAL__N_124unique_dim_cuda_templateIsEESt5tupleIJNS8_6TensorESD_SD_EERKSD_lbbbEUlllE1_EE10hipError_tPvRmT2_T3_mT4_P12ihipStream_tbEUlT_E_NS1_11comp_targetILNS1_3genE0ELNS1_11target_archE4294967295ELNS1_3gpuE0ELNS1_3repE0EEENS1_30default_config_static_selectorELNS0_4arch9wavefront6targetE1EEEvT1_
; %bb.0:
	s_load_dwordx8 s[4:11], s[0:1], 0x0
	s_load_dwordx4 s[12:15], s[0:1], 0x20
	s_load_dwordx2 s[16:17], s[0:1], 0x38
	s_mov_b32 s19, 0
	s_mov_b64 s[20:21], -1
	s_waitcnt lgkmcnt(0)
	s_lshl_b64 s[6:7], s[6:7], 3
	s_add_u32 s22, s4, s6
	s_addc_u32 s23, s5, s7
	s_lshl_b32 s4, s2, 7
	s_lshr_b64 s[0:1], s[10:11], 7
	s_and_b32 s18, s10, 0x7f
	s_cmp_lg_u64 s[18:19], 0
	s_cselect_b64 s[18:19], -1, 0
	v_cndmask_b32_e64 v1, 0, 1, s[18:19]
	s_nop 0
	v_readfirstlane_b32 s3, v1
	s_add_u32 s18, s0, s3
	s_addc_u32 s19, s1, 0
	s_add_u32 s2, s16, s2
	s_addc_u32 s3, s17, 0
	s_add_u32 s16, s18, -1
	s_addc_u32 s17, s19, -1
	v_mov_b64_e32 v[2:3], s[16:17]
	v_cmp_ge_u64_e64 s[0:1], s[2:3], v[2:3]
	s_and_b64 vcc, exec, s[0:1]
                                        ; implicit-def: $vgpr1
	s_cbranch_vccz .LBB660_4
; %bb.1:
	s_lshl_b32 s5, s16, 7
	s_sub_i32 s5, s10, s5
	v_cmp_gt_u32_e32 vcc, s5, v0
                                        ; implicit-def: $vgpr2_vgpr3
	s_and_saveexec_b64 s[20:21], vcc
	s_cbranch_execz .LBB660_3
; %bb.2:
	s_mov_b32 s5, 0
	s_lshl_b64 s[24:25], s[4:5], 3
	s_add_u32 s24, s22, s24
	s_addc_u32 s25, s23, s25
	v_lshlrev_b32_e32 v1, 3, v0
	global_load_dwordx2 v[2:3], v1, s[24:25]
.LBB660_3:
	s_or_b64 exec, exec, s[20:21]
	v_lshlrev_b32_e32 v1, 3, v0
	s_mov_b64 s[20:21], 0
	s_waitcnt vmcnt(0)
	ds_write_b64 v1, v[2:3]
	s_waitcnt lgkmcnt(0)
	s_barrier
.LBB660_4:
	s_and_b64 vcc, exec, s[20:21]
	s_cbranch_vccz .LBB660_6
; %bb.5:
	s_mov_b32 s5, 0
	s_lshl_b64 s[20:21], s[4:5], 3
	s_add_u32 s20, s22, s20
	s_addc_u32 s21, s23, s21
	v_lshlrev_b32_e32 v1, 3, v0
	global_load_dwordx2 v[2:3], v1, s[20:21]
	s_waitcnt vmcnt(0)
	ds_write_b64 v1, v[2:3]
	s_waitcnt lgkmcnt(0)
	s_barrier
.LBB660_6:
	ds_read_b64 v[2:3], v1
	s_cmp_eq_u64 s[2:3], 0
	s_waitcnt lgkmcnt(0)
	s_barrier
	s_cbranch_scc1 .LBB660_15
; %bb.7:
	s_mov_b32 s5, 0
	s_lshl_b64 s[20:21], s[4:5], 3
	s_add_u32 s5, s22, s20
	s_addc_u32 s11, s23, s21
	s_add_u32 s20, s5, -8
	s_addc_u32 s21, s11, -1
	s_load_dwordx2 s[20:21], s[20:21], 0x0
	s_cmp_eq_u64 s[2:3], s[16:17]
	s_cbranch_scc1 .LBB660_16
; %bb.8:
	v_lshlrev_b32_e32 v1, 3, v0
	v_cmp_ne_u32_e32 vcc, 0, v0
	s_waitcnt lgkmcnt(0)
	v_mov_b64_e32 v[6:7], s[20:21]
	ds_write_b64 v1, v[2:3]
	s_waitcnt lgkmcnt(0)
	s_barrier
	s_and_saveexec_b64 s[22:23], vcc
; %bb.9:
	v_add_u32_e32 v1, -8, v1
	ds_read_b64 v[6:7], v1
; %bb.10:
	s_or_b64 exec, exec, s[22:23]
	v_cmp_lt_i64_e64 s[22:23], s[12:13], 1
	s_and_b64 vcc, exec, s[22:23]
	s_cbranch_vccnz .LBB660_18
; %bb.11:
	v_mul_lo_u32 v1, v3, s12
	v_mul_lo_u32 v8, v2, s13
	v_mad_u64_u32 v[4:5], s[22:23], v2, s12, 0
	v_add3_u32 v5, v5, v8, v1
	s_waitcnt lgkmcnt(0)
	v_mul_lo_u32 v1, v7, s12
	v_mul_lo_u32 v8, v6, s13
	v_mad_u64_u32 v[6:7], s[22:23], v6, s12, 0
	v_add3_u32 v7, v7, v8, v1
	v_lshl_add_u64 v[4:5], v[4:5], 1, s[14:15]
	v_lshl_add_u64 v[6:7], v[6:7], 1, s[14:15]
	s_mov_b64 s[22:23], 0
	s_mov_b64 s[24:25], s[12:13]
                                        ; implicit-def: $sgpr26_sgpr27
	s_branch .LBB660_13
.LBB660_12:                             ;   in Loop: Header=BB660_13 Depth=1
	s_or_b64 exec, exec, s[28:29]
	s_and_b64 s[28:29], exec, s[26:27]
	s_or_b64 s[22:23], s[28:29], s[22:23]
	s_andn2_b64 exec, exec, s[22:23]
	s_cbranch_execz .LBB660_17
.LBB660_13:                             ; =>This Inner Loop Header: Depth=1
	global_load_ushort v1, v[4:5], off
	global_load_ushort v10, v[6:7], off
	v_mov_b64_e32 v[8:9], 1
	s_or_b64 s[26:27], s[26:27], exec
	s_waitcnt vmcnt(0)
	v_cmp_eq_u16_e32 vcc, v1, v10
	s_and_saveexec_b64 s[28:29], vcc
	s_cbranch_execz .LBB660_12
; %bb.14:                               ;   in Loop: Header=BB660_13 Depth=1
	s_add_u32 s24, s24, -1
	s_addc_u32 s25, s25, -1
	s_cmp_eq_u64 s[24:25], 0
	s_cselect_b64 s[30:31], -1, 0
	s_andn2_b64 s[26:27], s[26:27], exec
	s_and_b64 s[30:31], s[30:31], exec
	v_lshl_add_u64 v[4:5], v[4:5], 0, 2
	v_lshl_add_u64 v[6:7], v[6:7], 0, 2
	v_mov_b64_e32 v[8:9], 0
	s_or_b64 s[26:27], s[26:27], s[30:31]
	s_branch .LBB660_12
.LBB660_15:
                                        ; implicit-def: $vgpr8_vgpr9
	s_branch .LBB660_31
.LBB660_16:
                                        ; implicit-def: $vgpr8_vgpr9
	s_cbranch_execnz .LBB660_19
	s_branch .LBB660_30
.LBB660_17:
	s_or_b64 exec, exec, s[22:23]
	s_branch .LBB660_30
.LBB660_18:
	v_mov_b64_e32 v[8:9], 0
	s_branch .LBB660_30
.LBB660_19:
	v_lshlrev_b32_e32 v1, 3, v0
	v_cmp_ne_u32_e32 vcc, 0, v0
	s_waitcnt lgkmcnt(0)
	v_mov_b64_e32 v[6:7], s[20:21]
	ds_write_b64 v1, v[2:3]
	s_waitcnt lgkmcnt(0)
	s_barrier
	s_and_saveexec_b64 s[20:21], vcc
; %bb.20:
	v_add_u32_e32 v1, -8, v1
	ds_read_b64 v[6:7], v1
; %bb.21:
	s_or_b64 exec, exec, s[20:21]
	s_lshl_b32 s2, s2, 7
	s_sub_i32 s2, s10, s2
	v_cmp_gt_u32_e32 vcc, s2, v0
	v_mov_b64_e32 v[8:9], v[2:3]
	s_and_saveexec_b64 s[2:3], vcc
	s_cbranch_execz .LBB660_29
; %bb.22:
	v_cmp_lt_i64_e64 s[20:21], s[12:13], 1
	s_and_b64 vcc, exec, s[20:21]
	s_cbranch_vccnz .LBB660_28
; %bb.23:
	v_mul_lo_u32 v1, v3, s12
	v_mul_lo_u32 v8, v2, s13
	v_mad_u64_u32 v[4:5], s[20:21], v2, s12, 0
	v_add3_u32 v5, v5, v8, v1
	s_waitcnt lgkmcnt(0)
	v_mul_lo_u32 v1, v7, s12
	v_mul_lo_u32 v8, v6, s13
	v_mad_u64_u32 v[6:7], s[20:21], v6, s12, 0
	v_add3_u32 v7, v7, v8, v1
	v_lshl_add_u64 v[4:5], v[4:5], 1, s[14:15]
	v_lshl_add_u64 v[6:7], v[6:7], 1, s[14:15]
	s_mov_b64 s[20:21], 0
	s_mov_b64 s[22:23], s[12:13]
                                        ; implicit-def: $sgpr24_sgpr25
	s_branch .LBB660_25
.LBB660_24:                             ;   in Loop: Header=BB660_25 Depth=1
	s_or_b64 exec, exec, s[26:27]
	s_and_b64 s[26:27], exec, s[24:25]
	s_or_b64 s[20:21], s[26:27], s[20:21]
	s_andn2_b64 exec, exec, s[20:21]
	s_cbranch_execz .LBB660_27
.LBB660_25:                             ; =>This Inner Loop Header: Depth=1
	global_load_ushort v1, v[4:5], off
	global_load_ushort v10, v[6:7], off
	v_mov_b64_e32 v[8:9], 1
	s_or_b64 s[24:25], s[24:25], exec
	s_waitcnt vmcnt(0)
	v_cmp_eq_u16_e32 vcc, v1, v10
	s_and_saveexec_b64 s[26:27], vcc
	s_cbranch_execz .LBB660_24
; %bb.26:                               ;   in Loop: Header=BB660_25 Depth=1
	s_add_u32 s22, s22, -1
	s_addc_u32 s23, s23, -1
	s_cmp_eq_u64 s[22:23], 0
	s_cselect_b64 s[28:29], -1, 0
	s_andn2_b64 s[24:25], s[24:25], exec
	s_and_b64 s[28:29], s[28:29], exec
	v_lshl_add_u64 v[4:5], v[4:5], 0, 2
	v_lshl_add_u64 v[6:7], v[6:7], 0, 2
	v_mov_b64_e32 v[8:9], 0
	s_or_b64 s[24:25], s[24:25], s[28:29]
	s_branch .LBB660_24
.LBB660_27:
	s_or_b64 exec, exec, s[20:21]
	s_branch .LBB660_29
.LBB660_28:
	v_mov_b64_e32 v[8:9], 0
.LBB660_29:
	s_or_b64 exec, exec, s[2:3]
.LBB660_30:
	s_cbranch_execnz .LBB660_51
.LBB660_31:
	s_cmp_eq_u64 s[18:19], 1
	v_cmp_ne_u32_e32 vcc, 0, v0
	s_cbranch_scc1 .LBB660_38
; %bb.32:
	v_lshlrev_b32_e32 v1, 3, v0
	v_mov_b64_e32 v[8:9], v[2:3]
	ds_write_b64 v1, v[2:3]
	s_waitcnt lgkmcnt(0)
	s_barrier
	s_and_saveexec_b64 s[2:3], vcc
	s_cbranch_execz .LBB660_41
; %bb.33:
	v_cmp_lt_i64_e64 s[18:19], s[12:13], 1
	s_and_b64 vcc, exec, s[18:19]
	s_cbranch_vccnz .LBB660_40
; %bb.34:
	v_add_u32_e32 v1, -8, v1
	ds_read_b64 v[6:7], v1
	v_mul_lo_u32 v1, v3, s12
	v_mul_lo_u32 v8, v2, s13
	v_mad_u64_u32 v[4:5], s[18:19], v2, s12, 0
	v_add3_u32 v5, v5, v8, v1
	s_waitcnt lgkmcnt(0)
	v_mul_lo_u32 v1, s13, v6
	v_mul_lo_u32 v8, s12, v7
	v_mad_u64_u32 v[6:7], s[18:19], s12, v6, 0
	v_add3_u32 v7, v7, v8, v1
	v_lshl_add_u64 v[4:5], v[4:5], 1, s[14:15]
	v_lshl_add_u64 v[6:7], v[6:7], 1, s[14:15]
	s_mov_b64 s[18:19], 0
	s_mov_b64 s[20:21], s[12:13]
                                        ; implicit-def: $sgpr22_sgpr23
	s_branch .LBB660_36
.LBB660_35:                             ;   in Loop: Header=BB660_36 Depth=1
	s_or_b64 exec, exec, s[24:25]
	s_and_b64 s[24:25], exec, s[22:23]
	s_or_b64 s[18:19], s[24:25], s[18:19]
	s_andn2_b64 exec, exec, s[18:19]
	s_cbranch_execz .LBB660_39
.LBB660_36:                             ; =>This Inner Loop Header: Depth=1
	global_load_ushort v1, v[4:5], off
	global_load_ushort v10, v[6:7], off
	v_mov_b64_e32 v[8:9], 1
	s_or_b64 s[22:23], s[22:23], exec
	s_waitcnt vmcnt(0)
	v_cmp_eq_u16_e32 vcc, v1, v10
	s_and_saveexec_b64 s[24:25], vcc
	s_cbranch_execz .LBB660_35
; %bb.37:                               ;   in Loop: Header=BB660_36 Depth=1
	s_add_u32 s20, s20, -1
	s_addc_u32 s21, s21, -1
	s_cmp_eq_u64 s[20:21], 0
	s_cselect_b64 s[26:27], -1, 0
	s_andn2_b64 s[22:23], s[22:23], exec
	s_and_b64 s[26:27], s[26:27], exec
	v_lshl_add_u64 v[4:5], v[4:5], 0, 2
	v_lshl_add_u64 v[6:7], v[6:7], 0, 2
	v_mov_b64_e32 v[8:9], 0
	s_or_b64 s[22:23], s[22:23], s[26:27]
	s_branch .LBB660_35
.LBB660_38:
                                        ; implicit-def: $vgpr8_vgpr9
	s_branch .LBB660_42
.LBB660_39:
	s_or_b64 exec, exec, s[18:19]
	s_branch .LBB660_41
.LBB660_40:
	v_mov_b64_e32 v[8:9], 0
.LBB660_41:
	s_or_b64 exec, exec, s[2:3]
	s_cbranch_execnz .LBB660_51
.LBB660_42:
	v_cmp_ne_u32_e32 vcc, 0, v0
	v_cmp_gt_u32_e64 s[2:3], s10, v0
	v_lshlrev_b32_e32 v1, 3, v0
	s_and_b64 s[18:19], vcc, s[2:3]
	ds_write_b64 v1, v[2:3]
	s_waitcnt lgkmcnt(0)
	s_barrier
	s_and_saveexec_b64 s[2:3], s[18:19]
	s_cbranch_execz .LBB660_50
; %bb.43:
	v_cmp_lt_i64_e64 s[18:19], s[12:13], 1
	s_and_b64 vcc, exec, s[18:19]
	s_cbranch_vccnz .LBB660_49
; %bb.44:
	v_add_u32_e32 v1, -8, v1
	ds_read_b64 v[6:7], v1
	v_mul_lo_u32 v1, v3, s12
	v_mul_lo_u32 v4, v2, s13
	v_mad_u64_u32 v[2:3], s[18:19], v2, s12, 0
	v_add3_u32 v3, v3, v4, v1
	v_lshl_add_u64 v[4:5], v[2:3], 1, s[14:15]
	s_waitcnt lgkmcnt(0)
	v_mul_lo_u32 v1, s13, v6
	v_mul_lo_u32 v7, s12, v7
	v_mad_u64_u32 v[2:3], s[18:19], s12, v6, 0
	v_add3_u32 v3, v3, v7, v1
	v_lshl_add_u64 v[6:7], v[2:3], 1, s[14:15]
	s_mov_b64 s[14:15], 0
                                        ; implicit-def: $sgpr18_sgpr19
	s_branch .LBB660_46
.LBB660_45:                             ;   in Loop: Header=BB660_46 Depth=1
	s_or_b64 exec, exec, s[20:21]
	s_and_b64 s[20:21], exec, s[18:19]
	s_or_b64 s[14:15], s[20:21], s[14:15]
	s_andn2_b64 exec, exec, s[14:15]
	s_cbranch_execz .LBB660_48
.LBB660_46:                             ; =>This Inner Loop Header: Depth=1
	global_load_ushort v1, v[4:5], off
	global_load_ushort v8, v[6:7], off
	v_mov_b64_e32 v[2:3], 1
	s_or_b64 s[18:19], s[18:19], exec
	s_waitcnt vmcnt(0)
	v_cmp_eq_u16_e32 vcc, v1, v8
	s_and_saveexec_b64 s[20:21], vcc
	s_cbranch_execz .LBB660_45
; %bb.47:                               ;   in Loop: Header=BB660_46 Depth=1
	s_add_u32 s12, s12, -1
	s_addc_u32 s13, s13, -1
	s_cmp_eq_u64 s[12:13], 0
	s_cselect_b64 s[22:23], -1, 0
	s_andn2_b64 s[18:19], s[18:19], exec
	s_and_b64 s[22:23], s[22:23], exec
	v_lshl_add_u64 v[4:5], v[4:5], 0, 2
	v_lshl_add_u64 v[6:7], v[6:7], 0, 2
	v_mov_b64_e32 v[2:3], 0
	s_or_b64 s[18:19], s[18:19], s[22:23]
	s_branch .LBB660_45
.LBB660_48:
	s_or_b64 exec, exec, s[14:15]
	s_branch .LBB660_50
.LBB660_49:
	v_mov_b64_e32 v[2:3], 0
.LBB660_50:
	s_or_b64 exec, exec, s[2:3]
	v_mov_b64_e32 v[8:9], v[2:3]
.LBB660_51:
	s_add_u32 s6, s8, s6
	s_addc_u32 s7, s9, s7
	s_mov_b64 s[2:3], -1
	s_and_b64 vcc, exec, s[0:1]
	s_waitcnt lgkmcnt(0)
	s_barrier
	s_cbranch_vccnz .LBB660_54
; %bb.52:
	s_andn2_b64 vcc, exec, s[2:3]
	s_cbranch_vccz .LBB660_57
.LBB660_53:
	s_endpgm
.LBB660_54:
	s_lshl_b32 s0, s16, 7
	s_sub_i32 s0, s10, s0
	v_lshlrev_b32_e32 v1, 3, v0
	v_cmp_gt_u32_e32 vcc, s0, v0
	ds_write_b64 v1, v[8:9]
	s_waitcnt lgkmcnt(0)
	s_barrier
	s_and_saveexec_b64 s[0:1], vcc
	s_cbranch_execz .LBB660_56
; %bb.55:
	ds_read_b64 v[2:3], v1
	s_mov_b32 s5, 0
	s_lshl_b64 s[2:3], s[4:5], 3
	s_add_u32 s2, s6, s2
	s_addc_u32 s3, s7, s3
	s_waitcnt lgkmcnt(0)
	global_store_dwordx2 v1, v[2:3], s[2:3]
.LBB660_56:
	s_or_b64 exec, exec, s[0:1]
	s_cbranch_execnz .LBB660_53
.LBB660_57:
	v_lshlrev_b32_e32 v2, 3, v0
	ds_write_b64 v2, v[8:9]
	s_waitcnt lgkmcnt(0)
	s_barrier
	ds_read_b64 v[0:1], v2
	s_mov_b32 s5, 0
	s_lshl_b64 s[0:1], s[4:5], 3
	s_add_u32 s0, s6, s0
	s_addc_u32 s1, s7, s1
	s_waitcnt lgkmcnt(0)
	global_store_dwordx2 v2, v[0:1], s[0:1]
	s_endpgm
	.section	.rodata,"a",@progbits
	.p2align	6, 0x0
	.amdhsa_kernel _ZN7rocprim17ROCPRIM_400000_NS6detail17trampoline_kernelINS0_14default_configENS1_35adjacent_difference_config_selectorILb0ElEEZNS1_24adjacent_difference_implIS3_Lb0ELb0EPlS7_ZN2at6native12_GLOBAL__N_124unique_dim_cuda_templateIsEESt5tupleIJNS8_6TensorESD_SD_EERKSD_lbbbEUlllE1_EE10hipError_tPvRmT2_T3_mT4_P12ihipStream_tbEUlT_E_NS1_11comp_targetILNS1_3genE0ELNS1_11target_archE4294967295ELNS1_3gpuE0ELNS1_3repE0EEENS1_30default_config_static_selectorELNS0_4arch9wavefront6targetE1EEEvT1_
		.amdhsa_group_segment_fixed_size 2048
		.amdhsa_private_segment_fixed_size 0
		.amdhsa_kernarg_size 64
		.amdhsa_user_sgpr_count 2
		.amdhsa_user_sgpr_dispatch_ptr 0
		.amdhsa_user_sgpr_queue_ptr 0
		.amdhsa_user_sgpr_kernarg_segment_ptr 1
		.amdhsa_user_sgpr_dispatch_id 0
		.amdhsa_user_sgpr_kernarg_preload_length 0
		.amdhsa_user_sgpr_kernarg_preload_offset 0
		.amdhsa_user_sgpr_private_segment_size 0
		.amdhsa_uses_dynamic_stack 0
		.amdhsa_enable_private_segment 0
		.amdhsa_system_sgpr_workgroup_id_x 1
		.amdhsa_system_sgpr_workgroup_id_y 0
		.amdhsa_system_sgpr_workgroup_id_z 0
		.amdhsa_system_sgpr_workgroup_info 0
		.amdhsa_system_vgpr_workitem_id 0
		.amdhsa_next_free_vgpr 11
		.amdhsa_next_free_sgpr 32
		.amdhsa_accum_offset 12
		.amdhsa_reserve_vcc 1
		.amdhsa_float_round_mode_32 0
		.amdhsa_float_round_mode_16_64 0
		.amdhsa_float_denorm_mode_32 3
		.amdhsa_float_denorm_mode_16_64 3
		.amdhsa_dx10_clamp 1
		.amdhsa_ieee_mode 1
		.amdhsa_fp16_overflow 0
		.amdhsa_tg_split 0
		.amdhsa_exception_fp_ieee_invalid_op 0
		.amdhsa_exception_fp_denorm_src 0
		.amdhsa_exception_fp_ieee_div_zero 0
		.amdhsa_exception_fp_ieee_overflow 0
		.amdhsa_exception_fp_ieee_underflow 0
		.amdhsa_exception_fp_ieee_inexact 0
		.amdhsa_exception_int_div_zero 0
	.end_amdhsa_kernel
	.section	.text._ZN7rocprim17ROCPRIM_400000_NS6detail17trampoline_kernelINS0_14default_configENS1_35adjacent_difference_config_selectorILb0ElEEZNS1_24adjacent_difference_implIS3_Lb0ELb0EPlS7_ZN2at6native12_GLOBAL__N_124unique_dim_cuda_templateIsEESt5tupleIJNS8_6TensorESD_SD_EERKSD_lbbbEUlllE1_EE10hipError_tPvRmT2_T3_mT4_P12ihipStream_tbEUlT_E_NS1_11comp_targetILNS1_3genE0ELNS1_11target_archE4294967295ELNS1_3gpuE0ELNS1_3repE0EEENS1_30default_config_static_selectorELNS0_4arch9wavefront6targetE1EEEvT1_,"axG",@progbits,_ZN7rocprim17ROCPRIM_400000_NS6detail17trampoline_kernelINS0_14default_configENS1_35adjacent_difference_config_selectorILb0ElEEZNS1_24adjacent_difference_implIS3_Lb0ELb0EPlS7_ZN2at6native12_GLOBAL__N_124unique_dim_cuda_templateIsEESt5tupleIJNS8_6TensorESD_SD_EERKSD_lbbbEUlllE1_EE10hipError_tPvRmT2_T3_mT4_P12ihipStream_tbEUlT_E_NS1_11comp_targetILNS1_3genE0ELNS1_11target_archE4294967295ELNS1_3gpuE0ELNS1_3repE0EEENS1_30default_config_static_selectorELNS0_4arch9wavefront6targetE1EEEvT1_,comdat
.Lfunc_end660:
	.size	_ZN7rocprim17ROCPRIM_400000_NS6detail17trampoline_kernelINS0_14default_configENS1_35adjacent_difference_config_selectorILb0ElEEZNS1_24adjacent_difference_implIS3_Lb0ELb0EPlS7_ZN2at6native12_GLOBAL__N_124unique_dim_cuda_templateIsEESt5tupleIJNS8_6TensorESD_SD_EERKSD_lbbbEUlllE1_EE10hipError_tPvRmT2_T3_mT4_P12ihipStream_tbEUlT_E_NS1_11comp_targetILNS1_3genE0ELNS1_11target_archE4294967295ELNS1_3gpuE0ELNS1_3repE0EEENS1_30default_config_static_selectorELNS0_4arch9wavefront6targetE1EEEvT1_, .Lfunc_end660-_ZN7rocprim17ROCPRIM_400000_NS6detail17trampoline_kernelINS0_14default_configENS1_35adjacent_difference_config_selectorILb0ElEEZNS1_24adjacent_difference_implIS3_Lb0ELb0EPlS7_ZN2at6native12_GLOBAL__N_124unique_dim_cuda_templateIsEESt5tupleIJNS8_6TensorESD_SD_EERKSD_lbbbEUlllE1_EE10hipError_tPvRmT2_T3_mT4_P12ihipStream_tbEUlT_E_NS1_11comp_targetILNS1_3genE0ELNS1_11target_archE4294967295ELNS1_3gpuE0ELNS1_3repE0EEENS1_30default_config_static_selectorELNS0_4arch9wavefront6targetE1EEEvT1_
                                        ; -- End function
	.set _ZN7rocprim17ROCPRIM_400000_NS6detail17trampoline_kernelINS0_14default_configENS1_35adjacent_difference_config_selectorILb0ElEEZNS1_24adjacent_difference_implIS3_Lb0ELb0EPlS7_ZN2at6native12_GLOBAL__N_124unique_dim_cuda_templateIsEESt5tupleIJNS8_6TensorESD_SD_EERKSD_lbbbEUlllE1_EE10hipError_tPvRmT2_T3_mT4_P12ihipStream_tbEUlT_E_NS1_11comp_targetILNS1_3genE0ELNS1_11target_archE4294967295ELNS1_3gpuE0ELNS1_3repE0EEENS1_30default_config_static_selectorELNS0_4arch9wavefront6targetE1EEEvT1_.num_vgpr, 11
	.set _ZN7rocprim17ROCPRIM_400000_NS6detail17trampoline_kernelINS0_14default_configENS1_35adjacent_difference_config_selectorILb0ElEEZNS1_24adjacent_difference_implIS3_Lb0ELb0EPlS7_ZN2at6native12_GLOBAL__N_124unique_dim_cuda_templateIsEESt5tupleIJNS8_6TensorESD_SD_EERKSD_lbbbEUlllE1_EE10hipError_tPvRmT2_T3_mT4_P12ihipStream_tbEUlT_E_NS1_11comp_targetILNS1_3genE0ELNS1_11target_archE4294967295ELNS1_3gpuE0ELNS1_3repE0EEENS1_30default_config_static_selectorELNS0_4arch9wavefront6targetE1EEEvT1_.num_agpr, 0
	.set _ZN7rocprim17ROCPRIM_400000_NS6detail17trampoline_kernelINS0_14default_configENS1_35adjacent_difference_config_selectorILb0ElEEZNS1_24adjacent_difference_implIS3_Lb0ELb0EPlS7_ZN2at6native12_GLOBAL__N_124unique_dim_cuda_templateIsEESt5tupleIJNS8_6TensorESD_SD_EERKSD_lbbbEUlllE1_EE10hipError_tPvRmT2_T3_mT4_P12ihipStream_tbEUlT_E_NS1_11comp_targetILNS1_3genE0ELNS1_11target_archE4294967295ELNS1_3gpuE0ELNS1_3repE0EEENS1_30default_config_static_selectorELNS0_4arch9wavefront6targetE1EEEvT1_.numbered_sgpr, 32
	.set _ZN7rocprim17ROCPRIM_400000_NS6detail17trampoline_kernelINS0_14default_configENS1_35adjacent_difference_config_selectorILb0ElEEZNS1_24adjacent_difference_implIS3_Lb0ELb0EPlS7_ZN2at6native12_GLOBAL__N_124unique_dim_cuda_templateIsEESt5tupleIJNS8_6TensorESD_SD_EERKSD_lbbbEUlllE1_EE10hipError_tPvRmT2_T3_mT4_P12ihipStream_tbEUlT_E_NS1_11comp_targetILNS1_3genE0ELNS1_11target_archE4294967295ELNS1_3gpuE0ELNS1_3repE0EEENS1_30default_config_static_selectorELNS0_4arch9wavefront6targetE1EEEvT1_.num_named_barrier, 0
	.set _ZN7rocprim17ROCPRIM_400000_NS6detail17trampoline_kernelINS0_14default_configENS1_35adjacent_difference_config_selectorILb0ElEEZNS1_24adjacent_difference_implIS3_Lb0ELb0EPlS7_ZN2at6native12_GLOBAL__N_124unique_dim_cuda_templateIsEESt5tupleIJNS8_6TensorESD_SD_EERKSD_lbbbEUlllE1_EE10hipError_tPvRmT2_T3_mT4_P12ihipStream_tbEUlT_E_NS1_11comp_targetILNS1_3genE0ELNS1_11target_archE4294967295ELNS1_3gpuE0ELNS1_3repE0EEENS1_30default_config_static_selectorELNS0_4arch9wavefront6targetE1EEEvT1_.private_seg_size, 0
	.set _ZN7rocprim17ROCPRIM_400000_NS6detail17trampoline_kernelINS0_14default_configENS1_35adjacent_difference_config_selectorILb0ElEEZNS1_24adjacent_difference_implIS3_Lb0ELb0EPlS7_ZN2at6native12_GLOBAL__N_124unique_dim_cuda_templateIsEESt5tupleIJNS8_6TensorESD_SD_EERKSD_lbbbEUlllE1_EE10hipError_tPvRmT2_T3_mT4_P12ihipStream_tbEUlT_E_NS1_11comp_targetILNS1_3genE0ELNS1_11target_archE4294967295ELNS1_3gpuE0ELNS1_3repE0EEENS1_30default_config_static_selectorELNS0_4arch9wavefront6targetE1EEEvT1_.uses_vcc, 1
	.set _ZN7rocprim17ROCPRIM_400000_NS6detail17trampoline_kernelINS0_14default_configENS1_35adjacent_difference_config_selectorILb0ElEEZNS1_24adjacent_difference_implIS3_Lb0ELb0EPlS7_ZN2at6native12_GLOBAL__N_124unique_dim_cuda_templateIsEESt5tupleIJNS8_6TensorESD_SD_EERKSD_lbbbEUlllE1_EE10hipError_tPvRmT2_T3_mT4_P12ihipStream_tbEUlT_E_NS1_11comp_targetILNS1_3genE0ELNS1_11target_archE4294967295ELNS1_3gpuE0ELNS1_3repE0EEENS1_30default_config_static_selectorELNS0_4arch9wavefront6targetE1EEEvT1_.uses_flat_scratch, 0
	.set _ZN7rocprim17ROCPRIM_400000_NS6detail17trampoline_kernelINS0_14default_configENS1_35adjacent_difference_config_selectorILb0ElEEZNS1_24adjacent_difference_implIS3_Lb0ELb0EPlS7_ZN2at6native12_GLOBAL__N_124unique_dim_cuda_templateIsEESt5tupleIJNS8_6TensorESD_SD_EERKSD_lbbbEUlllE1_EE10hipError_tPvRmT2_T3_mT4_P12ihipStream_tbEUlT_E_NS1_11comp_targetILNS1_3genE0ELNS1_11target_archE4294967295ELNS1_3gpuE0ELNS1_3repE0EEENS1_30default_config_static_selectorELNS0_4arch9wavefront6targetE1EEEvT1_.has_dyn_sized_stack, 0
	.set _ZN7rocprim17ROCPRIM_400000_NS6detail17trampoline_kernelINS0_14default_configENS1_35adjacent_difference_config_selectorILb0ElEEZNS1_24adjacent_difference_implIS3_Lb0ELb0EPlS7_ZN2at6native12_GLOBAL__N_124unique_dim_cuda_templateIsEESt5tupleIJNS8_6TensorESD_SD_EERKSD_lbbbEUlllE1_EE10hipError_tPvRmT2_T3_mT4_P12ihipStream_tbEUlT_E_NS1_11comp_targetILNS1_3genE0ELNS1_11target_archE4294967295ELNS1_3gpuE0ELNS1_3repE0EEENS1_30default_config_static_selectorELNS0_4arch9wavefront6targetE1EEEvT1_.has_recursion, 0
	.set _ZN7rocprim17ROCPRIM_400000_NS6detail17trampoline_kernelINS0_14default_configENS1_35adjacent_difference_config_selectorILb0ElEEZNS1_24adjacent_difference_implIS3_Lb0ELb0EPlS7_ZN2at6native12_GLOBAL__N_124unique_dim_cuda_templateIsEESt5tupleIJNS8_6TensorESD_SD_EERKSD_lbbbEUlllE1_EE10hipError_tPvRmT2_T3_mT4_P12ihipStream_tbEUlT_E_NS1_11comp_targetILNS1_3genE0ELNS1_11target_archE4294967295ELNS1_3gpuE0ELNS1_3repE0EEENS1_30default_config_static_selectorELNS0_4arch9wavefront6targetE1EEEvT1_.has_indirect_call, 0
	.section	.AMDGPU.csdata,"",@progbits
; Kernel info:
; codeLenInByte = 1740
; TotalNumSgprs: 38
; NumVgprs: 11
; NumAgprs: 0
; TotalNumVgprs: 11
; ScratchSize: 0
; MemoryBound: 0
; FloatMode: 240
; IeeeMode: 1
; LDSByteSize: 2048 bytes/workgroup (compile time only)
; SGPRBlocks: 4
; VGPRBlocks: 1
; NumSGPRsForWavesPerEU: 38
; NumVGPRsForWavesPerEU: 11
; AccumOffset: 12
; Occupancy: 8
; WaveLimiterHint : 0
; COMPUTE_PGM_RSRC2:SCRATCH_EN: 0
; COMPUTE_PGM_RSRC2:USER_SGPR: 2
; COMPUTE_PGM_RSRC2:TRAP_HANDLER: 0
; COMPUTE_PGM_RSRC2:TGID_X_EN: 1
; COMPUTE_PGM_RSRC2:TGID_Y_EN: 0
; COMPUTE_PGM_RSRC2:TGID_Z_EN: 0
; COMPUTE_PGM_RSRC2:TIDIG_COMP_CNT: 0
; COMPUTE_PGM_RSRC3_GFX90A:ACCUM_OFFSET: 2
; COMPUTE_PGM_RSRC3_GFX90A:TG_SPLIT: 0
	.section	.text._ZN7rocprim17ROCPRIM_400000_NS6detail17trampoline_kernelINS0_14default_configENS1_35adjacent_difference_config_selectorILb0ElEEZNS1_24adjacent_difference_implIS3_Lb0ELb0EPlS7_ZN2at6native12_GLOBAL__N_124unique_dim_cuda_templateIsEESt5tupleIJNS8_6TensorESD_SD_EERKSD_lbbbEUlllE1_EE10hipError_tPvRmT2_T3_mT4_P12ihipStream_tbEUlT_E_NS1_11comp_targetILNS1_3genE10ELNS1_11target_archE1201ELNS1_3gpuE5ELNS1_3repE0EEENS1_30default_config_static_selectorELNS0_4arch9wavefront6targetE1EEEvT1_,"axG",@progbits,_ZN7rocprim17ROCPRIM_400000_NS6detail17trampoline_kernelINS0_14default_configENS1_35adjacent_difference_config_selectorILb0ElEEZNS1_24adjacent_difference_implIS3_Lb0ELb0EPlS7_ZN2at6native12_GLOBAL__N_124unique_dim_cuda_templateIsEESt5tupleIJNS8_6TensorESD_SD_EERKSD_lbbbEUlllE1_EE10hipError_tPvRmT2_T3_mT4_P12ihipStream_tbEUlT_E_NS1_11comp_targetILNS1_3genE10ELNS1_11target_archE1201ELNS1_3gpuE5ELNS1_3repE0EEENS1_30default_config_static_selectorELNS0_4arch9wavefront6targetE1EEEvT1_,comdat
	.globl	_ZN7rocprim17ROCPRIM_400000_NS6detail17trampoline_kernelINS0_14default_configENS1_35adjacent_difference_config_selectorILb0ElEEZNS1_24adjacent_difference_implIS3_Lb0ELb0EPlS7_ZN2at6native12_GLOBAL__N_124unique_dim_cuda_templateIsEESt5tupleIJNS8_6TensorESD_SD_EERKSD_lbbbEUlllE1_EE10hipError_tPvRmT2_T3_mT4_P12ihipStream_tbEUlT_E_NS1_11comp_targetILNS1_3genE10ELNS1_11target_archE1201ELNS1_3gpuE5ELNS1_3repE0EEENS1_30default_config_static_selectorELNS0_4arch9wavefront6targetE1EEEvT1_ ; -- Begin function _ZN7rocprim17ROCPRIM_400000_NS6detail17trampoline_kernelINS0_14default_configENS1_35adjacent_difference_config_selectorILb0ElEEZNS1_24adjacent_difference_implIS3_Lb0ELb0EPlS7_ZN2at6native12_GLOBAL__N_124unique_dim_cuda_templateIsEESt5tupleIJNS8_6TensorESD_SD_EERKSD_lbbbEUlllE1_EE10hipError_tPvRmT2_T3_mT4_P12ihipStream_tbEUlT_E_NS1_11comp_targetILNS1_3genE10ELNS1_11target_archE1201ELNS1_3gpuE5ELNS1_3repE0EEENS1_30default_config_static_selectorELNS0_4arch9wavefront6targetE1EEEvT1_
	.p2align	8
	.type	_ZN7rocprim17ROCPRIM_400000_NS6detail17trampoline_kernelINS0_14default_configENS1_35adjacent_difference_config_selectorILb0ElEEZNS1_24adjacent_difference_implIS3_Lb0ELb0EPlS7_ZN2at6native12_GLOBAL__N_124unique_dim_cuda_templateIsEESt5tupleIJNS8_6TensorESD_SD_EERKSD_lbbbEUlllE1_EE10hipError_tPvRmT2_T3_mT4_P12ihipStream_tbEUlT_E_NS1_11comp_targetILNS1_3genE10ELNS1_11target_archE1201ELNS1_3gpuE5ELNS1_3repE0EEENS1_30default_config_static_selectorELNS0_4arch9wavefront6targetE1EEEvT1_,@function
_ZN7rocprim17ROCPRIM_400000_NS6detail17trampoline_kernelINS0_14default_configENS1_35adjacent_difference_config_selectorILb0ElEEZNS1_24adjacent_difference_implIS3_Lb0ELb0EPlS7_ZN2at6native12_GLOBAL__N_124unique_dim_cuda_templateIsEESt5tupleIJNS8_6TensorESD_SD_EERKSD_lbbbEUlllE1_EE10hipError_tPvRmT2_T3_mT4_P12ihipStream_tbEUlT_E_NS1_11comp_targetILNS1_3genE10ELNS1_11target_archE1201ELNS1_3gpuE5ELNS1_3repE0EEENS1_30default_config_static_selectorELNS0_4arch9wavefront6targetE1EEEvT1_: ; @_ZN7rocprim17ROCPRIM_400000_NS6detail17trampoline_kernelINS0_14default_configENS1_35adjacent_difference_config_selectorILb0ElEEZNS1_24adjacent_difference_implIS3_Lb0ELb0EPlS7_ZN2at6native12_GLOBAL__N_124unique_dim_cuda_templateIsEESt5tupleIJNS8_6TensorESD_SD_EERKSD_lbbbEUlllE1_EE10hipError_tPvRmT2_T3_mT4_P12ihipStream_tbEUlT_E_NS1_11comp_targetILNS1_3genE10ELNS1_11target_archE1201ELNS1_3gpuE5ELNS1_3repE0EEENS1_30default_config_static_selectorELNS0_4arch9wavefront6targetE1EEEvT1_
; %bb.0:
	.section	.rodata,"a",@progbits
	.p2align	6, 0x0
	.amdhsa_kernel _ZN7rocprim17ROCPRIM_400000_NS6detail17trampoline_kernelINS0_14default_configENS1_35adjacent_difference_config_selectorILb0ElEEZNS1_24adjacent_difference_implIS3_Lb0ELb0EPlS7_ZN2at6native12_GLOBAL__N_124unique_dim_cuda_templateIsEESt5tupleIJNS8_6TensorESD_SD_EERKSD_lbbbEUlllE1_EE10hipError_tPvRmT2_T3_mT4_P12ihipStream_tbEUlT_E_NS1_11comp_targetILNS1_3genE10ELNS1_11target_archE1201ELNS1_3gpuE5ELNS1_3repE0EEENS1_30default_config_static_selectorELNS0_4arch9wavefront6targetE1EEEvT1_
		.amdhsa_group_segment_fixed_size 0
		.amdhsa_private_segment_fixed_size 0
		.amdhsa_kernarg_size 64
		.amdhsa_user_sgpr_count 2
		.amdhsa_user_sgpr_dispatch_ptr 0
		.amdhsa_user_sgpr_queue_ptr 0
		.amdhsa_user_sgpr_kernarg_segment_ptr 1
		.amdhsa_user_sgpr_dispatch_id 0
		.amdhsa_user_sgpr_kernarg_preload_length 0
		.amdhsa_user_sgpr_kernarg_preload_offset 0
		.amdhsa_user_sgpr_private_segment_size 0
		.amdhsa_uses_dynamic_stack 0
		.amdhsa_enable_private_segment 0
		.amdhsa_system_sgpr_workgroup_id_x 1
		.amdhsa_system_sgpr_workgroup_id_y 0
		.amdhsa_system_sgpr_workgroup_id_z 0
		.amdhsa_system_sgpr_workgroup_info 0
		.amdhsa_system_vgpr_workitem_id 0
		.amdhsa_next_free_vgpr 1
		.amdhsa_next_free_sgpr 0
		.amdhsa_accum_offset 4
		.amdhsa_reserve_vcc 0
		.amdhsa_float_round_mode_32 0
		.amdhsa_float_round_mode_16_64 0
		.amdhsa_float_denorm_mode_32 3
		.amdhsa_float_denorm_mode_16_64 3
		.amdhsa_dx10_clamp 1
		.amdhsa_ieee_mode 1
		.amdhsa_fp16_overflow 0
		.amdhsa_tg_split 0
		.amdhsa_exception_fp_ieee_invalid_op 0
		.amdhsa_exception_fp_denorm_src 0
		.amdhsa_exception_fp_ieee_div_zero 0
		.amdhsa_exception_fp_ieee_overflow 0
		.amdhsa_exception_fp_ieee_underflow 0
		.amdhsa_exception_fp_ieee_inexact 0
		.amdhsa_exception_int_div_zero 0
	.end_amdhsa_kernel
	.section	.text._ZN7rocprim17ROCPRIM_400000_NS6detail17trampoline_kernelINS0_14default_configENS1_35adjacent_difference_config_selectorILb0ElEEZNS1_24adjacent_difference_implIS3_Lb0ELb0EPlS7_ZN2at6native12_GLOBAL__N_124unique_dim_cuda_templateIsEESt5tupleIJNS8_6TensorESD_SD_EERKSD_lbbbEUlllE1_EE10hipError_tPvRmT2_T3_mT4_P12ihipStream_tbEUlT_E_NS1_11comp_targetILNS1_3genE10ELNS1_11target_archE1201ELNS1_3gpuE5ELNS1_3repE0EEENS1_30default_config_static_selectorELNS0_4arch9wavefront6targetE1EEEvT1_,"axG",@progbits,_ZN7rocprim17ROCPRIM_400000_NS6detail17trampoline_kernelINS0_14default_configENS1_35adjacent_difference_config_selectorILb0ElEEZNS1_24adjacent_difference_implIS3_Lb0ELb0EPlS7_ZN2at6native12_GLOBAL__N_124unique_dim_cuda_templateIsEESt5tupleIJNS8_6TensorESD_SD_EERKSD_lbbbEUlllE1_EE10hipError_tPvRmT2_T3_mT4_P12ihipStream_tbEUlT_E_NS1_11comp_targetILNS1_3genE10ELNS1_11target_archE1201ELNS1_3gpuE5ELNS1_3repE0EEENS1_30default_config_static_selectorELNS0_4arch9wavefront6targetE1EEEvT1_,comdat
.Lfunc_end661:
	.size	_ZN7rocprim17ROCPRIM_400000_NS6detail17trampoline_kernelINS0_14default_configENS1_35adjacent_difference_config_selectorILb0ElEEZNS1_24adjacent_difference_implIS3_Lb0ELb0EPlS7_ZN2at6native12_GLOBAL__N_124unique_dim_cuda_templateIsEESt5tupleIJNS8_6TensorESD_SD_EERKSD_lbbbEUlllE1_EE10hipError_tPvRmT2_T3_mT4_P12ihipStream_tbEUlT_E_NS1_11comp_targetILNS1_3genE10ELNS1_11target_archE1201ELNS1_3gpuE5ELNS1_3repE0EEENS1_30default_config_static_selectorELNS0_4arch9wavefront6targetE1EEEvT1_, .Lfunc_end661-_ZN7rocprim17ROCPRIM_400000_NS6detail17trampoline_kernelINS0_14default_configENS1_35adjacent_difference_config_selectorILb0ElEEZNS1_24adjacent_difference_implIS3_Lb0ELb0EPlS7_ZN2at6native12_GLOBAL__N_124unique_dim_cuda_templateIsEESt5tupleIJNS8_6TensorESD_SD_EERKSD_lbbbEUlllE1_EE10hipError_tPvRmT2_T3_mT4_P12ihipStream_tbEUlT_E_NS1_11comp_targetILNS1_3genE10ELNS1_11target_archE1201ELNS1_3gpuE5ELNS1_3repE0EEENS1_30default_config_static_selectorELNS0_4arch9wavefront6targetE1EEEvT1_
                                        ; -- End function
	.set _ZN7rocprim17ROCPRIM_400000_NS6detail17trampoline_kernelINS0_14default_configENS1_35adjacent_difference_config_selectorILb0ElEEZNS1_24adjacent_difference_implIS3_Lb0ELb0EPlS7_ZN2at6native12_GLOBAL__N_124unique_dim_cuda_templateIsEESt5tupleIJNS8_6TensorESD_SD_EERKSD_lbbbEUlllE1_EE10hipError_tPvRmT2_T3_mT4_P12ihipStream_tbEUlT_E_NS1_11comp_targetILNS1_3genE10ELNS1_11target_archE1201ELNS1_3gpuE5ELNS1_3repE0EEENS1_30default_config_static_selectorELNS0_4arch9wavefront6targetE1EEEvT1_.num_vgpr, 0
	.set _ZN7rocprim17ROCPRIM_400000_NS6detail17trampoline_kernelINS0_14default_configENS1_35adjacent_difference_config_selectorILb0ElEEZNS1_24adjacent_difference_implIS3_Lb0ELb0EPlS7_ZN2at6native12_GLOBAL__N_124unique_dim_cuda_templateIsEESt5tupleIJNS8_6TensorESD_SD_EERKSD_lbbbEUlllE1_EE10hipError_tPvRmT2_T3_mT4_P12ihipStream_tbEUlT_E_NS1_11comp_targetILNS1_3genE10ELNS1_11target_archE1201ELNS1_3gpuE5ELNS1_3repE0EEENS1_30default_config_static_selectorELNS0_4arch9wavefront6targetE1EEEvT1_.num_agpr, 0
	.set _ZN7rocprim17ROCPRIM_400000_NS6detail17trampoline_kernelINS0_14default_configENS1_35adjacent_difference_config_selectorILb0ElEEZNS1_24adjacent_difference_implIS3_Lb0ELb0EPlS7_ZN2at6native12_GLOBAL__N_124unique_dim_cuda_templateIsEESt5tupleIJNS8_6TensorESD_SD_EERKSD_lbbbEUlllE1_EE10hipError_tPvRmT2_T3_mT4_P12ihipStream_tbEUlT_E_NS1_11comp_targetILNS1_3genE10ELNS1_11target_archE1201ELNS1_3gpuE5ELNS1_3repE0EEENS1_30default_config_static_selectorELNS0_4arch9wavefront6targetE1EEEvT1_.numbered_sgpr, 0
	.set _ZN7rocprim17ROCPRIM_400000_NS6detail17trampoline_kernelINS0_14default_configENS1_35adjacent_difference_config_selectorILb0ElEEZNS1_24adjacent_difference_implIS3_Lb0ELb0EPlS7_ZN2at6native12_GLOBAL__N_124unique_dim_cuda_templateIsEESt5tupleIJNS8_6TensorESD_SD_EERKSD_lbbbEUlllE1_EE10hipError_tPvRmT2_T3_mT4_P12ihipStream_tbEUlT_E_NS1_11comp_targetILNS1_3genE10ELNS1_11target_archE1201ELNS1_3gpuE5ELNS1_3repE0EEENS1_30default_config_static_selectorELNS0_4arch9wavefront6targetE1EEEvT1_.num_named_barrier, 0
	.set _ZN7rocprim17ROCPRIM_400000_NS6detail17trampoline_kernelINS0_14default_configENS1_35adjacent_difference_config_selectorILb0ElEEZNS1_24adjacent_difference_implIS3_Lb0ELb0EPlS7_ZN2at6native12_GLOBAL__N_124unique_dim_cuda_templateIsEESt5tupleIJNS8_6TensorESD_SD_EERKSD_lbbbEUlllE1_EE10hipError_tPvRmT2_T3_mT4_P12ihipStream_tbEUlT_E_NS1_11comp_targetILNS1_3genE10ELNS1_11target_archE1201ELNS1_3gpuE5ELNS1_3repE0EEENS1_30default_config_static_selectorELNS0_4arch9wavefront6targetE1EEEvT1_.private_seg_size, 0
	.set _ZN7rocprim17ROCPRIM_400000_NS6detail17trampoline_kernelINS0_14default_configENS1_35adjacent_difference_config_selectorILb0ElEEZNS1_24adjacent_difference_implIS3_Lb0ELb0EPlS7_ZN2at6native12_GLOBAL__N_124unique_dim_cuda_templateIsEESt5tupleIJNS8_6TensorESD_SD_EERKSD_lbbbEUlllE1_EE10hipError_tPvRmT2_T3_mT4_P12ihipStream_tbEUlT_E_NS1_11comp_targetILNS1_3genE10ELNS1_11target_archE1201ELNS1_3gpuE5ELNS1_3repE0EEENS1_30default_config_static_selectorELNS0_4arch9wavefront6targetE1EEEvT1_.uses_vcc, 0
	.set _ZN7rocprim17ROCPRIM_400000_NS6detail17trampoline_kernelINS0_14default_configENS1_35adjacent_difference_config_selectorILb0ElEEZNS1_24adjacent_difference_implIS3_Lb0ELb0EPlS7_ZN2at6native12_GLOBAL__N_124unique_dim_cuda_templateIsEESt5tupleIJNS8_6TensorESD_SD_EERKSD_lbbbEUlllE1_EE10hipError_tPvRmT2_T3_mT4_P12ihipStream_tbEUlT_E_NS1_11comp_targetILNS1_3genE10ELNS1_11target_archE1201ELNS1_3gpuE5ELNS1_3repE0EEENS1_30default_config_static_selectorELNS0_4arch9wavefront6targetE1EEEvT1_.uses_flat_scratch, 0
	.set _ZN7rocprim17ROCPRIM_400000_NS6detail17trampoline_kernelINS0_14default_configENS1_35adjacent_difference_config_selectorILb0ElEEZNS1_24adjacent_difference_implIS3_Lb0ELb0EPlS7_ZN2at6native12_GLOBAL__N_124unique_dim_cuda_templateIsEESt5tupleIJNS8_6TensorESD_SD_EERKSD_lbbbEUlllE1_EE10hipError_tPvRmT2_T3_mT4_P12ihipStream_tbEUlT_E_NS1_11comp_targetILNS1_3genE10ELNS1_11target_archE1201ELNS1_3gpuE5ELNS1_3repE0EEENS1_30default_config_static_selectorELNS0_4arch9wavefront6targetE1EEEvT1_.has_dyn_sized_stack, 0
	.set _ZN7rocprim17ROCPRIM_400000_NS6detail17trampoline_kernelINS0_14default_configENS1_35adjacent_difference_config_selectorILb0ElEEZNS1_24adjacent_difference_implIS3_Lb0ELb0EPlS7_ZN2at6native12_GLOBAL__N_124unique_dim_cuda_templateIsEESt5tupleIJNS8_6TensorESD_SD_EERKSD_lbbbEUlllE1_EE10hipError_tPvRmT2_T3_mT4_P12ihipStream_tbEUlT_E_NS1_11comp_targetILNS1_3genE10ELNS1_11target_archE1201ELNS1_3gpuE5ELNS1_3repE0EEENS1_30default_config_static_selectorELNS0_4arch9wavefront6targetE1EEEvT1_.has_recursion, 0
	.set _ZN7rocprim17ROCPRIM_400000_NS6detail17trampoline_kernelINS0_14default_configENS1_35adjacent_difference_config_selectorILb0ElEEZNS1_24adjacent_difference_implIS3_Lb0ELb0EPlS7_ZN2at6native12_GLOBAL__N_124unique_dim_cuda_templateIsEESt5tupleIJNS8_6TensorESD_SD_EERKSD_lbbbEUlllE1_EE10hipError_tPvRmT2_T3_mT4_P12ihipStream_tbEUlT_E_NS1_11comp_targetILNS1_3genE10ELNS1_11target_archE1201ELNS1_3gpuE5ELNS1_3repE0EEENS1_30default_config_static_selectorELNS0_4arch9wavefront6targetE1EEEvT1_.has_indirect_call, 0
	.section	.AMDGPU.csdata,"",@progbits
; Kernel info:
; codeLenInByte = 0
; TotalNumSgprs: 6
; NumVgprs: 0
; NumAgprs: 0
; TotalNumVgprs: 0
; ScratchSize: 0
; MemoryBound: 0
; FloatMode: 240
; IeeeMode: 1
; LDSByteSize: 0 bytes/workgroup (compile time only)
; SGPRBlocks: 0
; VGPRBlocks: 0
; NumSGPRsForWavesPerEU: 6
; NumVGPRsForWavesPerEU: 1
; AccumOffset: 4
; Occupancy: 8
; WaveLimiterHint : 0
; COMPUTE_PGM_RSRC2:SCRATCH_EN: 0
; COMPUTE_PGM_RSRC2:USER_SGPR: 2
; COMPUTE_PGM_RSRC2:TRAP_HANDLER: 0
; COMPUTE_PGM_RSRC2:TGID_X_EN: 1
; COMPUTE_PGM_RSRC2:TGID_Y_EN: 0
; COMPUTE_PGM_RSRC2:TGID_Z_EN: 0
; COMPUTE_PGM_RSRC2:TIDIG_COMP_CNT: 0
; COMPUTE_PGM_RSRC3_GFX90A:ACCUM_OFFSET: 0
; COMPUTE_PGM_RSRC3_GFX90A:TG_SPLIT: 0
	.section	.text._ZN7rocprim17ROCPRIM_400000_NS6detail17trampoline_kernelINS0_14default_configENS1_35adjacent_difference_config_selectorILb0ElEEZNS1_24adjacent_difference_implIS3_Lb0ELb0EPlS7_ZN2at6native12_GLOBAL__N_124unique_dim_cuda_templateIsEESt5tupleIJNS8_6TensorESD_SD_EERKSD_lbbbEUlllE1_EE10hipError_tPvRmT2_T3_mT4_P12ihipStream_tbEUlT_E_NS1_11comp_targetILNS1_3genE5ELNS1_11target_archE942ELNS1_3gpuE9ELNS1_3repE0EEENS1_30default_config_static_selectorELNS0_4arch9wavefront6targetE1EEEvT1_,"axG",@progbits,_ZN7rocprim17ROCPRIM_400000_NS6detail17trampoline_kernelINS0_14default_configENS1_35adjacent_difference_config_selectorILb0ElEEZNS1_24adjacent_difference_implIS3_Lb0ELb0EPlS7_ZN2at6native12_GLOBAL__N_124unique_dim_cuda_templateIsEESt5tupleIJNS8_6TensorESD_SD_EERKSD_lbbbEUlllE1_EE10hipError_tPvRmT2_T3_mT4_P12ihipStream_tbEUlT_E_NS1_11comp_targetILNS1_3genE5ELNS1_11target_archE942ELNS1_3gpuE9ELNS1_3repE0EEENS1_30default_config_static_selectorELNS0_4arch9wavefront6targetE1EEEvT1_,comdat
	.globl	_ZN7rocprim17ROCPRIM_400000_NS6detail17trampoline_kernelINS0_14default_configENS1_35adjacent_difference_config_selectorILb0ElEEZNS1_24adjacent_difference_implIS3_Lb0ELb0EPlS7_ZN2at6native12_GLOBAL__N_124unique_dim_cuda_templateIsEESt5tupleIJNS8_6TensorESD_SD_EERKSD_lbbbEUlllE1_EE10hipError_tPvRmT2_T3_mT4_P12ihipStream_tbEUlT_E_NS1_11comp_targetILNS1_3genE5ELNS1_11target_archE942ELNS1_3gpuE9ELNS1_3repE0EEENS1_30default_config_static_selectorELNS0_4arch9wavefront6targetE1EEEvT1_ ; -- Begin function _ZN7rocprim17ROCPRIM_400000_NS6detail17trampoline_kernelINS0_14default_configENS1_35adjacent_difference_config_selectorILb0ElEEZNS1_24adjacent_difference_implIS3_Lb0ELb0EPlS7_ZN2at6native12_GLOBAL__N_124unique_dim_cuda_templateIsEESt5tupleIJNS8_6TensorESD_SD_EERKSD_lbbbEUlllE1_EE10hipError_tPvRmT2_T3_mT4_P12ihipStream_tbEUlT_E_NS1_11comp_targetILNS1_3genE5ELNS1_11target_archE942ELNS1_3gpuE9ELNS1_3repE0EEENS1_30default_config_static_selectorELNS0_4arch9wavefront6targetE1EEEvT1_
	.p2align	8
	.type	_ZN7rocprim17ROCPRIM_400000_NS6detail17trampoline_kernelINS0_14default_configENS1_35adjacent_difference_config_selectorILb0ElEEZNS1_24adjacent_difference_implIS3_Lb0ELb0EPlS7_ZN2at6native12_GLOBAL__N_124unique_dim_cuda_templateIsEESt5tupleIJNS8_6TensorESD_SD_EERKSD_lbbbEUlllE1_EE10hipError_tPvRmT2_T3_mT4_P12ihipStream_tbEUlT_E_NS1_11comp_targetILNS1_3genE5ELNS1_11target_archE942ELNS1_3gpuE9ELNS1_3repE0EEENS1_30default_config_static_selectorELNS0_4arch9wavefront6targetE1EEEvT1_,@function
_ZN7rocprim17ROCPRIM_400000_NS6detail17trampoline_kernelINS0_14default_configENS1_35adjacent_difference_config_selectorILb0ElEEZNS1_24adjacent_difference_implIS3_Lb0ELb0EPlS7_ZN2at6native12_GLOBAL__N_124unique_dim_cuda_templateIsEESt5tupleIJNS8_6TensorESD_SD_EERKSD_lbbbEUlllE1_EE10hipError_tPvRmT2_T3_mT4_P12ihipStream_tbEUlT_E_NS1_11comp_targetILNS1_3genE5ELNS1_11target_archE942ELNS1_3gpuE9ELNS1_3repE0EEENS1_30default_config_static_selectorELNS0_4arch9wavefront6targetE1EEEvT1_: ; @_ZN7rocprim17ROCPRIM_400000_NS6detail17trampoline_kernelINS0_14default_configENS1_35adjacent_difference_config_selectorILb0ElEEZNS1_24adjacent_difference_implIS3_Lb0ELb0EPlS7_ZN2at6native12_GLOBAL__N_124unique_dim_cuda_templateIsEESt5tupleIJNS8_6TensorESD_SD_EERKSD_lbbbEUlllE1_EE10hipError_tPvRmT2_T3_mT4_P12ihipStream_tbEUlT_E_NS1_11comp_targetILNS1_3genE5ELNS1_11target_archE942ELNS1_3gpuE9ELNS1_3repE0EEENS1_30default_config_static_selectorELNS0_4arch9wavefront6targetE1EEEvT1_
; %bb.0:
	.section	.rodata,"a",@progbits
	.p2align	6, 0x0
	.amdhsa_kernel _ZN7rocprim17ROCPRIM_400000_NS6detail17trampoline_kernelINS0_14default_configENS1_35adjacent_difference_config_selectorILb0ElEEZNS1_24adjacent_difference_implIS3_Lb0ELb0EPlS7_ZN2at6native12_GLOBAL__N_124unique_dim_cuda_templateIsEESt5tupleIJNS8_6TensorESD_SD_EERKSD_lbbbEUlllE1_EE10hipError_tPvRmT2_T3_mT4_P12ihipStream_tbEUlT_E_NS1_11comp_targetILNS1_3genE5ELNS1_11target_archE942ELNS1_3gpuE9ELNS1_3repE0EEENS1_30default_config_static_selectorELNS0_4arch9wavefront6targetE1EEEvT1_
		.amdhsa_group_segment_fixed_size 0
		.amdhsa_private_segment_fixed_size 0
		.amdhsa_kernarg_size 64
		.amdhsa_user_sgpr_count 2
		.amdhsa_user_sgpr_dispatch_ptr 0
		.amdhsa_user_sgpr_queue_ptr 0
		.amdhsa_user_sgpr_kernarg_segment_ptr 1
		.amdhsa_user_sgpr_dispatch_id 0
		.amdhsa_user_sgpr_kernarg_preload_length 0
		.amdhsa_user_sgpr_kernarg_preload_offset 0
		.amdhsa_user_sgpr_private_segment_size 0
		.amdhsa_uses_dynamic_stack 0
		.amdhsa_enable_private_segment 0
		.amdhsa_system_sgpr_workgroup_id_x 1
		.amdhsa_system_sgpr_workgroup_id_y 0
		.amdhsa_system_sgpr_workgroup_id_z 0
		.amdhsa_system_sgpr_workgroup_info 0
		.amdhsa_system_vgpr_workitem_id 0
		.amdhsa_next_free_vgpr 1
		.amdhsa_next_free_sgpr 0
		.amdhsa_accum_offset 4
		.amdhsa_reserve_vcc 0
		.amdhsa_float_round_mode_32 0
		.amdhsa_float_round_mode_16_64 0
		.amdhsa_float_denorm_mode_32 3
		.amdhsa_float_denorm_mode_16_64 3
		.amdhsa_dx10_clamp 1
		.amdhsa_ieee_mode 1
		.amdhsa_fp16_overflow 0
		.amdhsa_tg_split 0
		.amdhsa_exception_fp_ieee_invalid_op 0
		.amdhsa_exception_fp_denorm_src 0
		.amdhsa_exception_fp_ieee_div_zero 0
		.amdhsa_exception_fp_ieee_overflow 0
		.amdhsa_exception_fp_ieee_underflow 0
		.amdhsa_exception_fp_ieee_inexact 0
		.amdhsa_exception_int_div_zero 0
	.end_amdhsa_kernel
	.section	.text._ZN7rocprim17ROCPRIM_400000_NS6detail17trampoline_kernelINS0_14default_configENS1_35adjacent_difference_config_selectorILb0ElEEZNS1_24adjacent_difference_implIS3_Lb0ELb0EPlS7_ZN2at6native12_GLOBAL__N_124unique_dim_cuda_templateIsEESt5tupleIJNS8_6TensorESD_SD_EERKSD_lbbbEUlllE1_EE10hipError_tPvRmT2_T3_mT4_P12ihipStream_tbEUlT_E_NS1_11comp_targetILNS1_3genE5ELNS1_11target_archE942ELNS1_3gpuE9ELNS1_3repE0EEENS1_30default_config_static_selectorELNS0_4arch9wavefront6targetE1EEEvT1_,"axG",@progbits,_ZN7rocprim17ROCPRIM_400000_NS6detail17trampoline_kernelINS0_14default_configENS1_35adjacent_difference_config_selectorILb0ElEEZNS1_24adjacent_difference_implIS3_Lb0ELb0EPlS7_ZN2at6native12_GLOBAL__N_124unique_dim_cuda_templateIsEESt5tupleIJNS8_6TensorESD_SD_EERKSD_lbbbEUlllE1_EE10hipError_tPvRmT2_T3_mT4_P12ihipStream_tbEUlT_E_NS1_11comp_targetILNS1_3genE5ELNS1_11target_archE942ELNS1_3gpuE9ELNS1_3repE0EEENS1_30default_config_static_selectorELNS0_4arch9wavefront6targetE1EEEvT1_,comdat
.Lfunc_end662:
	.size	_ZN7rocprim17ROCPRIM_400000_NS6detail17trampoline_kernelINS0_14default_configENS1_35adjacent_difference_config_selectorILb0ElEEZNS1_24adjacent_difference_implIS3_Lb0ELb0EPlS7_ZN2at6native12_GLOBAL__N_124unique_dim_cuda_templateIsEESt5tupleIJNS8_6TensorESD_SD_EERKSD_lbbbEUlllE1_EE10hipError_tPvRmT2_T3_mT4_P12ihipStream_tbEUlT_E_NS1_11comp_targetILNS1_3genE5ELNS1_11target_archE942ELNS1_3gpuE9ELNS1_3repE0EEENS1_30default_config_static_selectorELNS0_4arch9wavefront6targetE1EEEvT1_, .Lfunc_end662-_ZN7rocprim17ROCPRIM_400000_NS6detail17trampoline_kernelINS0_14default_configENS1_35adjacent_difference_config_selectorILb0ElEEZNS1_24adjacent_difference_implIS3_Lb0ELb0EPlS7_ZN2at6native12_GLOBAL__N_124unique_dim_cuda_templateIsEESt5tupleIJNS8_6TensorESD_SD_EERKSD_lbbbEUlllE1_EE10hipError_tPvRmT2_T3_mT4_P12ihipStream_tbEUlT_E_NS1_11comp_targetILNS1_3genE5ELNS1_11target_archE942ELNS1_3gpuE9ELNS1_3repE0EEENS1_30default_config_static_selectorELNS0_4arch9wavefront6targetE1EEEvT1_
                                        ; -- End function
	.set _ZN7rocprim17ROCPRIM_400000_NS6detail17trampoline_kernelINS0_14default_configENS1_35adjacent_difference_config_selectorILb0ElEEZNS1_24adjacent_difference_implIS3_Lb0ELb0EPlS7_ZN2at6native12_GLOBAL__N_124unique_dim_cuda_templateIsEESt5tupleIJNS8_6TensorESD_SD_EERKSD_lbbbEUlllE1_EE10hipError_tPvRmT2_T3_mT4_P12ihipStream_tbEUlT_E_NS1_11comp_targetILNS1_3genE5ELNS1_11target_archE942ELNS1_3gpuE9ELNS1_3repE0EEENS1_30default_config_static_selectorELNS0_4arch9wavefront6targetE1EEEvT1_.num_vgpr, 0
	.set _ZN7rocprim17ROCPRIM_400000_NS6detail17trampoline_kernelINS0_14default_configENS1_35adjacent_difference_config_selectorILb0ElEEZNS1_24adjacent_difference_implIS3_Lb0ELb0EPlS7_ZN2at6native12_GLOBAL__N_124unique_dim_cuda_templateIsEESt5tupleIJNS8_6TensorESD_SD_EERKSD_lbbbEUlllE1_EE10hipError_tPvRmT2_T3_mT4_P12ihipStream_tbEUlT_E_NS1_11comp_targetILNS1_3genE5ELNS1_11target_archE942ELNS1_3gpuE9ELNS1_3repE0EEENS1_30default_config_static_selectorELNS0_4arch9wavefront6targetE1EEEvT1_.num_agpr, 0
	.set _ZN7rocprim17ROCPRIM_400000_NS6detail17trampoline_kernelINS0_14default_configENS1_35adjacent_difference_config_selectorILb0ElEEZNS1_24adjacent_difference_implIS3_Lb0ELb0EPlS7_ZN2at6native12_GLOBAL__N_124unique_dim_cuda_templateIsEESt5tupleIJNS8_6TensorESD_SD_EERKSD_lbbbEUlllE1_EE10hipError_tPvRmT2_T3_mT4_P12ihipStream_tbEUlT_E_NS1_11comp_targetILNS1_3genE5ELNS1_11target_archE942ELNS1_3gpuE9ELNS1_3repE0EEENS1_30default_config_static_selectorELNS0_4arch9wavefront6targetE1EEEvT1_.numbered_sgpr, 0
	.set _ZN7rocprim17ROCPRIM_400000_NS6detail17trampoline_kernelINS0_14default_configENS1_35adjacent_difference_config_selectorILb0ElEEZNS1_24adjacent_difference_implIS3_Lb0ELb0EPlS7_ZN2at6native12_GLOBAL__N_124unique_dim_cuda_templateIsEESt5tupleIJNS8_6TensorESD_SD_EERKSD_lbbbEUlllE1_EE10hipError_tPvRmT2_T3_mT4_P12ihipStream_tbEUlT_E_NS1_11comp_targetILNS1_3genE5ELNS1_11target_archE942ELNS1_3gpuE9ELNS1_3repE0EEENS1_30default_config_static_selectorELNS0_4arch9wavefront6targetE1EEEvT1_.num_named_barrier, 0
	.set _ZN7rocprim17ROCPRIM_400000_NS6detail17trampoline_kernelINS0_14default_configENS1_35adjacent_difference_config_selectorILb0ElEEZNS1_24adjacent_difference_implIS3_Lb0ELb0EPlS7_ZN2at6native12_GLOBAL__N_124unique_dim_cuda_templateIsEESt5tupleIJNS8_6TensorESD_SD_EERKSD_lbbbEUlllE1_EE10hipError_tPvRmT2_T3_mT4_P12ihipStream_tbEUlT_E_NS1_11comp_targetILNS1_3genE5ELNS1_11target_archE942ELNS1_3gpuE9ELNS1_3repE0EEENS1_30default_config_static_selectorELNS0_4arch9wavefront6targetE1EEEvT1_.private_seg_size, 0
	.set _ZN7rocprim17ROCPRIM_400000_NS6detail17trampoline_kernelINS0_14default_configENS1_35adjacent_difference_config_selectorILb0ElEEZNS1_24adjacent_difference_implIS3_Lb0ELb0EPlS7_ZN2at6native12_GLOBAL__N_124unique_dim_cuda_templateIsEESt5tupleIJNS8_6TensorESD_SD_EERKSD_lbbbEUlllE1_EE10hipError_tPvRmT2_T3_mT4_P12ihipStream_tbEUlT_E_NS1_11comp_targetILNS1_3genE5ELNS1_11target_archE942ELNS1_3gpuE9ELNS1_3repE0EEENS1_30default_config_static_selectorELNS0_4arch9wavefront6targetE1EEEvT1_.uses_vcc, 0
	.set _ZN7rocprim17ROCPRIM_400000_NS6detail17trampoline_kernelINS0_14default_configENS1_35adjacent_difference_config_selectorILb0ElEEZNS1_24adjacent_difference_implIS3_Lb0ELb0EPlS7_ZN2at6native12_GLOBAL__N_124unique_dim_cuda_templateIsEESt5tupleIJNS8_6TensorESD_SD_EERKSD_lbbbEUlllE1_EE10hipError_tPvRmT2_T3_mT4_P12ihipStream_tbEUlT_E_NS1_11comp_targetILNS1_3genE5ELNS1_11target_archE942ELNS1_3gpuE9ELNS1_3repE0EEENS1_30default_config_static_selectorELNS0_4arch9wavefront6targetE1EEEvT1_.uses_flat_scratch, 0
	.set _ZN7rocprim17ROCPRIM_400000_NS6detail17trampoline_kernelINS0_14default_configENS1_35adjacent_difference_config_selectorILb0ElEEZNS1_24adjacent_difference_implIS3_Lb0ELb0EPlS7_ZN2at6native12_GLOBAL__N_124unique_dim_cuda_templateIsEESt5tupleIJNS8_6TensorESD_SD_EERKSD_lbbbEUlllE1_EE10hipError_tPvRmT2_T3_mT4_P12ihipStream_tbEUlT_E_NS1_11comp_targetILNS1_3genE5ELNS1_11target_archE942ELNS1_3gpuE9ELNS1_3repE0EEENS1_30default_config_static_selectorELNS0_4arch9wavefront6targetE1EEEvT1_.has_dyn_sized_stack, 0
	.set _ZN7rocprim17ROCPRIM_400000_NS6detail17trampoline_kernelINS0_14default_configENS1_35adjacent_difference_config_selectorILb0ElEEZNS1_24adjacent_difference_implIS3_Lb0ELb0EPlS7_ZN2at6native12_GLOBAL__N_124unique_dim_cuda_templateIsEESt5tupleIJNS8_6TensorESD_SD_EERKSD_lbbbEUlllE1_EE10hipError_tPvRmT2_T3_mT4_P12ihipStream_tbEUlT_E_NS1_11comp_targetILNS1_3genE5ELNS1_11target_archE942ELNS1_3gpuE9ELNS1_3repE0EEENS1_30default_config_static_selectorELNS0_4arch9wavefront6targetE1EEEvT1_.has_recursion, 0
	.set _ZN7rocprim17ROCPRIM_400000_NS6detail17trampoline_kernelINS0_14default_configENS1_35adjacent_difference_config_selectorILb0ElEEZNS1_24adjacent_difference_implIS3_Lb0ELb0EPlS7_ZN2at6native12_GLOBAL__N_124unique_dim_cuda_templateIsEESt5tupleIJNS8_6TensorESD_SD_EERKSD_lbbbEUlllE1_EE10hipError_tPvRmT2_T3_mT4_P12ihipStream_tbEUlT_E_NS1_11comp_targetILNS1_3genE5ELNS1_11target_archE942ELNS1_3gpuE9ELNS1_3repE0EEENS1_30default_config_static_selectorELNS0_4arch9wavefront6targetE1EEEvT1_.has_indirect_call, 0
	.section	.AMDGPU.csdata,"",@progbits
; Kernel info:
; codeLenInByte = 0
; TotalNumSgprs: 6
; NumVgprs: 0
; NumAgprs: 0
; TotalNumVgprs: 0
; ScratchSize: 0
; MemoryBound: 0
; FloatMode: 240
; IeeeMode: 1
; LDSByteSize: 0 bytes/workgroup (compile time only)
; SGPRBlocks: 0
; VGPRBlocks: 0
; NumSGPRsForWavesPerEU: 6
; NumVGPRsForWavesPerEU: 1
; AccumOffset: 4
; Occupancy: 8
; WaveLimiterHint : 0
; COMPUTE_PGM_RSRC2:SCRATCH_EN: 0
; COMPUTE_PGM_RSRC2:USER_SGPR: 2
; COMPUTE_PGM_RSRC2:TRAP_HANDLER: 0
; COMPUTE_PGM_RSRC2:TGID_X_EN: 1
; COMPUTE_PGM_RSRC2:TGID_Y_EN: 0
; COMPUTE_PGM_RSRC2:TGID_Z_EN: 0
; COMPUTE_PGM_RSRC2:TIDIG_COMP_CNT: 0
; COMPUTE_PGM_RSRC3_GFX90A:ACCUM_OFFSET: 0
; COMPUTE_PGM_RSRC3_GFX90A:TG_SPLIT: 0
	.section	.text._ZN7rocprim17ROCPRIM_400000_NS6detail17trampoline_kernelINS0_14default_configENS1_35adjacent_difference_config_selectorILb0ElEEZNS1_24adjacent_difference_implIS3_Lb0ELb0EPlS7_ZN2at6native12_GLOBAL__N_124unique_dim_cuda_templateIsEESt5tupleIJNS8_6TensorESD_SD_EERKSD_lbbbEUlllE1_EE10hipError_tPvRmT2_T3_mT4_P12ihipStream_tbEUlT_E_NS1_11comp_targetILNS1_3genE4ELNS1_11target_archE910ELNS1_3gpuE8ELNS1_3repE0EEENS1_30default_config_static_selectorELNS0_4arch9wavefront6targetE1EEEvT1_,"axG",@progbits,_ZN7rocprim17ROCPRIM_400000_NS6detail17trampoline_kernelINS0_14default_configENS1_35adjacent_difference_config_selectorILb0ElEEZNS1_24adjacent_difference_implIS3_Lb0ELb0EPlS7_ZN2at6native12_GLOBAL__N_124unique_dim_cuda_templateIsEESt5tupleIJNS8_6TensorESD_SD_EERKSD_lbbbEUlllE1_EE10hipError_tPvRmT2_T3_mT4_P12ihipStream_tbEUlT_E_NS1_11comp_targetILNS1_3genE4ELNS1_11target_archE910ELNS1_3gpuE8ELNS1_3repE0EEENS1_30default_config_static_selectorELNS0_4arch9wavefront6targetE1EEEvT1_,comdat
	.globl	_ZN7rocprim17ROCPRIM_400000_NS6detail17trampoline_kernelINS0_14default_configENS1_35adjacent_difference_config_selectorILb0ElEEZNS1_24adjacent_difference_implIS3_Lb0ELb0EPlS7_ZN2at6native12_GLOBAL__N_124unique_dim_cuda_templateIsEESt5tupleIJNS8_6TensorESD_SD_EERKSD_lbbbEUlllE1_EE10hipError_tPvRmT2_T3_mT4_P12ihipStream_tbEUlT_E_NS1_11comp_targetILNS1_3genE4ELNS1_11target_archE910ELNS1_3gpuE8ELNS1_3repE0EEENS1_30default_config_static_selectorELNS0_4arch9wavefront6targetE1EEEvT1_ ; -- Begin function _ZN7rocprim17ROCPRIM_400000_NS6detail17trampoline_kernelINS0_14default_configENS1_35adjacent_difference_config_selectorILb0ElEEZNS1_24adjacent_difference_implIS3_Lb0ELb0EPlS7_ZN2at6native12_GLOBAL__N_124unique_dim_cuda_templateIsEESt5tupleIJNS8_6TensorESD_SD_EERKSD_lbbbEUlllE1_EE10hipError_tPvRmT2_T3_mT4_P12ihipStream_tbEUlT_E_NS1_11comp_targetILNS1_3genE4ELNS1_11target_archE910ELNS1_3gpuE8ELNS1_3repE0EEENS1_30default_config_static_selectorELNS0_4arch9wavefront6targetE1EEEvT1_
	.p2align	8
	.type	_ZN7rocprim17ROCPRIM_400000_NS6detail17trampoline_kernelINS0_14default_configENS1_35adjacent_difference_config_selectorILb0ElEEZNS1_24adjacent_difference_implIS3_Lb0ELb0EPlS7_ZN2at6native12_GLOBAL__N_124unique_dim_cuda_templateIsEESt5tupleIJNS8_6TensorESD_SD_EERKSD_lbbbEUlllE1_EE10hipError_tPvRmT2_T3_mT4_P12ihipStream_tbEUlT_E_NS1_11comp_targetILNS1_3genE4ELNS1_11target_archE910ELNS1_3gpuE8ELNS1_3repE0EEENS1_30default_config_static_selectorELNS0_4arch9wavefront6targetE1EEEvT1_,@function
_ZN7rocprim17ROCPRIM_400000_NS6detail17trampoline_kernelINS0_14default_configENS1_35adjacent_difference_config_selectorILb0ElEEZNS1_24adjacent_difference_implIS3_Lb0ELb0EPlS7_ZN2at6native12_GLOBAL__N_124unique_dim_cuda_templateIsEESt5tupleIJNS8_6TensorESD_SD_EERKSD_lbbbEUlllE1_EE10hipError_tPvRmT2_T3_mT4_P12ihipStream_tbEUlT_E_NS1_11comp_targetILNS1_3genE4ELNS1_11target_archE910ELNS1_3gpuE8ELNS1_3repE0EEENS1_30default_config_static_selectorELNS0_4arch9wavefront6targetE1EEEvT1_: ; @_ZN7rocprim17ROCPRIM_400000_NS6detail17trampoline_kernelINS0_14default_configENS1_35adjacent_difference_config_selectorILb0ElEEZNS1_24adjacent_difference_implIS3_Lb0ELb0EPlS7_ZN2at6native12_GLOBAL__N_124unique_dim_cuda_templateIsEESt5tupleIJNS8_6TensorESD_SD_EERKSD_lbbbEUlllE1_EE10hipError_tPvRmT2_T3_mT4_P12ihipStream_tbEUlT_E_NS1_11comp_targetILNS1_3genE4ELNS1_11target_archE910ELNS1_3gpuE8ELNS1_3repE0EEENS1_30default_config_static_selectorELNS0_4arch9wavefront6targetE1EEEvT1_
; %bb.0:
	.section	.rodata,"a",@progbits
	.p2align	6, 0x0
	.amdhsa_kernel _ZN7rocprim17ROCPRIM_400000_NS6detail17trampoline_kernelINS0_14default_configENS1_35adjacent_difference_config_selectorILb0ElEEZNS1_24adjacent_difference_implIS3_Lb0ELb0EPlS7_ZN2at6native12_GLOBAL__N_124unique_dim_cuda_templateIsEESt5tupleIJNS8_6TensorESD_SD_EERKSD_lbbbEUlllE1_EE10hipError_tPvRmT2_T3_mT4_P12ihipStream_tbEUlT_E_NS1_11comp_targetILNS1_3genE4ELNS1_11target_archE910ELNS1_3gpuE8ELNS1_3repE0EEENS1_30default_config_static_selectorELNS0_4arch9wavefront6targetE1EEEvT1_
		.amdhsa_group_segment_fixed_size 0
		.amdhsa_private_segment_fixed_size 0
		.amdhsa_kernarg_size 64
		.amdhsa_user_sgpr_count 2
		.amdhsa_user_sgpr_dispatch_ptr 0
		.amdhsa_user_sgpr_queue_ptr 0
		.amdhsa_user_sgpr_kernarg_segment_ptr 1
		.amdhsa_user_sgpr_dispatch_id 0
		.amdhsa_user_sgpr_kernarg_preload_length 0
		.amdhsa_user_sgpr_kernarg_preload_offset 0
		.amdhsa_user_sgpr_private_segment_size 0
		.amdhsa_uses_dynamic_stack 0
		.amdhsa_enable_private_segment 0
		.amdhsa_system_sgpr_workgroup_id_x 1
		.amdhsa_system_sgpr_workgroup_id_y 0
		.amdhsa_system_sgpr_workgroup_id_z 0
		.amdhsa_system_sgpr_workgroup_info 0
		.amdhsa_system_vgpr_workitem_id 0
		.amdhsa_next_free_vgpr 1
		.amdhsa_next_free_sgpr 0
		.amdhsa_accum_offset 4
		.amdhsa_reserve_vcc 0
		.amdhsa_float_round_mode_32 0
		.amdhsa_float_round_mode_16_64 0
		.amdhsa_float_denorm_mode_32 3
		.amdhsa_float_denorm_mode_16_64 3
		.amdhsa_dx10_clamp 1
		.amdhsa_ieee_mode 1
		.amdhsa_fp16_overflow 0
		.amdhsa_tg_split 0
		.amdhsa_exception_fp_ieee_invalid_op 0
		.amdhsa_exception_fp_denorm_src 0
		.amdhsa_exception_fp_ieee_div_zero 0
		.amdhsa_exception_fp_ieee_overflow 0
		.amdhsa_exception_fp_ieee_underflow 0
		.amdhsa_exception_fp_ieee_inexact 0
		.amdhsa_exception_int_div_zero 0
	.end_amdhsa_kernel
	.section	.text._ZN7rocprim17ROCPRIM_400000_NS6detail17trampoline_kernelINS0_14default_configENS1_35adjacent_difference_config_selectorILb0ElEEZNS1_24adjacent_difference_implIS3_Lb0ELb0EPlS7_ZN2at6native12_GLOBAL__N_124unique_dim_cuda_templateIsEESt5tupleIJNS8_6TensorESD_SD_EERKSD_lbbbEUlllE1_EE10hipError_tPvRmT2_T3_mT4_P12ihipStream_tbEUlT_E_NS1_11comp_targetILNS1_3genE4ELNS1_11target_archE910ELNS1_3gpuE8ELNS1_3repE0EEENS1_30default_config_static_selectorELNS0_4arch9wavefront6targetE1EEEvT1_,"axG",@progbits,_ZN7rocprim17ROCPRIM_400000_NS6detail17trampoline_kernelINS0_14default_configENS1_35adjacent_difference_config_selectorILb0ElEEZNS1_24adjacent_difference_implIS3_Lb0ELb0EPlS7_ZN2at6native12_GLOBAL__N_124unique_dim_cuda_templateIsEESt5tupleIJNS8_6TensorESD_SD_EERKSD_lbbbEUlllE1_EE10hipError_tPvRmT2_T3_mT4_P12ihipStream_tbEUlT_E_NS1_11comp_targetILNS1_3genE4ELNS1_11target_archE910ELNS1_3gpuE8ELNS1_3repE0EEENS1_30default_config_static_selectorELNS0_4arch9wavefront6targetE1EEEvT1_,comdat
.Lfunc_end663:
	.size	_ZN7rocprim17ROCPRIM_400000_NS6detail17trampoline_kernelINS0_14default_configENS1_35adjacent_difference_config_selectorILb0ElEEZNS1_24adjacent_difference_implIS3_Lb0ELb0EPlS7_ZN2at6native12_GLOBAL__N_124unique_dim_cuda_templateIsEESt5tupleIJNS8_6TensorESD_SD_EERKSD_lbbbEUlllE1_EE10hipError_tPvRmT2_T3_mT4_P12ihipStream_tbEUlT_E_NS1_11comp_targetILNS1_3genE4ELNS1_11target_archE910ELNS1_3gpuE8ELNS1_3repE0EEENS1_30default_config_static_selectorELNS0_4arch9wavefront6targetE1EEEvT1_, .Lfunc_end663-_ZN7rocprim17ROCPRIM_400000_NS6detail17trampoline_kernelINS0_14default_configENS1_35adjacent_difference_config_selectorILb0ElEEZNS1_24adjacent_difference_implIS3_Lb0ELb0EPlS7_ZN2at6native12_GLOBAL__N_124unique_dim_cuda_templateIsEESt5tupleIJNS8_6TensorESD_SD_EERKSD_lbbbEUlllE1_EE10hipError_tPvRmT2_T3_mT4_P12ihipStream_tbEUlT_E_NS1_11comp_targetILNS1_3genE4ELNS1_11target_archE910ELNS1_3gpuE8ELNS1_3repE0EEENS1_30default_config_static_selectorELNS0_4arch9wavefront6targetE1EEEvT1_
                                        ; -- End function
	.set _ZN7rocprim17ROCPRIM_400000_NS6detail17trampoline_kernelINS0_14default_configENS1_35adjacent_difference_config_selectorILb0ElEEZNS1_24adjacent_difference_implIS3_Lb0ELb0EPlS7_ZN2at6native12_GLOBAL__N_124unique_dim_cuda_templateIsEESt5tupleIJNS8_6TensorESD_SD_EERKSD_lbbbEUlllE1_EE10hipError_tPvRmT2_T3_mT4_P12ihipStream_tbEUlT_E_NS1_11comp_targetILNS1_3genE4ELNS1_11target_archE910ELNS1_3gpuE8ELNS1_3repE0EEENS1_30default_config_static_selectorELNS0_4arch9wavefront6targetE1EEEvT1_.num_vgpr, 0
	.set _ZN7rocprim17ROCPRIM_400000_NS6detail17trampoline_kernelINS0_14default_configENS1_35adjacent_difference_config_selectorILb0ElEEZNS1_24adjacent_difference_implIS3_Lb0ELb0EPlS7_ZN2at6native12_GLOBAL__N_124unique_dim_cuda_templateIsEESt5tupleIJNS8_6TensorESD_SD_EERKSD_lbbbEUlllE1_EE10hipError_tPvRmT2_T3_mT4_P12ihipStream_tbEUlT_E_NS1_11comp_targetILNS1_3genE4ELNS1_11target_archE910ELNS1_3gpuE8ELNS1_3repE0EEENS1_30default_config_static_selectorELNS0_4arch9wavefront6targetE1EEEvT1_.num_agpr, 0
	.set _ZN7rocprim17ROCPRIM_400000_NS6detail17trampoline_kernelINS0_14default_configENS1_35adjacent_difference_config_selectorILb0ElEEZNS1_24adjacent_difference_implIS3_Lb0ELb0EPlS7_ZN2at6native12_GLOBAL__N_124unique_dim_cuda_templateIsEESt5tupleIJNS8_6TensorESD_SD_EERKSD_lbbbEUlllE1_EE10hipError_tPvRmT2_T3_mT4_P12ihipStream_tbEUlT_E_NS1_11comp_targetILNS1_3genE4ELNS1_11target_archE910ELNS1_3gpuE8ELNS1_3repE0EEENS1_30default_config_static_selectorELNS0_4arch9wavefront6targetE1EEEvT1_.numbered_sgpr, 0
	.set _ZN7rocprim17ROCPRIM_400000_NS6detail17trampoline_kernelINS0_14default_configENS1_35adjacent_difference_config_selectorILb0ElEEZNS1_24adjacent_difference_implIS3_Lb0ELb0EPlS7_ZN2at6native12_GLOBAL__N_124unique_dim_cuda_templateIsEESt5tupleIJNS8_6TensorESD_SD_EERKSD_lbbbEUlllE1_EE10hipError_tPvRmT2_T3_mT4_P12ihipStream_tbEUlT_E_NS1_11comp_targetILNS1_3genE4ELNS1_11target_archE910ELNS1_3gpuE8ELNS1_3repE0EEENS1_30default_config_static_selectorELNS0_4arch9wavefront6targetE1EEEvT1_.num_named_barrier, 0
	.set _ZN7rocprim17ROCPRIM_400000_NS6detail17trampoline_kernelINS0_14default_configENS1_35adjacent_difference_config_selectorILb0ElEEZNS1_24adjacent_difference_implIS3_Lb0ELb0EPlS7_ZN2at6native12_GLOBAL__N_124unique_dim_cuda_templateIsEESt5tupleIJNS8_6TensorESD_SD_EERKSD_lbbbEUlllE1_EE10hipError_tPvRmT2_T3_mT4_P12ihipStream_tbEUlT_E_NS1_11comp_targetILNS1_3genE4ELNS1_11target_archE910ELNS1_3gpuE8ELNS1_3repE0EEENS1_30default_config_static_selectorELNS0_4arch9wavefront6targetE1EEEvT1_.private_seg_size, 0
	.set _ZN7rocprim17ROCPRIM_400000_NS6detail17trampoline_kernelINS0_14default_configENS1_35adjacent_difference_config_selectorILb0ElEEZNS1_24adjacent_difference_implIS3_Lb0ELb0EPlS7_ZN2at6native12_GLOBAL__N_124unique_dim_cuda_templateIsEESt5tupleIJNS8_6TensorESD_SD_EERKSD_lbbbEUlllE1_EE10hipError_tPvRmT2_T3_mT4_P12ihipStream_tbEUlT_E_NS1_11comp_targetILNS1_3genE4ELNS1_11target_archE910ELNS1_3gpuE8ELNS1_3repE0EEENS1_30default_config_static_selectorELNS0_4arch9wavefront6targetE1EEEvT1_.uses_vcc, 0
	.set _ZN7rocprim17ROCPRIM_400000_NS6detail17trampoline_kernelINS0_14default_configENS1_35adjacent_difference_config_selectorILb0ElEEZNS1_24adjacent_difference_implIS3_Lb0ELb0EPlS7_ZN2at6native12_GLOBAL__N_124unique_dim_cuda_templateIsEESt5tupleIJNS8_6TensorESD_SD_EERKSD_lbbbEUlllE1_EE10hipError_tPvRmT2_T3_mT4_P12ihipStream_tbEUlT_E_NS1_11comp_targetILNS1_3genE4ELNS1_11target_archE910ELNS1_3gpuE8ELNS1_3repE0EEENS1_30default_config_static_selectorELNS0_4arch9wavefront6targetE1EEEvT1_.uses_flat_scratch, 0
	.set _ZN7rocprim17ROCPRIM_400000_NS6detail17trampoline_kernelINS0_14default_configENS1_35adjacent_difference_config_selectorILb0ElEEZNS1_24adjacent_difference_implIS3_Lb0ELb0EPlS7_ZN2at6native12_GLOBAL__N_124unique_dim_cuda_templateIsEESt5tupleIJNS8_6TensorESD_SD_EERKSD_lbbbEUlllE1_EE10hipError_tPvRmT2_T3_mT4_P12ihipStream_tbEUlT_E_NS1_11comp_targetILNS1_3genE4ELNS1_11target_archE910ELNS1_3gpuE8ELNS1_3repE0EEENS1_30default_config_static_selectorELNS0_4arch9wavefront6targetE1EEEvT1_.has_dyn_sized_stack, 0
	.set _ZN7rocprim17ROCPRIM_400000_NS6detail17trampoline_kernelINS0_14default_configENS1_35adjacent_difference_config_selectorILb0ElEEZNS1_24adjacent_difference_implIS3_Lb0ELb0EPlS7_ZN2at6native12_GLOBAL__N_124unique_dim_cuda_templateIsEESt5tupleIJNS8_6TensorESD_SD_EERKSD_lbbbEUlllE1_EE10hipError_tPvRmT2_T3_mT4_P12ihipStream_tbEUlT_E_NS1_11comp_targetILNS1_3genE4ELNS1_11target_archE910ELNS1_3gpuE8ELNS1_3repE0EEENS1_30default_config_static_selectorELNS0_4arch9wavefront6targetE1EEEvT1_.has_recursion, 0
	.set _ZN7rocprim17ROCPRIM_400000_NS6detail17trampoline_kernelINS0_14default_configENS1_35adjacent_difference_config_selectorILb0ElEEZNS1_24adjacent_difference_implIS3_Lb0ELb0EPlS7_ZN2at6native12_GLOBAL__N_124unique_dim_cuda_templateIsEESt5tupleIJNS8_6TensorESD_SD_EERKSD_lbbbEUlllE1_EE10hipError_tPvRmT2_T3_mT4_P12ihipStream_tbEUlT_E_NS1_11comp_targetILNS1_3genE4ELNS1_11target_archE910ELNS1_3gpuE8ELNS1_3repE0EEENS1_30default_config_static_selectorELNS0_4arch9wavefront6targetE1EEEvT1_.has_indirect_call, 0
	.section	.AMDGPU.csdata,"",@progbits
; Kernel info:
; codeLenInByte = 0
; TotalNumSgprs: 6
; NumVgprs: 0
; NumAgprs: 0
; TotalNumVgprs: 0
; ScratchSize: 0
; MemoryBound: 0
; FloatMode: 240
; IeeeMode: 1
; LDSByteSize: 0 bytes/workgroup (compile time only)
; SGPRBlocks: 0
; VGPRBlocks: 0
; NumSGPRsForWavesPerEU: 6
; NumVGPRsForWavesPerEU: 1
; AccumOffset: 4
; Occupancy: 8
; WaveLimiterHint : 0
; COMPUTE_PGM_RSRC2:SCRATCH_EN: 0
; COMPUTE_PGM_RSRC2:USER_SGPR: 2
; COMPUTE_PGM_RSRC2:TRAP_HANDLER: 0
; COMPUTE_PGM_RSRC2:TGID_X_EN: 1
; COMPUTE_PGM_RSRC2:TGID_Y_EN: 0
; COMPUTE_PGM_RSRC2:TGID_Z_EN: 0
; COMPUTE_PGM_RSRC2:TIDIG_COMP_CNT: 0
; COMPUTE_PGM_RSRC3_GFX90A:ACCUM_OFFSET: 0
; COMPUTE_PGM_RSRC3_GFX90A:TG_SPLIT: 0
	.section	.text._ZN7rocprim17ROCPRIM_400000_NS6detail17trampoline_kernelINS0_14default_configENS1_35adjacent_difference_config_selectorILb0ElEEZNS1_24adjacent_difference_implIS3_Lb0ELb0EPlS7_ZN2at6native12_GLOBAL__N_124unique_dim_cuda_templateIsEESt5tupleIJNS8_6TensorESD_SD_EERKSD_lbbbEUlllE1_EE10hipError_tPvRmT2_T3_mT4_P12ihipStream_tbEUlT_E_NS1_11comp_targetILNS1_3genE3ELNS1_11target_archE908ELNS1_3gpuE7ELNS1_3repE0EEENS1_30default_config_static_selectorELNS0_4arch9wavefront6targetE1EEEvT1_,"axG",@progbits,_ZN7rocprim17ROCPRIM_400000_NS6detail17trampoline_kernelINS0_14default_configENS1_35adjacent_difference_config_selectorILb0ElEEZNS1_24adjacent_difference_implIS3_Lb0ELb0EPlS7_ZN2at6native12_GLOBAL__N_124unique_dim_cuda_templateIsEESt5tupleIJNS8_6TensorESD_SD_EERKSD_lbbbEUlllE1_EE10hipError_tPvRmT2_T3_mT4_P12ihipStream_tbEUlT_E_NS1_11comp_targetILNS1_3genE3ELNS1_11target_archE908ELNS1_3gpuE7ELNS1_3repE0EEENS1_30default_config_static_selectorELNS0_4arch9wavefront6targetE1EEEvT1_,comdat
	.globl	_ZN7rocprim17ROCPRIM_400000_NS6detail17trampoline_kernelINS0_14default_configENS1_35adjacent_difference_config_selectorILb0ElEEZNS1_24adjacent_difference_implIS3_Lb0ELb0EPlS7_ZN2at6native12_GLOBAL__N_124unique_dim_cuda_templateIsEESt5tupleIJNS8_6TensorESD_SD_EERKSD_lbbbEUlllE1_EE10hipError_tPvRmT2_T3_mT4_P12ihipStream_tbEUlT_E_NS1_11comp_targetILNS1_3genE3ELNS1_11target_archE908ELNS1_3gpuE7ELNS1_3repE0EEENS1_30default_config_static_selectorELNS0_4arch9wavefront6targetE1EEEvT1_ ; -- Begin function _ZN7rocprim17ROCPRIM_400000_NS6detail17trampoline_kernelINS0_14default_configENS1_35adjacent_difference_config_selectorILb0ElEEZNS1_24adjacent_difference_implIS3_Lb0ELb0EPlS7_ZN2at6native12_GLOBAL__N_124unique_dim_cuda_templateIsEESt5tupleIJNS8_6TensorESD_SD_EERKSD_lbbbEUlllE1_EE10hipError_tPvRmT2_T3_mT4_P12ihipStream_tbEUlT_E_NS1_11comp_targetILNS1_3genE3ELNS1_11target_archE908ELNS1_3gpuE7ELNS1_3repE0EEENS1_30default_config_static_selectorELNS0_4arch9wavefront6targetE1EEEvT1_
	.p2align	8
	.type	_ZN7rocprim17ROCPRIM_400000_NS6detail17trampoline_kernelINS0_14default_configENS1_35adjacent_difference_config_selectorILb0ElEEZNS1_24adjacent_difference_implIS3_Lb0ELb0EPlS7_ZN2at6native12_GLOBAL__N_124unique_dim_cuda_templateIsEESt5tupleIJNS8_6TensorESD_SD_EERKSD_lbbbEUlllE1_EE10hipError_tPvRmT2_T3_mT4_P12ihipStream_tbEUlT_E_NS1_11comp_targetILNS1_3genE3ELNS1_11target_archE908ELNS1_3gpuE7ELNS1_3repE0EEENS1_30default_config_static_selectorELNS0_4arch9wavefront6targetE1EEEvT1_,@function
_ZN7rocprim17ROCPRIM_400000_NS6detail17trampoline_kernelINS0_14default_configENS1_35adjacent_difference_config_selectorILb0ElEEZNS1_24adjacent_difference_implIS3_Lb0ELb0EPlS7_ZN2at6native12_GLOBAL__N_124unique_dim_cuda_templateIsEESt5tupleIJNS8_6TensorESD_SD_EERKSD_lbbbEUlllE1_EE10hipError_tPvRmT2_T3_mT4_P12ihipStream_tbEUlT_E_NS1_11comp_targetILNS1_3genE3ELNS1_11target_archE908ELNS1_3gpuE7ELNS1_3repE0EEENS1_30default_config_static_selectorELNS0_4arch9wavefront6targetE1EEEvT1_: ; @_ZN7rocprim17ROCPRIM_400000_NS6detail17trampoline_kernelINS0_14default_configENS1_35adjacent_difference_config_selectorILb0ElEEZNS1_24adjacent_difference_implIS3_Lb0ELb0EPlS7_ZN2at6native12_GLOBAL__N_124unique_dim_cuda_templateIsEESt5tupleIJNS8_6TensorESD_SD_EERKSD_lbbbEUlllE1_EE10hipError_tPvRmT2_T3_mT4_P12ihipStream_tbEUlT_E_NS1_11comp_targetILNS1_3genE3ELNS1_11target_archE908ELNS1_3gpuE7ELNS1_3repE0EEENS1_30default_config_static_selectorELNS0_4arch9wavefront6targetE1EEEvT1_
; %bb.0:
	.section	.rodata,"a",@progbits
	.p2align	6, 0x0
	.amdhsa_kernel _ZN7rocprim17ROCPRIM_400000_NS6detail17trampoline_kernelINS0_14default_configENS1_35adjacent_difference_config_selectorILb0ElEEZNS1_24adjacent_difference_implIS3_Lb0ELb0EPlS7_ZN2at6native12_GLOBAL__N_124unique_dim_cuda_templateIsEESt5tupleIJNS8_6TensorESD_SD_EERKSD_lbbbEUlllE1_EE10hipError_tPvRmT2_T3_mT4_P12ihipStream_tbEUlT_E_NS1_11comp_targetILNS1_3genE3ELNS1_11target_archE908ELNS1_3gpuE7ELNS1_3repE0EEENS1_30default_config_static_selectorELNS0_4arch9wavefront6targetE1EEEvT1_
		.amdhsa_group_segment_fixed_size 0
		.amdhsa_private_segment_fixed_size 0
		.amdhsa_kernarg_size 64
		.amdhsa_user_sgpr_count 2
		.amdhsa_user_sgpr_dispatch_ptr 0
		.amdhsa_user_sgpr_queue_ptr 0
		.amdhsa_user_sgpr_kernarg_segment_ptr 1
		.amdhsa_user_sgpr_dispatch_id 0
		.amdhsa_user_sgpr_kernarg_preload_length 0
		.amdhsa_user_sgpr_kernarg_preload_offset 0
		.amdhsa_user_sgpr_private_segment_size 0
		.amdhsa_uses_dynamic_stack 0
		.amdhsa_enable_private_segment 0
		.amdhsa_system_sgpr_workgroup_id_x 1
		.amdhsa_system_sgpr_workgroup_id_y 0
		.amdhsa_system_sgpr_workgroup_id_z 0
		.amdhsa_system_sgpr_workgroup_info 0
		.amdhsa_system_vgpr_workitem_id 0
		.amdhsa_next_free_vgpr 1
		.amdhsa_next_free_sgpr 0
		.amdhsa_accum_offset 4
		.amdhsa_reserve_vcc 0
		.amdhsa_float_round_mode_32 0
		.amdhsa_float_round_mode_16_64 0
		.amdhsa_float_denorm_mode_32 3
		.amdhsa_float_denorm_mode_16_64 3
		.amdhsa_dx10_clamp 1
		.amdhsa_ieee_mode 1
		.amdhsa_fp16_overflow 0
		.amdhsa_tg_split 0
		.amdhsa_exception_fp_ieee_invalid_op 0
		.amdhsa_exception_fp_denorm_src 0
		.amdhsa_exception_fp_ieee_div_zero 0
		.amdhsa_exception_fp_ieee_overflow 0
		.amdhsa_exception_fp_ieee_underflow 0
		.amdhsa_exception_fp_ieee_inexact 0
		.amdhsa_exception_int_div_zero 0
	.end_amdhsa_kernel
	.section	.text._ZN7rocprim17ROCPRIM_400000_NS6detail17trampoline_kernelINS0_14default_configENS1_35adjacent_difference_config_selectorILb0ElEEZNS1_24adjacent_difference_implIS3_Lb0ELb0EPlS7_ZN2at6native12_GLOBAL__N_124unique_dim_cuda_templateIsEESt5tupleIJNS8_6TensorESD_SD_EERKSD_lbbbEUlllE1_EE10hipError_tPvRmT2_T3_mT4_P12ihipStream_tbEUlT_E_NS1_11comp_targetILNS1_3genE3ELNS1_11target_archE908ELNS1_3gpuE7ELNS1_3repE0EEENS1_30default_config_static_selectorELNS0_4arch9wavefront6targetE1EEEvT1_,"axG",@progbits,_ZN7rocprim17ROCPRIM_400000_NS6detail17trampoline_kernelINS0_14default_configENS1_35adjacent_difference_config_selectorILb0ElEEZNS1_24adjacent_difference_implIS3_Lb0ELb0EPlS7_ZN2at6native12_GLOBAL__N_124unique_dim_cuda_templateIsEESt5tupleIJNS8_6TensorESD_SD_EERKSD_lbbbEUlllE1_EE10hipError_tPvRmT2_T3_mT4_P12ihipStream_tbEUlT_E_NS1_11comp_targetILNS1_3genE3ELNS1_11target_archE908ELNS1_3gpuE7ELNS1_3repE0EEENS1_30default_config_static_selectorELNS0_4arch9wavefront6targetE1EEEvT1_,comdat
.Lfunc_end664:
	.size	_ZN7rocprim17ROCPRIM_400000_NS6detail17trampoline_kernelINS0_14default_configENS1_35adjacent_difference_config_selectorILb0ElEEZNS1_24adjacent_difference_implIS3_Lb0ELb0EPlS7_ZN2at6native12_GLOBAL__N_124unique_dim_cuda_templateIsEESt5tupleIJNS8_6TensorESD_SD_EERKSD_lbbbEUlllE1_EE10hipError_tPvRmT2_T3_mT4_P12ihipStream_tbEUlT_E_NS1_11comp_targetILNS1_3genE3ELNS1_11target_archE908ELNS1_3gpuE7ELNS1_3repE0EEENS1_30default_config_static_selectorELNS0_4arch9wavefront6targetE1EEEvT1_, .Lfunc_end664-_ZN7rocprim17ROCPRIM_400000_NS6detail17trampoline_kernelINS0_14default_configENS1_35adjacent_difference_config_selectorILb0ElEEZNS1_24adjacent_difference_implIS3_Lb0ELb0EPlS7_ZN2at6native12_GLOBAL__N_124unique_dim_cuda_templateIsEESt5tupleIJNS8_6TensorESD_SD_EERKSD_lbbbEUlllE1_EE10hipError_tPvRmT2_T3_mT4_P12ihipStream_tbEUlT_E_NS1_11comp_targetILNS1_3genE3ELNS1_11target_archE908ELNS1_3gpuE7ELNS1_3repE0EEENS1_30default_config_static_selectorELNS0_4arch9wavefront6targetE1EEEvT1_
                                        ; -- End function
	.set _ZN7rocprim17ROCPRIM_400000_NS6detail17trampoline_kernelINS0_14default_configENS1_35adjacent_difference_config_selectorILb0ElEEZNS1_24adjacent_difference_implIS3_Lb0ELb0EPlS7_ZN2at6native12_GLOBAL__N_124unique_dim_cuda_templateIsEESt5tupleIJNS8_6TensorESD_SD_EERKSD_lbbbEUlllE1_EE10hipError_tPvRmT2_T3_mT4_P12ihipStream_tbEUlT_E_NS1_11comp_targetILNS1_3genE3ELNS1_11target_archE908ELNS1_3gpuE7ELNS1_3repE0EEENS1_30default_config_static_selectorELNS0_4arch9wavefront6targetE1EEEvT1_.num_vgpr, 0
	.set _ZN7rocprim17ROCPRIM_400000_NS6detail17trampoline_kernelINS0_14default_configENS1_35adjacent_difference_config_selectorILb0ElEEZNS1_24adjacent_difference_implIS3_Lb0ELb0EPlS7_ZN2at6native12_GLOBAL__N_124unique_dim_cuda_templateIsEESt5tupleIJNS8_6TensorESD_SD_EERKSD_lbbbEUlllE1_EE10hipError_tPvRmT2_T3_mT4_P12ihipStream_tbEUlT_E_NS1_11comp_targetILNS1_3genE3ELNS1_11target_archE908ELNS1_3gpuE7ELNS1_3repE0EEENS1_30default_config_static_selectorELNS0_4arch9wavefront6targetE1EEEvT1_.num_agpr, 0
	.set _ZN7rocprim17ROCPRIM_400000_NS6detail17trampoline_kernelINS0_14default_configENS1_35adjacent_difference_config_selectorILb0ElEEZNS1_24adjacent_difference_implIS3_Lb0ELb0EPlS7_ZN2at6native12_GLOBAL__N_124unique_dim_cuda_templateIsEESt5tupleIJNS8_6TensorESD_SD_EERKSD_lbbbEUlllE1_EE10hipError_tPvRmT2_T3_mT4_P12ihipStream_tbEUlT_E_NS1_11comp_targetILNS1_3genE3ELNS1_11target_archE908ELNS1_3gpuE7ELNS1_3repE0EEENS1_30default_config_static_selectorELNS0_4arch9wavefront6targetE1EEEvT1_.numbered_sgpr, 0
	.set _ZN7rocprim17ROCPRIM_400000_NS6detail17trampoline_kernelINS0_14default_configENS1_35adjacent_difference_config_selectorILb0ElEEZNS1_24adjacent_difference_implIS3_Lb0ELb0EPlS7_ZN2at6native12_GLOBAL__N_124unique_dim_cuda_templateIsEESt5tupleIJNS8_6TensorESD_SD_EERKSD_lbbbEUlllE1_EE10hipError_tPvRmT2_T3_mT4_P12ihipStream_tbEUlT_E_NS1_11comp_targetILNS1_3genE3ELNS1_11target_archE908ELNS1_3gpuE7ELNS1_3repE0EEENS1_30default_config_static_selectorELNS0_4arch9wavefront6targetE1EEEvT1_.num_named_barrier, 0
	.set _ZN7rocprim17ROCPRIM_400000_NS6detail17trampoline_kernelINS0_14default_configENS1_35adjacent_difference_config_selectorILb0ElEEZNS1_24adjacent_difference_implIS3_Lb0ELb0EPlS7_ZN2at6native12_GLOBAL__N_124unique_dim_cuda_templateIsEESt5tupleIJNS8_6TensorESD_SD_EERKSD_lbbbEUlllE1_EE10hipError_tPvRmT2_T3_mT4_P12ihipStream_tbEUlT_E_NS1_11comp_targetILNS1_3genE3ELNS1_11target_archE908ELNS1_3gpuE7ELNS1_3repE0EEENS1_30default_config_static_selectorELNS0_4arch9wavefront6targetE1EEEvT1_.private_seg_size, 0
	.set _ZN7rocprim17ROCPRIM_400000_NS6detail17trampoline_kernelINS0_14default_configENS1_35adjacent_difference_config_selectorILb0ElEEZNS1_24adjacent_difference_implIS3_Lb0ELb0EPlS7_ZN2at6native12_GLOBAL__N_124unique_dim_cuda_templateIsEESt5tupleIJNS8_6TensorESD_SD_EERKSD_lbbbEUlllE1_EE10hipError_tPvRmT2_T3_mT4_P12ihipStream_tbEUlT_E_NS1_11comp_targetILNS1_3genE3ELNS1_11target_archE908ELNS1_3gpuE7ELNS1_3repE0EEENS1_30default_config_static_selectorELNS0_4arch9wavefront6targetE1EEEvT1_.uses_vcc, 0
	.set _ZN7rocprim17ROCPRIM_400000_NS6detail17trampoline_kernelINS0_14default_configENS1_35adjacent_difference_config_selectorILb0ElEEZNS1_24adjacent_difference_implIS3_Lb0ELb0EPlS7_ZN2at6native12_GLOBAL__N_124unique_dim_cuda_templateIsEESt5tupleIJNS8_6TensorESD_SD_EERKSD_lbbbEUlllE1_EE10hipError_tPvRmT2_T3_mT4_P12ihipStream_tbEUlT_E_NS1_11comp_targetILNS1_3genE3ELNS1_11target_archE908ELNS1_3gpuE7ELNS1_3repE0EEENS1_30default_config_static_selectorELNS0_4arch9wavefront6targetE1EEEvT1_.uses_flat_scratch, 0
	.set _ZN7rocprim17ROCPRIM_400000_NS6detail17trampoline_kernelINS0_14default_configENS1_35adjacent_difference_config_selectorILb0ElEEZNS1_24adjacent_difference_implIS3_Lb0ELb0EPlS7_ZN2at6native12_GLOBAL__N_124unique_dim_cuda_templateIsEESt5tupleIJNS8_6TensorESD_SD_EERKSD_lbbbEUlllE1_EE10hipError_tPvRmT2_T3_mT4_P12ihipStream_tbEUlT_E_NS1_11comp_targetILNS1_3genE3ELNS1_11target_archE908ELNS1_3gpuE7ELNS1_3repE0EEENS1_30default_config_static_selectorELNS0_4arch9wavefront6targetE1EEEvT1_.has_dyn_sized_stack, 0
	.set _ZN7rocprim17ROCPRIM_400000_NS6detail17trampoline_kernelINS0_14default_configENS1_35adjacent_difference_config_selectorILb0ElEEZNS1_24adjacent_difference_implIS3_Lb0ELb0EPlS7_ZN2at6native12_GLOBAL__N_124unique_dim_cuda_templateIsEESt5tupleIJNS8_6TensorESD_SD_EERKSD_lbbbEUlllE1_EE10hipError_tPvRmT2_T3_mT4_P12ihipStream_tbEUlT_E_NS1_11comp_targetILNS1_3genE3ELNS1_11target_archE908ELNS1_3gpuE7ELNS1_3repE0EEENS1_30default_config_static_selectorELNS0_4arch9wavefront6targetE1EEEvT1_.has_recursion, 0
	.set _ZN7rocprim17ROCPRIM_400000_NS6detail17trampoline_kernelINS0_14default_configENS1_35adjacent_difference_config_selectorILb0ElEEZNS1_24adjacent_difference_implIS3_Lb0ELb0EPlS7_ZN2at6native12_GLOBAL__N_124unique_dim_cuda_templateIsEESt5tupleIJNS8_6TensorESD_SD_EERKSD_lbbbEUlllE1_EE10hipError_tPvRmT2_T3_mT4_P12ihipStream_tbEUlT_E_NS1_11comp_targetILNS1_3genE3ELNS1_11target_archE908ELNS1_3gpuE7ELNS1_3repE0EEENS1_30default_config_static_selectorELNS0_4arch9wavefront6targetE1EEEvT1_.has_indirect_call, 0
	.section	.AMDGPU.csdata,"",@progbits
; Kernel info:
; codeLenInByte = 0
; TotalNumSgprs: 6
; NumVgprs: 0
; NumAgprs: 0
; TotalNumVgprs: 0
; ScratchSize: 0
; MemoryBound: 0
; FloatMode: 240
; IeeeMode: 1
; LDSByteSize: 0 bytes/workgroup (compile time only)
; SGPRBlocks: 0
; VGPRBlocks: 0
; NumSGPRsForWavesPerEU: 6
; NumVGPRsForWavesPerEU: 1
; AccumOffset: 4
; Occupancy: 8
; WaveLimiterHint : 0
; COMPUTE_PGM_RSRC2:SCRATCH_EN: 0
; COMPUTE_PGM_RSRC2:USER_SGPR: 2
; COMPUTE_PGM_RSRC2:TRAP_HANDLER: 0
; COMPUTE_PGM_RSRC2:TGID_X_EN: 1
; COMPUTE_PGM_RSRC2:TGID_Y_EN: 0
; COMPUTE_PGM_RSRC2:TGID_Z_EN: 0
; COMPUTE_PGM_RSRC2:TIDIG_COMP_CNT: 0
; COMPUTE_PGM_RSRC3_GFX90A:ACCUM_OFFSET: 0
; COMPUTE_PGM_RSRC3_GFX90A:TG_SPLIT: 0
	.section	.text._ZN7rocprim17ROCPRIM_400000_NS6detail17trampoline_kernelINS0_14default_configENS1_35adjacent_difference_config_selectorILb0ElEEZNS1_24adjacent_difference_implIS3_Lb0ELb0EPlS7_ZN2at6native12_GLOBAL__N_124unique_dim_cuda_templateIsEESt5tupleIJNS8_6TensorESD_SD_EERKSD_lbbbEUlllE1_EE10hipError_tPvRmT2_T3_mT4_P12ihipStream_tbEUlT_E_NS1_11comp_targetILNS1_3genE2ELNS1_11target_archE906ELNS1_3gpuE6ELNS1_3repE0EEENS1_30default_config_static_selectorELNS0_4arch9wavefront6targetE1EEEvT1_,"axG",@progbits,_ZN7rocprim17ROCPRIM_400000_NS6detail17trampoline_kernelINS0_14default_configENS1_35adjacent_difference_config_selectorILb0ElEEZNS1_24adjacent_difference_implIS3_Lb0ELb0EPlS7_ZN2at6native12_GLOBAL__N_124unique_dim_cuda_templateIsEESt5tupleIJNS8_6TensorESD_SD_EERKSD_lbbbEUlllE1_EE10hipError_tPvRmT2_T3_mT4_P12ihipStream_tbEUlT_E_NS1_11comp_targetILNS1_3genE2ELNS1_11target_archE906ELNS1_3gpuE6ELNS1_3repE0EEENS1_30default_config_static_selectorELNS0_4arch9wavefront6targetE1EEEvT1_,comdat
	.globl	_ZN7rocprim17ROCPRIM_400000_NS6detail17trampoline_kernelINS0_14default_configENS1_35adjacent_difference_config_selectorILb0ElEEZNS1_24adjacent_difference_implIS3_Lb0ELb0EPlS7_ZN2at6native12_GLOBAL__N_124unique_dim_cuda_templateIsEESt5tupleIJNS8_6TensorESD_SD_EERKSD_lbbbEUlllE1_EE10hipError_tPvRmT2_T3_mT4_P12ihipStream_tbEUlT_E_NS1_11comp_targetILNS1_3genE2ELNS1_11target_archE906ELNS1_3gpuE6ELNS1_3repE0EEENS1_30default_config_static_selectorELNS0_4arch9wavefront6targetE1EEEvT1_ ; -- Begin function _ZN7rocprim17ROCPRIM_400000_NS6detail17trampoline_kernelINS0_14default_configENS1_35adjacent_difference_config_selectorILb0ElEEZNS1_24adjacent_difference_implIS3_Lb0ELb0EPlS7_ZN2at6native12_GLOBAL__N_124unique_dim_cuda_templateIsEESt5tupleIJNS8_6TensorESD_SD_EERKSD_lbbbEUlllE1_EE10hipError_tPvRmT2_T3_mT4_P12ihipStream_tbEUlT_E_NS1_11comp_targetILNS1_3genE2ELNS1_11target_archE906ELNS1_3gpuE6ELNS1_3repE0EEENS1_30default_config_static_selectorELNS0_4arch9wavefront6targetE1EEEvT1_
	.p2align	8
	.type	_ZN7rocprim17ROCPRIM_400000_NS6detail17trampoline_kernelINS0_14default_configENS1_35adjacent_difference_config_selectorILb0ElEEZNS1_24adjacent_difference_implIS3_Lb0ELb0EPlS7_ZN2at6native12_GLOBAL__N_124unique_dim_cuda_templateIsEESt5tupleIJNS8_6TensorESD_SD_EERKSD_lbbbEUlllE1_EE10hipError_tPvRmT2_T3_mT4_P12ihipStream_tbEUlT_E_NS1_11comp_targetILNS1_3genE2ELNS1_11target_archE906ELNS1_3gpuE6ELNS1_3repE0EEENS1_30default_config_static_selectorELNS0_4arch9wavefront6targetE1EEEvT1_,@function
_ZN7rocprim17ROCPRIM_400000_NS6detail17trampoline_kernelINS0_14default_configENS1_35adjacent_difference_config_selectorILb0ElEEZNS1_24adjacent_difference_implIS3_Lb0ELb0EPlS7_ZN2at6native12_GLOBAL__N_124unique_dim_cuda_templateIsEESt5tupleIJNS8_6TensorESD_SD_EERKSD_lbbbEUlllE1_EE10hipError_tPvRmT2_T3_mT4_P12ihipStream_tbEUlT_E_NS1_11comp_targetILNS1_3genE2ELNS1_11target_archE906ELNS1_3gpuE6ELNS1_3repE0EEENS1_30default_config_static_selectorELNS0_4arch9wavefront6targetE1EEEvT1_: ; @_ZN7rocprim17ROCPRIM_400000_NS6detail17trampoline_kernelINS0_14default_configENS1_35adjacent_difference_config_selectorILb0ElEEZNS1_24adjacent_difference_implIS3_Lb0ELb0EPlS7_ZN2at6native12_GLOBAL__N_124unique_dim_cuda_templateIsEESt5tupleIJNS8_6TensorESD_SD_EERKSD_lbbbEUlllE1_EE10hipError_tPvRmT2_T3_mT4_P12ihipStream_tbEUlT_E_NS1_11comp_targetILNS1_3genE2ELNS1_11target_archE906ELNS1_3gpuE6ELNS1_3repE0EEENS1_30default_config_static_selectorELNS0_4arch9wavefront6targetE1EEEvT1_
; %bb.0:
	.section	.rodata,"a",@progbits
	.p2align	6, 0x0
	.amdhsa_kernel _ZN7rocprim17ROCPRIM_400000_NS6detail17trampoline_kernelINS0_14default_configENS1_35adjacent_difference_config_selectorILb0ElEEZNS1_24adjacent_difference_implIS3_Lb0ELb0EPlS7_ZN2at6native12_GLOBAL__N_124unique_dim_cuda_templateIsEESt5tupleIJNS8_6TensorESD_SD_EERKSD_lbbbEUlllE1_EE10hipError_tPvRmT2_T3_mT4_P12ihipStream_tbEUlT_E_NS1_11comp_targetILNS1_3genE2ELNS1_11target_archE906ELNS1_3gpuE6ELNS1_3repE0EEENS1_30default_config_static_selectorELNS0_4arch9wavefront6targetE1EEEvT1_
		.amdhsa_group_segment_fixed_size 0
		.amdhsa_private_segment_fixed_size 0
		.amdhsa_kernarg_size 64
		.amdhsa_user_sgpr_count 2
		.amdhsa_user_sgpr_dispatch_ptr 0
		.amdhsa_user_sgpr_queue_ptr 0
		.amdhsa_user_sgpr_kernarg_segment_ptr 1
		.amdhsa_user_sgpr_dispatch_id 0
		.amdhsa_user_sgpr_kernarg_preload_length 0
		.amdhsa_user_sgpr_kernarg_preload_offset 0
		.amdhsa_user_sgpr_private_segment_size 0
		.amdhsa_uses_dynamic_stack 0
		.amdhsa_enable_private_segment 0
		.amdhsa_system_sgpr_workgroup_id_x 1
		.amdhsa_system_sgpr_workgroup_id_y 0
		.amdhsa_system_sgpr_workgroup_id_z 0
		.amdhsa_system_sgpr_workgroup_info 0
		.amdhsa_system_vgpr_workitem_id 0
		.amdhsa_next_free_vgpr 1
		.amdhsa_next_free_sgpr 0
		.amdhsa_accum_offset 4
		.amdhsa_reserve_vcc 0
		.amdhsa_float_round_mode_32 0
		.amdhsa_float_round_mode_16_64 0
		.amdhsa_float_denorm_mode_32 3
		.amdhsa_float_denorm_mode_16_64 3
		.amdhsa_dx10_clamp 1
		.amdhsa_ieee_mode 1
		.amdhsa_fp16_overflow 0
		.amdhsa_tg_split 0
		.amdhsa_exception_fp_ieee_invalid_op 0
		.amdhsa_exception_fp_denorm_src 0
		.amdhsa_exception_fp_ieee_div_zero 0
		.amdhsa_exception_fp_ieee_overflow 0
		.amdhsa_exception_fp_ieee_underflow 0
		.amdhsa_exception_fp_ieee_inexact 0
		.amdhsa_exception_int_div_zero 0
	.end_amdhsa_kernel
	.section	.text._ZN7rocprim17ROCPRIM_400000_NS6detail17trampoline_kernelINS0_14default_configENS1_35adjacent_difference_config_selectorILb0ElEEZNS1_24adjacent_difference_implIS3_Lb0ELb0EPlS7_ZN2at6native12_GLOBAL__N_124unique_dim_cuda_templateIsEESt5tupleIJNS8_6TensorESD_SD_EERKSD_lbbbEUlllE1_EE10hipError_tPvRmT2_T3_mT4_P12ihipStream_tbEUlT_E_NS1_11comp_targetILNS1_3genE2ELNS1_11target_archE906ELNS1_3gpuE6ELNS1_3repE0EEENS1_30default_config_static_selectorELNS0_4arch9wavefront6targetE1EEEvT1_,"axG",@progbits,_ZN7rocprim17ROCPRIM_400000_NS6detail17trampoline_kernelINS0_14default_configENS1_35adjacent_difference_config_selectorILb0ElEEZNS1_24adjacent_difference_implIS3_Lb0ELb0EPlS7_ZN2at6native12_GLOBAL__N_124unique_dim_cuda_templateIsEESt5tupleIJNS8_6TensorESD_SD_EERKSD_lbbbEUlllE1_EE10hipError_tPvRmT2_T3_mT4_P12ihipStream_tbEUlT_E_NS1_11comp_targetILNS1_3genE2ELNS1_11target_archE906ELNS1_3gpuE6ELNS1_3repE0EEENS1_30default_config_static_selectorELNS0_4arch9wavefront6targetE1EEEvT1_,comdat
.Lfunc_end665:
	.size	_ZN7rocprim17ROCPRIM_400000_NS6detail17trampoline_kernelINS0_14default_configENS1_35adjacent_difference_config_selectorILb0ElEEZNS1_24adjacent_difference_implIS3_Lb0ELb0EPlS7_ZN2at6native12_GLOBAL__N_124unique_dim_cuda_templateIsEESt5tupleIJNS8_6TensorESD_SD_EERKSD_lbbbEUlllE1_EE10hipError_tPvRmT2_T3_mT4_P12ihipStream_tbEUlT_E_NS1_11comp_targetILNS1_3genE2ELNS1_11target_archE906ELNS1_3gpuE6ELNS1_3repE0EEENS1_30default_config_static_selectorELNS0_4arch9wavefront6targetE1EEEvT1_, .Lfunc_end665-_ZN7rocprim17ROCPRIM_400000_NS6detail17trampoline_kernelINS0_14default_configENS1_35adjacent_difference_config_selectorILb0ElEEZNS1_24adjacent_difference_implIS3_Lb0ELb0EPlS7_ZN2at6native12_GLOBAL__N_124unique_dim_cuda_templateIsEESt5tupleIJNS8_6TensorESD_SD_EERKSD_lbbbEUlllE1_EE10hipError_tPvRmT2_T3_mT4_P12ihipStream_tbEUlT_E_NS1_11comp_targetILNS1_3genE2ELNS1_11target_archE906ELNS1_3gpuE6ELNS1_3repE0EEENS1_30default_config_static_selectorELNS0_4arch9wavefront6targetE1EEEvT1_
                                        ; -- End function
	.set _ZN7rocprim17ROCPRIM_400000_NS6detail17trampoline_kernelINS0_14default_configENS1_35adjacent_difference_config_selectorILb0ElEEZNS1_24adjacent_difference_implIS3_Lb0ELb0EPlS7_ZN2at6native12_GLOBAL__N_124unique_dim_cuda_templateIsEESt5tupleIJNS8_6TensorESD_SD_EERKSD_lbbbEUlllE1_EE10hipError_tPvRmT2_T3_mT4_P12ihipStream_tbEUlT_E_NS1_11comp_targetILNS1_3genE2ELNS1_11target_archE906ELNS1_3gpuE6ELNS1_3repE0EEENS1_30default_config_static_selectorELNS0_4arch9wavefront6targetE1EEEvT1_.num_vgpr, 0
	.set _ZN7rocprim17ROCPRIM_400000_NS6detail17trampoline_kernelINS0_14default_configENS1_35adjacent_difference_config_selectorILb0ElEEZNS1_24adjacent_difference_implIS3_Lb0ELb0EPlS7_ZN2at6native12_GLOBAL__N_124unique_dim_cuda_templateIsEESt5tupleIJNS8_6TensorESD_SD_EERKSD_lbbbEUlllE1_EE10hipError_tPvRmT2_T3_mT4_P12ihipStream_tbEUlT_E_NS1_11comp_targetILNS1_3genE2ELNS1_11target_archE906ELNS1_3gpuE6ELNS1_3repE0EEENS1_30default_config_static_selectorELNS0_4arch9wavefront6targetE1EEEvT1_.num_agpr, 0
	.set _ZN7rocprim17ROCPRIM_400000_NS6detail17trampoline_kernelINS0_14default_configENS1_35adjacent_difference_config_selectorILb0ElEEZNS1_24adjacent_difference_implIS3_Lb0ELb0EPlS7_ZN2at6native12_GLOBAL__N_124unique_dim_cuda_templateIsEESt5tupleIJNS8_6TensorESD_SD_EERKSD_lbbbEUlllE1_EE10hipError_tPvRmT2_T3_mT4_P12ihipStream_tbEUlT_E_NS1_11comp_targetILNS1_3genE2ELNS1_11target_archE906ELNS1_3gpuE6ELNS1_3repE0EEENS1_30default_config_static_selectorELNS0_4arch9wavefront6targetE1EEEvT1_.numbered_sgpr, 0
	.set _ZN7rocprim17ROCPRIM_400000_NS6detail17trampoline_kernelINS0_14default_configENS1_35adjacent_difference_config_selectorILb0ElEEZNS1_24adjacent_difference_implIS3_Lb0ELb0EPlS7_ZN2at6native12_GLOBAL__N_124unique_dim_cuda_templateIsEESt5tupleIJNS8_6TensorESD_SD_EERKSD_lbbbEUlllE1_EE10hipError_tPvRmT2_T3_mT4_P12ihipStream_tbEUlT_E_NS1_11comp_targetILNS1_3genE2ELNS1_11target_archE906ELNS1_3gpuE6ELNS1_3repE0EEENS1_30default_config_static_selectorELNS0_4arch9wavefront6targetE1EEEvT1_.num_named_barrier, 0
	.set _ZN7rocprim17ROCPRIM_400000_NS6detail17trampoline_kernelINS0_14default_configENS1_35adjacent_difference_config_selectorILb0ElEEZNS1_24adjacent_difference_implIS3_Lb0ELb0EPlS7_ZN2at6native12_GLOBAL__N_124unique_dim_cuda_templateIsEESt5tupleIJNS8_6TensorESD_SD_EERKSD_lbbbEUlllE1_EE10hipError_tPvRmT2_T3_mT4_P12ihipStream_tbEUlT_E_NS1_11comp_targetILNS1_3genE2ELNS1_11target_archE906ELNS1_3gpuE6ELNS1_3repE0EEENS1_30default_config_static_selectorELNS0_4arch9wavefront6targetE1EEEvT1_.private_seg_size, 0
	.set _ZN7rocprim17ROCPRIM_400000_NS6detail17trampoline_kernelINS0_14default_configENS1_35adjacent_difference_config_selectorILb0ElEEZNS1_24adjacent_difference_implIS3_Lb0ELb0EPlS7_ZN2at6native12_GLOBAL__N_124unique_dim_cuda_templateIsEESt5tupleIJNS8_6TensorESD_SD_EERKSD_lbbbEUlllE1_EE10hipError_tPvRmT2_T3_mT4_P12ihipStream_tbEUlT_E_NS1_11comp_targetILNS1_3genE2ELNS1_11target_archE906ELNS1_3gpuE6ELNS1_3repE0EEENS1_30default_config_static_selectorELNS0_4arch9wavefront6targetE1EEEvT1_.uses_vcc, 0
	.set _ZN7rocprim17ROCPRIM_400000_NS6detail17trampoline_kernelINS0_14default_configENS1_35adjacent_difference_config_selectorILb0ElEEZNS1_24adjacent_difference_implIS3_Lb0ELb0EPlS7_ZN2at6native12_GLOBAL__N_124unique_dim_cuda_templateIsEESt5tupleIJNS8_6TensorESD_SD_EERKSD_lbbbEUlllE1_EE10hipError_tPvRmT2_T3_mT4_P12ihipStream_tbEUlT_E_NS1_11comp_targetILNS1_3genE2ELNS1_11target_archE906ELNS1_3gpuE6ELNS1_3repE0EEENS1_30default_config_static_selectorELNS0_4arch9wavefront6targetE1EEEvT1_.uses_flat_scratch, 0
	.set _ZN7rocprim17ROCPRIM_400000_NS6detail17trampoline_kernelINS0_14default_configENS1_35adjacent_difference_config_selectorILb0ElEEZNS1_24adjacent_difference_implIS3_Lb0ELb0EPlS7_ZN2at6native12_GLOBAL__N_124unique_dim_cuda_templateIsEESt5tupleIJNS8_6TensorESD_SD_EERKSD_lbbbEUlllE1_EE10hipError_tPvRmT2_T3_mT4_P12ihipStream_tbEUlT_E_NS1_11comp_targetILNS1_3genE2ELNS1_11target_archE906ELNS1_3gpuE6ELNS1_3repE0EEENS1_30default_config_static_selectorELNS0_4arch9wavefront6targetE1EEEvT1_.has_dyn_sized_stack, 0
	.set _ZN7rocprim17ROCPRIM_400000_NS6detail17trampoline_kernelINS0_14default_configENS1_35adjacent_difference_config_selectorILb0ElEEZNS1_24adjacent_difference_implIS3_Lb0ELb0EPlS7_ZN2at6native12_GLOBAL__N_124unique_dim_cuda_templateIsEESt5tupleIJNS8_6TensorESD_SD_EERKSD_lbbbEUlllE1_EE10hipError_tPvRmT2_T3_mT4_P12ihipStream_tbEUlT_E_NS1_11comp_targetILNS1_3genE2ELNS1_11target_archE906ELNS1_3gpuE6ELNS1_3repE0EEENS1_30default_config_static_selectorELNS0_4arch9wavefront6targetE1EEEvT1_.has_recursion, 0
	.set _ZN7rocprim17ROCPRIM_400000_NS6detail17trampoline_kernelINS0_14default_configENS1_35adjacent_difference_config_selectorILb0ElEEZNS1_24adjacent_difference_implIS3_Lb0ELb0EPlS7_ZN2at6native12_GLOBAL__N_124unique_dim_cuda_templateIsEESt5tupleIJNS8_6TensorESD_SD_EERKSD_lbbbEUlllE1_EE10hipError_tPvRmT2_T3_mT4_P12ihipStream_tbEUlT_E_NS1_11comp_targetILNS1_3genE2ELNS1_11target_archE906ELNS1_3gpuE6ELNS1_3repE0EEENS1_30default_config_static_selectorELNS0_4arch9wavefront6targetE1EEEvT1_.has_indirect_call, 0
	.section	.AMDGPU.csdata,"",@progbits
; Kernel info:
; codeLenInByte = 0
; TotalNumSgprs: 6
; NumVgprs: 0
; NumAgprs: 0
; TotalNumVgprs: 0
; ScratchSize: 0
; MemoryBound: 0
; FloatMode: 240
; IeeeMode: 1
; LDSByteSize: 0 bytes/workgroup (compile time only)
; SGPRBlocks: 0
; VGPRBlocks: 0
; NumSGPRsForWavesPerEU: 6
; NumVGPRsForWavesPerEU: 1
; AccumOffset: 4
; Occupancy: 8
; WaveLimiterHint : 0
; COMPUTE_PGM_RSRC2:SCRATCH_EN: 0
; COMPUTE_PGM_RSRC2:USER_SGPR: 2
; COMPUTE_PGM_RSRC2:TRAP_HANDLER: 0
; COMPUTE_PGM_RSRC2:TGID_X_EN: 1
; COMPUTE_PGM_RSRC2:TGID_Y_EN: 0
; COMPUTE_PGM_RSRC2:TGID_Z_EN: 0
; COMPUTE_PGM_RSRC2:TIDIG_COMP_CNT: 0
; COMPUTE_PGM_RSRC3_GFX90A:ACCUM_OFFSET: 0
; COMPUTE_PGM_RSRC3_GFX90A:TG_SPLIT: 0
	.section	.text._ZN7rocprim17ROCPRIM_400000_NS6detail17trampoline_kernelINS0_14default_configENS1_35adjacent_difference_config_selectorILb0ElEEZNS1_24adjacent_difference_implIS3_Lb0ELb0EPlS7_ZN2at6native12_GLOBAL__N_124unique_dim_cuda_templateIsEESt5tupleIJNS8_6TensorESD_SD_EERKSD_lbbbEUlllE1_EE10hipError_tPvRmT2_T3_mT4_P12ihipStream_tbEUlT_E_NS1_11comp_targetILNS1_3genE9ELNS1_11target_archE1100ELNS1_3gpuE3ELNS1_3repE0EEENS1_30default_config_static_selectorELNS0_4arch9wavefront6targetE1EEEvT1_,"axG",@progbits,_ZN7rocprim17ROCPRIM_400000_NS6detail17trampoline_kernelINS0_14default_configENS1_35adjacent_difference_config_selectorILb0ElEEZNS1_24adjacent_difference_implIS3_Lb0ELb0EPlS7_ZN2at6native12_GLOBAL__N_124unique_dim_cuda_templateIsEESt5tupleIJNS8_6TensorESD_SD_EERKSD_lbbbEUlllE1_EE10hipError_tPvRmT2_T3_mT4_P12ihipStream_tbEUlT_E_NS1_11comp_targetILNS1_3genE9ELNS1_11target_archE1100ELNS1_3gpuE3ELNS1_3repE0EEENS1_30default_config_static_selectorELNS0_4arch9wavefront6targetE1EEEvT1_,comdat
	.globl	_ZN7rocprim17ROCPRIM_400000_NS6detail17trampoline_kernelINS0_14default_configENS1_35adjacent_difference_config_selectorILb0ElEEZNS1_24adjacent_difference_implIS3_Lb0ELb0EPlS7_ZN2at6native12_GLOBAL__N_124unique_dim_cuda_templateIsEESt5tupleIJNS8_6TensorESD_SD_EERKSD_lbbbEUlllE1_EE10hipError_tPvRmT2_T3_mT4_P12ihipStream_tbEUlT_E_NS1_11comp_targetILNS1_3genE9ELNS1_11target_archE1100ELNS1_3gpuE3ELNS1_3repE0EEENS1_30default_config_static_selectorELNS0_4arch9wavefront6targetE1EEEvT1_ ; -- Begin function _ZN7rocprim17ROCPRIM_400000_NS6detail17trampoline_kernelINS0_14default_configENS1_35adjacent_difference_config_selectorILb0ElEEZNS1_24adjacent_difference_implIS3_Lb0ELb0EPlS7_ZN2at6native12_GLOBAL__N_124unique_dim_cuda_templateIsEESt5tupleIJNS8_6TensorESD_SD_EERKSD_lbbbEUlllE1_EE10hipError_tPvRmT2_T3_mT4_P12ihipStream_tbEUlT_E_NS1_11comp_targetILNS1_3genE9ELNS1_11target_archE1100ELNS1_3gpuE3ELNS1_3repE0EEENS1_30default_config_static_selectorELNS0_4arch9wavefront6targetE1EEEvT1_
	.p2align	8
	.type	_ZN7rocprim17ROCPRIM_400000_NS6detail17trampoline_kernelINS0_14default_configENS1_35adjacent_difference_config_selectorILb0ElEEZNS1_24adjacent_difference_implIS3_Lb0ELb0EPlS7_ZN2at6native12_GLOBAL__N_124unique_dim_cuda_templateIsEESt5tupleIJNS8_6TensorESD_SD_EERKSD_lbbbEUlllE1_EE10hipError_tPvRmT2_T3_mT4_P12ihipStream_tbEUlT_E_NS1_11comp_targetILNS1_3genE9ELNS1_11target_archE1100ELNS1_3gpuE3ELNS1_3repE0EEENS1_30default_config_static_selectorELNS0_4arch9wavefront6targetE1EEEvT1_,@function
_ZN7rocprim17ROCPRIM_400000_NS6detail17trampoline_kernelINS0_14default_configENS1_35adjacent_difference_config_selectorILb0ElEEZNS1_24adjacent_difference_implIS3_Lb0ELb0EPlS7_ZN2at6native12_GLOBAL__N_124unique_dim_cuda_templateIsEESt5tupleIJNS8_6TensorESD_SD_EERKSD_lbbbEUlllE1_EE10hipError_tPvRmT2_T3_mT4_P12ihipStream_tbEUlT_E_NS1_11comp_targetILNS1_3genE9ELNS1_11target_archE1100ELNS1_3gpuE3ELNS1_3repE0EEENS1_30default_config_static_selectorELNS0_4arch9wavefront6targetE1EEEvT1_: ; @_ZN7rocprim17ROCPRIM_400000_NS6detail17trampoline_kernelINS0_14default_configENS1_35adjacent_difference_config_selectorILb0ElEEZNS1_24adjacent_difference_implIS3_Lb0ELb0EPlS7_ZN2at6native12_GLOBAL__N_124unique_dim_cuda_templateIsEESt5tupleIJNS8_6TensorESD_SD_EERKSD_lbbbEUlllE1_EE10hipError_tPvRmT2_T3_mT4_P12ihipStream_tbEUlT_E_NS1_11comp_targetILNS1_3genE9ELNS1_11target_archE1100ELNS1_3gpuE3ELNS1_3repE0EEENS1_30default_config_static_selectorELNS0_4arch9wavefront6targetE1EEEvT1_
; %bb.0:
	.section	.rodata,"a",@progbits
	.p2align	6, 0x0
	.amdhsa_kernel _ZN7rocprim17ROCPRIM_400000_NS6detail17trampoline_kernelINS0_14default_configENS1_35adjacent_difference_config_selectorILb0ElEEZNS1_24adjacent_difference_implIS3_Lb0ELb0EPlS7_ZN2at6native12_GLOBAL__N_124unique_dim_cuda_templateIsEESt5tupleIJNS8_6TensorESD_SD_EERKSD_lbbbEUlllE1_EE10hipError_tPvRmT2_T3_mT4_P12ihipStream_tbEUlT_E_NS1_11comp_targetILNS1_3genE9ELNS1_11target_archE1100ELNS1_3gpuE3ELNS1_3repE0EEENS1_30default_config_static_selectorELNS0_4arch9wavefront6targetE1EEEvT1_
		.amdhsa_group_segment_fixed_size 0
		.amdhsa_private_segment_fixed_size 0
		.amdhsa_kernarg_size 64
		.amdhsa_user_sgpr_count 2
		.amdhsa_user_sgpr_dispatch_ptr 0
		.amdhsa_user_sgpr_queue_ptr 0
		.amdhsa_user_sgpr_kernarg_segment_ptr 1
		.amdhsa_user_sgpr_dispatch_id 0
		.amdhsa_user_sgpr_kernarg_preload_length 0
		.amdhsa_user_sgpr_kernarg_preload_offset 0
		.amdhsa_user_sgpr_private_segment_size 0
		.amdhsa_uses_dynamic_stack 0
		.amdhsa_enable_private_segment 0
		.amdhsa_system_sgpr_workgroup_id_x 1
		.amdhsa_system_sgpr_workgroup_id_y 0
		.amdhsa_system_sgpr_workgroup_id_z 0
		.amdhsa_system_sgpr_workgroup_info 0
		.amdhsa_system_vgpr_workitem_id 0
		.amdhsa_next_free_vgpr 1
		.amdhsa_next_free_sgpr 0
		.amdhsa_accum_offset 4
		.amdhsa_reserve_vcc 0
		.amdhsa_float_round_mode_32 0
		.amdhsa_float_round_mode_16_64 0
		.amdhsa_float_denorm_mode_32 3
		.amdhsa_float_denorm_mode_16_64 3
		.amdhsa_dx10_clamp 1
		.amdhsa_ieee_mode 1
		.amdhsa_fp16_overflow 0
		.amdhsa_tg_split 0
		.amdhsa_exception_fp_ieee_invalid_op 0
		.amdhsa_exception_fp_denorm_src 0
		.amdhsa_exception_fp_ieee_div_zero 0
		.amdhsa_exception_fp_ieee_overflow 0
		.amdhsa_exception_fp_ieee_underflow 0
		.amdhsa_exception_fp_ieee_inexact 0
		.amdhsa_exception_int_div_zero 0
	.end_amdhsa_kernel
	.section	.text._ZN7rocprim17ROCPRIM_400000_NS6detail17trampoline_kernelINS0_14default_configENS1_35adjacent_difference_config_selectorILb0ElEEZNS1_24adjacent_difference_implIS3_Lb0ELb0EPlS7_ZN2at6native12_GLOBAL__N_124unique_dim_cuda_templateIsEESt5tupleIJNS8_6TensorESD_SD_EERKSD_lbbbEUlllE1_EE10hipError_tPvRmT2_T3_mT4_P12ihipStream_tbEUlT_E_NS1_11comp_targetILNS1_3genE9ELNS1_11target_archE1100ELNS1_3gpuE3ELNS1_3repE0EEENS1_30default_config_static_selectorELNS0_4arch9wavefront6targetE1EEEvT1_,"axG",@progbits,_ZN7rocprim17ROCPRIM_400000_NS6detail17trampoline_kernelINS0_14default_configENS1_35adjacent_difference_config_selectorILb0ElEEZNS1_24adjacent_difference_implIS3_Lb0ELb0EPlS7_ZN2at6native12_GLOBAL__N_124unique_dim_cuda_templateIsEESt5tupleIJNS8_6TensorESD_SD_EERKSD_lbbbEUlllE1_EE10hipError_tPvRmT2_T3_mT4_P12ihipStream_tbEUlT_E_NS1_11comp_targetILNS1_3genE9ELNS1_11target_archE1100ELNS1_3gpuE3ELNS1_3repE0EEENS1_30default_config_static_selectorELNS0_4arch9wavefront6targetE1EEEvT1_,comdat
.Lfunc_end666:
	.size	_ZN7rocprim17ROCPRIM_400000_NS6detail17trampoline_kernelINS0_14default_configENS1_35adjacent_difference_config_selectorILb0ElEEZNS1_24adjacent_difference_implIS3_Lb0ELb0EPlS7_ZN2at6native12_GLOBAL__N_124unique_dim_cuda_templateIsEESt5tupleIJNS8_6TensorESD_SD_EERKSD_lbbbEUlllE1_EE10hipError_tPvRmT2_T3_mT4_P12ihipStream_tbEUlT_E_NS1_11comp_targetILNS1_3genE9ELNS1_11target_archE1100ELNS1_3gpuE3ELNS1_3repE0EEENS1_30default_config_static_selectorELNS0_4arch9wavefront6targetE1EEEvT1_, .Lfunc_end666-_ZN7rocprim17ROCPRIM_400000_NS6detail17trampoline_kernelINS0_14default_configENS1_35adjacent_difference_config_selectorILb0ElEEZNS1_24adjacent_difference_implIS3_Lb0ELb0EPlS7_ZN2at6native12_GLOBAL__N_124unique_dim_cuda_templateIsEESt5tupleIJNS8_6TensorESD_SD_EERKSD_lbbbEUlllE1_EE10hipError_tPvRmT2_T3_mT4_P12ihipStream_tbEUlT_E_NS1_11comp_targetILNS1_3genE9ELNS1_11target_archE1100ELNS1_3gpuE3ELNS1_3repE0EEENS1_30default_config_static_selectorELNS0_4arch9wavefront6targetE1EEEvT1_
                                        ; -- End function
	.set _ZN7rocprim17ROCPRIM_400000_NS6detail17trampoline_kernelINS0_14default_configENS1_35adjacent_difference_config_selectorILb0ElEEZNS1_24adjacent_difference_implIS3_Lb0ELb0EPlS7_ZN2at6native12_GLOBAL__N_124unique_dim_cuda_templateIsEESt5tupleIJNS8_6TensorESD_SD_EERKSD_lbbbEUlllE1_EE10hipError_tPvRmT2_T3_mT4_P12ihipStream_tbEUlT_E_NS1_11comp_targetILNS1_3genE9ELNS1_11target_archE1100ELNS1_3gpuE3ELNS1_3repE0EEENS1_30default_config_static_selectorELNS0_4arch9wavefront6targetE1EEEvT1_.num_vgpr, 0
	.set _ZN7rocprim17ROCPRIM_400000_NS6detail17trampoline_kernelINS0_14default_configENS1_35adjacent_difference_config_selectorILb0ElEEZNS1_24adjacent_difference_implIS3_Lb0ELb0EPlS7_ZN2at6native12_GLOBAL__N_124unique_dim_cuda_templateIsEESt5tupleIJNS8_6TensorESD_SD_EERKSD_lbbbEUlllE1_EE10hipError_tPvRmT2_T3_mT4_P12ihipStream_tbEUlT_E_NS1_11comp_targetILNS1_3genE9ELNS1_11target_archE1100ELNS1_3gpuE3ELNS1_3repE0EEENS1_30default_config_static_selectorELNS0_4arch9wavefront6targetE1EEEvT1_.num_agpr, 0
	.set _ZN7rocprim17ROCPRIM_400000_NS6detail17trampoline_kernelINS0_14default_configENS1_35adjacent_difference_config_selectorILb0ElEEZNS1_24adjacent_difference_implIS3_Lb0ELb0EPlS7_ZN2at6native12_GLOBAL__N_124unique_dim_cuda_templateIsEESt5tupleIJNS8_6TensorESD_SD_EERKSD_lbbbEUlllE1_EE10hipError_tPvRmT2_T3_mT4_P12ihipStream_tbEUlT_E_NS1_11comp_targetILNS1_3genE9ELNS1_11target_archE1100ELNS1_3gpuE3ELNS1_3repE0EEENS1_30default_config_static_selectorELNS0_4arch9wavefront6targetE1EEEvT1_.numbered_sgpr, 0
	.set _ZN7rocprim17ROCPRIM_400000_NS6detail17trampoline_kernelINS0_14default_configENS1_35adjacent_difference_config_selectorILb0ElEEZNS1_24adjacent_difference_implIS3_Lb0ELb0EPlS7_ZN2at6native12_GLOBAL__N_124unique_dim_cuda_templateIsEESt5tupleIJNS8_6TensorESD_SD_EERKSD_lbbbEUlllE1_EE10hipError_tPvRmT2_T3_mT4_P12ihipStream_tbEUlT_E_NS1_11comp_targetILNS1_3genE9ELNS1_11target_archE1100ELNS1_3gpuE3ELNS1_3repE0EEENS1_30default_config_static_selectorELNS0_4arch9wavefront6targetE1EEEvT1_.num_named_barrier, 0
	.set _ZN7rocprim17ROCPRIM_400000_NS6detail17trampoline_kernelINS0_14default_configENS1_35adjacent_difference_config_selectorILb0ElEEZNS1_24adjacent_difference_implIS3_Lb0ELb0EPlS7_ZN2at6native12_GLOBAL__N_124unique_dim_cuda_templateIsEESt5tupleIJNS8_6TensorESD_SD_EERKSD_lbbbEUlllE1_EE10hipError_tPvRmT2_T3_mT4_P12ihipStream_tbEUlT_E_NS1_11comp_targetILNS1_3genE9ELNS1_11target_archE1100ELNS1_3gpuE3ELNS1_3repE0EEENS1_30default_config_static_selectorELNS0_4arch9wavefront6targetE1EEEvT1_.private_seg_size, 0
	.set _ZN7rocprim17ROCPRIM_400000_NS6detail17trampoline_kernelINS0_14default_configENS1_35adjacent_difference_config_selectorILb0ElEEZNS1_24adjacent_difference_implIS3_Lb0ELb0EPlS7_ZN2at6native12_GLOBAL__N_124unique_dim_cuda_templateIsEESt5tupleIJNS8_6TensorESD_SD_EERKSD_lbbbEUlllE1_EE10hipError_tPvRmT2_T3_mT4_P12ihipStream_tbEUlT_E_NS1_11comp_targetILNS1_3genE9ELNS1_11target_archE1100ELNS1_3gpuE3ELNS1_3repE0EEENS1_30default_config_static_selectorELNS0_4arch9wavefront6targetE1EEEvT1_.uses_vcc, 0
	.set _ZN7rocprim17ROCPRIM_400000_NS6detail17trampoline_kernelINS0_14default_configENS1_35adjacent_difference_config_selectorILb0ElEEZNS1_24adjacent_difference_implIS3_Lb0ELb0EPlS7_ZN2at6native12_GLOBAL__N_124unique_dim_cuda_templateIsEESt5tupleIJNS8_6TensorESD_SD_EERKSD_lbbbEUlllE1_EE10hipError_tPvRmT2_T3_mT4_P12ihipStream_tbEUlT_E_NS1_11comp_targetILNS1_3genE9ELNS1_11target_archE1100ELNS1_3gpuE3ELNS1_3repE0EEENS1_30default_config_static_selectorELNS0_4arch9wavefront6targetE1EEEvT1_.uses_flat_scratch, 0
	.set _ZN7rocprim17ROCPRIM_400000_NS6detail17trampoline_kernelINS0_14default_configENS1_35adjacent_difference_config_selectorILb0ElEEZNS1_24adjacent_difference_implIS3_Lb0ELb0EPlS7_ZN2at6native12_GLOBAL__N_124unique_dim_cuda_templateIsEESt5tupleIJNS8_6TensorESD_SD_EERKSD_lbbbEUlllE1_EE10hipError_tPvRmT2_T3_mT4_P12ihipStream_tbEUlT_E_NS1_11comp_targetILNS1_3genE9ELNS1_11target_archE1100ELNS1_3gpuE3ELNS1_3repE0EEENS1_30default_config_static_selectorELNS0_4arch9wavefront6targetE1EEEvT1_.has_dyn_sized_stack, 0
	.set _ZN7rocprim17ROCPRIM_400000_NS6detail17trampoline_kernelINS0_14default_configENS1_35adjacent_difference_config_selectorILb0ElEEZNS1_24adjacent_difference_implIS3_Lb0ELb0EPlS7_ZN2at6native12_GLOBAL__N_124unique_dim_cuda_templateIsEESt5tupleIJNS8_6TensorESD_SD_EERKSD_lbbbEUlllE1_EE10hipError_tPvRmT2_T3_mT4_P12ihipStream_tbEUlT_E_NS1_11comp_targetILNS1_3genE9ELNS1_11target_archE1100ELNS1_3gpuE3ELNS1_3repE0EEENS1_30default_config_static_selectorELNS0_4arch9wavefront6targetE1EEEvT1_.has_recursion, 0
	.set _ZN7rocprim17ROCPRIM_400000_NS6detail17trampoline_kernelINS0_14default_configENS1_35adjacent_difference_config_selectorILb0ElEEZNS1_24adjacent_difference_implIS3_Lb0ELb0EPlS7_ZN2at6native12_GLOBAL__N_124unique_dim_cuda_templateIsEESt5tupleIJNS8_6TensorESD_SD_EERKSD_lbbbEUlllE1_EE10hipError_tPvRmT2_T3_mT4_P12ihipStream_tbEUlT_E_NS1_11comp_targetILNS1_3genE9ELNS1_11target_archE1100ELNS1_3gpuE3ELNS1_3repE0EEENS1_30default_config_static_selectorELNS0_4arch9wavefront6targetE1EEEvT1_.has_indirect_call, 0
	.section	.AMDGPU.csdata,"",@progbits
; Kernel info:
; codeLenInByte = 0
; TotalNumSgprs: 6
; NumVgprs: 0
; NumAgprs: 0
; TotalNumVgprs: 0
; ScratchSize: 0
; MemoryBound: 0
; FloatMode: 240
; IeeeMode: 1
; LDSByteSize: 0 bytes/workgroup (compile time only)
; SGPRBlocks: 0
; VGPRBlocks: 0
; NumSGPRsForWavesPerEU: 6
; NumVGPRsForWavesPerEU: 1
; AccumOffset: 4
; Occupancy: 8
; WaveLimiterHint : 0
; COMPUTE_PGM_RSRC2:SCRATCH_EN: 0
; COMPUTE_PGM_RSRC2:USER_SGPR: 2
; COMPUTE_PGM_RSRC2:TRAP_HANDLER: 0
; COMPUTE_PGM_RSRC2:TGID_X_EN: 1
; COMPUTE_PGM_RSRC2:TGID_Y_EN: 0
; COMPUTE_PGM_RSRC2:TGID_Z_EN: 0
; COMPUTE_PGM_RSRC2:TIDIG_COMP_CNT: 0
; COMPUTE_PGM_RSRC3_GFX90A:ACCUM_OFFSET: 0
; COMPUTE_PGM_RSRC3_GFX90A:TG_SPLIT: 0
	.section	.text._ZN7rocprim17ROCPRIM_400000_NS6detail17trampoline_kernelINS0_14default_configENS1_35adjacent_difference_config_selectorILb0ElEEZNS1_24adjacent_difference_implIS3_Lb0ELb0EPlS7_ZN2at6native12_GLOBAL__N_124unique_dim_cuda_templateIsEESt5tupleIJNS8_6TensorESD_SD_EERKSD_lbbbEUlllE1_EE10hipError_tPvRmT2_T3_mT4_P12ihipStream_tbEUlT_E_NS1_11comp_targetILNS1_3genE8ELNS1_11target_archE1030ELNS1_3gpuE2ELNS1_3repE0EEENS1_30default_config_static_selectorELNS0_4arch9wavefront6targetE1EEEvT1_,"axG",@progbits,_ZN7rocprim17ROCPRIM_400000_NS6detail17trampoline_kernelINS0_14default_configENS1_35adjacent_difference_config_selectorILb0ElEEZNS1_24adjacent_difference_implIS3_Lb0ELb0EPlS7_ZN2at6native12_GLOBAL__N_124unique_dim_cuda_templateIsEESt5tupleIJNS8_6TensorESD_SD_EERKSD_lbbbEUlllE1_EE10hipError_tPvRmT2_T3_mT4_P12ihipStream_tbEUlT_E_NS1_11comp_targetILNS1_3genE8ELNS1_11target_archE1030ELNS1_3gpuE2ELNS1_3repE0EEENS1_30default_config_static_selectorELNS0_4arch9wavefront6targetE1EEEvT1_,comdat
	.globl	_ZN7rocprim17ROCPRIM_400000_NS6detail17trampoline_kernelINS0_14default_configENS1_35adjacent_difference_config_selectorILb0ElEEZNS1_24adjacent_difference_implIS3_Lb0ELb0EPlS7_ZN2at6native12_GLOBAL__N_124unique_dim_cuda_templateIsEESt5tupleIJNS8_6TensorESD_SD_EERKSD_lbbbEUlllE1_EE10hipError_tPvRmT2_T3_mT4_P12ihipStream_tbEUlT_E_NS1_11comp_targetILNS1_3genE8ELNS1_11target_archE1030ELNS1_3gpuE2ELNS1_3repE0EEENS1_30default_config_static_selectorELNS0_4arch9wavefront6targetE1EEEvT1_ ; -- Begin function _ZN7rocprim17ROCPRIM_400000_NS6detail17trampoline_kernelINS0_14default_configENS1_35adjacent_difference_config_selectorILb0ElEEZNS1_24adjacent_difference_implIS3_Lb0ELb0EPlS7_ZN2at6native12_GLOBAL__N_124unique_dim_cuda_templateIsEESt5tupleIJNS8_6TensorESD_SD_EERKSD_lbbbEUlllE1_EE10hipError_tPvRmT2_T3_mT4_P12ihipStream_tbEUlT_E_NS1_11comp_targetILNS1_3genE8ELNS1_11target_archE1030ELNS1_3gpuE2ELNS1_3repE0EEENS1_30default_config_static_selectorELNS0_4arch9wavefront6targetE1EEEvT1_
	.p2align	8
	.type	_ZN7rocprim17ROCPRIM_400000_NS6detail17trampoline_kernelINS0_14default_configENS1_35adjacent_difference_config_selectorILb0ElEEZNS1_24adjacent_difference_implIS3_Lb0ELb0EPlS7_ZN2at6native12_GLOBAL__N_124unique_dim_cuda_templateIsEESt5tupleIJNS8_6TensorESD_SD_EERKSD_lbbbEUlllE1_EE10hipError_tPvRmT2_T3_mT4_P12ihipStream_tbEUlT_E_NS1_11comp_targetILNS1_3genE8ELNS1_11target_archE1030ELNS1_3gpuE2ELNS1_3repE0EEENS1_30default_config_static_selectorELNS0_4arch9wavefront6targetE1EEEvT1_,@function
_ZN7rocprim17ROCPRIM_400000_NS6detail17trampoline_kernelINS0_14default_configENS1_35adjacent_difference_config_selectorILb0ElEEZNS1_24adjacent_difference_implIS3_Lb0ELb0EPlS7_ZN2at6native12_GLOBAL__N_124unique_dim_cuda_templateIsEESt5tupleIJNS8_6TensorESD_SD_EERKSD_lbbbEUlllE1_EE10hipError_tPvRmT2_T3_mT4_P12ihipStream_tbEUlT_E_NS1_11comp_targetILNS1_3genE8ELNS1_11target_archE1030ELNS1_3gpuE2ELNS1_3repE0EEENS1_30default_config_static_selectorELNS0_4arch9wavefront6targetE1EEEvT1_: ; @_ZN7rocprim17ROCPRIM_400000_NS6detail17trampoline_kernelINS0_14default_configENS1_35adjacent_difference_config_selectorILb0ElEEZNS1_24adjacent_difference_implIS3_Lb0ELb0EPlS7_ZN2at6native12_GLOBAL__N_124unique_dim_cuda_templateIsEESt5tupleIJNS8_6TensorESD_SD_EERKSD_lbbbEUlllE1_EE10hipError_tPvRmT2_T3_mT4_P12ihipStream_tbEUlT_E_NS1_11comp_targetILNS1_3genE8ELNS1_11target_archE1030ELNS1_3gpuE2ELNS1_3repE0EEENS1_30default_config_static_selectorELNS0_4arch9wavefront6targetE1EEEvT1_
; %bb.0:
	.section	.rodata,"a",@progbits
	.p2align	6, 0x0
	.amdhsa_kernel _ZN7rocprim17ROCPRIM_400000_NS6detail17trampoline_kernelINS0_14default_configENS1_35adjacent_difference_config_selectorILb0ElEEZNS1_24adjacent_difference_implIS3_Lb0ELb0EPlS7_ZN2at6native12_GLOBAL__N_124unique_dim_cuda_templateIsEESt5tupleIJNS8_6TensorESD_SD_EERKSD_lbbbEUlllE1_EE10hipError_tPvRmT2_T3_mT4_P12ihipStream_tbEUlT_E_NS1_11comp_targetILNS1_3genE8ELNS1_11target_archE1030ELNS1_3gpuE2ELNS1_3repE0EEENS1_30default_config_static_selectorELNS0_4arch9wavefront6targetE1EEEvT1_
		.amdhsa_group_segment_fixed_size 0
		.amdhsa_private_segment_fixed_size 0
		.amdhsa_kernarg_size 64
		.amdhsa_user_sgpr_count 2
		.amdhsa_user_sgpr_dispatch_ptr 0
		.amdhsa_user_sgpr_queue_ptr 0
		.amdhsa_user_sgpr_kernarg_segment_ptr 1
		.amdhsa_user_sgpr_dispatch_id 0
		.amdhsa_user_sgpr_kernarg_preload_length 0
		.amdhsa_user_sgpr_kernarg_preload_offset 0
		.amdhsa_user_sgpr_private_segment_size 0
		.amdhsa_uses_dynamic_stack 0
		.amdhsa_enable_private_segment 0
		.amdhsa_system_sgpr_workgroup_id_x 1
		.amdhsa_system_sgpr_workgroup_id_y 0
		.amdhsa_system_sgpr_workgroup_id_z 0
		.amdhsa_system_sgpr_workgroup_info 0
		.amdhsa_system_vgpr_workitem_id 0
		.amdhsa_next_free_vgpr 1
		.amdhsa_next_free_sgpr 0
		.amdhsa_accum_offset 4
		.amdhsa_reserve_vcc 0
		.amdhsa_float_round_mode_32 0
		.amdhsa_float_round_mode_16_64 0
		.amdhsa_float_denorm_mode_32 3
		.amdhsa_float_denorm_mode_16_64 3
		.amdhsa_dx10_clamp 1
		.amdhsa_ieee_mode 1
		.amdhsa_fp16_overflow 0
		.amdhsa_tg_split 0
		.amdhsa_exception_fp_ieee_invalid_op 0
		.amdhsa_exception_fp_denorm_src 0
		.amdhsa_exception_fp_ieee_div_zero 0
		.amdhsa_exception_fp_ieee_overflow 0
		.amdhsa_exception_fp_ieee_underflow 0
		.amdhsa_exception_fp_ieee_inexact 0
		.amdhsa_exception_int_div_zero 0
	.end_amdhsa_kernel
	.section	.text._ZN7rocprim17ROCPRIM_400000_NS6detail17trampoline_kernelINS0_14default_configENS1_35adjacent_difference_config_selectorILb0ElEEZNS1_24adjacent_difference_implIS3_Lb0ELb0EPlS7_ZN2at6native12_GLOBAL__N_124unique_dim_cuda_templateIsEESt5tupleIJNS8_6TensorESD_SD_EERKSD_lbbbEUlllE1_EE10hipError_tPvRmT2_T3_mT4_P12ihipStream_tbEUlT_E_NS1_11comp_targetILNS1_3genE8ELNS1_11target_archE1030ELNS1_3gpuE2ELNS1_3repE0EEENS1_30default_config_static_selectorELNS0_4arch9wavefront6targetE1EEEvT1_,"axG",@progbits,_ZN7rocprim17ROCPRIM_400000_NS6detail17trampoline_kernelINS0_14default_configENS1_35adjacent_difference_config_selectorILb0ElEEZNS1_24adjacent_difference_implIS3_Lb0ELb0EPlS7_ZN2at6native12_GLOBAL__N_124unique_dim_cuda_templateIsEESt5tupleIJNS8_6TensorESD_SD_EERKSD_lbbbEUlllE1_EE10hipError_tPvRmT2_T3_mT4_P12ihipStream_tbEUlT_E_NS1_11comp_targetILNS1_3genE8ELNS1_11target_archE1030ELNS1_3gpuE2ELNS1_3repE0EEENS1_30default_config_static_selectorELNS0_4arch9wavefront6targetE1EEEvT1_,comdat
.Lfunc_end667:
	.size	_ZN7rocprim17ROCPRIM_400000_NS6detail17trampoline_kernelINS0_14default_configENS1_35adjacent_difference_config_selectorILb0ElEEZNS1_24adjacent_difference_implIS3_Lb0ELb0EPlS7_ZN2at6native12_GLOBAL__N_124unique_dim_cuda_templateIsEESt5tupleIJNS8_6TensorESD_SD_EERKSD_lbbbEUlllE1_EE10hipError_tPvRmT2_T3_mT4_P12ihipStream_tbEUlT_E_NS1_11comp_targetILNS1_3genE8ELNS1_11target_archE1030ELNS1_3gpuE2ELNS1_3repE0EEENS1_30default_config_static_selectorELNS0_4arch9wavefront6targetE1EEEvT1_, .Lfunc_end667-_ZN7rocprim17ROCPRIM_400000_NS6detail17trampoline_kernelINS0_14default_configENS1_35adjacent_difference_config_selectorILb0ElEEZNS1_24adjacent_difference_implIS3_Lb0ELb0EPlS7_ZN2at6native12_GLOBAL__N_124unique_dim_cuda_templateIsEESt5tupleIJNS8_6TensorESD_SD_EERKSD_lbbbEUlllE1_EE10hipError_tPvRmT2_T3_mT4_P12ihipStream_tbEUlT_E_NS1_11comp_targetILNS1_3genE8ELNS1_11target_archE1030ELNS1_3gpuE2ELNS1_3repE0EEENS1_30default_config_static_selectorELNS0_4arch9wavefront6targetE1EEEvT1_
                                        ; -- End function
	.set _ZN7rocprim17ROCPRIM_400000_NS6detail17trampoline_kernelINS0_14default_configENS1_35adjacent_difference_config_selectorILb0ElEEZNS1_24adjacent_difference_implIS3_Lb0ELb0EPlS7_ZN2at6native12_GLOBAL__N_124unique_dim_cuda_templateIsEESt5tupleIJNS8_6TensorESD_SD_EERKSD_lbbbEUlllE1_EE10hipError_tPvRmT2_T3_mT4_P12ihipStream_tbEUlT_E_NS1_11comp_targetILNS1_3genE8ELNS1_11target_archE1030ELNS1_3gpuE2ELNS1_3repE0EEENS1_30default_config_static_selectorELNS0_4arch9wavefront6targetE1EEEvT1_.num_vgpr, 0
	.set _ZN7rocprim17ROCPRIM_400000_NS6detail17trampoline_kernelINS0_14default_configENS1_35adjacent_difference_config_selectorILb0ElEEZNS1_24adjacent_difference_implIS3_Lb0ELb0EPlS7_ZN2at6native12_GLOBAL__N_124unique_dim_cuda_templateIsEESt5tupleIJNS8_6TensorESD_SD_EERKSD_lbbbEUlllE1_EE10hipError_tPvRmT2_T3_mT4_P12ihipStream_tbEUlT_E_NS1_11comp_targetILNS1_3genE8ELNS1_11target_archE1030ELNS1_3gpuE2ELNS1_3repE0EEENS1_30default_config_static_selectorELNS0_4arch9wavefront6targetE1EEEvT1_.num_agpr, 0
	.set _ZN7rocprim17ROCPRIM_400000_NS6detail17trampoline_kernelINS0_14default_configENS1_35adjacent_difference_config_selectorILb0ElEEZNS1_24adjacent_difference_implIS3_Lb0ELb0EPlS7_ZN2at6native12_GLOBAL__N_124unique_dim_cuda_templateIsEESt5tupleIJNS8_6TensorESD_SD_EERKSD_lbbbEUlllE1_EE10hipError_tPvRmT2_T3_mT4_P12ihipStream_tbEUlT_E_NS1_11comp_targetILNS1_3genE8ELNS1_11target_archE1030ELNS1_3gpuE2ELNS1_3repE0EEENS1_30default_config_static_selectorELNS0_4arch9wavefront6targetE1EEEvT1_.numbered_sgpr, 0
	.set _ZN7rocprim17ROCPRIM_400000_NS6detail17trampoline_kernelINS0_14default_configENS1_35adjacent_difference_config_selectorILb0ElEEZNS1_24adjacent_difference_implIS3_Lb0ELb0EPlS7_ZN2at6native12_GLOBAL__N_124unique_dim_cuda_templateIsEESt5tupleIJNS8_6TensorESD_SD_EERKSD_lbbbEUlllE1_EE10hipError_tPvRmT2_T3_mT4_P12ihipStream_tbEUlT_E_NS1_11comp_targetILNS1_3genE8ELNS1_11target_archE1030ELNS1_3gpuE2ELNS1_3repE0EEENS1_30default_config_static_selectorELNS0_4arch9wavefront6targetE1EEEvT1_.num_named_barrier, 0
	.set _ZN7rocprim17ROCPRIM_400000_NS6detail17trampoline_kernelINS0_14default_configENS1_35adjacent_difference_config_selectorILb0ElEEZNS1_24adjacent_difference_implIS3_Lb0ELb0EPlS7_ZN2at6native12_GLOBAL__N_124unique_dim_cuda_templateIsEESt5tupleIJNS8_6TensorESD_SD_EERKSD_lbbbEUlllE1_EE10hipError_tPvRmT2_T3_mT4_P12ihipStream_tbEUlT_E_NS1_11comp_targetILNS1_3genE8ELNS1_11target_archE1030ELNS1_3gpuE2ELNS1_3repE0EEENS1_30default_config_static_selectorELNS0_4arch9wavefront6targetE1EEEvT1_.private_seg_size, 0
	.set _ZN7rocprim17ROCPRIM_400000_NS6detail17trampoline_kernelINS0_14default_configENS1_35adjacent_difference_config_selectorILb0ElEEZNS1_24adjacent_difference_implIS3_Lb0ELb0EPlS7_ZN2at6native12_GLOBAL__N_124unique_dim_cuda_templateIsEESt5tupleIJNS8_6TensorESD_SD_EERKSD_lbbbEUlllE1_EE10hipError_tPvRmT2_T3_mT4_P12ihipStream_tbEUlT_E_NS1_11comp_targetILNS1_3genE8ELNS1_11target_archE1030ELNS1_3gpuE2ELNS1_3repE0EEENS1_30default_config_static_selectorELNS0_4arch9wavefront6targetE1EEEvT1_.uses_vcc, 0
	.set _ZN7rocprim17ROCPRIM_400000_NS6detail17trampoline_kernelINS0_14default_configENS1_35adjacent_difference_config_selectorILb0ElEEZNS1_24adjacent_difference_implIS3_Lb0ELb0EPlS7_ZN2at6native12_GLOBAL__N_124unique_dim_cuda_templateIsEESt5tupleIJNS8_6TensorESD_SD_EERKSD_lbbbEUlllE1_EE10hipError_tPvRmT2_T3_mT4_P12ihipStream_tbEUlT_E_NS1_11comp_targetILNS1_3genE8ELNS1_11target_archE1030ELNS1_3gpuE2ELNS1_3repE0EEENS1_30default_config_static_selectorELNS0_4arch9wavefront6targetE1EEEvT1_.uses_flat_scratch, 0
	.set _ZN7rocprim17ROCPRIM_400000_NS6detail17trampoline_kernelINS0_14default_configENS1_35adjacent_difference_config_selectorILb0ElEEZNS1_24adjacent_difference_implIS3_Lb0ELb0EPlS7_ZN2at6native12_GLOBAL__N_124unique_dim_cuda_templateIsEESt5tupleIJNS8_6TensorESD_SD_EERKSD_lbbbEUlllE1_EE10hipError_tPvRmT2_T3_mT4_P12ihipStream_tbEUlT_E_NS1_11comp_targetILNS1_3genE8ELNS1_11target_archE1030ELNS1_3gpuE2ELNS1_3repE0EEENS1_30default_config_static_selectorELNS0_4arch9wavefront6targetE1EEEvT1_.has_dyn_sized_stack, 0
	.set _ZN7rocprim17ROCPRIM_400000_NS6detail17trampoline_kernelINS0_14default_configENS1_35adjacent_difference_config_selectorILb0ElEEZNS1_24adjacent_difference_implIS3_Lb0ELb0EPlS7_ZN2at6native12_GLOBAL__N_124unique_dim_cuda_templateIsEESt5tupleIJNS8_6TensorESD_SD_EERKSD_lbbbEUlllE1_EE10hipError_tPvRmT2_T3_mT4_P12ihipStream_tbEUlT_E_NS1_11comp_targetILNS1_3genE8ELNS1_11target_archE1030ELNS1_3gpuE2ELNS1_3repE0EEENS1_30default_config_static_selectorELNS0_4arch9wavefront6targetE1EEEvT1_.has_recursion, 0
	.set _ZN7rocprim17ROCPRIM_400000_NS6detail17trampoline_kernelINS0_14default_configENS1_35adjacent_difference_config_selectorILb0ElEEZNS1_24adjacent_difference_implIS3_Lb0ELb0EPlS7_ZN2at6native12_GLOBAL__N_124unique_dim_cuda_templateIsEESt5tupleIJNS8_6TensorESD_SD_EERKSD_lbbbEUlllE1_EE10hipError_tPvRmT2_T3_mT4_P12ihipStream_tbEUlT_E_NS1_11comp_targetILNS1_3genE8ELNS1_11target_archE1030ELNS1_3gpuE2ELNS1_3repE0EEENS1_30default_config_static_selectorELNS0_4arch9wavefront6targetE1EEEvT1_.has_indirect_call, 0
	.section	.AMDGPU.csdata,"",@progbits
; Kernel info:
; codeLenInByte = 0
; TotalNumSgprs: 6
; NumVgprs: 0
; NumAgprs: 0
; TotalNumVgprs: 0
; ScratchSize: 0
; MemoryBound: 0
; FloatMode: 240
; IeeeMode: 1
; LDSByteSize: 0 bytes/workgroup (compile time only)
; SGPRBlocks: 0
; VGPRBlocks: 0
; NumSGPRsForWavesPerEU: 6
; NumVGPRsForWavesPerEU: 1
; AccumOffset: 4
; Occupancy: 8
; WaveLimiterHint : 0
; COMPUTE_PGM_RSRC2:SCRATCH_EN: 0
; COMPUTE_PGM_RSRC2:USER_SGPR: 2
; COMPUTE_PGM_RSRC2:TRAP_HANDLER: 0
; COMPUTE_PGM_RSRC2:TGID_X_EN: 1
; COMPUTE_PGM_RSRC2:TGID_Y_EN: 0
; COMPUTE_PGM_RSRC2:TGID_Z_EN: 0
; COMPUTE_PGM_RSRC2:TIDIG_COMP_CNT: 0
; COMPUTE_PGM_RSRC3_GFX90A:ACCUM_OFFSET: 0
; COMPUTE_PGM_RSRC3_GFX90A:TG_SPLIT: 0
	.section	.text._ZN7rocprim17ROCPRIM_400000_NS6detail17trampoline_kernelINS0_14default_configENS1_25transform_config_selectorIlLb0EEEZNS1_14transform_implILb0ES3_S5_NS0_18transform_iteratorINS0_17counting_iteratorImlEEZNS1_24adjacent_difference_implIS3_Lb1ELb0EPlSB_ZN2at6native12_GLOBAL__N_124unique_dim_cuda_templateIsEESt5tupleIJNSC_6TensorESH_SH_EERKSH_lbbbEUlllE1_EE10hipError_tPvRmT2_T3_mT4_P12ihipStream_tbEUlmE_lEESB_NS0_8identityIvEEEESM_SP_SQ_mSR_ST_bEUlT_E_NS1_11comp_targetILNS1_3genE0ELNS1_11target_archE4294967295ELNS1_3gpuE0ELNS1_3repE0EEENS1_30default_config_static_selectorELNS0_4arch9wavefront6targetE1EEEvT1_,"axG",@progbits,_ZN7rocprim17ROCPRIM_400000_NS6detail17trampoline_kernelINS0_14default_configENS1_25transform_config_selectorIlLb0EEEZNS1_14transform_implILb0ES3_S5_NS0_18transform_iteratorINS0_17counting_iteratorImlEEZNS1_24adjacent_difference_implIS3_Lb1ELb0EPlSB_ZN2at6native12_GLOBAL__N_124unique_dim_cuda_templateIsEESt5tupleIJNSC_6TensorESH_SH_EERKSH_lbbbEUlllE1_EE10hipError_tPvRmT2_T3_mT4_P12ihipStream_tbEUlmE_lEESB_NS0_8identityIvEEEESM_SP_SQ_mSR_ST_bEUlT_E_NS1_11comp_targetILNS1_3genE0ELNS1_11target_archE4294967295ELNS1_3gpuE0ELNS1_3repE0EEENS1_30default_config_static_selectorELNS0_4arch9wavefront6targetE1EEEvT1_,comdat
	.globl	_ZN7rocprim17ROCPRIM_400000_NS6detail17trampoline_kernelINS0_14default_configENS1_25transform_config_selectorIlLb0EEEZNS1_14transform_implILb0ES3_S5_NS0_18transform_iteratorINS0_17counting_iteratorImlEEZNS1_24adjacent_difference_implIS3_Lb1ELb0EPlSB_ZN2at6native12_GLOBAL__N_124unique_dim_cuda_templateIsEESt5tupleIJNSC_6TensorESH_SH_EERKSH_lbbbEUlllE1_EE10hipError_tPvRmT2_T3_mT4_P12ihipStream_tbEUlmE_lEESB_NS0_8identityIvEEEESM_SP_SQ_mSR_ST_bEUlT_E_NS1_11comp_targetILNS1_3genE0ELNS1_11target_archE4294967295ELNS1_3gpuE0ELNS1_3repE0EEENS1_30default_config_static_selectorELNS0_4arch9wavefront6targetE1EEEvT1_ ; -- Begin function _ZN7rocprim17ROCPRIM_400000_NS6detail17trampoline_kernelINS0_14default_configENS1_25transform_config_selectorIlLb0EEEZNS1_14transform_implILb0ES3_S5_NS0_18transform_iteratorINS0_17counting_iteratorImlEEZNS1_24adjacent_difference_implIS3_Lb1ELb0EPlSB_ZN2at6native12_GLOBAL__N_124unique_dim_cuda_templateIsEESt5tupleIJNSC_6TensorESH_SH_EERKSH_lbbbEUlllE1_EE10hipError_tPvRmT2_T3_mT4_P12ihipStream_tbEUlmE_lEESB_NS0_8identityIvEEEESM_SP_SQ_mSR_ST_bEUlT_E_NS1_11comp_targetILNS1_3genE0ELNS1_11target_archE4294967295ELNS1_3gpuE0ELNS1_3repE0EEENS1_30default_config_static_selectorELNS0_4arch9wavefront6targetE1EEEvT1_
	.p2align	8
	.type	_ZN7rocprim17ROCPRIM_400000_NS6detail17trampoline_kernelINS0_14default_configENS1_25transform_config_selectorIlLb0EEEZNS1_14transform_implILb0ES3_S5_NS0_18transform_iteratorINS0_17counting_iteratorImlEEZNS1_24adjacent_difference_implIS3_Lb1ELb0EPlSB_ZN2at6native12_GLOBAL__N_124unique_dim_cuda_templateIsEESt5tupleIJNSC_6TensorESH_SH_EERKSH_lbbbEUlllE1_EE10hipError_tPvRmT2_T3_mT4_P12ihipStream_tbEUlmE_lEESB_NS0_8identityIvEEEESM_SP_SQ_mSR_ST_bEUlT_E_NS1_11comp_targetILNS1_3genE0ELNS1_11target_archE4294967295ELNS1_3gpuE0ELNS1_3repE0EEENS1_30default_config_static_selectorELNS0_4arch9wavefront6targetE1EEEvT1_,@function
_ZN7rocprim17ROCPRIM_400000_NS6detail17trampoline_kernelINS0_14default_configENS1_25transform_config_selectorIlLb0EEEZNS1_14transform_implILb0ES3_S5_NS0_18transform_iteratorINS0_17counting_iteratorImlEEZNS1_24adjacent_difference_implIS3_Lb1ELb0EPlSB_ZN2at6native12_GLOBAL__N_124unique_dim_cuda_templateIsEESt5tupleIJNSC_6TensorESH_SH_EERKSH_lbbbEUlllE1_EE10hipError_tPvRmT2_T3_mT4_P12ihipStream_tbEUlmE_lEESB_NS0_8identityIvEEEESM_SP_SQ_mSR_ST_bEUlT_E_NS1_11comp_targetILNS1_3genE0ELNS1_11target_archE4294967295ELNS1_3gpuE0ELNS1_3repE0EEENS1_30default_config_static_selectorELNS0_4arch9wavefront6targetE1EEEvT1_: ; @_ZN7rocprim17ROCPRIM_400000_NS6detail17trampoline_kernelINS0_14default_configENS1_25transform_config_selectorIlLb0EEEZNS1_14transform_implILb0ES3_S5_NS0_18transform_iteratorINS0_17counting_iteratorImlEEZNS1_24adjacent_difference_implIS3_Lb1ELb0EPlSB_ZN2at6native12_GLOBAL__N_124unique_dim_cuda_templateIsEESt5tupleIJNSC_6TensorESH_SH_EERKSH_lbbbEUlllE1_EE10hipError_tPvRmT2_T3_mT4_P12ihipStream_tbEUlmE_lEESB_NS0_8identityIvEEEESM_SP_SQ_mSR_ST_bEUlT_E_NS1_11comp_targetILNS1_3genE0ELNS1_11target_archE4294967295ELNS1_3gpuE0ELNS1_3repE0EEENS1_30default_config_static_selectorELNS0_4arch9wavefront6targetE1EEEvT1_
; %bb.0:
	s_load_dword s3, s[0:1], 0x38
	s_load_dword s5, s[0:1], 0x20
	s_lshl_b32 s4, s2, 7
	s_waitcnt lgkmcnt(0)
	s_add_i32 s3, s3, -1
	s_cmp_lg_u32 s2, s3
	s_cselect_b64 s[2:3], -1, 0
	s_sub_i32 s5, s5, s4
	v_cmp_gt_u32_e32 vcc, s5, v0
	s_or_b64 s[2:3], s[2:3], vcc
	s_and_saveexec_b64 s[6:7], s[2:3]
	s_cbranch_execz .LBB668_2
; %bb.1:
	s_load_dwordx2 s[2:3], s[0:1], 0x18
	s_load_dwordx4 s[8:11], s[0:1], 0x0
	s_load_dwordx2 s[6:7], s[0:1], 0x28
	s_load_dword s5, s[0:1], 0x10
	v_mov_b32_e32 v1, 0
	s_waitcnt lgkmcnt(0)
	s_lshl_b64 s[0:1], s[2:3], 3
	v_mov_b32_e32 v2, s10
	s_add_u32 s6, s6, s0
	s_addc_u32 s7, s7, s1
	s_add_u32 s0, s8, s2
	s_addc_u32 s1, s9, s3
	s_add_u32 s0, s0, s4
	s_addc_u32 s1, s1, 0
	v_lshl_add_u64 v[4:5], s[0:1], 0, v[0:1]
	v_mad_u64_u32 v[6:7], s[0:1], v4, s5, 0
	v_mov_b32_e32 v4, v7
	v_mad_u64_u32 v[4:5], s[0:1], v5, s5, v[4:5]
	v_mov_b32_e32 v3, s11
	v_mov_b32_e32 v7, v4
	v_lshl_add_u64 v[2:3], v[6:7], 3, v[2:3]
	global_load_dwordx2 v[2:3], v[2:3], off
	s_mov_b32 s5, 0
	s_lshl_b64 s[0:1], s[4:5], 3
	s_add_u32 s0, s6, s0
	s_addc_u32 s1, s7, s1
	v_lshl_add_u64 v[0:1], v[0:1], 3, s[0:1]
	s_waitcnt vmcnt(0)
	global_store_dwordx2 v[0:1], v[2:3], off
.LBB668_2:
	s_endpgm
	.section	.rodata,"a",@progbits
	.p2align	6, 0x0
	.amdhsa_kernel _ZN7rocprim17ROCPRIM_400000_NS6detail17trampoline_kernelINS0_14default_configENS1_25transform_config_selectorIlLb0EEEZNS1_14transform_implILb0ES3_S5_NS0_18transform_iteratorINS0_17counting_iteratorImlEEZNS1_24adjacent_difference_implIS3_Lb1ELb0EPlSB_ZN2at6native12_GLOBAL__N_124unique_dim_cuda_templateIsEESt5tupleIJNSC_6TensorESH_SH_EERKSH_lbbbEUlllE1_EE10hipError_tPvRmT2_T3_mT4_P12ihipStream_tbEUlmE_lEESB_NS0_8identityIvEEEESM_SP_SQ_mSR_ST_bEUlT_E_NS1_11comp_targetILNS1_3genE0ELNS1_11target_archE4294967295ELNS1_3gpuE0ELNS1_3repE0EEENS1_30default_config_static_selectorELNS0_4arch9wavefront6targetE1EEEvT1_
		.amdhsa_group_segment_fixed_size 0
		.amdhsa_private_segment_fixed_size 0
		.amdhsa_kernarg_size 312
		.amdhsa_user_sgpr_count 2
		.amdhsa_user_sgpr_dispatch_ptr 0
		.amdhsa_user_sgpr_queue_ptr 0
		.amdhsa_user_sgpr_kernarg_segment_ptr 1
		.amdhsa_user_sgpr_dispatch_id 0
		.amdhsa_user_sgpr_kernarg_preload_length 0
		.amdhsa_user_sgpr_kernarg_preload_offset 0
		.amdhsa_user_sgpr_private_segment_size 0
		.amdhsa_uses_dynamic_stack 0
		.amdhsa_enable_private_segment 0
		.amdhsa_system_sgpr_workgroup_id_x 1
		.amdhsa_system_sgpr_workgroup_id_y 0
		.amdhsa_system_sgpr_workgroup_id_z 0
		.amdhsa_system_sgpr_workgroup_info 0
		.amdhsa_system_vgpr_workitem_id 0
		.amdhsa_next_free_vgpr 8
		.amdhsa_next_free_sgpr 12
		.amdhsa_accum_offset 8
		.amdhsa_reserve_vcc 1
		.amdhsa_float_round_mode_32 0
		.amdhsa_float_round_mode_16_64 0
		.amdhsa_float_denorm_mode_32 3
		.amdhsa_float_denorm_mode_16_64 3
		.amdhsa_dx10_clamp 1
		.amdhsa_ieee_mode 1
		.amdhsa_fp16_overflow 0
		.amdhsa_tg_split 0
		.amdhsa_exception_fp_ieee_invalid_op 0
		.amdhsa_exception_fp_denorm_src 0
		.amdhsa_exception_fp_ieee_div_zero 0
		.amdhsa_exception_fp_ieee_overflow 0
		.amdhsa_exception_fp_ieee_underflow 0
		.amdhsa_exception_fp_ieee_inexact 0
		.amdhsa_exception_int_div_zero 0
	.end_amdhsa_kernel
	.section	.text._ZN7rocprim17ROCPRIM_400000_NS6detail17trampoline_kernelINS0_14default_configENS1_25transform_config_selectorIlLb0EEEZNS1_14transform_implILb0ES3_S5_NS0_18transform_iteratorINS0_17counting_iteratorImlEEZNS1_24adjacent_difference_implIS3_Lb1ELb0EPlSB_ZN2at6native12_GLOBAL__N_124unique_dim_cuda_templateIsEESt5tupleIJNSC_6TensorESH_SH_EERKSH_lbbbEUlllE1_EE10hipError_tPvRmT2_T3_mT4_P12ihipStream_tbEUlmE_lEESB_NS0_8identityIvEEEESM_SP_SQ_mSR_ST_bEUlT_E_NS1_11comp_targetILNS1_3genE0ELNS1_11target_archE4294967295ELNS1_3gpuE0ELNS1_3repE0EEENS1_30default_config_static_selectorELNS0_4arch9wavefront6targetE1EEEvT1_,"axG",@progbits,_ZN7rocprim17ROCPRIM_400000_NS6detail17trampoline_kernelINS0_14default_configENS1_25transform_config_selectorIlLb0EEEZNS1_14transform_implILb0ES3_S5_NS0_18transform_iteratorINS0_17counting_iteratorImlEEZNS1_24adjacent_difference_implIS3_Lb1ELb0EPlSB_ZN2at6native12_GLOBAL__N_124unique_dim_cuda_templateIsEESt5tupleIJNSC_6TensorESH_SH_EERKSH_lbbbEUlllE1_EE10hipError_tPvRmT2_T3_mT4_P12ihipStream_tbEUlmE_lEESB_NS0_8identityIvEEEESM_SP_SQ_mSR_ST_bEUlT_E_NS1_11comp_targetILNS1_3genE0ELNS1_11target_archE4294967295ELNS1_3gpuE0ELNS1_3repE0EEENS1_30default_config_static_selectorELNS0_4arch9wavefront6targetE1EEEvT1_,comdat
.Lfunc_end668:
	.size	_ZN7rocprim17ROCPRIM_400000_NS6detail17trampoline_kernelINS0_14default_configENS1_25transform_config_selectorIlLb0EEEZNS1_14transform_implILb0ES3_S5_NS0_18transform_iteratorINS0_17counting_iteratorImlEEZNS1_24adjacent_difference_implIS3_Lb1ELb0EPlSB_ZN2at6native12_GLOBAL__N_124unique_dim_cuda_templateIsEESt5tupleIJNSC_6TensorESH_SH_EERKSH_lbbbEUlllE1_EE10hipError_tPvRmT2_T3_mT4_P12ihipStream_tbEUlmE_lEESB_NS0_8identityIvEEEESM_SP_SQ_mSR_ST_bEUlT_E_NS1_11comp_targetILNS1_3genE0ELNS1_11target_archE4294967295ELNS1_3gpuE0ELNS1_3repE0EEENS1_30default_config_static_selectorELNS0_4arch9wavefront6targetE1EEEvT1_, .Lfunc_end668-_ZN7rocprim17ROCPRIM_400000_NS6detail17trampoline_kernelINS0_14default_configENS1_25transform_config_selectorIlLb0EEEZNS1_14transform_implILb0ES3_S5_NS0_18transform_iteratorINS0_17counting_iteratorImlEEZNS1_24adjacent_difference_implIS3_Lb1ELb0EPlSB_ZN2at6native12_GLOBAL__N_124unique_dim_cuda_templateIsEESt5tupleIJNSC_6TensorESH_SH_EERKSH_lbbbEUlllE1_EE10hipError_tPvRmT2_T3_mT4_P12ihipStream_tbEUlmE_lEESB_NS0_8identityIvEEEESM_SP_SQ_mSR_ST_bEUlT_E_NS1_11comp_targetILNS1_3genE0ELNS1_11target_archE4294967295ELNS1_3gpuE0ELNS1_3repE0EEENS1_30default_config_static_selectorELNS0_4arch9wavefront6targetE1EEEvT1_
                                        ; -- End function
	.set _ZN7rocprim17ROCPRIM_400000_NS6detail17trampoline_kernelINS0_14default_configENS1_25transform_config_selectorIlLb0EEEZNS1_14transform_implILb0ES3_S5_NS0_18transform_iteratorINS0_17counting_iteratorImlEEZNS1_24adjacent_difference_implIS3_Lb1ELb0EPlSB_ZN2at6native12_GLOBAL__N_124unique_dim_cuda_templateIsEESt5tupleIJNSC_6TensorESH_SH_EERKSH_lbbbEUlllE1_EE10hipError_tPvRmT2_T3_mT4_P12ihipStream_tbEUlmE_lEESB_NS0_8identityIvEEEESM_SP_SQ_mSR_ST_bEUlT_E_NS1_11comp_targetILNS1_3genE0ELNS1_11target_archE4294967295ELNS1_3gpuE0ELNS1_3repE0EEENS1_30default_config_static_selectorELNS0_4arch9wavefront6targetE1EEEvT1_.num_vgpr, 8
	.set _ZN7rocprim17ROCPRIM_400000_NS6detail17trampoline_kernelINS0_14default_configENS1_25transform_config_selectorIlLb0EEEZNS1_14transform_implILb0ES3_S5_NS0_18transform_iteratorINS0_17counting_iteratorImlEEZNS1_24adjacent_difference_implIS3_Lb1ELb0EPlSB_ZN2at6native12_GLOBAL__N_124unique_dim_cuda_templateIsEESt5tupleIJNSC_6TensorESH_SH_EERKSH_lbbbEUlllE1_EE10hipError_tPvRmT2_T3_mT4_P12ihipStream_tbEUlmE_lEESB_NS0_8identityIvEEEESM_SP_SQ_mSR_ST_bEUlT_E_NS1_11comp_targetILNS1_3genE0ELNS1_11target_archE4294967295ELNS1_3gpuE0ELNS1_3repE0EEENS1_30default_config_static_selectorELNS0_4arch9wavefront6targetE1EEEvT1_.num_agpr, 0
	.set _ZN7rocprim17ROCPRIM_400000_NS6detail17trampoline_kernelINS0_14default_configENS1_25transform_config_selectorIlLb0EEEZNS1_14transform_implILb0ES3_S5_NS0_18transform_iteratorINS0_17counting_iteratorImlEEZNS1_24adjacent_difference_implIS3_Lb1ELb0EPlSB_ZN2at6native12_GLOBAL__N_124unique_dim_cuda_templateIsEESt5tupleIJNSC_6TensorESH_SH_EERKSH_lbbbEUlllE1_EE10hipError_tPvRmT2_T3_mT4_P12ihipStream_tbEUlmE_lEESB_NS0_8identityIvEEEESM_SP_SQ_mSR_ST_bEUlT_E_NS1_11comp_targetILNS1_3genE0ELNS1_11target_archE4294967295ELNS1_3gpuE0ELNS1_3repE0EEENS1_30default_config_static_selectorELNS0_4arch9wavefront6targetE1EEEvT1_.numbered_sgpr, 12
	.set _ZN7rocprim17ROCPRIM_400000_NS6detail17trampoline_kernelINS0_14default_configENS1_25transform_config_selectorIlLb0EEEZNS1_14transform_implILb0ES3_S5_NS0_18transform_iteratorINS0_17counting_iteratorImlEEZNS1_24adjacent_difference_implIS3_Lb1ELb0EPlSB_ZN2at6native12_GLOBAL__N_124unique_dim_cuda_templateIsEESt5tupleIJNSC_6TensorESH_SH_EERKSH_lbbbEUlllE1_EE10hipError_tPvRmT2_T3_mT4_P12ihipStream_tbEUlmE_lEESB_NS0_8identityIvEEEESM_SP_SQ_mSR_ST_bEUlT_E_NS1_11comp_targetILNS1_3genE0ELNS1_11target_archE4294967295ELNS1_3gpuE0ELNS1_3repE0EEENS1_30default_config_static_selectorELNS0_4arch9wavefront6targetE1EEEvT1_.num_named_barrier, 0
	.set _ZN7rocprim17ROCPRIM_400000_NS6detail17trampoline_kernelINS0_14default_configENS1_25transform_config_selectorIlLb0EEEZNS1_14transform_implILb0ES3_S5_NS0_18transform_iteratorINS0_17counting_iteratorImlEEZNS1_24adjacent_difference_implIS3_Lb1ELb0EPlSB_ZN2at6native12_GLOBAL__N_124unique_dim_cuda_templateIsEESt5tupleIJNSC_6TensorESH_SH_EERKSH_lbbbEUlllE1_EE10hipError_tPvRmT2_T3_mT4_P12ihipStream_tbEUlmE_lEESB_NS0_8identityIvEEEESM_SP_SQ_mSR_ST_bEUlT_E_NS1_11comp_targetILNS1_3genE0ELNS1_11target_archE4294967295ELNS1_3gpuE0ELNS1_3repE0EEENS1_30default_config_static_selectorELNS0_4arch9wavefront6targetE1EEEvT1_.private_seg_size, 0
	.set _ZN7rocprim17ROCPRIM_400000_NS6detail17trampoline_kernelINS0_14default_configENS1_25transform_config_selectorIlLb0EEEZNS1_14transform_implILb0ES3_S5_NS0_18transform_iteratorINS0_17counting_iteratorImlEEZNS1_24adjacent_difference_implIS3_Lb1ELb0EPlSB_ZN2at6native12_GLOBAL__N_124unique_dim_cuda_templateIsEESt5tupleIJNSC_6TensorESH_SH_EERKSH_lbbbEUlllE1_EE10hipError_tPvRmT2_T3_mT4_P12ihipStream_tbEUlmE_lEESB_NS0_8identityIvEEEESM_SP_SQ_mSR_ST_bEUlT_E_NS1_11comp_targetILNS1_3genE0ELNS1_11target_archE4294967295ELNS1_3gpuE0ELNS1_3repE0EEENS1_30default_config_static_selectorELNS0_4arch9wavefront6targetE1EEEvT1_.uses_vcc, 1
	.set _ZN7rocprim17ROCPRIM_400000_NS6detail17trampoline_kernelINS0_14default_configENS1_25transform_config_selectorIlLb0EEEZNS1_14transform_implILb0ES3_S5_NS0_18transform_iteratorINS0_17counting_iteratorImlEEZNS1_24adjacent_difference_implIS3_Lb1ELb0EPlSB_ZN2at6native12_GLOBAL__N_124unique_dim_cuda_templateIsEESt5tupleIJNSC_6TensorESH_SH_EERKSH_lbbbEUlllE1_EE10hipError_tPvRmT2_T3_mT4_P12ihipStream_tbEUlmE_lEESB_NS0_8identityIvEEEESM_SP_SQ_mSR_ST_bEUlT_E_NS1_11comp_targetILNS1_3genE0ELNS1_11target_archE4294967295ELNS1_3gpuE0ELNS1_3repE0EEENS1_30default_config_static_selectorELNS0_4arch9wavefront6targetE1EEEvT1_.uses_flat_scratch, 0
	.set _ZN7rocprim17ROCPRIM_400000_NS6detail17trampoline_kernelINS0_14default_configENS1_25transform_config_selectorIlLb0EEEZNS1_14transform_implILb0ES3_S5_NS0_18transform_iteratorINS0_17counting_iteratorImlEEZNS1_24adjacent_difference_implIS3_Lb1ELb0EPlSB_ZN2at6native12_GLOBAL__N_124unique_dim_cuda_templateIsEESt5tupleIJNSC_6TensorESH_SH_EERKSH_lbbbEUlllE1_EE10hipError_tPvRmT2_T3_mT4_P12ihipStream_tbEUlmE_lEESB_NS0_8identityIvEEEESM_SP_SQ_mSR_ST_bEUlT_E_NS1_11comp_targetILNS1_3genE0ELNS1_11target_archE4294967295ELNS1_3gpuE0ELNS1_3repE0EEENS1_30default_config_static_selectorELNS0_4arch9wavefront6targetE1EEEvT1_.has_dyn_sized_stack, 0
	.set _ZN7rocprim17ROCPRIM_400000_NS6detail17trampoline_kernelINS0_14default_configENS1_25transform_config_selectorIlLb0EEEZNS1_14transform_implILb0ES3_S5_NS0_18transform_iteratorINS0_17counting_iteratorImlEEZNS1_24adjacent_difference_implIS3_Lb1ELb0EPlSB_ZN2at6native12_GLOBAL__N_124unique_dim_cuda_templateIsEESt5tupleIJNSC_6TensorESH_SH_EERKSH_lbbbEUlllE1_EE10hipError_tPvRmT2_T3_mT4_P12ihipStream_tbEUlmE_lEESB_NS0_8identityIvEEEESM_SP_SQ_mSR_ST_bEUlT_E_NS1_11comp_targetILNS1_3genE0ELNS1_11target_archE4294967295ELNS1_3gpuE0ELNS1_3repE0EEENS1_30default_config_static_selectorELNS0_4arch9wavefront6targetE1EEEvT1_.has_recursion, 0
	.set _ZN7rocprim17ROCPRIM_400000_NS6detail17trampoline_kernelINS0_14default_configENS1_25transform_config_selectorIlLb0EEEZNS1_14transform_implILb0ES3_S5_NS0_18transform_iteratorINS0_17counting_iteratorImlEEZNS1_24adjacent_difference_implIS3_Lb1ELb0EPlSB_ZN2at6native12_GLOBAL__N_124unique_dim_cuda_templateIsEESt5tupleIJNSC_6TensorESH_SH_EERKSH_lbbbEUlllE1_EE10hipError_tPvRmT2_T3_mT4_P12ihipStream_tbEUlmE_lEESB_NS0_8identityIvEEEESM_SP_SQ_mSR_ST_bEUlT_E_NS1_11comp_targetILNS1_3genE0ELNS1_11target_archE4294967295ELNS1_3gpuE0ELNS1_3repE0EEENS1_30default_config_static_selectorELNS0_4arch9wavefront6targetE1EEEvT1_.has_indirect_call, 0
	.section	.AMDGPU.csdata,"",@progbits
; Kernel info:
; codeLenInByte = 220
; TotalNumSgprs: 18
; NumVgprs: 8
; NumAgprs: 0
; TotalNumVgprs: 8
; ScratchSize: 0
; MemoryBound: 0
; FloatMode: 240
; IeeeMode: 1
; LDSByteSize: 0 bytes/workgroup (compile time only)
; SGPRBlocks: 2
; VGPRBlocks: 0
; NumSGPRsForWavesPerEU: 18
; NumVGPRsForWavesPerEU: 8
; AccumOffset: 8
; Occupancy: 8
; WaveLimiterHint : 0
; COMPUTE_PGM_RSRC2:SCRATCH_EN: 0
; COMPUTE_PGM_RSRC2:USER_SGPR: 2
; COMPUTE_PGM_RSRC2:TRAP_HANDLER: 0
; COMPUTE_PGM_RSRC2:TGID_X_EN: 1
; COMPUTE_PGM_RSRC2:TGID_Y_EN: 0
; COMPUTE_PGM_RSRC2:TGID_Z_EN: 0
; COMPUTE_PGM_RSRC2:TIDIG_COMP_CNT: 0
; COMPUTE_PGM_RSRC3_GFX90A:ACCUM_OFFSET: 1
; COMPUTE_PGM_RSRC3_GFX90A:TG_SPLIT: 0
	.section	.text._ZN7rocprim17ROCPRIM_400000_NS6detail17trampoline_kernelINS0_14default_configENS1_25transform_config_selectorIlLb0EEEZNS1_14transform_implILb0ES3_S5_NS0_18transform_iteratorINS0_17counting_iteratorImlEEZNS1_24adjacent_difference_implIS3_Lb1ELb0EPlSB_ZN2at6native12_GLOBAL__N_124unique_dim_cuda_templateIsEESt5tupleIJNSC_6TensorESH_SH_EERKSH_lbbbEUlllE1_EE10hipError_tPvRmT2_T3_mT4_P12ihipStream_tbEUlmE_lEESB_NS0_8identityIvEEEESM_SP_SQ_mSR_ST_bEUlT_E_NS1_11comp_targetILNS1_3genE5ELNS1_11target_archE942ELNS1_3gpuE9ELNS1_3repE0EEENS1_30default_config_static_selectorELNS0_4arch9wavefront6targetE1EEEvT1_,"axG",@progbits,_ZN7rocprim17ROCPRIM_400000_NS6detail17trampoline_kernelINS0_14default_configENS1_25transform_config_selectorIlLb0EEEZNS1_14transform_implILb0ES3_S5_NS0_18transform_iteratorINS0_17counting_iteratorImlEEZNS1_24adjacent_difference_implIS3_Lb1ELb0EPlSB_ZN2at6native12_GLOBAL__N_124unique_dim_cuda_templateIsEESt5tupleIJNSC_6TensorESH_SH_EERKSH_lbbbEUlllE1_EE10hipError_tPvRmT2_T3_mT4_P12ihipStream_tbEUlmE_lEESB_NS0_8identityIvEEEESM_SP_SQ_mSR_ST_bEUlT_E_NS1_11comp_targetILNS1_3genE5ELNS1_11target_archE942ELNS1_3gpuE9ELNS1_3repE0EEENS1_30default_config_static_selectorELNS0_4arch9wavefront6targetE1EEEvT1_,comdat
	.globl	_ZN7rocprim17ROCPRIM_400000_NS6detail17trampoline_kernelINS0_14default_configENS1_25transform_config_selectorIlLb0EEEZNS1_14transform_implILb0ES3_S5_NS0_18transform_iteratorINS0_17counting_iteratorImlEEZNS1_24adjacent_difference_implIS3_Lb1ELb0EPlSB_ZN2at6native12_GLOBAL__N_124unique_dim_cuda_templateIsEESt5tupleIJNSC_6TensorESH_SH_EERKSH_lbbbEUlllE1_EE10hipError_tPvRmT2_T3_mT4_P12ihipStream_tbEUlmE_lEESB_NS0_8identityIvEEEESM_SP_SQ_mSR_ST_bEUlT_E_NS1_11comp_targetILNS1_3genE5ELNS1_11target_archE942ELNS1_3gpuE9ELNS1_3repE0EEENS1_30default_config_static_selectorELNS0_4arch9wavefront6targetE1EEEvT1_ ; -- Begin function _ZN7rocprim17ROCPRIM_400000_NS6detail17trampoline_kernelINS0_14default_configENS1_25transform_config_selectorIlLb0EEEZNS1_14transform_implILb0ES3_S5_NS0_18transform_iteratorINS0_17counting_iteratorImlEEZNS1_24adjacent_difference_implIS3_Lb1ELb0EPlSB_ZN2at6native12_GLOBAL__N_124unique_dim_cuda_templateIsEESt5tupleIJNSC_6TensorESH_SH_EERKSH_lbbbEUlllE1_EE10hipError_tPvRmT2_T3_mT4_P12ihipStream_tbEUlmE_lEESB_NS0_8identityIvEEEESM_SP_SQ_mSR_ST_bEUlT_E_NS1_11comp_targetILNS1_3genE5ELNS1_11target_archE942ELNS1_3gpuE9ELNS1_3repE0EEENS1_30default_config_static_selectorELNS0_4arch9wavefront6targetE1EEEvT1_
	.p2align	8
	.type	_ZN7rocprim17ROCPRIM_400000_NS6detail17trampoline_kernelINS0_14default_configENS1_25transform_config_selectorIlLb0EEEZNS1_14transform_implILb0ES3_S5_NS0_18transform_iteratorINS0_17counting_iteratorImlEEZNS1_24adjacent_difference_implIS3_Lb1ELb0EPlSB_ZN2at6native12_GLOBAL__N_124unique_dim_cuda_templateIsEESt5tupleIJNSC_6TensorESH_SH_EERKSH_lbbbEUlllE1_EE10hipError_tPvRmT2_T3_mT4_P12ihipStream_tbEUlmE_lEESB_NS0_8identityIvEEEESM_SP_SQ_mSR_ST_bEUlT_E_NS1_11comp_targetILNS1_3genE5ELNS1_11target_archE942ELNS1_3gpuE9ELNS1_3repE0EEENS1_30default_config_static_selectorELNS0_4arch9wavefront6targetE1EEEvT1_,@function
_ZN7rocprim17ROCPRIM_400000_NS6detail17trampoline_kernelINS0_14default_configENS1_25transform_config_selectorIlLb0EEEZNS1_14transform_implILb0ES3_S5_NS0_18transform_iteratorINS0_17counting_iteratorImlEEZNS1_24adjacent_difference_implIS3_Lb1ELb0EPlSB_ZN2at6native12_GLOBAL__N_124unique_dim_cuda_templateIsEESt5tupleIJNSC_6TensorESH_SH_EERKSH_lbbbEUlllE1_EE10hipError_tPvRmT2_T3_mT4_P12ihipStream_tbEUlmE_lEESB_NS0_8identityIvEEEESM_SP_SQ_mSR_ST_bEUlT_E_NS1_11comp_targetILNS1_3genE5ELNS1_11target_archE942ELNS1_3gpuE9ELNS1_3repE0EEENS1_30default_config_static_selectorELNS0_4arch9wavefront6targetE1EEEvT1_: ; @_ZN7rocprim17ROCPRIM_400000_NS6detail17trampoline_kernelINS0_14default_configENS1_25transform_config_selectorIlLb0EEEZNS1_14transform_implILb0ES3_S5_NS0_18transform_iteratorINS0_17counting_iteratorImlEEZNS1_24adjacent_difference_implIS3_Lb1ELb0EPlSB_ZN2at6native12_GLOBAL__N_124unique_dim_cuda_templateIsEESt5tupleIJNSC_6TensorESH_SH_EERKSH_lbbbEUlllE1_EE10hipError_tPvRmT2_T3_mT4_P12ihipStream_tbEUlmE_lEESB_NS0_8identityIvEEEESM_SP_SQ_mSR_ST_bEUlT_E_NS1_11comp_targetILNS1_3genE5ELNS1_11target_archE942ELNS1_3gpuE9ELNS1_3repE0EEENS1_30default_config_static_selectorELNS0_4arch9wavefront6targetE1EEEvT1_
; %bb.0:
	.section	.rodata,"a",@progbits
	.p2align	6, 0x0
	.amdhsa_kernel _ZN7rocprim17ROCPRIM_400000_NS6detail17trampoline_kernelINS0_14default_configENS1_25transform_config_selectorIlLb0EEEZNS1_14transform_implILb0ES3_S5_NS0_18transform_iteratorINS0_17counting_iteratorImlEEZNS1_24adjacent_difference_implIS3_Lb1ELb0EPlSB_ZN2at6native12_GLOBAL__N_124unique_dim_cuda_templateIsEESt5tupleIJNSC_6TensorESH_SH_EERKSH_lbbbEUlllE1_EE10hipError_tPvRmT2_T3_mT4_P12ihipStream_tbEUlmE_lEESB_NS0_8identityIvEEEESM_SP_SQ_mSR_ST_bEUlT_E_NS1_11comp_targetILNS1_3genE5ELNS1_11target_archE942ELNS1_3gpuE9ELNS1_3repE0EEENS1_30default_config_static_selectorELNS0_4arch9wavefront6targetE1EEEvT1_
		.amdhsa_group_segment_fixed_size 0
		.amdhsa_private_segment_fixed_size 0
		.amdhsa_kernarg_size 56
		.amdhsa_user_sgpr_count 2
		.amdhsa_user_sgpr_dispatch_ptr 0
		.amdhsa_user_sgpr_queue_ptr 0
		.amdhsa_user_sgpr_kernarg_segment_ptr 1
		.amdhsa_user_sgpr_dispatch_id 0
		.amdhsa_user_sgpr_kernarg_preload_length 0
		.amdhsa_user_sgpr_kernarg_preload_offset 0
		.amdhsa_user_sgpr_private_segment_size 0
		.amdhsa_uses_dynamic_stack 0
		.amdhsa_enable_private_segment 0
		.amdhsa_system_sgpr_workgroup_id_x 1
		.amdhsa_system_sgpr_workgroup_id_y 0
		.amdhsa_system_sgpr_workgroup_id_z 0
		.amdhsa_system_sgpr_workgroup_info 0
		.amdhsa_system_vgpr_workitem_id 0
		.amdhsa_next_free_vgpr 1
		.amdhsa_next_free_sgpr 0
		.amdhsa_accum_offset 4
		.amdhsa_reserve_vcc 0
		.amdhsa_float_round_mode_32 0
		.amdhsa_float_round_mode_16_64 0
		.amdhsa_float_denorm_mode_32 3
		.amdhsa_float_denorm_mode_16_64 3
		.amdhsa_dx10_clamp 1
		.amdhsa_ieee_mode 1
		.amdhsa_fp16_overflow 0
		.amdhsa_tg_split 0
		.amdhsa_exception_fp_ieee_invalid_op 0
		.amdhsa_exception_fp_denorm_src 0
		.amdhsa_exception_fp_ieee_div_zero 0
		.amdhsa_exception_fp_ieee_overflow 0
		.amdhsa_exception_fp_ieee_underflow 0
		.amdhsa_exception_fp_ieee_inexact 0
		.amdhsa_exception_int_div_zero 0
	.end_amdhsa_kernel
	.section	.text._ZN7rocprim17ROCPRIM_400000_NS6detail17trampoline_kernelINS0_14default_configENS1_25transform_config_selectorIlLb0EEEZNS1_14transform_implILb0ES3_S5_NS0_18transform_iteratorINS0_17counting_iteratorImlEEZNS1_24adjacent_difference_implIS3_Lb1ELb0EPlSB_ZN2at6native12_GLOBAL__N_124unique_dim_cuda_templateIsEESt5tupleIJNSC_6TensorESH_SH_EERKSH_lbbbEUlllE1_EE10hipError_tPvRmT2_T3_mT4_P12ihipStream_tbEUlmE_lEESB_NS0_8identityIvEEEESM_SP_SQ_mSR_ST_bEUlT_E_NS1_11comp_targetILNS1_3genE5ELNS1_11target_archE942ELNS1_3gpuE9ELNS1_3repE0EEENS1_30default_config_static_selectorELNS0_4arch9wavefront6targetE1EEEvT1_,"axG",@progbits,_ZN7rocprim17ROCPRIM_400000_NS6detail17trampoline_kernelINS0_14default_configENS1_25transform_config_selectorIlLb0EEEZNS1_14transform_implILb0ES3_S5_NS0_18transform_iteratorINS0_17counting_iteratorImlEEZNS1_24adjacent_difference_implIS3_Lb1ELb0EPlSB_ZN2at6native12_GLOBAL__N_124unique_dim_cuda_templateIsEESt5tupleIJNSC_6TensorESH_SH_EERKSH_lbbbEUlllE1_EE10hipError_tPvRmT2_T3_mT4_P12ihipStream_tbEUlmE_lEESB_NS0_8identityIvEEEESM_SP_SQ_mSR_ST_bEUlT_E_NS1_11comp_targetILNS1_3genE5ELNS1_11target_archE942ELNS1_3gpuE9ELNS1_3repE0EEENS1_30default_config_static_selectorELNS0_4arch9wavefront6targetE1EEEvT1_,comdat
.Lfunc_end669:
	.size	_ZN7rocprim17ROCPRIM_400000_NS6detail17trampoline_kernelINS0_14default_configENS1_25transform_config_selectorIlLb0EEEZNS1_14transform_implILb0ES3_S5_NS0_18transform_iteratorINS0_17counting_iteratorImlEEZNS1_24adjacent_difference_implIS3_Lb1ELb0EPlSB_ZN2at6native12_GLOBAL__N_124unique_dim_cuda_templateIsEESt5tupleIJNSC_6TensorESH_SH_EERKSH_lbbbEUlllE1_EE10hipError_tPvRmT2_T3_mT4_P12ihipStream_tbEUlmE_lEESB_NS0_8identityIvEEEESM_SP_SQ_mSR_ST_bEUlT_E_NS1_11comp_targetILNS1_3genE5ELNS1_11target_archE942ELNS1_3gpuE9ELNS1_3repE0EEENS1_30default_config_static_selectorELNS0_4arch9wavefront6targetE1EEEvT1_, .Lfunc_end669-_ZN7rocprim17ROCPRIM_400000_NS6detail17trampoline_kernelINS0_14default_configENS1_25transform_config_selectorIlLb0EEEZNS1_14transform_implILb0ES3_S5_NS0_18transform_iteratorINS0_17counting_iteratorImlEEZNS1_24adjacent_difference_implIS3_Lb1ELb0EPlSB_ZN2at6native12_GLOBAL__N_124unique_dim_cuda_templateIsEESt5tupleIJNSC_6TensorESH_SH_EERKSH_lbbbEUlllE1_EE10hipError_tPvRmT2_T3_mT4_P12ihipStream_tbEUlmE_lEESB_NS0_8identityIvEEEESM_SP_SQ_mSR_ST_bEUlT_E_NS1_11comp_targetILNS1_3genE5ELNS1_11target_archE942ELNS1_3gpuE9ELNS1_3repE0EEENS1_30default_config_static_selectorELNS0_4arch9wavefront6targetE1EEEvT1_
                                        ; -- End function
	.set _ZN7rocprim17ROCPRIM_400000_NS6detail17trampoline_kernelINS0_14default_configENS1_25transform_config_selectorIlLb0EEEZNS1_14transform_implILb0ES3_S5_NS0_18transform_iteratorINS0_17counting_iteratorImlEEZNS1_24adjacent_difference_implIS3_Lb1ELb0EPlSB_ZN2at6native12_GLOBAL__N_124unique_dim_cuda_templateIsEESt5tupleIJNSC_6TensorESH_SH_EERKSH_lbbbEUlllE1_EE10hipError_tPvRmT2_T3_mT4_P12ihipStream_tbEUlmE_lEESB_NS0_8identityIvEEEESM_SP_SQ_mSR_ST_bEUlT_E_NS1_11comp_targetILNS1_3genE5ELNS1_11target_archE942ELNS1_3gpuE9ELNS1_3repE0EEENS1_30default_config_static_selectorELNS0_4arch9wavefront6targetE1EEEvT1_.num_vgpr, 0
	.set _ZN7rocprim17ROCPRIM_400000_NS6detail17trampoline_kernelINS0_14default_configENS1_25transform_config_selectorIlLb0EEEZNS1_14transform_implILb0ES3_S5_NS0_18transform_iteratorINS0_17counting_iteratorImlEEZNS1_24adjacent_difference_implIS3_Lb1ELb0EPlSB_ZN2at6native12_GLOBAL__N_124unique_dim_cuda_templateIsEESt5tupleIJNSC_6TensorESH_SH_EERKSH_lbbbEUlllE1_EE10hipError_tPvRmT2_T3_mT4_P12ihipStream_tbEUlmE_lEESB_NS0_8identityIvEEEESM_SP_SQ_mSR_ST_bEUlT_E_NS1_11comp_targetILNS1_3genE5ELNS1_11target_archE942ELNS1_3gpuE9ELNS1_3repE0EEENS1_30default_config_static_selectorELNS0_4arch9wavefront6targetE1EEEvT1_.num_agpr, 0
	.set _ZN7rocprim17ROCPRIM_400000_NS6detail17trampoline_kernelINS0_14default_configENS1_25transform_config_selectorIlLb0EEEZNS1_14transform_implILb0ES3_S5_NS0_18transform_iteratorINS0_17counting_iteratorImlEEZNS1_24adjacent_difference_implIS3_Lb1ELb0EPlSB_ZN2at6native12_GLOBAL__N_124unique_dim_cuda_templateIsEESt5tupleIJNSC_6TensorESH_SH_EERKSH_lbbbEUlllE1_EE10hipError_tPvRmT2_T3_mT4_P12ihipStream_tbEUlmE_lEESB_NS0_8identityIvEEEESM_SP_SQ_mSR_ST_bEUlT_E_NS1_11comp_targetILNS1_3genE5ELNS1_11target_archE942ELNS1_3gpuE9ELNS1_3repE0EEENS1_30default_config_static_selectorELNS0_4arch9wavefront6targetE1EEEvT1_.numbered_sgpr, 0
	.set _ZN7rocprim17ROCPRIM_400000_NS6detail17trampoline_kernelINS0_14default_configENS1_25transform_config_selectorIlLb0EEEZNS1_14transform_implILb0ES3_S5_NS0_18transform_iteratorINS0_17counting_iteratorImlEEZNS1_24adjacent_difference_implIS3_Lb1ELb0EPlSB_ZN2at6native12_GLOBAL__N_124unique_dim_cuda_templateIsEESt5tupleIJNSC_6TensorESH_SH_EERKSH_lbbbEUlllE1_EE10hipError_tPvRmT2_T3_mT4_P12ihipStream_tbEUlmE_lEESB_NS0_8identityIvEEEESM_SP_SQ_mSR_ST_bEUlT_E_NS1_11comp_targetILNS1_3genE5ELNS1_11target_archE942ELNS1_3gpuE9ELNS1_3repE0EEENS1_30default_config_static_selectorELNS0_4arch9wavefront6targetE1EEEvT1_.num_named_barrier, 0
	.set _ZN7rocprim17ROCPRIM_400000_NS6detail17trampoline_kernelINS0_14default_configENS1_25transform_config_selectorIlLb0EEEZNS1_14transform_implILb0ES3_S5_NS0_18transform_iteratorINS0_17counting_iteratorImlEEZNS1_24adjacent_difference_implIS3_Lb1ELb0EPlSB_ZN2at6native12_GLOBAL__N_124unique_dim_cuda_templateIsEESt5tupleIJNSC_6TensorESH_SH_EERKSH_lbbbEUlllE1_EE10hipError_tPvRmT2_T3_mT4_P12ihipStream_tbEUlmE_lEESB_NS0_8identityIvEEEESM_SP_SQ_mSR_ST_bEUlT_E_NS1_11comp_targetILNS1_3genE5ELNS1_11target_archE942ELNS1_3gpuE9ELNS1_3repE0EEENS1_30default_config_static_selectorELNS0_4arch9wavefront6targetE1EEEvT1_.private_seg_size, 0
	.set _ZN7rocprim17ROCPRIM_400000_NS6detail17trampoline_kernelINS0_14default_configENS1_25transform_config_selectorIlLb0EEEZNS1_14transform_implILb0ES3_S5_NS0_18transform_iteratorINS0_17counting_iteratorImlEEZNS1_24adjacent_difference_implIS3_Lb1ELb0EPlSB_ZN2at6native12_GLOBAL__N_124unique_dim_cuda_templateIsEESt5tupleIJNSC_6TensorESH_SH_EERKSH_lbbbEUlllE1_EE10hipError_tPvRmT2_T3_mT4_P12ihipStream_tbEUlmE_lEESB_NS0_8identityIvEEEESM_SP_SQ_mSR_ST_bEUlT_E_NS1_11comp_targetILNS1_3genE5ELNS1_11target_archE942ELNS1_3gpuE9ELNS1_3repE0EEENS1_30default_config_static_selectorELNS0_4arch9wavefront6targetE1EEEvT1_.uses_vcc, 0
	.set _ZN7rocprim17ROCPRIM_400000_NS6detail17trampoline_kernelINS0_14default_configENS1_25transform_config_selectorIlLb0EEEZNS1_14transform_implILb0ES3_S5_NS0_18transform_iteratorINS0_17counting_iteratorImlEEZNS1_24adjacent_difference_implIS3_Lb1ELb0EPlSB_ZN2at6native12_GLOBAL__N_124unique_dim_cuda_templateIsEESt5tupleIJNSC_6TensorESH_SH_EERKSH_lbbbEUlllE1_EE10hipError_tPvRmT2_T3_mT4_P12ihipStream_tbEUlmE_lEESB_NS0_8identityIvEEEESM_SP_SQ_mSR_ST_bEUlT_E_NS1_11comp_targetILNS1_3genE5ELNS1_11target_archE942ELNS1_3gpuE9ELNS1_3repE0EEENS1_30default_config_static_selectorELNS0_4arch9wavefront6targetE1EEEvT1_.uses_flat_scratch, 0
	.set _ZN7rocprim17ROCPRIM_400000_NS6detail17trampoline_kernelINS0_14default_configENS1_25transform_config_selectorIlLb0EEEZNS1_14transform_implILb0ES3_S5_NS0_18transform_iteratorINS0_17counting_iteratorImlEEZNS1_24adjacent_difference_implIS3_Lb1ELb0EPlSB_ZN2at6native12_GLOBAL__N_124unique_dim_cuda_templateIsEESt5tupleIJNSC_6TensorESH_SH_EERKSH_lbbbEUlllE1_EE10hipError_tPvRmT2_T3_mT4_P12ihipStream_tbEUlmE_lEESB_NS0_8identityIvEEEESM_SP_SQ_mSR_ST_bEUlT_E_NS1_11comp_targetILNS1_3genE5ELNS1_11target_archE942ELNS1_3gpuE9ELNS1_3repE0EEENS1_30default_config_static_selectorELNS0_4arch9wavefront6targetE1EEEvT1_.has_dyn_sized_stack, 0
	.set _ZN7rocprim17ROCPRIM_400000_NS6detail17trampoline_kernelINS0_14default_configENS1_25transform_config_selectorIlLb0EEEZNS1_14transform_implILb0ES3_S5_NS0_18transform_iteratorINS0_17counting_iteratorImlEEZNS1_24adjacent_difference_implIS3_Lb1ELb0EPlSB_ZN2at6native12_GLOBAL__N_124unique_dim_cuda_templateIsEESt5tupleIJNSC_6TensorESH_SH_EERKSH_lbbbEUlllE1_EE10hipError_tPvRmT2_T3_mT4_P12ihipStream_tbEUlmE_lEESB_NS0_8identityIvEEEESM_SP_SQ_mSR_ST_bEUlT_E_NS1_11comp_targetILNS1_3genE5ELNS1_11target_archE942ELNS1_3gpuE9ELNS1_3repE0EEENS1_30default_config_static_selectorELNS0_4arch9wavefront6targetE1EEEvT1_.has_recursion, 0
	.set _ZN7rocprim17ROCPRIM_400000_NS6detail17trampoline_kernelINS0_14default_configENS1_25transform_config_selectorIlLb0EEEZNS1_14transform_implILb0ES3_S5_NS0_18transform_iteratorINS0_17counting_iteratorImlEEZNS1_24adjacent_difference_implIS3_Lb1ELb0EPlSB_ZN2at6native12_GLOBAL__N_124unique_dim_cuda_templateIsEESt5tupleIJNSC_6TensorESH_SH_EERKSH_lbbbEUlllE1_EE10hipError_tPvRmT2_T3_mT4_P12ihipStream_tbEUlmE_lEESB_NS0_8identityIvEEEESM_SP_SQ_mSR_ST_bEUlT_E_NS1_11comp_targetILNS1_3genE5ELNS1_11target_archE942ELNS1_3gpuE9ELNS1_3repE0EEENS1_30default_config_static_selectorELNS0_4arch9wavefront6targetE1EEEvT1_.has_indirect_call, 0
	.section	.AMDGPU.csdata,"",@progbits
; Kernel info:
; codeLenInByte = 0
; TotalNumSgprs: 6
; NumVgprs: 0
; NumAgprs: 0
; TotalNumVgprs: 0
; ScratchSize: 0
; MemoryBound: 0
; FloatMode: 240
; IeeeMode: 1
; LDSByteSize: 0 bytes/workgroup (compile time only)
; SGPRBlocks: 0
; VGPRBlocks: 0
; NumSGPRsForWavesPerEU: 6
; NumVGPRsForWavesPerEU: 1
; AccumOffset: 4
; Occupancy: 8
; WaveLimiterHint : 0
; COMPUTE_PGM_RSRC2:SCRATCH_EN: 0
; COMPUTE_PGM_RSRC2:USER_SGPR: 2
; COMPUTE_PGM_RSRC2:TRAP_HANDLER: 0
; COMPUTE_PGM_RSRC2:TGID_X_EN: 1
; COMPUTE_PGM_RSRC2:TGID_Y_EN: 0
; COMPUTE_PGM_RSRC2:TGID_Z_EN: 0
; COMPUTE_PGM_RSRC2:TIDIG_COMP_CNT: 0
; COMPUTE_PGM_RSRC3_GFX90A:ACCUM_OFFSET: 0
; COMPUTE_PGM_RSRC3_GFX90A:TG_SPLIT: 0
	.section	.text._ZN7rocprim17ROCPRIM_400000_NS6detail17trampoline_kernelINS0_14default_configENS1_25transform_config_selectorIlLb0EEEZNS1_14transform_implILb0ES3_S5_NS0_18transform_iteratorINS0_17counting_iteratorImlEEZNS1_24adjacent_difference_implIS3_Lb1ELb0EPlSB_ZN2at6native12_GLOBAL__N_124unique_dim_cuda_templateIsEESt5tupleIJNSC_6TensorESH_SH_EERKSH_lbbbEUlllE1_EE10hipError_tPvRmT2_T3_mT4_P12ihipStream_tbEUlmE_lEESB_NS0_8identityIvEEEESM_SP_SQ_mSR_ST_bEUlT_E_NS1_11comp_targetILNS1_3genE4ELNS1_11target_archE910ELNS1_3gpuE8ELNS1_3repE0EEENS1_30default_config_static_selectorELNS0_4arch9wavefront6targetE1EEEvT1_,"axG",@progbits,_ZN7rocprim17ROCPRIM_400000_NS6detail17trampoline_kernelINS0_14default_configENS1_25transform_config_selectorIlLb0EEEZNS1_14transform_implILb0ES3_S5_NS0_18transform_iteratorINS0_17counting_iteratorImlEEZNS1_24adjacent_difference_implIS3_Lb1ELb0EPlSB_ZN2at6native12_GLOBAL__N_124unique_dim_cuda_templateIsEESt5tupleIJNSC_6TensorESH_SH_EERKSH_lbbbEUlllE1_EE10hipError_tPvRmT2_T3_mT4_P12ihipStream_tbEUlmE_lEESB_NS0_8identityIvEEEESM_SP_SQ_mSR_ST_bEUlT_E_NS1_11comp_targetILNS1_3genE4ELNS1_11target_archE910ELNS1_3gpuE8ELNS1_3repE0EEENS1_30default_config_static_selectorELNS0_4arch9wavefront6targetE1EEEvT1_,comdat
	.globl	_ZN7rocprim17ROCPRIM_400000_NS6detail17trampoline_kernelINS0_14default_configENS1_25transform_config_selectorIlLb0EEEZNS1_14transform_implILb0ES3_S5_NS0_18transform_iteratorINS0_17counting_iteratorImlEEZNS1_24adjacent_difference_implIS3_Lb1ELb0EPlSB_ZN2at6native12_GLOBAL__N_124unique_dim_cuda_templateIsEESt5tupleIJNSC_6TensorESH_SH_EERKSH_lbbbEUlllE1_EE10hipError_tPvRmT2_T3_mT4_P12ihipStream_tbEUlmE_lEESB_NS0_8identityIvEEEESM_SP_SQ_mSR_ST_bEUlT_E_NS1_11comp_targetILNS1_3genE4ELNS1_11target_archE910ELNS1_3gpuE8ELNS1_3repE0EEENS1_30default_config_static_selectorELNS0_4arch9wavefront6targetE1EEEvT1_ ; -- Begin function _ZN7rocprim17ROCPRIM_400000_NS6detail17trampoline_kernelINS0_14default_configENS1_25transform_config_selectorIlLb0EEEZNS1_14transform_implILb0ES3_S5_NS0_18transform_iteratorINS0_17counting_iteratorImlEEZNS1_24adjacent_difference_implIS3_Lb1ELb0EPlSB_ZN2at6native12_GLOBAL__N_124unique_dim_cuda_templateIsEESt5tupleIJNSC_6TensorESH_SH_EERKSH_lbbbEUlllE1_EE10hipError_tPvRmT2_T3_mT4_P12ihipStream_tbEUlmE_lEESB_NS0_8identityIvEEEESM_SP_SQ_mSR_ST_bEUlT_E_NS1_11comp_targetILNS1_3genE4ELNS1_11target_archE910ELNS1_3gpuE8ELNS1_3repE0EEENS1_30default_config_static_selectorELNS0_4arch9wavefront6targetE1EEEvT1_
	.p2align	8
	.type	_ZN7rocprim17ROCPRIM_400000_NS6detail17trampoline_kernelINS0_14default_configENS1_25transform_config_selectorIlLb0EEEZNS1_14transform_implILb0ES3_S5_NS0_18transform_iteratorINS0_17counting_iteratorImlEEZNS1_24adjacent_difference_implIS3_Lb1ELb0EPlSB_ZN2at6native12_GLOBAL__N_124unique_dim_cuda_templateIsEESt5tupleIJNSC_6TensorESH_SH_EERKSH_lbbbEUlllE1_EE10hipError_tPvRmT2_T3_mT4_P12ihipStream_tbEUlmE_lEESB_NS0_8identityIvEEEESM_SP_SQ_mSR_ST_bEUlT_E_NS1_11comp_targetILNS1_3genE4ELNS1_11target_archE910ELNS1_3gpuE8ELNS1_3repE0EEENS1_30default_config_static_selectorELNS0_4arch9wavefront6targetE1EEEvT1_,@function
_ZN7rocprim17ROCPRIM_400000_NS6detail17trampoline_kernelINS0_14default_configENS1_25transform_config_selectorIlLb0EEEZNS1_14transform_implILb0ES3_S5_NS0_18transform_iteratorINS0_17counting_iteratorImlEEZNS1_24adjacent_difference_implIS3_Lb1ELb0EPlSB_ZN2at6native12_GLOBAL__N_124unique_dim_cuda_templateIsEESt5tupleIJNSC_6TensorESH_SH_EERKSH_lbbbEUlllE1_EE10hipError_tPvRmT2_T3_mT4_P12ihipStream_tbEUlmE_lEESB_NS0_8identityIvEEEESM_SP_SQ_mSR_ST_bEUlT_E_NS1_11comp_targetILNS1_3genE4ELNS1_11target_archE910ELNS1_3gpuE8ELNS1_3repE0EEENS1_30default_config_static_selectorELNS0_4arch9wavefront6targetE1EEEvT1_: ; @_ZN7rocprim17ROCPRIM_400000_NS6detail17trampoline_kernelINS0_14default_configENS1_25transform_config_selectorIlLb0EEEZNS1_14transform_implILb0ES3_S5_NS0_18transform_iteratorINS0_17counting_iteratorImlEEZNS1_24adjacent_difference_implIS3_Lb1ELb0EPlSB_ZN2at6native12_GLOBAL__N_124unique_dim_cuda_templateIsEESt5tupleIJNSC_6TensorESH_SH_EERKSH_lbbbEUlllE1_EE10hipError_tPvRmT2_T3_mT4_P12ihipStream_tbEUlmE_lEESB_NS0_8identityIvEEEESM_SP_SQ_mSR_ST_bEUlT_E_NS1_11comp_targetILNS1_3genE4ELNS1_11target_archE910ELNS1_3gpuE8ELNS1_3repE0EEENS1_30default_config_static_selectorELNS0_4arch9wavefront6targetE1EEEvT1_
; %bb.0:
	.section	.rodata,"a",@progbits
	.p2align	6, 0x0
	.amdhsa_kernel _ZN7rocprim17ROCPRIM_400000_NS6detail17trampoline_kernelINS0_14default_configENS1_25transform_config_selectorIlLb0EEEZNS1_14transform_implILb0ES3_S5_NS0_18transform_iteratorINS0_17counting_iteratorImlEEZNS1_24adjacent_difference_implIS3_Lb1ELb0EPlSB_ZN2at6native12_GLOBAL__N_124unique_dim_cuda_templateIsEESt5tupleIJNSC_6TensorESH_SH_EERKSH_lbbbEUlllE1_EE10hipError_tPvRmT2_T3_mT4_P12ihipStream_tbEUlmE_lEESB_NS0_8identityIvEEEESM_SP_SQ_mSR_ST_bEUlT_E_NS1_11comp_targetILNS1_3genE4ELNS1_11target_archE910ELNS1_3gpuE8ELNS1_3repE0EEENS1_30default_config_static_selectorELNS0_4arch9wavefront6targetE1EEEvT1_
		.amdhsa_group_segment_fixed_size 0
		.amdhsa_private_segment_fixed_size 0
		.amdhsa_kernarg_size 56
		.amdhsa_user_sgpr_count 2
		.amdhsa_user_sgpr_dispatch_ptr 0
		.amdhsa_user_sgpr_queue_ptr 0
		.amdhsa_user_sgpr_kernarg_segment_ptr 1
		.amdhsa_user_sgpr_dispatch_id 0
		.amdhsa_user_sgpr_kernarg_preload_length 0
		.amdhsa_user_sgpr_kernarg_preload_offset 0
		.amdhsa_user_sgpr_private_segment_size 0
		.amdhsa_uses_dynamic_stack 0
		.amdhsa_enable_private_segment 0
		.amdhsa_system_sgpr_workgroup_id_x 1
		.amdhsa_system_sgpr_workgroup_id_y 0
		.amdhsa_system_sgpr_workgroup_id_z 0
		.amdhsa_system_sgpr_workgroup_info 0
		.amdhsa_system_vgpr_workitem_id 0
		.amdhsa_next_free_vgpr 1
		.amdhsa_next_free_sgpr 0
		.amdhsa_accum_offset 4
		.amdhsa_reserve_vcc 0
		.amdhsa_float_round_mode_32 0
		.amdhsa_float_round_mode_16_64 0
		.amdhsa_float_denorm_mode_32 3
		.amdhsa_float_denorm_mode_16_64 3
		.amdhsa_dx10_clamp 1
		.amdhsa_ieee_mode 1
		.amdhsa_fp16_overflow 0
		.amdhsa_tg_split 0
		.amdhsa_exception_fp_ieee_invalid_op 0
		.amdhsa_exception_fp_denorm_src 0
		.amdhsa_exception_fp_ieee_div_zero 0
		.amdhsa_exception_fp_ieee_overflow 0
		.amdhsa_exception_fp_ieee_underflow 0
		.amdhsa_exception_fp_ieee_inexact 0
		.amdhsa_exception_int_div_zero 0
	.end_amdhsa_kernel
	.section	.text._ZN7rocprim17ROCPRIM_400000_NS6detail17trampoline_kernelINS0_14default_configENS1_25transform_config_selectorIlLb0EEEZNS1_14transform_implILb0ES3_S5_NS0_18transform_iteratorINS0_17counting_iteratorImlEEZNS1_24adjacent_difference_implIS3_Lb1ELb0EPlSB_ZN2at6native12_GLOBAL__N_124unique_dim_cuda_templateIsEESt5tupleIJNSC_6TensorESH_SH_EERKSH_lbbbEUlllE1_EE10hipError_tPvRmT2_T3_mT4_P12ihipStream_tbEUlmE_lEESB_NS0_8identityIvEEEESM_SP_SQ_mSR_ST_bEUlT_E_NS1_11comp_targetILNS1_3genE4ELNS1_11target_archE910ELNS1_3gpuE8ELNS1_3repE0EEENS1_30default_config_static_selectorELNS0_4arch9wavefront6targetE1EEEvT1_,"axG",@progbits,_ZN7rocprim17ROCPRIM_400000_NS6detail17trampoline_kernelINS0_14default_configENS1_25transform_config_selectorIlLb0EEEZNS1_14transform_implILb0ES3_S5_NS0_18transform_iteratorINS0_17counting_iteratorImlEEZNS1_24adjacent_difference_implIS3_Lb1ELb0EPlSB_ZN2at6native12_GLOBAL__N_124unique_dim_cuda_templateIsEESt5tupleIJNSC_6TensorESH_SH_EERKSH_lbbbEUlllE1_EE10hipError_tPvRmT2_T3_mT4_P12ihipStream_tbEUlmE_lEESB_NS0_8identityIvEEEESM_SP_SQ_mSR_ST_bEUlT_E_NS1_11comp_targetILNS1_3genE4ELNS1_11target_archE910ELNS1_3gpuE8ELNS1_3repE0EEENS1_30default_config_static_selectorELNS0_4arch9wavefront6targetE1EEEvT1_,comdat
.Lfunc_end670:
	.size	_ZN7rocprim17ROCPRIM_400000_NS6detail17trampoline_kernelINS0_14default_configENS1_25transform_config_selectorIlLb0EEEZNS1_14transform_implILb0ES3_S5_NS0_18transform_iteratorINS0_17counting_iteratorImlEEZNS1_24adjacent_difference_implIS3_Lb1ELb0EPlSB_ZN2at6native12_GLOBAL__N_124unique_dim_cuda_templateIsEESt5tupleIJNSC_6TensorESH_SH_EERKSH_lbbbEUlllE1_EE10hipError_tPvRmT2_T3_mT4_P12ihipStream_tbEUlmE_lEESB_NS0_8identityIvEEEESM_SP_SQ_mSR_ST_bEUlT_E_NS1_11comp_targetILNS1_3genE4ELNS1_11target_archE910ELNS1_3gpuE8ELNS1_3repE0EEENS1_30default_config_static_selectorELNS0_4arch9wavefront6targetE1EEEvT1_, .Lfunc_end670-_ZN7rocprim17ROCPRIM_400000_NS6detail17trampoline_kernelINS0_14default_configENS1_25transform_config_selectorIlLb0EEEZNS1_14transform_implILb0ES3_S5_NS0_18transform_iteratorINS0_17counting_iteratorImlEEZNS1_24adjacent_difference_implIS3_Lb1ELb0EPlSB_ZN2at6native12_GLOBAL__N_124unique_dim_cuda_templateIsEESt5tupleIJNSC_6TensorESH_SH_EERKSH_lbbbEUlllE1_EE10hipError_tPvRmT2_T3_mT4_P12ihipStream_tbEUlmE_lEESB_NS0_8identityIvEEEESM_SP_SQ_mSR_ST_bEUlT_E_NS1_11comp_targetILNS1_3genE4ELNS1_11target_archE910ELNS1_3gpuE8ELNS1_3repE0EEENS1_30default_config_static_selectorELNS0_4arch9wavefront6targetE1EEEvT1_
                                        ; -- End function
	.set _ZN7rocprim17ROCPRIM_400000_NS6detail17trampoline_kernelINS0_14default_configENS1_25transform_config_selectorIlLb0EEEZNS1_14transform_implILb0ES3_S5_NS0_18transform_iteratorINS0_17counting_iteratorImlEEZNS1_24adjacent_difference_implIS3_Lb1ELb0EPlSB_ZN2at6native12_GLOBAL__N_124unique_dim_cuda_templateIsEESt5tupleIJNSC_6TensorESH_SH_EERKSH_lbbbEUlllE1_EE10hipError_tPvRmT2_T3_mT4_P12ihipStream_tbEUlmE_lEESB_NS0_8identityIvEEEESM_SP_SQ_mSR_ST_bEUlT_E_NS1_11comp_targetILNS1_3genE4ELNS1_11target_archE910ELNS1_3gpuE8ELNS1_3repE0EEENS1_30default_config_static_selectorELNS0_4arch9wavefront6targetE1EEEvT1_.num_vgpr, 0
	.set _ZN7rocprim17ROCPRIM_400000_NS6detail17trampoline_kernelINS0_14default_configENS1_25transform_config_selectorIlLb0EEEZNS1_14transform_implILb0ES3_S5_NS0_18transform_iteratorINS0_17counting_iteratorImlEEZNS1_24adjacent_difference_implIS3_Lb1ELb0EPlSB_ZN2at6native12_GLOBAL__N_124unique_dim_cuda_templateIsEESt5tupleIJNSC_6TensorESH_SH_EERKSH_lbbbEUlllE1_EE10hipError_tPvRmT2_T3_mT4_P12ihipStream_tbEUlmE_lEESB_NS0_8identityIvEEEESM_SP_SQ_mSR_ST_bEUlT_E_NS1_11comp_targetILNS1_3genE4ELNS1_11target_archE910ELNS1_3gpuE8ELNS1_3repE0EEENS1_30default_config_static_selectorELNS0_4arch9wavefront6targetE1EEEvT1_.num_agpr, 0
	.set _ZN7rocprim17ROCPRIM_400000_NS6detail17trampoline_kernelINS0_14default_configENS1_25transform_config_selectorIlLb0EEEZNS1_14transform_implILb0ES3_S5_NS0_18transform_iteratorINS0_17counting_iteratorImlEEZNS1_24adjacent_difference_implIS3_Lb1ELb0EPlSB_ZN2at6native12_GLOBAL__N_124unique_dim_cuda_templateIsEESt5tupleIJNSC_6TensorESH_SH_EERKSH_lbbbEUlllE1_EE10hipError_tPvRmT2_T3_mT4_P12ihipStream_tbEUlmE_lEESB_NS0_8identityIvEEEESM_SP_SQ_mSR_ST_bEUlT_E_NS1_11comp_targetILNS1_3genE4ELNS1_11target_archE910ELNS1_3gpuE8ELNS1_3repE0EEENS1_30default_config_static_selectorELNS0_4arch9wavefront6targetE1EEEvT1_.numbered_sgpr, 0
	.set _ZN7rocprim17ROCPRIM_400000_NS6detail17trampoline_kernelINS0_14default_configENS1_25transform_config_selectorIlLb0EEEZNS1_14transform_implILb0ES3_S5_NS0_18transform_iteratorINS0_17counting_iteratorImlEEZNS1_24adjacent_difference_implIS3_Lb1ELb0EPlSB_ZN2at6native12_GLOBAL__N_124unique_dim_cuda_templateIsEESt5tupleIJNSC_6TensorESH_SH_EERKSH_lbbbEUlllE1_EE10hipError_tPvRmT2_T3_mT4_P12ihipStream_tbEUlmE_lEESB_NS0_8identityIvEEEESM_SP_SQ_mSR_ST_bEUlT_E_NS1_11comp_targetILNS1_3genE4ELNS1_11target_archE910ELNS1_3gpuE8ELNS1_3repE0EEENS1_30default_config_static_selectorELNS0_4arch9wavefront6targetE1EEEvT1_.num_named_barrier, 0
	.set _ZN7rocprim17ROCPRIM_400000_NS6detail17trampoline_kernelINS0_14default_configENS1_25transform_config_selectorIlLb0EEEZNS1_14transform_implILb0ES3_S5_NS0_18transform_iteratorINS0_17counting_iteratorImlEEZNS1_24adjacent_difference_implIS3_Lb1ELb0EPlSB_ZN2at6native12_GLOBAL__N_124unique_dim_cuda_templateIsEESt5tupleIJNSC_6TensorESH_SH_EERKSH_lbbbEUlllE1_EE10hipError_tPvRmT2_T3_mT4_P12ihipStream_tbEUlmE_lEESB_NS0_8identityIvEEEESM_SP_SQ_mSR_ST_bEUlT_E_NS1_11comp_targetILNS1_3genE4ELNS1_11target_archE910ELNS1_3gpuE8ELNS1_3repE0EEENS1_30default_config_static_selectorELNS0_4arch9wavefront6targetE1EEEvT1_.private_seg_size, 0
	.set _ZN7rocprim17ROCPRIM_400000_NS6detail17trampoline_kernelINS0_14default_configENS1_25transform_config_selectorIlLb0EEEZNS1_14transform_implILb0ES3_S5_NS0_18transform_iteratorINS0_17counting_iteratorImlEEZNS1_24adjacent_difference_implIS3_Lb1ELb0EPlSB_ZN2at6native12_GLOBAL__N_124unique_dim_cuda_templateIsEESt5tupleIJNSC_6TensorESH_SH_EERKSH_lbbbEUlllE1_EE10hipError_tPvRmT2_T3_mT4_P12ihipStream_tbEUlmE_lEESB_NS0_8identityIvEEEESM_SP_SQ_mSR_ST_bEUlT_E_NS1_11comp_targetILNS1_3genE4ELNS1_11target_archE910ELNS1_3gpuE8ELNS1_3repE0EEENS1_30default_config_static_selectorELNS0_4arch9wavefront6targetE1EEEvT1_.uses_vcc, 0
	.set _ZN7rocprim17ROCPRIM_400000_NS6detail17trampoline_kernelINS0_14default_configENS1_25transform_config_selectorIlLb0EEEZNS1_14transform_implILb0ES3_S5_NS0_18transform_iteratorINS0_17counting_iteratorImlEEZNS1_24adjacent_difference_implIS3_Lb1ELb0EPlSB_ZN2at6native12_GLOBAL__N_124unique_dim_cuda_templateIsEESt5tupleIJNSC_6TensorESH_SH_EERKSH_lbbbEUlllE1_EE10hipError_tPvRmT2_T3_mT4_P12ihipStream_tbEUlmE_lEESB_NS0_8identityIvEEEESM_SP_SQ_mSR_ST_bEUlT_E_NS1_11comp_targetILNS1_3genE4ELNS1_11target_archE910ELNS1_3gpuE8ELNS1_3repE0EEENS1_30default_config_static_selectorELNS0_4arch9wavefront6targetE1EEEvT1_.uses_flat_scratch, 0
	.set _ZN7rocprim17ROCPRIM_400000_NS6detail17trampoline_kernelINS0_14default_configENS1_25transform_config_selectorIlLb0EEEZNS1_14transform_implILb0ES3_S5_NS0_18transform_iteratorINS0_17counting_iteratorImlEEZNS1_24adjacent_difference_implIS3_Lb1ELb0EPlSB_ZN2at6native12_GLOBAL__N_124unique_dim_cuda_templateIsEESt5tupleIJNSC_6TensorESH_SH_EERKSH_lbbbEUlllE1_EE10hipError_tPvRmT2_T3_mT4_P12ihipStream_tbEUlmE_lEESB_NS0_8identityIvEEEESM_SP_SQ_mSR_ST_bEUlT_E_NS1_11comp_targetILNS1_3genE4ELNS1_11target_archE910ELNS1_3gpuE8ELNS1_3repE0EEENS1_30default_config_static_selectorELNS0_4arch9wavefront6targetE1EEEvT1_.has_dyn_sized_stack, 0
	.set _ZN7rocprim17ROCPRIM_400000_NS6detail17trampoline_kernelINS0_14default_configENS1_25transform_config_selectorIlLb0EEEZNS1_14transform_implILb0ES3_S5_NS0_18transform_iteratorINS0_17counting_iteratorImlEEZNS1_24adjacent_difference_implIS3_Lb1ELb0EPlSB_ZN2at6native12_GLOBAL__N_124unique_dim_cuda_templateIsEESt5tupleIJNSC_6TensorESH_SH_EERKSH_lbbbEUlllE1_EE10hipError_tPvRmT2_T3_mT4_P12ihipStream_tbEUlmE_lEESB_NS0_8identityIvEEEESM_SP_SQ_mSR_ST_bEUlT_E_NS1_11comp_targetILNS1_3genE4ELNS1_11target_archE910ELNS1_3gpuE8ELNS1_3repE0EEENS1_30default_config_static_selectorELNS0_4arch9wavefront6targetE1EEEvT1_.has_recursion, 0
	.set _ZN7rocprim17ROCPRIM_400000_NS6detail17trampoline_kernelINS0_14default_configENS1_25transform_config_selectorIlLb0EEEZNS1_14transform_implILb0ES3_S5_NS0_18transform_iteratorINS0_17counting_iteratorImlEEZNS1_24adjacent_difference_implIS3_Lb1ELb0EPlSB_ZN2at6native12_GLOBAL__N_124unique_dim_cuda_templateIsEESt5tupleIJNSC_6TensorESH_SH_EERKSH_lbbbEUlllE1_EE10hipError_tPvRmT2_T3_mT4_P12ihipStream_tbEUlmE_lEESB_NS0_8identityIvEEEESM_SP_SQ_mSR_ST_bEUlT_E_NS1_11comp_targetILNS1_3genE4ELNS1_11target_archE910ELNS1_3gpuE8ELNS1_3repE0EEENS1_30default_config_static_selectorELNS0_4arch9wavefront6targetE1EEEvT1_.has_indirect_call, 0
	.section	.AMDGPU.csdata,"",@progbits
; Kernel info:
; codeLenInByte = 0
; TotalNumSgprs: 6
; NumVgprs: 0
; NumAgprs: 0
; TotalNumVgprs: 0
; ScratchSize: 0
; MemoryBound: 0
; FloatMode: 240
; IeeeMode: 1
; LDSByteSize: 0 bytes/workgroup (compile time only)
; SGPRBlocks: 0
; VGPRBlocks: 0
; NumSGPRsForWavesPerEU: 6
; NumVGPRsForWavesPerEU: 1
; AccumOffset: 4
; Occupancy: 8
; WaveLimiterHint : 0
; COMPUTE_PGM_RSRC2:SCRATCH_EN: 0
; COMPUTE_PGM_RSRC2:USER_SGPR: 2
; COMPUTE_PGM_RSRC2:TRAP_HANDLER: 0
; COMPUTE_PGM_RSRC2:TGID_X_EN: 1
; COMPUTE_PGM_RSRC2:TGID_Y_EN: 0
; COMPUTE_PGM_RSRC2:TGID_Z_EN: 0
; COMPUTE_PGM_RSRC2:TIDIG_COMP_CNT: 0
; COMPUTE_PGM_RSRC3_GFX90A:ACCUM_OFFSET: 0
; COMPUTE_PGM_RSRC3_GFX90A:TG_SPLIT: 0
	.section	.text._ZN7rocprim17ROCPRIM_400000_NS6detail17trampoline_kernelINS0_14default_configENS1_25transform_config_selectorIlLb0EEEZNS1_14transform_implILb0ES3_S5_NS0_18transform_iteratorINS0_17counting_iteratorImlEEZNS1_24adjacent_difference_implIS3_Lb1ELb0EPlSB_ZN2at6native12_GLOBAL__N_124unique_dim_cuda_templateIsEESt5tupleIJNSC_6TensorESH_SH_EERKSH_lbbbEUlllE1_EE10hipError_tPvRmT2_T3_mT4_P12ihipStream_tbEUlmE_lEESB_NS0_8identityIvEEEESM_SP_SQ_mSR_ST_bEUlT_E_NS1_11comp_targetILNS1_3genE3ELNS1_11target_archE908ELNS1_3gpuE7ELNS1_3repE0EEENS1_30default_config_static_selectorELNS0_4arch9wavefront6targetE1EEEvT1_,"axG",@progbits,_ZN7rocprim17ROCPRIM_400000_NS6detail17trampoline_kernelINS0_14default_configENS1_25transform_config_selectorIlLb0EEEZNS1_14transform_implILb0ES3_S5_NS0_18transform_iteratorINS0_17counting_iteratorImlEEZNS1_24adjacent_difference_implIS3_Lb1ELb0EPlSB_ZN2at6native12_GLOBAL__N_124unique_dim_cuda_templateIsEESt5tupleIJNSC_6TensorESH_SH_EERKSH_lbbbEUlllE1_EE10hipError_tPvRmT2_T3_mT4_P12ihipStream_tbEUlmE_lEESB_NS0_8identityIvEEEESM_SP_SQ_mSR_ST_bEUlT_E_NS1_11comp_targetILNS1_3genE3ELNS1_11target_archE908ELNS1_3gpuE7ELNS1_3repE0EEENS1_30default_config_static_selectorELNS0_4arch9wavefront6targetE1EEEvT1_,comdat
	.globl	_ZN7rocprim17ROCPRIM_400000_NS6detail17trampoline_kernelINS0_14default_configENS1_25transform_config_selectorIlLb0EEEZNS1_14transform_implILb0ES3_S5_NS0_18transform_iteratorINS0_17counting_iteratorImlEEZNS1_24adjacent_difference_implIS3_Lb1ELb0EPlSB_ZN2at6native12_GLOBAL__N_124unique_dim_cuda_templateIsEESt5tupleIJNSC_6TensorESH_SH_EERKSH_lbbbEUlllE1_EE10hipError_tPvRmT2_T3_mT4_P12ihipStream_tbEUlmE_lEESB_NS0_8identityIvEEEESM_SP_SQ_mSR_ST_bEUlT_E_NS1_11comp_targetILNS1_3genE3ELNS1_11target_archE908ELNS1_3gpuE7ELNS1_3repE0EEENS1_30default_config_static_selectorELNS0_4arch9wavefront6targetE1EEEvT1_ ; -- Begin function _ZN7rocprim17ROCPRIM_400000_NS6detail17trampoline_kernelINS0_14default_configENS1_25transform_config_selectorIlLb0EEEZNS1_14transform_implILb0ES3_S5_NS0_18transform_iteratorINS0_17counting_iteratorImlEEZNS1_24adjacent_difference_implIS3_Lb1ELb0EPlSB_ZN2at6native12_GLOBAL__N_124unique_dim_cuda_templateIsEESt5tupleIJNSC_6TensorESH_SH_EERKSH_lbbbEUlllE1_EE10hipError_tPvRmT2_T3_mT4_P12ihipStream_tbEUlmE_lEESB_NS0_8identityIvEEEESM_SP_SQ_mSR_ST_bEUlT_E_NS1_11comp_targetILNS1_3genE3ELNS1_11target_archE908ELNS1_3gpuE7ELNS1_3repE0EEENS1_30default_config_static_selectorELNS0_4arch9wavefront6targetE1EEEvT1_
	.p2align	8
	.type	_ZN7rocprim17ROCPRIM_400000_NS6detail17trampoline_kernelINS0_14default_configENS1_25transform_config_selectorIlLb0EEEZNS1_14transform_implILb0ES3_S5_NS0_18transform_iteratorINS0_17counting_iteratorImlEEZNS1_24adjacent_difference_implIS3_Lb1ELb0EPlSB_ZN2at6native12_GLOBAL__N_124unique_dim_cuda_templateIsEESt5tupleIJNSC_6TensorESH_SH_EERKSH_lbbbEUlllE1_EE10hipError_tPvRmT2_T3_mT4_P12ihipStream_tbEUlmE_lEESB_NS0_8identityIvEEEESM_SP_SQ_mSR_ST_bEUlT_E_NS1_11comp_targetILNS1_3genE3ELNS1_11target_archE908ELNS1_3gpuE7ELNS1_3repE0EEENS1_30default_config_static_selectorELNS0_4arch9wavefront6targetE1EEEvT1_,@function
_ZN7rocprim17ROCPRIM_400000_NS6detail17trampoline_kernelINS0_14default_configENS1_25transform_config_selectorIlLb0EEEZNS1_14transform_implILb0ES3_S5_NS0_18transform_iteratorINS0_17counting_iteratorImlEEZNS1_24adjacent_difference_implIS3_Lb1ELb0EPlSB_ZN2at6native12_GLOBAL__N_124unique_dim_cuda_templateIsEESt5tupleIJNSC_6TensorESH_SH_EERKSH_lbbbEUlllE1_EE10hipError_tPvRmT2_T3_mT4_P12ihipStream_tbEUlmE_lEESB_NS0_8identityIvEEEESM_SP_SQ_mSR_ST_bEUlT_E_NS1_11comp_targetILNS1_3genE3ELNS1_11target_archE908ELNS1_3gpuE7ELNS1_3repE0EEENS1_30default_config_static_selectorELNS0_4arch9wavefront6targetE1EEEvT1_: ; @_ZN7rocprim17ROCPRIM_400000_NS6detail17trampoline_kernelINS0_14default_configENS1_25transform_config_selectorIlLb0EEEZNS1_14transform_implILb0ES3_S5_NS0_18transform_iteratorINS0_17counting_iteratorImlEEZNS1_24adjacent_difference_implIS3_Lb1ELb0EPlSB_ZN2at6native12_GLOBAL__N_124unique_dim_cuda_templateIsEESt5tupleIJNSC_6TensorESH_SH_EERKSH_lbbbEUlllE1_EE10hipError_tPvRmT2_T3_mT4_P12ihipStream_tbEUlmE_lEESB_NS0_8identityIvEEEESM_SP_SQ_mSR_ST_bEUlT_E_NS1_11comp_targetILNS1_3genE3ELNS1_11target_archE908ELNS1_3gpuE7ELNS1_3repE0EEENS1_30default_config_static_selectorELNS0_4arch9wavefront6targetE1EEEvT1_
; %bb.0:
	.section	.rodata,"a",@progbits
	.p2align	6, 0x0
	.amdhsa_kernel _ZN7rocprim17ROCPRIM_400000_NS6detail17trampoline_kernelINS0_14default_configENS1_25transform_config_selectorIlLb0EEEZNS1_14transform_implILb0ES3_S5_NS0_18transform_iteratorINS0_17counting_iteratorImlEEZNS1_24adjacent_difference_implIS3_Lb1ELb0EPlSB_ZN2at6native12_GLOBAL__N_124unique_dim_cuda_templateIsEESt5tupleIJNSC_6TensorESH_SH_EERKSH_lbbbEUlllE1_EE10hipError_tPvRmT2_T3_mT4_P12ihipStream_tbEUlmE_lEESB_NS0_8identityIvEEEESM_SP_SQ_mSR_ST_bEUlT_E_NS1_11comp_targetILNS1_3genE3ELNS1_11target_archE908ELNS1_3gpuE7ELNS1_3repE0EEENS1_30default_config_static_selectorELNS0_4arch9wavefront6targetE1EEEvT1_
		.amdhsa_group_segment_fixed_size 0
		.amdhsa_private_segment_fixed_size 0
		.amdhsa_kernarg_size 56
		.amdhsa_user_sgpr_count 2
		.amdhsa_user_sgpr_dispatch_ptr 0
		.amdhsa_user_sgpr_queue_ptr 0
		.amdhsa_user_sgpr_kernarg_segment_ptr 1
		.amdhsa_user_sgpr_dispatch_id 0
		.amdhsa_user_sgpr_kernarg_preload_length 0
		.amdhsa_user_sgpr_kernarg_preload_offset 0
		.amdhsa_user_sgpr_private_segment_size 0
		.amdhsa_uses_dynamic_stack 0
		.amdhsa_enable_private_segment 0
		.amdhsa_system_sgpr_workgroup_id_x 1
		.amdhsa_system_sgpr_workgroup_id_y 0
		.amdhsa_system_sgpr_workgroup_id_z 0
		.amdhsa_system_sgpr_workgroup_info 0
		.amdhsa_system_vgpr_workitem_id 0
		.amdhsa_next_free_vgpr 1
		.amdhsa_next_free_sgpr 0
		.amdhsa_accum_offset 4
		.amdhsa_reserve_vcc 0
		.amdhsa_float_round_mode_32 0
		.amdhsa_float_round_mode_16_64 0
		.amdhsa_float_denorm_mode_32 3
		.amdhsa_float_denorm_mode_16_64 3
		.amdhsa_dx10_clamp 1
		.amdhsa_ieee_mode 1
		.amdhsa_fp16_overflow 0
		.amdhsa_tg_split 0
		.amdhsa_exception_fp_ieee_invalid_op 0
		.amdhsa_exception_fp_denorm_src 0
		.amdhsa_exception_fp_ieee_div_zero 0
		.amdhsa_exception_fp_ieee_overflow 0
		.amdhsa_exception_fp_ieee_underflow 0
		.amdhsa_exception_fp_ieee_inexact 0
		.amdhsa_exception_int_div_zero 0
	.end_amdhsa_kernel
	.section	.text._ZN7rocprim17ROCPRIM_400000_NS6detail17trampoline_kernelINS0_14default_configENS1_25transform_config_selectorIlLb0EEEZNS1_14transform_implILb0ES3_S5_NS0_18transform_iteratorINS0_17counting_iteratorImlEEZNS1_24adjacent_difference_implIS3_Lb1ELb0EPlSB_ZN2at6native12_GLOBAL__N_124unique_dim_cuda_templateIsEESt5tupleIJNSC_6TensorESH_SH_EERKSH_lbbbEUlllE1_EE10hipError_tPvRmT2_T3_mT4_P12ihipStream_tbEUlmE_lEESB_NS0_8identityIvEEEESM_SP_SQ_mSR_ST_bEUlT_E_NS1_11comp_targetILNS1_3genE3ELNS1_11target_archE908ELNS1_3gpuE7ELNS1_3repE0EEENS1_30default_config_static_selectorELNS0_4arch9wavefront6targetE1EEEvT1_,"axG",@progbits,_ZN7rocprim17ROCPRIM_400000_NS6detail17trampoline_kernelINS0_14default_configENS1_25transform_config_selectorIlLb0EEEZNS1_14transform_implILb0ES3_S5_NS0_18transform_iteratorINS0_17counting_iteratorImlEEZNS1_24adjacent_difference_implIS3_Lb1ELb0EPlSB_ZN2at6native12_GLOBAL__N_124unique_dim_cuda_templateIsEESt5tupleIJNSC_6TensorESH_SH_EERKSH_lbbbEUlllE1_EE10hipError_tPvRmT2_T3_mT4_P12ihipStream_tbEUlmE_lEESB_NS0_8identityIvEEEESM_SP_SQ_mSR_ST_bEUlT_E_NS1_11comp_targetILNS1_3genE3ELNS1_11target_archE908ELNS1_3gpuE7ELNS1_3repE0EEENS1_30default_config_static_selectorELNS0_4arch9wavefront6targetE1EEEvT1_,comdat
.Lfunc_end671:
	.size	_ZN7rocprim17ROCPRIM_400000_NS6detail17trampoline_kernelINS0_14default_configENS1_25transform_config_selectorIlLb0EEEZNS1_14transform_implILb0ES3_S5_NS0_18transform_iteratorINS0_17counting_iteratorImlEEZNS1_24adjacent_difference_implIS3_Lb1ELb0EPlSB_ZN2at6native12_GLOBAL__N_124unique_dim_cuda_templateIsEESt5tupleIJNSC_6TensorESH_SH_EERKSH_lbbbEUlllE1_EE10hipError_tPvRmT2_T3_mT4_P12ihipStream_tbEUlmE_lEESB_NS0_8identityIvEEEESM_SP_SQ_mSR_ST_bEUlT_E_NS1_11comp_targetILNS1_3genE3ELNS1_11target_archE908ELNS1_3gpuE7ELNS1_3repE0EEENS1_30default_config_static_selectorELNS0_4arch9wavefront6targetE1EEEvT1_, .Lfunc_end671-_ZN7rocprim17ROCPRIM_400000_NS6detail17trampoline_kernelINS0_14default_configENS1_25transform_config_selectorIlLb0EEEZNS1_14transform_implILb0ES3_S5_NS0_18transform_iteratorINS0_17counting_iteratorImlEEZNS1_24adjacent_difference_implIS3_Lb1ELb0EPlSB_ZN2at6native12_GLOBAL__N_124unique_dim_cuda_templateIsEESt5tupleIJNSC_6TensorESH_SH_EERKSH_lbbbEUlllE1_EE10hipError_tPvRmT2_T3_mT4_P12ihipStream_tbEUlmE_lEESB_NS0_8identityIvEEEESM_SP_SQ_mSR_ST_bEUlT_E_NS1_11comp_targetILNS1_3genE3ELNS1_11target_archE908ELNS1_3gpuE7ELNS1_3repE0EEENS1_30default_config_static_selectorELNS0_4arch9wavefront6targetE1EEEvT1_
                                        ; -- End function
	.set _ZN7rocprim17ROCPRIM_400000_NS6detail17trampoline_kernelINS0_14default_configENS1_25transform_config_selectorIlLb0EEEZNS1_14transform_implILb0ES3_S5_NS0_18transform_iteratorINS0_17counting_iteratorImlEEZNS1_24adjacent_difference_implIS3_Lb1ELb0EPlSB_ZN2at6native12_GLOBAL__N_124unique_dim_cuda_templateIsEESt5tupleIJNSC_6TensorESH_SH_EERKSH_lbbbEUlllE1_EE10hipError_tPvRmT2_T3_mT4_P12ihipStream_tbEUlmE_lEESB_NS0_8identityIvEEEESM_SP_SQ_mSR_ST_bEUlT_E_NS1_11comp_targetILNS1_3genE3ELNS1_11target_archE908ELNS1_3gpuE7ELNS1_3repE0EEENS1_30default_config_static_selectorELNS0_4arch9wavefront6targetE1EEEvT1_.num_vgpr, 0
	.set _ZN7rocprim17ROCPRIM_400000_NS6detail17trampoline_kernelINS0_14default_configENS1_25transform_config_selectorIlLb0EEEZNS1_14transform_implILb0ES3_S5_NS0_18transform_iteratorINS0_17counting_iteratorImlEEZNS1_24adjacent_difference_implIS3_Lb1ELb0EPlSB_ZN2at6native12_GLOBAL__N_124unique_dim_cuda_templateIsEESt5tupleIJNSC_6TensorESH_SH_EERKSH_lbbbEUlllE1_EE10hipError_tPvRmT2_T3_mT4_P12ihipStream_tbEUlmE_lEESB_NS0_8identityIvEEEESM_SP_SQ_mSR_ST_bEUlT_E_NS1_11comp_targetILNS1_3genE3ELNS1_11target_archE908ELNS1_3gpuE7ELNS1_3repE0EEENS1_30default_config_static_selectorELNS0_4arch9wavefront6targetE1EEEvT1_.num_agpr, 0
	.set _ZN7rocprim17ROCPRIM_400000_NS6detail17trampoline_kernelINS0_14default_configENS1_25transform_config_selectorIlLb0EEEZNS1_14transform_implILb0ES3_S5_NS0_18transform_iteratorINS0_17counting_iteratorImlEEZNS1_24adjacent_difference_implIS3_Lb1ELb0EPlSB_ZN2at6native12_GLOBAL__N_124unique_dim_cuda_templateIsEESt5tupleIJNSC_6TensorESH_SH_EERKSH_lbbbEUlllE1_EE10hipError_tPvRmT2_T3_mT4_P12ihipStream_tbEUlmE_lEESB_NS0_8identityIvEEEESM_SP_SQ_mSR_ST_bEUlT_E_NS1_11comp_targetILNS1_3genE3ELNS1_11target_archE908ELNS1_3gpuE7ELNS1_3repE0EEENS1_30default_config_static_selectorELNS0_4arch9wavefront6targetE1EEEvT1_.numbered_sgpr, 0
	.set _ZN7rocprim17ROCPRIM_400000_NS6detail17trampoline_kernelINS0_14default_configENS1_25transform_config_selectorIlLb0EEEZNS1_14transform_implILb0ES3_S5_NS0_18transform_iteratorINS0_17counting_iteratorImlEEZNS1_24adjacent_difference_implIS3_Lb1ELb0EPlSB_ZN2at6native12_GLOBAL__N_124unique_dim_cuda_templateIsEESt5tupleIJNSC_6TensorESH_SH_EERKSH_lbbbEUlllE1_EE10hipError_tPvRmT2_T3_mT4_P12ihipStream_tbEUlmE_lEESB_NS0_8identityIvEEEESM_SP_SQ_mSR_ST_bEUlT_E_NS1_11comp_targetILNS1_3genE3ELNS1_11target_archE908ELNS1_3gpuE7ELNS1_3repE0EEENS1_30default_config_static_selectorELNS0_4arch9wavefront6targetE1EEEvT1_.num_named_barrier, 0
	.set _ZN7rocprim17ROCPRIM_400000_NS6detail17trampoline_kernelINS0_14default_configENS1_25transform_config_selectorIlLb0EEEZNS1_14transform_implILb0ES3_S5_NS0_18transform_iteratorINS0_17counting_iteratorImlEEZNS1_24adjacent_difference_implIS3_Lb1ELb0EPlSB_ZN2at6native12_GLOBAL__N_124unique_dim_cuda_templateIsEESt5tupleIJNSC_6TensorESH_SH_EERKSH_lbbbEUlllE1_EE10hipError_tPvRmT2_T3_mT4_P12ihipStream_tbEUlmE_lEESB_NS0_8identityIvEEEESM_SP_SQ_mSR_ST_bEUlT_E_NS1_11comp_targetILNS1_3genE3ELNS1_11target_archE908ELNS1_3gpuE7ELNS1_3repE0EEENS1_30default_config_static_selectorELNS0_4arch9wavefront6targetE1EEEvT1_.private_seg_size, 0
	.set _ZN7rocprim17ROCPRIM_400000_NS6detail17trampoline_kernelINS0_14default_configENS1_25transform_config_selectorIlLb0EEEZNS1_14transform_implILb0ES3_S5_NS0_18transform_iteratorINS0_17counting_iteratorImlEEZNS1_24adjacent_difference_implIS3_Lb1ELb0EPlSB_ZN2at6native12_GLOBAL__N_124unique_dim_cuda_templateIsEESt5tupleIJNSC_6TensorESH_SH_EERKSH_lbbbEUlllE1_EE10hipError_tPvRmT2_T3_mT4_P12ihipStream_tbEUlmE_lEESB_NS0_8identityIvEEEESM_SP_SQ_mSR_ST_bEUlT_E_NS1_11comp_targetILNS1_3genE3ELNS1_11target_archE908ELNS1_3gpuE7ELNS1_3repE0EEENS1_30default_config_static_selectorELNS0_4arch9wavefront6targetE1EEEvT1_.uses_vcc, 0
	.set _ZN7rocprim17ROCPRIM_400000_NS6detail17trampoline_kernelINS0_14default_configENS1_25transform_config_selectorIlLb0EEEZNS1_14transform_implILb0ES3_S5_NS0_18transform_iteratorINS0_17counting_iteratorImlEEZNS1_24adjacent_difference_implIS3_Lb1ELb0EPlSB_ZN2at6native12_GLOBAL__N_124unique_dim_cuda_templateIsEESt5tupleIJNSC_6TensorESH_SH_EERKSH_lbbbEUlllE1_EE10hipError_tPvRmT2_T3_mT4_P12ihipStream_tbEUlmE_lEESB_NS0_8identityIvEEEESM_SP_SQ_mSR_ST_bEUlT_E_NS1_11comp_targetILNS1_3genE3ELNS1_11target_archE908ELNS1_3gpuE7ELNS1_3repE0EEENS1_30default_config_static_selectorELNS0_4arch9wavefront6targetE1EEEvT1_.uses_flat_scratch, 0
	.set _ZN7rocprim17ROCPRIM_400000_NS6detail17trampoline_kernelINS0_14default_configENS1_25transform_config_selectorIlLb0EEEZNS1_14transform_implILb0ES3_S5_NS0_18transform_iteratorINS0_17counting_iteratorImlEEZNS1_24adjacent_difference_implIS3_Lb1ELb0EPlSB_ZN2at6native12_GLOBAL__N_124unique_dim_cuda_templateIsEESt5tupleIJNSC_6TensorESH_SH_EERKSH_lbbbEUlllE1_EE10hipError_tPvRmT2_T3_mT4_P12ihipStream_tbEUlmE_lEESB_NS0_8identityIvEEEESM_SP_SQ_mSR_ST_bEUlT_E_NS1_11comp_targetILNS1_3genE3ELNS1_11target_archE908ELNS1_3gpuE7ELNS1_3repE0EEENS1_30default_config_static_selectorELNS0_4arch9wavefront6targetE1EEEvT1_.has_dyn_sized_stack, 0
	.set _ZN7rocprim17ROCPRIM_400000_NS6detail17trampoline_kernelINS0_14default_configENS1_25transform_config_selectorIlLb0EEEZNS1_14transform_implILb0ES3_S5_NS0_18transform_iteratorINS0_17counting_iteratorImlEEZNS1_24adjacent_difference_implIS3_Lb1ELb0EPlSB_ZN2at6native12_GLOBAL__N_124unique_dim_cuda_templateIsEESt5tupleIJNSC_6TensorESH_SH_EERKSH_lbbbEUlllE1_EE10hipError_tPvRmT2_T3_mT4_P12ihipStream_tbEUlmE_lEESB_NS0_8identityIvEEEESM_SP_SQ_mSR_ST_bEUlT_E_NS1_11comp_targetILNS1_3genE3ELNS1_11target_archE908ELNS1_3gpuE7ELNS1_3repE0EEENS1_30default_config_static_selectorELNS0_4arch9wavefront6targetE1EEEvT1_.has_recursion, 0
	.set _ZN7rocprim17ROCPRIM_400000_NS6detail17trampoline_kernelINS0_14default_configENS1_25transform_config_selectorIlLb0EEEZNS1_14transform_implILb0ES3_S5_NS0_18transform_iteratorINS0_17counting_iteratorImlEEZNS1_24adjacent_difference_implIS3_Lb1ELb0EPlSB_ZN2at6native12_GLOBAL__N_124unique_dim_cuda_templateIsEESt5tupleIJNSC_6TensorESH_SH_EERKSH_lbbbEUlllE1_EE10hipError_tPvRmT2_T3_mT4_P12ihipStream_tbEUlmE_lEESB_NS0_8identityIvEEEESM_SP_SQ_mSR_ST_bEUlT_E_NS1_11comp_targetILNS1_3genE3ELNS1_11target_archE908ELNS1_3gpuE7ELNS1_3repE0EEENS1_30default_config_static_selectorELNS0_4arch9wavefront6targetE1EEEvT1_.has_indirect_call, 0
	.section	.AMDGPU.csdata,"",@progbits
; Kernel info:
; codeLenInByte = 0
; TotalNumSgprs: 6
; NumVgprs: 0
; NumAgprs: 0
; TotalNumVgprs: 0
; ScratchSize: 0
; MemoryBound: 0
; FloatMode: 240
; IeeeMode: 1
; LDSByteSize: 0 bytes/workgroup (compile time only)
; SGPRBlocks: 0
; VGPRBlocks: 0
; NumSGPRsForWavesPerEU: 6
; NumVGPRsForWavesPerEU: 1
; AccumOffset: 4
; Occupancy: 8
; WaveLimiterHint : 0
; COMPUTE_PGM_RSRC2:SCRATCH_EN: 0
; COMPUTE_PGM_RSRC2:USER_SGPR: 2
; COMPUTE_PGM_RSRC2:TRAP_HANDLER: 0
; COMPUTE_PGM_RSRC2:TGID_X_EN: 1
; COMPUTE_PGM_RSRC2:TGID_Y_EN: 0
; COMPUTE_PGM_RSRC2:TGID_Z_EN: 0
; COMPUTE_PGM_RSRC2:TIDIG_COMP_CNT: 0
; COMPUTE_PGM_RSRC3_GFX90A:ACCUM_OFFSET: 0
; COMPUTE_PGM_RSRC3_GFX90A:TG_SPLIT: 0
	.section	.text._ZN7rocprim17ROCPRIM_400000_NS6detail17trampoline_kernelINS0_14default_configENS1_25transform_config_selectorIlLb0EEEZNS1_14transform_implILb0ES3_S5_NS0_18transform_iteratorINS0_17counting_iteratorImlEEZNS1_24adjacent_difference_implIS3_Lb1ELb0EPlSB_ZN2at6native12_GLOBAL__N_124unique_dim_cuda_templateIsEESt5tupleIJNSC_6TensorESH_SH_EERKSH_lbbbEUlllE1_EE10hipError_tPvRmT2_T3_mT4_P12ihipStream_tbEUlmE_lEESB_NS0_8identityIvEEEESM_SP_SQ_mSR_ST_bEUlT_E_NS1_11comp_targetILNS1_3genE2ELNS1_11target_archE906ELNS1_3gpuE6ELNS1_3repE0EEENS1_30default_config_static_selectorELNS0_4arch9wavefront6targetE1EEEvT1_,"axG",@progbits,_ZN7rocprim17ROCPRIM_400000_NS6detail17trampoline_kernelINS0_14default_configENS1_25transform_config_selectorIlLb0EEEZNS1_14transform_implILb0ES3_S5_NS0_18transform_iteratorINS0_17counting_iteratorImlEEZNS1_24adjacent_difference_implIS3_Lb1ELb0EPlSB_ZN2at6native12_GLOBAL__N_124unique_dim_cuda_templateIsEESt5tupleIJNSC_6TensorESH_SH_EERKSH_lbbbEUlllE1_EE10hipError_tPvRmT2_T3_mT4_P12ihipStream_tbEUlmE_lEESB_NS0_8identityIvEEEESM_SP_SQ_mSR_ST_bEUlT_E_NS1_11comp_targetILNS1_3genE2ELNS1_11target_archE906ELNS1_3gpuE6ELNS1_3repE0EEENS1_30default_config_static_selectorELNS0_4arch9wavefront6targetE1EEEvT1_,comdat
	.globl	_ZN7rocprim17ROCPRIM_400000_NS6detail17trampoline_kernelINS0_14default_configENS1_25transform_config_selectorIlLb0EEEZNS1_14transform_implILb0ES3_S5_NS0_18transform_iteratorINS0_17counting_iteratorImlEEZNS1_24adjacent_difference_implIS3_Lb1ELb0EPlSB_ZN2at6native12_GLOBAL__N_124unique_dim_cuda_templateIsEESt5tupleIJNSC_6TensorESH_SH_EERKSH_lbbbEUlllE1_EE10hipError_tPvRmT2_T3_mT4_P12ihipStream_tbEUlmE_lEESB_NS0_8identityIvEEEESM_SP_SQ_mSR_ST_bEUlT_E_NS1_11comp_targetILNS1_3genE2ELNS1_11target_archE906ELNS1_3gpuE6ELNS1_3repE0EEENS1_30default_config_static_selectorELNS0_4arch9wavefront6targetE1EEEvT1_ ; -- Begin function _ZN7rocprim17ROCPRIM_400000_NS6detail17trampoline_kernelINS0_14default_configENS1_25transform_config_selectorIlLb0EEEZNS1_14transform_implILb0ES3_S5_NS0_18transform_iteratorINS0_17counting_iteratorImlEEZNS1_24adjacent_difference_implIS3_Lb1ELb0EPlSB_ZN2at6native12_GLOBAL__N_124unique_dim_cuda_templateIsEESt5tupleIJNSC_6TensorESH_SH_EERKSH_lbbbEUlllE1_EE10hipError_tPvRmT2_T3_mT4_P12ihipStream_tbEUlmE_lEESB_NS0_8identityIvEEEESM_SP_SQ_mSR_ST_bEUlT_E_NS1_11comp_targetILNS1_3genE2ELNS1_11target_archE906ELNS1_3gpuE6ELNS1_3repE0EEENS1_30default_config_static_selectorELNS0_4arch9wavefront6targetE1EEEvT1_
	.p2align	8
	.type	_ZN7rocprim17ROCPRIM_400000_NS6detail17trampoline_kernelINS0_14default_configENS1_25transform_config_selectorIlLb0EEEZNS1_14transform_implILb0ES3_S5_NS0_18transform_iteratorINS0_17counting_iteratorImlEEZNS1_24adjacent_difference_implIS3_Lb1ELb0EPlSB_ZN2at6native12_GLOBAL__N_124unique_dim_cuda_templateIsEESt5tupleIJNSC_6TensorESH_SH_EERKSH_lbbbEUlllE1_EE10hipError_tPvRmT2_T3_mT4_P12ihipStream_tbEUlmE_lEESB_NS0_8identityIvEEEESM_SP_SQ_mSR_ST_bEUlT_E_NS1_11comp_targetILNS1_3genE2ELNS1_11target_archE906ELNS1_3gpuE6ELNS1_3repE0EEENS1_30default_config_static_selectorELNS0_4arch9wavefront6targetE1EEEvT1_,@function
_ZN7rocprim17ROCPRIM_400000_NS6detail17trampoline_kernelINS0_14default_configENS1_25transform_config_selectorIlLb0EEEZNS1_14transform_implILb0ES3_S5_NS0_18transform_iteratorINS0_17counting_iteratorImlEEZNS1_24adjacent_difference_implIS3_Lb1ELb0EPlSB_ZN2at6native12_GLOBAL__N_124unique_dim_cuda_templateIsEESt5tupleIJNSC_6TensorESH_SH_EERKSH_lbbbEUlllE1_EE10hipError_tPvRmT2_T3_mT4_P12ihipStream_tbEUlmE_lEESB_NS0_8identityIvEEEESM_SP_SQ_mSR_ST_bEUlT_E_NS1_11comp_targetILNS1_3genE2ELNS1_11target_archE906ELNS1_3gpuE6ELNS1_3repE0EEENS1_30default_config_static_selectorELNS0_4arch9wavefront6targetE1EEEvT1_: ; @_ZN7rocprim17ROCPRIM_400000_NS6detail17trampoline_kernelINS0_14default_configENS1_25transform_config_selectorIlLb0EEEZNS1_14transform_implILb0ES3_S5_NS0_18transform_iteratorINS0_17counting_iteratorImlEEZNS1_24adjacent_difference_implIS3_Lb1ELb0EPlSB_ZN2at6native12_GLOBAL__N_124unique_dim_cuda_templateIsEESt5tupleIJNSC_6TensorESH_SH_EERKSH_lbbbEUlllE1_EE10hipError_tPvRmT2_T3_mT4_P12ihipStream_tbEUlmE_lEESB_NS0_8identityIvEEEESM_SP_SQ_mSR_ST_bEUlT_E_NS1_11comp_targetILNS1_3genE2ELNS1_11target_archE906ELNS1_3gpuE6ELNS1_3repE0EEENS1_30default_config_static_selectorELNS0_4arch9wavefront6targetE1EEEvT1_
; %bb.0:
	.section	.rodata,"a",@progbits
	.p2align	6, 0x0
	.amdhsa_kernel _ZN7rocprim17ROCPRIM_400000_NS6detail17trampoline_kernelINS0_14default_configENS1_25transform_config_selectorIlLb0EEEZNS1_14transform_implILb0ES3_S5_NS0_18transform_iteratorINS0_17counting_iteratorImlEEZNS1_24adjacent_difference_implIS3_Lb1ELb0EPlSB_ZN2at6native12_GLOBAL__N_124unique_dim_cuda_templateIsEESt5tupleIJNSC_6TensorESH_SH_EERKSH_lbbbEUlllE1_EE10hipError_tPvRmT2_T3_mT4_P12ihipStream_tbEUlmE_lEESB_NS0_8identityIvEEEESM_SP_SQ_mSR_ST_bEUlT_E_NS1_11comp_targetILNS1_3genE2ELNS1_11target_archE906ELNS1_3gpuE6ELNS1_3repE0EEENS1_30default_config_static_selectorELNS0_4arch9wavefront6targetE1EEEvT1_
		.amdhsa_group_segment_fixed_size 0
		.amdhsa_private_segment_fixed_size 0
		.amdhsa_kernarg_size 56
		.amdhsa_user_sgpr_count 2
		.amdhsa_user_sgpr_dispatch_ptr 0
		.amdhsa_user_sgpr_queue_ptr 0
		.amdhsa_user_sgpr_kernarg_segment_ptr 1
		.amdhsa_user_sgpr_dispatch_id 0
		.amdhsa_user_sgpr_kernarg_preload_length 0
		.amdhsa_user_sgpr_kernarg_preload_offset 0
		.amdhsa_user_sgpr_private_segment_size 0
		.amdhsa_uses_dynamic_stack 0
		.amdhsa_enable_private_segment 0
		.amdhsa_system_sgpr_workgroup_id_x 1
		.amdhsa_system_sgpr_workgroup_id_y 0
		.amdhsa_system_sgpr_workgroup_id_z 0
		.amdhsa_system_sgpr_workgroup_info 0
		.amdhsa_system_vgpr_workitem_id 0
		.amdhsa_next_free_vgpr 1
		.amdhsa_next_free_sgpr 0
		.amdhsa_accum_offset 4
		.amdhsa_reserve_vcc 0
		.amdhsa_float_round_mode_32 0
		.amdhsa_float_round_mode_16_64 0
		.amdhsa_float_denorm_mode_32 3
		.amdhsa_float_denorm_mode_16_64 3
		.amdhsa_dx10_clamp 1
		.amdhsa_ieee_mode 1
		.amdhsa_fp16_overflow 0
		.amdhsa_tg_split 0
		.amdhsa_exception_fp_ieee_invalid_op 0
		.amdhsa_exception_fp_denorm_src 0
		.amdhsa_exception_fp_ieee_div_zero 0
		.amdhsa_exception_fp_ieee_overflow 0
		.amdhsa_exception_fp_ieee_underflow 0
		.amdhsa_exception_fp_ieee_inexact 0
		.amdhsa_exception_int_div_zero 0
	.end_amdhsa_kernel
	.section	.text._ZN7rocprim17ROCPRIM_400000_NS6detail17trampoline_kernelINS0_14default_configENS1_25transform_config_selectorIlLb0EEEZNS1_14transform_implILb0ES3_S5_NS0_18transform_iteratorINS0_17counting_iteratorImlEEZNS1_24adjacent_difference_implIS3_Lb1ELb0EPlSB_ZN2at6native12_GLOBAL__N_124unique_dim_cuda_templateIsEESt5tupleIJNSC_6TensorESH_SH_EERKSH_lbbbEUlllE1_EE10hipError_tPvRmT2_T3_mT4_P12ihipStream_tbEUlmE_lEESB_NS0_8identityIvEEEESM_SP_SQ_mSR_ST_bEUlT_E_NS1_11comp_targetILNS1_3genE2ELNS1_11target_archE906ELNS1_3gpuE6ELNS1_3repE0EEENS1_30default_config_static_selectorELNS0_4arch9wavefront6targetE1EEEvT1_,"axG",@progbits,_ZN7rocprim17ROCPRIM_400000_NS6detail17trampoline_kernelINS0_14default_configENS1_25transform_config_selectorIlLb0EEEZNS1_14transform_implILb0ES3_S5_NS0_18transform_iteratorINS0_17counting_iteratorImlEEZNS1_24adjacent_difference_implIS3_Lb1ELb0EPlSB_ZN2at6native12_GLOBAL__N_124unique_dim_cuda_templateIsEESt5tupleIJNSC_6TensorESH_SH_EERKSH_lbbbEUlllE1_EE10hipError_tPvRmT2_T3_mT4_P12ihipStream_tbEUlmE_lEESB_NS0_8identityIvEEEESM_SP_SQ_mSR_ST_bEUlT_E_NS1_11comp_targetILNS1_3genE2ELNS1_11target_archE906ELNS1_3gpuE6ELNS1_3repE0EEENS1_30default_config_static_selectorELNS0_4arch9wavefront6targetE1EEEvT1_,comdat
.Lfunc_end672:
	.size	_ZN7rocprim17ROCPRIM_400000_NS6detail17trampoline_kernelINS0_14default_configENS1_25transform_config_selectorIlLb0EEEZNS1_14transform_implILb0ES3_S5_NS0_18transform_iteratorINS0_17counting_iteratorImlEEZNS1_24adjacent_difference_implIS3_Lb1ELb0EPlSB_ZN2at6native12_GLOBAL__N_124unique_dim_cuda_templateIsEESt5tupleIJNSC_6TensorESH_SH_EERKSH_lbbbEUlllE1_EE10hipError_tPvRmT2_T3_mT4_P12ihipStream_tbEUlmE_lEESB_NS0_8identityIvEEEESM_SP_SQ_mSR_ST_bEUlT_E_NS1_11comp_targetILNS1_3genE2ELNS1_11target_archE906ELNS1_3gpuE6ELNS1_3repE0EEENS1_30default_config_static_selectorELNS0_4arch9wavefront6targetE1EEEvT1_, .Lfunc_end672-_ZN7rocprim17ROCPRIM_400000_NS6detail17trampoline_kernelINS0_14default_configENS1_25transform_config_selectorIlLb0EEEZNS1_14transform_implILb0ES3_S5_NS0_18transform_iteratorINS0_17counting_iteratorImlEEZNS1_24adjacent_difference_implIS3_Lb1ELb0EPlSB_ZN2at6native12_GLOBAL__N_124unique_dim_cuda_templateIsEESt5tupleIJNSC_6TensorESH_SH_EERKSH_lbbbEUlllE1_EE10hipError_tPvRmT2_T3_mT4_P12ihipStream_tbEUlmE_lEESB_NS0_8identityIvEEEESM_SP_SQ_mSR_ST_bEUlT_E_NS1_11comp_targetILNS1_3genE2ELNS1_11target_archE906ELNS1_3gpuE6ELNS1_3repE0EEENS1_30default_config_static_selectorELNS0_4arch9wavefront6targetE1EEEvT1_
                                        ; -- End function
	.set _ZN7rocprim17ROCPRIM_400000_NS6detail17trampoline_kernelINS0_14default_configENS1_25transform_config_selectorIlLb0EEEZNS1_14transform_implILb0ES3_S5_NS0_18transform_iteratorINS0_17counting_iteratorImlEEZNS1_24adjacent_difference_implIS3_Lb1ELb0EPlSB_ZN2at6native12_GLOBAL__N_124unique_dim_cuda_templateIsEESt5tupleIJNSC_6TensorESH_SH_EERKSH_lbbbEUlllE1_EE10hipError_tPvRmT2_T3_mT4_P12ihipStream_tbEUlmE_lEESB_NS0_8identityIvEEEESM_SP_SQ_mSR_ST_bEUlT_E_NS1_11comp_targetILNS1_3genE2ELNS1_11target_archE906ELNS1_3gpuE6ELNS1_3repE0EEENS1_30default_config_static_selectorELNS0_4arch9wavefront6targetE1EEEvT1_.num_vgpr, 0
	.set _ZN7rocprim17ROCPRIM_400000_NS6detail17trampoline_kernelINS0_14default_configENS1_25transform_config_selectorIlLb0EEEZNS1_14transform_implILb0ES3_S5_NS0_18transform_iteratorINS0_17counting_iteratorImlEEZNS1_24adjacent_difference_implIS3_Lb1ELb0EPlSB_ZN2at6native12_GLOBAL__N_124unique_dim_cuda_templateIsEESt5tupleIJNSC_6TensorESH_SH_EERKSH_lbbbEUlllE1_EE10hipError_tPvRmT2_T3_mT4_P12ihipStream_tbEUlmE_lEESB_NS0_8identityIvEEEESM_SP_SQ_mSR_ST_bEUlT_E_NS1_11comp_targetILNS1_3genE2ELNS1_11target_archE906ELNS1_3gpuE6ELNS1_3repE0EEENS1_30default_config_static_selectorELNS0_4arch9wavefront6targetE1EEEvT1_.num_agpr, 0
	.set _ZN7rocprim17ROCPRIM_400000_NS6detail17trampoline_kernelINS0_14default_configENS1_25transform_config_selectorIlLb0EEEZNS1_14transform_implILb0ES3_S5_NS0_18transform_iteratorINS0_17counting_iteratorImlEEZNS1_24adjacent_difference_implIS3_Lb1ELb0EPlSB_ZN2at6native12_GLOBAL__N_124unique_dim_cuda_templateIsEESt5tupleIJNSC_6TensorESH_SH_EERKSH_lbbbEUlllE1_EE10hipError_tPvRmT2_T3_mT4_P12ihipStream_tbEUlmE_lEESB_NS0_8identityIvEEEESM_SP_SQ_mSR_ST_bEUlT_E_NS1_11comp_targetILNS1_3genE2ELNS1_11target_archE906ELNS1_3gpuE6ELNS1_3repE0EEENS1_30default_config_static_selectorELNS0_4arch9wavefront6targetE1EEEvT1_.numbered_sgpr, 0
	.set _ZN7rocprim17ROCPRIM_400000_NS6detail17trampoline_kernelINS0_14default_configENS1_25transform_config_selectorIlLb0EEEZNS1_14transform_implILb0ES3_S5_NS0_18transform_iteratorINS0_17counting_iteratorImlEEZNS1_24adjacent_difference_implIS3_Lb1ELb0EPlSB_ZN2at6native12_GLOBAL__N_124unique_dim_cuda_templateIsEESt5tupleIJNSC_6TensorESH_SH_EERKSH_lbbbEUlllE1_EE10hipError_tPvRmT2_T3_mT4_P12ihipStream_tbEUlmE_lEESB_NS0_8identityIvEEEESM_SP_SQ_mSR_ST_bEUlT_E_NS1_11comp_targetILNS1_3genE2ELNS1_11target_archE906ELNS1_3gpuE6ELNS1_3repE0EEENS1_30default_config_static_selectorELNS0_4arch9wavefront6targetE1EEEvT1_.num_named_barrier, 0
	.set _ZN7rocprim17ROCPRIM_400000_NS6detail17trampoline_kernelINS0_14default_configENS1_25transform_config_selectorIlLb0EEEZNS1_14transform_implILb0ES3_S5_NS0_18transform_iteratorINS0_17counting_iteratorImlEEZNS1_24adjacent_difference_implIS3_Lb1ELb0EPlSB_ZN2at6native12_GLOBAL__N_124unique_dim_cuda_templateIsEESt5tupleIJNSC_6TensorESH_SH_EERKSH_lbbbEUlllE1_EE10hipError_tPvRmT2_T3_mT4_P12ihipStream_tbEUlmE_lEESB_NS0_8identityIvEEEESM_SP_SQ_mSR_ST_bEUlT_E_NS1_11comp_targetILNS1_3genE2ELNS1_11target_archE906ELNS1_3gpuE6ELNS1_3repE0EEENS1_30default_config_static_selectorELNS0_4arch9wavefront6targetE1EEEvT1_.private_seg_size, 0
	.set _ZN7rocprim17ROCPRIM_400000_NS6detail17trampoline_kernelINS0_14default_configENS1_25transform_config_selectorIlLb0EEEZNS1_14transform_implILb0ES3_S5_NS0_18transform_iteratorINS0_17counting_iteratorImlEEZNS1_24adjacent_difference_implIS3_Lb1ELb0EPlSB_ZN2at6native12_GLOBAL__N_124unique_dim_cuda_templateIsEESt5tupleIJNSC_6TensorESH_SH_EERKSH_lbbbEUlllE1_EE10hipError_tPvRmT2_T3_mT4_P12ihipStream_tbEUlmE_lEESB_NS0_8identityIvEEEESM_SP_SQ_mSR_ST_bEUlT_E_NS1_11comp_targetILNS1_3genE2ELNS1_11target_archE906ELNS1_3gpuE6ELNS1_3repE0EEENS1_30default_config_static_selectorELNS0_4arch9wavefront6targetE1EEEvT1_.uses_vcc, 0
	.set _ZN7rocprim17ROCPRIM_400000_NS6detail17trampoline_kernelINS0_14default_configENS1_25transform_config_selectorIlLb0EEEZNS1_14transform_implILb0ES3_S5_NS0_18transform_iteratorINS0_17counting_iteratorImlEEZNS1_24adjacent_difference_implIS3_Lb1ELb0EPlSB_ZN2at6native12_GLOBAL__N_124unique_dim_cuda_templateIsEESt5tupleIJNSC_6TensorESH_SH_EERKSH_lbbbEUlllE1_EE10hipError_tPvRmT2_T3_mT4_P12ihipStream_tbEUlmE_lEESB_NS0_8identityIvEEEESM_SP_SQ_mSR_ST_bEUlT_E_NS1_11comp_targetILNS1_3genE2ELNS1_11target_archE906ELNS1_3gpuE6ELNS1_3repE0EEENS1_30default_config_static_selectorELNS0_4arch9wavefront6targetE1EEEvT1_.uses_flat_scratch, 0
	.set _ZN7rocprim17ROCPRIM_400000_NS6detail17trampoline_kernelINS0_14default_configENS1_25transform_config_selectorIlLb0EEEZNS1_14transform_implILb0ES3_S5_NS0_18transform_iteratorINS0_17counting_iteratorImlEEZNS1_24adjacent_difference_implIS3_Lb1ELb0EPlSB_ZN2at6native12_GLOBAL__N_124unique_dim_cuda_templateIsEESt5tupleIJNSC_6TensorESH_SH_EERKSH_lbbbEUlllE1_EE10hipError_tPvRmT2_T3_mT4_P12ihipStream_tbEUlmE_lEESB_NS0_8identityIvEEEESM_SP_SQ_mSR_ST_bEUlT_E_NS1_11comp_targetILNS1_3genE2ELNS1_11target_archE906ELNS1_3gpuE6ELNS1_3repE0EEENS1_30default_config_static_selectorELNS0_4arch9wavefront6targetE1EEEvT1_.has_dyn_sized_stack, 0
	.set _ZN7rocprim17ROCPRIM_400000_NS6detail17trampoline_kernelINS0_14default_configENS1_25transform_config_selectorIlLb0EEEZNS1_14transform_implILb0ES3_S5_NS0_18transform_iteratorINS0_17counting_iteratorImlEEZNS1_24adjacent_difference_implIS3_Lb1ELb0EPlSB_ZN2at6native12_GLOBAL__N_124unique_dim_cuda_templateIsEESt5tupleIJNSC_6TensorESH_SH_EERKSH_lbbbEUlllE1_EE10hipError_tPvRmT2_T3_mT4_P12ihipStream_tbEUlmE_lEESB_NS0_8identityIvEEEESM_SP_SQ_mSR_ST_bEUlT_E_NS1_11comp_targetILNS1_3genE2ELNS1_11target_archE906ELNS1_3gpuE6ELNS1_3repE0EEENS1_30default_config_static_selectorELNS0_4arch9wavefront6targetE1EEEvT1_.has_recursion, 0
	.set _ZN7rocprim17ROCPRIM_400000_NS6detail17trampoline_kernelINS0_14default_configENS1_25transform_config_selectorIlLb0EEEZNS1_14transform_implILb0ES3_S5_NS0_18transform_iteratorINS0_17counting_iteratorImlEEZNS1_24adjacent_difference_implIS3_Lb1ELb0EPlSB_ZN2at6native12_GLOBAL__N_124unique_dim_cuda_templateIsEESt5tupleIJNSC_6TensorESH_SH_EERKSH_lbbbEUlllE1_EE10hipError_tPvRmT2_T3_mT4_P12ihipStream_tbEUlmE_lEESB_NS0_8identityIvEEEESM_SP_SQ_mSR_ST_bEUlT_E_NS1_11comp_targetILNS1_3genE2ELNS1_11target_archE906ELNS1_3gpuE6ELNS1_3repE0EEENS1_30default_config_static_selectorELNS0_4arch9wavefront6targetE1EEEvT1_.has_indirect_call, 0
	.section	.AMDGPU.csdata,"",@progbits
; Kernel info:
; codeLenInByte = 0
; TotalNumSgprs: 6
; NumVgprs: 0
; NumAgprs: 0
; TotalNumVgprs: 0
; ScratchSize: 0
; MemoryBound: 0
; FloatMode: 240
; IeeeMode: 1
; LDSByteSize: 0 bytes/workgroup (compile time only)
; SGPRBlocks: 0
; VGPRBlocks: 0
; NumSGPRsForWavesPerEU: 6
; NumVGPRsForWavesPerEU: 1
; AccumOffset: 4
; Occupancy: 8
; WaveLimiterHint : 0
; COMPUTE_PGM_RSRC2:SCRATCH_EN: 0
; COMPUTE_PGM_RSRC2:USER_SGPR: 2
; COMPUTE_PGM_RSRC2:TRAP_HANDLER: 0
; COMPUTE_PGM_RSRC2:TGID_X_EN: 1
; COMPUTE_PGM_RSRC2:TGID_Y_EN: 0
; COMPUTE_PGM_RSRC2:TGID_Z_EN: 0
; COMPUTE_PGM_RSRC2:TIDIG_COMP_CNT: 0
; COMPUTE_PGM_RSRC3_GFX90A:ACCUM_OFFSET: 0
; COMPUTE_PGM_RSRC3_GFX90A:TG_SPLIT: 0
	.section	.text._ZN7rocprim17ROCPRIM_400000_NS6detail17trampoline_kernelINS0_14default_configENS1_25transform_config_selectorIlLb0EEEZNS1_14transform_implILb0ES3_S5_NS0_18transform_iteratorINS0_17counting_iteratorImlEEZNS1_24adjacent_difference_implIS3_Lb1ELb0EPlSB_ZN2at6native12_GLOBAL__N_124unique_dim_cuda_templateIsEESt5tupleIJNSC_6TensorESH_SH_EERKSH_lbbbEUlllE1_EE10hipError_tPvRmT2_T3_mT4_P12ihipStream_tbEUlmE_lEESB_NS0_8identityIvEEEESM_SP_SQ_mSR_ST_bEUlT_E_NS1_11comp_targetILNS1_3genE10ELNS1_11target_archE1201ELNS1_3gpuE5ELNS1_3repE0EEENS1_30default_config_static_selectorELNS0_4arch9wavefront6targetE1EEEvT1_,"axG",@progbits,_ZN7rocprim17ROCPRIM_400000_NS6detail17trampoline_kernelINS0_14default_configENS1_25transform_config_selectorIlLb0EEEZNS1_14transform_implILb0ES3_S5_NS0_18transform_iteratorINS0_17counting_iteratorImlEEZNS1_24adjacent_difference_implIS3_Lb1ELb0EPlSB_ZN2at6native12_GLOBAL__N_124unique_dim_cuda_templateIsEESt5tupleIJNSC_6TensorESH_SH_EERKSH_lbbbEUlllE1_EE10hipError_tPvRmT2_T3_mT4_P12ihipStream_tbEUlmE_lEESB_NS0_8identityIvEEEESM_SP_SQ_mSR_ST_bEUlT_E_NS1_11comp_targetILNS1_3genE10ELNS1_11target_archE1201ELNS1_3gpuE5ELNS1_3repE0EEENS1_30default_config_static_selectorELNS0_4arch9wavefront6targetE1EEEvT1_,comdat
	.globl	_ZN7rocprim17ROCPRIM_400000_NS6detail17trampoline_kernelINS0_14default_configENS1_25transform_config_selectorIlLb0EEEZNS1_14transform_implILb0ES3_S5_NS0_18transform_iteratorINS0_17counting_iteratorImlEEZNS1_24adjacent_difference_implIS3_Lb1ELb0EPlSB_ZN2at6native12_GLOBAL__N_124unique_dim_cuda_templateIsEESt5tupleIJNSC_6TensorESH_SH_EERKSH_lbbbEUlllE1_EE10hipError_tPvRmT2_T3_mT4_P12ihipStream_tbEUlmE_lEESB_NS0_8identityIvEEEESM_SP_SQ_mSR_ST_bEUlT_E_NS1_11comp_targetILNS1_3genE10ELNS1_11target_archE1201ELNS1_3gpuE5ELNS1_3repE0EEENS1_30default_config_static_selectorELNS0_4arch9wavefront6targetE1EEEvT1_ ; -- Begin function _ZN7rocprim17ROCPRIM_400000_NS6detail17trampoline_kernelINS0_14default_configENS1_25transform_config_selectorIlLb0EEEZNS1_14transform_implILb0ES3_S5_NS0_18transform_iteratorINS0_17counting_iteratorImlEEZNS1_24adjacent_difference_implIS3_Lb1ELb0EPlSB_ZN2at6native12_GLOBAL__N_124unique_dim_cuda_templateIsEESt5tupleIJNSC_6TensorESH_SH_EERKSH_lbbbEUlllE1_EE10hipError_tPvRmT2_T3_mT4_P12ihipStream_tbEUlmE_lEESB_NS0_8identityIvEEEESM_SP_SQ_mSR_ST_bEUlT_E_NS1_11comp_targetILNS1_3genE10ELNS1_11target_archE1201ELNS1_3gpuE5ELNS1_3repE0EEENS1_30default_config_static_selectorELNS0_4arch9wavefront6targetE1EEEvT1_
	.p2align	8
	.type	_ZN7rocprim17ROCPRIM_400000_NS6detail17trampoline_kernelINS0_14default_configENS1_25transform_config_selectorIlLb0EEEZNS1_14transform_implILb0ES3_S5_NS0_18transform_iteratorINS0_17counting_iteratorImlEEZNS1_24adjacent_difference_implIS3_Lb1ELb0EPlSB_ZN2at6native12_GLOBAL__N_124unique_dim_cuda_templateIsEESt5tupleIJNSC_6TensorESH_SH_EERKSH_lbbbEUlllE1_EE10hipError_tPvRmT2_T3_mT4_P12ihipStream_tbEUlmE_lEESB_NS0_8identityIvEEEESM_SP_SQ_mSR_ST_bEUlT_E_NS1_11comp_targetILNS1_3genE10ELNS1_11target_archE1201ELNS1_3gpuE5ELNS1_3repE0EEENS1_30default_config_static_selectorELNS0_4arch9wavefront6targetE1EEEvT1_,@function
_ZN7rocprim17ROCPRIM_400000_NS6detail17trampoline_kernelINS0_14default_configENS1_25transform_config_selectorIlLb0EEEZNS1_14transform_implILb0ES3_S5_NS0_18transform_iteratorINS0_17counting_iteratorImlEEZNS1_24adjacent_difference_implIS3_Lb1ELb0EPlSB_ZN2at6native12_GLOBAL__N_124unique_dim_cuda_templateIsEESt5tupleIJNSC_6TensorESH_SH_EERKSH_lbbbEUlllE1_EE10hipError_tPvRmT2_T3_mT4_P12ihipStream_tbEUlmE_lEESB_NS0_8identityIvEEEESM_SP_SQ_mSR_ST_bEUlT_E_NS1_11comp_targetILNS1_3genE10ELNS1_11target_archE1201ELNS1_3gpuE5ELNS1_3repE0EEENS1_30default_config_static_selectorELNS0_4arch9wavefront6targetE1EEEvT1_: ; @_ZN7rocprim17ROCPRIM_400000_NS6detail17trampoline_kernelINS0_14default_configENS1_25transform_config_selectorIlLb0EEEZNS1_14transform_implILb0ES3_S5_NS0_18transform_iteratorINS0_17counting_iteratorImlEEZNS1_24adjacent_difference_implIS3_Lb1ELb0EPlSB_ZN2at6native12_GLOBAL__N_124unique_dim_cuda_templateIsEESt5tupleIJNSC_6TensorESH_SH_EERKSH_lbbbEUlllE1_EE10hipError_tPvRmT2_T3_mT4_P12ihipStream_tbEUlmE_lEESB_NS0_8identityIvEEEESM_SP_SQ_mSR_ST_bEUlT_E_NS1_11comp_targetILNS1_3genE10ELNS1_11target_archE1201ELNS1_3gpuE5ELNS1_3repE0EEENS1_30default_config_static_selectorELNS0_4arch9wavefront6targetE1EEEvT1_
; %bb.0:
	.section	.rodata,"a",@progbits
	.p2align	6, 0x0
	.amdhsa_kernel _ZN7rocprim17ROCPRIM_400000_NS6detail17trampoline_kernelINS0_14default_configENS1_25transform_config_selectorIlLb0EEEZNS1_14transform_implILb0ES3_S5_NS0_18transform_iteratorINS0_17counting_iteratorImlEEZNS1_24adjacent_difference_implIS3_Lb1ELb0EPlSB_ZN2at6native12_GLOBAL__N_124unique_dim_cuda_templateIsEESt5tupleIJNSC_6TensorESH_SH_EERKSH_lbbbEUlllE1_EE10hipError_tPvRmT2_T3_mT4_P12ihipStream_tbEUlmE_lEESB_NS0_8identityIvEEEESM_SP_SQ_mSR_ST_bEUlT_E_NS1_11comp_targetILNS1_3genE10ELNS1_11target_archE1201ELNS1_3gpuE5ELNS1_3repE0EEENS1_30default_config_static_selectorELNS0_4arch9wavefront6targetE1EEEvT1_
		.amdhsa_group_segment_fixed_size 0
		.amdhsa_private_segment_fixed_size 0
		.amdhsa_kernarg_size 56
		.amdhsa_user_sgpr_count 2
		.amdhsa_user_sgpr_dispatch_ptr 0
		.amdhsa_user_sgpr_queue_ptr 0
		.amdhsa_user_sgpr_kernarg_segment_ptr 1
		.amdhsa_user_sgpr_dispatch_id 0
		.amdhsa_user_sgpr_kernarg_preload_length 0
		.amdhsa_user_sgpr_kernarg_preload_offset 0
		.amdhsa_user_sgpr_private_segment_size 0
		.amdhsa_uses_dynamic_stack 0
		.amdhsa_enable_private_segment 0
		.amdhsa_system_sgpr_workgroup_id_x 1
		.amdhsa_system_sgpr_workgroup_id_y 0
		.amdhsa_system_sgpr_workgroup_id_z 0
		.amdhsa_system_sgpr_workgroup_info 0
		.amdhsa_system_vgpr_workitem_id 0
		.amdhsa_next_free_vgpr 1
		.amdhsa_next_free_sgpr 0
		.amdhsa_accum_offset 4
		.amdhsa_reserve_vcc 0
		.amdhsa_float_round_mode_32 0
		.amdhsa_float_round_mode_16_64 0
		.amdhsa_float_denorm_mode_32 3
		.amdhsa_float_denorm_mode_16_64 3
		.amdhsa_dx10_clamp 1
		.amdhsa_ieee_mode 1
		.amdhsa_fp16_overflow 0
		.amdhsa_tg_split 0
		.amdhsa_exception_fp_ieee_invalid_op 0
		.amdhsa_exception_fp_denorm_src 0
		.amdhsa_exception_fp_ieee_div_zero 0
		.amdhsa_exception_fp_ieee_overflow 0
		.amdhsa_exception_fp_ieee_underflow 0
		.amdhsa_exception_fp_ieee_inexact 0
		.amdhsa_exception_int_div_zero 0
	.end_amdhsa_kernel
	.section	.text._ZN7rocprim17ROCPRIM_400000_NS6detail17trampoline_kernelINS0_14default_configENS1_25transform_config_selectorIlLb0EEEZNS1_14transform_implILb0ES3_S5_NS0_18transform_iteratorINS0_17counting_iteratorImlEEZNS1_24adjacent_difference_implIS3_Lb1ELb0EPlSB_ZN2at6native12_GLOBAL__N_124unique_dim_cuda_templateIsEESt5tupleIJNSC_6TensorESH_SH_EERKSH_lbbbEUlllE1_EE10hipError_tPvRmT2_T3_mT4_P12ihipStream_tbEUlmE_lEESB_NS0_8identityIvEEEESM_SP_SQ_mSR_ST_bEUlT_E_NS1_11comp_targetILNS1_3genE10ELNS1_11target_archE1201ELNS1_3gpuE5ELNS1_3repE0EEENS1_30default_config_static_selectorELNS0_4arch9wavefront6targetE1EEEvT1_,"axG",@progbits,_ZN7rocprim17ROCPRIM_400000_NS6detail17trampoline_kernelINS0_14default_configENS1_25transform_config_selectorIlLb0EEEZNS1_14transform_implILb0ES3_S5_NS0_18transform_iteratorINS0_17counting_iteratorImlEEZNS1_24adjacent_difference_implIS3_Lb1ELb0EPlSB_ZN2at6native12_GLOBAL__N_124unique_dim_cuda_templateIsEESt5tupleIJNSC_6TensorESH_SH_EERKSH_lbbbEUlllE1_EE10hipError_tPvRmT2_T3_mT4_P12ihipStream_tbEUlmE_lEESB_NS0_8identityIvEEEESM_SP_SQ_mSR_ST_bEUlT_E_NS1_11comp_targetILNS1_3genE10ELNS1_11target_archE1201ELNS1_3gpuE5ELNS1_3repE0EEENS1_30default_config_static_selectorELNS0_4arch9wavefront6targetE1EEEvT1_,comdat
.Lfunc_end673:
	.size	_ZN7rocprim17ROCPRIM_400000_NS6detail17trampoline_kernelINS0_14default_configENS1_25transform_config_selectorIlLb0EEEZNS1_14transform_implILb0ES3_S5_NS0_18transform_iteratorINS0_17counting_iteratorImlEEZNS1_24adjacent_difference_implIS3_Lb1ELb0EPlSB_ZN2at6native12_GLOBAL__N_124unique_dim_cuda_templateIsEESt5tupleIJNSC_6TensorESH_SH_EERKSH_lbbbEUlllE1_EE10hipError_tPvRmT2_T3_mT4_P12ihipStream_tbEUlmE_lEESB_NS0_8identityIvEEEESM_SP_SQ_mSR_ST_bEUlT_E_NS1_11comp_targetILNS1_3genE10ELNS1_11target_archE1201ELNS1_3gpuE5ELNS1_3repE0EEENS1_30default_config_static_selectorELNS0_4arch9wavefront6targetE1EEEvT1_, .Lfunc_end673-_ZN7rocprim17ROCPRIM_400000_NS6detail17trampoline_kernelINS0_14default_configENS1_25transform_config_selectorIlLb0EEEZNS1_14transform_implILb0ES3_S5_NS0_18transform_iteratorINS0_17counting_iteratorImlEEZNS1_24adjacent_difference_implIS3_Lb1ELb0EPlSB_ZN2at6native12_GLOBAL__N_124unique_dim_cuda_templateIsEESt5tupleIJNSC_6TensorESH_SH_EERKSH_lbbbEUlllE1_EE10hipError_tPvRmT2_T3_mT4_P12ihipStream_tbEUlmE_lEESB_NS0_8identityIvEEEESM_SP_SQ_mSR_ST_bEUlT_E_NS1_11comp_targetILNS1_3genE10ELNS1_11target_archE1201ELNS1_3gpuE5ELNS1_3repE0EEENS1_30default_config_static_selectorELNS0_4arch9wavefront6targetE1EEEvT1_
                                        ; -- End function
	.set _ZN7rocprim17ROCPRIM_400000_NS6detail17trampoline_kernelINS0_14default_configENS1_25transform_config_selectorIlLb0EEEZNS1_14transform_implILb0ES3_S5_NS0_18transform_iteratorINS0_17counting_iteratorImlEEZNS1_24adjacent_difference_implIS3_Lb1ELb0EPlSB_ZN2at6native12_GLOBAL__N_124unique_dim_cuda_templateIsEESt5tupleIJNSC_6TensorESH_SH_EERKSH_lbbbEUlllE1_EE10hipError_tPvRmT2_T3_mT4_P12ihipStream_tbEUlmE_lEESB_NS0_8identityIvEEEESM_SP_SQ_mSR_ST_bEUlT_E_NS1_11comp_targetILNS1_3genE10ELNS1_11target_archE1201ELNS1_3gpuE5ELNS1_3repE0EEENS1_30default_config_static_selectorELNS0_4arch9wavefront6targetE1EEEvT1_.num_vgpr, 0
	.set _ZN7rocprim17ROCPRIM_400000_NS6detail17trampoline_kernelINS0_14default_configENS1_25transform_config_selectorIlLb0EEEZNS1_14transform_implILb0ES3_S5_NS0_18transform_iteratorINS0_17counting_iteratorImlEEZNS1_24adjacent_difference_implIS3_Lb1ELb0EPlSB_ZN2at6native12_GLOBAL__N_124unique_dim_cuda_templateIsEESt5tupleIJNSC_6TensorESH_SH_EERKSH_lbbbEUlllE1_EE10hipError_tPvRmT2_T3_mT4_P12ihipStream_tbEUlmE_lEESB_NS0_8identityIvEEEESM_SP_SQ_mSR_ST_bEUlT_E_NS1_11comp_targetILNS1_3genE10ELNS1_11target_archE1201ELNS1_3gpuE5ELNS1_3repE0EEENS1_30default_config_static_selectorELNS0_4arch9wavefront6targetE1EEEvT1_.num_agpr, 0
	.set _ZN7rocprim17ROCPRIM_400000_NS6detail17trampoline_kernelINS0_14default_configENS1_25transform_config_selectorIlLb0EEEZNS1_14transform_implILb0ES3_S5_NS0_18transform_iteratorINS0_17counting_iteratorImlEEZNS1_24adjacent_difference_implIS3_Lb1ELb0EPlSB_ZN2at6native12_GLOBAL__N_124unique_dim_cuda_templateIsEESt5tupleIJNSC_6TensorESH_SH_EERKSH_lbbbEUlllE1_EE10hipError_tPvRmT2_T3_mT4_P12ihipStream_tbEUlmE_lEESB_NS0_8identityIvEEEESM_SP_SQ_mSR_ST_bEUlT_E_NS1_11comp_targetILNS1_3genE10ELNS1_11target_archE1201ELNS1_3gpuE5ELNS1_3repE0EEENS1_30default_config_static_selectorELNS0_4arch9wavefront6targetE1EEEvT1_.numbered_sgpr, 0
	.set _ZN7rocprim17ROCPRIM_400000_NS6detail17trampoline_kernelINS0_14default_configENS1_25transform_config_selectorIlLb0EEEZNS1_14transform_implILb0ES3_S5_NS0_18transform_iteratorINS0_17counting_iteratorImlEEZNS1_24adjacent_difference_implIS3_Lb1ELb0EPlSB_ZN2at6native12_GLOBAL__N_124unique_dim_cuda_templateIsEESt5tupleIJNSC_6TensorESH_SH_EERKSH_lbbbEUlllE1_EE10hipError_tPvRmT2_T3_mT4_P12ihipStream_tbEUlmE_lEESB_NS0_8identityIvEEEESM_SP_SQ_mSR_ST_bEUlT_E_NS1_11comp_targetILNS1_3genE10ELNS1_11target_archE1201ELNS1_3gpuE5ELNS1_3repE0EEENS1_30default_config_static_selectorELNS0_4arch9wavefront6targetE1EEEvT1_.num_named_barrier, 0
	.set _ZN7rocprim17ROCPRIM_400000_NS6detail17trampoline_kernelINS0_14default_configENS1_25transform_config_selectorIlLb0EEEZNS1_14transform_implILb0ES3_S5_NS0_18transform_iteratorINS0_17counting_iteratorImlEEZNS1_24adjacent_difference_implIS3_Lb1ELb0EPlSB_ZN2at6native12_GLOBAL__N_124unique_dim_cuda_templateIsEESt5tupleIJNSC_6TensorESH_SH_EERKSH_lbbbEUlllE1_EE10hipError_tPvRmT2_T3_mT4_P12ihipStream_tbEUlmE_lEESB_NS0_8identityIvEEEESM_SP_SQ_mSR_ST_bEUlT_E_NS1_11comp_targetILNS1_3genE10ELNS1_11target_archE1201ELNS1_3gpuE5ELNS1_3repE0EEENS1_30default_config_static_selectorELNS0_4arch9wavefront6targetE1EEEvT1_.private_seg_size, 0
	.set _ZN7rocprim17ROCPRIM_400000_NS6detail17trampoline_kernelINS0_14default_configENS1_25transform_config_selectorIlLb0EEEZNS1_14transform_implILb0ES3_S5_NS0_18transform_iteratorINS0_17counting_iteratorImlEEZNS1_24adjacent_difference_implIS3_Lb1ELb0EPlSB_ZN2at6native12_GLOBAL__N_124unique_dim_cuda_templateIsEESt5tupleIJNSC_6TensorESH_SH_EERKSH_lbbbEUlllE1_EE10hipError_tPvRmT2_T3_mT4_P12ihipStream_tbEUlmE_lEESB_NS0_8identityIvEEEESM_SP_SQ_mSR_ST_bEUlT_E_NS1_11comp_targetILNS1_3genE10ELNS1_11target_archE1201ELNS1_3gpuE5ELNS1_3repE0EEENS1_30default_config_static_selectorELNS0_4arch9wavefront6targetE1EEEvT1_.uses_vcc, 0
	.set _ZN7rocprim17ROCPRIM_400000_NS6detail17trampoline_kernelINS0_14default_configENS1_25transform_config_selectorIlLb0EEEZNS1_14transform_implILb0ES3_S5_NS0_18transform_iteratorINS0_17counting_iteratorImlEEZNS1_24adjacent_difference_implIS3_Lb1ELb0EPlSB_ZN2at6native12_GLOBAL__N_124unique_dim_cuda_templateIsEESt5tupleIJNSC_6TensorESH_SH_EERKSH_lbbbEUlllE1_EE10hipError_tPvRmT2_T3_mT4_P12ihipStream_tbEUlmE_lEESB_NS0_8identityIvEEEESM_SP_SQ_mSR_ST_bEUlT_E_NS1_11comp_targetILNS1_3genE10ELNS1_11target_archE1201ELNS1_3gpuE5ELNS1_3repE0EEENS1_30default_config_static_selectorELNS0_4arch9wavefront6targetE1EEEvT1_.uses_flat_scratch, 0
	.set _ZN7rocprim17ROCPRIM_400000_NS6detail17trampoline_kernelINS0_14default_configENS1_25transform_config_selectorIlLb0EEEZNS1_14transform_implILb0ES3_S5_NS0_18transform_iteratorINS0_17counting_iteratorImlEEZNS1_24adjacent_difference_implIS3_Lb1ELb0EPlSB_ZN2at6native12_GLOBAL__N_124unique_dim_cuda_templateIsEESt5tupleIJNSC_6TensorESH_SH_EERKSH_lbbbEUlllE1_EE10hipError_tPvRmT2_T3_mT4_P12ihipStream_tbEUlmE_lEESB_NS0_8identityIvEEEESM_SP_SQ_mSR_ST_bEUlT_E_NS1_11comp_targetILNS1_3genE10ELNS1_11target_archE1201ELNS1_3gpuE5ELNS1_3repE0EEENS1_30default_config_static_selectorELNS0_4arch9wavefront6targetE1EEEvT1_.has_dyn_sized_stack, 0
	.set _ZN7rocprim17ROCPRIM_400000_NS6detail17trampoline_kernelINS0_14default_configENS1_25transform_config_selectorIlLb0EEEZNS1_14transform_implILb0ES3_S5_NS0_18transform_iteratorINS0_17counting_iteratorImlEEZNS1_24adjacent_difference_implIS3_Lb1ELb0EPlSB_ZN2at6native12_GLOBAL__N_124unique_dim_cuda_templateIsEESt5tupleIJNSC_6TensorESH_SH_EERKSH_lbbbEUlllE1_EE10hipError_tPvRmT2_T3_mT4_P12ihipStream_tbEUlmE_lEESB_NS0_8identityIvEEEESM_SP_SQ_mSR_ST_bEUlT_E_NS1_11comp_targetILNS1_3genE10ELNS1_11target_archE1201ELNS1_3gpuE5ELNS1_3repE0EEENS1_30default_config_static_selectorELNS0_4arch9wavefront6targetE1EEEvT1_.has_recursion, 0
	.set _ZN7rocprim17ROCPRIM_400000_NS6detail17trampoline_kernelINS0_14default_configENS1_25transform_config_selectorIlLb0EEEZNS1_14transform_implILb0ES3_S5_NS0_18transform_iteratorINS0_17counting_iteratorImlEEZNS1_24adjacent_difference_implIS3_Lb1ELb0EPlSB_ZN2at6native12_GLOBAL__N_124unique_dim_cuda_templateIsEESt5tupleIJNSC_6TensorESH_SH_EERKSH_lbbbEUlllE1_EE10hipError_tPvRmT2_T3_mT4_P12ihipStream_tbEUlmE_lEESB_NS0_8identityIvEEEESM_SP_SQ_mSR_ST_bEUlT_E_NS1_11comp_targetILNS1_3genE10ELNS1_11target_archE1201ELNS1_3gpuE5ELNS1_3repE0EEENS1_30default_config_static_selectorELNS0_4arch9wavefront6targetE1EEEvT1_.has_indirect_call, 0
	.section	.AMDGPU.csdata,"",@progbits
; Kernel info:
; codeLenInByte = 0
; TotalNumSgprs: 6
; NumVgprs: 0
; NumAgprs: 0
; TotalNumVgprs: 0
; ScratchSize: 0
; MemoryBound: 0
; FloatMode: 240
; IeeeMode: 1
; LDSByteSize: 0 bytes/workgroup (compile time only)
; SGPRBlocks: 0
; VGPRBlocks: 0
; NumSGPRsForWavesPerEU: 6
; NumVGPRsForWavesPerEU: 1
; AccumOffset: 4
; Occupancy: 8
; WaveLimiterHint : 0
; COMPUTE_PGM_RSRC2:SCRATCH_EN: 0
; COMPUTE_PGM_RSRC2:USER_SGPR: 2
; COMPUTE_PGM_RSRC2:TRAP_HANDLER: 0
; COMPUTE_PGM_RSRC2:TGID_X_EN: 1
; COMPUTE_PGM_RSRC2:TGID_Y_EN: 0
; COMPUTE_PGM_RSRC2:TGID_Z_EN: 0
; COMPUTE_PGM_RSRC2:TIDIG_COMP_CNT: 0
; COMPUTE_PGM_RSRC3_GFX90A:ACCUM_OFFSET: 0
; COMPUTE_PGM_RSRC3_GFX90A:TG_SPLIT: 0
	.section	.text._ZN7rocprim17ROCPRIM_400000_NS6detail17trampoline_kernelINS0_14default_configENS1_25transform_config_selectorIlLb0EEEZNS1_14transform_implILb0ES3_S5_NS0_18transform_iteratorINS0_17counting_iteratorImlEEZNS1_24adjacent_difference_implIS3_Lb1ELb0EPlSB_ZN2at6native12_GLOBAL__N_124unique_dim_cuda_templateIsEESt5tupleIJNSC_6TensorESH_SH_EERKSH_lbbbEUlllE1_EE10hipError_tPvRmT2_T3_mT4_P12ihipStream_tbEUlmE_lEESB_NS0_8identityIvEEEESM_SP_SQ_mSR_ST_bEUlT_E_NS1_11comp_targetILNS1_3genE10ELNS1_11target_archE1200ELNS1_3gpuE4ELNS1_3repE0EEENS1_30default_config_static_selectorELNS0_4arch9wavefront6targetE1EEEvT1_,"axG",@progbits,_ZN7rocprim17ROCPRIM_400000_NS6detail17trampoline_kernelINS0_14default_configENS1_25transform_config_selectorIlLb0EEEZNS1_14transform_implILb0ES3_S5_NS0_18transform_iteratorINS0_17counting_iteratorImlEEZNS1_24adjacent_difference_implIS3_Lb1ELb0EPlSB_ZN2at6native12_GLOBAL__N_124unique_dim_cuda_templateIsEESt5tupleIJNSC_6TensorESH_SH_EERKSH_lbbbEUlllE1_EE10hipError_tPvRmT2_T3_mT4_P12ihipStream_tbEUlmE_lEESB_NS0_8identityIvEEEESM_SP_SQ_mSR_ST_bEUlT_E_NS1_11comp_targetILNS1_3genE10ELNS1_11target_archE1200ELNS1_3gpuE4ELNS1_3repE0EEENS1_30default_config_static_selectorELNS0_4arch9wavefront6targetE1EEEvT1_,comdat
	.globl	_ZN7rocprim17ROCPRIM_400000_NS6detail17trampoline_kernelINS0_14default_configENS1_25transform_config_selectorIlLb0EEEZNS1_14transform_implILb0ES3_S5_NS0_18transform_iteratorINS0_17counting_iteratorImlEEZNS1_24adjacent_difference_implIS3_Lb1ELb0EPlSB_ZN2at6native12_GLOBAL__N_124unique_dim_cuda_templateIsEESt5tupleIJNSC_6TensorESH_SH_EERKSH_lbbbEUlllE1_EE10hipError_tPvRmT2_T3_mT4_P12ihipStream_tbEUlmE_lEESB_NS0_8identityIvEEEESM_SP_SQ_mSR_ST_bEUlT_E_NS1_11comp_targetILNS1_3genE10ELNS1_11target_archE1200ELNS1_3gpuE4ELNS1_3repE0EEENS1_30default_config_static_selectorELNS0_4arch9wavefront6targetE1EEEvT1_ ; -- Begin function _ZN7rocprim17ROCPRIM_400000_NS6detail17trampoline_kernelINS0_14default_configENS1_25transform_config_selectorIlLb0EEEZNS1_14transform_implILb0ES3_S5_NS0_18transform_iteratorINS0_17counting_iteratorImlEEZNS1_24adjacent_difference_implIS3_Lb1ELb0EPlSB_ZN2at6native12_GLOBAL__N_124unique_dim_cuda_templateIsEESt5tupleIJNSC_6TensorESH_SH_EERKSH_lbbbEUlllE1_EE10hipError_tPvRmT2_T3_mT4_P12ihipStream_tbEUlmE_lEESB_NS0_8identityIvEEEESM_SP_SQ_mSR_ST_bEUlT_E_NS1_11comp_targetILNS1_3genE10ELNS1_11target_archE1200ELNS1_3gpuE4ELNS1_3repE0EEENS1_30default_config_static_selectorELNS0_4arch9wavefront6targetE1EEEvT1_
	.p2align	8
	.type	_ZN7rocprim17ROCPRIM_400000_NS6detail17trampoline_kernelINS0_14default_configENS1_25transform_config_selectorIlLb0EEEZNS1_14transform_implILb0ES3_S5_NS0_18transform_iteratorINS0_17counting_iteratorImlEEZNS1_24adjacent_difference_implIS3_Lb1ELb0EPlSB_ZN2at6native12_GLOBAL__N_124unique_dim_cuda_templateIsEESt5tupleIJNSC_6TensorESH_SH_EERKSH_lbbbEUlllE1_EE10hipError_tPvRmT2_T3_mT4_P12ihipStream_tbEUlmE_lEESB_NS0_8identityIvEEEESM_SP_SQ_mSR_ST_bEUlT_E_NS1_11comp_targetILNS1_3genE10ELNS1_11target_archE1200ELNS1_3gpuE4ELNS1_3repE0EEENS1_30default_config_static_selectorELNS0_4arch9wavefront6targetE1EEEvT1_,@function
_ZN7rocprim17ROCPRIM_400000_NS6detail17trampoline_kernelINS0_14default_configENS1_25transform_config_selectorIlLb0EEEZNS1_14transform_implILb0ES3_S5_NS0_18transform_iteratorINS0_17counting_iteratorImlEEZNS1_24adjacent_difference_implIS3_Lb1ELb0EPlSB_ZN2at6native12_GLOBAL__N_124unique_dim_cuda_templateIsEESt5tupleIJNSC_6TensorESH_SH_EERKSH_lbbbEUlllE1_EE10hipError_tPvRmT2_T3_mT4_P12ihipStream_tbEUlmE_lEESB_NS0_8identityIvEEEESM_SP_SQ_mSR_ST_bEUlT_E_NS1_11comp_targetILNS1_3genE10ELNS1_11target_archE1200ELNS1_3gpuE4ELNS1_3repE0EEENS1_30default_config_static_selectorELNS0_4arch9wavefront6targetE1EEEvT1_: ; @_ZN7rocprim17ROCPRIM_400000_NS6detail17trampoline_kernelINS0_14default_configENS1_25transform_config_selectorIlLb0EEEZNS1_14transform_implILb0ES3_S5_NS0_18transform_iteratorINS0_17counting_iteratorImlEEZNS1_24adjacent_difference_implIS3_Lb1ELb0EPlSB_ZN2at6native12_GLOBAL__N_124unique_dim_cuda_templateIsEESt5tupleIJNSC_6TensorESH_SH_EERKSH_lbbbEUlllE1_EE10hipError_tPvRmT2_T3_mT4_P12ihipStream_tbEUlmE_lEESB_NS0_8identityIvEEEESM_SP_SQ_mSR_ST_bEUlT_E_NS1_11comp_targetILNS1_3genE10ELNS1_11target_archE1200ELNS1_3gpuE4ELNS1_3repE0EEENS1_30default_config_static_selectorELNS0_4arch9wavefront6targetE1EEEvT1_
; %bb.0:
	.section	.rodata,"a",@progbits
	.p2align	6, 0x0
	.amdhsa_kernel _ZN7rocprim17ROCPRIM_400000_NS6detail17trampoline_kernelINS0_14default_configENS1_25transform_config_selectorIlLb0EEEZNS1_14transform_implILb0ES3_S5_NS0_18transform_iteratorINS0_17counting_iteratorImlEEZNS1_24adjacent_difference_implIS3_Lb1ELb0EPlSB_ZN2at6native12_GLOBAL__N_124unique_dim_cuda_templateIsEESt5tupleIJNSC_6TensorESH_SH_EERKSH_lbbbEUlllE1_EE10hipError_tPvRmT2_T3_mT4_P12ihipStream_tbEUlmE_lEESB_NS0_8identityIvEEEESM_SP_SQ_mSR_ST_bEUlT_E_NS1_11comp_targetILNS1_3genE10ELNS1_11target_archE1200ELNS1_3gpuE4ELNS1_3repE0EEENS1_30default_config_static_selectorELNS0_4arch9wavefront6targetE1EEEvT1_
		.amdhsa_group_segment_fixed_size 0
		.amdhsa_private_segment_fixed_size 0
		.amdhsa_kernarg_size 56
		.amdhsa_user_sgpr_count 2
		.amdhsa_user_sgpr_dispatch_ptr 0
		.amdhsa_user_sgpr_queue_ptr 0
		.amdhsa_user_sgpr_kernarg_segment_ptr 1
		.amdhsa_user_sgpr_dispatch_id 0
		.amdhsa_user_sgpr_kernarg_preload_length 0
		.amdhsa_user_sgpr_kernarg_preload_offset 0
		.amdhsa_user_sgpr_private_segment_size 0
		.amdhsa_uses_dynamic_stack 0
		.amdhsa_enable_private_segment 0
		.amdhsa_system_sgpr_workgroup_id_x 1
		.amdhsa_system_sgpr_workgroup_id_y 0
		.amdhsa_system_sgpr_workgroup_id_z 0
		.amdhsa_system_sgpr_workgroup_info 0
		.amdhsa_system_vgpr_workitem_id 0
		.amdhsa_next_free_vgpr 1
		.amdhsa_next_free_sgpr 0
		.amdhsa_accum_offset 4
		.amdhsa_reserve_vcc 0
		.amdhsa_float_round_mode_32 0
		.amdhsa_float_round_mode_16_64 0
		.amdhsa_float_denorm_mode_32 3
		.amdhsa_float_denorm_mode_16_64 3
		.amdhsa_dx10_clamp 1
		.amdhsa_ieee_mode 1
		.amdhsa_fp16_overflow 0
		.amdhsa_tg_split 0
		.amdhsa_exception_fp_ieee_invalid_op 0
		.amdhsa_exception_fp_denorm_src 0
		.amdhsa_exception_fp_ieee_div_zero 0
		.amdhsa_exception_fp_ieee_overflow 0
		.amdhsa_exception_fp_ieee_underflow 0
		.amdhsa_exception_fp_ieee_inexact 0
		.amdhsa_exception_int_div_zero 0
	.end_amdhsa_kernel
	.section	.text._ZN7rocprim17ROCPRIM_400000_NS6detail17trampoline_kernelINS0_14default_configENS1_25transform_config_selectorIlLb0EEEZNS1_14transform_implILb0ES3_S5_NS0_18transform_iteratorINS0_17counting_iteratorImlEEZNS1_24adjacent_difference_implIS3_Lb1ELb0EPlSB_ZN2at6native12_GLOBAL__N_124unique_dim_cuda_templateIsEESt5tupleIJNSC_6TensorESH_SH_EERKSH_lbbbEUlllE1_EE10hipError_tPvRmT2_T3_mT4_P12ihipStream_tbEUlmE_lEESB_NS0_8identityIvEEEESM_SP_SQ_mSR_ST_bEUlT_E_NS1_11comp_targetILNS1_3genE10ELNS1_11target_archE1200ELNS1_3gpuE4ELNS1_3repE0EEENS1_30default_config_static_selectorELNS0_4arch9wavefront6targetE1EEEvT1_,"axG",@progbits,_ZN7rocprim17ROCPRIM_400000_NS6detail17trampoline_kernelINS0_14default_configENS1_25transform_config_selectorIlLb0EEEZNS1_14transform_implILb0ES3_S5_NS0_18transform_iteratorINS0_17counting_iteratorImlEEZNS1_24adjacent_difference_implIS3_Lb1ELb0EPlSB_ZN2at6native12_GLOBAL__N_124unique_dim_cuda_templateIsEESt5tupleIJNSC_6TensorESH_SH_EERKSH_lbbbEUlllE1_EE10hipError_tPvRmT2_T3_mT4_P12ihipStream_tbEUlmE_lEESB_NS0_8identityIvEEEESM_SP_SQ_mSR_ST_bEUlT_E_NS1_11comp_targetILNS1_3genE10ELNS1_11target_archE1200ELNS1_3gpuE4ELNS1_3repE0EEENS1_30default_config_static_selectorELNS0_4arch9wavefront6targetE1EEEvT1_,comdat
.Lfunc_end674:
	.size	_ZN7rocprim17ROCPRIM_400000_NS6detail17trampoline_kernelINS0_14default_configENS1_25transform_config_selectorIlLb0EEEZNS1_14transform_implILb0ES3_S5_NS0_18transform_iteratorINS0_17counting_iteratorImlEEZNS1_24adjacent_difference_implIS3_Lb1ELb0EPlSB_ZN2at6native12_GLOBAL__N_124unique_dim_cuda_templateIsEESt5tupleIJNSC_6TensorESH_SH_EERKSH_lbbbEUlllE1_EE10hipError_tPvRmT2_T3_mT4_P12ihipStream_tbEUlmE_lEESB_NS0_8identityIvEEEESM_SP_SQ_mSR_ST_bEUlT_E_NS1_11comp_targetILNS1_3genE10ELNS1_11target_archE1200ELNS1_3gpuE4ELNS1_3repE0EEENS1_30default_config_static_selectorELNS0_4arch9wavefront6targetE1EEEvT1_, .Lfunc_end674-_ZN7rocprim17ROCPRIM_400000_NS6detail17trampoline_kernelINS0_14default_configENS1_25transform_config_selectorIlLb0EEEZNS1_14transform_implILb0ES3_S5_NS0_18transform_iteratorINS0_17counting_iteratorImlEEZNS1_24adjacent_difference_implIS3_Lb1ELb0EPlSB_ZN2at6native12_GLOBAL__N_124unique_dim_cuda_templateIsEESt5tupleIJNSC_6TensorESH_SH_EERKSH_lbbbEUlllE1_EE10hipError_tPvRmT2_T3_mT4_P12ihipStream_tbEUlmE_lEESB_NS0_8identityIvEEEESM_SP_SQ_mSR_ST_bEUlT_E_NS1_11comp_targetILNS1_3genE10ELNS1_11target_archE1200ELNS1_3gpuE4ELNS1_3repE0EEENS1_30default_config_static_selectorELNS0_4arch9wavefront6targetE1EEEvT1_
                                        ; -- End function
	.set _ZN7rocprim17ROCPRIM_400000_NS6detail17trampoline_kernelINS0_14default_configENS1_25transform_config_selectorIlLb0EEEZNS1_14transform_implILb0ES3_S5_NS0_18transform_iteratorINS0_17counting_iteratorImlEEZNS1_24adjacent_difference_implIS3_Lb1ELb0EPlSB_ZN2at6native12_GLOBAL__N_124unique_dim_cuda_templateIsEESt5tupleIJNSC_6TensorESH_SH_EERKSH_lbbbEUlllE1_EE10hipError_tPvRmT2_T3_mT4_P12ihipStream_tbEUlmE_lEESB_NS0_8identityIvEEEESM_SP_SQ_mSR_ST_bEUlT_E_NS1_11comp_targetILNS1_3genE10ELNS1_11target_archE1200ELNS1_3gpuE4ELNS1_3repE0EEENS1_30default_config_static_selectorELNS0_4arch9wavefront6targetE1EEEvT1_.num_vgpr, 0
	.set _ZN7rocprim17ROCPRIM_400000_NS6detail17trampoline_kernelINS0_14default_configENS1_25transform_config_selectorIlLb0EEEZNS1_14transform_implILb0ES3_S5_NS0_18transform_iteratorINS0_17counting_iteratorImlEEZNS1_24adjacent_difference_implIS3_Lb1ELb0EPlSB_ZN2at6native12_GLOBAL__N_124unique_dim_cuda_templateIsEESt5tupleIJNSC_6TensorESH_SH_EERKSH_lbbbEUlllE1_EE10hipError_tPvRmT2_T3_mT4_P12ihipStream_tbEUlmE_lEESB_NS0_8identityIvEEEESM_SP_SQ_mSR_ST_bEUlT_E_NS1_11comp_targetILNS1_3genE10ELNS1_11target_archE1200ELNS1_3gpuE4ELNS1_3repE0EEENS1_30default_config_static_selectorELNS0_4arch9wavefront6targetE1EEEvT1_.num_agpr, 0
	.set _ZN7rocprim17ROCPRIM_400000_NS6detail17trampoline_kernelINS0_14default_configENS1_25transform_config_selectorIlLb0EEEZNS1_14transform_implILb0ES3_S5_NS0_18transform_iteratorINS0_17counting_iteratorImlEEZNS1_24adjacent_difference_implIS3_Lb1ELb0EPlSB_ZN2at6native12_GLOBAL__N_124unique_dim_cuda_templateIsEESt5tupleIJNSC_6TensorESH_SH_EERKSH_lbbbEUlllE1_EE10hipError_tPvRmT2_T3_mT4_P12ihipStream_tbEUlmE_lEESB_NS0_8identityIvEEEESM_SP_SQ_mSR_ST_bEUlT_E_NS1_11comp_targetILNS1_3genE10ELNS1_11target_archE1200ELNS1_3gpuE4ELNS1_3repE0EEENS1_30default_config_static_selectorELNS0_4arch9wavefront6targetE1EEEvT1_.numbered_sgpr, 0
	.set _ZN7rocprim17ROCPRIM_400000_NS6detail17trampoline_kernelINS0_14default_configENS1_25transform_config_selectorIlLb0EEEZNS1_14transform_implILb0ES3_S5_NS0_18transform_iteratorINS0_17counting_iteratorImlEEZNS1_24adjacent_difference_implIS3_Lb1ELb0EPlSB_ZN2at6native12_GLOBAL__N_124unique_dim_cuda_templateIsEESt5tupleIJNSC_6TensorESH_SH_EERKSH_lbbbEUlllE1_EE10hipError_tPvRmT2_T3_mT4_P12ihipStream_tbEUlmE_lEESB_NS0_8identityIvEEEESM_SP_SQ_mSR_ST_bEUlT_E_NS1_11comp_targetILNS1_3genE10ELNS1_11target_archE1200ELNS1_3gpuE4ELNS1_3repE0EEENS1_30default_config_static_selectorELNS0_4arch9wavefront6targetE1EEEvT1_.num_named_barrier, 0
	.set _ZN7rocprim17ROCPRIM_400000_NS6detail17trampoline_kernelINS0_14default_configENS1_25transform_config_selectorIlLb0EEEZNS1_14transform_implILb0ES3_S5_NS0_18transform_iteratorINS0_17counting_iteratorImlEEZNS1_24adjacent_difference_implIS3_Lb1ELb0EPlSB_ZN2at6native12_GLOBAL__N_124unique_dim_cuda_templateIsEESt5tupleIJNSC_6TensorESH_SH_EERKSH_lbbbEUlllE1_EE10hipError_tPvRmT2_T3_mT4_P12ihipStream_tbEUlmE_lEESB_NS0_8identityIvEEEESM_SP_SQ_mSR_ST_bEUlT_E_NS1_11comp_targetILNS1_3genE10ELNS1_11target_archE1200ELNS1_3gpuE4ELNS1_3repE0EEENS1_30default_config_static_selectorELNS0_4arch9wavefront6targetE1EEEvT1_.private_seg_size, 0
	.set _ZN7rocprim17ROCPRIM_400000_NS6detail17trampoline_kernelINS0_14default_configENS1_25transform_config_selectorIlLb0EEEZNS1_14transform_implILb0ES3_S5_NS0_18transform_iteratorINS0_17counting_iteratorImlEEZNS1_24adjacent_difference_implIS3_Lb1ELb0EPlSB_ZN2at6native12_GLOBAL__N_124unique_dim_cuda_templateIsEESt5tupleIJNSC_6TensorESH_SH_EERKSH_lbbbEUlllE1_EE10hipError_tPvRmT2_T3_mT4_P12ihipStream_tbEUlmE_lEESB_NS0_8identityIvEEEESM_SP_SQ_mSR_ST_bEUlT_E_NS1_11comp_targetILNS1_3genE10ELNS1_11target_archE1200ELNS1_3gpuE4ELNS1_3repE0EEENS1_30default_config_static_selectorELNS0_4arch9wavefront6targetE1EEEvT1_.uses_vcc, 0
	.set _ZN7rocprim17ROCPRIM_400000_NS6detail17trampoline_kernelINS0_14default_configENS1_25transform_config_selectorIlLb0EEEZNS1_14transform_implILb0ES3_S5_NS0_18transform_iteratorINS0_17counting_iteratorImlEEZNS1_24adjacent_difference_implIS3_Lb1ELb0EPlSB_ZN2at6native12_GLOBAL__N_124unique_dim_cuda_templateIsEESt5tupleIJNSC_6TensorESH_SH_EERKSH_lbbbEUlllE1_EE10hipError_tPvRmT2_T3_mT4_P12ihipStream_tbEUlmE_lEESB_NS0_8identityIvEEEESM_SP_SQ_mSR_ST_bEUlT_E_NS1_11comp_targetILNS1_3genE10ELNS1_11target_archE1200ELNS1_3gpuE4ELNS1_3repE0EEENS1_30default_config_static_selectorELNS0_4arch9wavefront6targetE1EEEvT1_.uses_flat_scratch, 0
	.set _ZN7rocprim17ROCPRIM_400000_NS6detail17trampoline_kernelINS0_14default_configENS1_25transform_config_selectorIlLb0EEEZNS1_14transform_implILb0ES3_S5_NS0_18transform_iteratorINS0_17counting_iteratorImlEEZNS1_24adjacent_difference_implIS3_Lb1ELb0EPlSB_ZN2at6native12_GLOBAL__N_124unique_dim_cuda_templateIsEESt5tupleIJNSC_6TensorESH_SH_EERKSH_lbbbEUlllE1_EE10hipError_tPvRmT2_T3_mT4_P12ihipStream_tbEUlmE_lEESB_NS0_8identityIvEEEESM_SP_SQ_mSR_ST_bEUlT_E_NS1_11comp_targetILNS1_3genE10ELNS1_11target_archE1200ELNS1_3gpuE4ELNS1_3repE0EEENS1_30default_config_static_selectorELNS0_4arch9wavefront6targetE1EEEvT1_.has_dyn_sized_stack, 0
	.set _ZN7rocprim17ROCPRIM_400000_NS6detail17trampoline_kernelINS0_14default_configENS1_25transform_config_selectorIlLb0EEEZNS1_14transform_implILb0ES3_S5_NS0_18transform_iteratorINS0_17counting_iteratorImlEEZNS1_24adjacent_difference_implIS3_Lb1ELb0EPlSB_ZN2at6native12_GLOBAL__N_124unique_dim_cuda_templateIsEESt5tupleIJNSC_6TensorESH_SH_EERKSH_lbbbEUlllE1_EE10hipError_tPvRmT2_T3_mT4_P12ihipStream_tbEUlmE_lEESB_NS0_8identityIvEEEESM_SP_SQ_mSR_ST_bEUlT_E_NS1_11comp_targetILNS1_3genE10ELNS1_11target_archE1200ELNS1_3gpuE4ELNS1_3repE0EEENS1_30default_config_static_selectorELNS0_4arch9wavefront6targetE1EEEvT1_.has_recursion, 0
	.set _ZN7rocprim17ROCPRIM_400000_NS6detail17trampoline_kernelINS0_14default_configENS1_25transform_config_selectorIlLb0EEEZNS1_14transform_implILb0ES3_S5_NS0_18transform_iteratorINS0_17counting_iteratorImlEEZNS1_24adjacent_difference_implIS3_Lb1ELb0EPlSB_ZN2at6native12_GLOBAL__N_124unique_dim_cuda_templateIsEESt5tupleIJNSC_6TensorESH_SH_EERKSH_lbbbEUlllE1_EE10hipError_tPvRmT2_T3_mT4_P12ihipStream_tbEUlmE_lEESB_NS0_8identityIvEEEESM_SP_SQ_mSR_ST_bEUlT_E_NS1_11comp_targetILNS1_3genE10ELNS1_11target_archE1200ELNS1_3gpuE4ELNS1_3repE0EEENS1_30default_config_static_selectorELNS0_4arch9wavefront6targetE1EEEvT1_.has_indirect_call, 0
	.section	.AMDGPU.csdata,"",@progbits
; Kernel info:
; codeLenInByte = 0
; TotalNumSgprs: 6
; NumVgprs: 0
; NumAgprs: 0
; TotalNumVgprs: 0
; ScratchSize: 0
; MemoryBound: 0
; FloatMode: 240
; IeeeMode: 1
; LDSByteSize: 0 bytes/workgroup (compile time only)
; SGPRBlocks: 0
; VGPRBlocks: 0
; NumSGPRsForWavesPerEU: 6
; NumVGPRsForWavesPerEU: 1
; AccumOffset: 4
; Occupancy: 8
; WaveLimiterHint : 0
; COMPUTE_PGM_RSRC2:SCRATCH_EN: 0
; COMPUTE_PGM_RSRC2:USER_SGPR: 2
; COMPUTE_PGM_RSRC2:TRAP_HANDLER: 0
; COMPUTE_PGM_RSRC2:TGID_X_EN: 1
; COMPUTE_PGM_RSRC2:TGID_Y_EN: 0
; COMPUTE_PGM_RSRC2:TGID_Z_EN: 0
; COMPUTE_PGM_RSRC2:TIDIG_COMP_CNT: 0
; COMPUTE_PGM_RSRC3_GFX90A:ACCUM_OFFSET: 0
; COMPUTE_PGM_RSRC3_GFX90A:TG_SPLIT: 0
	.section	.text._ZN7rocprim17ROCPRIM_400000_NS6detail17trampoline_kernelINS0_14default_configENS1_25transform_config_selectorIlLb0EEEZNS1_14transform_implILb0ES3_S5_NS0_18transform_iteratorINS0_17counting_iteratorImlEEZNS1_24adjacent_difference_implIS3_Lb1ELb0EPlSB_ZN2at6native12_GLOBAL__N_124unique_dim_cuda_templateIsEESt5tupleIJNSC_6TensorESH_SH_EERKSH_lbbbEUlllE1_EE10hipError_tPvRmT2_T3_mT4_P12ihipStream_tbEUlmE_lEESB_NS0_8identityIvEEEESM_SP_SQ_mSR_ST_bEUlT_E_NS1_11comp_targetILNS1_3genE9ELNS1_11target_archE1100ELNS1_3gpuE3ELNS1_3repE0EEENS1_30default_config_static_selectorELNS0_4arch9wavefront6targetE1EEEvT1_,"axG",@progbits,_ZN7rocprim17ROCPRIM_400000_NS6detail17trampoline_kernelINS0_14default_configENS1_25transform_config_selectorIlLb0EEEZNS1_14transform_implILb0ES3_S5_NS0_18transform_iteratorINS0_17counting_iteratorImlEEZNS1_24adjacent_difference_implIS3_Lb1ELb0EPlSB_ZN2at6native12_GLOBAL__N_124unique_dim_cuda_templateIsEESt5tupleIJNSC_6TensorESH_SH_EERKSH_lbbbEUlllE1_EE10hipError_tPvRmT2_T3_mT4_P12ihipStream_tbEUlmE_lEESB_NS0_8identityIvEEEESM_SP_SQ_mSR_ST_bEUlT_E_NS1_11comp_targetILNS1_3genE9ELNS1_11target_archE1100ELNS1_3gpuE3ELNS1_3repE0EEENS1_30default_config_static_selectorELNS0_4arch9wavefront6targetE1EEEvT1_,comdat
	.globl	_ZN7rocprim17ROCPRIM_400000_NS6detail17trampoline_kernelINS0_14default_configENS1_25transform_config_selectorIlLb0EEEZNS1_14transform_implILb0ES3_S5_NS0_18transform_iteratorINS0_17counting_iteratorImlEEZNS1_24adjacent_difference_implIS3_Lb1ELb0EPlSB_ZN2at6native12_GLOBAL__N_124unique_dim_cuda_templateIsEESt5tupleIJNSC_6TensorESH_SH_EERKSH_lbbbEUlllE1_EE10hipError_tPvRmT2_T3_mT4_P12ihipStream_tbEUlmE_lEESB_NS0_8identityIvEEEESM_SP_SQ_mSR_ST_bEUlT_E_NS1_11comp_targetILNS1_3genE9ELNS1_11target_archE1100ELNS1_3gpuE3ELNS1_3repE0EEENS1_30default_config_static_selectorELNS0_4arch9wavefront6targetE1EEEvT1_ ; -- Begin function _ZN7rocprim17ROCPRIM_400000_NS6detail17trampoline_kernelINS0_14default_configENS1_25transform_config_selectorIlLb0EEEZNS1_14transform_implILb0ES3_S5_NS0_18transform_iteratorINS0_17counting_iteratorImlEEZNS1_24adjacent_difference_implIS3_Lb1ELb0EPlSB_ZN2at6native12_GLOBAL__N_124unique_dim_cuda_templateIsEESt5tupleIJNSC_6TensorESH_SH_EERKSH_lbbbEUlllE1_EE10hipError_tPvRmT2_T3_mT4_P12ihipStream_tbEUlmE_lEESB_NS0_8identityIvEEEESM_SP_SQ_mSR_ST_bEUlT_E_NS1_11comp_targetILNS1_3genE9ELNS1_11target_archE1100ELNS1_3gpuE3ELNS1_3repE0EEENS1_30default_config_static_selectorELNS0_4arch9wavefront6targetE1EEEvT1_
	.p2align	8
	.type	_ZN7rocprim17ROCPRIM_400000_NS6detail17trampoline_kernelINS0_14default_configENS1_25transform_config_selectorIlLb0EEEZNS1_14transform_implILb0ES3_S5_NS0_18transform_iteratorINS0_17counting_iteratorImlEEZNS1_24adjacent_difference_implIS3_Lb1ELb0EPlSB_ZN2at6native12_GLOBAL__N_124unique_dim_cuda_templateIsEESt5tupleIJNSC_6TensorESH_SH_EERKSH_lbbbEUlllE1_EE10hipError_tPvRmT2_T3_mT4_P12ihipStream_tbEUlmE_lEESB_NS0_8identityIvEEEESM_SP_SQ_mSR_ST_bEUlT_E_NS1_11comp_targetILNS1_3genE9ELNS1_11target_archE1100ELNS1_3gpuE3ELNS1_3repE0EEENS1_30default_config_static_selectorELNS0_4arch9wavefront6targetE1EEEvT1_,@function
_ZN7rocprim17ROCPRIM_400000_NS6detail17trampoline_kernelINS0_14default_configENS1_25transform_config_selectorIlLb0EEEZNS1_14transform_implILb0ES3_S5_NS0_18transform_iteratorINS0_17counting_iteratorImlEEZNS1_24adjacent_difference_implIS3_Lb1ELb0EPlSB_ZN2at6native12_GLOBAL__N_124unique_dim_cuda_templateIsEESt5tupleIJNSC_6TensorESH_SH_EERKSH_lbbbEUlllE1_EE10hipError_tPvRmT2_T3_mT4_P12ihipStream_tbEUlmE_lEESB_NS0_8identityIvEEEESM_SP_SQ_mSR_ST_bEUlT_E_NS1_11comp_targetILNS1_3genE9ELNS1_11target_archE1100ELNS1_3gpuE3ELNS1_3repE0EEENS1_30default_config_static_selectorELNS0_4arch9wavefront6targetE1EEEvT1_: ; @_ZN7rocprim17ROCPRIM_400000_NS6detail17trampoline_kernelINS0_14default_configENS1_25transform_config_selectorIlLb0EEEZNS1_14transform_implILb0ES3_S5_NS0_18transform_iteratorINS0_17counting_iteratorImlEEZNS1_24adjacent_difference_implIS3_Lb1ELb0EPlSB_ZN2at6native12_GLOBAL__N_124unique_dim_cuda_templateIsEESt5tupleIJNSC_6TensorESH_SH_EERKSH_lbbbEUlllE1_EE10hipError_tPvRmT2_T3_mT4_P12ihipStream_tbEUlmE_lEESB_NS0_8identityIvEEEESM_SP_SQ_mSR_ST_bEUlT_E_NS1_11comp_targetILNS1_3genE9ELNS1_11target_archE1100ELNS1_3gpuE3ELNS1_3repE0EEENS1_30default_config_static_selectorELNS0_4arch9wavefront6targetE1EEEvT1_
; %bb.0:
	.section	.rodata,"a",@progbits
	.p2align	6, 0x0
	.amdhsa_kernel _ZN7rocprim17ROCPRIM_400000_NS6detail17trampoline_kernelINS0_14default_configENS1_25transform_config_selectorIlLb0EEEZNS1_14transform_implILb0ES3_S5_NS0_18transform_iteratorINS0_17counting_iteratorImlEEZNS1_24adjacent_difference_implIS3_Lb1ELb0EPlSB_ZN2at6native12_GLOBAL__N_124unique_dim_cuda_templateIsEESt5tupleIJNSC_6TensorESH_SH_EERKSH_lbbbEUlllE1_EE10hipError_tPvRmT2_T3_mT4_P12ihipStream_tbEUlmE_lEESB_NS0_8identityIvEEEESM_SP_SQ_mSR_ST_bEUlT_E_NS1_11comp_targetILNS1_3genE9ELNS1_11target_archE1100ELNS1_3gpuE3ELNS1_3repE0EEENS1_30default_config_static_selectorELNS0_4arch9wavefront6targetE1EEEvT1_
		.amdhsa_group_segment_fixed_size 0
		.amdhsa_private_segment_fixed_size 0
		.amdhsa_kernarg_size 56
		.amdhsa_user_sgpr_count 2
		.amdhsa_user_sgpr_dispatch_ptr 0
		.amdhsa_user_sgpr_queue_ptr 0
		.amdhsa_user_sgpr_kernarg_segment_ptr 1
		.amdhsa_user_sgpr_dispatch_id 0
		.amdhsa_user_sgpr_kernarg_preload_length 0
		.amdhsa_user_sgpr_kernarg_preload_offset 0
		.amdhsa_user_sgpr_private_segment_size 0
		.amdhsa_uses_dynamic_stack 0
		.amdhsa_enable_private_segment 0
		.amdhsa_system_sgpr_workgroup_id_x 1
		.amdhsa_system_sgpr_workgroup_id_y 0
		.amdhsa_system_sgpr_workgroup_id_z 0
		.amdhsa_system_sgpr_workgroup_info 0
		.amdhsa_system_vgpr_workitem_id 0
		.amdhsa_next_free_vgpr 1
		.amdhsa_next_free_sgpr 0
		.amdhsa_accum_offset 4
		.amdhsa_reserve_vcc 0
		.amdhsa_float_round_mode_32 0
		.amdhsa_float_round_mode_16_64 0
		.amdhsa_float_denorm_mode_32 3
		.amdhsa_float_denorm_mode_16_64 3
		.amdhsa_dx10_clamp 1
		.amdhsa_ieee_mode 1
		.amdhsa_fp16_overflow 0
		.amdhsa_tg_split 0
		.amdhsa_exception_fp_ieee_invalid_op 0
		.amdhsa_exception_fp_denorm_src 0
		.amdhsa_exception_fp_ieee_div_zero 0
		.amdhsa_exception_fp_ieee_overflow 0
		.amdhsa_exception_fp_ieee_underflow 0
		.amdhsa_exception_fp_ieee_inexact 0
		.amdhsa_exception_int_div_zero 0
	.end_amdhsa_kernel
	.section	.text._ZN7rocprim17ROCPRIM_400000_NS6detail17trampoline_kernelINS0_14default_configENS1_25transform_config_selectorIlLb0EEEZNS1_14transform_implILb0ES3_S5_NS0_18transform_iteratorINS0_17counting_iteratorImlEEZNS1_24adjacent_difference_implIS3_Lb1ELb0EPlSB_ZN2at6native12_GLOBAL__N_124unique_dim_cuda_templateIsEESt5tupleIJNSC_6TensorESH_SH_EERKSH_lbbbEUlllE1_EE10hipError_tPvRmT2_T3_mT4_P12ihipStream_tbEUlmE_lEESB_NS0_8identityIvEEEESM_SP_SQ_mSR_ST_bEUlT_E_NS1_11comp_targetILNS1_3genE9ELNS1_11target_archE1100ELNS1_3gpuE3ELNS1_3repE0EEENS1_30default_config_static_selectorELNS0_4arch9wavefront6targetE1EEEvT1_,"axG",@progbits,_ZN7rocprim17ROCPRIM_400000_NS6detail17trampoline_kernelINS0_14default_configENS1_25transform_config_selectorIlLb0EEEZNS1_14transform_implILb0ES3_S5_NS0_18transform_iteratorINS0_17counting_iteratorImlEEZNS1_24adjacent_difference_implIS3_Lb1ELb0EPlSB_ZN2at6native12_GLOBAL__N_124unique_dim_cuda_templateIsEESt5tupleIJNSC_6TensorESH_SH_EERKSH_lbbbEUlllE1_EE10hipError_tPvRmT2_T3_mT4_P12ihipStream_tbEUlmE_lEESB_NS0_8identityIvEEEESM_SP_SQ_mSR_ST_bEUlT_E_NS1_11comp_targetILNS1_3genE9ELNS1_11target_archE1100ELNS1_3gpuE3ELNS1_3repE0EEENS1_30default_config_static_selectorELNS0_4arch9wavefront6targetE1EEEvT1_,comdat
.Lfunc_end675:
	.size	_ZN7rocprim17ROCPRIM_400000_NS6detail17trampoline_kernelINS0_14default_configENS1_25transform_config_selectorIlLb0EEEZNS1_14transform_implILb0ES3_S5_NS0_18transform_iteratorINS0_17counting_iteratorImlEEZNS1_24adjacent_difference_implIS3_Lb1ELb0EPlSB_ZN2at6native12_GLOBAL__N_124unique_dim_cuda_templateIsEESt5tupleIJNSC_6TensorESH_SH_EERKSH_lbbbEUlllE1_EE10hipError_tPvRmT2_T3_mT4_P12ihipStream_tbEUlmE_lEESB_NS0_8identityIvEEEESM_SP_SQ_mSR_ST_bEUlT_E_NS1_11comp_targetILNS1_3genE9ELNS1_11target_archE1100ELNS1_3gpuE3ELNS1_3repE0EEENS1_30default_config_static_selectorELNS0_4arch9wavefront6targetE1EEEvT1_, .Lfunc_end675-_ZN7rocprim17ROCPRIM_400000_NS6detail17trampoline_kernelINS0_14default_configENS1_25transform_config_selectorIlLb0EEEZNS1_14transform_implILb0ES3_S5_NS0_18transform_iteratorINS0_17counting_iteratorImlEEZNS1_24adjacent_difference_implIS3_Lb1ELb0EPlSB_ZN2at6native12_GLOBAL__N_124unique_dim_cuda_templateIsEESt5tupleIJNSC_6TensorESH_SH_EERKSH_lbbbEUlllE1_EE10hipError_tPvRmT2_T3_mT4_P12ihipStream_tbEUlmE_lEESB_NS0_8identityIvEEEESM_SP_SQ_mSR_ST_bEUlT_E_NS1_11comp_targetILNS1_3genE9ELNS1_11target_archE1100ELNS1_3gpuE3ELNS1_3repE0EEENS1_30default_config_static_selectorELNS0_4arch9wavefront6targetE1EEEvT1_
                                        ; -- End function
	.set _ZN7rocprim17ROCPRIM_400000_NS6detail17trampoline_kernelINS0_14default_configENS1_25transform_config_selectorIlLb0EEEZNS1_14transform_implILb0ES3_S5_NS0_18transform_iteratorINS0_17counting_iteratorImlEEZNS1_24adjacent_difference_implIS3_Lb1ELb0EPlSB_ZN2at6native12_GLOBAL__N_124unique_dim_cuda_templateIsEESt5tupleIJNSC_6TensorESH_SH_EERKSH_lbbbEUlllE1_EE10hipError_tPvRmT2_T3_mT4_P12ihipStream_tbEUlmE_lEESB_NS0_8identityIvEEEESM_SP_SQ_mSR_ST_bEUlT_E_NS1_11comp_targetILNS1_3genE9ELNS1_11target_archE1100ELNS1_3gpuE3ELNS1_3repE0EEENS1_30default_config_static_selectorELNS0_4arch9wavefront6targetE1EEEvT1_.num_vgpr, 0
	.set _ZN7rocprim17ROCPRIM_400000_NS6detail17trampoline_kernelINS0_14default_configENS1_25transform_config_selectorIlLb0EEEZNS1_14transform_implILb0ES3_S5_NS0_18transform_iteratorINS0_17counting_iteratorImlEEZNS1_24adjacent_difference_implIS3_Lb1ELb0EPlSB_ZN2at6native12_GLOBAL__N_124unique_dim_cuda_templateIsEESt5tupleIJNSC_6TensorESH_SH_EERKSH_lbbbEUlllE1_EE10hipError_tPvRmT2_T3_mT4_P12ihipStream_tbEUlmE_lEESB_NS0_8identityIvEEEESM_SP_SQ_mSR_ST_bEUlT_E_NS1_11comp_targetILNS1_3genE9ELNS1_11target_archE1100ELNS1_3gpuE3ELNS1_3repE0EEENS1_30default_config_static_selectorELNS0_4arch9wavefront6targetE1EEEvT1_.num_agpr, 0
	.set _ZN7rocprim17ROCPRIM_400000_NS6detail17trampoline_kernelINS0_14default_configENS1_25transform_config_selectorIlLb0EEEZNS1_14transform_implILb0ES3_S5_NS0_18transform_iteratorINS0_17counting_iteratorImlEEZNS1_24adjacent_difference_implIS3_Lb1ELb0EPlSB_ZN2at6native12_GLOBAL__N_124unique_dim_cuda_templateIsEESt5tupleIJNSC_6TensorESH_SH_EERKSH_lbbbEUlllE1_EE10hipError_tPvRmT2_T3_mT4_P12ihipStream_tbEUlmE_lEESB_NS0_8identityIvEEEESM_SP_SQ_mSR_ST_bEUlT_E_NS1_11comp_targetILNS1_3genE9ELNS1_11target_archE1100ELNS1_3gpuE3ELNS1_3repE0EEENS1_30default_config_static_selectorELNS0_4arch9wavefront6targetE1EEEvT1_.numbered_sgpr, 0
	.set _ZN7rocprim17ROCPRIM_400000_NS6detail17trampoline_kernelINS0_14default_configENS1_25transform_config_selectorIlLb0EEEZNS1_14transform_implILb0ES3_S5_NS0_18transform_iteratorINS0_17counting_iteratorImlEEZNS1_24adjacent_difference_implIS3_Lb1ELb0EPlSB_ZN2at6native12_GLOBAL__N_124unique_dim_cuda_templateIsEESt5tupleIJNSC_6TensorESH_SH_EERKSH_lbbbEUlllE1_EE10hipError_tPvRmT2_T3_mT4_P12ihipStream_tbEUlmE_lEESB_NS0_8identityIvEEEESM_SP_SQ_mSR_ST_bEUlT_E_NS1_11comp_targetILNS1_3genE9ELNS1_11target_archE1100ELNS1_3gpuE3ELNS1_3repE0EEENS1_30default_config_static_selectorELNS0_4arch9wavefront6targetE1EEEvT1_.num_named_barrier, 0
	.set _ZN7rocprim17ROCPRIM_400000_NS6detail17trampoline_kernelINS0_14default_configENS1_25transform_config_selectorIlLb0EEEZNS1_14transform_implILb0ES3_S5_NS0_18transform_iteratorINS0_17counting_iteratorImlEEZNS1_24adjacent_difference_implIS3_Lb1ELb0EPlSB_ZN2at6native12_GLOBAL__N_124unique_dim_cuda_templateIsEESt5tupleIJNSC_6TensorESH_SH_EERKSH_lbbbEUlllE1_EE10hipError_tPvRmT2_T3_mT4_P12ihipStream_tbEUlmE_lEESB_NS0_8identityIvEEEESM_SP_SQ_mSR_ST_bEUlT_E_NS1_11comp_targetILNS1_3genE9ELNS1_11target_archE1100ELNS1_3gpuE3ELNS1_3repE0EEENS1_30default_config_static_selectorELNS0_4arch9wavefront6targetE1EEEvT1_.private_seg_size, 0
	.set _ZN7rocprim17ROCPRIM_400000_NS6detail17trampoline_kernelINS0_14default_configENS1_25transform_config_selectorIlLb0EEEZNS1_14transform_implILb0ES3_S5_NS0_18transform_iteratorINS0_17counting_iteratorImlEEZNS1_24adjacent_difference_implIS3_Lb1ELb0EPlSB_ZN2at6native12_GLOBAL__N_124unique_dim_cuda_templateIsEESt5tupleIJNSC_6TensorESH_SH_EERKSH_lbbbEUlllE1_EE10hipError_tPvRmT2_T3_mT4_P12ihipStream_tbEUlmE_lEESB_NS0_8identityIvEEEESM_SP_SQ_mSR_ST_bEUlT_E_NS1_11comp_targetILNS1_3genE9ELNS1_11target_archE1100ELNS1_3gpuE3ELNS1_3repE0EEENS1_30default_config_static_selectorELNS0_4arch9wavefront6targetE1EEEvT1_.uses_vcc, 0
	.set _ZN7rocprim17ROCPRIM_400000_NS6detail17trampoline_kernelINS0_14default_configENS1_25transform_config_selectorIlLb0EEEZNS1_14transform_implILb0ES3_S5_NS0_18transform_iteratorINS0_17counting_iteratorImlEEZNS1_24adjacent_difference_implIS3_Lb1ELb0EPlSB_ZN2at6native12_GLOBAL__N_124unique_dim_cuda_templateIsEESt5tupleIJNSC_6TensorESH_SH_EERKSH_lbbbEUlllE1_EE10hipError_tPvRmT2_T3_mT4_P12ihipStream_tbEUlmE_lEESB_NS0_8identityIvEEEESM_SP_SQ_mSR_ST_bEUlT_E_NS1_11comp_targetILNS1_3genE9ELNS1_11target_archE1100ELNS1_3gpuE3ELNS1_3repE0EEENS1_30default_config_static_selectorELNS0_4arch9wavefront6targetE1EEEvT1_.uses_flat_scratch, 0
	.set _ZN7rocprim17ROCPRIM_400000_NS6detail17trampoline_kernelINS0_14default_configENS1_25transform_config_selectorIlLb0EEEZNS1_14transform_implILb0ES3_S5_NS0_18transform_iteratorINS0_17counting_iteratorImlEEZNS1_24adjacent_difference_implIS3_Lb1ELb0EPlSB_ZN2at6native12_GLOBAL__N_124unique_dim_cuda_templateIsEESt5tupleIJNSC_6TensorESH_SH_EERKSH_lbbbEUlllE1_EE10hipError_tPvRmT2_T3_mT4_P12ihipStream_tbEUlmE_lEESB_NS0_8identityIvEEEESM_SP_SQ_mSR_ST_bEUlT_E_NS1_11comp_targetILNS1_3genE9ELNS1_11target_archE1100ELNS1_3gpuE3ELNS1_3repE0EEENS1_30default_config_static_selectorELNS0_4arch9wavefront6targetE1EEEvT1_.has_dyn_sized_stack, 0
	.set _ZN7rocprim17ROCPRIM_400000_NS6detail17trampoline_kernelINS0_14default_configENS1_25transform_config_selectorIlLb0EEEZNS1_14transform_implILb0ES3_S5_NS0_18transform_iteratorINS0_17counting_iteratorImlEEZNS1_24adjacent_difference_implIS3_Lb1ELb0EPlSB_ZN2at6native12_GLOBAL__N_124unique_dim_cuda_templateIsEESt5tupleIJNSC_6TensorESH_SH_EERKSH_lbbbEUlllE1_EE10hipError_tPvRmT2_T3_mT4_P12ihipStream_tbEUlmE_lEESB_NS0_8identityIvEEEESM_SP_SQ_mSR_ST_bEUlT_E_NS1_11comp_targetILNS1_3genE9ELNS1_11target_archE1100ELNS1_3gpuE3ELNS1_3repE0EEENS1_30default_config_static_selectorELNS0_4arch9wavefront6targetE1EEEvT1_.has_recursion, 0
	.set _ZN7rocprim17ROCPRIM_400000_NS6detail17trampoline_kernelINS0_14default_configENS1_25transform_config_selectorIlLb0EEEZNS1_14transform_implILb0ES3_S5_NS0_18transform_iteratorINS0_17counting_iteratorImlEEZNS1_24adjacent_difference_implIS3_Lb1ELb0EPlSB_ZN2at6native12_GLOBAL__N_124unique_dim_cuda_templateIsEESt5tupleIJNSC_6TensorESH_SH_EERKSH_lbbbEUlllE1_EE10hipError_tPvRmT2_T3_mT4_P12ihipStream_tbEUlmE_lEESB_NS0_8identityIvEEEESM_SP_SQ_mSR_ST_bEUlT_E_NS1_11comp_targetILNS1_3genE9ELNS1_11target_archE1100ELNS1_3gpuE3ELNS1_3repE0EEENS1_30default_config_static_selectorELNS0_4arch9wavefront6targetE1EEEvT1_.has_indirect_call, 0
	.section	.AMDGPU.csdata,"",@progbits
; Kernel info:
; codeLenInByte = 0
; TotalNumSgprs: 6
; NumVgprs: 0
; NumAgprs: 0
; TotalNumVgprs: 0
; ScratchSize: 0
; MemoryBound: 0
; FloatMode: 240
; IeeeMode: 1
; LDSByteSize: 0 bytes/workgroup (compile time only)
; SGPRBlocks: 0
; VGPRBlocks: 0
; NumSGPRsForWavesPerEU: 6
; NumVGPRsForWavesPerEU: 1
; AccumOffset: 4
; Occupancy: 8
; WaveLimiterHint : 0
; COMPUTE_PGM_RSRC2:SCRATCH_EN: 0
; COMPUTE_PGM_RSRC2:USER_SGPR: 2
; COMPUTE_PGM_RSRC2:TRAP_HANDLER: 0
; COMPUTE_PGM_RSRC2:TGID_X_EN: 1
; COMPUTE_PGM_RSRC2:TGID_Y_EN: 0
; COMPUTE_PGM_RSRC2:TGID_Z_EN: 0
; COMPUTE_PGM_RSRC2:TIDIG_COMP_CNT: 0
; COMPUTE_PGM_RSRC3_GFX90A:ACCUM_OFFSET: 0
; COMPUTE_PGM_RSRC3_GFX90A:TG_SPLIT: 0
	.section	.text._ZN7rocprim17ROCPRIM_400000_NS6detail17trampoline_kernelINS0_14default_configENS1_25transform_config_selectorIlLb0EEEZNS1_14transform_implILb0ES3_S5_NS0_18transform_iteratorINS0_17counting_iteratorImlEEZNS1_24adjacent_difference_implIS3_Lb1ELb0EPlSB_ZN2at6native12_GLOBAL__N_124unique_dim_cuda_templateIsEESt5tupleIJNSC_6TensorESH_SH_EERKSH_lbbbEUlllE1_EE10hipError_tPvRmT2_T3_mT4_P12ihipStream_tbEUlmE_lEESB_NS0_8identityIvEEEESM_SP_SQ_mSR_ST_bEUlT_E_NS1_11comp_targetILNS1_3genE8ELNS1_11target_archE1030ELNS1_3gpuE2ELNS1_3repE0EEENS1_30default_config_static_selectorELNS0_4arch9wavefront6targetE1EEEvT1_,"axG",@progbits,_ZN7rocprim17ROCPRIM_400000_NS6detail17trampoline_kernelINS0_14default_configENS1_25transform_config_selectorIlLb0EEEZNS1_14transform_implILb0ES3_S5_NS0_18transform_iteratorINS0_17counting_iteratorImlEEZNS1_24adjacent_difference_implIS3_Lb1ELb0EPlSB_ZN2at6native12_GLOBAL__N_124unique_dim_cuda_templateIsEESt5tupleIJNSC_6TensorESH_SH_EERKSH_lbbbEUlllE1_EE10hipError_tPvRmT2_T3_mT4_P12ihipStream_tbEUlmE_lEESB_NS0_8identityIvEEEESM_SP_SQ_mSR_ST_bEUlT_E_NS1_11comp_targetILNS1_3genE8ELNS1_11target_archE1030ELNS1_3gpuE2ELNS1_3repE0EEENS1_30default_config_static_selectorELNS0_4arch9wavefront6targetE1EEEvT1_,comdat
	.globl	_ZN7rocprim17ROCPRIM_400000_NS6detail17trampoline_kernelINS0_14default_configENS1_25transform_config_selectorIlLb0EEEZNS1_14transform_implILb0ES3_S5_NS0_18transform_iteratorINS0_17counting_iteratorImlEEZNS1_24adjacent_difference_implIS3_Lb1ELb0EPlSB_ZN2at6native12_GLOBAL__N_124unique_dim_cuda_templateIsEESt5tupleIJNSC_6TensorESH_SH_EERKSH_lbbbEUlllE1_EE10hipError_tPvRmT2_T3_mT4_P12ihipStream_tbEUlmE_lEESB_NS0_8identityIvEEEESM_SP_SQ_mSR_ST_bEUlT_E_NS1_11comp_targetILNS1_3genE8ELNS1_11target_archE1030ELNS1_3gpuE2ELNS1_3repE0EEENS1_30default_config_static_selectorELNS0_4arch9wavefront6targetE1EEEvT1_ ; -- Begin function _ZN7rocprim17ROCPRIM_400000_NS6detail17trampoline_kernelINS0_14default_configENS1_25transform_config_selectorIlLb0EEEZNS1_14transform_implILb0ES3_S5_NS0_18transform_iteratorINS0_17counting_iteratorImlEEZNS1_24adjacent_difference_implIS3_Lb1ELb0EPlSB_ZN2at6native12_GLOBAL__N_124unique_dim_cuda_templateIsEESt5tupleIJNSC_6TensorESH_SH_EERKSH_lbbbEUlllE1_EE10hipError_tPvRmT2_T3_mT4_P12ihipStream_tbEUlmE_lEESB_NS0_8identityIvEEEESM_SP_SQ_mSR_ST_bEUlT_E_NS1_11comp_targetILNS1_3genE8ELNS1_11target_archE1030ELNS1_3gpuE2ELNS1_3repE0EEENS1_30default_config_static_selectorELNS0_4arch9wavefront6targetE1EEEvT1_
	.p2align	8
	.type	_ZN7rocprim17ROCPRIM_400000_NS6detail17trampoline_kernelINS0_14default_configENS1_25transform_config_selectorIlLb0EEEZNS1_14transform_implILb0ES3_S5_NS0_18transform_iteratorINS0_17counting_iteratorImlEEZNS1_24adjacent_difference_implIS3_Lb1ELb0EPlSB_ZN2at6native12_GLOBAL__N_124unique_dim_cuda_templateIsEESt5tupleIJNSC_6TensorESH_SH_EERKSH_lbbbEUlllE1_EE10hipError_tPvRmT2_T3_mT4_P12ihipStream_tbEUlmE_lEESB_NS0_8identityIvEEEESM_SP_SQ_mSR_ST_bEUlT_E_NS1_11comp_targetILNS1_3genE8ELNS1_11target_archE1030ELNS1_3gpuE2ELNS1_3repE0EEENS1_30default_config_static_selectorELNS0_4arch9wavefront6targetE1EEEvT1_,@function
_ZN7rocprim17ROCPRIM_400000_NS6detail17trampoline_kernelINS0_14default_configENS1_25transform_config_selectorIlLb0EEEZNS1_14transform_implILb0ES3_S5_NS0_18transform_iteratorINS0_17counting_iteratorImlEEZNS1_24adjacent_difference_implIS3_Lb1ELb0EPlSB_ZN2at6native12_GLOBAL__N_124unique_dim_cuda_templateIsEESt5tupleIJNSC_6TensorESH_SH_EERKSH_lbbbEUlllE1_EE10hipError_tPvRmT2_T3_mT4_P12ihipStream_tbEUlmE_lEESB_NS0_8identityIvEEEESM_SP_SQ_mSR_ST_bEUlT_E_NS1_11comp_targetILNS1_3genE8ELNS1_11target_archE1030ELNS1_3gpuE2ELNS1_3repE0EEENS1_30default_config_static_selectorELNS0_4arch9wavefront6targetE1EEEvT1_: ; @_ZN7rocprim17ROCPRIM_400000_NS6detail17trampoline_kernelINS0_14default_configENS1_25transform_config_selectorIlLb0EEEZNS1_14transform_implILb0ES3_S5_NS0_18transform_iteratorINS0_17counting_iteratorImlEEZNS1_24adjacent_difference_implIS3_Lb1ELb0EPlSB_ZN2at6native12_GLOBAL__N_124unique_dim_cuda_templateIsEESt5tupleIJNSC_6TensorESH_SH_EERKSH_lbbbEUlllE1_EE10hipError_tPvRmT2_T3_mT4_P12ihipStream_tbEUlmE_lEESB_NS0_8identityIvEEEESM_SP_SQ_mSR_ST_bEUlT_E_NS1_11comp_targetILNS1_3genE8ELNS1_11target_archE1030ELNS1_3gpuE2ELNS1_3repE0EEENS1_30default_config_static_selectorELNS0_4arch9wavefront6targetE1EEEvT1_
; %bb.0:
	.section	.rodata,"a",@progbits
	.p2align	6, 0x0
	.amdhsa_kernel _ZN7rocprim17ROCPRIM_400000_NS6detail17trampoline_kernelINS0_14default_configENS1_25transform_config_selectorIlLb0EEEZNS1_14transform_implILb0ES3_S5_NS0_18transform_iteratorINS0_17counting_iteratorImlEEZNS1_24adjacent_difference_implIS3_Lb1ELb0EPlSB_ZN2at6native12_GLOBAL__N_124unique_dim_cuda_templateIsEESt5tupleIJNSC_6TensorESH_SH_EERKSH_lbbbEUlllE1_EE10hipError_tPvRmT2_T3_mT4_P12ihipStream_tbEUlmE_lEESB_NS0_8identityIvEEEESM_SP_SQ_mSR_ST_bEUlT_E_NS1_11comp_targetILNS1_3genE8ELNS1_11target_archE1030ELNS1_3gpuE2ELNS1_3repE0EEENS1_30default_config_static_selectorELNS0_4arch9wavefront6targetE1EEEvT1_
		.amdhsa_group_segment_fixed_size 0
		.amdhsa_private_segment_fixed_size 0
		.amdhsa_kernarg_size 56
		.amdhsa_user_sgpr_count 2
		.amdhsa_user_sgpr_dispatch_ptr 0
		.amdhsa_user_sgpr_queue_ptr 0
		.amdhsa_user_sgpr_kernarg_segment_ptr 1
		.amdhsa_user_sgpr_dispatch_id 0
		.amdhsa_user_sgpr_kernarg_preload_length 0
		.amdhsa_user_sgpr_kernarg_preload_offset 0
		.amdhsa_user_sgpr_private_segment_size 0
		.amdhsa_uses_dynamic_stack 0
		.amdhsa_enable_private_segment 0
		.amdhsa_system_sgpr_workgroup_id_x 1
		.amdhsa_system_sgpr_workgroup_id_y 0
		.amdhsa_system_sgpr_workgroup_id_z 0
		.amdhsa_system_sgpr_workgroup_info 0
		.amdhsa_system_vgpr_workitem_id 0
		.amdhsa_next_free_vgpr 1
		.amdhsa_next_free_sgpr 0
		.amdhsa_accum_offset 4
		.amdhsa_reserve_vcc 0
		.amdhsa_float_round_mode_32 0
		.amdhsa_float_round_mode_16_64 0
		.amdhsa_float_denorm_mode_32 3
		.amdhsa_float_denorm_mode_16_64 3
		.amdhsa_dx10_clamp 1
		.amdhsa_ieee_mode 1
		.amdhsa_fp16_overflow 0
		.amdhsa_tg_split 0
		.amdhsa_exception_fp_ieee_invalid_op 0
		.amdhsa_exception_fp_denorm_src 0
		.amdhsa_exception_fp_ieee_div_zero 0
		.amdhsa_exception_fp_ieee_overflow 0
		.amdhsa_exception_fp_ieee_underflow 0
		.amdhsa_exception_fp_ieee_inexact 0
		.amdhsa_exception_int_div_zero 0
	.end_amdhsa_kernel
	.section	.text._ZN7rocprim17ROCPRIM_400000_NS6detail17trampoline_kernelINS0_14default_configENS1_25transform_config_selectorIlLb0EEEZNS1_14transform_implILb0ES3_S5_NS0_18transform_iteratorINS0_17counting_iteratorImlEEZNS1_24adjacent_difference_implIS3_Lb1ELb0EPlSB_ZN2at6native12_GLOBAL__N_124unique_dim_cuda_templateIsEESt5tupleIJNSC_6TensorESH_SH_EERKSH_lbbbEUlllE1_EE10hipError_tPvRmT2_T3_mT4_P12ihipStream_tbEUlmE_lEESB_NS0_8identityIvEEEESM_SP_SQ_mSR_ST_bEUlT_E_NS1_11comp_targetILNS1_3genE8ELNS1_11target_archE1030ELNS1_3gpuE2ELNS1_3repE0EEENS1_30default_config_static_selectorELNS0_4arch9wavefront6targetE1EEEvT1_,"axG",@progbits,_ZN7rocprim17ROCPRIM_400000_NS6detail17trampoline_kernelINS0_14default_configENS1_25transform_config_selectorIlLb0EEEZNS1_14transform_implILb0ES3_S5_NS0_18transform_iteratorINS0_17counting_iteratorImlEEZNS1_24adjacent_difference_implIS3_Lb1ELb0EPlSB_ZN2at6native12_GLOBAL__N_124unique_dim_cuda_templateIsEESt5tupleIJNSC_6TensorESH_SH_EERKSH_lbbbEUlllE1_EE10hipError_tPvRmT2_T3_mT4_P12ihipStream_tbEUlmE_lEESB_NS0_8identityIvEEEESM_SP_SQ_mSR_ST_bEUlT_E_NS1_11comp_targetILNS1_3genE8ELNS1_11target_archE1030ELNS1_3gpuE2ELNS1_3repE0EEENS1_30default_config_static_selectorELNS0_4arch9wavefront6targetE1EEEvT1_,comdat
.Lfunc_end676:
	.size	_ZN7rocprim17ROCPRIM_400000_NS6detail17trampoline_kernelINS0_14default_configENS1_25transform_config_selectorIlLb0EEEZNS1_14transform_implILb0ES3_S5_NS0_18transform_iteratorINS0_17counting_iteratorImlEEZNS1_24adjacent_difference_implIS3_Lb1ELb0EPlSB_ZN2at6native12_GLOBAL__N_124unique_dim_cuda_templateIsEESt5tupleIJNSC_6TensorESH_SH_EERKSH_lbbbEUlllE1_EE10hipError_tPvRmT2_T3_mT4_P12ihipStream_tbEUlmE_lEESB_NS0_8identityIvEEEESM_SP_SQ_mSR_ST_bEUlT_E_NS1_11comp_targetILNS1_3genE8ELNS1_11target_archE1030ELNS1_3gpuE2ELNS1_3repE0EEENS1_30default_config_static_selectorELNS0_4arch9wavefront6targetE1EEEvT1_, .Lfunc_end676-_ZN7rocprim17ROCPRIM_400000_NS6detail17trampoline_kernelINS0_14default_configENS1_25transform_config_selectorIlLb0EEEZNS1_14transform_implILb0ES3_S5_NS0_18transform_iteratorINS0_17counting_iteratorImlEEZNS1_24adjacent_difference_implIS3_Lb1ELb0EPlSB_ZN2at6native12_GLOBAL__N_124unique_dim_cuda_templateIsEESt5tupleIJNSC_6TensorESH_SH_EERKSH_lbbbEUlllE1_EE10hipError_tPvRmT2_T3_mT4_P12ihipStream_tbEUlmE_lEESB_NS0_8identityIvEEEESM_SP_SQ_mSR_ST_bEUlT_E_NS1_11comp_targetILNS1_3genE8ELNS1_11target_archE1030ELNS1_3gpuE2ELNS1_3repE0EEENS1_30default_config_static_selectorELNS0_4arch9wavefront6targetE1EEEvT1_
                                        ; -- End function
	.set _ZN7rocprim17ROCPRIM_400000_NS6detail17trampoline_kernelINS0_14default_configENS1_25transform_config_selectorIlLb0EEEZNS1_14transform_implILb0ES3_S5_NS0_18transform_iteratorINS0_17counting_iteratorImlEEZNS1_24adjacent_difference_implIS3_Lb1ELb0EPlSB_ZN2at6native12_GLOBAL__N_124unique_dim_cuda_templateIsEESt5tupleIJNSC_6TensorESH_SH_EERKSH_lbbbEUlllE1_EE10hipError_tPvRmT2_T3_mT4_P12ihipStream_tbEUlmE_lEESB_NS0_8identityIvEEEESM_SP_SQ_mSR_ST_bEUlT_E_NS1_11comp_targetILNS1_3genE8ELNS1_11target_archE1030ELNS1_3gpuE2ELNS1_3repE0EEENS1_30default_config_static_selectorELNS0_4arch9wavefront6targetE1EEEvT1_.num_vgpr, 0
	.set _ZN7rocprim17ROCPRIM_400000_NS6detail17trampoline_kernelINS0_14default_configENS1_25transform_config_selectorIlLb0EEEZNS1_14transform_implILb0ES3_S5_NS0_18transform_iteratorINS0_17counting_iteratorImlEEZNS1_24adjacent_difference_implIS3_Lb1ELb0EPlSB_ZN2at6native12_GLOBAL__N_124unique_dim_cuda_templateIsEESt5tupleIJNSC_6TensorESH_SH_EERKSH_lbbbEUlllE1_EE10hipError_tPvRmT2_T3_mT4_P12ihipStream_tbEUlmE_lEESB_NS0_8identityIvEEEESM_SP_SQ_mSR_ST_bEUlT_E_NS1_11comp_targetILNS1_3genE8ELNS1_11target_archE1030ELNS1_3gpuE2ELNS1_3repE0EEENS1_30default_config_static_selectorELNS0_4arch9wavefront6targetE1EEEvT1_.num_agpr, 0
	.set _ZN7rocprim17ROCPRIM_400000_NS6detail17trampoline_kernelINS0_14default_configENS1_25transform_config_selectorIlLb0EEEZNS1_14transform_implILb0ES3_S5_NS0_18transform_iteratorINS0_17counting_iteratorImlEEZNS1_24adjacent_difference_implIS3_Lb1ELb0EPlSB_ZN2at6native12_GLOBAL__N_124unique_dim_cuda_templateIsEESt5tupleIJNSC_6TensorESH_SH_EERKSH_lbbbEUlllE1_EE10hipError_tPvRmT2_T3_mT4_P12ihipStream_tbEUlmE_lEESB_NS0_8identityIvEEEESM_SP_SQ_mSR_ST_bEUlT_E_NS1_11comp_targetILNS1_3genE8ELNS1_11target_archE1030ELNS1_3gpuE2ELNS1_3repE0EEENS1_30default_config_static_selectorELNS0_4arch9wavefront6targetE1EEEvT1_.numbered_sgpr, 0
	.set _ZN7rocprim17ROCPRIM_400000_NS6detail17trampoline_kernelINS0_14default_configENS1_25transform_config_selectorIlLb0EEEZNS1_14transform_implILb0ES3_S5_NS0_18transform_iteratorINS0_17counting_iteratorImlEEZNS1_24adjacent_difference_implIS3_Lb1ELb0EPlSB_ZN2at6native12_GLOBAL__N_124unique_dim_cuda_templateIsEESt5tupleIJNSC_6TensorESH_SH_EERKSH_lbbbEUlllE1_EE10hipError_tPvRmT2_T3_mT4_P12ihipStream_tbEUlmE_lEESB_NS0_8identityIvEEEESM_SP_SQ_mSR_ST_bEUlT_E_NS1_11comp_targetILNS1_3genE8ELNS1_11target_archE1030ELNS1_3gpuE2ELNS1_3repE0EEENS1_30default_config_static_selectorELNS0_4arch9wavefront6targetE1EEEvT1_.num_named_barrier, 0
	.set _ZN7rocprim17ROCPRIM_400000_NS6detail17trampoline_kernelINS0_14default_configENS1_25transform_config_selectorIlLb0EEEZNS1_14transform_implILb0ES3_S5_NS0_18transform_iteratorINS0_17counting_iteratorImlEEZNS1_24adjacent_difference_implIS3_Lb1ELb0EPlSB_ZN2at6native12_GLOBAL__N_124unique_dim_cuda_templateIsEESt5tupleIJNSC_6TensorESH_SH_EERKSH_lbbbEUlllE1_EE10hipError_tPvRmT2_T3_mT4_P12ihipStream_tbEUlmE_lEESB_NS0_8identityIvEEEESM_SP_SQ_mSR_ST_bEUlT_E_NS1_11comp_targetILNS1_3genE8ELNS1_11target_archE1030ELNS1_3gpuE2ELNS1_3repE0EEENS1_30default_config_static_selectorELNS0_4arch9wavefront6targetE1EEEvT1_.private_seg_size, 0
	.set _ZN7rocprim17ROCPRIM_400000_NS6detail17trampoline_kernelINS0_14default_configENS1_25transform_config_selectorIlLb0EEEZNS1_14transform_implILb0ES3_S5_NS0_18transform_iteratorINS0_17counting_iteratorImlEEZNS1_24adjacent_difference_implIS3_Lb1ELb0EPlSB_ZN2at6native12_GLOBAL__N_124unique_dim_cuda_templateIsEESt5tupleIJNSC_6TensorESH_SH_EERKSH_lbbbEUlllE1_EE10hipError_tPvRmT2_T3_mT4_P12ihipStream_tbEUlmE_lEESB_NS0_8identityIvEEEESM_SP_SQ_mSR_ST_bEUlT_E_NS1_11comp_targetILNS1_3genE8ELNS1_11target_archE1030ELNS1_3gpuE2ELNS1_3repE0EEENS1_30default_config_static_selectorELNS0_4arch9wavefront6targetE1EEEvT1_.uses_vcc, 0
	.set _ZN7rocprim17ROCPRIM_400000_NS6detail17trampoline_kernelINS0_14default_configENS1_25transform_config_selectorIlLb0EEEZNS1_14transform_implILb0ES3_S5_NS0_18transform_iteratorINS0_17counting_iteratorImlEEZNS1_24adjacent_difference_implIS3_Lb1ELb0EPlSB_ZN2at6native12_GLOBAL__N_124unique_dim_cuda_templateIsEESt5tupleIJNSC_6TensorESH_SH_EERKSH_lbbbEUlllE1_EE10hipError_tPvRmT2_T3_mT4_P12ihipStream_tbEUlmE_lEESB_NS0_8identityIvEEEESM_SP_SQ_mSR_ST_bEUlT_E_NS1_11comp_targetILNS1_3genE8ELNS1_11target_archE1030ELNS1_3gpuE2ELNS1_3repE0EEENS1_30default_config_static_selectorELNS0_4arch9wavefront6targetE1EEEvT1_.uses_flat_scratch, 0
	.set _ZN7rocprim17ROCPRIM_400000_NS6detail17trampoline_kernelINS0_14default_configENS1_25transform_config_selectorIlLb0EEEZNS1_14transform_implILb0ES3_S5_NS0_18transform_iteratorINS0_17counting_iteratorImlEEZNS1_24adjacent_difference_implIS3_Lb1ELb0EPlSB_ZN2at6native12_GLOBAL__N_124unique_dim_cuda_templateIsEESt5tupleIJNSC_6TensorESH_SH_EERKSH_lbbbEUlllE1_EE10hipError_tPvRmT2_T3_mT4_P12ihipStream_tbEUlmE_lEESB_NS0_8identityIvEEEESM_SP_SQ_mSR_ST_bEUlT_E_NS1_11comp_targetILNS1_3genE8ELNS1_11target_archE1030ELNS1_3gpuE2ELNS1_3repE0EEENS1_30default_config_static_selectorELNS0_4arch9wavefront6targetE1EEEvT1_.has_dyn_sized_stack, 0
	.set _ZN7rocprim17ROCPRIM_400000_NS6detail17trampoline_kernelINS0_14default_configENS1_25transform_config_selectorIlLb0EEEZNS1_14transform_implILb0ES3_S5_NS0_18transform_iteratorINS0_17counting_iteratorImlEEZNS1_24adjacent_difference_implIS3_Lb1ELb0EPlSB_ZN2at6native12_GLOBAL__N_124unique_dim_cuda_templateIsEESt5tupleIJNSC_6TensorESH_SH_EERKSH_lbbbEUlllE1_EE10hipError_tPvRmT2_T3_mT4_P12ihipStream_tbEUlmE_lEESB_NS0_8identityIvEEEESM_SP_SQ_mSR_ST_bEUlT_E_NS1_11comp_targetILNS1_3genE8ELNS1_11target_archE1030ELNS1_3gpuE2ELNS1_3repE0EEENS1_30default_config_static_selectorELNS0_4arch9wavefront6targetE1EEEvT1_.has_recursion, 0
	.set _ZN7rocprim17ROCPRIM_400000_NS6detail17trampoline_kernelINS0_14default_configENS1_25transform_config_selectorIlLb0EEEZNS1_14transform_implILb0ES3_S5_NS0_18transform_iteratorINS0_17counting_iteratorImlEEZNS1_24adjacent_difference_implIS3_Lb1ELb0EPlSB_ZN2at6native12_GLOBAL__N_124unique_dim_cuda_templateIsEESt5tupleIJNSC_6TensorESH_SH_EERKSH_lbbbEUlllE1_EE10hipError_tPvRmT2_T3_mT4_P12ihipStream_tbEUlmE_lEESB_NS0_8identityIvEEEESM_SP_SQ_mSR_ST_bEUlT_E_NS1_11comp_targetILNS1_3genE8ELNS1_11target_archE1030ELNS1_3gpuE2ELNS1_3repE0EEENS1_30default_config_static_selectorELNS0_4arch9wavefront6targetE1EEEvT1_.has_indirect_call, 0
	.section	.AMDGPU.csdata,"",@progbits
; Kernel info:
; codeLenInByte = 0
; TotalNumSgprs: 6
; NumVgprs: 0
; NumAgprs: 0
; TotalNumVgprs: 0
; ScratchSize: 0
; MemoryBound: 0
; FloatMode: 240
; IeeeMode: 1
; LDSByteSize: 0 bytes/workgroup (compile time only)
; SGPRBlocks: 0
; VGPRBlocks: 0
; NumSGPRsForWavesPerEU: 6
; NumVGPRsForWavesPerEU: 1
; AccumOffset: 4
; Occupancy: 8
; WaveLimiterHint : 0
; COMPUTE_PGM_RSRC2:SCRATCH_EN: 0
; COMPUTE_PGM_RSRC2:USER_SGPR: 2
; COMPUTE_PGM_RSRC2:TRAP_HANDLER: 0
; COMPUTE_PGM_RSRC2:TGID_X_EN: 1
; COMPUTE_PGM_RSRC2:TGID_Y_EN: 0
; COMPUTE_PGM_RSRC2:TGID_Z_EN: 0
; COMPUTE_PGM_RSRC2:TIDIG_COMP_CNT: 0
; COMPUTE_PGM_RSRC3_GFX90A:ACCUM_OFFSET: 0
; COMPUTE_PGM_RSRC3_GFX90A:TG_SPLIT: 0
	.section	.text._ZN7rocprim17ROCPRIM_400000_NS6detail17trampoline_kernelINS0_14default_configENS1_35adjacent_difference_config_selectorILb1ElEEZNS1_24adjacent_difference_implIS3_Lb1ELb0EPlS7_ZN2at6native12_GLOBAL__N_124unique_dim_cuda_templateIsEESt5tupleIJNS8_6TensorESD_SD_EERKSD_lbbbEUlllE1_EE10hipError_tPvRmT2_T3_mT4_P12ihipStream_tbEUlT_E_NS1_11comp_targetILNS1_3genE0ELNS1_11target_archE4294967295ELNS1_3gpuE0ELNS1_3repE0EEENS1_30default_config_static_selectorELNS0_4arch9wavefront6targetE1EEEvT1_,"axG",@progbits,_ZN7rocprim17ROCPRIM_400000_NS6detail17trampoline_kernelINS0_14default_configENS1_35adjacent_difference_config_selectorILb1ElEEZNS1_24adjacent_difference_implIS3_Lb1ELb0EPlS7_ZN2at6native12_GLOBAL__N_124unique_dim_cuda_templateIsEESt5tupleIJNS8_6TensorESD_SD_EERKSD_lbbbEUlllE1_EE10hipError_tPvRmT2_T3_mT4_P12ihipStream_tbEUlT_E_NS1_11comp_targetILNS1_3genE0ELNS1_11target_archE4294967295ELNS1_3gpuE0ELNS1_3repE0EEENS1_30default_config_static_selectorELNS0_4arch9wavefront6targetE1EEEvT1_,comdat
	.globl	_ZN7rocprim17ROCPRIM_400000_NS6detail17trampoline_kernelINS0_14default_configENS1_35adjacent_difference_config_selectorILb1ElEEZNS1_24adjacent_difference_implIS3_Lb1ELb0EPlS7_ZN2at6native12_GLOBAL__N_124unique_dim_cuda_templateIsEESt5tupleIJNS8_6TensorESD_SD_EERKSD_lbbbEUlllE1_EE10hipError_tPvRmT2_T3_mT4_P12ihipStream_tbEUlT_E_NS1_11comp_targetILNS1_3genE0ELNS1_11target_archE4294967295ELNS1_3gpuE0ELNS1_3repE0EEENS1_30default_config_static_selectorELNS0_4arch9wavefront6targetE1EEEvT1_ ; -- Begin function _ZN7rocprim17ROCPRIM_400000_NS6detail17trampoline_kernelINS0_14default_configENS1_35adjacent_difference_config_selectorILb1ElEEZNS1_24adjacent_difference_implIS3_Lb1ELb0EPlS7_ZN2at6native12_GLOBAL__N_124unique_dim_cuda_templateIsEESt5tupleIJNS8_6TensorESD_SD_EERKSD_lbbbEUlllE1_EE10hipError_tPvRmT2_T3_mT4_P12ihipStream_tbEUlT_E_NS1_11comp_targetILNS1_3genE0ELNS1_11target_archE4294967295ELNS1_3gpuE0ELNS1_3repE0EEENS1_30default_config_static_selectorELNS0_4arch9wavefront6targetE1EEEvT1_
	.p2align	8
	.type	_ZN7rocprim17ROCPRIM_400000_NS6detail17trampoline_kernelINS0_14default_configENS1_35adjacent_difference_config_selectorILb1ElEEZNS1_24adjacent_difference_implIS3_Lb1ELb0EPlS7_ZN2at6native12_GLOBAL__N_124unique_dim_cuda_templateIsEESt5tupleIJNS8_6TensorESD_SD_EERKSD_lbbbEUlllE1_EE10hipError_tPvRmT2_T3_mT4_P12ihipStream_tbEUlT_E_NS1_11comp_targetILNS1_3genE0ELNS1_11target_archE4294967295ELNS1_3gpuE0ELNS1_3repE0EEENS1_30default_config_static_selectorELNS0_4arch9wavefront6targetE1EEEvT1_,@function
_ZN7rocprim17ROCPRIM_400000_NS6detail17trampoline_kernelINS0_14default_configENS1_35adjacent_difference_config_selectorILb1ElEEZNS1_24adjacent_difference_implIS3_Lb1ELb0EPlS7_ZN2at6native12_GLOBAL__N_124unique_dim_cuda_templateIsEESt5tupleIJNS8_6TensorESD_SD_EERKSD_lbbbEUlllE1_EE10hipError_tPvRmT2_T3_mT4_P12ihipStream_tbEUlT_E_NS1_11comp_targetILNS1_3genE0ELNS1_11target_archE4294967295ELNS1_3gpuE0ELNS1_3repE0EEENS1_30default_config_static_selectorELNS0_4arch9wavefront6targetE1EEEvT1_: ; @_ZN7rocprim17ROCPRIM_400000_NS6detail17trampoline_kernelINS0_14default_configENS1_35adjacent_difference_config_selectorILb1ElEEZNS1_24adjacent_difference_implIS3_Lb1ELb0EPlS7_ZN2at6native12_GLOBAL__N_124unique_dim_cuda_templateIsEESt5tupleIJNS8_6TensorESD_SD_EERKSD_lbbbEUlllE1_EE10hipError_tPvRmT2_T3_mT4_P12ihipStream_tbEUlT_E_NS1_11comp_targetILNS1_3genE0ELNS1_11target_archE4294967295ELNS1_3gpuE0ELNS1_3repE0EEENS1_30default_config_static_selectorELNS0_4arch9wavefront6targetE1EEEvT1_
; %bb.0:
	s_load_dwordx16 s[4:19], s[0:1], 0x0
	s_mov_b32 s25, 0
	s_mov_b64 s[26:27], -1
	s_waitcnt lgkmcnt(0)
	s_lshl_b64 s[6:7], s[6:7], 3
	s_add_u32 s30, s4, s6
	s_addc_u32 s31, s5, s7
	s_lshl_b32 s4, s2, 10
	s_lshr_b64 s[0:1], s[10:11], 10
	s_and_b32 s24, s10, 0x3ff
	s_cmp_lg_u64 s[24:25], 0
	s_cselect_b64 s[20:21], -1, 0
	v_cndmask_b32_e64 v1, 0, 1, s[20:21]
	s_mov_b32 s24, s2
	v_readfirstlane_b32 s3, v1
	s_add_u32 s22, s0, s3
	s_addc_u32 s23, s1, 0
	s_add_u32 s2, s18, s2
	s_addc_u32 s3, s19, 0
	s_add_u32 s20, s22, -1
	s_addc_u32 s21, s23, -1
	v_mov_b64_e32 v[2:3], s[20:21]
	v_cmp_ge_u64_e64 s[0:1], s[2:3], v[2:3]
	s_and_b64 vcc, exec, s[0:1]
	s_cbranch_vccz .LBB677_6
; %bb.1:
	s_lshl_b32 s5, s20, 10
	s_sub_i32 s11, s10, s5
	s_mov_b32 s5, s25
	s_lshl_b64 s[26:27], s[4:5], 3
	s_add_u32 s26, s30, s26
	v_mov_b32_e32 v2, 0
	s_addc_u32 s27, s31, s27
	v_cmp_gt_u32_e32 vcc, s11, v0
	v_mov_b32_e32 v3, v2
	v_mov_b32_e32 v4, v2
	;; [unrolled: 1-line block ×3, first 2 shown]
	s_and_saveexec_b64 s[28:29], vcc
	s_cbranch_execz .LBB677_3
; %bb.2:
	v_lshlrev_b32_e32 v1, 3, v0
	global_load_dwordx2 v[4:5], v1, s[26:27]
	v_mov_b32_e32 v6, v2
	v_mov_b32_e32 v7, v2
	s_waitcnt vmcnt(0)
	v_mov_b64_e32 v[2:3], v[4:5]
	v_mov_b64_e32 v[4:5], v[6:7]
.LBB677_3:
	s_or_b64 exec, exec, s[28:29]
	v_or_b32_e32 v1, 0x200, v0
	v_cmp_gt_u32_e32 vcc, s11, v1
	s_and_saveexec_b64 s[28:29], vcc
	s_cbranch_execz .LBB677_5
; %bb.4:
	v_lshlrev_b32_e32 v4, 3, v1
	global_load_dwordx2 v[4:5], v4, s[26:27]
.LBB677_5:
	s_or_b64 exec, exec, s[28:29]
	v_lshrrev_b32_e32 v6, 2, v0
	v_lshrrev_b32_e32 v1, 2, v1
	v_and_b32_e32 v6, 0x78, v6
	v_lshlrev_b32_e32 v7, 3, v0
	v_and_b32_e32 v1, 0xf8, v1
	v_add_u32_e32 v6, v6, v7
	v_add_u32_e32 v1, v1, v7
	s_mov_b64 s[26:27], 0
	ds_write_b64 v6, v[2:3]
	s_waitcnt vmcnt(0)
	ds_write_b64 v1, v[4:5] offset:4096
	s_waitcnt lgkmcnt(0)
	s_barrier
.LBB677_6:
	s_and_b64 vcc, exec, s[26:27]
	s_cbranch_vccz .LBB677_8
; %bb.7:
	s_mov_b32 s5, 0
	s_lshl_b64 s[26:27], s[4:5], 3
	s_add_u32 s26, s30, s26
	s_addc_u32 s27, s31, s27
	v_lshlrev_b32_e32 v2, 3, v0
	v_mov_b32_e32 v3, 0
	v_lshl_add_u64 v[4:5], s[26:27], 0, v[2:3]
	v_add_co_u32_e32 v4, vcc, 0x1000, v4
	v_lshrrev_b32_e32 v1, 2, v0
	s_nop 0
	v_addc_co_u32_e32 v5, vcc, 0, v5, vcc
	global_load_dwordx2 v[6:7], v2, s[26:27]
	global_load_dwordx2 v[8:9], v[4:5], off
	v_or_b32_e32 v3, 0x200, v0
	v_and_b32_e32 v1, 0x78, v1
	v_lshrrev_b32_e32 v3, 2, v3
	v_add_u32_e32 v1, v1, v2
	v_and_b32_e32 v3, 0xf8, v3
	v_add_u32_e32 v2, v3, v2
	s_waitcnt vmcnt(1)
	ds_write_b64 v1, v[6:7]
	s_waitcnt vmcnt(0)
	ds_write_b64 v2, v[8:9] offset:4096
	s_waitcnt lgkmcnt(0)
	s_barrier
.LBB677_8:
	v_lshrrev_b32_e32 v1, 1, v0
	v_and_b32_e32 v2, 0xf8, v1
	v_lshl_add_u32 v2, v0, 4, v2
	ds_read2_b64 v[2:5], v2 offset1:1
	s_cmp_eq_u64 s[2:3], 0
	s_waitcnt lgkmcnt(0)
	s_barrier
	s_cbranch_scc1 .LBB677_15
; %bb.9:
	s_lshl_b64 s[18:19], s[18:19], 3
	s_add_u32 s5, s16, s18
	s_addc_u32 s11, s17, s19
	s_lshl_b64 s[16:17], s[24:25], 3
	s_add_u32 s5, s5, s16
	s_addc_u32 s11, s11, s17
	s_add_u32 s16, s5, -8
	s_addc_u32 s17, s11, -1
	s_load_dwordx2 s[16:17], s[16:17], 0x0
	s_cmp_eq_u64 s[2:3], s[20:21]
	s_cbranch_scc1 .LBB677_16
; %bb.10:
	v_cmp_lt_i64_e64 s[24:25], s[12:13], 1
	v_lshlrev_b32_e32 v12, 3, v0
	v_mov_b64_e32 v[8:9], 0
	v_cmp_gt_i64_e64 s[18:19], s[12:13], 0
	s_and_b64 vcc, exec, s[24:25]
	ds_write_b64 v12, v[4:5]
	s_cbranch_vccnz .LBB677_18
; %bb.11:
	v_mul_lo_u32 v8, v5, s12
	v_mul_lo_u32 v9, v4, s13
	v_mad_u64_u32 v[6:7], s[24:25], v4, s12, 0
	v_add3_u32 v7, v7, v9, v8
	v_mul_lo_u32 v10, v3, s12
	v_mul_lo_u32 v11, v2, s13
	v_mad_u64_u32 v[8:9], s[24:25], v2, s12, 0
	v_add3_u32 v9, v9, v11, v10
	v_lshl_add_u64 v[6:7], v[6:7], 1, s[14:15]
	v_lshl_add_u64 v[10:11], v[8:9], 1, s[14:15]
	s_mov_b64 s[24:25], 0
	s_mov_b64 s[26:27], s[12:13]
                                        ; implicit-def: $sgpr28_sgpr29
	s_branch .LBB677_13
.LBB677_12:                             ;   in Loop: Header=BB677_13 Depth=1
	s_or_b64 exec, exec, s[30:31]
	s_and_b64 s[30:31], exec, s[28:29]
	s_or_b64 s[24:25], s[30:31], s[24:25]
	s_andn2_b64 exec, exec, s[24:25]
	s_cbranch_execz .LBB677_17
.LBB677_13:                             ; =>This Inner Loop Header: Depth=1
	global_load_ushort v13, v[6:7], off
	global_load_ushort v14, v[10:11], off
	v_mov_b64_e32 v[8:9], 1
	s_or_b64 s[28:29], s[28:29], exec
	s_waitcnt vmcnt(0)
	v_cmp_eq_u16_e32 vcc, v13, v14
	s_and_saveexec_b64 s[30:31], vcc
	s_cbranch_execz .LBB677_12
; %bb.14:                               ;   in Loop: Header=BB677_13 Depth=1
	s_add_u32 s26, s26, -1
	s_addc_u32 s27, s27, -1
	s_cmp_eq_u64 s[26:27], 0
	s_cselect_b64 s[34:35], -1, 0
	s_andn2_b64 s[28:29], s[28:29], exec
	s_and_b64 s[34:35], s[34:35], exec
	v_lshl_add_u64 v[6:7], v[6:7], 0, 2
	v_lshl_add_u64 v[10:11], v[10:11], 0, 2
	v_mov_b64_e32 v[8:9], 0
	s_or_b64 s[28:29], s[28:29], s[34:35]
	s_branch .LBB677_12
.LBB677_15:
                                        ; implicit-def: $vgpr8_vgpr9
                                        ; implicit-def: $vgpr6_vgpr7
	s_branch .LBB677_47
.LBB677_16:
                                        ; implicit-def: $vgpr8_vgpr9
                                        ; implicit-def: $vgpr6_vgpr7
	s_cbranch_execnz .LBB677_27
	s_branch .LBB677_46
.LBB677_17:
	s_or_b64 exec, exec, s[24:25]
.LBB677_18:
	v_cmp_ne_u32_e32 vcc, 0, v0
	s_waitcnt lgkmcnt(0)
	v_mov_b64_e32 v[6:7], s[16:17]
	s_barrier
	s_and_saveexec_b64 s[24:25], vcc
; %bb.19:
	v_add_u32_e32 v6, -8, v12
	ds_read_b64 v[6:7], v6
; %bb.20:
	s_or_b64 exec, exec, s[24:25]
	s_andn2_b64 vcc, exec, s[18:19]
	s_cbranch_vccnz .LBB677_26
; %bb.21:
	v_mul_lo_u32 v12, v3, s12
	v_mul_lo_u32 v13, v2, s13
	v_mad_u64_u32 v[10:11], s[18:19], v2, s12, 0
	v_add3_u32 v11, v11, v13, v12
	s_waitcnt lgkmcnt(0)
	v_mul_lo_u32 v12, v7, s12
	v_mul_lo_u32 v13, v6, s13
	v_mad_u64_u32 v[6:7], s[18:19], v6, s12, 0
	v_add3_u32 v7, v7, v13, v12
	v_lshl_add_u64 v[10:11], v[10:11], 1, s[14:15]
	v_lshl_add_u64 v[12:13], v[6:7], 1, s[14:15]
	s_mov_b64 s[18:19], 0
	s_mov_b64 s[24:25], s[12:13]
                                        ; implicit-def: $sgpr26_sgpr27
	s_branch .LBB677_23
.LBB677_22:                             ;   in Loop: Header=BB677_23 Depth=1
	s_or_b64 exec, exec, s[28:29]
	s_and_b64 s[28:29], exec, s[26:27]
	s_or_b64 s[18:19], s[28:29], s[18:19]
	s_andn2_b64 exec, exec, s[18:19]
	s_cbranch_execz .LBB677_25
.LBB677_23:                             ; =>This Inner Loop Header: Depth=1
	global_load_ushort v14, v[10:11], off
	global_load_ushort v15, v[12:13], off
	v_mov_b64_e32 v[6:7], 1
	s_or_b64 s[26:27], s[26:27], exec
	s_waitcnt vmcnt(0)
	v_cmp_eq_u16_e32 vcc, v14, v15
	s_and_saveexec_b64 s[28:29], vcc
	s_cbranch_execz .LBB677_22
; %bb.24:                               ;   in Loop: Header=BB677_23 Depth=1
	s_add_u32 s24, s24, -1
	s_addc_u32 s25, s25, -1
	s_cmp_eq_u64 s[24:25], 0
	s_cselect_b64 s[30:31], -1, 0
	s_andn2_b64 s[26:27], s[26:27], exec
	s_and_b64 s[30:31], s[30:31], exec
	v_lshl_add_u64 v[10:11], v[10:11], 0, 2
	v_lshl_add_u64 v[12:13], v[12:13], 0, 2
	v_mov_b64_e32 v[6:7], 0
	s_or_b64 s[26:27], s[26:27], s[30:31]
	s_branch .LBB677_22
.LBB677_25:
	s_or_b64 exec, exec, s[18:19]
	s_branch .LBB677_46
.LBB677_26:
	s_waitcnt lgkmcnt(0)
	v_mov_b64_e32 v[6:7], 0
	s_branch .LBB677_46
.LBB677_27:
	s_lshl_b32 s2, s2, 10
	v_lshlrev_b32_e32 v14, 1, v0
	s_sub_i32 s5, s10, s2
	v_or_b32_e32 v6, 1, v14
	v_lshlrev_b32_e32 v15, 3, v0
	v_cmp_gt_u32_e32 vcc, s5, v6
	v_mov_b64_e32 v[8:9], v[4:5]
	ds_write_b64 v15, v[4:5]
	v_mov_b64_e32 v[6:7], v[2:3]
	s_and_saveexec_b64 s[2:3], vcc
	s_cbranch_execz .LBB677_35
; %bb.28:
	v_cmp_lt_i64_e64 s[18:19], s[12:13], 1
	s_and_b64 vcc, exec, s[18:19]
	s_cbranch_vccnz .LBB677_34
; %bb.29:
	v_mul_lo_u32 v8, v5, s12
	v_mul_lo_u32 v9, v4, s13
	v_mad_u64_u32 v[6:7], s[18:19], v4, s12, 0
	v_add3_u32 v7, v7, v9, v8
	v_mul_lo_u32 v10, v3, s12
	v_mul_lo_u32 v11, v2, s13
	v_mad_u64_u32 v[8:9], s[18:19], v2, s12, 0
	v_add3_u32 v9, v9, v11, v10
	v_lshl_add_u64 v[6:7], v[6:7], 1, s[14:15]
	v_lshl_add_u64 v[10:11], v[8:9], 1, s[14:15]
	s_mov_b64 s[18:19], 0
	s_mov_b64 s[24:25], s[12:13]
                                        ; implicit-def: $sgpr26_sgpr27
	s_branch .LBB677_31
.LBB677_30:                             ;   in Loop: Header=BB677_31 Depth=1
	s_or_b64 exec, exec, s[28:29]
	s_and_b64 s[28:29], exec, s[26:27]
	s_or_b64 s[18:19], s[28:29], s[18:19]
	s_andn2_b64 exec, exec, s[18:19]
	s_cbranch_execz .LBB677_33
.LBB677_31:                             ; =>This Inner Loop Header: Depth=1
	global_load_ushort v12, v[6:7], off
	global_load_ushort v13, v[10:11], off
	v_mov_b64_e32 v[8:9], 1
	s_or_b64 s[26:27], s[26:27], exec
	s_waitcnt vmcnt(0)
	v_cmp_eq_u16_e32 vcc, v12, v13
	s_and_saveexec_b64 s[28:29], vcc
	s_cbranch_execz .LBB677_30
; %bb.32:                               ;   in Loop: Header=BB677_31 Depth=1
	s_add_u32 s24, s24, -1
	s_addc_u32 s25, s25, -1
	s_cmp_eq_u64 s[24:25], 0
	s_cselect_b64 s[30:31], -1, 0
	s_andn2_b64 s[26:27], s[26:27], exec
	s_and_b64 s[30:31], s[30:31], exec
	v_lshl_add_u64 v[6:7], v[6:7], 0, 2
	v_lshl_add_u64 v[10:11], v[10:11], 0, 2
	v_mov_b64_e32 v[8:9], 0
	s_or_b64 s[26:27], s[26:27], s[30:31]
	s_branch .LBB677_30
.LBB677_33:
	s_or_b64 exec, exec, s[18:19]
	s_branch .LBB677_35
.LBB677_34:
	v_mov_b64_e32 v[8:9], 0
.LBB677_35:
	s_or_b64 exec, exec, s[2:3]
	v_cmp_ne_u32_e32 vcc, 0, v0
	s_waitcnt lgkmcnt(0)
	v_mov_b64_e32 v[12:13], s[16:17]
	s_barrier
	s_and_saveexec_b64 s[2:3], vcc
; %bb.36:
	v_add_u32_e32 v6, -8, v15
	ds_read_b64 v[12:13], v6
; %bb.37:
	s_or_b64 exec, exec, s[2:3]
	v_cmp_gt_u32_e32 vcc, s5, v14
	v_mov_b64_e32 v[6:7], v[2:3]
	s_and_saveexec_b64 s[2:3], vcc
	s_cbranch_execz .LBB677_45
; %bb.38:
	v_cmp_lt_i64_e64 s[16:17], s[12:13], 1
	s_and_b64 vcc, exec, s[16:17]
	s_cbranch_vccnz .LBB677_44
; %bb.39:
	v_mul_lo_u32 v10, v3, s12
	v_mul_lo_u32 v11, v2, s13
	v_mad_u64_u32 v[6:7], s[16:17], v2, s12, 0
	v_add3_u32 v7, v7, v11, v10
	v_lshl_add_u64 v[10:11], v[6:7], 1, s[14:15]
	s_waitcnt lgkmcnt(0)
	v_mul_lo_u32 v13, v13, s12
	v_mul_lo_u32 v14, v12, s13
	v_mad_u64_u32 v[6:7], s[16:17], v12, s12, 0
	v_add3_u32 v7, v7, v14, v13
	v_lshl_add_u64 v[12:13], v[6:7], 1, s[14:15]
	s_mov_b64 s[16:17], 0
	s_mov_b64 s[18:19], s[12:13]
                                        ; implicit-def: $sgpr24_sgpr25
	s_branch .LBB677_41
.LBB677_40:                             ;   in Loop: Header=BB677_41 Depth=1
	s_or_b64 exec, exec, s[26:27]
	s_and_b64 s[26:27], exec, s[24:25]
	s_or_b64 s[16:17], s[26:27], s[16:17]
	s_andn2_b64 exec, exec, s[16:17]
	s_cbranch_execz .LBB677_43
.LBB677_41:                             ; =>This Inner Loop Header: Depth=1
	global_load_ushort v14, v[10:11], off
	global_load_ushort v15, v[12:13], off
	v_mov_b64_e32 v[6:7], 1
	s_or_b64 s[24:25], s[24:25], exec
	s_waitcnt vmcnt(0)
	v_cmp_eq_u16_e32 vcc, v14, v15
	s_and_saveexec_b64 s[26:27], vcc
	s_cbranch_execz .LBB677_40
; %bb.42:                               ;   in Loop: Header=BB677_41 Depth=1
	s_add_u32 s18, s18, -1
	s_addc_u32 s19, s19, -1
	s_cmp_eq_u64 s[18:19], 0
	s_cselect_b64 s[28:29], -1, 0
	s_andn2_b64 s[24:25], s[24:25], exec
	s_and_b64 s[28:29], s[28:29], exec
	v_lshl_add_u64 v[10:11], v[10:11], 0, 2
	v_lshl_add_u64 v[12:13], v[12:13], 0, 2
	v_mov_b64_e32 v[6:7], 0
	s_or_b64 s[24:25], s[24:25], s[28:29]
	s_branch .LBB677_40
.LBB677_43:
	s_or_b64 exec, exec, s[16:17]
	s_branch .LBB677_45
.LBB677_44:
	v_mov_b64_e32 v[6:7], 0
.LBB677_45:
	s_or_b64 exec, exec, s[2:3]
.LBB677_46:
	s_cbranch_execnz .LBB677_81
.LBB677_47:
	s_cmp_eq_u64 s[22:23], 1
	s_cbranch_scc1 .LBB677_53
; %bb.48:
	s_waitcnt lgkmcnt(0)
	v_cmp_lt_i64_e64 s[16:17], s[12:13], 1
	v_lshlrev_b32_e32 v12, 3, v0
	v_mov_b64_e32 v[8:9], 0
	v_cmp_gt_i64_e64 s[2:3], s[12:13], 0
	s_and_b64 vcc, exec, s[16:17]
	ds_write_b64 v12, v[4:5]
	s_cbranch_vccnz .LBB677_55
; %bb.49:
	v_mul_lo_u32 v8, v5, s12
	v_mul_lo_u32 v9, v4, s13
	v_mad_u64_u32 v[6:7], s[16:17], v4, s12, 0
	v_add3_u32 v7, v7, v9, v8
	v_mul_lo_u32 v10, v3, s12
	v_mul_lo_u32 v11, v2, s13
	v_mad_u64_u32 v[8:9], s[16:17], v2, s12, 0
	v_add3_u32 v9, v9, v11, v10
	v_lshl_add_u64 v[6:7], v[6:7], 1, s[14:15]
	v_lshl_add_u64 v[10:11], v[8:9], 1, s[14:15]
	s_mov_b64 s[16:17], 0
	s_mov_b64 s[18:19], s[12:13]
                                        ; implicit-def: $sgpr22_sgpr23
	s_branch .LBB677_51
.LBB677_50:                             ;   in Loop: Header=BB677_51 Depth=1
	s_or_b64 exec, exec, s[24:25]
	s_and_b64 s[24:25], exec, s[22:23]
	s_or_b64 s[16:17], s[24:25], s[16:17]
	s_andn2_b64 exec, exec, s[16:17]
	s_cbranch_execz .LBB677_54
.LBB677_51:                             ; =>This Inner Loop Header: Depth=1
	global_load_ushort v13, v[6:7], off
	global_load_ushort v14, v[10:11], off
	v_mov_b64_e32 v[8:9], 1
	s_or_b64 s[22:23], s[22:23], exec
	s_waitcnt vmcnt(0)
	v_cmp_eq_u16_e32 vcc, v13, v14
	s_and_saveexec_b64 s[24:25], vcc
	s_cbranch_execz .LBB677_50
; %bb.52:                               ;   in Loop: Header=BB677_51 Depth=1
	s_add_u32 s18, s18, -1
	s_addc_u32 s19, s19, -1
	s_cmp_eq_u64 s[18:19], 0
	s_cselect_b64 s[26:27], -1, 0
	s_andn2_b64 s[22:23], s[22:23], exec
	s_and_b64 s[26:27], s[26:27], exec
	v_lshl_add_u64 v[6:7], v[6:7], 0, 2
	v_lshl_add_u64 v[10:11], v[10:11], 0, 2
	v_mov_b64_e32 v[8:9], 0
	s_or_b64 s[22:23], s[22:23], s[26:27]
	s_branch .LBB677_50
.LBB677_53:
                                        ; implicit-def: $vgpr8_vgpr9
                                        ; implicit-def: $vgpr6_vgpr7
	s_cbranch_execnz .LBB677_64
	s_branch .LBB677_81
.LBB677_54:
	s_or_b64 exec, exec, s[16:17]
.LBB677_55:
	v_cmp_ne_u32_e32 vcc, 0, v0
	v_mov_b64_e32 v[6:7], v[2:3]
	s_waitcnt lgkmcnt(0)
	s_barrier
	s_and_saveexec_b64 s[16:17], vcc
	s_cbranch_execz .LBB677_63
; %bb.56:
	s_andn2_b64 vcc, exec, s[2:3]
	s_cbranch_vccnz .LBB677_62
; %bb.57:
	v_add_u32_e32 v6, -8, v12
	ds_read_b64 v[6:7], v6
	v_mul_lo_u32 v12, v3, s12
	v_mul_lo_u32 v13, v2, s13
	v_mad_u64_u32 v[10:11], s[2:3], v2, s12, 0
	v_add3_u32 v11, v11, v13, v12
	s_waitcnt lgkmcnt(0)
	v_mul_lo_u32 v12, s13, v6
	v_mul_lo_u32 v13, s12, v7
	v_mad_u64_u32 v[6:7], s[2:3], s12, v6, 0
	v_add3_u32 v7, v7, v13, v12
	v_lshl_add_u64 v[10:11], v[10:11], 1, s[14:15]
	v_lshl_add_u64 v[12:13], v[6:7], 1, s[14:15]
	s_mov_b64 s[2:3], 0
	s_mov_b64 s[18:19], s[12:13]
                                        ; implicit-def: $sgpr22_sgpr23
	s_branch .LBB677_59
.LBB677_58:                             ;   in Loop: Header=BB677_59 Depth=1
	s_or_b64 exec, exec, s[24:25]
	s_and_b64 s[24:25], exec, s[22:23]
	s_or_b64 s[2:3], s[24:25], s[2:3]
	s_andn2_b64 exec, exec, s[2:3]
	s_cbranch_execz .LBB677_61
.LBB677_59:                             ; =>This Inner Loop Header: Depth=1
	global_load_ushort v14, v[10:11], off
	global_load_ushort v15, v[12:13], off
	v_mov_b64_e32 v[6:7], 1
	s_or_b64 s[22:23], s[22:23], exec
	s_waitcnt vmcnt(0)
	v_cmp_eq_u16_e32 vcc, v14, v15
	s_and_saveexec_b64 s[24:25], vcc
	s_cbranch_execz .LBB677_58
; %bb.60:                               ;   in Loop: Header=BB677_59 Depth=1
	s_add_u32 s18, s18, -1
	s_addc_u32 s19, s19, -1
	s_cmp_eq_u64 s[18:19], 0
	s_cselect_b64 s[26:27], -1, 0
	s_andn2_b64 s[22:23], s[22:23], exec
	s_and_b64 s[26:27], s[26:27], exec
	v_lshl_add_u64 v[10:11], v[10:11], 0, 2
	v_lshl_add_u64 v[12:13], v[12:13], 0, 2
	v_mov_b64_e32 v[6:7], 0
	s_or_b64 s[22:23], s[22:23], s[26:27]
	s_branch .LBB677_58
.LBB677_61:
	s_or_b64 exec, exec, s[2:3]
	s_branch .LBB677_63
.LBB677_62:
	v_mov_b64_e32 v[6:7], 0
.LBB677_63:
	s_or_b64 exec, exec, s[16:17]
	s_branch .LBB677_81
.LBB677_64:
	v_lshlrev_b32_e32 v11, 1, v0
	v_or_b32_e32 v6, 1, v11
	v_lshlrev_b32_e32 v10, 3, v0
	v_cmp_gt_u32_e32 vcc, s10, v6
	v_mov_b64_e32 v[8:9], v[4:5]
	ds_write_b64 v10, v[4:5]
	v_mov_b64_e32 v[6:7], v[2:3]
	s_and_saveexec_b64 s[2:3], vcc
	s_cbranch_execz .LBB677_72
; %bb.65:
	s_waitcnt lgkmcnt(0)
	v_cmp_lt_i64_e64 s[16:17], s[12:13], 1
	s_and_b64 vcc, exec, s[16:17]
	s_cbranch_vccnz .LBB677_71
; %bb.66:
	v_mul_lo_u32 v6, v5, s12
	v_mul_lo_u32 v7, v4, s13
	v_mad_u64_u32 v[4:5], s[16:17], v4, s12, 0
	v_add3_u32 v5, v5, v7, v6
	v_mul_lo_u32 v8, v3, s12
	v_mul_lo_u32 v9, v2, s13
	v_mad_u64_u32 v[6:7], s[16:17], v2, s12, 0
	v_add3_u32 v7, v7, v9, v8
	v_lshl_add_u64 v[4:5], v[4:5], 1, s[14:15]
	v_lshl_add_u64 v[6:7], v[6:7], 1, s[14:15]
	s_mov_b64 s[16:17], 0
	s_mov_b64 s[18:19], s[12:13]
                                        ; implicit-def: $sgpr22_sgpr23
	s_branch .LBB677_68
.LBB677_67:                             ;   in Loop: Header=BB677_68 Depth=1
	s_or_b64 exec, exec, s[24:25]
	s_and_b64 s[24:25], exec, s[22:23]
	s_or_b64 s[16:17], s[24:25], s[16:17]
	s_andn2_b64 exec, exec, s[16:17]
	s_cbranch_execz .LBB677_70
.LBB677_68:                             ; =>This Inner Loop Header: Depth=1
	global_load_ushort v12, v[4:5], off
	global_load_ushort v13, v[6:7], off
	v_mov_b64_e32 v[8:9], 1
	s_or_b64 s[22:23], s[22:23], exec
	s_waitcnt vmcnt(0)
	v_cmp_eq_u16_e32 vcc, v12, v13
	s_and_saveexec_b64 s[24:25], vcc
	s_cbranch_execz .LBB677_67
; %bb.69:                               ;   in Loop: Header=BB677_68 Depth=1
	s_add_u32 s18, s18, -1
	s_addc_u32 s19, s19, -1
	s_cmp_eq_u64 s[18:19], 0
	s_cselect_b64 s[26:27], -1, 0
	s_andn2_b64 s[22:23], s[22:23], exec
	s_and_b64 s[26:27], s[26:27], exec
	v_lshl_add_u64 v[4:5], v[4:5], 0, 2
	v_lshl_add_u64 v[6:7], v[6:7], 0, 2
	v_mov_b64_e32 v[8:9], 0
	s_or_b64 s[22:23], s[22:23], s[26:27]
	s_branch .LBB677_67
.LBB677_70:
	s_or_b64 exec, exec, s[16:17]
	s_branch .LBB677_72
.LBB677_71:
	v_mov_b64_e32 v[8:9], 0
.LBB677_72:
	s_or_b64 exec, exec, s[2:3]
	v_cmp_ne_u32_e32 vcc, 0, v0
	v_cmp_gt_u32_e64 s[2:3], s10, v11
	s_waitcnt lgkmcnt(0)
	s_and_b64 s[16:17], vcc, s[2:3]
	s_barrier
	s_and_saveexec_b64 s[2:3], s[16:17]
	s_cbranch_execz .LBB677_80
; %bb.73:
	v_cmp_lt_i64_e64 s[16:17], s[12:13], 1
	s_and_b64 vcc, exec, s[16:17]
	s_cbranch_vccnz .LBB677_79
; %bb.74:
	v_add_u32_e32 v4, -8, v10
	ds_read_b64 v[6:7], v4
	v_mul_lo_u32 v4, v3, s12
	v_mul_lo_u32 v5, v2, s13
	v_mad_u64_u32 v[2:3], s[16:17], v2, s12, 0
	v_add3_u32 v3, v3, v5, v4
	v_lshl_add_u64 v[4:5], v[2:3], 1, s[14:15]
	s_waitcnt lgkmcnt(0)
	v_mul_lo_u32 v10, s13, v6
	v_mul_lo_u32 v7, s12, v7
	v_mad_u64_u32 v[2:3], s[16:17], s12, v6, 0
	v_add3_u32 v3, v3, v7, v10
	v_lshl_add_u64 v[6:7], v[2:3], 1, s[14:15]
	s_mov_b64 s[14:15], 0
                                        ; implicit-def: $sgpr16_sgpr17
	s_branch .LBB677_76
.LBB677_75:                             ;   in Loop: Header=BB677_76 Depth=1
	s_or_b64 exec, exec, s[18:19]
	s_and_b64 s[18:19], exec, s[16:17]
	s_or_b64 s[14:15], s[18:19], s[14:15]
	s_andn2_b64 exec, exec, s[14:15]
	s_cbranch_execz .LBB677_78
.LBB677_76:                             ; =>This Inner Loop Header: Depth=1
	global_load_ushort v10, v[4:5], off
	global_load_ushort v11, v[6:7], off
	v_mov_b64_e32 v[2:3], 1
	s_or_b64 s[16:17], s[16:17], exec
	s_waitcnt vmcnt(0)
	v_cmp_eq_u16_e32 vcc, v10, v11
	s_and_saveexec_b64 s[18:19], vcc
	s_cbranch_execz .LBB677_75
; %bb.77:                               ;   in Loop: Header=BB677_76 Depth=1
	s_add_u32 s12, s12, -1
	s_addc_u32 s13, s13, -1
	s_cmp_eq_u64 s[12:13], 0
	s_cselect_b64 s[22:23], -1, 0
	s_andn2_b64 s[16:17], s[16:17], exec
	s_and_b64 s[22:23], s[22:23], exec
	v_lshl_add_u64 v[4:5], v[4:5], 0, 2
	v_lshl_add_u64 v[6:7], v[6:7], 0, 2
	v_mov_b64_e32 v[2:3], 0
	s_or_b64 s[16:17], s[16:17], s[22:23]
	s_branch .LBB677_75
.LBB677_78:
	s_or_b64 exec, exec, s[14:15]
	s_branch .LBB677_80
.LBB677_79:
	v_mov_b64_e32 v[2:3], 0
.LBB677_80:
	s_or_b64 exec, exec, s[2:3]
	v_mov_b64_e32 v[6:7], v[2:3]
.LBB677_81:
	s_add_u32 s6, s8, s6
	s_addc_u32 s7, s9, s7
	s_and_b64 vcc, exec, s[0:1]
	s_waitcnt lgkmcnt(0)
	s_barrier
	s_cbranch_vccz .LBB677_85
; %bb.82:
	v_and_b32_e32 v2, 0xf8, v1
	v_lshl_add_u32 v2, v0, 4, v2
	v_or_b32_e32 v10, 0x200, v0
	ds_write2_b64 v2, v[6:7], v[8:9] offset1:1
	v_lshrrev_b32_e32 v2, 2, v10
	v_and_b32_e32 v2, 0xf8, v2
	v_lshlrev_b32_e32 v4, 3, v0
	v_add_u32_e32 v2, v2, v4
	s_lshl_b32 s0, s20, 10
	s_mov_b32 s5, 0
	s_waitcnt lgkmcnt(0)
	s_barrier
	ds_read_b64 v[2:3], v2 offset:4096
	s_sub_i32 s2, s10, s0
	s_lshl_b64 s[0:1], s[4:5], 3
	s_add_u32 s0, s6, s0
	s_addc_u32 s1, s7, s1
	v_mov_b32_e32 v5, 0
	v_lshl_add_u64 v[4:5], s[0:1], 0, v[4:5]
	v_cmp_gt_u32_e32 vcc, s2, v0
	s_and_saveexec_b64 s[0:1], vcc
	s_cbranch_execz .LBB677_84
; %bb.83:
	v_lshrrev_b32_e32 v11, 2, v0
	v_and_b32_e32 v11, 0x78, v11
	v_lshl_add_u32 v11, v0, 3, v11
	ds_read_b64 v[12:13], v11
	s_waitcnt lgkmcnt(0)
	global_store_dwordx2 v[4:5], v[12:13], off
.LBB677_84:
	s_or_b64 exec, exec, s[0:1]
	v_cmp_gt_u32_e64 s[0:1], s2, v10
	s_branch .LBB677_87
.LBB677_85:
	s_mov_b64 s[0:1], 0
                                        ; implicit-def: $vgpr2_vgpr3
                                        ; implicit-def: $vgpr4_vgpr5
	s_cbranch_execz .LBB677_87
; %bb.86:
	v_and_b32_e32 v1, 0xf8, v1
	v_lshl_add_u32 v1, v0, 4, v1
	ds_write2_b64 v1, v[6:7], v[8:9] offset1:1
	v_lshrrev_b32_e32 v1, 2, v0
	v_lshlrev_b32_e32 v6, 3, v0
	v_or_b32_e32 v0, 0x200, v0
	v_lshrrev_b32_e32 v0, 2, v0
	v_and_b32_e32 v1, 0x78, v1
	v_and_b32_e32 v0, 0xf8, v0
	v_add_u32_e32 v1, v1, v6
	v_add_u32_e32 v0, v0, v6
	s_mov_b32 s5, 0
	s_waitcnt lgkmcnt(0)
	s_barrier
	ds_read_b64 v[8:9], v1
	ds_read_b64 v[2:3], v0 offset:4096
	s_lshl_b64 s[2:3], s[4:5], 3
	s_add_u32 s2, s6, s2
	s_addc_u32 s3, s7, s3
	v_mov_b32_e32 v7, 0
	v_lshl_add_u64 v[4:5], s[2:3], 0, v[6:7]
	s_or_b64 s[0:1], s[0:1], exec
	s_waitcnt lgkmcnt(1)
	global_store_dwordx2 v6, v[8:9], s[2:3]
.LBB677_87:
	s_and_saveexec_b64 s[2:3], s[0:1]
	s_cbranch_execnz .LBB677_89
; %bb.88:
	s_endpgm
.LBB677_89:
	v_add_co_u32_e32 v0, vcc, 0x1000, v4
	s_nop 1
	v_addc_co_u32_e32 v1, vcc, 0, v5, vcc
	s_waitcnt lgkmcnt(0)
	global_store_dwordx2 v[0:1], v[2:3], off
	s_endpgm
	.section	.rodata,"a",@progbits
	.p2align	6, 0x0
	.amdhsa_kernel _ZN7rocprim17ROCPRIM_400000_NS6detail17trampoline_kernelINS0_14default_configENS1_35adjacent_difference_config_selectorILb1ElEEZNS1_24adjacent_difference_implIS3_Lb1ELb0EPlS7_ZN2at6native12_GLOBAL__N_124unique_dim_cuda_templateIsEESt5tupleIJNS8_6TensorESD_SD_EERKSD_lbbbEUlllE1_EE10hipError_tPvRmT2_T3_mT4_P12ihipStream_tbEUlT_E_NS1_11comp_targetILNS1_3genE0ELNS1_11target_archE4294967295ELNS1_3gpuE0ELNS1_3repE0EEENS1_30default_config_static_selectorELNS0_4arch9wavefront6targetE1EEEvT1_
		.amdhsa_group_segment_fixed_size 8448
		.amdhsa_private_segment_fixed_size 0
		.amdhsa_kernarg_size 64
		.amdhsa_user_sgpr_count 2
		.amdhsa_user_sgpr_dispatch_ptr 0
		.amdhsa_user_sgpr_queue_ptr 0
		.amdhsa_user_sgpr_kernarg_segment_ptr 1
		.amdhsa_user_sgpr_dispatch_id 0
		.amdhsa_user_sgpr_kernarg_preload_length 0
		.amdhsa_user_sgpr_kernarg_preload_offset 0
		.amdhsa_user_sgpr_private_segment_size 0
		.amdhsa_uses_dynamic_stack 0
		.amdhsa_enable_private_segment 0
		.amdhsa_system_sgpr_workgroup_id_x 1
		.amdhsa_system_sgpr_workgroup_id_y 0
		.amdhsa_system_sgpr_workgroup_id_z 0
		.amdhsa_system_sgpr_workgroup_info 0
		.amdhsa_system_vgpr_workitem_id 0
		.amdhsa_next_free_vgpr 16
		.amdhsa_next_free_sgpr 36
		.amdhsa_accum_offset 16
		.amdhsa_reserve_vcc 1
		.amdhsa_float_round_mode_32 0
		.amdhsa_float_round_mode_16_64 0
		.amdhsa_float_denorm_mode_32 3
		.amdhsa_float_denorm_mode_16_64 3
		.amdhsa_dx10_clamp 1
		.amdhsa_ieee_mode 1
		.amdhsa_fp16_overflow 0
		.amdhsa_tg_split 0
		.amdhsa_exception_fp_ieee_invalid_op 0
		.amdhsa_exception_fp_denorm_src 0
		.amdhsa_exception_fp_ieee_div_zero 0
		.amdhsa_exception_fp_ieee_overflow 0
		.amdhsa_exception_fp_ieee_underflow 0
		.amdhsa_exception_fp_ieee_inexact 0
		.amdhsa_exception_int_div_zero 0
	.end_amdhsa_kernel
	.section	.text._ZN7rocprim17ROCPRIM_400000_NS6detail17trampoline_kernelINS0_14default_configENS1_35adjacent_difference_config_selectorILb1ElEEZNS1_24adjacent_difference_implIS3_Lb1ELb0EPlS7_ZN2at6native12_GLOBAL__N_124unique_dim_cuda_templateIsEESt5tupleIJNS8_6TensorESD_SD_EERKSD_lbbbEUlllE1_EE10hipError_tPvRmT2_T3_mT4_P12ihipStream_tbEUlT_E_NS1_11comp_targetILNS1_3genE0ELNS1_11target_archE4294967295ELNS1_3gpuE0ELNS1_3repE0EEENS1_30default_config_static_selectorELNS0_4arch9wavefront6targetE1EEEvT1_,"axG",@progbits,_ZN7rocprim17ROCPRIM_400000_NS6detail17trampoline_kernelINS0_14default_configENS1_35adjacent_difference_config_selectorILb1ElEEZNS1_24adjacent_difference_implIS3_Lb1ELb0EPlS7_ZN2at6native12_GLOBAL__N_124unique_dim_cuda_templateIsEESt5tupleIJNS8_6TensorESD_SD_EERKSD_lbbbEUlllE1_EE10hipError_tPvRmT2_T3_mT4_P12ihipStream_tbEUlT_E_NS1_11comp_targetILNS1_3genE0ELNS1_11target_archE4294967295ELNS1_3gpuE0ELNS1_3repE0EEENS1_30default_config_static_selectorELNS0_4arch9wavefront6targetE1EEEvT1_,comdat
.Lfunc_end677:
	.size	_ZN7rocprim17ROCPRIM_400000_NS6detail17trampoline_kernelINS0_14default_configENS1_35adjacent_difference_config_selectorILb1ElEEZNS1_24adjacent_difference_implIS3_Lb1ELb0EPlS7_ZN2at6native12_GLOBAL__N_124unique_dim_cuda_templateIsEESt5tupleIJNS8_6TensorESD_SD_EERKSD_lbbbEUlllE1_EE10hipError_tPvRmT2_T3_mT4_P12ihipStream_tbEUlT_E_NS1_11comp_targetILNS1_3genE0ELNS1_11target_archE4294967295ELNS1_3gpuE0ELNS1_3repE0EEENS1_30default_config_static_selectorELNS0_4arch9wavefront6targetE1EEEvT1_, .Lfunc_end677-_ZN7rocprim17ROCPRIM_400000_NS6detail17trampoline_kernelINS0_14default_configENS1_35adjacent_difference_config_selectorILb1ElEEZNS1_24adjacent_difference_implIS3_Lb1ELb0EPlS7_ZN2at6native12_GLOBAL__N_124unique_dim_cuda_templateIsEESt5tupleIJNS8_6TensorESD_SD_EERKSD_lbbbEUlllE1_EE10hipError_tPvRmT2_T3_mT4_P12ihipStream_tbEUlT_E_NS1_11comp_targetILNS1_3genE0ELNS1_11target_archE4294967295ELNS1_3gpuE0ELNS1_3repE0EEENS1_30default_config_static_selectorELNS0_4arch9wavefront6targetE1EEEvT1_
                                        ; -- End function
	.set _ZN7rocprim17ROCPRIM_400000_NS6detail17trampoline_kernelINS0_14default_configENS1_35adjacent_difference_config_selectorILb1ElEEZNS1_24adjacent_difference_implIS3_Lb1ELb0EPlS7_ZN2at6native12_GLOBAL__N_124unique_dim_cuda_templateIsEESt5tupleIJNS8_6TensorESD_SD_EERKSD_lbbbEUlllE1_EE10hipError_tPvRmT2_T3_mT4_P12ihipStream_tbEUlT_E_NS1_11comp_targetILNS1_3genE0ELNS1_11target_archE4294967295ELNS1_3gpuE0ELNS1_3repE0EEENS1_30default_config_static_selectorELNS0_4arch9wavefront6targetE1EEEvT1_.num_vgpr, 16
	.set _ZN7rocprim17ROCPRIM_400000_NS6detail17trampoline_kernelINS0_14default_configENS1_35adjacent_difference_config_selectorILb1ElEEZNS1_24adjacent_difference_implIS3_Lb1ELb0EPlS7_ZN2at6native12_GLOBAL__N_124unique_dim_cuda_templateIsEESt5tupleIJNS8_6TensorESD_SD_EERKSD_lbbbEUlllE1_EE10hipError_tPvRmT2_T3_mT4_P12ihipStream_tbEUlT_E_NS1_11comp_targetILNS1_3genE0ELNS1_11target_archE4294967295ELNS1_3gpuE0ELNS1_3repE0EEENS1_30default_config_static_selectorELNS0_4arch9wavefront6targetE1EEEvT1_.num_agpr, 0
	.set _ZN7rocprim17ROCPRIM_400000_NS6detail17trampoline_kernelINS0_14default_configENS1_35adjacent_difference_config_selectorILb1ElEEZNS1_24adjacent_difference_implIS3_Lb1ELb0EPlS7_ZN2at6native12_GLOBAL__N_124unique_dim_cuda_templateIsEESt5tupleIJNS8_6TensorESD_SD_EERKSD_lbbbEUlllE1_EE10hipError_tPvRmT2_T3_mT4_P12ihipStream_tbEUlT_E_NS1_11comp_targetILNS1_3genE0ELNS1_11target_archE4294967295ELNS1_3gpuE0ELNS1_3repE0EEENS1_30default_config_static_selectorELNS0_4arch9wavefront6targetE1EEEvT1_.numbered_sgpr, 36
	.set _ZN7rocprim17ROCPRIM_400000_NS6detail17trampoline_kernelINS0_14default_configENS1_35adjacent_difference_config_selectorILb1ElEEZNS1_24adjacent_difference_implIS3_Lb1ELb0EPlS7_ZN2at6native12_GLOBAL__N_124unique_dim_cuda_templateIsEESt5tupleIJNS8_6TensorESD_SD_EERKSD_lbbbEUlllE1_EE10hipError_tPvRmT2_T3_mT4_P12ihipStream_tbEUlT_E_NS1_11comp_targetILNS1_3genE0ELNS1_11target_archE4294967295ELNS1_3gpuE0ELNS1_3repE0EEENS1_30default_config_static_selectorELNS0_4arch9wavefront6targetE1EEEvT1_.num_named_barrier, 0
	.set _ZN7rocprim17ROCPRIM_400000_NS6detail17trampoline_kernelINS0_14default_configENS1_35adjacent_difference_config_selectorILb1ElEEZNS1_24adjacent_difference_implIS3_Lb1ELb0EPlS7_ZN2at6native12_GLOBAL__N_124unique_dim_cuda_templateIsEESt5tupleIJNS8_6TensorESD_SD_EERKSD_lbbbEUlllE1_EE10hipError_tPvRmT2_T3_mT4_P12ihipStream_tbEUlT_E_NS1_11comp_targetILNS1_3genE0ELNS1_11target_archE4294967295ELNS1_3gpuE0ELNS1_3repE0EEENS1_30default_config_static_selectorELNS0_4arch9wavefront6targetE1EEEvT1_.private_seg_size, 0
	.set _ZN7rocprim17ROCPRIM_400000_NS6detail17trampoline_kernelINS0_14default_configENS1_35adjacent_difference_config_selectorILb1ElEEZNS1_24adjacent_difference_implIS3_Lb1ELb0EPlS7_ZN2at6native12_GLOBAL__N_124unique_dim_cuda_templateIsEESt5tupleIJNS8_6TensorESD_SD_EERKSD_lbbbEUlllE1_EE10hipError_tPvRmT2_T3_mT4_P12ihipStream_tbEUlT_E_NS1_11comp_targetILNS1_3genE0ELNS1_11target_archE4294967295ELNS1_3gpuE0ELNS1_3repE0EEENS1_30default_config_static_selectorELNS0_4arch9wavefront6targetE1EEEvT1_.uses_vcc, 1
	.set _ZN7rocprim17ROCPRIM_400000_NS6detail17trampoline_kernelINS0_14default_configENS1_35adjacent_difference_config_selectorILb1ElEEZNS1_24adjacent_difference_implIS3_Lb1ELb0EPlS7_ZN2at6native12_GLOBAL__N_124unique_dim_cuda_templateIsEESt5tupleIJNS8_6TensorESD_SD_EERKSD_lbbbEUlllE1_EE10hipError_tPvRmT2_T3_mT4_P12ihipStream_tbEUlT_E_NS1_11comp_targetILNS1_3genE0ELNS1_11target_archE4294967295ELNS1_3gpuE0ELNS1_3repE0EEENS1_30default_config_static_selectorELNS0_4arch9wavefront6targetE1EEEvT1_.uses_flat_scratch, 0
	.set _ZN7rocprim17ROCPRIM_400000_NS6detail17trampoline_kernelINS0_14default_configENS1_35adjacent_difference_config_selectorILb1ElEEZNS1_24adjacent_difference_implIS3_Lb1ELb0EPlS7_ZN2at6native12_GLOBAL__N_124unique_dim_cuda_templateIsEESt5tupleIJNS8_6TensorESD_SD_EERKSD_lbbbEUlllE1_EE10hipError_tPvRmT2_T3_mT4_P12ihipStream_tbEUlT_E_NS1_11comp_targetILNS1_3genE0ELNS1_11target_archE4294967295ELNS1_3gpuE0ELNS1_3repE0EEENS1_30default_config_static_selectorELNS0_4arch9wavefront6targetE1EEEvT1_.has_dyn_sized_stack, 0
	.set _ZN7rocprim17ROCPRIM_400000_NS6detail17trampoline_kernelINS0_14default_configENS1_35adjacent_difference_config_selectorILb1ElEEZNS1_24adjacent_difference_implIS3_Lb1ELb0EPlS7_ZN2at6native12_GLOBAL__N_124unique_dim_cuda_templateIsEESt5tupleIJNS8_6TensorESD_SD_EERKSD_lbbbEUlllE1_EE10hipError_tPvRmT2_T3_mT4_P12ihipStream_tbEUlT_E_NS1_11comp_targetILNS1_3genE0ELNS1_11target_archE4294967295ELNS1_3gpuE0ELNS1_3repE0EEENS1_30default_config_static_selectorELNS0_4arch9wavefront6targetE1EEEvT1_.has_recursion, 0
	.set _ZN7rocprim17ROCPRIM_400000_NS6detail17trampoline_kernelINS0_14default_configENS1_35adjacent_difference_config_selectorILb1ElEEZNS1_24adjacent_difference_implIS3_Lb1ELb0EPlS7_ZN2at6native12_GLOBAL__N_124unique_dim_cuda_templateIsEESt5tupleIJNS8_6TensorESD_SD_EERKSD_lbbbEUlllE1_EE10hipError_tPvRmT2_T3_mT4_P12ihipStream_tbEUlT_E_NS1_11comp_targetILNS1_3genE0ELNS1_11target_archE4294967295ELNS1_3gpuE0ELNS1_3repE0EEENS1_30default_config_static_selectorELNS0_4arch9wavefront6targetE1EEEvT1_.has_indirect_call, 0
	.section	.AMDGPU.csdata,"",@progbits
; Kernel info:
; codeLenInByte = 3144
; TotalNumSgprs: 42
; NumVgprs: 16
; NumAgprs: 0
; TotalNumVgprs: 16
; ScratchSize: 0
; MemoryBound: 0
; FloatMode: 240
; IeeeMode: 1
; LDSByteSize: 8448 bytes/workgroup (compile time only)
; SGPRBlocks: 5
; VGPRBlocks: 1
; NumSGPRsForWavesPerEU: 42
; NumVGPRsForWavesPerEU: 16
; AccumOffset: 16
; Occupancy: 8
; WaveLimiterHint : 1
; COMPUTE_PGM_RSRC2:SCRATCH_EN: 0
; COMPUTE_PGM_RSRC2:USER_SGPR: 2
; COMPUTE_PGM_RSRC2:TRAP_HANDLER: 0
; COMPUTE_PGM_RSRC2:TGID_X_EN: 1
; COMPUTE_PGM_RSRC2:TGID_Y_EN: 0
; COMPUTE_PGM_RSRC2:TGID_Z_EN: 0
; COMPUTE_PGM_RSRC2:TIDIG_COMP_CNT: 0
; COMPUTE_PGM_RSRC3_GFX90A:ACCUM_OFFSET: 3
; COMPUTE_PGM_RSRC3_GFX90A:TG_SPLIT: 0
	.section	.text._ZN7rocprim17ROCPRIM_400000_NS6detail17trampoline_kernelINS0_14default_configENS1_35adjacent_difference_config_selectorILb1ElEEZNS1_24adjacent_difference_implIS3_Lb1ELb0EPlS7_ZN2at6native12_GLOBAL__N_124unique_dim_cuda_templateIsEESt5tupleIJNS8_6TensorESD_SD_EERKSD_lbbbEUlllE1_EE10hipError_tPvRmT2_T3_mT4_P12ihipStream_tbEUlT_E_NS1_11comp_targetILNS1_3genE10ELNS1_11target_archE1201ELNS1_3gpuE5ELNS1_3repE0EEENS1_30default_config_static_selectorELNS0_4arch9wavefront6targetE1EEEvT1_,"axG",@progbits,_ZN7rocprim17ROCPRIM_400000_NS6detail17trampoline_kernelINS0_14default_configENS1_35adjacent_difference_config_selectorILb1ElEEZNS1_24adjacent_difference_implIS3_Lb1ELb0EPlS7_ZN2at6native12_GLOBAL__N_124unique_dim_cuda_templateIsEESt5tupleIJNS8_6TensorESD_SD_EERKSD_lbbbEUlllE1_EE10hipError_tPvRmT2_T3_mT4_P12ihipStream_tbEUlT_E_NS1_11comp_targetILNS1_3genE10ELNS1_11target_archE1201ELNS1_3gpuE5ELNS1_3repE0EEENS1_30default_config_static_selectorELNS0_4arch9wavefront6targetE1EEEvT1_,comdat
	.globl	_ZN7rocprim17ROCPRIM_400000_NS6detail17trampoline_kernelINS0_14default_configENS1_35adjacent_difference_config_selectorILb1ElEEZNS1_24adjacent_difference_implIS3_Lb1ELb0EPlS7_ZN2at6native12_GLOBAL__N_124unique_dim_cuda_templateIsEESt5tupleIJNS8_6TensorESD_SD_EERKSD_lbbbEUlllE1_EE10hipError_tPvRmT2_T3_mT4_P12ihipStream_tbEUlT_E_NS1_11comp_targetILNS1_3genE10ELNS1_11target_archE1201ELNS1_3gpuE5ELNS1_3repE0EEENS1_30default_config_static_selectorELNS0_4arch9wavefront6targetE1EEEvT1_ ; -- Begin function _ZN7rocprim17ROCPRIM_400000_NS6detail17trampoline_kernelINS0_14default_configENS1_35adjacent_difference_config_selectorILb1ElEEZNS1_24adjacent_difference_implIS3_Lb1ELb0EPlS7_ZN2at6native12_GLOBAL__N_124unique_dim_cuda_templateIsEESt5tupleIJNS8_6TensorESD_SD_EERKSD_lbbbEUlllE1_EE10hipError_tPvRmT2_T3_mT4_P12ihipStream_tbEUlT_E_NS1_11comp_targetILNS1_3genE10ELNS1_11target_archE1201ELNS1_3gpuE5ELNS1_3repE0EEENS1_30default_config_static_selectorELNS0_4arch9wavefront6targetE1EEEvT1_
	.p2align	8
	.type	_ZN7rocprim17ROCPRIM_400000_NS6detail17trampoline_kernelINS0_14default_configENS1_35adjacent_difference_config_selectorILb1ElEEZNS1_24adjacent_difference_implIS3_Lb1ELb0EPlS7_ZN2at6native12_GLOBAL__N_124unique_dim_cuda_templateIsEESt5tupleIJNS8_6TensorESD_SD_EERKSD_lbbbEUlllE1_EE10hipError_tPvRmT2_T3_mT4_P12ihipStream_tbEUlT_E_NS1_11comp_targetILNS1_3genE10ELNS1_11target_archE1201ELNS1_3gpuE5ELNS1_3repE0EEENS1_30default_config_static_selectorELNS0_4arch9wavefront6targetE1EEEvT1_,@function
_ZN7rocprim17ROCPRIM_400000_NS6detail17trampoline_kernelINS0_14default_configENS1_35adjacent_difference_config_selectorILb1ElEEZNS1_24adjacent_difference_implIS3_Lb1ELb0EPlS7_ZN2at6native12_GLOBAL__N_124unique_dim_cuda_templateIsEESt5tupleIJNS8_6TensorESD_SD_EERKSD_lbbbEUlllE1_EE10hipError_tPvRmT2_T3_mT4_P12ihipStream_tbEUlT_E_NS1_11comp_targetILNS1_3genE10ELNS1_11target_archE1201ELNS1_3gpuE5ELNS1_3repE0EEENS1_30default_config_static_selectorELNS0_4arch9wavefront6targetE1EEEvT1_: ; @_ZN7rocprim17ROCPRIM_400000_NS6detail17trampoline_kernelINS0_14default_configENS1_35adjacent_difference_config_selectorILb1ElEEZNS1_24adjacent_difference_implIS3_Lb1ELb0EPlS7_ZN2at6native12_GLOBAL__N_124unique_dim_cuda_templateIsEESt5tupleIJNS8_6TensorESD_SD_EERKSD_lbbbEUlllE1_EE10hipError_tPvRmT2_T3_mT4_P12ihipStream_tbEUlT_E_NS1_11comp_targetILNS1_3genE10ELNS1_11target_archE1201ELNS1_3gpuE5ELNS1_3repE0EEENS1_30default_config_static_selectorELNS0_4arch9wavefront6targetE1EEEvT1_
; %bb.0:
	.section	.rodata,"a",@progbits
	.p2align	6, 0x0
	.amdhsa_kernel _ZN7rocprim17ROCPRIM_400000_NS6detail17trampoline_kernelINS0_14default_configENS1_35adjacent_difference_config_selectorILb1ElEEZNS1_24adjacent_difference_implIS3_Lb1ELb0EPlS7_ZN2at6native12_GLOBAL__N_124unique_dim_cuda_templateIsEESt5tupleIJNS8_6TensorESD_SD_EERKSD_lbbbEUlllE1_EE10hipError_tPvRmT2_T3_mT4_P12ihipStream_tbEUlT_E_NS1_11comp_targetILNS1_3genE10ELNS1_11target_archE1201ELNS1_3gpuE5ELNS1_3repE0EEENS1_30default_config_static_selectorELNS0_4arch9wavefront6targetE1EEEvT1_
		.amdhsa_group_segment_fixed_size 0
		.amdhsa_private_segment_fixed_size 0
		.amdhsa_kernarg_size 64
		.amdhsa_user_sgpr_count 2
		.amdhsa_user_sgpr_dispatch_ptr 0
		.amdhsa_user_sgpr_queue_ptr 0
		.amdhsa_user_sgpr_kernarg_segment_ptr 1
		.amdhsa_user_sgpr_dispatch_id 0
		.amdhsa_user_sgpr_kernarg_preload_length 0
		.amdhsa_user_sgpr_kernarg_preload_offset 0
		.amdhsa_user_sgpr_private_segment_size 0
		.amdhsa_uses_dynamic_stack 0
		.amdhsa_enable_private_segment 0
		.amdhsa_system_sgpr_workgroup_id_x 1
		.amdhsa_system_sgpr_workgroup_id_y 0
		.amdhsa_system_sgpr_workgroup_id_z 0
		.amdhsa_system_sgpr_workgroup_info 0
		.amdhsa_system_vgpr_workitem_id 0
		.amdhsa_next_free_vgpr 1
		.amdhsa_next_free_sgpr 0
		.amdhsa_accum_offset 4
		.amdhsa_reserve_vcc 0
		.amdhsa_float_round_mode_32 0
		.amdhsa_float_round_mode_16_64 0
		.amdhsa_float_denorm_mode_32 3
		.amdhsa_float_denorm_mode_16_64 3
		.amdhsa_dx10_clamp 1
		.amdhsa_ieee_mode 1
		.amdhsa_fp16_overflow 0
		.amdhsa_tg_split 0
		.amdhsa_exception_fp_ieee_invalid_op 0
		.amdhsa_exception_fp_denorm_src 0
		.amdhsa_exception_fp_ieee_div_zero 0
		.amdhsa_exception_fp_ieee_overflow 0
		.amdhsa_exception_fp_ieee_underflow 0
		.amdhsa_exception_fp_ieee_inexact 0
		.amdhsa_exception_int_div_zero 0
	.end_amdhsa_kernel
	.section	.text._ZN7rocprim17ROCPRIM_400000_NS6detail17trampoline_kernelINS0_14default_configENS1_35adjacent_difference_config_selectorILb1ElEEZNS1_24adjacent_difference_implIS3_Lb1ELb0EPlS7_ZN2at6native12_GLOBAL__N_124unique_dim_cuda_templateIsEESt5tupleIJNS8_6TensorESD_SD_EERKSD_lbbbEUlllE1_EE10hipError_tPvRmT2_T3_mT4_P12ihipStream_tbEUlT_E_NS1_11comp_targetILNS1_3genE10ELNS1_11target_archE1201ELNS1_3gpuE5ELNS1_3repE0EEENS1_30default_config_static_selectorELNS0_4arch9wavefront6targetE1EEEvT1_,"axG",@progbits,_ZN7rocprim17ROCPRIM_400000_NS6detail17trampoline_kernelINS0_14default_configENS1_35adjacent_difference_config_selectorILb1ElEEZNS1_24adjacent_difference_implIS3_Lb1ELb0EPlS7_ZN2at6native12_GLOBAL__N_124unique_dim_cuda_templateIsEESt5tupleIJNS8_6TensorESD_SD_EERKSD_lbbbEUlllE1_EE10hipError_tPvRmT2_T3_mT4_P12ihipStream_tbEUlT_E_NS1_11comp_targetILNS1_3genE10ELNS1_11target_archE1201ELNS1_3gpuE5ELNS1_3repE0EEENS1_30default_config_static_selectorELNS0_4arch9wavefront6targetE1EEEvT1_,comdat
.Lfunc_end678:
	.size	_ZN7rocprim17ROCPRIM_400000_NS6detail17trampoline_kernelINS0_14default_configENS1_35adjacent_difference_config_selectorILb1ElEEZNS1_24adjacent_difference_implIS3_Lb1ELb0EPlS7_ZN2at6native12_GLOBAL__N_124unique_dim_cuda_templateIsEESt5tupleIJNS8_6TensorESD_SD_EERKSD_lbbbEUlllE1_EE10hipError_tPvRmT2_T3_mT4_P12ihipStream_tbEUlT_E_NS1_11comp_targetILNS1_3genE10ELNS1_11target_archE1201ELNS1_3gpuE5ELNS1_3repE0EEENS1_30default_config_static_selectorELNS0_4arch9wavefront6targetE1EEEvT1_, .Lfunc_end678-_ZN7rocprim17ROCPRIM_400000_NS6detail17trampoline_kernelINS0_14default_configENS1_35adjacent_difference_config_selectorILb1ElEEZNS1_24adjacent_difference_implIS3_Lb1ELb0EPlS7_ZN2at6native12_GLOBAL__N_124unique_dim_cuda_templateIsEESt5tupleIJNS8_6TensorESD_SD_EERKSD_lbbbEUlllE1_EE10hipError_tPvRmT2_T3_mT4_P12ihipStream_tbEUlT_E_NS1_11comp_targetILNS1_3genE10ELNS1_11target_archE1201ELNS1_3gpuE5ELNS1_3repE0EEENS1_30default_config_static_selectorELNS0_4arch9wavefront6targetE1EEEvT1_
                                        ; -- End function
	.set _ZN7rocprim17ROCPRIM_400000_NS6detail17trampoline_kernelINS0_14default_configENS1_35adjacent_difference_config_selectorILb1ElEEZNS1_24adjacent_difference_implIS3_Lb1ELb0EPlS7_ZN2at6native12_GLOBAL__N_124unique_dim_cuda_templateIsEESt5tupleIJNS8_6TensorESD_SD_EERKSD_lbbbEUlllE1_EE10hipError_tPvRmT2_T3_mT4_P12ihipStream_tbEUlT_E_NS1_11comp_targetILNS1_3genE10ELNS1_11target_archE1201ELNS1_3gpuE5ELNS1_3repE0EEENS1_30default_config_static_selectorELNS0_4arch9wavefront6targetE1EEEvT1_.num_vgpr, 0
	.set _ZN7rocprim17ROCPRIM_400000_NS6detail17trampoline_kernelINS0_14default_configENS1_35adjacent_difference_config_selectorILb1ElEEZNS1_24adjacent_difference_implIS3_Lb1ELb0EPlS7_ZN2at6native12_GLOBAL__N_124unique_dim_cuda_templateIsEESt5tupleIJNS8_6TensorESD_SD_EERKSD_lbbbEUlllE1_EE10hipError_tPvRmT2_T3_mT4_P12ihipStream_tbEUlT_E_NS1_11comp_targetILNS1_3genE10ELNS1_11target_archE1201ELNS1_3gpuE5ELNS1_3repE0EEENS1_30default_config_static_selectorELNS0_4arch9wavefront6targetE1EEEvT1_.num_agpr, 0
	.set _ZN7rocprim17ROCPRIM_400000_NS6detail17trampoline_kernelINS0_14default_configENS1_35adjacent_difference_config_selectorILb1ElEEZNS1_24adjacent_difference_implIS3_Lb1ELb0EPlS7_ZN2at6native12_GLOBAL__N_124unique_dim_cuda_templateIsEESt5tupleIJNS8_6TensorESD_SD_EERKSD_lbbbEUlllE1_EE10hipError_tPvRmT2_T3_mT4_P12ihipStream_tbEUlT_E_NS1_11comp_targetILNS1_3genE10ELNS1_11target_archE1201ELNS1_3gpuE5ELNS1_3repE0EEENS1_30default_config_static_selectorELNS0_4arch9wavefront6targetE1EEEvT1_.numbered_sgpr, 0
	.set _ZN7rocprim17ROCPRIM_400000_NS6detail17trampoline_kernelINS0_14default_configENS1_35adjacent_difference_config_selectorILb1ElEEZNS1_24adjacent_difference_implIS3_Lb1ELb0EPlS7_ZN2at6native12_GLOBAL__N_124unique_dim_cuda_templateIsEESt5tupleIJNS8_6TensorESD_SD_EERKSD_lbbbEUlllE1_EE10hipError_tPvRmT2_T3_mT4_P12ihipStream_tbEUlT_E_NS1_11comp_targetILNS1_3genE10ELNS1_11target_archE1201ELNS1_3gpuE5ELNS1_3repE0EEENS1_30default_config_static_selectorELNS0_4arch9wavefront6targetE1EEEvT1_.num_named_barrier, 0
	.set _ZN7rocprim17ROCPRIM_400000_NS6detail17trampoline_kernelINS0_14default_configENS1_35adjacent_difference_config_selectorILb1ElEEZNS1_24adjacent_difference_implIS3_Lb1ELb0EPlS7_ZN2at6native12_GLOBAL__N_124unique_dim_cuda_templateIsEESt5tupleIJNS8_6TensorESD_SD_EERKSD_lbbbEUlllE1_EE10hipError_tPvRmT2_T3_mT4_P12ihipStream_tbEUlT_E_NS1_11comp_targetILNS1_3genE10ELNS1_11target_archE1201ELNS1_3gpuE5ELNS1_3repE0EEENS1_30default_config_static_selectorELNS0_4arch9wavefront6targetE1EEEvT1_.private_seg_size, 0
	.set _ZN7rocprim17ROCPRIM_400000_NS6detail17trampoline_kernelINS0_14default_configENS1_35adjacent_difference_config_selectorILb1ElEEZNS1_24adjacent_difference_implIS3_Lb1ELb0EPlS7_ZN2at6native12_GLOBAL__N_124unique_dim_cuda_templateIsEESt5tupleIJNS8_6TensorESD_SD_EERKSD_lbbbEUlllE1_EE10hipError_tPvRmT2_T3_mT4_P12ihipStream_tbEUlT_E_NS1_11comp_targetILNS1_3genE10ELNS1_11target_archE1201ELNS1_3gpuE5ELNS1_3repE0EEENS1_30default_config_static_selectorELNS0_4arch9wavefront6targetE1EEEvT1_.uses_vcc, 0
	.set _ZN7rocprim17ROCPRIM_400000_NS6detail17trampoline_kernelINS0_14default_configENS1_35adjacent_difference_config_selectorILb1ElEEZNS1_24adjacent_difference_implIS3_Lb1ELb0EPlS7_ZN2at6native12_GLOBAL__N_124unique_dim_cuda_templateIsEESt5tupleIJNS8_6TensorESD_SD_EERKSD_lbbbEUlllE1_EE10hipError_tPvRmT2_T3_mT4_P12ihipStream_tbEUlT_E_NS1_11comp_targetILNS1_3genE10ELNS1_11target_archE1201ELNS1_3gpuE5ELNS1_3repE0EEENS1_30default_config_static_selectorELNS0_4arch9wavefront6targetE1EEEvT1_.uses_flat_scratch, 0
	.set _ZN7rocprim17ROCPRIM_400000_NS6detail17trampoline_kernelINS0_14default_configENS1_35adjacent_difference_config_selectorILb1ElEEZNS1_24adjacent_difference_implIS3_Lb1ELb0EPlS7_ZN2at6native12_GLOBAL__N_124unique_dim_cuda_templateIsEESt5tupleIJNS8_6TensorESD_SD_EERKSD_lbbbEUlllE1_EE10hipError_tPvRmT2_T3_mT4_P12ihipStream_tbEUlT_E_NS1_11comp_targetILNS1_3genE10ELNS1_11target_archE1201ELNS1_3gpuE5ELNS1_3repE0EEENS1_30default_config_static_selectorELNS0_4arch9wavefront6targetE1EEEvT1_.has_dyn_sized_stack, 0
	.set _ZN7rocprim17ROCPRIM_400000_NS6detail17trampoline_kernelINS0_14default_configENS1_35adjacent_difference_config_selectorILb1ElEEZNS1_24adjacent_difference_implIS3_Lb1ELb0EPlS7_ZN2at6native12_GLOBAL__N_124unique_dim_cuda_templateIsEESt5tupleIJNS8_6TensorESD_SD_EERKSD_lbbbEUlllE1_EE10hipError_tPvRmT2_T3_mT4_P12ihipStream_tbEUlT_E_NS1_11comp_targetILNS1_3genE10ELNS1_11target_archE1201ELNS1_3gpuE5ELNS1_3repE0EEENS1_30default_config_static_selectorELNS0_4arch9wavefront6targetE1EEEvT1_.has_recursion, 0
	.set _ZN7rocprim17ROCPRIM_400000_NS6detail17trampoline_kernelINS0_14default_configENS1_35adjacent_difference_config_selectorILb1ElEEZNS1_24adjacent_difference_implIS3_Lb1ELb0EPlS7_ZN2at6native12_GLOBAL__N_124unique_dim_cuda_templateIsEESt5tupleIJNS8_6TensorESD_SD_EERKSD_lbbbEUlllE1_EE10hipError_tPvRmT2_T3_mT4_P12ihipStream_tbEUlT_E_NS1_11comp_targetILNS1_3genE10ELNS1_11target_archE1201ELNS1_3gpuE5ELNS1_3repE0EEENS1_30default_config_static_selectorELNS0_4arch9wavefront6targetE1EEEvT1_.has_indirect_call, 0
	.section	.AMDGPU.csdata,"",@progbits
; Kernel info:
; codeLenInByte = 0
; TotalNumSgprs: 6
; NumVgprs: 0
; NumAgprs: 0
; TotalNumVgprs: 0
; ScratchSize: 0
; MemoryBound: 0
; FloatMode: 240
; IeeeMode: 1
; LDSByteSize: 0 bytes/workgroup (compile time only)
; SGPRBlocks: 0
; VGPRBlocks: 0
; NumSGPRsForWavesPerEU: 6
; NumVGPRsForWavesPerEU: 1
; AccumOffset: 4
; Occupancy: 8
; WaveLimiterHint : 0
; COMPUTE_PGM_RSRC2:SCRATCH_EN: 0
; COMPUTE_PGM_RSRC2:USER_SGPR: 2
; COMPUTE_PGM_RSRC2:TRAP_HANDLER: 0
; COMPUTE_PGM_RSRC2:TGID_X_EN: 1
; COMPUTE_PGM_RSRC2:TGID_Y_EN: 0
; COMPUTE_PGM_RSRC2:TGID_Z_EN: 0
; COMPUTE_PGM_RSRC2:TIDIG_COMP_CNT: 0
; COMPUTE_PGM_RSRC3_GFX90A:ACCUM_OFFSET: 0
; COMPUTE_PGM_RSRC3_GFX90A:TG_SPLIT: 0
	.section	.text._ZN7rocprim17ROCPRIM_400000_NS6detail17trampoline_kernelINS0_14default_configENS1_35adjacent_difference_config_selectorILb1ElEEZNS1_24adjacent_difference_implIS3_Lb1ELb0EPlS7_ZN2at6native12_GLOBAL__N_124unique_dim_cuda_templateIsEESt5tupleIJNS8_6TensorESD_SD_EERKSD_lbbbEUlllE1_EE10hipError_tPvRmT2_T3_mT4_P12ihipStream_tbEUlT_E_NS1_11comp_targetILNS1_3genE5ELNS1_11target_archE942ELNS1_3gpuE9ELNS1_3repE0EEENS1_30default_config_static_selectorELNS0_4arch9wavefront6targetE1EEEvT1_,"axG",@progbits,_ZN7rocprim17ROCPRIM_400000_NS6detail17trampoline_kernelINS0_14default_configENS1_35adjacent_difference_config_selectorILb1ElEEZNS1_24adjacent_difference_implIS3_Lb1ELb0EPlS7_ZN2at6native12_GLOBAL__N_124unique_dim_cuda_templateIsEESt5tupleIJNS8_6TensorESD_SD_EERKSD_lbbbEUlllE1_EE10hipError_tPvRmT2_T3_mT4_P12ihipStream_tbEUlT_E_NS1_11comp_targetILNS1_3genE5ELNS1_11target_archE942ELNS1_3gpuE9ELNS1_3repE0EEENS1_30default_config_static_selectorELNS0_4arch9wavefront6targetE1EEEvT1_,comdat
	.globl	_ZN7rocprim17ROCPRIM_400000_NS6detail17trampoline_kernelINS0_14default_configENS1_35adjacent_difference_config_selectorILb1ElEEZNS1_24adjacent_difference_implIS3_Lb1ELb0EPlS7_ZN2at6native12_GLOBAL__N_124unique_dim_cuda_templateIsEESt5tupleIJNS8_6TensorESD_SD_EERKSD_lbbbEUlllE1_EE10hipError_tPvRmT2_T3_mT4_P12ihipStream_tbEUlT_E_NS1_11comp_targetILNS1_3genE5ELNS1_11target_archE942ELNS1_3gpuE9ELNS1_3repE0EEENS1_30default_config_static_selectorELNS0_4arch9wavefront6targetE1EEEvT1_ ; -- Begin function _ZN7rocprim17ROCPRIM_400000_NS6detail17trampoline_kernelINS0_14default_configENS1_35adjacent_difference_config_selectorILb1ElEEZNS1_24adjacent_difference_implIS3_Lb1ELb0EPlS7_ZN2at6native12_GLOBAL__N_124unique_dim_cuda_templateIsEESt5tupleIJNS8_6TensorESD_SD_EERKSD_lbbbEUlllE1_EE10hipError_tPvRmT2_T3_mT4_P12ihipStream_tbEUlT_E_NS1_11comp_targetILNS1_3genE5ELNS1_11target_archE942ELNS1_3gpuE9ELNS1_3repE0EEENS1_30default_config_static_selectorELNS0_4arch9wavefront6targetE1EEEvT1_
	.p2align	8
	.type	_ZN7rocprim17ROCPRIM_400000_NS6detail17trampoline_kernelINS0_14default_configENS1_35adjacent_difference_config_selectorILb1ElEEZNS1_24adjacent_difference_implIS3_Lb1ELb0EPlS7_ZN2at6native12_GLOBAL__N_124unique_dim_cuda_templateIsEESt5tupleIJNS8_6TensorESD_SD_EERKSD_lbbbEUlllE1_EE10hipError_tPvRmT2_T3_mT4_P12ihipStream_tbEUlT_E_NS1_11comp_targetILNS1_3genE5ELNS1_11target_archE942ELNS1_3gpuE9ELNS1_3repE0EEENS1_30default_config_static_selectorELNS0_4arch9wavefront6targetE1EEEvT1_,@function
_ZN7rocprim17ROCPRIM_400000_NS6detail17trampoline_kernelINS0_14default_configENS1_35adjacent_difference_config_selectorILb1ElEEZNS1_24adjacent_difference_implIS3_Lb1ELb0EPlS7_ZN2at6native12_GLOBAL__N_124unique_dim_cuda_templateIsEESt5tupleIJNS8_6TensorESD_SD_EERKSD_lbbbEUlllE1_EE10hipError_tPvRmT2_T3_mT4_P12ihipStream_tbEUlT_E_NS1_11comp_targetILNS1_3genE5ELNS1_11target_archE942ELNS1_3gpuE9ELNS1_3repE0EEENS1_30default_config_static_selectorELNS0_4arch9wavefront6targetE1EEEvT1_: ; @_ZN7rocprim17ROCPRIM_400000_NS6detail17trampoline_kernelINS0_14default_configENS1_35adjacent_difference_config_selectorILb1ElEEZNS1_24adjacent_difference_implIS3_Lb1ELb0EPlS7_ZN2at6native12_GLOBAL__N_124unique_dim_cuda_templateIsEESt5tupleIJNS8_6TensorESD_SD_EERKSD_lbbbEUlllE1_EE10hipError_tPvRmT2_T3_mT4_P12ihipStream_tbEUlT_E_NS1_11comp_targetILNS1_3genE5ELNS1_11target_archE942ELNS1_3gpuE9ELNS1_3repE0EEENS1_30default_config_static_selectorELNS0_4arch9wavefront6targetE1EEEvT1_
; %bb.0:
	.section	.rodata,"a",@progbits
	.p2align	6, 0x0
	.amdhsa_kernel _ZN7rocprim17ROCPRIM_400000_NS6detail17trampoline_kernelINS0_14default_configENS1_35adjacent_difference_config_selectorILb1ElEEZNS1_24adjacent_difference_implIS3_Lb1ELb0EPlS7_ZN2at6native12_GLOBAL__N_124unique_dim_cuda_templateIsEESt5tupleIJNS8_6TensorESD_SD_EERKSD_lbbbEUlllE1_EE10hipError_tPvRmT2_T3_mT4_P12ihipStream_tbEUlT_E_NS1_11comp_targetILNS1_3genE5ELNS1_11target_archE942ELNS1_3gpuE9ELNS1_3repE0EEENS1_30default_config_static_selectorELNS0_4arch9wavefront6targetE1EEEvT1_
		.amdhsa_group_segment_fixed_size 0
		.amdhsa_private_segment_fixed_size 0
		.amdhsa_kernarg_size 64
		.amdhsa_user_sgpr_count 2
		.amdhsa_user_sgpr_dispatch_ptr 0
		.amdhsa_user_sgpr_queue_ptr 0
		.amdhsa_user_sgpr_kernarg_segment_ptr 1
		.amdhsa_user_sgpr_dispatch_id 0
		.amdhsa_user_sgpr_kernarg_preload_length 0
		.amdhsa_user_sgpr_kernarg_preload_offset 0
		.amdhsa_user_sgpr_private_segment_size 0
		.amdhsa_uses_dynamic_stack 0
		.amdhsa_enable_private_segment 0
		.amdhsa_system_sgpr_workgroup_id_x 1
		.amdhsa_system_sgpr_workgroup_id_y 0
		.amdhsa_system_sgpr_workgroup_id_z 0
		.amdhsa_system_sgpr_workgroup_info 0
		.amdhsa_system_vgpr_workitem_id 0
		.amdhsa_next_free_vgpr 1
		.amdhsa_next_free_sgpr 0
		.amdhsa_accum_offset 4
		.amdhsa_reserve_vcc 0
		.amdhsa_float_round_mode_32 0
		.amdhsa_float_round_mode_16_64 0
		.amdhsa_float_denorm_mode_32 3
		.amdhsa_float_denorm_mode_16_64 3
		.amdhsa_dx10_clamp 1
		.amdhsa_ieee_mode 1
		.amdhsa_fp16_overflow 0
		.amdhsa_tg_split 0
		.amdhsa_exception_fp_ieee_invalid_op 0
		.amdhsa_exception_fp_denorm_src 0
		.amdhsa_exception_fp_ieee_div_zero 0
		.amdhsa_exception_fp_ieee_overflow 0
		.amdhsa_exception_fp_ieee_underflow 0
		.amdhsa_exception_fp_ieee_inexact 0
		.amdhsa_exception_int_div_zero 0
	.end_amdhsa_kernel
	.section	.text._ZN7rocprim17ROCPRIM_400000_NS6detail17trampoline_kernelINS0_14default_configENS1_35adjacent_difference_config_selectorILb1ElEEZNS1_24adjacent_difference_implIS3_Lb1ELb0EPlS7_ZN2at6native12_GLOBAL__N_124unique_dim_cuda_templateIsEESt5tupleIJNS8_6TensorESD_SD_EERKSD_lbbbEUlllE1_EE10hipError_tPvRmT2_T3_mT4_P12ihipStream_tbEUlT_E_NS1_11comp_targetILNS1_3genE5ELNS1_11target_archE942ELNS1_3gpuE9ELNS1_3repE0EEENS1_30default_config_static_selectorELNS0_4arch9wavefront6targetE1EEEvT1_,"axG",@progbits,_ZN7rocprim17ROCPRIM_400000_NS6detail17trampoline_kernelINS0_14default_configENS1_35adjacent_difference_config_selectorILb1ElEEZNS1_24adjacent_difference_implIS3_Lb1ELb0EPlS7_ZN2at6native12_GLOBAL__N_124unique_dim_cuda_templateIsEESt5tupleIJNS8_6TensorESD_SD_EERKSD_lbbbEUlllE1_EE10hipError_tPvRmT2_T3_mT4_P12ihipStream_tbEUlT_E_NS1_11comp_targetILNS1_3genE5ELNS1_11target_archE942ELNS1_3gpuE9ELNS1_3repE0EEENS1_30default_config_static_selectorELNS0_4arch9wavefront6targetE1EEEvT1_,comdat
.Lfunc_end679:
	.size	_ZN7rocprim17ROCPRIM_400000_NS6detail17trampoline_kernelINS0_14default_configENS1_35adjacent_difference_config_selectorILb1ElEEZNS1_24adjacent_difference_implIS3_Lb1ELb0EPlS7_ZN2at6native12_GLOBAL__N_124unique_dim_cuda_templateIsEESt5tupleIJNS8_6TensorESD_SD_EERKSD_lbbbEUlllE1_EE10hipError_tPvRmT2_T3_mT4_P12ihipStream_tbEUlT_E_NS1_11comp_targetILNS1_3genE5ELNS1_11target_archE942ELNS1_3gpuE9ELNS1_3repE0EEENS1_30default_config_static_selectorELNS0_4arch9wavefront6targetE1EEEvT1_, .Lfunc_end679-_ZN7rocprim17ROCPRIM_400000_NS6detail17trampoline_kernelINS0_14default_configENS1_35adjacent_difference_config_selectorILb1ElEEZNS1_24adjacent_difference_implIS3_Lb1ELb0EPlS7_ZN2at6native12_GLOBAL__N_124unique_dim_cuda_templateIsEESt5tupleIJNS8_6TensorESD_SD_EERKSD_lbbbEUlllE1_EE10hipError_tPvRmT2_T3_mT4_P12ihipStream_tbEUlT_E_NS1_11comp_targetILNS1_3genE5ELNS1_11target_archE942ELNS1_3gpuE9ELNS1_3repE0EEENS1_30default_config_static_selectorELNS0_4arch9wavefront6targetE1EEEvT1_
                                        ; -- End function
	.set _ZN7rocprim17ROCPRIM_400000_NS6detail17trampoline_kernelINS0_14default_configENS1_35adjacent_difference_config_selectorILb1ElEEZNS1_24adjacent_difference_implIS3_Lb1ELb0EPlS7_ZN2at6native12_GLOBAL__N_124unique_dim_cuda_templateIsEESt5tupleIJNS8_6TensorESD_SD_EERKSD_lbbbEUlllE1_EE10hipError_tPvRmT2_T3_mT4_P12ihipStream_tbEUlT_E_NS1_11comp_targetILNS1_3genE5ELNS1_11target_archE942ELNS1_3gpuE9ELNS1_3repE0EEENS1_30default_config_static_selectorELNS0_4arch9wavefront6targetE1EEEvT1_.num_vgpr, 0
	.set _ZN7rocprim17ROCPRIM_400000_NS6detail17trampoline_kernelINS0_14default_configENS1_35adjacent_difference_config_selectorILb1ElEEZNS1_24adjacent_difference_implIS3_Lb1ELb0EPlS7_ZN2at6native12_GLOBAL__N_124unique_dim_cuda_templateIsEESt5tupleIJNS8_6TensorESD_SD_EERKSD_lbbbEUlllE1_EE10hipError_tPvRmT2_T3_mT4_P12ihipStream_tbEUlT_E_NS1_11comp_targetILNS1_3genE5ELNS1_11target_archE942ELNS1_3gpuE9ELNS1_3repE0EEENS1_30default_config_static_selectorELNS0_4arch9wavefront6targetE1EEEvT1_.num_agpr, 0
	.set _ZN7rocprim17ROCPRIM_400000_NS6detail17trampoline_kernelINS0_14default_configENS1_35adjacent_difference_config_selectorILb1ElEEZNS1_24adjacent_difference_implIS3_Lb1ELb0EPlS7_ZN2at6native12_GLOBAL__N_124unique_dim_cuda_templateIsEESt5tupleIJNS8_6TensorESD_SD_EERKSD_lbbbEUlllE1_EE10hipError_tPvRmT2_T3_mT4_P12ihipStream_tbEUlT_E_NS1_11comp_targetILNS1_3genE5ELNS1_11target_archE942ELNS1_3gpuE9ELNS1_3repE0EEENS1_30default_config_static_selectorELNS0_4arch9wavefront6targetE1EEEvT1_.numbered_sgpr, 0
	.set _ZN7rocprim17ROCPRIM_400000_NS6detail17trampoline_kernelINS0_14default_configENS1_35adjacent_difference_config_selectorILb1ElEEZNS1_24adjacent_difference_implIS3_Lb1ELb0EPlS7_ZN2at6native12_GLOBAL__N_124unique_dim_cuda_templateIsEESt5tupleIJNS8_6TensorESD_SD_EERKSD_lbbbEUlllE1_EE10hipError_tPvRmT2_T3_mT4_P12ihipStream_tbEUlT_E_NS1_11comp_targetILNS1_3genE5ELNS1_11target_archE942ELNS1_3gpuE9ELNS1_3repE0EEENS1_30default_config_static_selectorELNS0_4arch9wavefront6targetE1EEEvT1_.num_named_barrier, 0
	.set _ZN7rocprim17ROCPRIM_400000_NS6detail17trampoline_kernelINS0_14default_configENS1_35adjacent_difference_config_selectorILb1ElEEZNS1_24adjacent_difference_implIS3_Lb1ELb0EPlS7_ZN2at6native12_GLOBAL__N_124unique_dim_cuda_templateIsEESt5tupleIJNS8_6TensorESD_SD_EERKSD_lbbbEUlllE1_EE10hipError_tPvRmT2_T3_mT4_P12ihipStream_tbEUlT_E_NS1_11comp_targetILNS1_3genE5ELNS1_11target_archE942ELNS1_3gpuE9ELNS1_3repE0EEENS1_30default_config_static_selectorELNS0_4arch9wavefront6targetE1EEEvT1_.private_seg_size, 0
	.set _ZN7rocprim17ROCPRIM_400000_NS6detail17trampoline_kernelINS0_14default_configENS1_35adjacent_difference_config_selectorILb1ElEEZNS1_24adjacent_difference_implIS3_Lb1ELb0EPlS7_ZN2at6native12_GLOBAL__N_124unique_dim_cuda_templateIsEESt5tupleIJNS8_6TensorESD_SD_EERKSD_lbbbEUlllE1_EE10hipError_tPvRmT2_T3_mT4_P12ihipStream_tbEUlT_E_NS1_11comp_targetILNS1_3genE5ELNS1_11target_archE942ELNS1_3gpuE9ELNS1_3repE0EEENS1_30default_config_static_selectorELNS0_4arch9wavefront6targetE1EEEvT1_.uses_vcc, 0
	.set _ZN7rocprim17ROCPRIM_400000_NS6detail17trampoline_kernelINS0_14default_configENS1_35adjacent_difference_config_selectorILb1ElEEZNS1_24adjacent_difference_implIS3_Lb1ELb0EPlS7_ZN2at6native12_GLOBAL__N_124unique_dim_cuda_templateIsEESt5tupleIJNS8_6TensorESD_SD_EERKSD_lbbbEUlllE1_EE10hipError_tPvRmT2_T3_mT4_P12ihipStream_tbEUlT_E_NS1_11comp_targetILNS1_3genE5ELNS1_11target_archE942ELNS1_3gpuE9ELNS1_3repE0EEENS1_30default_config_static_selectorELNS0_4arch9wavefront6targetE1EEEvT1_.uses_flat_scratch, 0
	.set _ZN7rocprim17ROCPRIM_400000_NS6detail17trampoline_kernelINS0_14default_configENS1_35adjacent_difference_config_selectorILb1ElEEZNS1_24adjacent_difference_implIS3_Lb1ELb0EPlS7_ZN2at6native12_GLOBAL__N_124unique_dim_cuda_templateIsEESt5tupleIJNS8_6TensorESD_SD_EERKSD_lbbbEUlllE1_EE10hipError_tPvRmT2_T3_mT4_P12ihipStream_tbEUlT_E_NS1_11comp_targetILNS1_3genE5ELNS1_11target_archE942ELNS1_3gpuE9ELNS1_3repE0EEENS1_30default_config_static_selectorELNS0_4arch9wavefront6targetE1EEEvT1_.has_dyn_sized_stack, 0
	.set _ZN7rocprim17ROCPRIM_400000_NS6detail17trampoline_kernelINS0_14default_configENS1_35adjacent_difference_config_selectorILb1ElEEZNS1_24adjacent_difference_implIS3_Lb1ELb0EPlS7_ZN2at6native12_GLOBAL__N_124unique_dim_cuda_templateIsEESt5tupleIJNS8_6TensorESD_SD_EERKSD_lbbbEUlllE1_EE10hipError_tPvRmT2_T3_mT4_P12ihipStream_tbEUlT_E_NS1_11comp_targetILNS1_3genE5ELNS1_11target_archE942ELNS1_3gpuE9ELNS1_3repE0EEENS1_30default_config_static_selectorELNS0_4arch9wavefront6targetE1EEEvT1_.has_recursion, 0
	.set _ZN7rocprim17ROCPRIM_400000_NS6detail17trampoline_kernelINS0_14default_configENS1_35adjacent_difference_config_selectorILb1ElEEZNS1_24adjacent_difference_implIS3_Lb1ELb0EPlS7_ZN2at6native12_GLOBAL__N_124unique_dim_cuda_templateIsEESt5tupleIJNS8_6TensorESD_SD_EERKSD_lbbbEUlllE1_EE10hipError_tPvRmT2_T3_mT4_P12ihipStream_tbEUlT_E_NS1_11comp_targetILNS1_3genE5ELNS1_11target_archE942ELNS1_3gpuE9ELNS1_3repE0EEENS1_30default_config_static_selectorELNS0_4arch9wavefront6targetE1EEEvT1_.has_indirect_call, 0
	.section	.AMDGPU.csdata,"",@progbits
; Kernel info:
; codeLenInByte = 0
; TotalNumSgprs: 6
; NumVgprs: 0
; NumAgprs: 0
; TotalNumVgprs: 0
; ScratchSize: 0
; MemoryBound: 0
; FloatMode: 240
; IeeeMode: 1
; LDSByteSize: 0 bytes/workgroup (compile time only)
; SGPRBlocks: 0
; VGPRBlocks: 0
; NumSGPRsForWavesPerEU: 6
; NumVGPRsForWavesPerEU: 1
; AccumOffset: 4
; Occupancy: 8
; WaveLimiterHint : 0
; COMPUTE_PGM_RSRC2:SCRATCH_EN: 0
; COMPUTE_PGM_RSRC2:USER_SGPR: 2
; COMPUTE_PGM_RSRC2:TRAP_HANDLER: 0
; COMPUTE_PGM_RSRC2:TGID_X_EN: 1
; COMPUTE_PGM_RSRC2:TGID_Y_EN: 0
; COMPUTE_PGM_RSRC2:TGID_Z_EN: 0
; COMPUTE_PGM_RSRC2:TIDIG_COMP_CNT: 0
; COMPUTE_PGM_RSRC3_GFX90A:ACCUM_OFFSET: 0
; COMPUTE_PGM_RSRC3_GFX90A:TG_SPLIT: 0
	.section	.text._ZN7rocprim17ROCPRIM_400000_NS6detail17trampoline_kernelINS0_14default_configENS1_35adjacent_difference_config_selectorILb1ElEEZNS1_24adjacent_difference_implIS3_Lb1ELb0EPlS7_ZN2at6native12_GLOBAL__N_124unique_dim_cuda_templateIsEESt5tupleIJNS8_6TensorESD_SD_EERKSD_lbbbEUlllE1_EE10hipError_tPvRmT2_T3_mT4_P12ihipStream_tbEUlT_E_NS1_11comp_targetILNS1_3genE4ELNS1_11target_archE910ELNS1_3gpuE8ELNS1_3repE0EEENS1_30default_config_static_selectorELNS0_4arch9wavefront6targetE1EEEvT1_,"axG",@progbits,_ZN7rocprim17ROCPRIM_400000_NS6detail17trampoline_kernelINS0_14default_configENS1_35adjacent_difference_config_selectorILb1ElEEZNS1_24adjacent_difference_implIS3_Lb1ELb0EPlS7_ZN2at6native12_GLOBAL__N_124unique_dim_cuda_templateIsEESt5tupleIJNS8_6TensorESD_SD_EERKSD_lbbbEUlllE1_EE10hipError_tPvRmT2_T3_mT4_P12ihipStream_tbEUlT_E_NS1_11comp_targetILNS1_3genE4ELNS1_11target_archE910ELNS1_3gpuE8ELNS1_3repE0EEENS1_30default_config_static_selectorELNS0_4arch9wavefront6targetE1EEEvT1_,comdat
	.globl	_ZN7rocprim17ROCPRIM_400000_NS6detail17trampoline_kernelINS0_14default_configENS1_35adjacent_difference_config_selectorILb1ElEEZNS1_24adjacent_difference_implIS3_Lb1ELb0EPlS7_ZN2at6native12_GLOBAL__N_124unique_dim_cuda_templateIsEESt5tupleIJNS8_6TensorESD_SD_EERKSD_lbbbEUlllE1_EE10hipError_tPvRmT2_T3_mT4_P12ihipStream_tbEUlT_E_NS1_11comp_targetILNS1_3genE4ELNS1_11target_archE910ELNS1_3gpuE8ELNS1_3repE0EEENS1_30default_config_static_selectorELNS0_4arch9wavefront6targetE1EEEvT1_ ; -- Begin function _ZN7rocprim17ROCPRIM_400000_NS6detail17trampoline_kernelINS0_14default_configENS1_35adjacent_difference_config_selectorILb1ElEEZNS1_24adjacent_difference_implIS3_Lb1ELb0EPlS7_ZN2at6native12_GLOBAL__N_124unique_dim_cuda_templateIsEESt5tupleIJNS8_6TensorESD_SD_EERKSD_lbbbEUlllE1_EE10hipError_tPvRmT2_T3_mT4_P12ihipStream_tbEUlT_E_NS1_11comp_targetILNS1_3genE4ELNS1_11target_archE910ELNS1_3gpuE8ELNS1_3repE0EEENS1_30default_config_static_selectorELNS0_4arch9wavefront6targetE1EEEvT1_
	.p2align	8
	.type	_ZN7rocprim17ROCPRIM_400000_NS6detail17trampoline_kernelINS0_14default_configENS1_35adjacent_difference_config_selectorILb1ElEEZNS1_24adjacent_difference_implIS3_Lb1ELb0EPlS7_ZN2at6native12_GLOBAL__N_124unique_dim_cuda_templateIsEESt5tupleIJNS8_6TensorESD_SD_EERKSD_lbbbEUlllE1_EE10hipError_tPvRmT2_T3_mT4_P12ihipStream_tbEUlT_E_NS1_11comp_targetILNS1_3genE4ELNS1_11target_archE910ELNS1_3gpuE8ELNS1_3repE0EEENS1_30default_config_static_selectorELNS0_4arch9wavefront6targetE1EEEvT1_,@function
_ZN7rocprim17ROCPRIM_400000_NS6detail17trampoline_kernelINS0_14default_configENS1_35adjacent_difference_config_selectorILb1ElEEZNS1_24adjacent_difference_implIS3_Lb1ELb0EPlS7_ZN2at6native12_GLOBAL__N_124unique_dim_cuda_templateIsEESt5tupleIJNS8_6TensorESD_SD_EERKSD_lbbbEUlllE1_EE10hipError_tPvRmT2_T3_mT4_P12ihipStream_tbEUlT_E_NS1_11comp_targetILNS1_3genE4ELNS1_11target_archE910ELNS1_3gpuE8ELNS1_3repE0EEENS1_30default_config_static_selectorELNS0_4arch9wavefront6targetE1EEEvT1_: ; @_ZN7rocprim17ROCPRIM_400000_NS6detail17trampoline_kernelINS0_14default_configENS1_35adjacent_difference_config_selectorILb1ElEEZNS1_24adjacent_difference_implIS3_Lb1ELb0EPlS7_ZN2at6native12_GLOBAL__N_124unique_dim_cuda_templateIsEESt5tupleIJNS8_6TensorESD_SD_EERKSD_lbbbEUlllE1_EE10hipError_tPvRmT2_T3_mT4_P12ihipStream_tbEUlT_E_NS1_11comp_targetILNS1_3genE4ELNS1_11target_archE910ELNS1_3gpuE8ELNS1_3repE0EEENS1_30default_config_static_selectorELNS0_4arch9wavefront6targetE1EEEvT1_
; %bb.0:
	.section	.rodata,"a",@progbits
	.p2align	6, 0x0
	.amdhsa_kernel _ZN7rocprim17ROCPRIM_400000_NS6detail17trampoline_kernelINS0_14default_configENS1_35adjacent_difference_config_selectorILb1ElEEZNS1_24adjacent_difference_implIS3_Lb1ELb0EPlS7_ZN2at6native12_GLOBAL__N_124unique_dim_cuda_templateIsEESt5tupleIJNS8_6TensorESD_SD_EERKSD_lbbbEUlllE1_EE10hipError_tPvRmT2_T3_mT4_P12ihipStream_tbEUlT_E_NS1_11comp_targetILNS1_3genE4ELNS1_11target_archE910ELNS1_3gpuE8ELNS1_3repE0EEENS1_30default_config_static_selectorELNS0_4arch9wavefront6targetE1EEEvT1_
		.amdhsa_group_segment_fixed_size 0
		.amdhsa_private_segment_fixed_size 0
		.amdhsa_kernarg_size 64
		.amdhsa_user_sgpr_count 2
		.amdhsa_user_sgpr_dispatch_ptr 0
		.amdhsa_user_sgpr_queue_ptr 0
		.amdhsa_user_sgpr_kernarg_segment_ptr 1
		.amdhsa_user_sgpr_dispatch_id 0
		.amdhsa_user_sgpr_kernarg_preload_length 0
		.amdhsa_user_sgpr_kernarg_preload_offset 0
		.amdhsa_user_sgpr_private_segment_size 0
		.amdhsa_uses_dynamic_stack 0
		.amdhsa_enable_private_segment 0
		.amdhsa_system_sgpr_workgroup_id_x 1
		.amdhsa_system_sgpr_workgroup_id_y 0
		.amdhsa_system_sgpr_workgroup_id_z 0
		.amdhsa_system_sgpr_workgroup_info 0
		.amdhsa_system_vgpr_workitem_id 0
		.amdhsa_next_free_vgpr 1
		.amdhsa_next_free_sgpr 0
		.amdhsa_accum_offset 4
		.amdhsa_reserve_vcc 0
		.amdhsa_float_round_mode_32 0
		.amdhsa_float_round_mode_16_64 0
		.amdhsa_float_denorm_mode_32 3
		.amdhsa_float_denorm_mode_16_64 3
		.amdhsa_dx10_clamp 1
		.amdhsa_ieee_mode 1
		.amdhsa_fp16_overflow 0
		.amdhsa_tg_split 0
		.amdhsa_exception_fp_ieee_invalid_op 0
		.amdhsa_exception_fp_denorm_src 0
		.amdhsa_exception_fp_ieee_div_zero 0
		.amdhsa_exception_fp_ieee_overflow 0
		.amdhsa_exception_fp_ieee_underflow 0
		.amdhsa_exception_fp_ieee_inexact 0
		.amdhsa_exception_int_div_zero 0
	.end_amdhsa_kernel
	.section	.text._ZN7rocprim17ROCPRIM_400000_NS6detail17trampoline_kernelINS0_14default_configENS1_35adjacent_difference_config_selectorILb1ElEEZNS1_24adjacent_difference_implIS3_Lb1ELb0EPlS7_ZN2at6native12_GLOBAL__N_124unique_dim_cuda_templateIsEESt5tupleIJNS8_6TensorESD_SD_EERKSD_lbbbEUlllE1_EE10hipError_tPvRmT2_T3_mT4_P12ihipStream_tbEUlT_E_NS1_11comp_targetILNS1_3genE4ELNS1_11target_archE910ELNS1_3gpuE8ELNS1_3repE0EEENS1_30default_config_static_selectorELNS0_4arch9wavefront6targetE1EEEvT1_,"axG",@progbits,_ZN7rocprim17ROCPRIM_400000_NS6detail17trampoline_kernelINS0_14default_configENS1_35adjacent_difference_config_selectorILb1ElEEZNS1_24adjacent_difference_implIS3_Lb1ELb0EPlS7_ZN2at6native12_GLOBAL__N_124unique_dim_cuda_templateIsEESt5tupleIJNS8_6TensorESD_SD_EERKSD_lbbbEUlllE1_EE10hipError_tPvRmT2_T3_mT4_P12ihipStream_tbEUlT_E_NS1_11comp_targetILNS1_3genE4ELNS1_11target_archE910ELNS1_3gpuE8ELNS1_3repE0EEENS1_30default_config_static_selectorELNS0_4arch9wavefront6targetE1EEEvT1_,comdat
.Lfunc_end680:
	.size	_ZN7rocprim17ROCPRIM_400000_NS6detail17trampoline_kernelINS0_14default_configENS1_35adjacent_difference_config_selectorILb1ElEEZNS1_24adjacent_difference_implIS3_Lb1ELb0EPlS7_ZN2at6native12_GLOBAL__N_124unique_dim_cuda_templateIsEESt5tupleIJNS8_6TensorESD_SD_EERKSD_lbbbEUlllE1_EE10hipError_tPvRmT2_T3_mT4_P12ihipStream_tbEUlT_E_NS1_11comp_targetILNS1_3genE4ELNS1_11target_archE910ELNS1_3gpuE8ELNS1_3repE0EEENS1_30default_config_static_selectorELNS0_4arch9wavefront6targetE1EEEvT1_, .Lfunc_end680-_ZN7rocprim17ROCPRIM_400000_NS6detail17trampoline_kernelINS0_14default_configENS1_35adjacent_difference_config_selectorILb1ElEEZNS1_24adjacent_difference_implIS3_Lb1ELb0EPlS7_ZN2at6native12_GLOBAL__N_124unique_dim_cuda_templateIsEESt5tupleIJNS8_6TensorESD_SD_EERKSD_lbbbEUlllE1_EE10hipError_tPvRmT2_T3_mT4_P12ihipStream_tbEUlT_E_NS1_11comp_targetILNS1_3genE4ELNS1_11target_archE910ELNS1_3gpuE8ELNS1_3repE0EEENS1_30default_config_static_selectorELNS0_4arch9wavefront6targetE1EEEvT1_
                                        ; -- End function
	.set _ZN7rocprim17ROCPRIM_400000_NS6detail17trampoline_kernelINS0_14default_configENS1_35adjacent_difference_config_selectorILb1ElEEZNS1_24adjacent_difference_implIS3_Lb1ELb0EPlS7_ZN2at6native12_GLOBAL__N_124unique_dim_cuda_templateIsEESt5tupleIJNS8_6TensorESD_SD_EERKSD_lbbbEUlllE1_EE10hipError_tPvRmT2_T3_mT4_P12ihipStream_tbEUlT_E_NS1_11comp_targetILNS1_3genE4ELNS1_11target_archE910ELNS1_3gpuE8ELNS1_3repE0EEENS1_30default_config_static_selectorELNS0_4arch9wavefront6targetE1EEEvT1_.num_vgpr, 0
	.set _ZN7rocprim17ROCPRIM_400000_NS6detail17trampoline_kernelINS0_14default_configENS1_35adjacent_difference_config_selectorILb1ElEEZNS1_24adjacent_difference_implIS3_Lb1ELb0EPlS7_ZN2at6native12_GLOBAL__N_124unique_dim_cuda_templateIsEESt5tupleIJNS8_6TensorESD_SD_EERKSD_lbbbEUlllE1_EE10hipError_tPvRmT2_T3_mT4_P12ihipStream_tbEUlT_E_NS1_11comp_targetILNS1_3genE4ELNS1_11target_archE910ELNS1_3gpuE8ELNS1_3repE0EEENS1_30default_config_static_selectorELNS0_4arch9wavefront6targetE1EEEvT1_.num_agpr, 0
	.set _ZN7rocprim17ROCPRIM_400000_NS6detail17trampoline_kernelINS0_14default_configENS1_35adjacent_difference_config_selectorILb1ElEEZNS1_24adjacent_difference_implIS3_Lb1ELb0EPlS7_ZN2at6native12_GLOBAL__N_124unique_dim_cuda_templateIsEESt5tupleIJNS8_6TensorESD_SD_EERKSD_lbbbEUlllE1_EE10hipError_tPvRmT2_T3_mT4_P12ihipStream_tbEUlT_E_NS1_11comp_targetILNS1_3genE4ELNS1_11target_archE910ELNS1_3gpuE8ELNS1_3repE0EEENS1_30default_config_static_selectorELNS0_4arch9wavefront6targetE1EEEvT1_.numbered_sgpr, 0
	.set _ZN7rocprim17ROCPRIM_400000_NS6detail17trampoline_kernelINS0_14default_configENS1_35adjacent_difference_config_selectorILb1ElEEZNS1_24adjacent_difference_implIS3_Lb1ELb0EPlS7_ZN2at6native12_GLOBAL__N_124unique_dim_cuda_templateIsEESt5tupleIJNS8_6TensorESD_SD_EERKSD_lbbbEUlllE1_EE10hipError_tPvRmT2_T3_mT4_P12ihipStream_tbEUlT_E_NS1_11comp_targetILNS1_3genE4ELNS1_11target_archE910ELNS1_3gpuE8ELNS1_3repE0EEENS1_30default_config_static_selectorELNS0_4arch9wavefront6targetE1EEEvT1_.num_named_barrier, 0
	.set _ZN7rocprim17ROCPRIM_400000_NS6detail17trampoline_kernelINS0_14default_configENS1_35adjacent_difference_config_selectorILb1ElEEZNS1_24adjacent_difference_implIS3_Lb1ELb0EPlS7_ZN2at6native12_GLOBAL__N_124unique_dim_cuda_templateIsEESt5tupleIJNS8_6TensorESD_SD_EERKSD_lbbbEUlllE1_EE10hipError_tPvRmT2_T3_mT4_P12ihipStream_tbEUlT_E_NS1_11comp_targetILNS1_3genE4ELNS1_11target_archE910ELNS1_3gpuE8ELNS1_3repE0EEENS1_30default_config_static_selectorELNS0_4arch9wavefront6targetE1EEEvT1_.private_seg_size, 0
	.set _ZN7rocprim17ROCPRIM_400000_NS6detail17trampoline_kernelINS0_14default_configENS1_35adjacent_difference_config_selectorILb1ElEEZNS1_24adjacent_difference_implIS3_Lb1ELb0EPlS7_ZN2at6native12_GLOBAL__N_124unique_dim_cuda_templateIsEESt5tupleIJNS8_6TensorESD_SD_EERKSD_lbbbEUlllE1_EE10hipError_tPvRmT2_T3_mT4_P12ihipStream_tbEUlT_E_NS1_11comp_targetILNS1_3genE4ELNS1_11target_archE910ELNS1_3gpuE8ELNS1_3repE0EEENS1_30default_config_static_selectorELNS0_4arch9wavefront6targetE1EEEvT1_.uses_vcc, 0
	.set _ZN7rocprim17ROCPRIM_400000_NS6detail17trampoline_kernelINS0_14default_configENS1_35adjacent_difference_config_selectorILb1ElEEZNS1_24adjacent_difference_implIS3_Lb1ELb0EPlS7_ZN2at6native12_GLOBAL__N_124unique_dim_cuda_templateIsEESt5tupleIJNS8_6TensorESD_SD_EERKSD_lbbbEUlllE1_EE10hipError_tPvRmT2_T3_mT4_P12ihipStream_tbEUlT_E_NS1_11comp_targetILNS1_3genE4ELNS1_11target_archE910ELNS1_3gpuE8ELNS1_3repE0EEENS1_30default_config_static_selectorELNS0_4arch9wavefront6targetE1EEEvT1_.uses_flat_scratch, 0
	.set _ZN7rocprim17ROCPRIM_400000_NS6detail17trampoline_kernelINS0_14default_configENS1_35adjacent_difference_config_selectorILb1ElEEZNS1_24adjacent_difference_implIS3_Lb1ELb0EPlS7_ZN2at6native12_GLOBAL__N_124unique_dim_cuda_templateIsEESt5tupleIJNS8_6TensorESD_SD_EERKSD_lbbbEUlllE1_EE10hipError_tPvRmT2_T3_mT4_P12ihipStream_tbEUlT_E_NS1_11comp_targetILNS1_3genE4ELNS1_11target_archE910ELNS1_3gpuE8ELNS1_3repE0EEENS1_30default_config_static_selectorELNS0_4arch9wavefront6targetE1EEEvT1_.has_dyn_sized_stack, 0
	.set _ZN7rocprim17ROCPRIM_400000_NS6detail17trampoline_kernelINS0_14default_configENS1_35adjacent_difference_config_selectorILb1ElEEZNS1_24adjacent_difference_implIS3_Lb1ELb0EPlS7_ZN2at6native12_GLOBAL__N_124unique_dim_cuda_templateIsEESt5tupleIJNS8_6TensorESD_SD_EERKSD_lbbbEUlllE1_EE10hipError_tPvRmT2_T3_mT4_P12ihipStream_tbEUlT_E_NS1_11comp_targetILNS1_3genE4ELNS1_11target_archE910ELNS1_3gpuE8ELNS1_3repE0EEENS1_30default_config_static_selectorELNS0_4arch9wavefront6targetE1EEEvT1_.has_recursion, 0
	.set _ZN7rocprim17ROCPRIM_400000_NS6detail17trampoline_kernelINS0_14default_configENS1_35adjacent_difference_config_selectorILb1ElEEZNS1_24adjacent_difference_implIS3_Lb1ELb0EPlS7_ZN2at6native12_GLOBAL__N_124unique_dim_cuda_templateIsEESt5tupleIJNS8_6TensorESD_SD_EERKSD_lbbbEUlllE1_EE10hipError_tPvRmT2_T3_mT4_P12ihipStream_tbEUlT_E_NS1_11comp_targetILNS1_3genE4ELNS1_11target_archE910ELNS1_3gpuE8ELNS1_3repE0EEENS1_30default_config_static_selectorELNS0_4arch9wavefront6targetE1EEEvT1_.has_indirect_call, 0
	.section	.AMDGPU.csdata,"",@progbits
; Kernel info:
; codeLenInByte = 0
; TotalNumSgprs: 6
; NumVgprs: 0
; NumAgprs: 0
; TotalNumVgprs: 0
; ScratchSize: 0
; MemoryBound: 0
; FloatMode: 240
; IeeeMode: 1
; LDSByteSize: 0 bytes/workgroup (compile time only)
; SGPRBlocks: 0
; VGPRBlocks: 0
; NumSGPRsForWavesPerEU: 6
; NumVGPRsForWavesPerEU: 1
; AccumOffset: 4
; Occupancy: 8
; WaveLimiterHint : 0
; COMPUTE_PGM_RSRC2:SCRATCH_EN: 0
; COMPUTE_PGM_RSRC2:USER_SGPR: 2
; COMPUTE_PGM_RSRC2:TRAP_HANDLER: 0
; COMPUTE_PGM_RSRC2:TGID_X_EN: 1
; COMPUTE_PGM_RSRC2:TGID_Y_EN: 0
; COMPUTE_PGM_RSRC2:TGID_Z_EN: 0
; COMPUTE_PGM_RSRC2:TIDIG_COMP_CNT: 0
; COMPUTE_PGM_RSRC3_GFX90A:ACCUM_OFFSET: 0
; COMPUTE_PGM_RSRC3_GFX90A:TG_SPLIT: 0
	.section	.text._ZN7rocprim17ROCPRIM_400000_NS6detail17trampoline_kernelINS0_14default_configENS1_35adjacent_difference_config_selectorILb1ElEEZNS1_24adjacent_difference_implIS3_Lb1ELb0EPlS7_ZN2at6native12_GLOBAL__N_124unique_dim_cuda_templateIsEESt5tupleIJNS8_6TensorESD_SD_EERKSD_lbbbEUlllE1_EE10hipError_tPvRmT2_T3_mT4_P12ihipStream_tbEUlT_E_NS1_11comp_targetILNS1_3genE3ELNS1_11target_archE908ELNS1_3gpuE7ELNS1_3repE0EEENS1_30default_config_static_selectorELNS0_4arch9wavefront6targetE1EEEvT1_,"axG",@progbits,_ZN7rocprim17ROCPRIM_400000_NS6detail17trampoline_kernelINS0_14default_configENS1_35adjacent_difference_config_selectorILb1ElEEZNS1_24adjacent_difference_implIS3_Lb1ELb0EPlS7_ZN2at6native12_GLOBAL__N_124unique_dim_cuda_templateIsEESt5tupleIJNS8_6TensorESD_SD_EERKSD_lbbbEUlllE1_EE10hipError_tPvRmT2_T3_mT4_P12ihipStream_tbEUlT_E_NS1_11comp_targetILNS1_3genE3ELNS1_11target_archE908ELNS1_3gpuE7ELNS1_3repE0EEENS1_30default_config_static_selectorELNS0_4arch9wavefront6targetE1EEEvT1_,comdat
	.globl	_ZN7rocprim17ROCPRIM_400000_NS6detail17trampoline_kernelINS0_14default_configENS1_35adjacent_difference_config_selectorILb1ElEEZNS1_24adjacent_difference_implIS3_Lb1ELb0EPlS7_ZN2at6native12_GLOBAL__N_124unique_dim_cuda_templateIsEESt5tupleIJNS8_6TensorESD_SD_EERKSD_lbbbEUlllE1_EE10hipError_tPvRmT2_T3_mT4_P12ihipStream_tbEUlT_E_NS1_11comp_targetILNS1_3genE3ELNS1_11target_archE908ELNS1_3gpuE7ELNS1_3repE0EEENS1_30default_config_static_selectorELNS0_4arch9wavefront6targetE1EEEvT1_ ; -- Begin function _ZN7rocprim17ROCPRIM_400000_NS6detail17trampoline_kernelINS0_14default_configENS1_35adjacent_difference_config_selectorILb1ElEEZNS1_24adjacent_difference_implIS3_Lb1ELb0EPlS7_ZN2at6native12_GLOBAL__N_124unique_dim_cuda_templateIsEESt5tupleIJNS8_6TensorESD_SD_EERKSD_lbbbEUlllE1_EE10hipError_tPvRmT2_T3_mT4_P12ihipStream_tbEUlT_E_NS1_11comp_targetILNS1_3genE3ELNS1_11target_archE908ELNS1_3gpuE7ELNS1_3repE0EEENS1_30default_config_static_selectorELNS0_4arch9wavefront6targetE1EEEvT1_
	.p2align	8
	.type	_ZN7rocprim17ROCPRIM_400000_NS6detail17trampoline_kernelINS0_14default_configENS1_35adjacent_difference_config_selectorILb1ElEEZNS1_24adjacent_difference_implIS3_Lb1ELb0EPlS7_ZN2at6native12_GLOBAL__N_124unique_dim_cuda_templateIsEESt5tupleIJNS8_6TensorESD_SD_EERKSD_lbbbEUlllE1_EE10hipError_tPvRmT2_T3_mT4_P12ihipStream_tbEUlT_E_NS1_11comp_targetILNS1_3genE3ELNS1_11target_archE908ELNS1_3gpuE7ELNS1_3repE0EEENS1_30default_config_static_selectorELNS0_4arch9wavefront6targetE1EEEvT1_,@function
_ZN7rocprim17ROCPRIM_400000_NS6detail17trampoline_kernelINS0_14default_configENS1_35adjacent_difference_config_selectorILb1ElEEZNS1_24adjacent_difference_implIS3_Lb1ELb0EPlS7_ZN2at6native12_GLOBAL__N_124unique_dim_cuda_templateIsEESt5tupleIJNS8_6TensorESD_SD_EERKSD_lbbbEUlllE1_EE10hipError_tPvRmT2_T3_mT4_P12ihipStream_tbEUlT_E_NS1_11comp_targetILNS1_3genE3ELNS1_11target_archE908ELNS1_3gpuE7ELNS1_3repE0EEENS1_30default_config_static_selectorELNS0_4arch9wavefront6targetE1EEEvT1_: ; @_ZN7rocprim17ROCPRIM_400000_NS6detail17trampoline_kernelINS0_14default_configENS1_35adjacent_difference_config_selectorILb1ElEEZNS1_24adjacent_difference_implIS3_Lb1ELb0EPlS7_ZN2at6native12_GLOBAL__N_124unique_dim_cuda_templateIsEESt5tupleIJNS8_6TensorESD_SD_EERKSD_lbbbEUlllE1_EE10hipError_tPvRmT2_T3_mT4_P12ihipStream_tbEUlT_E_NS1_11comp_targetILNS1_3genE3ELNS1_11target_archE908ELNS1_3gpuE7ELNS1_3repE0EEENS1_30default_config_static_selectorELNS0_4arch9wavefront6targetE1EEEvT1_
; %bb.0:
	.section	.rodata,"a",@progbits
	.p2align	6, 0x0
	.amdhsa_kernel _ZN7rocprim17ROCPRIM_400000_NS6detail17trampoline_kernelINS0_14default_configENS1_35adjacent_difference_config_selectorILb1ElEEZNS1_24adjacent_difference_implIS3_Lb1ELb0EPlS7_ZN2at6native12_GLOBAL__N_124unique_dim_cuda_templateIsEESt5tupleIJNS8_6TensorESD_SD_EERKSD_lbbbEUlllE1_EE10hipError_tPvRmT2_T3_mT4_P12ihipStream_tbEUlT_E_NS1_11comp_targetILNS1_3genE3ELNS1_11target_archE908ELNS1_3gpuE7ELNS1_3repE0EEENS1_30default_config_static_selectorELNS0_4arch9wavefront6targetE1EEEvT1_
		.amdhsa_group_segment_fixed_size 0
		.amdhsa_private_segment_fixed_size 0
		.amdhsa_kernarg_size 64
		.amdhsa_user_sgpr_count 2
		.amdhsa_user_sgpr_dispatch_ptr 0
		.amdhsa_user_sgpr_queue_ptr 0
		.amdhsa_user_sgpr_kernarg_segment_ptr 1
		.amdhsa_user_sgpr_dispatch_id 0
		.amdhsa_user_sgpr_kernarg_preload_length 0
		.amdhsa_user_sgpr_kernarg_preload_offset 0
		.amdhsa_user_sgpr_private_segment_size 0
		.amdhsa_uses_dynamic_stack 0
		.amdhsa_enable_private_segment 0
		.amdhsa_system_sgpr_workgroup_id_x 1
		.amdhsa_system_sgpr_workgroup_id_y 0
		.amdhsa_system_sgpr_workgroup_id_z 0
		.amdhsa_system_sgpr_workgroup_info 0
		.amdhsa_system_vgpr_workitem_id 0
		.amdhsa_next_free_vgpr 1
		.amdhsa_next_free_sgpr 0
		.amdhsa_accum_offset 4
		.amdhsa_reserve_vcc 0
		.amdhsa_float_round_mode_32 0
		.amdhsa_float_round_mode_16_64 0
		.amdhsa_float_denorm_mode_32 3
		.amdhsa_float_denorm_mode_16_64 3
		.amdhsa_dx10_clamp 1
		.amdhsa_ieee_mode 1
		.amdhsa_fp16_overflow 0
		.amdhsa_tg_split 0
		.amdhsa_exception_fp_ieee_invalid_op 0
		.amdhsa_exception_fp_denorm_src 0
		.amdhsa_exception_fp_ieee_div_zero 0
		.amdhsa_exception_fp_ieee_overflow 0
		.amdhsa_exception_fp_ieee_underflow 0
		.amdhsa_exception_fp_ieee_inexact 0
		.amdhsa_exception_int_div_zero 0
	.end_amdhsa_kernel
	.section	.text._ZN7rocprim17ROCPRIM_400000_NS6detail17trampoline_kernelINS0_14default_configENS1_35adjacent_difference_config_selectorILb1ElEEZNS1_24adjacent_difference_implIS3_Lb1ELb0EPlS7_ZN2at6native12_GLOBAL__N_124unique_dim_cuda_templateIsEESt5tupleIJNS8_6TensorESD_SD_EERKSD_lbbbEUlllE1_EE10hipError_tPvRmT2_T3_mT4_P12ihipStream_tbEUlT_E_NS1_11comp_targetILNS1_3genE3ELNS1_11target_archE908ELNS1_3gpuE7ELNS1_3repE0EEENS1_30default_config_static_selectorELNS0_4arch9wavefront6targetE1EEEvT1_,"axG",@progbits,_ZN7rocprim17ROCPRIM_400000_NS6detail17trampoline_kernelINS0_14default_configENS1_35adjacent_difference_config_selectorILb1ElEEZNS1_24adjacent_difference_implIS3_Lb1ELb0EPlS7_ZN2at6native12_GLOBAL__N_124unique_dim_cuda_templateIsEESt5tupleIJNS8_6TensorESD_SD_EERKSD_lbbbEUlllE1_EE10hipError_tPvRmT2_T3_mT4_P12ihipStream_tbEUlT_E_NS1_11comp_targetILNS1_3genE3ELNS1_11target_archE908ELNS1_3gpuE7ELNS1_3repE0EEENS1_30default_config_static_selectorELNS0_4arch9wavefront6targetE1EEEvT1_,comdat
.Lfunc_end681:
	.size	_ZN7rocprim17ROCPRIM_400000_NS6detail17trampoline_kernelINS0_14default_configENS1_35adjacent_difference_config_selectorILb1ElEEZNS1_24adjacent_difference_implIS3_Lb1ELb0EPlS7_ZN2at6native12_GLOBAL__N_124unique_dim_cuda_templateIsEESt5tupleIJNS8_6TensorESD_SD_EERKSD_lbbbEUlllE1_EE10hipError_tPvRmT2_T3_mT4_P12ihipStream_tbEUlT_E_NS1_11comp_targetILNS1_3genE3ELNS1_11target_archE908ELNS1_3gpuE7ELNS1_3repE0EEENS1_30default_config_static_selectorELNS0_4arch9wavefront6targetE1EEEvT1_, .Lfunc_end681-_ZN7rocprim17ROCPRIM_400000_NS6detail17trampoline_kernelINS0_14default_configENS1_35adjacent_difference_config_selectorILb1ElEEZNS1_24adjacent_difference_implIS3_Lb1ELb0EPlS7_ZN2at6native12_GLOBAL__N_124unique_dim_cuda_templateIsEESt5tupleIJNS8_6TensorESD_SD_EERKSD_lbbbEUlllE1_EE10hipError_tPvRmT2_T3_mT4_P12ihipStream_tbEUlT_E_NS1_11comp_targetILNS1_3genE3ELNS1_11target_archE908ELNS1_3gpuE7ELNS1_3repE0EEENS1_30default_config_static_selectorELNS0_4arch9wavefront6targetE1EEEvT1_
                                        ; -- End function
	.set _ZN7rocprim17ROCPRIM_400000_NS6detail17trampoline_kernelINS0_14default_configENS1_35adjacent_difference_config_selectorILb1ElEEZNS1_24adjacent_difference_implIS3_Lb1ELb0EPlS7_ZN2at6native12_GLOBAL__N_124unique_dim_cuda_templateIsEESt5tupleIJNS8_6TensorESD_SD_EERKSD_lbbbEUlllE1_EE10hipError_tPvRmT2_T3_mT4_P12ihipStream_tbEUlT_E_NS1_11comp_targetILNS1_3genE3ELNS1_11target_archE908ELNS1_3gpuE7ELNS1_3repE0EEENS1_30default_config_static_selectorELNS0_4arch9wavefront6targetE1EEEvT1_.num_vgpr, 0
	.set _ZN7rocprim17ROCPRIM_400000_NS6detail17trampoline_kernelINS0_14default_configENS1_35adjacent_difference_config_selectorILb1ElEEZNS1_24adjacent_difference_implIS3_Lb1ELb0EPlS7_ZN2at6native12_GLOBAL__N_124unique_dim_cuda_templateIsEESt5tupleIJNS8_6TensorESD_SD_EERKSD_lbbbEUlllE1_EE10hipError_tPvRmT2_T3_mT4_P12ihipStream_tbEUlT_E_NS1_11comp_targetILNS1_3genE3ELNS1_11target_archE908ELNS1_3gpuE7ELNS1_3repE0EEENS1_30default_config_static_selectorELNS0_4arch9wavefront6targetE1EEEvT1_.num_agpr, 0
	.set _ZN7rocprim17ROCPRIM_400000_NS6detail17trampoline_kernelINS0_14default_configENS1_35adjacent_difference_config_selectorILb1ElEEZNS1_24adjacent_difference_implIS3_Lb1ELb0EPlS7_ZN2at6native12_GLOBAL__N_124unique_dim_cuda_templateIsEESt5tupleIJNS8_6TensorESD_SD_EERKSD_lbbbEUlllE1_EE10hipError_tPvRmT2_T3_mT4_P12ihipStream_tbEUlT_E_NS1_11comp_targetILNS1_3genE3ELNS1_11target_archE908ELNS1_3gpuE7ELNS1_3repE0EEENS1_30default_config_static_selectorELNS0_4arch9wavefront6targetE1EEEvT1_.numbered_sgpr, 0
	.set _ZN7rocprim17ROCPRIM_400000_NS6detail17trampoline_kernelINS0_14default_configENS1_35adjacent_difference_config_selectorILb1ElEEZNS1_24adjacent_difference_implIS3_Lb1ELb0EPlS7_ZN2at6native12_GLOBAL__N_124unique_dim_cuda_templateIsEESt5tupleIJNS8_6TensorESD_SD_EERKSD_lbbbEUlllE1_EE10hipError_tPvRmT2_T3_mT4_P12ihipStream_tbEUlT_E_NS1_11comp_targetILNS1_3genE3ELNS1_11target_archE908ELNS1_3gpuE7ELNS1_3repE0EEENS1_30default_config_static_selectorELNS0_4arch9wavefront6targetE1EEEvT1_.num_named_barrier, 0
	.set _ZN7rocprim17ROCPRIM_400000_NS6detail17trampoline_kernelINS0_14default_configENS1_35adjacent_difference_config_selectorILb1ElEEZNS1_24adjacent_difference_implIS3_Lb1ELb0EPlS7_ZN2at6native12_GLOBAL__N_124unique_dim_cuda_templateIsEESt5tupleIJNS8_6TensorESD_SD_EERKSD_lbbbEUlllE1_EE10hipError_tPvRmT2_T3_mT4_P12ihipStream_tbEUlT_E_NS1_11comp_targetILNS1_3genE3ELNS1_11target_archE908ELNS1_3gpuE7ELNS1_3repE0EEENS1_30default_config_static_selectorELNS0_4arch9wavefront6targetE1EEEvT1_.private_seg_size, 0
	.set _ZN7rocprim17ROCPRIM_400000_NS6detail17trampoline_kernelINS0_14default_configENS1_35adjacent_difference_config_selectorILb1ElEEZNS1_24adjacent_difference_implIS3_Lb1ELb0EPlS7_ZN2at6native12_GLOBAL__N_124unique_dim_cuda_templateIsEESt5tupleIJNS8_6TensorESD_SD_EERKSD_lbbbEUlllE1_EE10hipError_tPvRmT2_T3_mT4_P12ihipStream_tbEUlT_E_NS1_11comp_targetILNS1_3genE3ELNS1_11target_archE908ELNS1_3gpuE7ELNS1_3repE0EEENS1_30default_config_static_selectorELNS0_4arch9wavefront6targetE1EEEvT1_.uses_vcc, 0
	.set _ZN7rocprim17ROCPRIM_400000_NS6detail17trampoline_kernelINS0_14default_configENS1_35adjacent_difference_config_selectorILb1ElEEZNS1_24adjacent_difference_implIS3_Lb1ELb0EPlS7_ZN2at6native12_GLOBAL__N_124unique_dim_cuda_templateIsEESt5tupleIJNS8_6TensorESD_SD_EERKSD_lbbbEUlllE1_EE10hipError_tPvRmT2_T3_mT4_P12ihipStream_tbEUlT_E_NS1_11comp_targetILNS1_3genE3ELNS1_11target_archE908ELNS1_3gpuE7ELNS1_3repE0EEENS1_30default_config_static_selectorELNS0_4arch9wavefront6targetE1EEEvT1_.uses_flat_scratch, 0
	.set _ZN7rocprim17ROCPRIM_400000_NS6detail17trampoline_kernelINS0_14default_configENS1_35adjacent_difference_config_selectorILb1ElEEZNS1_24adjacent_difference_implIS3_Lb1ELb0EPlS7_ZN2at6native12_GLOBAL__N_124unique_dim_cuda_templateIsEESt5tupleIJNS8_6TensorESD_SD_EERKSD_lbbbEUlllE1_EE10hipError_tPvRmT2_T3_mT4_P12ihipStream_tbEUlT_E_NS1_11comp_targetILNS1_3genE3ELNS1_11target_archE908ELNS1_3gpuE7ELNS1_3repE0EEENS1_30default_config_static_selectorELNS0_4arch9wavefront6targetE1EEEvT1_.has_dyn_sized_stack, 0
	.set _ZN7rocprim17ROCPRIM_400000_NS6detail17trampoline_kernelINS0_14default_configENS1_35adjacent_difference_config_selectorILb1ElEEZNS1_24adjacent_difference_implIS3_Lb1ELb0EPlS7_ZN2at6native12_GLOBAL__N_124unique_dim_cuda_templateIsEESt5tupleIJNS8_6TensorESD_SD_EERKSD_lbbbEUlllE1_EE10hipError_tPvRmT2_T3_mT4_P12ihipStream_tbEUlT_E_NS1_11comp_targetILNS1_3genE3ELNS1_11target_archE908ELNS1_3gpuE7ELNS1_3repE0EEENS1_30default_config_static_selectorELNS0_4arch9wavefront6targetE1EEEvT1_.has_recursion, 0
	.set _ZN7rocprim17ROCPRIM_400000_NS6detail17trampoline_kernelINS0_14default_configENS1_35adjacent_difference_config_selectorILb1ElEEZNS1_24adjacent_difference_implIS3_Lb1ELb0EPlS7_ZN2at6native12_GLOBAL__N_124unique_dim_cuda_templateIsEESt5tupleIJNS8_6TensorESD_SD_EERKSD_lbbbEUlllE1_EE10hipError_tPvRmT2_T3_mT4_P12ihipStream_tbEUlT_E_NS1_11comp_targetILNS1_3genE3ELNS1_11target_archE908ELNS1_3gpuE7ELNS1_3repE0EEENS1_30default_config_static_selectorELNS0_4arch9wavefront6targetE1EEEvT1_.has_indirect_call, 0
	.section	.AMDGPU.csdata,"",@progbits
; Kernel info:
; codeLenInByte = 0
; TotalNumSgprs: 6
; NumVgprs: 0
; NumAgprs: 0
; TotalNumVgprs: 0
; ScratchSize: 0
; MemoryBound: 0
; FloatMode: 240
; IeeeMode: 1
; LDSByteSize: 0 bytes/workgroup (compile time only)
; SGPRBlocks: 0
; VGPRBlocks: 0
; NumSGPRsForWavesPerEU: 6
; NumVGPRsForWavesPerEU: 1
; AccumOffset: 4
; Occupancy: 8
; WaveLimiterHint : 0
; COMPUTE_PGM_RSRC2:SCRATCH_EN: 0
; COMPUTE_PGM_RSRC2:USER_SGPR: 2
; COMPUTE_PGM_RSRC2:TRAP_HANDLER: 0
; COMPUTE_PGM_RSRC2:TGID_X_EN: 1
; COMPUTE_PGM_RSRC2:TGID_Y_EN: 0
; COMPUTE_PGM_RSRC2:TGID_Z_EN: 0
; COMPUTE_PGM_RSRC2:TIDIG_COMP_CNT: 0
; COMPUTE_PGM_RSRC3_GFX90A:ACCUM_OFFSET: 0
; COMPUTE_PGM_RSRC3_GFX90A:TG_SPLIT: 0
	.section	.text._ZN7rocprim17ROCPRIM_400000_NS6detail17trampoline_kernelINS0_14default_configENS1_35adjacent_difference_config_selectorILb1ElEEZNS1_24adjacent_difference_implIS3_Lb1ELb0EPlS7_ZN2at6native12_GLOBAL__N_124unique_dim_cuda_templateIsEESt5tupleIJNS8_6TensorESD_SD_EERKSD_lbbbEUlllE1_EE10hipError_tPvRmT2_T3_mT4_P12ihipStream_tbEUlT_E_NS1_11comp_targetILNS1_3genE2ELNS1_11target_archE906ELNS1_3gpuE6ELNS1_3repE0EEENS1_30default_config_static_selectorELNS0_4arch9wavefront6targetE1EEEvT1_,"axG",@progbits,_ZN7rocprim17ROCPRIM_400000_NS6detail17trampoline_kernelINS0_14default_configENS1_35adjacent_difference_config_selectorILb1ElEEZNS1_24adjacent_difference_implIS3_Lb1ELb0EPlS7_ZN2at6native12_GLOBAL__N_124unique_dim_cuda_templateIsEESt5tupleIJNS8_6TensorESD_SD_EERKSD_lbbbEUlllE1_EE10hipError_tPvRmT2_T3_mT4_P12ihipStream_tbEUlT_E_NS1_11comp_targetILNS1_3genE2ELNS1_11target_archE906ELNS1_3gpuE6ELNS1_3repE0EEENS1_30default_config_static_selectorELNS0_4arch9wavefront6targetE1EEEvT1_,comdat
	.globl	_ZN7rocprim17ROCPRIM_400000_NS6detail17trampoline_kernelINS0_14default_configENS1_35adjacent_difference_config_selectorILb1ElEEZNS1_24adjacent_difference_implIS3_Lb1ELb0EPlS7_ZN2at6native12_GLOBAL__N_124unique_dim_cuda_templateIsEESt5tupleIJNS8_6TensorESD_SD_EERKSD_lbbbEUlllE1_EE10hipError_tPvRmT2_T3_mT4_P12ihipStream_tbEUlT_E_NS1_11comp_targetILNS1_3genE2ELNS1_11target_archE906ELNS1_3gpuE6ELNS1_3repE0EEENS1_30default_config_static_selectorELNS0_4arch9wavefront6targetE1EEEvT1_ ; -- Begin function _ZN7rocprim17ROCPRIM_400000_NS6detail17trampoline_kernelINS0_14default_configENS1_35adjacent_difference_config_selectorILb1ElEEZNS1_24adjacent_difference_implIS3_Lb1ELb0EPlS7_ZN2at6native12_GLOBAL__N_124unique_dim_cuda_templateIsEESt5tupleIJNS8_6TensorESD_SD_EERKSD_lbbbEUlllE1_EE10hipError_tPvRmT2_T3_mT4_P12ihipStream_tbEUlT_E_NS1_11comp_targetILNS1_3genE2ELNS1_11target_archE906ELNS1_3gpuE6ELNS1_3repE0EEENS1_30default_config_static_selectorELNS0_4arch9wavefront6targetE1EEEvT1_
	.p2align	8
	.type	_ZN7rocprim17ROCPRIM_400000_NS6detail17trampoline_kernelINS0_14default_configENS1_35adjacent_difference_config_selectorILb1ElEEZNS1_24adjacent_difference_implIS3_Lb1ELb0EPlS7_ZN2at6native12_GLOBAL__N_124unique_dim_cuda_templateIsEESt5tupleIJNS8_6TensorESD_SD_EERKSD_lbbbEUlllE1_EE10hipError_tPvRmT2_T3_mT4_P12ihipStream_tbEUlT_E_NS1_11comp_targetILNS1_3genE2ELNS1_11target_archE906ELNS1_3gpuE6ELNS1_3repE0EEENS1_30default_config_static_selectorELNS0_4arch9wavefront6targetE1EEEvT1_,@function
_ZN7rocprim17ROCPRIM_400000_NS6detail17trampoline_kernelINS0_14default_configENS1_35adjacent_difference_config_selectorILb1ElEEZNS1_24adjacent_difference_implIS3_Lb1ELb0EPlS7_ZN2at6native12_GLOBAL__N_124unique_dim_cuda_templateIsEESt5tupleIJNS8_6TensorESD_SD_EERKSD_lbbbEUlllE1_EE10hipError_tPvRmT2_T3_mT4_P12ihipStream_tbEUlT_E_NS1_11comp_targetILNS1_3genE2ELNS1_11target_archE906ELNS1_3gpuE6ELNS1_3repE0EEENS1_30default_config_static_selectorELNS0_4arch9wavefront6targetE1EEEvT1_: ; @_ZN7rocprim17ROCPRIM_400000_NS6detail17trampoline_kernelINS0_14default_configENS1_35adjacent_difference_config_selectorILb1ElEEZNS1_24adjacent_difference_implIS3_Lb1ELb0EPlS7_ZN2at6native12_GLOBAL__N_124unique_dim_cuda_templateIsEESt5tupleIJNS8_6TensorESD_SD_EERKSD_lbbbEUlllE1_EE10hipError_tPvRmT2_T3_mT4_P12ihipStream_tbEUlT_E_NS1_11comp_targetILNS1_3genE2ELNS1_11target_archE906ELNS1_3gpuE6ELNS1_3repE0EEENS1_30default_config_static_selectorELNS0_4arch9wavefront6targetE1EEEvT1_
; %bb.0:
	.section	.rodata,"a",@progbits
	.p2align	6, 0x0
	.amdhsa_kernel _ZN7rocprim17ROCPRIM_400000_NS6detail17trampoline_kernelINS0_14default_configENS1_35adjacent_difference_config_selectorILb1ElEEZNS1_24adjacent_difference_implIS3_Lb1ELb0EPlS7_ZN2at6native12_GLOBAL__N_124unique_dim_cuda_templateIsEESt5tupleIJNS8_6TensorESD_SD_EERKSD_lbbbEUlllE1_EE10hipError_tPvRmT2_T3_mT4_P12ihipStream_tbEUlT_E_NS1_11comp_targetILNS1_3genE2ELNS1_11target_archE906ELNS1_3gpuE6ELNS1_3repE0EEENS1_30default_config_static_selectorELNS0_4arch9wavefront6targetE1EEEvT1_
		.amdhsa_group_segment_fixed_size 0
		.amdhsa_private_segment_fixed_size 0
		.amdhsa_kernarg_size 64
		.amdhsa_user_sgpr_count 2
		.amdhsa_user_sgpr_dispatch_ptr 0
		.amdhsa_user_sgpr_queue_ptr 0
		.amdhsa_user_sgpr_kernarg_segment_ptr 1
		.amdhsa_user_sgpr_dispatch_id 0
		.amdhsa_user_sgpr_kernarg_preload_length 0
		.amdhsa_user_sgpr_kernarg_preload_offset 0
		.amdhsa_user_sgpr_private_segment_size 0
		.amdhsa_uses_dynamic_stack 0
		.amdhsa_enable_private_segment 0
		.amdhsa_system_sgpr_workgroup_id_x 1
		.amdhsa_system_sgpr_workgroup_id_y 0
		.amdhsa_system_sgpr_workgroup_id_z 0
		.amdhsa_system_sgpr_workgroup_info 0
		.amdhsa_system_vgpr_workitem_id 0
		.amdhsa_next_free_vgpr 1
		.amdhsa_next_free_sgpr 0
		.amdhsa_accum_offset 4
		.amdhsa_reserve_vcc 0
		.amdhsa_float_round_mode_32 0
		.amdhsa_float_round_mode_16_64 0
		.amdhsa_float_denorm_mode_32 3
		.amdhsa_float_denorm_mode_16_64 3
		.amdhsa_dx10_clamp 1
		.amdhsa_ieee_mode 1
		.amdhsa_fp16_overflow 0
		.amdhsa_tg_split 0
		.amdhsa_exception_fp_ieee_invalid_op 0
		.amdhsa_exception_fp_denorm_src 0
		.amdhsa_exception_fp_ieee_div_zero 0
		.amdhsa_exception_fp_ieee_overflow 0
		.amdhsa_exception_fp_ieee_underflow 0
		.amdhsa_exception_fp_ieee_inexact 0
		.amdhsa_exception_int_div_zero 0
	.end_amdhsa_kernel
	.section	.text._ZN7rocprim17ROCPRIM_400000_NS6detail17trampoline_kernelINS0_14default_configENS1_35adjacent_difference_config_selectorILb1ElEEZNS1_24adjacent_difference_implIS3_Lb1ELb0EPlS7_ZN2at6native12_GLOBAL__N_124unique_dim_cuda_templateIsEESt5tupleIJNS8_6TensorESD_SD_EERKSD_lbbbEUlllE1_EE10hipError_tPvRmT2_T3_mT4_P12ihipStream_tbEUlT_E_NS1_11comp_targetILNS1_3genE2ELNS1_11target_archE906ELNS1_3gpuE6ELNS1_3repE0EEENS1_30default_config_static_selectorELNS0_4arch9wavefront6targetE1EEEvT1_,"axG",@progbits,_ZN7rocprim17ROCPRIM_400000_NS6detail17trampoline_kernelINS0_14default_configENS1_35adjacent_difference_config_selectorILb1ElEEZNS1_24adjacent_difference_implIS3_Lb1ELb0EPlS7_ZN2at6native12_GLOBAL__N_124unique_dim_cuda_templateIsEESt5tupleIJNS8_6TensorESD_SD_EERKSD_lbbbEUlllE1_EE10hipError_tPvRmT2_T3_mT4_P12ihipStream_tbEUlT_E_NS1_11comp_targetILNS1_3genE2ELNS1_11target_archE906ELNS1_3gpuE6ELNS1_3repE0EEENS1_30default_config_static_selectorELNS0_4arch9wavefront6targetE1EEEvT1_,comdat
.Lfunc_end682:
	.size	_ZN7rocprim17ROCPRIM_400000_NS6detail17trampoline_kernelINS0_14default_configENS1_35adjacent_difference_config_selectorILb1ElEEZNS1_24adjacent_difference_implIS3_Lb1ELb0EPlS7_ZN2at6native12_GLOBAL__N_124unique_dim_cuda_templateIsEESt5tupleIJNS8_6TensorESD_SD_EERKSD_lbbbEUlllE1_EE10hipError_tPvRmT2_T3_mT4_P12ihipStream_tbEUlT_E_NS1_11comp_targetILNS1_3genE2ELNS1_11target_archE906ELNS1_3gpuE6ELNS1_3repE0EEENS1_30default_config_static_selectorELNS0_4arch9wavefront6targetE1EEEvT1_, .Lfunc_end682-_ZN7rocprim17ROCPRIM_400000_NS6detail17trampoline_kernelINS0_14default_configENS1_35adjacent_difference_config_selectorILb1ElEEZNS1_24adjacent_difference_implIS3_Lb1ELb0EPlS7_ZN2at6native12_GLOBAL__N_124unique_dim_cuda_templateIsEESt5tupleIJNS8_6TensorESD_SD_EERKSD_lbbbEUlllE1_EE10hipError_tPvRmT2_T3_mT4_P12ihipStream_tbEUlT_E_NS1_11comp_targetILNS1_3genE2ELNS1_11target_archE906ELNS1_3gpuE6ELNS1_3repE0EEENS1_30default_config_static_selectorELNS0_4arch9wavefront6targetE1EEEvT1_
                                        ; -- End function
	.set _ZN7rocprim17ROCPRIM_400000_NS6detail17trampoline_kernelINS0_14default_configENS1_35adjacent_difference_config_selectorILb1ElEEZNS1_24adjacent_difference_implIS3_Lb1ELb0EPlS7_ZN2at6native12_GLOBAL__N_124unique_dim_cuda_templateIsEESt5tupleIJNS8_6TensorESD_SD_EERKSD_lbbbEUlllE1_EE10hipError_tPvRmT2_T3_mT4_P12ihipStream_tbEUlT_E_NS1_11comp_targetILNS1_3genE2ELNS1_11target_archE906ELNS1_3gpuE6ELNS1_3repE0EEENS1_30default_config_static_selectorELNS0_4arch9wavefront6targetE1EEEvT1_.num_vgpr, 0
	.set _ZN7rocprim17ROCPRIM_400000_NS6detail17trampoline_kernelINS0_14default_configENS1_35adjacent_difference_config_selectorILb1ElEEZNS1_24adjacent_difference_implIS3_Lb1ELb0EPlS7_ZN2at6native12_GLOBAL__N_124unique_dim_cuda_templateIsEESt5tupleIJNS8_6TensorESD_SD_EERKSD_lbbbEUlllE1_EE10hipError_tPvRmT2_T3_mT4_P12ihipStream_tbEUlT_E_NS1_11comp_targetILNS1_3genE2ELNS1_11target_archE906ELNS1_3gpuE6ELNS1_3repE0EEENS1_30default_config_static_selectorELNS0_4arch9wavefront6targetE1EEEvT1_.num_agpr, 0
	.set _ZN7rocprim17ROCPRIM_400000_NS6detail17trampoline_kernelINS0_14default_configENS1_35adjacent_difference_config_selectorILb1ElEEZNS1_24adjacent_difference_implIS3_Lb1ELb0EPlS7_ZN2at6native12_GLOBAL__N_124unique_dim_cuda_templateIsEESt5tupleIJNS8_6TensorESD_SD_EERKSD_lbbbEUlllE1_EE10hipError_tPvRmT2_T3_mT4_P12ihipStream_tbEUlT_E_NS1_11comp_targetILNS1_3genE2ELNS1_11target_archE906ELNS1_3gpuE6ELNS1_3repE0EEENS1_30default_config_static_selectorELNS0_4arch9wavefront6targetE1EEEvT1_.numbered_sgpr, 0
	.set _ZN7rocprim17ROCPRIM_400000_NS6detail17trampoline_kernelINS0_14default_configENS1_35adjacent_difference_config_selectorILb1ElEEZNS1_24adjacent_difference_implIS3_Lb1ELb0EPlS7_ZN2at6native12_GLOBAL__N_124unique_dim_cuda_templateIsEESt5tupleIJNS8_6TensorESD_SD_EERKSD_lbbbEUlllE1_EE10hipError_tPvRmT2_T3_mT4_P12ihipStream_tbEUlT_E_NS1_11comp_targetILNS1_3genE2ELNS1_11target_archE906ELNS1_3gpuE6ELNS1_3repE0EEENS1_30default_config_static_selectorELNS0_4arch9wavefront6targetE1EEEvT1_.num_named_barrier, 0
	.set _ZN7rocprim17ROCPRIM_400000_NS6detail17trampoline_kernelINS0_14default_configENS1_35adjacent_difference_config_selectorILb1ElEEZNS1_24adjacent_difference_implIS3_Lb1ELb0EPlS7_ZN2at6native12_GLOBAL__N_124unique_dim_cuda_templateIsEESt5tupleIJNS8_6TensorESD_SD_EERKSD_lbbbEUlllE1_EE10hipError_tPvRmT2_T3_mT4_P12ihipStream_tbEUlT_E_NS1_11comp_targetILNS1_3genE2ELNS1_11target_archE906ELNS1_3gpuE6ELNS1_3repE0EEENS1_30default_config_static_selectorELNS0_4arch9wavefront6targetE1EEEvT1_.private_seg_size, 0
	.set _ZN7rocprim17ROCPRIM_400000_NS6detail17trampoline_kernelINS0_14default_configENS1_35adjacent_difference_config_selectorILb1ElEEZNS1_24adjacent_difference_implIS3_Lb1ELb0EPlS7_ZN2at6native12_GLOBAL__N_124unique_dim_cuda_templateIsEESt5tupleIJNS8_6TensorESD_SD_EERKSD_lbbbEUlllE1_EE10hipError_tPvRmT2_T3_mT4_P12ihipStream_tbEUlT_E_NS1_11comp_targetILNS1_3genE2ELNS1_11target_archE906ELNS1_3gpuE6ELNS1_3repE0EEENS1_30default_config_static_selectorELNS0_4arch9wavefront6targetE1EEEvT1_.uses_vcc, 0
	.set _ZN7rocprim17ROCPRIM_400000_NS6detail17trampoline_kernelINS0_14default_configENS1_35adjacent_difference_config_selectorILb1ElEEZNS1_24adjacent_difference_implIS3_Lb1ELb0EPlS7_ZN2at6native12_GLOBAL__N_124unique_dim_cuda_templateIsEESt5tupleIJNS8_6TensorESD_SD_EERKSD_lbbbEUlllE1_EE10hipError_tPvRmT2_T3_mT4_P12ihipStream_tbEUlT_E_NS1_11comp_targetILNS1_3genE2ELNS1_11target_archE906ELNS1_3gpuE6ELNS1_3repE0EEENS1_30default_config_static_selectorELNS0_4arch9wavefront6targetE1EEEvT1_.uses_flat_scratch, 0
	.set _ZN7rocprim17ROCPRIM_400000_NS6detail17trampoline_kernelINS0_14default_configENS1_35adjacent_difference_config_selectorILb1ElEEZNS1_24adjacent_difference_implIS3_Lb1ELb0EPlS7_ZN2at6native12_GLOBAL__N_124unique_dim_cuda_templateIsEESt5tupleIJNS8_6TensorESD_SD_EERKSD_lbbbEUlllE1_EE10hipError_tPvRmT2_T3_mT4_P12ihipStream_tbEUlT_E_NS1_11comp_targetILNS1_3genE2ELNS1_11target_archE906ELNS1_3gpuE6ELNS1_3repE0EEENS1_30default_config_static_selectorELNS0_4arch9wavefront6targetE1EEEvT1_.has_dyn_sized_stack, 0
	.set _ZN7rocprim17ROCPRIM_400000_NS6detail17trampoline_kernelINS0_14default_configENS1_35adjacent_difference_config_selectorILb1ElEEZNS1_24adjacent_difference_implIS3_Lb1ELb0EPlS7_ZN2at6native12_GLOBAL__N_124unique_dim_cuda_templateIsEESt5tupleIJNS8_6TensorESD_SD_EERKSD_lbbbEUlllE1_EE10hipError_tPvRmT2_T3_mT4_P12ihipStream_tbEUlT_E_NS1_11comp_targetILNS1_3genE2ELNS1_11target_archE906ELNS1_3gpuE6ELNS1_3repE0EEENS1_30default_config_static_selectorELNS0_4arch9wavefront6targetE1EEEvT1_.has_recursion, 0
	.set _ZN7rocprim17ROCPRIM_400000_NS6detail17trampoline_kernelINS0_14default_configENS1_35adjacent_difference_config_selectorILb1ElEEZNS1_24adjacent_difference_implIS3_Lb1ELb0EPlS7_ZN2at6native12_GLOBAL__N_124unique_dim_cuda_templateIsEESt5tupleIJNS8_6TensorESD_SD_EERKSD_lbbbEUlllE1_EE10hipError_tPvRmT2_T3_mT4_P12ihipStream_tbEUlT_E_NS1_11comp_targetILNS1_3genE2ELNS1_11target_archE906ELNS1_3gpuE6ELNS1_3repE0EEENS1_30default_config_static_selectorELNS0_4arch9wavefront6targetE1EEEvT1_.has_indirect_call, 0
	.section	.AMDGPU.csdata,"",@progbits
; Kernel info:
; codeLenInByte = 0
; TotalNumSgprs: 6
; NumVgprs: 0
; NumAgprs: 0
; TotalNumVgprs: 0
; ScratchSize: 0
; MemoryBound: 0
; FloatMode: 240
; IeeeMode: 1
; LDSByteSize: 0 bytes/workgroup (compile time only)
; SGPRBlocks: 0
; VGPRBlocks: 0
; NumSGPRsForWavesPerEU: 6
; NumVGPRsForWavesPerEU: 1
; AccumOffset: 4
; Occupancy: 8
; WaveLimiterHint : 0
; COMPUTE_PGM_RSRC2:SCRATCH_EN: 0
; COMPUTE_PGM_RSRC2:USER_SGPR: 2
; COMPUTE_PGM_RSRC2:TRAP_HANDLER: 0
; COMPUTE_PGM_RSRC2:TGID_X_EN: 1
; COMPUTE_PGM_RSRC2:TGID_Y_EN: 0
; COMPUTE_PGM_RSRC2:TGID_Z_EN: 0
; COMPUTE_PGM_RSRC2:TIDIG_COMP_CNT: 0
; COMPUTE_PGM_RSRC3_GFX90A:ACCUM_OFFSET: 0
; COMPUTE_PGM_RSRC3_GFX90A:TG_SPLIT: 0
	.section	.text._ZN7rocprim17ROCPRIM_400000_NS6detail17trampoline_kernelINS0_14default_configENS1_35adjacent_difference_config_selectorILb1ElEEZNS1_24adjacent_difference_implIS3_Lb1ELb0EPlS7_ZN2at6native12_GLOBAL__N_124unique_dim_cuda_templateIsEESt5tupleIJNS8_6TensorESD_SD_EERKSD_lbbbEUlllE1_EE10hipError_tPvRmT2_T3_mT4_P12ihipStream_tbEUlT_E_NS1_11comp_targetILNS1_3genE9ELNS1_11target_archE1100ELNS1_3gpuE3ELNS1_3repE0EEENS1_30default_config_static_selectorELNS0_4arch9wavefront6targetE1EEEvT1_,"axG",@progbits,_ZN7rocprim17ROCPRIM_400000_NS6detail17trampoline_kernelINS0_14default_configENS1_35adjacent_difference_config_selectorILb1ElEEZNS1_24adjacent_difference_implIS3_Lb1ELb0EPlS7_ZN2at6native12_GLOBAL__N_124unique_dim_cuda_templateIsEESt5tupleIJNS8_6TensorESD_SD_EERKSD_lbbbEUlllE1_EE10hipError_tPvRmT2_T3_mT4_P12ihipStream_tbEUlT_E_NS1_11comp_targetILNS1_3genE9ELNS1_11target_archE1100ELNS1_3gpuE3ELNS1_3repE0EEENS1_30default_config_static_selectorELNS0_4arch9wavefront6targetE1EEEvT1_,comdat
	.globl	_ZN7rocprim17ROCPRIM_400000_NS6detail17trampoline_kernelINS0_14default_configENS1_35adjacent_difference_config_selectorILb1ElEEZNS1_24adjacent_difference_implIS3_Lb1ELb0EPlS7_ZN2at6native12_GLOBAL__N_124unique_dim_cuda_templateIsEESt5tupleIJNS8_6TensorESD_SD_EERKSD_lbbbEUlllE1_EE10hipError_tPvRmT2_T3_mT4_P12ihipStream_tbEUlT_E_NS1_11comp_targetILNS1_3genE9ELNS1_11target_archE1100ELNS1_3gpuE3ELNS1_3repE0EEENS1_30default_config_static_selectorELNS0_4arch9wavefront6targetE1EEEvT1_ ; -- Begin function _ZN7rocprim17ROCPRIM_400000_NS6detail17trampoline_kernelINS0_14default_configENS1_35adjacent_difference_config_selectorILb1ElEEZNS1_24adjacent_difference_implIS3_Lb1ELb0EPlS7_ZN2at6native12_GLOBAL__N_124unique_dim_cuda_templateIsEESt5tupleIJNS8_6TensorESD_SD_EERKSD_lbbbEUlllE1_EE10hipError_tPvRmT2_T3_mT4_P12ihipStream_tbEUlT_E_NS1_11comp_targetILNS1_3genE9ELNS1_11target_archE1100ELNS1_3gpuE3ELNS1_3repE0EEENS1_30default_config_static_selectorELNS0_4arch9wavefront6targetE1EEEvT1_
	.p2align	8
	.type	_ZN7rocprim17ROCPRIM_400000_NS6detail17trampoline_kernelINS0_14default_configENS1_35adjacent_difference_config_selectorILb1ElEEZNS1_24adjacent_difference_implIS3_Lb1ELb0EPlS7_ZN2at6native12_GLOBAL__N_124unique_dim_cuda_templateIsEESt5tupleIJNS8_6TensorESD_SD_EERKSD_lbbbEUlllE1_EE10hipError_tPvRmT2_T3_mT4_P12ihipStream_tbEUlT_E_NS1_11comp_targetILNS1_3genE9ELNS1_11target_archE1100ELNS1_3gpuE3ELNS1_3repE0EEENS1_30default_config_static_selectorELNS0_4arch9wavefront6targetE1EEEvT1_,@function
_ZN7rocprim17ROCPRIM_400000_NS6detail17trampoline_kernelINS0_14default_configENS1_35adjacent_difference_config_selectorILb1ElEEZNS1_24adjacent_difference_implIS3_Lb1ELb0EPlS7_ZN2at6native12_GLOBAL__N_124unique_dim_cuda_templateIsEESt5tupleIJNS8_6TensorESD_SD_EERKSD_lbbbEUlllE1_EE10hipError_tPvRmT2_T3_mT4_P12ihipStream_tbEUlT_E_NS1_11comp_targetILNS1_3genE9ELNS1_11target_archE1100ELNS1_3gpuE3ELNS1_3repE0EEENS1_30default_config_static_selectorELNS0_4arch9wavefront6targetE1EEEvT1_: ; @_ZN7rocprim17ROCPRIM_400000_NS6detail17trampoline_kernelINS0_14default_configENS1_35adjacent_difference_config_selectorILb1ElEEZNS1_24adjacent_difference_implIS3_Lb1ELb0EPlS7_ZN2at6native12_GLOBAL__N_124unique_dim_cuda_templateIsEESt5tupleIJNS8_6TensorESD_SD_EERKSD_lbbbEUlllE1_EE10hipError_tPvRmT2_T3_mT4_P12ihipStream_tbEUlT_E_NS1_11comp_targetILNS1_3genE9ELNS1_11target_archE1100ELNS1_3gpuE3ELNS1_3repE0EEENS1_30default_config_static_selectorELNS0_4arch9wavefront6targetE1EEEvT1_
; %bb.0:
	.section	.rodata,"a",@progbits
	.p2align	6, 0x0
	.amdhsa_kernel _ZN7rocprim17ROCPRIM_400000_NS6detail17trampoline_kernelINS0_14default_configENS1_35adjacent_difference_config_selectorILb1ElEEZNS1_24adjacent_difference_implIS3_Lb1ELb0EPlS7_ZN2at6native12_GLOBAL__N_124unique_dim_cuda_templateIsEESt5tupleIJNS8_6TensorESD_SD_EERKSD_lbbbEUlllE1_EE10hipError_tPvRmT2_T3_mT4_P12ihipStream_tbEUlT_E_NS1_11comp_targetILNS1_3genE9ELNS1_11target_archE1100ELNS1_3gpuE3ELNS1_3repE0EEENS1_30default_config_static_selectorELNS0_4arch9wavefront6targetE1EEEvT1_
		.amdhsa_group_segment_fixed_size 0
		.amdhsa_private_segment_fixed_size 0
		.amdhsa_kernarg_size 64
		.amdhsa_user_sgpr_count 2
		.amdhsa_user_sgpr_dispatch_ptr 0
		.amdhsa_user_sgpr_queue_ptr 0
		.amdhsa_user_sgpr_kernarg_segment_ptr 1
		.amdhsa_user_sgpr_dispatch_id 0
		.amdhsa_user_sgpr_kernarg_preload_length 0
		.amdhsa_user_sgpr_kernarg_preload_offset 0
		.amdhsa_user_sgpr_private_segment_size 0
		.amdhsa_uses_dynamic_stack 0
		.amdhsa_enable_private_segment 0
		.amdhsa_system_sgpr_workgroup_id_x 1
		.amdhsa_system_sgpr_workgroup_id_y 0
		.amdhsa_system_sgpr_workgroup_id_z 0
		.amdhsa_system_sgpr_workgroup_info 0
		.amdhsa_system_vgpr_workitem_id 0
		.amdhsa_next_free_vgpr 1
		.amdhsa_next_free_sgpr 0
		.amdhsa_accum_offset 4
		.amdhsa_reserve_vcc 0
		.amdhsa_float_round_mode_32 0
		.amdhsa_float_round_mode_16_64 0
		.amdhsa_float_denorm_mode_32 3
		.amdhsa_float_denorm_mode_16_64 3
		.amdhsa_dx10_clamp 1
		.amdhsa_ieee_mode 1
		.amdhsa_fp16_overflow 0
		.amdhsa_tg_split 0
		.amdhsa_exception_fp_ieee_invalid_op 0
		.amdhsa_exception_fp_denorm_src 0
		.amdhsa_exception_fp_ieee_div_zero 0
		.amdhsa_exception_fp_ieee_overflow 0
		.amdhsa_exception_fp_ieee_underflow 0
		.amdhsa_exception_fp_ieee_inexact 0
		.amdhsa_exception_int_div_zero 0
	.end_amdhsa_kernel
	.section	.text._ZN7rocprim17ROCPRIM_400000_NS6detail17trampoline_kernelINS0_14default_configENS1_35adjacent_difference_config_selectorILb1ElEEZNS1_24adjacent_difference_implIS3_Lb1ELb0EPlS7_ZN2at6native12_GLOBAL__N_124unique_dim_cuda_templateIsEESt5tupleIJNS8_6TensorESD_SD_EERKSD_lbbbEUlllE1_EE10hipError_tPvRmT2_T3_mT4_P12ihipStream_tbEUlT_E_NS1_11comp_targetILNS1_3genE9ELNS1_11target_archE1100ELNS1_3gpuE3ELNS1_3repE0EEENS1_30default_config_static_selectorELNS0_4arch9wavefront6targetE1EEEvT1_,"axG",@progbits,_ZN7rocprim17ROCPRIM_400000_NS6detail17trampoline_kernelINS0_14default_configENS1_35adjacent_difference_config_selectorILb1ElEEZNS1_24adjacent_difference_implIS3_Lb1ELb0EPlS7_ZN2at6native12_GLOBAL__N_124unique_dim_cuda_templateIsEESt5tupleIJNS8_6TensorESD_SD_EERKSD_lbbbEUlllE1_EE10hipError_tPvRmT2_T3_mT4_P12ihipStream_tbEUlT_E_NS1_11comp_targetILNS1_3genE9ELNS1_11target_archE1100ELNS1_3gpuE3ELNS1_3repE0EEENS1_30default_config_static_selectorELNS0_4arch9wavefront6targetE1EEEvT1_,comdat
.Lfunc_end683:
	.size	_ZN7rocprim17ROCPRIM_400000_NS6detail17trampoline_kernelINS0_14default_configENS1_35adjacent_difference_config_selectorILb1ElEEZNS1_24adjacent_difference_implIS3_Lb1ELb0EPlS7_ZN2at6native12_GLOBAL__N_124unique_dim_cuda_templateIsEESt5tupleIJNS8_6TensorESD_SD_EERKSD_lbbbEUlllE1_EE10hipError_tPvRmT2_T3_mT4_P12ihipStream_tbEUlT_E_NS1_11comp_targetILNS1_3genE9ELNS1_11target_archE1100ELNS1_3gpuE3ELNS1_3repE0EEENS1_30default_config_static_selectorELNS0_4arch9wavefront6targetE1EEEvT1_, .Lfunc_end683-_ZN7rocprim17ROCPRIM_400000_NS6detail17trampoline_kernelINS0_14default_configENS1_35adjacent_difference_config_selectorILb1ElEEZNS1_24adjacent_difference_implIS3_Lb1ELb0EPlS7_ZN2at6native12_GLOBAL__N_124unique_dim_cuda_templateIsEESt5tupleIJNS8_6TensorESD_SD_EERKSD_lbbbEUlllE1_EE10hipError_tPvRmT2_T3_mT4_P12ihipStream_tbEUlT_E_NS1_11comp_targetILNS1_3genE9ELNS1_11target_archE1100ELNS1_3gpuE3ELNS1_3repE0EEENS1_30default_config_static_selectorELNS0_4arch9wavefront6targetE1EEEvT1_
                                        ; -- End function
	.set _ZN7rocprim17ROCPRIM_400000_NS6detail17trampoline_kernelINS0_14default_configENS1_35adjacent_difference_config_selectorILb1ElEEZNS1_24adjacent_difference_implIS3_Lb1ELb0EPlS7_ZN2at6native12_GLOBAL__N_124unique_dim_cuda_templateIsEESt5tupleIJNS8_6TensorESD_SD_EERKSD_lbbbEUlllE1_EE10hipError_tPvRmT2_T3_mT4_P12ihipStream_tbEUlT_E_NS1_11comp_targetILNS1_3genE9ELNS1_11target_archE1100ELNS1_3gpuE3ELNS1_3repE0EEENS1_30default_config_static_selectorELNS0_4arch9wavefront6targetE1EEEvT1_.num_vgpr, 0
	.set _ZN7rocprim17ROCPRIM_400000_NS6detail17trampoline_kernelINS0_14default_configENS1_35adjacent_difference_config_selectorILb1ElEEZNS1_24adjacent_difference_implIS3_Lb1ELb0EPlS7_ZN2at6native12_GLOBAL__N_124unique_dim_cuda_templateIsEESt5tupleIJNS8_6TensorESD_SD_EERKSD_lbbbEUlllE1_EE10hipError_tPvRmT2_T3_mT4_P12ihipStream_tbEUlT_E_NS1_11comp_targetILNS1_3genE9ELNS1_11target_archE1100ELNS1_3gpuE3ELNS1_3repE0EEENS1_30default_config_static_selectorELNS0_4arch9wavefront6targetE1EEEvT1_.num_agpr, 0
	.set _ZN7rocprim17ROCPRIM_400000_NS6detail17trampoline_kernelINS0_14default_configENS1_35adjacent_difference_config_selectorILb1ElEEZNS1_24adjacent_difference_implIS3_Lb1ELb0EPlS7_ZN2at6native12_GLOBAL__N_124unique_dim_cuda_templateIsEESt5tupleIJNS8_6TensorESD_SD_EERKSD_lbbbEUlllE1_EE10hipError_tPvRmT2_T3_mT4_P12ihipStream_tbEUlT_E_NS1_11comp_targetILNS1_3genE9ELNS1_11target_archE1100ELNS1_3gpuE3ELNS1_3repE0EEENS1_30default_config_static_selectorELNS0_4arch9wavefront6targetE1EEEvT1_.numbered_sgpr, 0
	.set _ZN7rocprim17ROCPRIM_400000_NS6detail17trampoline_kernelINS0_14default_configENS1_35adjacent_difference_config_selectorILb1ElEEZNS1_24adjacent_difference_implIS3_Lb1ELb0EPlS7_ZN2at6native12_GLOBAL__N_124unique_dim_cuda_templateIsEESt5tupleIJNS8_6TensorESD_SD_EERKSD_lbbbEUlllE1_EE10hipError_tPvRmT2_T3_mT4_P12ihipStream_tbEUlT_E_NS1_11comp_targetILNS1_3genE9ELNS1_11target_archE1100ELNS1_3gpuE3ELNS1_3repE0EEENS1_30default_config_static_selectorELNS0_4arch9wavefront6targetE1EEEvT1_.num_named_barrier, 0
	.set _ZN7rocprim17ROCPRIM_400000_NS6detail17trampoline_kernelINS0_14default_configENS1_35adjacent_difference_config_selectorILb1ElEEZNS1_24adjacent_difference_implIS3_Lb1ELb0EPlS7_ZN2at6native12_GLOBAL__N_124unique_dim_cuda_templateIsEESt5tupleIJNS8_6TensorESD_SD_EERKSD_lbbbEUlllE1_EE10hipError_tPvRmT2_T3_mT4_P12ihipStream_tbEUlT_E_NS1_11comp_targetILNS1_3genE9ELNS1_11target_archE1100ELNS1_3gpuE3ELNS1_3repE0EEENS1_30default_config_static_selectorELNS0_4arch9wavefront6targetE1EEEvT1_.private_seg_size, 0
	.set _ZN7rocprim17ROCPRIM_400000_NS6detail17trampoline_kernelINS0_14default_configENS1_35adjacent_difference_config_selectorILb1ElEEZNS1_24adjacent_difference_implIS3_Lb1ELb0EPlS7_ZN2at6native12_GLOBAL__N_124unique_dim_cuda_templateIsEESt5tupleIJNS8_6TensorESD_SD_EERKSD_lbbbEUlllE1_EE10hipError_tPvRmT2_T3_mT4_P12ihipStream_tbEUlT_E_NS1_11comp_targetILNS1_3genE9ELNS1_11target_archE1100ELNS1_3gpuE3ELNS1_3repE0EEENS1_30default_config_static_selectorELNS0_4arch9wavefront6targetE1EEEvT1_.uses_vcc, 0
	.set _ZN7rocprim17ROCPRIM_400000_NS6detail17trampoline_kernelINS0_14default_configENS1_35adjacent_difference_config_selectorILb1ElEEZNS1_24adjacent_difference_implIS3_Lb1ELb0EPlS7_ZN2at6native12_GLOBAL__N_124unique_dim_cuda_templateIsEESt5tupleIJNS8_6TensorESD_SD_EERKSD_lbbbEUlllE1_EE10hipError_tPvRmT2_T3_mT4_P12ihipStream_tbEUlT_E_NS1_11comp_targetILNS1_3genE9ELNS1_11target_archE1100ELNS1_3gpuE3ELNS1_3repE0EEENS1_30default_config_static_selectorELNS0_4arch9wavefront6targetE1EEEvT1_.uses_flat_scratch, 0
	.set _ZN7rocprim17ROCPRIM_400000_NS6detail17trampoline_kernelINS0_14default_configENS1_35adjacent_difference_config_selectorILb1ElEEZNS1_24adjacent_difference_implIS3_Lb1ELb0EPlS7_ZN2at6native12_GLOBAL__N_124unique_dim_cuda_templateIsEESt5tupleIJNS8_6TensorESD_SD_EERKSD_lbbbEUlllE1_EE10hipError_tPvRmT2_T3_mT4_P12ihipStream_tbEUlT_E_NS1_11comp_targetILNS1_3genE9ELNS1_11target_archE1100ELNS1_3gpuE3ELNS1_3repE0EEENS1_30default_config_static_selectorELNS0_4arch9wavefront6targetE1EEEvT1_.has_dyn_sized_stack, 0
	.set _ZN7rocprim17ROCPRIM_400000_NS6detail17trampoline_kernelINS0_14default_configENS1_35adjacent_difference_config_selectorILb1ElEEZNS1_24adjacent_difference_implIS3_Lb1ELb0EPlS7_ZN2at6native12_GLOBAL__N_124unique_dim_cuda_templateIsEESt5tupleIJNS8_6TensorESD_SD_EERKSD_lbbbEUlllE1_EE10hipError_tPvRmT2_T3_mT4_P12ihipStream_tbEUlT_E_NS1_11comp_targetILNS1_3genE9ELNS1_11target_archE1100ELNS1_3gpuE3ELNS1_3repE0EEENS1_30default_config_static_selectorELNS0_4arch9wavefront6targetE1EEEvT1_.has_recursion, 0
	.set _ZN7rocprim17ROCPRIM_400000_NS6detail17trampoline_kernelINS0_14default_configENS1_35adjacent_difference_config_selectorILb1ElEEZNS1_24adjacent_difference_implIS3_Lb1ELb0EPlS7_ZN2at6native12_GLOBAL__N_124unique_dim_cuda_templateIsEESt5tupleIJNS8_6TensorESD_SD_EERKSD_lbbbEUlllE1_EE10hipError_tPvRmT2_T3_mT4_P12ihipStream_tbEUlT_E_NS1_11comp_targetILNS1_3genE9ELNS1_11target_archE1100ELNS1_3gpuE3ELNS1_3repE0EEENS1_30default_config_static_selectorELNS0_4arch9wavefront6targetE1EEEvT1_.has_indirect_call, 0
	.section	.AMDGPU.csdata,"",@progbits
; Kernel info:
; codeLenInByte = 0
; TotalNumSgprs: 6
; NumVgprs: 0
; NumAgprs: 0
; TotalNumVgprs: 0
; ScratchSize: 0
; MemoryBound: 0
; FloatMode: 240
; IeeeMode: 1
; LDSByteSize: 0 bytes/workgroup (compile time only)
; SGPRBlocks: 0
; VGPRBlocks: 0
; NumSGPRsForWavesPerEU: 6
; NumVGPRsForWavesPerEU: 1
; AccumOffset: 4
; Occupancy: 8
; WaveLimiterHint : 0
; COMPUTE_PGM_RSRC2:SCRATCH_EN: 0
; COMPUTE_PGM_RSRC2:USER_SGPR: 2
; COMPUTE_PGM_RSRC2:TRAP_HANDLER: 0
; COMPUTE_PGM_RSRC2:TGID_X_EN: 1
; COMPUTE_PGM_RSRC2:TGID_Y_EN: 0
; COMPUTE_PGM_RSRC2:TGID_Z_EN: 0
; COMPUTE_PGM_RSRC2:TIDIG_COMP_CNT: 0
; COMPUTE_PGM_RSRC3_GFX90A:ACCUM_OFFSET: 0
; COMPUTE_PGM_RSRC3_GFX90A:TG_SPLIT: 0
	.section	.text._ZN7rocprim17ROCPRIM_400000_NS6detail17trampoline_kernelINS0_14default_configENS1_35adjacent_difference_config_selectorILb1ElEEZNS1_24adjacent_difference_implIS3_Lb1ELb0EPlS7_ZN2at6native12_GLOBAL__N_124unique_dim_cuda_templateIsEESt5tupleIJNS8_6TensorESD_SD_EERKSD_lbbbEUlllE1_EE10hipError_tPvRmT2_T3_mT4_P12ihipStream_tbEUlT_E_NS1_11comp_targetILNS1_3genE8ELNS1_11target_archE1030ELNS1_3gpuE2ELNS1_3repE0EEENS1_30default_config_static_selectorELNS0_4arch9wavefront6targetE1EEEvT1_,"axG",@progbits,_ZN7rocprim17ROCPRIM_400000_NS6detail17trampoline_kernelINS0_14default_configENS1_35adjacent_difference_config_selectorILb1ElEEZNS1_24adjacent_difference_implIS3_Lb1ELb0EPlS7_ZN2at6native12_GLOBAL__N_124unique_dim_cuda_templateIsEESt5tupleIJNS8_6TensorESD_SD_EERKSD_lbbbEUlllE1_EE10hipError_tPvRmT2_T3_mT4_P12ihipStream_tbEUlT_E_NS1_11comp_targetILNS1_3genE8ELNS1_11target_archE1030ELNS1_3gpuE2ELNS1_3repE0EEENS1_30default_config_static_selectorELNS0_4arch9wavefront6targetE1EEEvT1_,comdat
	.globl	_ZN7rocprim17ROCPRIM_400000_NS6detail17trampoline_kernelINS0_14default_configENS1_35adjacent_difference_config_selectorILb1ElEEZNS1_24adjacent_difference_implIS3_Lb1ELb0EPlS7_ZN2at6native12_GLOBAL__N_124unique_dim_cuda_templateIsEESt5tupleIJNS8_6TensorESD_SD_EERKSD_lbbbEUlllE1_EE10hipError_tPvRmT2_T3_mT4_P12ihipStream_tbEUlT_E_NS1_11comp_targetILNS1_3genE8ELNS1_11target_archE1030ELNS1_3gpuE2ELNS1_3repE0EEENS1_30default_config_static_selectorELNS0_4arch9wavefront6targetE1EEEvT1_ ; -- Begin function _ZN7rocprim17ROCPRIM_400000_NS6detail17trampoline_kernelINS0_14default_configENS1_35adjacent_difference_config_selectorILb1ElEEZNS1_24adjacent_difference_implIS3_Lb1ELb0EPlS7_ZN2at6native12_GLOBAL__N_124unique_dim_cuda_templateIsEESt5tupleIJNS8_6TensorESD_SD_EERKSD_lbbbEUlllE1_EE10hipError_tPvRmT2_T3_mT4_P12ihipStream_tbEUlT_E_NS1_11comp_targetILNS1_3genE8ELNS1_11target_archE1030ELNS1_3gpuE2ELNS1_3repE0EEENS1_30default_config_static_selectorELNS0_4arch9wavefront6targetE1EEEvT1_
	.p2align	8
	.type	_ZN7rocprim17ROCPRIM_400000_NS6detail17trampoline_kernelINS0_14default_configENS1_35adjacent_difference_config_selectorILb1ElEEZNS1_24adjacent_difference_implIS3_Lb1ELb0EPlS7_ZN2at6native12_GLOBAL__N_124unique_dim_cuda_templateIsEESt5tupleIJNS8_6TensorESD_SD_EERKSD_lbbbEUlllE1_EE10hipError_tPvRmT2_T3_mT4_P12ihipStream_tbEUlT_E_NS1_11comp_targetILNS1_3genE8ELNS1_11target_archE1030ELNS1_3gpuE2ELNS1_3repE0EEENS1_30default_config_static_selectorELNS0_4arch9wavefront6targetE1EEEvT1_,@function
_ZN7rocprim17ROCPRIM_400000_NS6detail17trampoline_kernelINS0_14default_configENS1_35adjacent_difference_config_selectorILb1ElEEZNS1_24adjacent_difference_implIS3_Lb1ELb0EPlS7_ZN2at6native12_GLOBAL__N_124unique_dim_cuda_templateIsEESt5tupleIJNS8_6TensorESD_SD_EERKSD_lbbbEUlllE1_EE10hipError_tPvRmT2_T3_mT4_P12ihipStream_tbEUlT_E_NS1_11comp_targetILNS1_3genE8ELNS1_11target_archE1030ELNS1_3gpuE2ELNS1_3repE0EEENS1_30default_config_static_selectorELNS0_4arch9wavefront6targetE1EEEvT1_: ; @_ZN7rocprim17ROCPRIM_400000_NS6detail17trampoline_kernelINS0_14default_configENS1_35adjacent_difference_config_selectorILb1ElEEZNS1_24adjacent_difference_implIS3_Lb1ELb0EPlS7_ZN2at6native12_GLOBAL__N_124unique_dim_cuda_templateIsEESt5tupleIJNS8_6TensorESD_SD_EERKSD_lbbbEUlllE1_EE10hipError_tPvRmT2_T3_mT4_P12ihipStream_tbEUlT_E_NS1_11comp_targetILNS1_3genE8ELNS1_11target_archE1030ELNS1_3gpuE2ELNS1_3repE0EEENS1_30default_config_static_selectorELNS0_4arch9wavefront6targetE1EEEvT1_
; %bb.0:
	.section	.rodata,"a",@progbits
	.p2align	6, 0x0
	.amdhsa_kernel _ZN7rocprim17ROCPRIM_400000_NS6detail17trampoline_kernelINS0_14default_configENS1_35adjacent_difference_config_selectorILb1ElEEZNS1_24adjacent_difference_implIS3_Lb1ELb0EPlS7_ZN2at6native12_GLOBAL__N_124unique_dim_cuda_templateIsEESt5tupleIJNS8_6TensorESD_SD_EERKSD_lbbbEUlllE1_EE10hipError_tPvRmT2_T3_mT4_P12ihipStream_tbEUlT_E_NS1_11comp_targetILNS1_3genE8ELNS1_11target_archE1030ELNS1_3gpuE2ELNS1_3repE0EEENS1_30default_config_static_selectorELNS0_4arch9wavefront6targetE1EEEvT1_
		.amdhsa_group_segment_fixed_size 0
		.amdhsa_private_segment_fixed_size 0
		.amdhsa_kernarg_size 64
		.amdhsa_user_sgpr_count 2
		.amdhsa_user_sgpr_dispatch_ptr 0
		.amdhsa_user_sgpr_queue_ptr 0
		.amdhsa_user_sgpr_kernarg_segment_ptr 1
		.amdhsa_user_sgpr_dispatch_id 0
		.amdhsa_user_sgpr_kernarg_preload_length 0
		.amdhsa_user_sgpr_kernarg_preload_offset 0
		.amdhsa_user_sgpr_private_segment_size 0
		.amdhsa_uses_dynamic_stack 0
		.amdhsa_enable_private_segment 0
		.amdhsa_system_sgpr_workgroup_id_x 1
		.amdhsa_system_sgpr_workgroup_id_y 0
		.amdhsa_system_sgpr_workgroup_id_z 0
		.amdhsa_system_sgpr_workgroup_info 0
		.amdhsa_system_vgpr_workitem_id 0
		.amdhsa_next_free_vgpr 1
		.amdhsa_next_free_sgpr 0
		.amdhsa_accum_offset 4
		.amdhsa_reserve_vcc 0
		.amdhsa_float_round_mode_32 0
		.amdhsa_float_round_mode_16_64 0
		.amdhsa_float_denorm_mode_32 3
		.amdhsa_float_denorm_mode_16_64 3
		.amdhsa_dx10_clamp 1
		.amdhsa_ieee_mode 1
		.amdhsa_fp16_overflow 0
		.amdhsa_tg_split 0
		.amdhsa_exception_fp_ieee_invalid_op 0
		.amdhsa_exception_fp_denorm_src 0
		.amdhsa_exception_fp_ieee_div_zero 0
		.amdhsa_exception_fp_ieee_overflow 0
		.amdhsa_exception_fp_ieee_underflow 0
		.amdhsa_exception_fp_ieee_inexact 0
		.amdhsa_exception_int_div_zero 0
	.end_amdhsa_kernel
	.section	.text._ZN7rocprim17ROCPRIM_400000_NS6detail17trampoline_kernelINS0_14default_configENS1_35adjacent_difference_config_selectorILb1ElEEZNS1_24adjacent_difference_implIS3_Lb1ELb0EPlS7_ZN2at6native12_GLOBAL__N_124unique_dim_cuda_templateIsEESt5tupleIJNS8_6TensorESD_SD_EERKSD_lbbbEUlllE1_EE10hipError_tPvRmT2_T3_mT4_P12ihipStream_tbEUlT_E_NS1_11comp_targetILNS1_3genE8ELNS1_11target_archE1030ELNS1_3gpuE2ELNS1_3repE0EEENS1_30default_config_static_selectorELNS0_4arch9wavefront6targetE1EEEvT1_,"axG",@progbits,_ZN7rocprim17ROCPRIM_400000_NS6detail17trampoline_kernelINS0_14default_configENS1_35adjacent_difference_config_selectorILb1ElEEZNS1_24adjacent_difference_implIS3_Lb1ELb0EPlS7_ZN2at6native12_GLOBAL__N_124unique_dim_cuda_templateIsEESt5tupleIJNS8_6TensorESD_SD_EERKSD_lbbbEUlllE1_EE10hipError_tPvRmT2_T3_mT4_P12ihipStream_tbEUlT_E_NS1_11comp_targetILNS1_3genE8ELNS1_11target_archE1030ELNS1_3gpuE2ELNS1_3repE0EEENS1_30default_config_static_selectorELNS0_4arch9wavefront6targetE1EEEvT1_,comdat
.Lfunc_end684:
	.size	_ZN7rocprim17ROCPRIM_400000_NS6detail17trampoline_kernelINS0_14default_configENS1_35adjacent_difference_config_selectorILb1ElEEZNS1_24adjacent_difference_implIS3_Lb1ELb0EPlS7_ZN2at6native12_GLOBAL__N_124unique_dim_cuda_templateIsEESt5tupleIJNS8_6TensorESD_SD_EERKSD_lbbbEUlllE1_EE10hipError_tPvRmT2_T3_mT4_P12ihipStream_tbEUlT_E_NS1_11comp_targetILNS1_3genE8ELNS1_11target_archE1030ELNS1_3gpuE2ELNS1_3repE0EEENS1_30default_config_static_selectorELNS0_4arch9wavefront6targetE1EEEvT1_, .Lfunc_end684-_ZN7rocprim17ROCPRIM_400000_NS6detail17trampoline_kernelINS0_14default_configENS1_35adjacent_difference_config_selectorILb1ElEEZNS1_24adjacent_difference_implIS3_Lb1ELb0EPlS7_ZN2at6native12_GLOBAL__N_124unique_dim_cuda_templateIsEESt5tupleIJNS8_6TensorESD_SD_EERKSD_lbbbEUlllE1_EE10hipError_tPvRmT2_T3_mT4_P12ihipStream_tbEUlT_E_NS1_11comp_targetILNS1_3genE8ELNS1_11target_archE1030ELNS1_3gpuE2ELNS1_3repE0EEENS1_30default_config_static_selectorELNS0_4arch9wavefront6targetE1EEEvT1_
                                        ; -- End function
	.set _ZN7rocprim17ROCPRIM_400000_NS6detail17trampoline_kernelINS0_14default_configENS1_35adjacent_difference_config_selectorILb1ElEEZNS1_24adjacent_difference_implIS3_Lb1ELb0EPlS7_ZN2at6native12_GLOBAL__N_124unique_dim_cuda_templateIsEESt5tupleIJNS8_6TensorESD_SD_EERKSD_lbbbEUlllE1_EE10hipError_tPvRmT2_T3_mT4_P12ihipStream_tbEUlT_E_NS1_11comp_targetILNS1_3genE8ELNS1_11target_archE1030ELNS1_3gpuE2ELNS1_3repE0EEENS1_30default_config_static_selectorELNS0_4arch9wavefront6targetE1EEEvT1_.num_vgpr, 0
	.set _ZN7rocprim17ROCPRIM_400000_NS6detail17trampoline_kernelINS0_14default_configENS1_35adjacent_difference_config_selectorILb1ElEEZNS1_24adjacent_difference_implIS3_Lb1ELb0EPlS7_ZN2at6native12_GLOBAL__N_124unique_dim_cuda_templateIsEESt5tupleIJNS8_6TensorESD_SD_EERKSD_lbbbEUlllE1_EE10hipError_tPvRmT2_T3_mT4_P12ihipStream_tbEUlT_E_NS1_11comp_targetILNS1_3genE8ELNS1_11target_archE1030ELNS1_3gpuE2ELNS1_3repE0EEENS1_30default_config_static_selectorELNS0_4arch9wavefront6targetE1EEEvT1_.num_agpr, 0
	.set _ZN7rocprim17ROCPRIM_400000_NS6detail17trampoline_kernelINS0_14default_configENS1_35adjacent_difference_config_selectorILb1ElEEZNS1_24adjacent_difference_implIS3_Lb1ELb0EPlS7_ZN2at6native12_GLOBAL__N_124unique_dim_cuda_templateIsEESt5tupleIJNS8_6TensorESD_SD_EERKSD_lbbbEUlllE1_EE10hipError_tPvRmT2_T3_mT4_P12ihipStream_tbEUlT_E_NS1_11comp_targetILNS1_3genE8ELNS1_11target_archE1030ELNS1_3gpuE2ELNS1_3repE0EEENS1_30default_config_static_selectorELNS0_4arch9wavefront6targetE1EEEvT1_.numbered_sgpr, 0
	.set _ZN7rocprim17ROCPRIM_400000_NS6detail17trampoline_kernelINS0_14default_configENS1_35adjacent_difference_config_selectorILb1ElEEZNS1_24adjacent_difference_implIS3_Lb1ELb0EPlS7_ZN2at6native12_GLOBAL__N_124unique_dim_cuda_templateIsEESt5tupleIJNS8_6TensorESD_SD_EERKSD_lbbbEUlllE1_EE10hipError_tPvRmT2_T3_mT4_P12ihipStream_tbEUlT_E_NS1_11comp_targetILNS1_3genE8ELNS1_11target_archE1030ELNS1_3gpuE2ELNS1_3repE0EEENS1_30default_config_static_selectorELNS0_4arch9wavefront6targetE1EEEvT1_.num_named_barrier, 0
	.set _ZN7rocprim17ROCPRIM_400000_NS6detail17trampoline_kernelINS0_14default_configENS1_35adjacent_difference_config_selectorILb1ElEEZNS1_24adjacent_difference_implIS3_Lb1ELb0EPlS7_ZN2at6native12_GLOBAL__N_124unique_dim_cuda_templateIsEESt5tupleIJNS8_6TensorESD_SD_EERKSD_lbbbEUlllE1_EE10hipError_tPvRmT2_T3_mT4_P12ihipStream_tbEUlT_E_NS1_11comp_targetILNS1_3genE8ELNS1_11target_archE1030ELNS1_3gpuE2ELNS1_3repE0EEENS1_30default_config_static_selectorELNS0_4arch9wavefront6targetE1EEEvT1_.private_seg_size, 0
	.set _ZN7rocprim17ROCPRIM_400000_NS6detail17trampoline_kernelINS0_14default_configENS1_35adjacent_difference_config_selectorILb1ElEEZNS1_24adjacent_difference_implIS3_Lb1ELb0EPlS7_ZN2at6native12_GLOBAL__N_124unique_dim_cuda_templateIsEESt5tupleIJNS8_6TensorESD_SD_EERKSD_lbbbEUlllE1_EE10hipError_tPvRmT2_T3_mT4_P12ihipStream_tbEUlT_E_NS1_11comp_targetILNS1_3genE8ELNS1_11target_archE1030ELNS1_3gpuE2ELNS1_3repE0EEENS1_30default_config_static_selectorELNS0_4arch9wavefront6targetE1EEEvT1_.uses_vcc, 0
	.set _ZN7rocprim17ROCPRIM_400000_NS6detail17trampoline_kernelINS0_14default_configENS1_35adjacent_difference_config_selectorILb1ElEEZNS1_24adjacent_difference_implIS3_Lb1ELb0EPlS7_ZN2at6native12_GLOBAL__N_124unique_dim_cuda_templateIsEESt5tupleIJNS8_6TensorESD_SD_EERKSD_lbbbEUlllE1_EE10hipError_tPvRmT2_T3_mT4_P12ihipStream_tbEUlT_E_NS1_11comp_targetILNS1_3genE8ELNS1_11target_archE1030ELNS1_3gpuE2ELNS1_3repE0EEENS1_30default_config_static_selectorELNS0_4arch9wavefront6targetE1EEEvT1_.uses_flat_scratch, 0
	.set _ZN7rocprim17ROCPRIM_400000_NS6detail17trampoline_kernelINS0_14default_configENS1_35adjacent_difference_config_selectorILb1ElEEZNS1_24adjacent_difference_implIS3_Lb1ELb0EPlS7_ZN2at6native12_GLOBAL__N_124unique_dim_cuda_templateIsEESt5tupleIJNS8_6TensorESD_SD_EERKSD_lbbbEUlllE1_EE10hipError_tPvRmT2_T3_mT4_P12ihipStream_tbEUlT_E_NS1_11comp_targetILNS1_3genE8ELNS1_11target_archE1030ELNS1_3gpuE2ELNS1_3repE0EEENS1_30default_config_static_selectorELNS0_4arch9wavefront6targetE1EEEvT1_.has_dyn_sized_stack, 0
	.set _ZN7rocprim17ROCPRIM_400000_NS6detail17trampoline_kernelINS0_14default_configENS1_35adjacent_difference_config_selectorILb1ElEEZNS1_24adjacent_difference_implIS3_Lb1ELb0EPlS7_ZN2at6native12_GLOBAL__N_124unique_dim_cuda_templateIsEESt5tupleIJNS8_6TensorESD_SD_EERKSD_lbbbEUlllE1_EE10hipError_tPvRmT2_T3_mT4_P12ihipStream_tbEUlT_E_NS1_11comp_targetILNS1_3genE8ELNS1_11target_archE1030ELNS1_3gpuE2ELNS1_3repE0EEENS1_30default_config_static_selectorELNS0_4arch9wavefront6targetE1EEEvT1_.has_recursion, 0
	.set _ZN7rocprim17ROCPRIM_400000_NS6detail17trampoline_kernelINS0_14default_configENS1_35adjacent_difference_config_selectorILb1ElEEZNS1_24adjacent_difference_implIS3_Lb1ELb0EPlS7_ZN2at6native12_GLOBAL__N_124unique_dim_cuda_templateIsEESt5tupleIJNS8_6TensorESD_SD_EERKSD_lbbbEUlllE1_EE10hipError_tPvRmT2_T3_mT4_P12ihipStream_tbEUlT_E_NS1_11comp_targetILNS1_3genE8ELNS1_11target_archE1030ELNS1_3gpuE2ELNS1_3repE0EEENS1_30default_config_static_selectorELNS0_4arch9wavefront6targetE1EEEvT1_.has_indirect_call, 0
	.section	.AMDGPU.csdata,"",@progbits
; Kernel info:
; codeLenInByte = 0
; TotalNumSgprs: 6
; NumVgprs: 0
; NumAgprs: 0
; TotalNumVgprs: 0
; ScratchSize: 0
; MemoryBound: 0
; FloatMode: 240
; IeeeMode: 1
; LDSByteSize: 0 bytes/workgroup (compile time only)
; SGPRBlocks: 0
; VGPRBlocks: 0
; NumSGPRsForWavesPerEU: 6
; NumVGPRsForWavesPerEU: 1
; AccumOffset: 4
; Occupancy: 8
; WaveLimiterHint : 0
; COMPUTE_PGM_RSRC2:SCRATCH_EN: 0
; COMPUTE_PGM_RSRC2:USER_SGPR: 2
; COMPUTE_PGM_RSRC2:TRAP_HANDLER: 0
; COMPUTE_PGM_RSRC2:TGID_X_EN: 1
; COMPUTE_PGM_RSRC2:TGID_Y_EN: 0
; COMPUTE_PGM_RSRC2:TGID_Z_EN: 0
; COMPUTE_PGM_RSRC2:TIDIG_COMP_CNT: 0
; COMPUTE_PGM_RSRC3_GFX90A:ACCUM_OFFSET: 0
; COMPUTE_PGM_RSRC3_GFX90A:TG_SPLIT: 0
	.section	.text._ZN7rocprim17ROCPRIM_400000_NS6detail17trampoline_kernelINS0_14default_configENS1_25partition_config_selectorILNS1_17partition_subalgoE8ElNS0_10empty_typeEbEEZZNS1_14partition_implILS5_8ELb0ES3_jPlPS6_PKS6_NS0_5tupleIJS9_S6_EEENSD_IJSA_SA_EEENS0_18inequality_wrapperIZN2at6native12_GLOBAL__N_124unique_dim_cuda_templateIsEESt5tupleIJNSH_6TensorESM_SM_EERKSM_lbbbEUlllE0_EEPmJS6_EEE10hipError_tPvRmT3_T4_T5_T6_T7_T9_mT8_P12ihipStream_tbDpT10_ENKUlT_T0_E_clISt17integral_constantIbLb0EES1C_EEDaS17_S18_EUlS17_E_NS1_11comp_targetILNS1_3genE0ELNS1_11target_archE4294967295ELNS1_3gpuE0ELNS1_3repE0EEENS1_30default_config_static_selectorELNS0_4arch9wavefront6targetE1EEEvT1_,"axG",@progbits,_ZN7rocprim17ROCPRIM_400000_NS6detail17trampoline_kernelINS0_14default_configENS1_25partition_config_selectorILNS1_17partition_subalgoE8ElNS0_10empty_typeEbEEZZNS1_14partition_implILS5_8ELb0ES3_jPlPS6_PKS6_NS0_5tupleIJS9_S6_EEENSD_IJSA_SA_EEENS0_18inequality_wrapperIZN2at6native12_GLOBAL__N_124unique_dim_cuda_templateIsEESt5tupleIJNSH_6TensorESM_SM_EERKSM_lbbbEUlllE0_EEPmJS6_EEE10hipError_tPvRmT3_T4_T5_T6_T7_T9_mT8_P12ihipStream_tbDpT10_ENKUlT_T0_E_clISt17integral_constantIbLb0EES1C_EEDaS17_S18_EUlS17_E_NS1_11comp_targetILNS1_3genE0ELNS1_11target_archE4294967295ELNS1_3gpuE0ELNS1_3repE0EEENS1_30default_config_static_selectorELNS0_4arch9wavefront6targetE1EEEvT1_,comdat
	.globl	_ZN7rocprim17ROCPRIM_400000_NS6detail17trampoline_kernelINS0_14default_configENS1_25partition_config_selectorILNS1_17partition_subalgoE8ElNS0_10empty_typeEbEEZZNS1_14partition_implILS5_8ELb0ES3_jPlPS6_PKS6_NS0_5tupleIJS9_S6_EEENSD_IJSA_SA_EEENS0_18inequality_wrapperIZN2at6native12_GLOBAL__N_124unique_dim_cuda_templateIsEESt5tupleIJNSH_6TensorESM_SM_EERKSM_lbbbEUlllE0_EEPmJS6_EEE10hipError_tPvRmT3_T4_T5_T6_T7_T9_mT8_P12ihipStream_tbDpT10_ENKUlT_T0_E_clISt17integral_constantIbLb0EES1C_EEDaS17_S18_EUlS17_E_NS1_11comp_targetILNS1_3genE0ELNS1_11target_archE4294967295ELNS1_3gpuE0ELNS1_3repE0EEENS1_30default_config_static_selectorELNS0_4arch9wavefront6targetE1EEEvT1_ ; -- Begin function _ZN7rocprim17ROCPRIM_400000_NS6detail17trampoline_kernelINS0_14default_configENS1_25partition_config_selectorILNS1_17partition_subalgoE8ElNS0_10empty_typeEbEEZZNS1_14partition_implILS5_8ELb0ES3_jPlPS6_PKS6_NS0_5tupleIJS9_S6_EEENSD_IJSA_SA_EEENS0_18inequality_wrapperIZN2at6native12_GLOBAL__N_124unique_dim_cuda_templateIsEESt5tupleIJNSH_6TensorESM_SM_EERKSM_lbbbEUlllE0_EEPmJS6_EEE10hipError_tPvRmT3_T4_T5_T6_T7_T9_mT8_P12ihipStream_tbDpT10_ENKUlT_T0_E_clISt17integral_constantIbLb0EES1C_EEDaS17_S18_EUlS17_E_NS1_11comp_targetILNS1_3genE0ELNS1_11target_archE4294967295ELNS1_3gpuE0ELNS1_3repE0EEENS1_30default_config_static_selectorELNS0_4arch9wavefront6targetE1EEEvT1_
	.p2align	8
	.type	_ZN7rocprim17ROCPRIM_400000_NS6detail17trampoline_kernelINS0_14default_configENS1_25partition_config_selectorILNS1_17partition_subalgoE8ElNS0_10empty_typeEbEEZZNS1_14partition_implILS5_8ELb0ES3_jPlPS6_PKS6_NS0_5tupleIJS9_S6_EEENSD_IJSA_SA_EEENS0_18inequality_wrapperIZN2at6native12_GLOBAL__N_124unique_dim_cuda_templateIsEESt5tupleIJNSH_6TensorESM_SM_EERKSM_lbbbEUlllE0_EEPmJS6_EEE10hipError_tPvRmT3_T4_T5_T6_T7_T9_mT8_P12ihipStream_tbDpT10_ENKUlT_T0_E_clISt17integral_constantIbLb0EES1C_EEDaS17_S18_EUlS17_E_NS1_11comp_targetILNS1_3genE0ELNS1_11target_archE4294967295ELNS1_3gpuE0ELNS1_3repE0EEENS1_30default_config_static_selectorELNS0_4arch9wavefront6targetE1EEEvT1_,@function
_ZN7rocprim17ROCPRIM_400000_NS6detail17trampoline_kernelINS0_14default_configENS1_25partition_config_selectorILNS1_17partition_subalgoE8ElNS0_10empty_typeEbEEZZNS1_14partition_implILS5_8ELb0ES3_jPlPS6_PKS6_NS0_5tupleIJS9_S6_EEENSD_IJSA_SA_EEENS0_18inequality_wrapperIZN2at6native12_GLOBAL__N_124unique_dim_cuda_templateIsEESt5tupleIJNSH_6TensorESM_SM_EERKSM_lbbbEUlllE0_EEPmJS6_EEE10hipError_tPvRmT3_T4_T5_T6_T7_T9_mT8_P12ihipStream_tbDpT10_ENKUlT_T0_E_clISt17integral_constantIbLb0EES1C_EEDaS17_S18_EUlS17_E_NS1_11comp_targetILNS1_3genE0ELNS1_11target_archE4294967295ELNS1_3gpuE0ELNS1_3repE0EEENS1_30default_config_static_selectorELNS0_4arch9wavefront6targetE1EEEvT1_: ; @_ZN7rocprim17ROCPRIM_400000_NS6detail17trampoline_kernelINS0_14default_configENS1_25partition_config_selectorILNS1_17partition_subalgoE8ElNS0_10empty_typeEbEEZZNS1_14partition_implILS5_8ELb0ES3_jPlPS6_PKS6_NS0_5tupleIJS9_S6_EEENSD_IJSA_SA_EEENS0_18inequality_wrapperIZN2at6native12_GLOBAL__N_124unique_dim_cuda_templateIsEESt5tupleIJNSH_6TensorESM_SM_EERKSM_lbbbEUlllE0_EEPmJS6_EEE10hipError_tPvRmT3_T4_T5_T6_T7_T9_mT8_P12ihipStream_tbDpT10_ENKUlT_T0_E_clISt17integral_constantIbLb0EES1C_EEDaS17_S18_EUlS17_E_NS1_11comp_targetILNS1_3genE0ELNS1_11target_archE4294967295ELNS1_3gpuE0ELNS1_3repE0EEENS1_30default_config_static_selectorELNS0_4arch9wavefront6targetE1EEEvT1_
; %bb.0:
	s_load_dwordx4 s[4:7], s[0:1], 0x8
	s_load_dwordx8 s[24:31], s[0:1], 0x40
	s_load_dwordx4 s[20:23], s[0:1], 0x60
	s_load_dword s3, s[0:1], 0x70
	v_lshlrev_b32_e32 v18, 3, v0
	s_waitcnt lgkmcnt(0)
	s_lshl_b64 s[8:9], s[6:7], 3
	s_add_u32 s12, s4, s8
	s_addc_u32 s13, s5, s9
	s_mul_i32 s8, s3, 0xe00
	s_add_i32 s10, s3, -1
	s_add_i32 s3, s8, s6
	s_sub_i32 s3, s28, s3
	s_add_u32 s8, s6, s8
	s_addc_u32 s9, s7, 0
	v_mov_b64_e32 v[2:3], s[8:9]
	s_cmp_eq_u32 s2, s10
	s_load_dwordx2 s[26:27], s[26:27], 0x0
	v_cmp_le_u64_e32 vcc, s[28:29], v[2:3]
	s_cselect_b64 s[28:29], -1, 0
	s_mul_i32 s4, s2, 0xe00
	s_mov_b32 s5, 0
	s_and_b64 s[8:9], s[28:29], vcc
	s_xor_b64 s[34:35], s[8:9], -1
	s_lshl_b64 s[4:5], s[4:5], 3
	s_add_u32 s4, s12, s4
	s_mov_b64 s[10:11], -1
	s_addc_u32 s5, s13, s5
	s_and_b64 vcc, exec, s[34:35]
	s_cbranch_vccz .LBB685_2
; %bb.1:
	v_lshlrev_b32_e32 v2, 3, v0
	v_mov_b32_e32 v3, 0
	v_lshl_add_u64 v[4:5], s[4:5], 0, v[2:3]
	v_add_co_u32_e32 v8, vcc, 0x1000, v4
	global_load_dwordx2 v[6:7], v2, s[4:5]
	s_nop 0
	v_addc_co_u32_e32 v9, vcc, 0, v5, vcc
	v_add_co_u32_e32 v10, vcc, 0x2000, v4
	s_mov_b64 s[10:11], 0
	s_nop 0
	v_addc_co_u32_e32 v11, vcc, 0, v5, vcc
	v_add_co_u32_e32 v12, vcc, 0x3000, v4
	s_nop 1
	v_addc_co_u32_e32 v13, vcc, 0, v5, vcc
	v_add_co_u32_e32 v14, vcc, 0x4000, v4
	s_nop 1
	v_addc_co_u32_e32 v15, vcc, 0, v5, vcc
	global_load_dwordx2 v[16:17], v[8:9], off
	global_load_dwordx2 v[20:21], v[10:11], off
	;; [unrolled: 1-line block ×4, first 2 shown]
	v_add_co_u32_e32 v8, vcc, 0x5000, v4
	s_nop 1
	v_addc_co_u32_e32 v9, vcc, 0, v5, vcc
	v_add_co_u32_e32 v4, vcc, 0x6000, v4
	s_nop 1
	v_addc_co_u32_e32 v5, vcc, 0, v5, vcc
	global_load_dwordx2 v[10:11], v[8:9], off
	global_load_dwordx2 v[12:13], v[4:5], off
	s_waitcnt vmcnt(5)
	ds_write2st64_b64 v2, v[6:7], v[16:17] offset1:8
	s_waitcnt vmcnt(3)
	ds_write2st64_b64 v2, v[20:21], v[22:23] offset0:16 offset1:24
	s_waitcnt vmcnt(1)
	ds_write2st64_b64 v2, v[24:25], v[10:11] offset0:32 offset1:40
	s_waitcnt vmcnt(0)
	ds_write_b64 v2, v[12:13] offset:24576
	s_waitcnt lgkmcnt(0)
	s_barrier
.LBB685_2:
	s_andn2_b64 vcc, exec, s[10:11]
	s_addk_i32 s3, 0xe00
	s_cbranch_vccnz .LBB685_18
; %bb.3:
	v_mov_b32_e32 v2, 0
	v_cmp_gt_u32_e32 vcc, s3, v0
	v_mov_b32_e32 v3, v2
	v_mov_b32_e32 v4, v2
	;; [unrolled: 1-line block ×13, first 2 shown]
	s_and_saveexec_b64 s[10:11], vcc
	s_cbranch_execz .LBB685_5
; %bb.4:
	v_lshlrev_b32_e32 v1, 3, v0
	global_load_dwordx2 v[4:5], v1, s[4:5]
	v_mov_b32_e32 v6, v2
	v_mov_b32_e32 v7, v2
	;; [unrolled: 1-line block ×12, first 2 shown]
	s_waitcnt vmcnt(0)
	v_mov_b64_e32 v[2:3], v[4:5]
	v_mov_b64_e32 v[4:5], v[6:7]
	;; [unrolled: 1-line block ×8, first 2 shown]
.LBB685_5:
	s_or_b64 exec, exec, s[10:11]
	v_or_b32_e32 v1, 0x200, v0
	v_cmp_gt_u32_e32 vcc, s3, v1
	s_and_saveexec_b64 s[10:11], vcc
	s_cbranch_execz .LBB685_7
; %bb.6:
	v_lshlrev_b32_e32 v1, 3, v1
	global_load_dwordx2 v[4:5], v1, s[4:5]
.LBB685_7:
	s_or_b64 exec, exec, s[10:11]
	v_or_b32_e32 v1, 0x400, v0
	v_cmp_gt_u32_e32 vcc, s3, v1
	s_and_saveexec_b64 s[10:11], vcc
	s_cbranch_execz .LBB685_9
; %bb.8:
	v_lshlrev_b32_e32 v1, 3, v1
	global_load_dwordx2 v[6:7], v1, s[4:5]
.LBB685_9:
	;; [unrolled: 9-line block ×6, first 2 shown]
	s_or_b64 exec, exec, s[10:11]
	v_lshlrev_b32_e32 v1, 3, v0
	s_waitcnt vmcnt(0)
	ds_write2st64_b64 v1, v[2:3], v[4:5] offset1:8
	ds_write2st64_b64 v1, v[6:7], v[8:9] offset0:16 offset1:24
	ds_write2st64_b64 v1, v[10:11], v[12:13] offset0:32 offset1:40
	ds_write_b64 v1, v[14:15] offset:24576
	s_waitcnt lgkmcnt(0)
	s_barrier
.LBB685_18:
	v_mul_u32_u24_e32 v1, 7, v0
	v_lshlrev_b32_e32 v24, 3, v1
	s_waitcnt lgkmcnt(0)
	ds_read2_b64 v[10:13], v24 offset1:1
	ds_read2_b64 v[6:9], v24 offset0:2 offset1:3
	ds_read2_b64 v[2:5], v24 offset0:4 offset1:5
	ds_read_b64 v[14:15], v24 offset:48
	s_cmp_lg_u32 s2, 0
	s_cselect_b64 s[16:17], -1, 0
	s_cmp_lg_u64 s[6:7], 0
	s_cselect_b64 s[6:7], -1, 0
	s_or_b64 s[6:7], s[16:17], s[6:7]
	s_mov_b64 s[10:11], 0
	s_and_b64 vcc, exec, s[6:7]
	v_cmp_gt_i64_e64 s[12:13], s[30:31], 0
	s_waitcnt lgkmcnt(0)
	s_barrier
	s_cbranch_vccz .LBB685_34
; %bb.19:
	s_add_u32 s4, s4, -8
	s_addc_u32 s5, s5, -1
	s_load_dwordx2 s[10:11], s[4:5], 0x0
	v_cndmask_b32_e64 v16, 0, 1, s[12:13]
	v_lshlrev_b32_e32 v25, 3, v0
	s_mov_b64 s[6:7], 0
	s_and_b64 vcc, exec, s[34:35]
	v_cmp_ne_u32_e64 s[4:5], 1, v16
	ds_write_b64 v25, v[14:15]
	s_cbranch_vccz .LBB685_36
; %bb.20:
	s_and_b64 vcc, exec, s[4:5]
	s_cbranch_vccnz .LBB685_37
; %bb.21:
	v_mul_lo_u32 v19, v5, s30
	v_mul_lo_u32 v20, v4, s31
	v_mad_u64_u32 v[16:17], s[6:7], v4, s30, 0
	v_add3_u32 v17, v17, v20, v19
	v_mul_lo_u32 v19, v15, s30
	v_mul_lo_u32 v22, v14, s31
	v_mad_u64_u32 v[20:21], s[6:7], v14, s30, 0
	s_add_u32 s14, s30, -1
	v_lshl_add_u64 v[16:17], v[16:17], 1, s[20:21]
	v_add3_u32 v21, v21, v22, v19
	s_addc_u32 s15, s31, -1
	v_lshl_add_u64 v[20:21], v[20:21], 1, s[20:21]
	s_mov_b64 s[18:19], 0
	s_mov_b64 s[36:37], s[14:15]
	v_mov_b64_e32 v[22:23], v[16:17]
                                        ; implicit-def: $sgpr12_sgpr13
.LBB685_22:                             ; =>This Inner Loop Header: Depth=1
	global_load_ushort v19, v[22:23], off
	global_load_ushort v26, v[20:21], off
	s_add_u32 s6, s36, -1
	s_addc_u32 s7, s37, -1
	s_cmp_eq_u64 s[36:37], 0
	s_mov_b64 s[36:37], s[6:7]
	s_cselect_b64 s[38:39], -1, 0
	v_lshl_add_u64 v[22:23], v[22:23], 0, 2
	v_lshl_add_u64 v[20:21], v[20:21], 0, 2
	s_waitcnt vmcnt(0)
	v_cmp_ne_u16_e64 s[6:7], v19, v26
	s_or_b64 s[6:7], s[6:7], s[38:39]
	s_and_b64 s[6:7], exec, s[6:7]
	v_cmp_eq_u16_e32 vcc, v19, v26
	s_or_b64 s[18:19], s[6:7], s[18:19]
	s_andn2_b64 s[6:7], s[12:13], exec
	s_and_b64 s[12:13], vcc, exec
	s_or_b64 s[12:13], s[6:7], s[12:13]
	s_andn2_b64 exec, exec, s[18:19]
	s_cbranch_execnz .LBB685_22
; %bb.23:
	s_or_b64 exec, exec, s[18:19]
	v_mul_lo_u32 v19, v3, s30
	v_mul_lo_u32 v22, v2, s31
	v_mad_u64_u32 v[20:21], s[6:7], v2, s30, 0
	v_add3_u32 v21, v21, v22, v19
	v_lshl_add_u64 v[20:21], v[20:21], 1, s[20:21]
	s_mov_b64 s[36:37], 0
	s_mov_b64 s[38:39], s[14:15]
	v_mov_b64_e32 v[22:23], v[20:21]
                                        ; implicit-def: $sgpr18_sgpr19
.LBB685_24:                             ; =>This Inner Loop Header: Depth=1
	global_load_ushort v19, v[22:23], off
	global_load_ushort v26, v[16:17], off
	s_add_u32 s6, s38, -1
	s_addc_u32 s7, s39, -1
	s_cmp_eq_u64 s[38:39], 0
	s_mov_b64 s[38:39], s[6:7]
	s_cselect_b64 s[40:41], -1, 0
	v_lshl_add_u64 v[22:23], v[22:23], 0, 2
	v_lshl_add_u64 v[16:17], v[16:17], 0, 2
	s_waitcnt vmcnt(0)
	v_cmp_ne_u16_e64 s[6:7], v19, v26
	s_or_b64 s[6:7], s[6:7], s[40:41]
	s_and_b64 s[6:7], exec, s[6:7]
	v_cmp_eq_u16_e32 vcc, v19, v26
	s_or_b64 s[36:37], s[6:7], s[36:37]
	s_andn2_b64 s[6:7], s[18:19], exec
	s_and_b64 s[18:19], vcc, exec
	s_or_b64 s[18:19], s[6:7], s[18:19]
	s_andn2_b64 exec, exec, s[36:37]
	s_cbranch_execnz .LBB685_24
; %bb.25:
	s_or_b64 exec, exec, s[36:37]
	v_mul_lo_u32 v19, v9, s30
	v_mul_lo_u32 v22, v8, s31
	v_mad_u64_u32 v[16:17], s[6:7], v8, s30, 0
	v_add3_u32 v17, v17, v22, v19
	v_lshl_add_u64 v[16:17], v[16:17], 1, s[20:21]
	s_mov_b64 s[38:39], 0
	s_mov_b64 s[40:41], s[14:15]
	v_mov_b64_e32 v[22:23], v[16:17]
                                        ; implicit-def: $sgpr36_sgpr37
.LBB685_26:                             ; =>This Inner Loop Header: Depth=1
	global_load_ushort v19, v[22:23], off
	global_load_ushort v26, v[20:21], off
	s_add_u32 s6, s40, -1
	s_addc_u32 s7, s41, -1
	s_cmp_eq_u64 s[40:41], 0
	s_mov_b64 s[40:41], s[6:7]
	s_cselect_b64 s[42:43], -1, 0
	v_lshl_add_u64 v[22:23], v[22:23], 0, 2
	v_lshl_add_u64 v[20:21], v[20:21], 0, 2
	s_waitcnt vmcnt(0)
	v_cmp_ne_u16_e64 s[6:7], v19, v26
	s_or_b64 s[6:7], s[6:7], s[42:43]
	s_and_b64 s[6:7], exec, s[6:7]
	v_cmp_eq_u16_e32 vcc, v19, v26
	s_or_b64 s[38:39], s[6:7], s[38:39]
	s_andn2_b64 s[6:7], s[36:37], exec
	s_and_b64 s[36:37], vcc, exec
	s_or_b64 s[36:37], s[6:7], s[36:37]
	s_andn2_b64 exec, exec, s[38:39]
	s_cbranch_execnz .LBB685_26
; %bb.27:
	s_or_b64 exec, exec, s[38:39]
	v_mul_lo_u32 v19, v7, s30
	v_mul_lo_u32 v22, v6, s31
	v_mad_u64_u32 v[20:21], s[6:7], v6, s30, 0
	v_add3_u32 v21, v21, v22, v19
	v_lshl_add_u64 v[20:21], v[20:21], 1, s[20:21]
	s_mov_b64 s[40:41], 0
	s_mov_b64 s[42:43], s[14:15]
	v_mov_b64_e32 v[22:23], v[20:21]
                                        ; implicit-def: $sgpr38_sgpr39
.LBB685_28:                             ; =>This Inner Loop Header: Depth=1
	global_load_ushort v19, v[22:23], off
	global_load_ushort v26, v[16:17], off
	s_add_u32 s6, s42, -1
	s_addc_u32 s7, s43, -1
	s_cmp_eq_u64 s[42:43], 0
	s_mov_b64 s[42:43], s[6:7]
	s_cselect_b64 s[44:45], -1, 0
	v_lshl_add_u64 v[22:23], v[22:23], 0, 2
	v_lshl_add_u64 v[16:17], v[16:17], 0, 2
	s_waitcnt vmcnt(0)
	v_cmp_ne_u16_e64 s[6:7], v19, v26
	s_or_b64 s[6:7], s[6:7], s[44:45]
	s_and_b64 s[6:7], exec, s[6:7]
	v_cmp_eq_u16_e32 vcc, v19, v26
	s_or_b64 s[40:41], s[6:7], s[40:41]
	s_andn2_b64 s[6:7], s[38:39], exec
	s_and_b64 s[38:39], vcc, exec
	s_or_b64 s[38:39], s[6:7], s[38:39]
	s_andn2_b64 exec, exec, s[40:41]
	s_cbranch_execnz .LBB685_28
; %bb.29:
	s_or_b64 exec, exec, s[40:41]
	v_mul_lo_u32 v19, v13, s30
	v_mul_lo_u32 v22, v12, s31
	v_mad_u64_u32 v[16:17], s[6:7], v12, s30, 0
	v_add3_u32 v17, v17, v22, v19
	v_lshl_add_u64 v[16:17], v[16:17], 1, s[20:21]
	s_mov_b64 s[42:43], 0
	s_mov_b64 s[44:45], s[14:15]
	v_mov_b64_e32 v[22:23], v[16:17]
                                        ; implicit-def: $sgpr40_sgpr41
.LBB685_30:                             ; =>This Inner Loop Header: Depth=1
	global_load_ushort v19, v[22:23], off
	global_load_ushort v26, v[20:21], off
	s_add_u32 s6, s44, -1
	s_addc_u32 s7, s45, -1
	s_cmp_eq_u64 s[44:45], 0
	s_mov_b64 s[44:45], s[6:7]
	s_cselect_b64 s[46:47], -1, 0
	v_lshl_add_u64 v[22:23], v[22:23], 0, 2
	v_lshl_add_u64 v[20:21], v[20:21], 0, 2
	s_waitcnt vmcnt(0)
	v_cmp_ne_u16_e64 s[6:7], v19, v26
	s_or_b64 s[6:7], s[6:7], s[46:47]
	s_and_b64 s[6:7], exec, s[6:7]
	v_cmp_eq_u16_e32 vcc, v19, v26
	s_or_b64 s[42:43], s[6:7], s[42:43]
	s_andn2_b64 s[6:7], s[40:41], exec
	s_and_b64 s[40:41], vcc, exec
	s_or_b64 s[40:41], s[6:7], s[40:41]
	s_andn2_b64 exec, exec, s[42:43]
	s_cbranch_execnz .LBB685_30
; %bb.31:
	s_or_b64 exec, exec, s[42:43]
	v_mul_lo_u32 v19, v11, s30
	v_mul_lo_u32 v22, v10, s31
	v_mad_u64_u32 v[20:21], s[6:7], v10, s30, 0
	v_add3_u32 v21, v21, v22, v19
	v_lshl_add_u64 v[20:21], v[20:21], 1, s[20:21]
	s_mov_b64 s[44:45], 0
                                        ; implicit-def: $sgpr42_sgpr43
.LBB685_32:                             ; =>This Inner Loop Header: Depth=1
	global_load_ushort v19, v[20:21], off
	global_load_ushort v22, v[16:17], off
	s_add_u32 s6, s14, -1
	s_addc_u32 s7, s15, -1
	s_cmp_eq_u64 s[14:15], 0
	s_mov_b64 s[14:15], s[6:7]
	s_cselect_b64 s[46:47], -1, 0
	v_lshl_add_u64 v[20:21], v[20:21], 0, 2
	v_lshl_add_u64 v[16:17], v[16:17], 0, 2
	s_waitcnt vmcnt(0)
	v_cmp_ne_u16_e64 s[6:7], v19, v22
	s_or_b64 s[6:7], s[6:7], s[46:47]
	s_and_b64 s[6:7], exec, s[6:7]
	v_cmp_eq_u16_e32 vcc, v19, v22
	s_or_b64 s[44:45], s[6:7], s[44:45]
	s_andn2_b64 s[6:7], s[42:43], exec
	s_and_b64 s[42:43], vcc, exec
	s_or_b64 s[42:43], s[6:7], s[42:43]
	s_andn2_b64 exec, exec, s[44:45]
	s_cbranch_execnz .LBB685_32
; %bb.33:
	s_or_b64 exec, exec, s[44:45]
	s_xor_b64 s[6:7], s[18:19], -1
	v_cndmask_b32_e64 v40, 0, 1, s[6:7]
	s_xor_b64 s[6:7], s[38:39], -1
	v_cndmask_b32_e64 v16, 0, 1, s[6:7]
	v_lshlrev_b16_e32 v16, 8, v16
	s_xor_b64 s[6:7], s[12:13], -1
	v_lshrrev_b32_e32 v16, 8, v16
	v_mov_b32_e32 v20, 1
	s_xor_b64 s[12:13], s[40:41], -1
	v_cndmask_b32_e64 v19, 0, 1, s[6:7]
	s_xor_b64 s[6:7], s[36:37], -1
	v_and_b32_sdwa v16, v16, v20 dst_sel:BYTE_1 dst_unused:UNUSED_PAD src0_sel:DWORD src1_sel:DWORD
	v_cndmask_b32_e64 v20, 0, 1, s[12:13]
	v_cndmask_b32_e64 v17, 0, 1, s[6:7]
	s_xor_b64 s[6:7], s[42:43], -1
	v_or_b32_sdwa v22, v20, v16 dst_sel:WORD_1 dst_unused:UNUSED_PAD src0_sel:DWORD src1_sel:DWORD
	s_branch .LBB685_38
.LBB685_34:
                                        ; implicit-def: $sgpr6_sgpr7
                                        ; implicit-def: $vgpr19
                                        ; implicit-def: $vgpr40
                                        ; implicit-def: $vgpr17
                                        ; implicit-def: $vgpr21
	s_branch .LBB685_91
.LBB685_35:
                                        ; implicit-def: $vgpr42
                                        ; implicit-def: $vgpr41
                                        ; implicit-def: $vgpr20
	s_branch .LBB685_160
.LBB685_36:
                                        ; implicit-def: $sgpr6_sgpr7
                                        ; implicit-def: $vgpr19
                                        ; implicit-def: $vgpr40
                                        ; implicit-def: $vgpr17
                                        ; implicit-def: $vgpr21
	s_cbranch_execnz .LBB685_45
	s_branch .LBB685_90
.LBB685_37:
	v_mov_b32_e32 v22, 0
	v_mov_b32_e32 v19, 0
	;; [unrolled: 1-line block ×4, first 2 shown]
.LBB685_38:
	v_cmp_ne_u32_e32 vcc, 0, v0
	s_waitcnt lgkmcnt(0)
	v_mov_b64_e32 v[20:21], s[10:11]
	s_barrier
	s_and_saveexec_b64 s[12:13], vcc
; %bb.39:
	v_add_u32_e32 v16, -8, v25
	ds_read_b64 v[20:21], v16
; %bb.40:
	s_or_b64 exec, exec, s[12:13]
	v_cndmask_b32_e64 v23, 0, 1, s[6:7]
	v_lshrrev_b32_e32 v16, 16, v22
	s_mov_b32 s6, 0xc0c0304
	v_perm_b32 v16, v16, v22, s6
	v_lshlrev_b16_e32 v23, 8, v23
	s_movk_i32 s6, 0xff
	v_bitop3_b16 v22, v22, v23, s6 bitop3:0xec
	v_and_b32_e32 v26, 0xffff, v22
	s_mov_b64 s[12:13], 0
	s_and_b64 vcc, exec, s[4:5]
	s_mov_b64 s[6:7], 0
	s_cbranch_vccnz .LBB685_44
; %bb.41:
	s_waitcnt lgkmcnt(0)
	v_mul_lo_u32 v22, v21, s30
	v_mul_lo_u32 v23, v20, s31
	v_mad_u64_u32 v[20:21], s[6:7], v20, s30, 0
	v_add3_u32 v21, v21, v23, v22
	v_mul_lo_u32 v27, v11, s30
	v_mul_lo_u32 v28, v10, s31
	v_mad_u64_u32 v[22:23], s[6:7], v10, s30, 0
	v_add3_u32 v23, v23, v28, v27
	s_add_u32 s36, s30, -1
	v_lshl_add_u64 v[20:21], v[20:21], 1, s[20:21]
	v_lshl_add_u64 v[22:23], v[22:23], 1, s[20:21]
	s_addc_u32 s37, s31, -1
	s_mov_b64 s[14:15], 0
                                        ; implicit-def: $sgpr18_sgpr19
.LBB685_42:                             ; =>This Inner Loop Header: Depth=1
	global_load_ushort v27, v[20:21], off
	global_load_ushort v28, v[22:23], off
	s_add_u32 s6, s36, -1
	s_addc_u32 s7, s37, -1
	s_cmp_eq_u64 s[36:37], 0
	s_mov_b64 s[36:37], s[6:7]
	s_cselect_b64 s[38:39], -1, 0
	v_lshl_add_u64 v[20:21], v[20:21], 0, 2
	v_lshl_add_u64 v[22:23], v[22:23], 0, 2
	s_waitcnt vmcnt(0)
	v_cmp_ne_u16_e64 s[6:7], v27, v28
	s_or_b64 s[6:7], s[6:7], s[38:39]
	s_and_b64 s[6:7], exec, s[6:7]
	v_cmp_eq_u16_e32 vcc, v27, v28
	s_or_b64 s[14:15], s[6:7], s[14:15]
	s_andn2_b64 s[6:7], s[18:19], exec
	s_and_b64 s[18:19], vcc, exec
	s_or_b64 s[18:19], s[6:7], s[18:19]
	s_andn2_b64 exec, exec, s[14:15]
	s_cbranch_execnz .LBB685_42
; %bb.43:
	s_or_b64 exec, exec, s[14:15]
	s_xor_b64 s[6:7], s[18:19], -1
.LBB685_44:
	s_waitcnt lgkmcnt(0)
	v_lshl_or_b32 v21, v16, 16, v26
	s_and_b64 vcc, exec, s[12:13]
	s_cbranch_vccz .LBB685_90
.LBB685_45:
	v_add_u32_e32 v16, 6, v1
	v_cmp_gt_u32_e32 vcc, s3, v16
	s_mov_b64 s[14:15], 0
	s_mov_b64 s[12:13], 0
	s_and_saveexec_b64 s[18:19], vcc
	s_cbranch_execz .LBB685_51
; %bb.46:
	s_and_b64 vcc, exec, s[4:5]
	s_mov_b64 s[6:7], 0
	s_cbranch_vccnz .LBB685_50
; %bb.47:
	v_mul_lo_u32 v19, v5, s30
	v_mul_lo_u32 v20, v4, s31
	v_mad_u64_u32 v[16:17], s[6:7], v4, s30, 0
	v_add3_u32 v17, v17, v20, v19
	v_mul_lo_u32 v19, v15, s30
	v_mul_lo_u32 v22, v14, s31
	v_mad_u64_u32 v[20:21], s[6:7], v14, s30, 0
	v_add3_u32 v21, v21, v22, v19
	s_add_u32 s38, s30, -1
	v_lshl_add_u64 v[16:17], v[16:17], 1, s[20:21]
	v_lshl_add_u64 v[20:21], v[20:21], 1, s[20:21]
	s_addc_u32 s39, s31, -1
                                        ; implicit-def: $sgpr36_sgpr37
.LBB685_48:                             ; =>This Inner Loop Header: Depth=1
	global_load_ushort v19, v[16:17], off
	global_load_ushort v22, v[20:21], off
	s_add_u32 s6, s38, -1
	s_addc_u32 s7, s39, -1
	s_cmp_eq_u64 s[38:39], 0
	s_mov_b64 s[38:39], s[6:7]
	s_cselect_b64 s[40:41], -1, 0
	v_lshl_add_u64 v[16:17], v[16:17], 0, 2
	v_lshl_add_u64 v[20:21], v[20:21], 0, 2
	s_waitcnt vmcnt(0)
	v_cmp_ne_u16_e64 s[6:7], v19, v22
	s_or_b64 s[6:7], s[6:7], s[40:41]
	s_and_b64 s[6:7], exec, s[6:7]
	v_cmp_eq_u16_e32 vcc, v19, v22
	s_or_b64 s[12:13], s[6:7], s[12:13]
	s_andn2_b64 s[6:7], s[36:37], exec
	s_and_b64 s[36:37], vcc, exec
	s_or_b64 s[36:37], s[6:7], s[36:37]
	s_andn2_b64 exec, exec, s[12:13]
	s_cbranch_execnz .LBB685_48
; %bb.49:
	s_or_b64 exec, exec, s[12:13]
	s_xor_b64 s[6:7], s[36:37], -1
.LBB685_50:
	s_and_b64 s[12:13], s[6:7], exec
.LBB685_51:
	s_or_b64 exec, exec, s[18:19]
	v_add_u32_e32 v16, 5, v1
	v_cmp_gt_u32_e32 vcc, s3, v16
	s_and_saveexec_b64 s[18:19], vcc
	s_cbranch_execz .LBB685_57
; %bb.52:
	s_and_b64 vcc, exec, s[4:5]
	s_mov_b64 s[6:7], 0
	s_cbranch_vccnz .LBB685_56
; %bb.53:
	v_mul_lo_u32 v19, v3, s30
	v_mul_lo_u32 v20, v2, s31
	v_mad_u64_u32 v[16:17], s[6:7], v2, s30, 0
	v_add3_u32 v17, v17, v20, v19
	v_mul_lo_u32 v19, v5, s30
	v_mul_lo_u32 v22, v4, s31
	v_mad_u64_u32 v[20:21], s[6:7], v4, s30, 0
	v_add3_u32 v21, v21, v22, v19
	s_add_u32 s38, s30, -1
	v_lshl_add_u64 v[16:17], v[16:17], 1, s[20:21]
	v_lshl_add_u64 v[20:21], v[20:21], 1, s[20:21]
	s_addc_u32 s39, s31, -1
	s_mov_b64 s[14:15], 0
                                        ; implicit-def: $sgpr36_sgpr37
.LBB685_54:                             ; =>This Inner Loop Header: Depth=1
	global_load_ushort v19, v[16:17], off
	global_load_ushort v22, v[20:21], off
	s_add_u32 s6, s38, -1
	s_addc_u32 s7, s39, -1
	s_cmp_eq_u64 s[38:39], 0
	s_mov_b64 s[38:39], s[6:7]
	s_cselect_b64 s[40:41], -1, 0
	v_lshl_add_u64 v[16:17], v[16:17], 0, 2
	v_lshl_add_u64 v[20:21], v[20:21], 0, 2
	s_waitcnt vmcnt(0)
	v_cmp_ne_u16_e64 s[6:7], v19, v22
	s_or_b64 s[6:7], s[6:7], s[40:41]
	s_and_b64 s[6:7], exec, s[6:7]
	v_cmp_eq_u16_e32 vcc, v19, v22
	s_or_b64 s[14:15], s[6:7], s[14:15]
	s_andn2_b64 s[6:7], s[36:37], exec
	s_and_b64 s[36:37], vcc, exec
	s_or_b64 s[36:37], s[6:7], s[36:37]
	s_andn2_b64 exec, exec, s[14:15]
	s_cbranch_execnz .LBB685_54
; %bb.55:
	s_or_b64 exec, exec, s[14:15]
	s_xor_b64 s[6:7], s[36:37], -1
.LBB685_56:
	s_and_b64 s[14:15], s[6:7], exec
.LBB685_57:
	s_or_b64 exec, exec, s[18:19]
	v_add_u32_e32 v16, 4, v1
	v_cmp_gt_u32_e32 vcc, s3, v16
	s_mov_b64 s[36:37], 0
	s_mov_b64 s[18:19], 0
	s_and_saveexec_b64 s[38:39], vcc
	s_cbranch_execz .LBB685_63
; %bb.58:
	s_and_b64 vcc, exec, s[4:5]
	s_mov_b64 s[6:7], 0
	s_cbranch_vccnz .LBB685_62
; %bb.59:
	v_mul_lo_u32 v19, v9, s30
	v_mul_lo_u32 v20, v8, s31
	v_mad_u64_u32 v[16:17], s[6:7], v8, s30, 0
	v_add3_u32 v17, v17, v20, v19
	v_mul_lo_u32 v19, v3, s30
	v_mul_lo_u32 v22, v2, s31
	v_mad_u64_u32 v[20:21], s[6:7], v2, s30, 0
	v_add3_u32 v21, v21, v22, v19
	s_add_u32 s42, s30, -1
	v_lshl_add_u64 v[16:17], v[16:17], 1, s[20:21]
	v_lshl_add_u64 v[20:21], v[20:21], 1, s[20:21]
	s_addc_u32 s43, s31, -1
                                        ; implicit-def: $sgpr40_sgpr41
.LBB685_60:                             ; =>This Inner Loop Header: Depth=1
	global_load_ushort v19, v[16:17], off
	global_load_ushort v22, v[20:21], off
	s_add_u32 s6, s42, -1
	s_addc_u32 s7, s43, -1
	s_cmp_eq_u64 s[42:43], 0
	s_mov_b64 s[42:43], s[6:7]
	s_cselect_b64 s[44:45], -1, 0
	v_lshl_add_u64 v[16:17], v[16:17], 0, 2
	v_lshl_add_u64 v[20:21], v[20:21], 0, 2
	s_waitcnt vmcnt(0)
	v_cmp_ne_u16_e64 s[6:7], v19, v22
	s_or_b64 s[6:7], s[6:7], s[44:45]
	s_and_b64 s[6:7], exec, s[6:7]
	v_cmp_eq_u16_e32 vcc, v19, v22
	s_or_b64 s[18:19], s[6:7], s[18:19]
	s_andn2_b64 s[6:7], s[40:41], exec
	s_and_b64 s[40:41], vcc, exec
	s_or_b64 s[40:41], s[6:7], s[40:41]
	s_andn2_b64 exec, exec, s[18:19]
	s_cbranch_execnz .LBB685_60
; %bb.61:
	s_or_b64 exec, exec, s[18:19]
	s_xor_b64 s[6:7], s[40:41], -1
.LBB685_62:
	s_and_b64 s[18:19], s[6:7], exec
.LBB685_63:
	s_or_b64 exec, exec, s[38:39]
	v_add_u32_e32 v16, 3, v1
	v_cmp_gt_u32_e32 vcc, s3, v16
	s_and_saveexec_b64 s[38:39], vcc
	s_cbranch_execz .LBB685_69
; %bb.64:
	s_and_b64 vcc, exec, s[4:5]
	s_mov_b64 s[6:7], 0
	s_cbranch_vccnz .LBB685_68
; %bb.65:
	v_mul_lo_u32 v19, v7, s30
	v_mul_lo_u32 v20, v6, s31
	v_mad_u64_u32 v[16:17], s[6:7], v6, s30, 0
	v_add3_u32 v17, v17, v20, v19
	v_mul_lo_u32 v19, v9, s30
	v_mul_lo_u32 v22, v8, s31
	v_mad_u64_u32 v[20:21], s[6:7], v8, s30, 0
	v_add3_u32 v21, v21, v22, v19
	s_add_u32 s42, s30, -1
	v_lshl_add_u64 v[16:17], v[16:17], 1, s[20:21]
	v_lshl_add_u64 v[20:21], v[20:21], 1, s[20:21]
	s_addc_u32 s43, s31, -1
	s_mov_b64 s[36:37], 0
                                        ; implicit-def: $sgpr40_sgpr41
.LBB685_66:                             ; =>This Inner Loop Header: Depth=1
	global_load_ushort v19, v[16:17], off
	global_load_ushort v22, v[20:21], off
	s_add_u32 s6, s42, -1
	s_addc_u32 s7, s43, -1
	s_cmp_eq_u64 s[42:43], 0
	s_mov_b64 s[42:43], s[6:7]
	s_cselect_b64 s[44:45], -1, 0
	v_lshl_add_u64 v[16:17], v[16:17], 0, 2
	v_lshl_add_u64 v[20:21], v[20:21], 0, 2
	s_waitcnt vmcnt(0)
	v_cmp_ne_u16_e64 s[6:7], v19, v22
	s_or_b64 s[6:7], s[6:7], s[44:45]
	s_and_b64 s[6:7], exec, s[6:7]
	v_cmp_eq_u16_e32 vcc, v19, v22
	s_or_b64 s[36:37], s[6:7], s[36:37]
	s_andn2_b64 s[6:7], s[40:41], exec
	s_and_b64 s[40:41], vcc, exec
	s_or_b64 s[40:41], s[6:7], s[40:41]
	s_andn2_b64 exec, exec, s[36:37]
	s_cbranch_execnz .LBB685_66
; %bb.67:
	s_or_b64 exec, exec, s[36:37]
	s_xor_b64 s[6:7], s[40:41], -1
.LBB685_68:
	s_and_b64 s[36:37], s[6:7], exec
.LBB685_69:
	s_or_b64 exec, exec, s[38:39]
	v_add_u32_e32 v16, 2, v1
	v_cmp_gt_u32_e32 vcc, s3, v16
	s_mov_b64 s[38:39], 0
	s_mov_b64 s[40:41], 0
	s_and_saveexec_b64 s[42:43], vcc
	s_cbranch_execz .LBB685_75
; %bb.70:
	s_and_b64 vcc, exec, s[4:5]
	s_mov_b64 s[6:7], 0
	s_cbranch_vccnz .LBB685_74
; %bb.71:
	v_mul_lo_u32 v19, v13, s30
	v_mul_lo_u32 v20, v12, s31
	v_mad_u64_u32 v[16:17], s[6:7], v12, s30, 0
	v_add3_u32 v17, v17, v20, v19
	v_mul_lo_u32 v19, v7, s30
	v_mul_lo_u32 v22, v6, s31
	v_mad_u64_u32 v[20:21], s[6:7], v6, s30, 0
	v_add3_u32 v21, v21, v22, v19
	s_add_u32 s46, s30, -1
	v_lshl_add_u64 v[16:17], v[16:17], 1, s[20:21]
	v_lshl_add_u64 v[20:21], v[20:21], 1, s[20:21]
	s_addc_u32 s47, s31, -1
                                        ; implicit-def: $sgpr44_sgpr45
.LBB685_72:                             ; =>This Inner Loop Header: Depth=1
	global_load_ushort v19, v[16:17], off
	global_load_ushort v22, v[20:21], off
	s_add_u32 s6, s46, -1
	s_addc_u32 s7, s47, -1
	s_cmp_eq_u64 s[46:47], 0
	s_mov_b64 s[46:47], s[6:7]
	s_cselect_b64 s[48:49], -1, 0
	v_lshl_add_u64 v[16:17], v[16:17], 0, 2
	v_lshl_add_u64 v[20:21], v[20:21], 0, 2
	s_waitcnt vmcnt(0)
	v_cmp_ne_u16_e64 s[6:7], v19, v22
	s_or_b64 s[6:7], s[6:7], s[48:49]
	s_and_b64 s[6:7], exec, s[6:7]
	v_cmp_eq_u16_e32 vcc, v19, v22
	s_or_b64 s[40:41], s[6:7], s[40:41]
	s_andn2_b64 s[6:7], s[44:45], exec
	s_and_b64 s[44:45], vcc, exec
	s_or_b64 s[44:45], s[6:7], s[44:45]
	s_andn2_b64 exec, exec, s[40:41]
	s_cbranch_execnz .LBB685_72
; %bb.73:
	s_or_b64 exec, exec, s[40:41]
	s_xor_b64 s[6:7], s[44:45], -1
.LBB685_74:
	s_and_b64 s[40:41], s[6:7], exec
.LBB685_75:
	s_or_b64 exec, exec, s[42:43]
	v_add_u32_e32 v16, 1, v1
	v_cmp_gt_u32_e32 vcc, s3, v16
	s_and_saveexec_b64 s[42:43], vcc
	s_cbranch_execz .LBB685_81
; %bb.76:
	s_and_b64 vcc, exec, s[4:5]
	s_mov_b64 s[6:7], 0
	s_cbranch_vccnz .LBB685_80
; %bb.77:
	v_mul_lo_u32 v19, v11, s30
	v_mul_lo_u32 v20, v10, s31
	v_mad_u64_u32 v[16:17], s[6:7], v10, s30, 0
	v_add3_u32 v17, v17, v20, v19
	v_mul_lo_u32 v19, v13, s30
	v_mul_lo_u32 v22, v12, s31
	v_mad_u64_u32 v[20:21], s[6:7], v12, s30, 0
	v_add3_u32 v21, v21, v22, v19
	s_add_u32 s46, s30, -1
	v_lshl_add_u64 v[16:17], v[16:17], 1, s[20:21]
	v_lshl_add_u64 v[20:21], v[20:21], 1, s[20:21]
	s_addc_u32 s47, s31, -1
	s_mov_b64 s[38:39], 0
                                        ; implicit-def: $sgpr44_sgpr45
.LBB685_78:                             ; =>This Inner Loop Header: Depth=1
	global_load_ushort v19, v[16:17], off
	global_load_ushort v22, v[20:21], off
	s_add_u32 s6, s46, -1
	s_addc_u32 s7, s47, -1
	s_cmp_eq_u64 s[46:47], 0
	s_mov_b64 s[46:47], s[6:7]
	s_cselect_b64 s[48:49], -1, 0
	v_lshl_add_u64 v[16:17], v[16:17], 0, 2
	v_lshl_add_u64 v[20:21], v[20:21], 0, 2
	s_waitcnt vmcnt(0)
	v_cmp_ne_u16_e64 s[6:7], v19, v22
	s_or_b64 s[6:7], s[6:7], s[48:49]
	s_and_b64 s[6:7], exec, s[6:7]
	v_cmp_eq_u16_e32 vcc, v19, v22
	s_or_b64 s[38:39], s[6:7], s[38:39]
	s_andn2_b64 s[6:7], s[44:45], exec
	s_and_b64 s[44:45], vcc, exec
	s_or_b64 s[44:45], s[6:7], s[44:45]
	s_andn2_b64 exec, exec, s[38:39]
	s_cbranch_execnz .LBB685_78
; %bb.79:
	s_or_b64 exec, exec, s[38:39]
	s_xor_b64 s[6:7], s[44:45], -1
.LBB685_80:
	s_and_b64 s[38:39], s[6:7], exec
.LBB685_81:
	s_or_b64 exec, exec, s[42:43]
	v_cmp_ne_u32_e32 vcc, 0, v0
	s_waitcnt lgkmcnt(0)
	v_mov_b64_e32 v[16:17], s[10:11]
	s_barrier
	s_and_saveexec_b64 s[6:7], vcc
; %bb.82:
	v_add_u32_e32 v16, -8, v25
	ds_read_b64 v[16:17], v16
; %bb.83:
	s_or_b64 exec, exec, s[6:7]
	v_cndmask_b32_e64 v20, 0, 1, s[36:37]
	v_cndmask_b32_e64 v19, 0, 1, s[40:41]
	;; [unrolled: 1-line block ×3, first 2 shown]
	v_lshlrev_b16_e32 v20, 8, v20
	v_cmp_gt_u32_e32 vcc, s3, v1
	v_lshlrev_b16_e32 v22, 8, v21
	v_or_b32_sdwa v23, v19, v20 dst_sel:WORD_1 dst_unused:UNUSED_PAD src0_sel:DWORD src1_sel:DWORD
	s_mov_b64 s[6:7], 0
	s_and_saveexec_b64 s[10:11], vcc
	s_cbranch_execz .LBB685_89
; %bb.84:
	s_and_b64 vcc, exec, s[4:5]
	s_mov_b64 s[4:5], 0
	s_cbranch_vccnz .LBB685_88
; %bb.85:
	s_waitcnt lgkmcnt(0)
	v_mul_lo_u32 v19, v17, s30
	v_mul_lo_u32 v20, v16, s31
	v_mad_u64_u32 v[16:17], s[4:5], v16, s30, 0
	v_add3_u32 v17, v17, v20, v19
	v_mul_lo_u32 v19, v11, s30
	v_mul_lo_u32 v25, v10, s31
	v_mad_u64_u32 v[20:21], s[4:5], v10, s30, 0
	v_add3_u32 v21, v21, v25, v19
	s_add_u32 s38, s30, -1
	v_lshl_add_u64 v[16:17], v[16:17], 1, s[20:21]
	v_lshl_add_u64 v[20:21], v[20:21], 1, s[20:21]
	s_addc_u32 s39, s31, -1
                                        ; implicit-def: $sgpr36_sgpr37
.LBB685_86:                             ; =>This Inner Loop Header: Depth=1
	global_load_ushort v19, v[16:17], off
	global_load_ushort v25, v[20:21], off
	s_add_u32 s4, s38, -1
	s_addc_u32 s5, s39, -1
	s_cmp_eq_u64 s[38:39], 0
	s_mov_b64 s[38:39], s[4:5]
	s_cselect_b64 s[40:41], -1, 0
	v_lshl_add_u64 v[16:17], v[16:17], 0, 2
	v_lshl_add_u64 v[20:21], v[20:21], 0, 2
	s_waitcnt vmcnt(0)
	v_cmp_ne_u16_e64 s[4:5], v19, v25
	s_or_b64 s[4:5], s[4:5], s[40:41]
	s_and_b64 s[4:5], exec, s[4:5]
	v_cmp_eq_u16_e32 vcc, v19, v25
	s_or_b64 s[6:7], s[4:5], s[6:7]
	s_andn2_b64 s[4:5], s[36:37], exec
	s_and_b64 s[36:37], vcc, exec
	s_or_b64 s[36:37], s[4:5], s[36:37]
	s_andn2_b64 exec, exec, s[6:7]
	s_cbranch_execnz .LBB685_86
; %bb.87:
	s_or_b64 exec, exec, s[6:7]
	s_xor_b64 s[4:5], s[36:37], -1
.LBB685_88:
	s_and_b64 s[6:7], s[4:5], exec
.LBB685_89:
	s_or_b64 exec, exec, s[10:11]
	s_waitcnt lgkmcnt(0)
	v_cndmask_b32_e64 v17, 0, 1, s[18:19]
	v_cndmask_b32_e64 v40, 0, 1, s[14:15]
	;; [unrolled: 1-line block ×3, first 2 shown]
	v_or_b32_e32 v21, v22, v23
.LBB685_90:
	s_waitcnt lgkmcnt(0)
	s_mov_b64 s[10:11], -1
	s_cbranch_execnz .LBB685_35
.LBB685_91:
	s_movk_i32 s4, 0xffd0
	v_mad_i32_i24 v26, v0, s4, v24
	s_mov_b64 s[6:7], 0
	v_cmp_gt_i64_e64 s[12:13], s[30:31], 0
	s_and_b64 vcc, exec, s[34:35]
	ds_write_b64 v26, v[14:15]
	s_cbranch_vccz .LBB685_106
; %bb.92:
	v_cndmask_b32_e64 v16, 0, 1, s[12:13]
	v_cmp_ne_u32_e64 s[4:5], 1, v16
	s_andn2_b64 vcc, exec, s[12:13]
	s_cbranch_vccnz .LBB685_107
; %bb.93:
	v_mul_lo_u32 v19, v5, s30
	v_mul_lo_u32 v20, v4, s31
	v_mad_u64_u32 v[16:17], s[6:7], v4, s30, 0
	v_add3_u32 v17, v17, v20, v19
	v_mul_lo_u32 v19, v15, s30
	v_mul_lo_u32 v22, v14, s31
	v_mad_u64_u32 v[20:21], s[6:7], v14, s30, 0
	s_add_u32 s18, s30, -1
	v_lshl_add_u64 v[16:17], v[16:17], 1, s[20:21]
	v_add3_u32 v21, v21, v22, v19
	s_addc_u32 s19, s31, -1
	v_lshl_add_u64 v[20:21], v[20:21], 1, s[20:21]
	s_mov_b64 s[36:37], 0
	s_mov_b64 s[38:39], s[18:19]
	v_mov_b64_e32 v[22:23], v[16:17]
                                        ; implicit-def: $sgpr14_sgpr15
.LBB685_94:                             ; =>This Inner Loop Header: Depth=1
	global_load_ushort v19, v[22:23], off
	global_load_ushort v24, v[20:21], off
	s_add_u32 s6, s38, -1
	s_addc_u32 s7, s39, -1
	s_cmp_eq_u64 s[38:39], 0
	s_mov_b64 s[38:39], s[6:7]
	s_cselect_b64 s[40:41], -1, 0
	v_lshl_add_u64 v[22:23], v[22:23], 0, 2
	v_lshl_add_u64 v[20:21], v[20:21], 0, 2
	s_waitcnt vmcnt(0)
	v_cmp_ne_u16_e64 s[6:7], v19, v24
	s_or_b64 s[6:7], s[6:7], s[40:41]
	s_and_b64 s[6:7], exec, s[6:7]
	v_cmp_eq_u16_e32 vcc, v19, v24
	s_or_b64 s[36:37], s[6:7], s[36:37]
	s_andn2_b64 s[6:7], s[14:15], exec
	s_and_b64 s[14:15], vcc, exec
	s_or_b64 s[14:15], s[6:7], s[14:15]
	s_andn2_b64 exec, exec, s[36:37]
	s_cbranch_execnz .LBB685_94
; %bb.95:
	s_or_b64 exec, exec, s[36:37]
	v_mul_lo_u32 v19, v3, s30
	v_mul_lo_u32 v22, v2, s31
	v_mad_u64_u32 v[20:21], s[6:7], v2, s30, 0
	v_add3_u32 v21, v21, v22, v19
	v_lshl_add_u64 v[20:21], v[20:21], 1, s[20:21]
	s_mov_b64 s[38:39], 0
	s_mov_b64 s[40:41], s[18:19]
	v_mov_b64_e32 v[22:23], v[20:21]
                                        ; implicit-def: $sgpr36_sgpr37
.LBB685_96:                             ; =>This Inner Loop Header: Depth=1
	global_load_ushort v19, v[22:23], off
	global_load_ushort v24, v[16:17], off
	s_add_u32 s6, s40, -1
	s_addc_u32 s7, s41, -1
	s_cmp_eq_u64 s[40:41], 0
	s_mov_b64 s[40:41], s[6:7]
	s_cselect_b64 s[42:43], -1, 0
	v_lshl_add_u64 v[22:23], v[22:23], 0, 2
	v_lshl_add_u64 v[16:17], v[16:17], 0, 2
	s_waitcnt vmcnt(0)
	v_cmp_ne_u16_e64 s[6:7], v19, v24
	s_or_b64 s[6:7], s[6:7], s[42:43]
	s_and_b64 s[6:7], exec, s[6:7]
	v_cmp_eq_u16_e32 vcc, v19, v24
	s_or_b64 s[38:39], s[6:7], s[38:39]
	s_andn2_b64 s[6:7], s[36:37], exec
	s_and_b64 s[36:37], vcc, exec
	s_or_b64 s[36:37], s[6:7], s[36:37]
	s_andn2_b64 exec, exec, s[38:39]
	s_cbranch_execnz .LBB685_96
; %bb.97:
	s_or_b64 exec, exec, s[38:39]
	v_mul_lo_u32 v19, v9, s30
	v_mul_lo_u32 v22, v8, s31
	v_mad_u64_u32 v[16:17], s[6:7], v8, s30, 0
	v_add3_u32 v17, v17, v22, v19
	v_lshl_add_u64 v[16:17], v[16:17], 1, s[20:21]
	s_mov_b64 s[40:41], 0
	s_mov_b64 s[42:43], s[18:19]
	v_mov_b64_e32 v[22:23], v[16:17]
                                        ; implicit-def: $sgpr38_sgpr39
.LBB685_98:                             ; =>This Inner Loop Header: Depth=1
	global_load_ushort v19, v[22:23], off
	global_load_ushort v24, v[20:21], off
	s_add_u32 s6, s42, -1
	s_addc_u32 s7, s43, -1
	s_cmp_eq_u64 s[42:43], 0
	s_mov_b64 s[42:43], s[6:7]
	s_cselect_b64 s[44:45], -1, 0
	v_lshl_add_u64 v[22:23], v[22:23], 0, 2
	v_lshl_add_u64 v[20:21], v[20:21], 0, 2
	s_waitcnt vmcnt(0)
	v_cmp_ne_u16_e64 s[6:7], v19, v24
	s_or_b64 s[6:7], s[6:7], s[44:45]
	s_and_b64 s[6:7], exec, s[6:7]
	v_cmp_eq_u16_e32 vcc, v19, v24
	s_or_b64 s[40:41], s[6:7], s[40:41]
	s_andn2_b64 s[6:7], s[38:39], exec
	s_and_b64 s[38:39], vcc, exec
	s_or_b64 s[38:39], s[6:7], s[38:39]
	s_andn2_b64 exec, exec, s[40:41]
	s_cbranch_execnz .LBB685_98
; %bb.99:
	s_or_b64 exec, exec, s[40:41]
	v_mul_lo_u32 v19, v7, s30
	v_mul_lo_u32 v22, v6, s31
	v_mad_u64_u32 v[20:21], s[6:7], v6, s30, 0
	v_add3_u32 v21, v21, v22, v19
	v_lshl_add_u64 v[20:21], v[20:21], 1, s[20:21]
	s_mov_b64 s[42:43], 0
	s_mov_b64 s[44:45], s[18:19]
	v_mov_b64_e32 v[22:23], v[20:21]
                                        ; implicit-def: $sgpr40_sgpr41
.LBB685_100:                            ; =>This Inner Loop Header: Depth=1
	global_load_ushort v19, v[22:23], off
	global_load_ushort v24, v[16:17], off
	s_add_u32 s6, s44, -1
	s_addc_u32 s7, s45, -1
	s_cmp_eq_u64 s[44:45], 0
	s_mov_b64 s[44:45], s[6:7]
	s_cselect_b64 s[46:47], -1, 0
	v_lshl_add_u64 v[22:23], v[22:23], 0, 2
	v_lshl_add_u64 v[16:17], v[16:17], 0, 2
	s_waitcnt vmcnt(0)
	v_cmp_ne_u16_e64 s[6:7], v19, v24
	s_or_b64 s[6:7], s[6:7], s[46:47]
	s_and_b64 s[6:7], exec, s[6:7]
	v_cmp_eq_u16_e32 vcc, v19, v24
	s_or_b64 s[42:43], s[6:7], s[42:43]
	s_andn2_b64 s[6:7], s[40:41], exec
	s_and_b64 s[40:41], vcc, exec
	s_or_b64 s[40:41], s[6:7], s[40:41]
	s_andn2_b64 exec, exec, s[42:43]
	s_cbranch_execnz .LBB685_100
; %bb.101:
	s_or_b64 exec, exec, s[42:43]
	v_mul_lo_u32 v19, v13, s30
	v_mul_lo_u32 v22, v12, s31
	v_mad_u64_u32 v[16:17], s[6:7], v12, s30, 0
	v_add3_u32 v17, v17, v22, v19
	v_lshl_add_u64 v[16:17], v[16:17], 1, s[20:21]
	s_mov_b64 s[44:45], 0
	s_mov_b64 s[46:47], s[18:19]
	v_mov_b64_e32 v[22:23], v[16:17]
                                        ; implicit-def: $sgpr42_sgpr43
.LBB685_102:                            ; =>This Inner Loop Header: Depth=1
	global_load_ushort v19, v[22:23], off
	global_load_ushort v24, v[20:21], off
	s_add_u32 s6, s46, -1
	s_addc_u32 s7, s47, -1
	s_cmp_eq_u64 s[46:47], 0
	s_mov_b64 s[46:47], s[6:7]
	s_cselect_b64 s[48:49], -1, 0
	v_lshl_add_u64 v[22:23], v[22:23], 0, 2
	v_lshl_add_u64 v[20:21], v[20:21], 0, 2
	s_waitcnt vmcnt(0)
	v_cmp_ne_u16_e64 s[6:7], v19, v24
	s_or_b64 s[6:7], s[6:7], s[48:49]
	s_and_b64 s[6:7], exec, s[6:7]
	v_cmp_eq_u16_e32 vcc, v19, v24
	s_or_b64 s[44:45], s[6:7], s[44:45]
	s_andn2_b64 s[6:7], s[42:43], exec
	s_and_b64 s[42:43], vcc, exec
	s_or_b64 s[42:43], s[6:7], s[42:43]
	s_andn2_b64 exec, exec, s[44:45]
	s_cbranch_execnz .LBB685_102
; %bb.103:
	s_or_b64 exec, exec, s[44:45]
	v_mul_lo_u32 v19, v11, s30
	v_mul_lo_u32 v22, v10, s31
	v_mad_u64_u32 v[20:21], s[6:7], v10, s30, 0
	v_add3_u32 v21, v21, v22, v19
	v_lshl_add_u64 v[20:21], v[20:21], 1, s[20:21]
	s_mov_b64 s[46:47], 0
                                        ; implicit-def: $sgpr44_sgpr45
.LBB685_104:                            ; =>This Inner Loop Header: Depth=1
	global_load_ushort v19, v[20:21], off
	global_load_ushort v22, v[16:17], off
	s_add_u32 s6, s18, -1
	s_addc_u32 s7, s19, -1
	s_cmp_eq_u64 s[18:19], 0
	s_mov_b64 s[18:19], s[6:7]
	s_cselect_b64 s[48:49], -1, 0
	v_lshl_add_u64 v[20:21], v[20:21], 0, 2
	v_lshl_add_u64 v[16:17], v[16:17], 0, 2
	s_waitcnt vmcnt(0)
	v_cmp_ne_u16_e64 s[6:7], v19, v22
	s_or_b64 s[6:7], s[6:7], s[48:49]
	s_and_b64 s[6:7], exec, s[6:7]
	v_cmp_eq_u16_e32 vcc, v19, v22
	s_or_b64 s[46:47], s[6:7], s[46:47]
	s_andn2_b64 s[6:7], s[44:45], exec
	s_and_b64 s[44:45], vcc, exec
	s_or_b64 s[44:45], s[6:7], s[44:45]
	s_andn2_b64 exec, exec, s[46:47]
	s_cbranch_execnz .LBB685_104
; %bb.105:
	s_or_b64 exec, exec, s[46:47]
	s_xor_b64 s[6:7], s[36:37], -1
	v_cndmask_b32_e64 v40, 0, 1, s[6:7]
	s_xor_b64 s[6:7], s[40:41], -1
	v_cndmask_b32_e64 v16, 0, 1, s[6:7]
	v_lshlrev_b16_e32 v16, 8, v16
	s_xor_b64 s[6:7], s[14:15], -1
	v_lshrrev_b32_e32 v16, 8, v16
	v_mov_b32_e32 v20, 1
	s_xor_b64 s[14:15], s[42:43], -1
	v_cndmask_b32_e64 v19, 0, 1, s[6:7]
	s_xor_b64 s[6:7], s[38:39], -1
	v_and_b32_sdwa v16, v16, v20 dst_sel:BYTE_1 dst_unused:UNUSED_PAD src0_sel:DWORD src1_sel:DWORD
	v_cndmask_b32_e64 v20, 0, 1, s[14:15]
	v_cndmask_b32_e64 v17, 0, 1, s[6:7]
	s_xor_b64 s[6:7], s[44:45], -1
	v_or_b32_sdwa v16, v20, v16 dst_sel:WORD_1 dst_unused:UNUSED_PAD src0_sel:DWORD src1_sel:DWORD
	s_branch .LBB685_108
.LBB685_106:
                                        ; implicit-def: $sgpr6_sgpr7
                                        ; implicit-def: $vgpr19
                                        ; implicit-def: $vgpr40
                                        ; implicit-def: $vgpr17
                                        ; implicit-def: $vgpr21
                                        ; implicit-def: $vgpr42
                                        ; implicit-def: $vgpr41
                                        ; implicit-def: $vgpr20
	s_cbranch_execnz .LBB685_115
	s_branch .LBB685_160
.LBB685_107:
	v_mov_b32_e32 v16, 0
	v_mov_b32_e32 v19, 0
	;; [unrolled: 1-line block ×4, first 2 shown]
.LBB685_108:
	v_lshrrev_b32_e32 v41, 16, v16
	v_lshrrev_b32_e32 v20, 24, v16
	v_cndmask_b32_e64 v42, 0, 1, s[6:7]
	v_mov_b32_e32 v16, 1
	v_cmp_ne_u32_e32 vcc, 0, v0
	s_waitcnt lgkmcnt(0)
	s_barrier
                                        ; implicit-def: $sgpr6_sgpr7
                                        ; implicit-def: $vgpr21
	s_and_saveexec_b64 s[14:15], vcc
	s_xor_b64 s[14:15], exec, s[14:15]
	s_cbranch_execz .LBB685_114
; %bb.109:
	v_lshlrev_b16_e32 v21, 8, v20
	s_movk_i32 s6, 0xff
	v_bitop3_b16 v21, v41, v21, s6 bitop3:0xec
	v_lshlrev_b16_e32 v22, 8, v42
	v_lshlrev_b32_e32 v21, 16, v21
	v_or_b32_e32 v22, 1, v22
	v_or_b32_sdwa v21, v22, v21 dst_sel:DWORD dst_unused:UNUSED_PAD src0_sel:WORD_0 src1_sel:DWORD
	s_mov_b32 s33, 0x3020104
	s_and_b64 vcc, exec, s[4:5]
	s_mov_b64 s[6:7], 0
	s_cbranch_vccnz .LBB685_113
; %bb.110:
	v_add_u32_e32 v22, -8, v26
	ds_read_b64 v[22:23], v22
	v_mul_lo_u32 v27, v11, s30
	v_mul_lo_u32 v28, v10, s31
	s_add_u32 s36, s30, -1
	s_addc_u32 s37, s31, -1
	s_waitcnt lgkmcnt(0)
	v_mul_lo_u32 v24, v23, s30
	v_mul_lo_u32 v25, v22, s31
	v_mad_u64_u32 v[22:23], s[4:5], v22, s30, 0
	v_add3_u32 v23, v23, v25, v24
	v_mad_u64_u32 v[24:25], s[4:5], v10, s30, 0
	v_add3_u32 v25, v25, v28, v27
	v_lshl_add_u64 v[22:23], v[22:23], 1, s[20:21]
	v_lshl_add_u64 v[24:25], v[24:25], 1, s[20:21]
                                        ; implicit-def: $sgpr18_sgpr19
.LBB685_111:                            ; =>This Inner Loop Header: Depth=1
	global_load_ushort v27, v[22:23], off
	global_load_ushort v28, v[24:25], off
	s_add_u32 s4, s36, -1
	s_addc_u32 s5, s37, -1
	s_cmp_eq_u64 s[36:37], 0
	s_mov_b64 s[36:37], s[4:5]
	s_cselect_b64 s[38:39], -1, 0
	v_lshl_add_u64 v[22:23], v[22:23], 0, 2
	v_lshl_add_u64 v[24:25], v[24:25], 0, 2
	s_waitcnt vmcnt(0)
	v_cmp_ne_u16_e64 s[4:5], v27, v28
	s_or_b64 s[4:5], s[4:5], s[38:39]
	s_and_b64 s[4:5], exec, s[4:5]
	v_cmp_eq_u16_e32 vcc, v27, v28
	s_or_b64 s[6:7], s[4:5], s[6:7]
	s_andn2_b64 s[4:5], s[18:19], exec
	s_and_b64 s[18:19], vcc, exec
	s_or_b64 s[18:19], s[4:5], s[18:19]
	s_andn2_b64 exec, exec, s[6:7]
	s_cbranch_execnz .LBB685_111
; %bb.112:
	s_or_b64 exec, exec, s[6:7]
	s_xor_b64 s[6:7], s[18:19], -1
.LBB685_113:
	v_perm_b32 v21, v21, v21, s33
	s_or_b64 s[10:11], s[10:11], exec
.LBB685_114:
	s_or_b64 exec, exec, s[14:15]
	s_branch .LBB685_160
.LBB685_115:
	v_add_u32_e32 v16, 6, v1
	v_cmp_gt_u32_e32 vcc, s3, v16
	s_mov_b64 s[14:15], 0
	s_mov_b64 s[6:7], 0
	s_and_saveexec_b64 s[18:19], vcc
	s_cbranch_execz .LBB685_121
; %bb.116:
	s_andn2_b64 vcc, exec, s[12:13]
	s_mov_b64 s[4:5], 0
	s_cbranch_vccnz .LBB685_120
; %bb.117:
	v_mul_lo_u32 v19, v5, s30
	v_mul_lo_u32 v20, v4, s31
	v_mad_u64_u32 v[16:17], s[4:5], v4, s30, 0
	v_add3_u32 v17, v17, v20, v19
	v_mul_lo_u32 v19, v15, s30
	v_mul_lo_u32 v22, v14, s31
	v_mad_u64_u32 v[20:21], s[4:5], v14, s30, 0
	v_add3_u32 v21, v21, v22, v19
	s_add_u32 s38, s30, -1
	v_lshl_add_u64 v[16:17], v[16:17], 1, s[20:21]
	v_lshl_add_u64 v[20:21], v[20:21], 1, s[20:21]
	s_addc_u32 s39, s31, -1
                                        ; implicit-def: $sgpr36_sgpr37
.LBB685_118:                            ; =>This Inner Loop Header: Depth=1
	global_load_ushort v19, v[16:17], off
	global_load_ushort v22, v[20:21], off
	s_add_u32 s4, s38, -1
	s_addc_u32 s5, s39, -1
	s_cmp_eq_u64 s[38:39], 0
	s_mov_b64 s[38:39], s[4:5]
	s_cselect_b64 s[40:41], -1, 0
	v_lshl_add_u64 v[16:17], v[16:17], 0, 2
	v_lshl_add_u64 v[20:21], v[20:21], 0, 2
	s_waitcnt vmcnt(0)
	v_cmp_ne_u16_e64 s[4:5], v19, v22
	s_or_b64 s[4:5], s[4:5], s[40:41]
	s_and_b64 s[4:5], exec, s[4:5]
	v_cmp_eq_u16_e32 vcc, v19, v22
	s_or_b64 s[6:7], s[4:5], s[6:7]
	s_andn2_b64 s[4:5], s[36:37], exec
	s_and_b64 s[36:37], vcc, exec
	s_or_b64 s[36:37], s[4:5], s[36:37]
	s_andn2_b64 exec, exec, s[6:7]
	s_cbranch_execnz .LBB685_118
; %bb.119:
	s_or_b64 exec, exec, s[6:7]
	s_xor_b64 s[4:5], s[36:37], -1
.LBB685_120:
	s_and_b64 s[6:7], s[4:5], exec
.LBB685_121:
	s_or_b64 exec, exec, s[18:19]
	v_add_u32_e32 v16, 5, v1
	v_cmp_gt_u32_e32 vcc, s3, v16
	s_and_saveexec_b64 s[18:19], vcc
	s_cbranch_execz .LBB685_127
; %bb.122:
	s_andn2_b64 vcc, exec, s[12:13]
	s_mov_b64 s[4:5], 0
	s_cbranch_vccnz .LBB685_126
; %bb.123:
	v_mul_lo_u32 v19, v3, s30
	v_mul_lo_u32 v20, v2, s31
	v_mad_u64_u32 v[16:17], s[4:5], v2, s30, 0
	v_add3_u32 v17, v17, v20, v19
	v_mul_lo_u32 v19, v5, s30
	v_mul_lo_u32 v22, v4, s31
	v_mad_u64_u32 v[20:21], s[4:5], v4, s30, 0
	v_add3_u32 v21, v21, v22, v19
	s_add_u32 s38, s30, -1
	v_lshl_add_u64 v[16:17], v[16:17], 1, s[20:21]
	v_lshl_add_u64 v[20:21], v[20:21], 1, s[20:21]
	s_addc_u32 s39, s31, -1
	s_mov_b64 s[14:15], 0
                                        ; implicit-def: $sgpr36_sgpr37
.LBB685_124:                            ; =>This Inner Loop Header: Depth=1
	global_load_ushort v19, v[16:17], off
	global_load_ushort v22, v[20:21], off
	s_add_u32 s4, s38, -1
	s_addc_u32 s5, s39, -1
	s_cmp_eq_u64 s[38:39], 0
	s_mov_b64 s[38:39], s[4:5]
	s_cselect_b64 s[40:41], -1, 0
	v_lshl_add_u64 v[16:17], v[16:17], 0, 2
	v_lshl_add_u64 v[20:21], v[20:21], 0, 2
	s_waitcnt vmcnt(0)
	v_cmp_ne_u16_e64 s[4:5], v19, v22
	s_or_b64 s[4:5], s[4:5], s[40:41]
	s_and_b64 s[4:5], exec, s[4:5]
	v_cmp_eq_u16_e32 vcc, v19, v22
	s_or_b64 s[14:15], s[4:5], s[14:15]
	s_andn2_b64 s[4:5], s[36:37], exec
	s_and_b64 s[36:37], vcc, exec
	s_or_b64 s[36:37], s[4:5], s[36:37]
	s_andn2_b64 exec, exec, s[14:15]
	s_cbranch_execnz .LBB685_124
; %bb.125:
	s_or_b64 exec, exec, s[14:15]
	s_xor_b64 s[4:5], s[36:37], -1
.LBB685_126:
	s_and_b64 s[14:15], s[4:5], exec
.LBB685_127:
	s_or_b64 exec, exec, s[18:19]
	v_add_u32_e32 v16, 4, v1
	v_cmp_gt_u32_e32 vcc, s3, v16
	s_mov_b64 s[18:19], 0
	s_mov_b64 s[36:37], 0
	s_and_saveexec_b64 s[38:39], vcc
	s_cbranch_execz .LBB685_133
; %bb.128:
	s_andn2_b64 vcc, exec, s[12:13]
	s_mov_b64 s[4:5], 0
	s_cbranch_vccnz .LBB685_132
; %bb.129:
	v_mul_lo_u32 v19, v9, s30
	v_mul_lo_u32 v20, v8, s31
	v_mad_u64_u32 v[16:17], s[4:5], v8, s30, 0
	v_add3_u32 v17, v17, v20, v19
	v_mul_lo_u32 v19, v3, s30
	v_mul_lo_u32 v22, v2, s31
	v_mad_u64_u32 v[20:21], s[4:5], v2, s30, 0
	v_add3_u32 v21, v21, v22, v19
	s_add_u32 s42, s30, -1
	v_lshl_add_u64 v[16:17], v[16:17], 1, s[20:21]
	v_lshl_add_u64 v[20:21], v[20:21], 1, s[20:21]
	s_addc_u32 s43, s31, -1
                                        ; implicit-def: $sgpr40_sgpr41
.LBB685_130:                            ; =>This Inner Loop Header: Depth=1
	global_load_ushort v19, v[16:17], off
	global_load_ushort v22, v[20:21], off
	s_add_u32 s4, s42, -1
	s_addc_u32 s5, s43, -1
	s_cmp_eq_u64 s[42:43], 0
	s_mov_b64 s[42:43], s[4:5]
	s_cselect_b64 s[44:45], -1, 0
	v_lshl_add_u64 v[16:17], v[16:17], 0, 2
	v_lshl_add_u64 v[20:21], v[20:21], 0, 2
	s_waitcnt vmcnt(0)
	v_cmp_ne_u16_e64 s[4:5], v19, v22
	s_or_b64 s[4:5], s[4:5], s[44:45]
	s_and_b64 s[4:5], exec, s[4:5]
	v_cmp_eq_u16_e32 vcc, v19, v22
	s_or_b64 s[36:37], s[4:5], s[36:37]
	s_andn2_b64 s[4:5], s[40:41], exec
	s_and_b64 s[40:41], vcc, exec
	s_or_b64 s[40:41], s[4:5], s[40:41]
	s_andn2_b64 exec, exec, s[36:37]
	s_cbranch_execnz .LBB685_130
; %bb.131:
	s_or_b64 exec, exec, s[36:37]
	s_xor_b64 s[4:5], s[40:41], -1
.LBB685_132:
	s_and_b64 s[36:37], s[4:5], exec
.LBB685_133:
	s_or_b64 exec, exec, s[38:39]
	v_add_u32_e32 v16, 3, v1
	v_cmp_gt_u32_e32 vcc, s3, v16
	s_and_saveexec_b64 s[38:39], vcc
	s_cbranch_execz .LBB685_139
; %bb.134:
	s_andn2_b64 vcc, exec, s[12:13]
	s_mov_b64 s[4:5], 0
	s_cbranch_vccnz .LBB685_138
; %bb.135:
	v_mul_lo_u32 v19, v7, s30
	v_mul_lo_u32 v20, v6, s31
	v_mad_u64_u32 v[16:17], s[4:5], v6, s30, 0
	v_add3_u32 v17, v17, v20, v19
	v_mul_lo_u32 v19, v9, s30
	v_mul_lo_u32 v22, v8, s31
	v_mad_u64_u32 v[20:21], s[4:5], v8, s30, 0
	v_add3_u32 v21, v21, v22, v19
	s_add_u32 s42, s30, -1
	v_lshl_add_u64 v[16:17], v[16:17], 1, s[20:21]
	v_lshl_add_u64 v[20:21], v[20:21], 1, s[20:21]
	s_addc_u32 s43, s31, -1
	s_mov_b64 s[18:19], 0
                                        ; implicit-def: $sgpr40_sgpr41
.LBB685_136:                            ; =>This Inner Loop Header: Depth=1
	global_load_ushort v19, v[16:17], off
	global_load_ushort v22, v[20:21], off
	s_add_u32 s4, s42, -1
	s_addc_u32 s5, s43, -1
	s_cmp_eq_u64 s[42:43], 0
	s_mov_b64 s[42:43], s[4:5]
	s_cselect_b64 s[44:45], -1, 0
	v_lshl_add_u64 v[16:17], v[16:17], 0, 2
	v_lshl_add_u64 v[20:21], v[20:21], 0, 2
	s_waitcnt vmcnt(0)
	v_cmp_ne_u16_e64 s[4:5], v19, v22
	s_or_b64 s[4:5], s[4:5], s[44:45]
	s_and_b64 s[4:5], exec, s[4:5]
	v_cmp_eq_u16_e32 vcc, v19, v22
	s_or_b64 s[18:19], s[4:5], s[18:19]
	s_andn2_b64 s[4:5], s[40:41], exec
	s_and_b64 s[40:41], vcc, exec
	s_or_b64 s[40:41], s[4:5], s[40:41]
	s_andn2_b64 exec, exec, s[18:19]
	s_cbranch_execnz .LBB685_136
; %bb.137:
	s_or_b64 exec, exec, s[18:19]
	s_xor_b64 s[4:5], s[40:41], -1
.LBB685_138:
	s_and_b64 s[18:19], s[4:5], exec
.LBB685_139:
	s_or_b64 exec, exec, s[38:39]
	v_add_u32_e32 v16, 2, v1
	v_cmp_gt_u32_e32 vcc, s3, v16
	s_mov_b64 s[38:39], 0
	s_mov_b64 s[40:41], 0
	s_and_saveexec_b64 s[42:43], vcc
	s_cbranch_execz .LBB685_145
; %bb.140:
	s_andn2_b64 vcc, exec, s[12:13]
	s_mov_b64 s[4:5], 0
	s_cbranch_vccnz .LBB685_144
; %bb.141:
	v_mul_lo_u32 v19, v13, s30
	v_mul_lo_u32 v20, v12, s31
	v_mad_u64_u32 v[16:17], s[4:5], v12, s30, 0
	v_add3_u32 v17, v17, v20, v19
	v_mul_lo_u32 v19, v7, s30
	v_mul_lo_u32 v22, v6, s31
	v_mad_u64_u32 v[20:21], s[4:5], v6, s30, 0
	v_add3_u32 v21, v21, v22, v19
	s_add_u32 s46, s30, -1
	v_lshl_add_u64 v[16:17], v[16:17], 1, s[20:21]
	v_lshl_add_u64 v[20:21], v[20:21], 1, s[20:21]
	s_addc_u32 s47, s31, -1
                                        ; implicit-def: $sgpr44_sgpr45
.LBB685_142:                            ; =>This Inner Loop Header: Depth=1
	global_load_ushort v19, v[16:17], off
	global_load_ushort v22, v[20:21], off
	s_add_u32 s4, s46, -1
	s_addc_u32 s5, s47, -1
	s_cmp_eq_u64 s[46:47], 0
	s_mov_b64 s[46:47], s[4:5]
	s_cselect_b64 s[48:49], -1, 0
	v_lshl_add_u64 v[16:17], v[16:17], 0, 2
	v_lshl_add_u64 v[20:21], v[20:21], 0, 2
	s_waitcnt vmcnt(0)
	v_cmp_ne_u16_e64 s[4:5], v19, v22
	s_or_b64 s[4:5], s[4:5], s[48:49]
	s_and_b64 s[4:5], exec, s[4:5]
	v_cmp_eq_u16_e32 vcc, v19, v22
	s_or_b64 s[40:41], s[4:5], s[40:41]
	s_andn2_b64 s[4:5], s[44:45], exec
	s_and_b64 s[44:45], vcc, exec
	s_or_b64 s[44:45], s[4:5], s[44:45]
	s_andn2_b64 exec, exec, s[40:41]
	s_cbranch_execnz .LBB685_142
; %bb.143:
	s_or_b64 exec, exec, s[40:41]
	s_xor_b64 s[4:5], s[44:45], -1
.LBB685_144:
	s_and_b64 s[40:41], s[4:5], exec
.LBB685_145:
	s_or_b64 exec, exec, s[42:43]
	v_add_u32_e32 v16, 1, v1
	v_cmp_gt_u32_e32 vcc, s3, v16
	s_and_saveexec_b64 s[42:43], vcc
	s_cbranch_execz .LBB685_151
; %bb.146:
	s_andn2_b64 vcc, exec, s[12:13]
	s_mov_b64 s[4:5], 0
	s_cbranch_vccnz .LBB685_150
; %bb.147:
	v_mul_lo_u32 v19, v11, s30
	v_mul_lo_u32 v20, v10, s31
	v_mad_u64_u32 v[16:17], s[4:5], v10, s30, 0
	v_add3_u32 v17, v17, v20, v19
	v_mul_lo_u32 v19, v13, s30
	v_mul_lo_u32 v22, v12, s31
	v_mad_u64_u32 v[20:21], s[4:5], v12, s30, 0
	v_add3_u32 v21, v21, v22, v19
	s_add_u32 s46, s30, -1
	v_lshl_add_u64 v[16:17], v[16:17], 1, s[20:21]
	v_lshl_add_u64 v[20:21], v[20:21], 1, s[20:21]
	s_addc_u32 s47, s31, -1
	s_mov_b64 s[38:39], 0
                                        ; implicit-def: $sgpr44_sgpr45
.LBB685_148:                            ; =>This Inner Loop Header: Depth=1
	global_load_ushort v19, v[16:17], off
	global_load_ushort v22, v[20:21], off
	s_add_u32 s4, s46, -1
	s_addc_u32 s5, s47, -1
	s_cmp_eq_u64 s[46:47], 0
	s_mov_b64 s[46:47], s[4:5]
	s_cselect_b64 s[48:49], -1, 0
	v_lshl_add_u64 v[16:17], v[16:17], 0, 2
	v_lshl_add_u64 v[20:21], v[20:21], 0, 2
	s_waitcnt vmcnt(0)
	v_cmp_ne_u16_e64 s[4:5], v19, v22
	s_or_b64 s[4:5], s[4:5], s[48:49]
	s_and_b64 s[4:5], exec, s[4:5]
	v_cmp_eq_u16_e32 vcc, v19, v22
	s_or_b64 s[38:39], s[4:5], s[38:39]
	s_andn2_b64 s[4:5], s[44:45], exec
	s_and_b64 s[44:45], vcc, exec
	s_or_b64 s[44:45], s[4:5], s[44:45]
	s_andn2_b64 exec, exec, s[38:39]
	s_cbranch_execnz .LBB685_148
; %bb.149:
	s_or_b64 exec, exec, s[38:39]
	s_xor_b64 s[4:5], s[44:45], -1
.LBB685_150:
	s_and_b64 s[38:39], s[4:5], exec
.LBB685_151:
	s_or_b64 exec, exec, s[42:43]
	v_cndmask_b32_e64 v17, 0, 1, s[36:37]
	v_cndmask_b32_e64 v40, 0, 1, s[14:15]
	;; [unrolled: 1-line block ×6, first 2 shown]
	v_mov_b32_e32 v16, 1
	v_cmp_ne_u32_e32 vcc, 0, v0
	s_waitcnt lgkmcnt(0)
	s_barrier
                                        ; implicit-def: $sgpr6_sgpr7
                                        ; implicit-def: $vgpr21
	s_and_saveexec_b64 s[14:15], vcc
	s_cbranch_execz .LBB685_159
; %bb.152:
	v_lshlrev_b16_e32 v21, 8, v42
	v_lshlrev_b16_e32 v22, 8, v20
	v_or_b32_e32 v21, 1, v21
	v_or_b32_sdwa v22, v41, v22 dst_sel:WORD_1 dst_unused:UNUSED_PAD src0_sel:DWORD src1_sel:DWORD
	v_cmp_gt_u32_e32 vcc, s3, v1
	v_or_b32_sdwa v21, v21, v22 dst_sel:DWORD dst_unused:UNUSED_PAD src0_sel:WORD_0 src1_sel:DWORD
	s_mov_b32 s33, 0x3020104
	s_mov_b64 s[6:7], 0
	s_and_saveexec_b64 s[18:19], vcc
	s_cbranch_execz .LBB685_158
; %bb.153:
	s_andn2_b64 vcc, exec, s[12:13]
	s_mov_b64 s[4:5], 0
	s_cbranch_vccnz .LBB685_157
; %bb.154:
	v_add_u32_e32 v22, -8, v26
	ds_read_b64 v[22:23], v22
	v_mul_lo_u32 v26, v11, s30
	v_mul_lo_u32 v27, v10, s31
                                        ; implicit-def: $sgpr12_sgpr13
	s_waitcnt lgkmcnt(0)
	v_mul_lo_u32 v24, v23, s30
	v_mul_lo_u32 v25, v22, s31
	v_mad_u64_u32 v[22:23], s[4:5], v22, s30, 0
	v_add3_u32 v23, v23, v25, v24
	v_mad_u64_u32 v[24:25], s[4:5], v10, s30, 0
	v_add3_u32 v25, v25, v27, v26
	v_lshl_add_u64 v[22:23], v[22:23], 1, s[20:21]
	v_lshl_add_u64 v[24:25], v[24:25], 1, s[20:21]
	s_add_u32 s20, s30, -1
	s_addc_u32 s21, s31, -1
.LBB685_155:                            ; =>This Inner Loop Header: Depth=1
	global_load_ushort v26, v[22:23], off
	global_load_ushort v27, v[24:25], off
	s_add_u32 s4, s20, -1
	s_addc_u32 s5, s21, -1
	s_cmp_eq_u64 s[20:21], 0
	s_mov_b64 s[20:21], s[4:5]
	s_cselect_b64 s[30:31], -1, 0
	v_lshl_add_u64 v[22:23], v[22:23], 0, 2
	v_lshl_add_u64 v[24:25], v[24:25], 0, 2
	s_waitcnt vmcnt(0)
	v_cmp_ne_u16_e64 s[4:5], v26, v27
	s_or_b64 s[4:5], s[4:5], s[30:31]
	s_and_b64 s[4:5], exec, s[4:5]
	v_cmp_eq_u16_e32 vcc, v26, v27
	s_or_b64 s[6:7], s[4:5], s[6:7]
	s_andn2_b64 s[4:5], s[12:13], exec
	s_and_b64 s[12:13], vcc, exec
	s_or_b64 s[12:13], s[4:5], s[12:13]
	s_andn2_b64 exec, exec, s[6:7]
	s_cbranch_execnz .LBB685_155
; %bb.156:
	s_or_b64 exec, exec, s[6:7]
	s_xor_b64 s[4:5], s[12:13], -1
.LBB685_157:
	s_and_b64 s[6:7], s[4:5], exec
.LBB685_158:
	s_or_b64 exec, exec, s[18:19]
	v_perm_b32 v21, v21, v21, s33
	s_or_b64 s[10:11], s[10:11], exec
.LBB685_159:
	s_or_b64 exec, exec, s[14:15]
.LBB685_160:
	s_and_saveexec_b64 s[4:5], s[10:11]
; %bb.161:
	v_lshrrev_b32_e32 v20, 24, v21
	v_lshrrev_b32_e32 v41, 16, v21
	;; [unrolled: 1-line block ×3, first 2 shown]
	v_cndmask_b32_e64 v16, 0, 1, s[6:7]
; %bb.162:
	s_or_b64 exec, exec, s[4:5]
	s_andn2_b64 vcc, exec, s[8:9]
	s_cbranch_vccnz .LBB685_166
; %bb.163:
	s_mov_b32 s4, 0xc0c0004
	v_perm_b32 v20, v41, v20, s4
	v_perm_b32 v16, v16, v42, s4
	v_lshlrev_b32_e32 v20, 16, v20
	v_or_b32_e32 v16, v16, v20
	v_cmp_gt_u32_e32 vcc, s3, v1
	v_add_u32_e32 v22, 1, v1
	v_perm_b32 v17, v17, v40, s4
	v_cndmask_b32_e32 v20, v20, v16, vcc
	v_and_b32_e32 v20, 0xffff00ff, v20
	v_cmp_gt_u32_e32 vcc, s3, v22
	v_add_u32_e32 v22, 2, v1
	s_mov_b32 s4, 0x40c0100
	v_cndmask_b32_e32 v20, v20, v16, vcc
	v_lshrrev_b32_e32 v23, 24, v20
	v_and_b32_e32 v19, 0xff, v19
	v_perm_b32 v20, v23, v20, s4
	v_cmp_gt_u32_e32 vcc, s3, v22
	v_lshlrev_b32_e32 v19, 16, v19
	v_add_u32_e32 v22, 3, v1
	v_cndmask_b32_e32 v20, v20, v16, vcc
	s_mov_b32 s4, 0xffff00
	v_or_b32_e32 v21, v17, v19
	v_and_b32_e32 v20, 0xffffff, v20
	v_cmp_gt_u32_e32 vcc, s3, v22
	v_bitop3_b32 v17, v17, s4, v19 bitop3:0xc8
	v_add_u32_e32 v19, 4, v1
	v_cndmask_b32_e32 v20, v20, v16, vcc
	v_cmp_gt_u32_e32 vcc, s3, v19
	v_add_u32_e32 v19, 5, v1
	v_cmp_gt_u32_e64 s[4:5], s3, v19
	v_cndmask_b32_e32 v17, v17, v21, vcc
	v_and_b32_e32 v17, 0xffff00ff, v17
	s_or_b64 vcc, s[4:5], vcc
	v_cndmask_b32_e64 v17, v17, v21, s[4:5]
	v_cndmask_b32_e32 v16, v20, v16, vcc
	v_add_u32_e32 v1, 6, v1
	v_lshrrev_b32_e32 v41, 16, v16
	v_lshrrev_b32_e32 v42, 8, v16
	v_lshrrev_b64 v[20:21], 24, v[16:17]
	v_lshrrev_b32_e32 v19, 16, v17
	v_lshrrev_b32_e32 v40, 8, v17
	v_cmp_le_u32_e32 vcc, s3, v1
	s_and_saveexec_b64 s[4:5], vcc
; %bb.164:
	v_mov_b32_e32 v19, 0
; %bb.165:
	s_or_b64 exec, exec, s[4:5]
.LBB685_166:
	v_and_b32_e32 v1, 0xff, v16
	v_and_b32_e32 v21, 0xff, v42
	;; [unrolled: 1-line block ×5, first 2 shown]
	v_add3_u32 v23, v21, v1, v33
	v_and_b32_e32 v39, 0xff, v40
	v_and_b32_e32 v22, 0xff, v19
	v_add3_u32 v23, v23, v35, v37
	v_add3_u32 v45, v23, v39, v22
	v_mbcnt_lo_u32_b32 v22, -1, 0
	v_mbcnt_hi_u32_b32 v43, -1, v22
	v_and_b32_e32 v22, 15, v43
	v_cmp_eq_u32_e64 s[14:15], 0, v22
	v_cmp_lt_u32_e64 s[12:13], 1, v22
	v_cmp_lt_u32_e64 s[10:11], 3, v22
	;; [unrolled: 1-line block ×3, first 2 shown]
	v_and_b32_e32 v22, 16, v43
	v_cmp_eq_u32_e64 s[6:7], 0, v22
	v_or_b32_e32 v22, 63, v0
	v_cmp_lt_u32_e64 s[18:19], 31, v43
	v_lshrrev_b32_e32 v44, 6, v0
	v_cmp_eq_u32_e64 s[4:5], v0, v22
	s_and_b64 vcc, exec, s[16:17]
	s_waitcnt lgkmcnt(0)
	s_barrier
	s_cbranch_vccz .LBB685_188
; %bb.167:
	v_mov_b32_dpp v22, v45 row_shr:1 row_mask:0xf bank_mask:0xf
	v_cndmask_b32_e64 v22, v22, 0, s[14:15]
	v_add_u32_e32 v22, v22, v45
	s_nop 1
	v_mov_b32_dpp v23, v22 row_shr:2 row_mask:0xf bank_mask:0xf
	v_cndmask_b32_e64 v23, 0, v23, s[12:13]
	v_add_u32_e32 v22, v22, v23
	s_nop 1
	v_mov_b32_dpp v23, v22 row_shr:4 row_mask:0xf bank_mask:0xf
	v_cndmask_b32_e64 v23, 0, v23, s[10:11]
	v_add_u32_e32 v22, v22, v23
	s_nop 1
	v_mov_b32_dpp v23, v22 row_shr:8 row_mask:0xf bank_mask:0xf
	v_cndmask_b32_e64 v23, 0, v23, s[8:9]
	v_add_u32_e32 v22, v22, v23
	s_nop 1
	v_mov_b32_dpp v23, v22 row_bcast:15 row_mask:0xf bank_mask:0xf
	v_cndmask_b32_e64 v23, v23, 0, s[6:7]
	v_add_u32_e32 v22, v22, v23
	s_nop 1
	v_mov_b32_dpp v23, v22 row_bcast:31 row_mask:0xf bank_mask:0xf
	v_cndmask_b32_e64 v23, 0, v23, s[18:19]
	v_add_u32_e32 v22, v22, v23
	s_and_saveexec_b64 s[16:17], s[4:5]
; %bb.168:
	v_lshlrev_b32_e32 v23, 2, v44
	ds_write_b32 v23, v22
; %bb.169:
	s_or_b64 exec, exec, s[16:17]
	v_cmp_gt_u32_e32 vcc, 8, v0
	s_waitcnt lgkmcnt(0)
	s_barrier
	s_and_saveexec_b64 s[16:17], vcc
	s_cbranch_execz .LBB685_171
; %bb.170:
	v_lshlrev_b32_e32 v23, 2, v0
	ds_read_b32 v24, v23
	v_and_b32_e32 v25, 7, v43
	v_cmp_ne_u32_e32 vcc, 0, v25
	s_waitcnt lgkmcnt(0)
	v_mov_b32_dpp v26, v24 row_shr:1 row_mask:0xf bank_mask:0xf
	v_cndmask_b32_e32 v26, 0, v26, vcc
	v_add_u32_e32 v24, v26, v24
	v_cmp_lt_u32_e32 vcc, 1, v25
	s_nop 0
	v_mov_b32_dpp v26, v24 row_shr:2 row_mask:0xf bank_mask:0xf
	v_cndmask_b32_e32 v26, 0, v26, vcc
	v_add_u32_e32 v24, v24, v26
	v_cmp_lt_u32_e32 vcc, 3, v25
	s_nop 0
	v_mov_b32_dpp v26, v24 row_shr:4 row_mask:0xf bank_mask:0xf
	v_cndmask_b32_e32 v25, 0, v26, vcc
	v_add_u32_e32 v24, v24, v25
	ds_write_b32 v23, v24
.LBB685_171:
	s_or_b64 exec, exec, s[16:17]
	v_cmp_gt_u32_e32 vcc, 64, v0
	v_cmp_lt_u32_e64 s[16:17], 63, v0
	s_waitcnt lgkmcnt(0)
	s_barrier
                                        ; implicit-def: $vgpr32
	s_and_saveexec_b64 s[20:21], s[16:17]
	s_cbranch_execz .LBB685_173
; %bb.172:
	v_lshl_add_u32 v23, v44, 2, -4
	ds_read_b32 v32, v23
	s_waitcnt lgkmcnt(0)
	v_add_u32_e32 v22, v32, v22
.LBB685_173:
	s_or_b64 exec, exec, s[20:21]
	v_subrev_co_u32_e64 v23, s[16:17], 1, v43
	v_and_b32_e32 v24, 64, v43
	v_cmp_lt_i32_e64 s[20:21], v23, v24
	s_nop 1
	v_cndmask_b32_e64 v23, v23, v43, s[20:21]
	v_lshlrev_b32_e32 v23, 2, v23
	ds_bpermute_b32 v34, v23, v22
	s_and_saveexec_b64 s[20:21], vcc
	s_cbranch_execz .LBB685_193
; %bb.174:
	v_mov_b32_e32 v29, 0
	ds_read_b32 v22, v29 offset:28
	s_and_saveexec_b64 s[30:31], s[16:17]
	s_cbranch_execz .LBB685_176
; %bb.175:
	s_add_i32 s36, s2, 64
	s_mov_b32 s37, 0
	s_lshl_b64 s[36:37], s[36:37], 3
	s_add_u32 s36, s22, s36
	v_mov_b32_e32 v23, 1
	s_addc_u32 s37, s23, s37
	s_waitcnt lgkmcnt(0)
	global_store_dwordx2 v29, v[22:23], s[36:37] sc1
.LBB685_176:
	s_or_b64 exec, exec, s[30:31]
	v_xad_u32 v24, v43, -1, s2
	v_add_u32_e32 v28, 64, v24
	v_lshl_add_u64 v[30:31], v[28:29], 3, s[22:23]
	global_load_dwordx2 v[26:27], v[30:31], off sc1
	s_waitcnt vmcnt(0)
	v_cmp_eq_u16_sdwa s[36:37], v27, v29 src0_sel:BYTE_0 src1_sel:DWORD
	s_and_saveexec_b64 s[30:31], s[36:37]
	s_cbranch_execz .LBB685_180
; %bb.177:
	s_mov_b64 s[36:37], 0
	v_mov_b32_e32 v23, 0
.LBB685_178:                            ; =>This Inner Loop Header: Depth=1
	global_load_dwordx2 v[26:27], v[30:31], off sc1
	s_waitcnt vmcnt(0)
	v_cmp_ne_u16_sdwa s[38:39], v27, v23 src0_sel:BYTE_0 src1_sel:DWORD
	s_or_b64 s[36:37], s[38:39], s[36:37]
	s_andn2_b64 exec, exec, s[36:37]
	s_cbranch_execnz .LBB685_178
; %bb.179:
	s_or_b64 exec, exec, s[36:37]
.LBB685_180:
	s_or_b64 exec, exec, s[30:31]
	v_and_b32_e32 v38, 63, v43
	v_mov_b32_e32 v36, 2
	v_cmp_ne_u32_e32 vcc, 63, v38
	v_cmp_eq_u16_sdwa s[30:31], v27, v36 src0_sel:BYTE_0 src1_sel:DWORD
	v_lshlrev_b64 v[28:29], v43, -1
	v_addc_co_u32_e32 v30, vcc, 0, v43, vcc
	v_and_b32_e32 v23, s31, v29
	v_lshlrev_b32_e32 v46, 2, v30
	v_or_b32_e32 v23, 0x80000000, v23
	ds_bpermute_b32 v30, v46, v26
	v_and_b32_e32 v25, s30, v28
	v_ffbl_b32_e32 v23, v23
	v_add_u32_e32 v23, 32, v23
	v_ffbl_b32_e32 v25, v25
	v_min_u32_e32 v23, v25, v23
	v_cmp_lt_u32_e32 vcc, v38, v23
	v_add_u32_e32 v48, 2, v38
	v_add_u32_e32 v50, 4, v38
	s_waitcnt lgkmcnt(0)
	v_cndmask_b32_e32 v25, 0, v30, vcc
	v_cmp_gt_u32_e32 vcc, 62, v38
	v_add_u32_e32 v25, v25, v26
	v_add_u32_e32 v52, 8, v38
	v_cndmask_b32_e64 v26, 0, 2, vcc
	v_add_lshl_u32 v47, v26, v43, 2
	ds_bpermute_b32 v26, v47, v25
	v_cmp_le_u32_e32 vcc, v48, v23
	v_add_u32_e32 v54, 16, v38
	v_add_u32_e32 v56, 32, v38
	s_waitcnt lgkmcnt(0)
	v_cndmask_b32_e32 v26, 0, v26, vcc
	v_cmp_gt_u32_e32 vcc, 60, v38
	v_add_u32_e32 v25, v25, v26
	s_nop 0
	v_cndmask_b32_e64 v26, 0, 4, vcc
	v_add_lshl_u32 v49, v26, v43, 2
	ds_bpermute_b32 v26, v49, v25
	v_cmp_le_u32_e32 vcc, v50, v23
	s_waitcnt lgkmcnt(0)
	s_nop 0
	v_cndmask_b32_e32 v26, 0, v26, vcc
	v_cmp_gt_u32_e32 vcc, 56, v38
	v_add_u32_e32 v25, v25, v26
	s_nop 0
	v_cndmask_b32_e64 v26, 0, 8, vcc
	v_add_lshl_u32 v51, v26, v43, 2
	ds_bpermute_b32 v26, v51, v25
	v_cmp_le_u32_e32 vcc, v52, v23
	s_waitcnt lgkmcnt(0)
	s_nop 0
	;; [unrolled: 10-line block ×3, first 2 shown]
	v_cndmask_b32_e32 v26, 0, v26, vcc
	v_add_u32_e32 v25, v25, v26
	v_mov_b32_e32 v26, 0x80
	v_lshl_or_b32 v55, v43, 2, v26
	ds_bpermute_b32 v26, v55, v25
	v_cmp_le_u32_e32 vcc, v56, v23
	s_waitcnt lgkmcnt(0)
	s_nop 0
	v_cndmask_b32_e32 v23, 0, v26, vcc
	v_add_u32_e32 v26, v25, v23
	v_mov_b32_e32 v25, 0
	s_branch .LBB685_183
.LBB685_181:                            ;   in Loop: Header=BB685_183 Depth=1
	s_or_b64 exec, exec, s[30:31]
	v_cmp_eq_u16_sdwa s[30:31], v27, v36 src0_sel:BYTE_0 src1_sel:DWORD
	ds_bpermute_b32 v57, v46, v26
	v_subrev_u32_e32 v24, 64, v24
	v_and_b32_e32 v30, s31, v29
	v_or_b32_e32 v30, 0x80000000, v30
	v_and_b32_e32 v31, s30, v28
	v_ffbl_b32_e32 v30, v30
	v_add_u32_e32 v30, 32, v30
	v_ffbl_b32_e32 v31, v31
	v_min_u32_e32 v30, v31, v30
	v_cmp_lt_u32_e32 vcc, v38, v30
	s_mov_b64 s[30:31], 0
	s_waitcnt lgkmcnt(0)
	v_cndmask_b32_e32 v31, 0, v57, vcc
	v_add_u32_e32 v26, v31, v26
	ds_bpermute_b32 v31, v47, v26
	v_cmp_le_u32_e32 vcc, v48, v30
	s_waitcnt lgkmcnt(0)
	s_nop 0
	v_cndmask_b32_e32 v31, 0, v31, vcc
	v_add_u32_e32 v26, v26, v31
	ds_bpermute_b32 v31, v49, v26
	v_cmp_le_u32_e32 vcc, v50, v30
	s_waitcnt lgkmcnt(0)
	s_nop 0
	;; [unrolled: 6-line block ×5, first 2 shown]
	v_cndmask_b32_e32 v30, 0, v31, vcc
	v_add3_u32 v26, v30, v23, v26
.LBB685_182:                            ;   in Loop: Header=BB685_183 Depth=1
	s_and_b64 vcc, exec, s[30:31]
	s_cbranch_vccnz .LBB685_189
.LBB685_183:                            ; =>This Loop Header: Depth=1
                                        ;     Child Loop BB685_186 Depth 2
	v_cmp_ne_u16_sdwa s[30:31], v27, v36 src0_sel:BYTE_0 src1_sel:DWORD
	v_mov_b32_e32 v23, v26
	s_cmp_lg_u64 s[30:31], exec
	s_mov_b64 s[30:31], -1
                                        ; implicit-def: $vgpr26
                                        ; implicit-def: $vgpr27
	s_cbranch_scc1 .LBB685_182
; %bb.184:                              ;   in Loop: Header=BB685_183 Depth=1
	v_lshl_add_u64 v[30:31], v[24:25], 3, s[22:23]
	global_load_dwordx2 v[26:27], v[30:31], off sc1
	s_waitcnt vmcnt(0)
	v_cmp_eq_u16_sdwa s[36:37], v27, v25 src0_sel:BYTE_0 src1_sel:DWORD
	s_and_saveexec_b64 s[30:31], s[36:37]
	s_cbranch_execz .LBB685_181
; %bb.185:                              ;   in Loop: Header=BB685_183 Depth=1
	s_mov_b64 s[36:37], 0
.LBB685_186:                            ;   Parent Loop BB685_183 Depth=1
                                        ; =>  This Inner Loop Header: Depth=2
	global_load_dwordx2 v[26:27], v[30:31], off sc1
	s_waitcnt vmcnt(0)
	v_cmp_ne_u16_sdwa s[38:39], v27, v25 src0_sel:BYTE_0 src1_sel:DWORD
	s_or_b64 s[36:37], s[38:39], s[36:37]
	s_andn2_b64 exec, exec, s[36:37]
	s_cbranch_execnz .LBB685_186
; %bb.187:                              ;   in Loop: Header=BB685_183 Depth=1
	s_or_b64 exec, exec, s[36:37]
	s_branch .LBB685_181
.LBB685_188:
                                        ; implicit-def: $vgpr26
                                        ; implicit-def: $vgpr28
                                        ; implicit-def: $vgpr30
                                        ; implicit-def: $vgpr32
                                        ; implicit-def: $vgpr34
                                        ; implicit-def: $vgpr36
                                        ; implicit-def: $vgpr38
                                        ; implicit-def: $vgpr24
                                        ; implicit-def: $vgpr22
	s_load_dwordx2 s[2:3], s[0:1], 0x28
	s_cbranch_execnz .LBB685_194
	s_branch .LBB685_203
.LBB685_189:
	s_and_saveexec_b64 s[30:31], s[16:17]
	s_cbranch_execz .LBB685_191
; %bb.190:
	s_add_i32 s2, s2, 64
	s_mov_b32 s3, 0
	s_lshl_b64 s[2:3], s[2:3], 3
	s_add_u32 s2, s22, s2
	v_add_u32_e32 v24, v23, v22
	v_mov_b32_e32 v25, 2
	s_addc_u32 s3, s23, s3
	v_mov_b32_e32 v26, 0
	global_store_dwordx2 v26, v[24:25], s[2:3] sc1
	ds_write_b64 v26, v[22:23] offset:28672
.LBB685_191:
	s_or_b64 exec, exec, s[30:31]
	v_cmp_eq_u32_e32 vcc, 0, v0
	s_and_b64 exec, exec, vcc
; %bb.192:
	v_mov_b32_e32 v22, 0
	ds_write_b32 v22, v23 offset:28
.LBB685_193:
	s_or_b64 exec, exec, s[20:21]
	v_mov_b32_e32 v22, 0
	s_waitcnt lgkmcnt(0)
	s_barrier
	ds_read_b32 v23, v22 offset:28
	v_cndmask_b32_e64 v24, v34, v32, s[16:17]
	v_cmp_ne_u32_e32 vcc, 0, v0
	s_waitcnt lgkmcnt(0)
	s_barrier
	v_cndmask_b32_e32 v24, 0, v24, vcc
	v_add_u32_e32 v38, v23, v24
	v_add_u32_e32 v36, v38, v1
	ds_read_b64 v[22:23], v22 offset:28672
	v_add_u32_e32 v34, v36, v21
	v_add_u32_e32 v32, v34, v33
	;; [unrolled: 1-line block ×5, first 2 shown]
	s_waitcnt lgkmcnt(0)
	v_mov_b32_e32 v24, v23
	s_load_dwordx2 s[2:3], s[0:1], 0x28
	s_branch .LBB685_203
.LBB685_194:
	v_mov_b32_dpp v22, v45 row_shr:1 row_mask:0xf bank_mask:0xf
	v_cndmask_b32_e64 v22, v22, 0, s[14:15]
	v_add_u32_e32 v22, v22, v45
	s_nop 1
	v_mov_b32_dpp v23, v22 row_shr:2 row_mask:0xf bank_mask:0xf
	v_cndmask_b32_e64 v23, 0, v23, s[12:13]
	v_add_u32_e32 v22, v22, v23
	s_nop 1
	;; [unrolled: 4-line block ×4, first 2 shown]
	v_mov_b32_dpp v23, v22 row_bcast:15 row_mask:0xf bank_mask:0xf
	v_cndmask_b32_e64 v23, v23, 0, s[6:7]
	v_add_u32_e32 v22, v22, v23
	s_nop 1
	v_mov_b32_dpp v23, v22 row_bcast:31 row_mask:0xf bank_mask:0xf
	v_cndmask_b32_e64 v23, 0, v23, s[18:19]
	v_add_u32_e32 v22, v22, v23
	s_and_saveexec_b64 s[0:1], s[4:5]
; %bb.195:
	v_lshlrev_b32_e32 v23, 2, v44
	ds_write_b32 v23, v22
; %bb.196:
	s_or_b64 exec, exec, s[0:1]
	v_cmp_gt_u32_e32 vcc, 8, v0
	s_waitcnt lgkmcnt(0)
	s_barrier
	s_and_saveexec_b64 s[0:1], vcc
	s_cbranch_execz .LBB685_198
; %bb.197:
	v_lshlrev_b32_e32 v23, 2, v0
	ds_read_b32 v24, v23
	v_and_b32_e32 v25, 7, v43
	v_cmp_ne_u32_e32 vcc, 0, v25
	s_waitcnt lgkmcnt(0)
	v_mov_b32_dpp v26, v24 row_shr:1 row_mask:0xf bank_mask:0xf
	v_cndmask_b32_e32 v26, 0, v26, vcc
	v_add_u32_e32 v24, v26, v24
	v_cmp_lt_u32_e32 vcc, 1, v25
	s_nop 0
	v_mov_b32_dpp v26, v24 row_shr:2 row_mask:0xf bank_mask:0xf
	v_cndmask_b32_e32 v26, 0, v26, vcc
	v_add_u32_e32 v24, v24, v26
	v_cmp_lt_u32_e32 vcc, 3, v25
	s_nop 0
	v_mov_b32_dpp v26, v24 row_shr:4 row_mask:0xf bank_mask:0xf
	v_cndmask_b32_e32 v25, 0, v26, vcc
	v_add_u32_e32 v24, v24, v25
	ds_write_b32 v23, v24
.LBB685_198:
	s_or_b64 exec, exec, s[0:1]
	v_cmp_lt_u32_e32 vcc, 63, v0
	v_mov_b32_e32 v23, 0
	v_mov_b32_e32 v24, 0
	s_waitcnt lgkmcnt(0)
	s_barrier
	s_and_saveexec_b64 s[0:1], vcc
; %bb.199:
	v_lshl_add_u32 v24, v44, 2, -4
	ds_read_b32 v24, v24
; %bb.200:
	s_or_b64 exec, exec, s[0:1]
	v_subrev_co_u32_e32 v25, vcc, 1, v43
	v_and_b32_e32 v26, 64, v43
	v_cmp_lt_i32_e64 s[0:1], v25, v26
	s_waitcnt lgkmcnt(0)
	v_add_u32_e32 v22, v24, v22
	v_cndmask_b32_e64 v25, v25, v43, s[0:1]
	v_lshlrev_b32_e32 v25, 2, v25
	ds_bpermute_b32 v25, v25, v22
	ds_read_b32 v22, v23 offset:28
	v_cmp_eq_u32_e64 s[0:1], 0, v0
	s_and_saveexec_b64 s[4:5], s[0:1]
	s_cbranch_execz .LBB685_202
; %bb.201:
	v_mov_b32_e32 v26, 0
	v_mov_b32_e32 v23, 2
	s_waitcnt lgkmcnt(0)
	global_store_dwordx2 v26, v[22:23], s[22:23] offset:512 sc1
.LBB685_202:
	s_or_b64 exec, exec, s[4:5]
	s_waitcnt lgkmcnt(1)
	v_cndmask_b32_e32 v23, v25, v24, vcc
	v_cndmask_b32_e64 v38, v23, 0, s[0:1]
	v_add_u32_e32 v36, v38, v1
	v_add_u32_e32 v34, v36, v21
	v_add_u32_e32 v32, v34, v33
	v_add_u32_e32 v30, v32, v35
	v_add_u32_e32 v28, v30, v37
	v_add_u32_e32 v26, v28, v39
	s_waitcnt lgkmcnt(0)
	s_barrier
	v_mov_b32_e32 v24, 0
.LBB685_203:
	s_movk_i32 s0, 0x201
	v_cmp_gt_u32_e32 vcc, s0, v22
	v_and_b32_e32 v1, 1, v16
	s_mov_b64 s[4:5], -1
	v_cmp_eq_u32_e64 s[0:1], 1, v1
	s_cbranch_vccnz .LBB685_207
; %bb.204:
	s_and_b64 vcc, exec, s[4:5]
	s_cbranch_vccnz .LBB685_222
.LBB685_205:
	v_cmp_eq_u32_e32 vcc, 0, v0
	s_and_b64 s[0:1], vcc, s[28:29]
	s_waitcnt lgkmcnt(0)
	s_and_saveexec_b64 s[2:3], s[0:1]
	s_cbranch_execnz .LBB685_239
.LBB685_206:
	s_endpgm
.LBB685_207:
	v_add_u32_e32 v16, v24, v22
	v_cmp_lt_u32_e32 vcc, v38, v16
	s_or_b64 s[4:5], s[34:35], vcc
	s_and_b64 s[4:5], s[4:5], s[0:1]
	s_and_saveexec_b64 s[0:1], s[4:5]
	s_cbranch_execz .LBB685_209
; %bb.208:
	s_lshl_b64 s[4:5], s[26:27], 3
	s_waitcnt lgkmcnt(0)
	s_add_u32 s4, s2, s4
	s_addc_u32 s5, s3, s5
	v_mov_b32_e32 v39, 0
	v_lshl_add_u64 v[44:45], v[38:39], 3, s[4:5]
	global_store_dwordx2 v[44:45], v[10:11], off
.LBB685_209:
	s_or_b64 exec, exec, s[0:1]
	v_cmp_lt_u32_e32 vcc, v36, v16
	v_and_b32_e32 v21, 1, v42
	s_or_b64 s[0:1], s[34:35], vcc
	v_cmp_eq_u32_e32 vcc, 1, v21
	s_and_b64 s[4:5], s[0:1], vcc
	s_and_saveexec_b64 s[0:1], s[4:5]
	s_cbranch_execz .LBB685_211
; %bb.210:
	s_lshl_b64 s[4:5], s[26:27], 3
	s_waitcnt lgkmcnt(0)
	s_add_u32 s4, s2, s4
	s_addc_u32 s5, s3, s5
	v_mov_b32_e32 v37, 0
	v_lshl_add_u64 v[44:45], v[36:37], 3, s[4:5]
	global_store_dwordx2 v[44:45], v[12:13], off
.LBB685_211:
	s_or_b64 exec, exec, s[0:1]
	v_cmp_lt_u32_e32 vcc, v34, v16
	v_and_b32_e32 v21, 1, v41
	s_or_b64 s[0:1], s[34:35], vcc
	v_cmp_eq_u32_e32 vcc, 1, v21
	s_and_b64 s[4:5], s[0:1], vcc
	;; [unrolled: 17-line block ×6, first 2 shown]
	s_and_saveexec_b64 s[0:1], s[4:5]
	s_cbranch_execz .LBB685_221
; %bb.220:
	s_lshl_b64 s[4:5], s[26:27], 3
	s_waitcnt lgkmcnt(0)
	s_add_u32 s4, s2, s4
	s_addc_u32 s5, s3, s5
	v_mov_b32_e32 v27, 0
	v_lshl_add_u64 v[44:45], v[26:27], 3, s[4:5]
	global_store_dwordx2 v[44:45], v[14:15], off
.LBB685_221:
	s_or_b64 exec, exec, s[0:1]
	s_branch .LBB685_205
.LBB685_222:
	v_cmp_eq_u32_e32 vcc, 1, v1
	s_and_saveexec_b64 s[0:1], vcc
; %bb.223:
	v_sub_u32_e32 v1, v38, v24
	v_lshlrev_b32_e32 v1, 3, v1
	ds_write_b64 v1, v[10:11]
; %bb.224:
	s_or_b64 exec, exec, s[0:1]
	v_and_b32_e32 v1, 1, v42
	v_cmp_eq_u32_e32 vcc, 1, v1
	s_and_saveexec_b64 s[0:1], vcc
; %bb.225:
	v_sub_u32_e32 v1, v36, v24
	v_lshlrev_b32_e32 v1, 3, v1
	ds_write_b64 v1, v[12:13]
; %bb.226:
	s_or_b64 exec, exec, s[0:1]
	v_and_b32_e32 v1, 1, v41
	;; [unrolled: 9-line block ×6, first 2 shown]
	v_cmp_eq_u32_e32 vcc, 1, v1
	s_and_saveexec_b64 s[0:1], vcc
; %bb.235:
	v_sub_u32_e32 v1, v26, v24
	v_lshlrev_b32_e32 v1, 3, v1
	ds_write_b64 v1, v[14:15]
; %bb.236:
	s_or_b64 exec, exec, s[0:1]
	v_mov_b32_e32 v25, 0
	s_lshl_b64 s[0:1], s[26:27], 3
	v_lshlrev_b64 v[2:3], 3, v[24:25]
	v_lshl_add_u64 v[2:3], s[0:1], 0, v[2:3]
	v_mov_b32_e32 v19, v25
	s_waitcnt lgkmcnt(0)
	v_lshl_add_u64 v[2:3], s[2:3], 0, v[2:3]
	v_lshl_add_u64 v[2:3], v[2:3], 0, v[18:19]
	s_mov_b64 s[0:1], 0
	s_mov_b64 s[2:3], 0x1000
	v_mov_b32_e32 v1, v0
	s_barrier
.LBB685_237:                            ; =>This Inner Loop Header: Depth=1
	ds_read_b64 v[4:5], v18
	v_add_u32_e32 v1, 0x200, v1
	v_cmp_ge_u32_e32 vcc, v1, v22
	v_add_u32_e32 v18, 0x1000, v18
	s_or_b64 s[0:1], vcc, s[0:1]
	s_waitcnt lgkmcnt(0)
	global_store_dwordx2 v[2:3], v[4:5], off
	v_lshl_add_u64 v[2:3], v[2:3], 0, s[2:3]
	s_andn2_b64 exec, exec, s[0:1]
	s_cbranch_execnz .LBB685_237
; %bb.238:
	s_or_b64 exec, exec, s[0:1]
	v_cmp_eq_u32_e32 vcc, 0, v0
	s_and_b64 s[0:1], vcc, s[28:29]
	s_and_saveexec_b64 s[2:3], s[0:1]
	s_cbranch_execz .LBB685_206
.LBB685_239:
	v_mov_b32_e32 v23, 0
	v_lshl_add_u64 v[0:1], s[26:27], 0, v[22:23]
	v_mov_b32_e32 v25, v23
	v_lshl_add_u64 v[0:1], v[0:1], 0, v[24:25]
	global_store_dwordx2 v23, v[0:1], s[24:25]
	s_endpgm
	.section	.rodata,"a",@progbits
	.p2align	6, 0x0
	.amdhsa_kernel _ZN7rocprim17ROCPRIM_400000_NS6detail17trampoline_kernelINS0_14default_configENS1_25partition_config_selectorILNS1_17partition_subalgoE8ElNS0_10empty_typeEbEEZZNS1_14partition_implILS5_8ELb0ES3_jPlPS6_PKS6_NS0_5tupleIJS9_S6_EEENSD_IJSA_SA_EEENS0_18inequality_wrapperIZN2at6native12_GLOBAL__N_124unique_dim_cuda_templateIsEESt5tupleIJNSH_6TensorESM_SM_EERKSM_lbbbEUlllE0_EEPmJS6_EEE10hipError_tPvRmT3_T4_T5_T6_T7_T9_mT8_P12ihipStream_tbDpT10_ENKUlT_T0_E_clISt17integral_constantIbLb0EES1C_EEDaS17_S18_EUlS17_E_NS1_11comp_targetILNS1_3genE0ELNS1_11target_archE4294967295ELNS1_3gpuE0ELNS1_3repE0EEENS1_30default_config_static_selectorELNS0_4arch9wavefront6targetE1EEEvT1_
		.amdhsa_group_segment_fixed_size 28680
		.amdhsa_private_segment_fixed_size 0
		.amdhsa_kernarg_size 120
		.amdhsa_user_sgpr_count 2
		.amdhsa_user_sgpr_dispatch_ptr 0
		.amdhsa_user_sgpr_queue_ptr 0
		.amdhsa_user_sgpr_kernarg_segment_ptr 1
		.amdhsa_user_sgpr_dispatch_id 0
		.amdhsa_user_sgpr_kernarg_preload_length 0
		.amdhsa_user_sgpr_kernarg_preload_offset 0
		.amdhsa_user_sgpr_private_segment_size 0
		.amdhsa_uses_dynamic_stack 0
		.amdhsa_enable_private_segment 0
		.amdhsa_system_sgpr_workgroup_id_x 1
		.amdhsa_system_sgpr_workgroup_id_y 0
		.amdhsa_system_sgpr_workgroup_id_z 0
		.amdhsa_system_sgpr_workgroup_info 0
		.amdhsa_system_vgpr_workitem_id 0
		.amdhsa_next_free_vgpr 58
		.amdhsa_next_free_sgpr 50
		.amdhsa_accum_offset 60
		.amdhsa_reserve_vcc 1
		.amdhsa_float_round_mode_32 0
		.amdhsa_float_round_mode_16_64 0
		.amdhsa_float_denorm_mode_32 3
		.amdhsa_float_denorm_mode_16_64 3
		.amdhsa_dx10_clamp 1
		.amdhsa_ieee_mode 1
		.amdhsa_fp16_overflow 0
		.amdhsa_tg_split 0
		.amdhsa_exception_fp_ieee_invalid_op 0
		.amdhsa_exception_fp_denorm_src 0
		.amdhsa_exception_fp_ieee_div_zero 0
		.amdhsa_exception_fp_ieee_overflow 0
		.amdhsa_exception_fp_ieee_underflow 0
		.amdhsa_exception_fp_ieee_inexact 0
		.amdhsa_exception_int_div_zero 0
	.end_amdhsa_kernel
	.section	.text._ZN7rocprim17ROCPRIM_400000_NS6detail17trampoline_kernelINS0_14default_configENS1_25partition_config_selectorILNS1_17partition_subalgoE8ElNS0_10empty_typeEbEEZZNS1_14partition_implILS5_8ELb0ES3_jPlPS6_PKS6_NS0_5tupleIJS9_S6_EEENSD_IJSA_SA_EEENS0_18inequality_wrapperIZN2at6native12_GLOBAL__N_124unique_dim_cuda_templateIsEESt5tupleIJNSH_6TensorESM_SM_EERKSM_lbbbEUlllE0_EEPmJS6_EEE10hipError_tPvRmT3_T4_T5_T6_T7_T9_mT8_P12ihipStream_tbDpT10_ENKUlT_T0_E_clISt17integral_constantIbLb0EES1C_EEDaS17_S18_EUlS17_E_NS1_11comp_targetILNS1_3genE0ELNS1_11target_archE4294967295ELNS1_3gpuE0ELNS1_3repE0EEENS1_30default_config_static_selectorELNS0_4arch9wavefront6targetE1EEEvT1_,"axG",@progbits,_ZN7rocprim17ROCPRIM_400000_NS6detail17trampoline_kernelINS0_14default_configENS1_25partition_config_selectorILNS1_17partition_subalgoE8ElNS0_10empty_typeEbEEZZNS1_14partition_implILS5_8ELb0ES3_jPlPS6_PKS6_NS0_5tupleIJS9_S6_EEENSD_IJSA_SA_EEENS0_18inequality_wrapperIZN2at6native12_GLOBAL__N_124unique_dim_cuda_templateIsEESt5tupleIJNSH_6TensorESM_SM_EERKSM_lbbbEUlllE0_EEPmJS6_EEE10hipError_tPvRmT3_T4_T5_T6_T7_T9_mT8_P12ihipStream_tbDpT10_ENKUlT_T0_E_clISt17integral_constantIbLb0EES1C_EEDaS17_S18_EUlS17_E_NS1_11comp_targetILNS1_3genE0ELNS1_11target_archE4294967295ELNS1_3gpuE0ELNS1_3repE0EEENS1_30default_config_static_selectorELNS0_4arch9wavefront6targetE1EEEvT1_,comdat
.Lfunc_end685:
	.size	_ZN7rocprim17ROCPRIM_400000_NS6detail17trampoline_kernelINS0_14default_configENS1_25partition_config_selectorILNS1_17partition_subalgoE8ElNS0_10empty_typeEbEEZZNS1_14partition_implILS5_8ELb0ES3_jPlPS6_PKS6_NS0_5tupleIJS9_S6_EEENSD_IJSA_SA_EEENS0_18inequality_wrapperIZN2at6native12_GLOBAL__N_124unique_dim_cuda_templateIsEESt5tupleIJNSH_6TensorESM_SM_EERKSM_lbbbEUlllE0_EEPmJS6_EEE10hipError_tPvRmT3_T4_T5_T6_T7_T9_mT8_P12ihipStream_tbDpT10_ENKUlT_T0_E_clISt17integral_constantIbLb0EES1C_EEDaS17_S18_EUlS17_E_NS1_11comp_targetILNS1_3genE0ELNS1_11target_archE4294967295ELNS1_3gpuE0ELNS1_3repE0EEENS1_30default_config_static_selectorELNS0_4arch9wavefront6targetE1EEEvT1_, .Lfunc_end685-_ZN7rocprim17ROCPRIM_400000_NS6detail17trampoline_kernelINS0_14default_configENS1_25partition_config_selectorILNS1_17partition_subalgoE8ElNS0_10empty_typeEbEEZZNS1_14partition_implILS5_8ELb0ES3_jPlPS6_PKS6_NS0_5tupleIJS9_S6_EEENSD_IJSA_SA_EEENS0_18inequality_wrapperIZN2at6native12_GLOBAL__N_124unique_dim_cuda_templateIsEESt5tupleIJNSH_6TensorESM_SM_EERKSM_lbbbEUlllE0_EEPmJS6_EEE10hipError_tPvRmT3_T4_T5_T6_T7_T9_mT8_P12ihipStream_tbDpT10_ENKUlT_T0_E_clISt17integral_constantIbLb0EES1C_EEDaS17_S18_EUlS17_E_NS1_11comp_targetILNS1_3genE0ELNS1_11target_archE4294967295ELNS1_3gpuE0ELNS1_3repE0EEENS1_30default_config_static_selectorELNS0_4arch9wavefront6targetE1EEEvT1_
                                        ; -- End function
	.set _ZN7rocprim17ROCPRIM_400000_NS6detail17trampoline_kernelINS0_14default_configENS1_25partition_config_selectorILNS1_17partition_subalgoE8ElNS0_10empty_typeEbEEZZNS1_14partition_implILS5_8ELb0ES3_jPlPS6_PKS6_NS0_5tupleIJS9_S6_EEENSD_IJSA_SA_EEENS0_18inequality_wrapperIZN2at6native12_GLOBAL__N_124unique_dim_cuda_templateIsEESt5tupleIJNSH_6TensorESM_SM_EERKSM_lbbbEUlllE0_EEPmJS6_EEE10hipError_tPvRmT3_T4_T5_T6_T7_T9_mT8_P12ihipStream_tbDpT10_ENKUlT_T0_E_clISt17integral_constantIbLb0EES1C_EEDaS17_S18_EUlS17_E_NS1_11comp_targetILNS1_3genE0ELNS1_11target_archE4294967295ELNS1_3gpuE0ELNS1_3repE0EEENS1_30default_config_static_selectorELNS0_4arch9wavefront6targetE1EEEvT1_.num_vgpr, 58
	.set _ZN7rocprim17ROCPRIM_400000_NS6detail17trampoline_kernelINS0_14default_configENS1_25partition_config_selectorILNS1_17partition_subalgoE8ElNS0_10empty_typeEbEEZZNS1_14partition_implILS5_8ELb0ES3_jPlPS6_PKS6_NS0_5tupleIJS9_S6_EEENSD_IJSA_SA_EEENS0_18inequality_wrapperIZN2at6native12_GLOBAL__N_124unique_dim_cuda_templateIsEESt5tupleIJNSH_6TensorESM_SM_EERKSM_lbbbEUlllE0_EEPmJS6_EEE10hipError_tPvRmT3_T4_T5_T6_T7_T9_mT8_P12ihipStream_tbDpT10_ENKUlT_T0_E_clISt17integral_constantIbLb0EES1C_EEDaS17_S18_EUlS17_E_NS1_11comp_targetILNS1_3genE0ELNS1_11target_archE4294967295ELNS1_3gpuE0ELNS1_3repE0EEENS1_30default_config_static_selectorELNS0_4arch9wavefront6targetE1EEEvT1_.num_agpr, 0
	.set _ZN7rocprim17ROCPRIM_400000_NS6detail17trampoline_kernelINS0_14default_configENS1_25partition_config_selectorILNS1_17partition_subalgoE8ElNS0_10empty_typeEbEEZZNS1_14partition_implILS5_8ELb0ES3_jPlPS6_PKS6_NS0_5tupleIJS9_S6_EEENSD_IJSA_SA_EEENS0_18inequality_wrapperIZN2at6native12_GLOBAL__N_124unique_dim_cuda_templateIsEESt5tupleIJNSH_6TensorESM_SM_EERKSM_lbbbEUlllE0_EEPmJS6_EEE10hipError_tPvRmT3_T4_T5_T6_T7_T9_mT8_P12ihipStream_tbDpT10_ENKUlT_T0_E_clISt17integral_constantIbLb0EES1C_EEDaS17_S18_EUlS17_E_NS1_11comp_targetILNS1_3genE0ELNS1_11target_archE4294967295ELNS1_3gpuE0ELNS1_3repE0EEENS1_30default_config_static_selectorELNS0_4arch9wavefront6targetE1EEEvT1_.numbered_sgpr, 50
	.set _ZN7rocprim17ROCPRIM_400000_NS6detail17trampoline_kernelINS0_14default_configENS1_25partition_config_selectorILNS1_17partition_subalgoE8ElNS0_10empty_typeEbEEZZNS1_14partition_implILS5_8ELb0ES3_jPlPS6_PKS6_NS0_5tupleIJS9_S6_EEENSD_IJSA_SA_EEENS0_18inequality_wrapperIZN2at6native12_GLOBAL__N_124unique_dim_cuda_templateIsEESt5tupleIJNSH_6TensorESM_SM_EERKSM_lbbbEUlllE0_EEPmJS6_EEE10hipError_tPvRmT3_T4_T5_T6_T7_T9_mT8_P12ihipStream_tbDpT10_ENKUlT_T0_E_clISt17integral_constantIbLb0EES1C_EEDaS17_S18_EUlS17_E_NS1_11comp_targetILNS1_3genE0ELNS1_11target_archE4294967295ELNS1_3gpuE0ELNS1_3repE0EEENS1_30default_config_static_selectorELNS0_4arch9wavefront6targetE1EEEvT1_.num_named_barrier, 0
	.set _ZN7rocprim17ROCPRIM_400000_NS6detail17trampoline_kernelINS0_14default_configENS1_25partition_config_selectorILNS1_17partition_subalgoE8ElNS0_10empty_typeEbEEZZNS1_14partition_implILS5_8ELb0ES3_jPlPS6_PKS6_NS0_5tupleIJS9_S6_EEENSD_IJSA_SA_EEENS0_18inequality_wrapperIZN2at6native12_GLOBAL__N_124unique_dim_cuda_templateIsEESt5tupleIJNSH_6TensorESM_SM_EERKSM_lbbbEUlllE0_EEPmJS6_EEE10hipError_tPvRmT3_T4_T5_T6_T7_T9_mT8_P12ihipStream_tbDpT10_ENKUlT_T0_E_clISt17integral_constantIbLb0EES1C_EEDaS17_S18_EUlS17_E_NS1_11comp_targetILNS1_3genE0ELNS1_11target_archE4294967295ELNS1_3gpuE0ELNS1_3repE0EEENS1_30default_config_static_selectorELNS0_4arch9wavefront6targetE1EEEvT1_.private_seg_size, 0
	.set _ZN7rocprim17ROCPRIM_400000_NS6detail17trampoline_kernelINS0_14default_configENS1_25partition_config_selectorILNS1_17partition_subalgoE8ElNS0_10empty_typeEbEEZZNS1_14partition_implILS5_8ELb0ES3_jPlPS6_PKS6_NS0_5tupleIJS9_S6_EEENSD_IJSA_SA_EEENS0_18inequality_wrapperIZN2at6native12_GLOBAL__N_124unique_dim_cuda_templateIsEESt5tupleIJNSH_6TensorESM_SM_EERKSM_lbbbEUlllE0_EEPmJS6_EEE10hipError_tPvRmT3_T4_T5_T6_T7_T9_mT8_P12ihipStream_tbDpT10_ENKUlT_T0_E_clISt17integral_constantIbLb0EES1C_EEDaS17_S18_EUlS17_E_NS1_11comp_targetILNS1_3genE0ELNS1_11target_archE4294967295ELNS1_3gpuE0ELNS1_3repE0EEENS1_30default_config_static_selectorELNS0_4arch9wavefront6targetE1EEEvT1_.uses_vcc, 1
	.set _ZN7rocprim17ROCPRIM_400000_NS6detail17trampoline_kernelINS0_14default_configENS1_25partition_config_selectorILNS1_17partition_subalgoE8ElNS0_10empty_typeEbEEZZNS1_14partition_implILS5_8ELb0ES3_jPlPS6_PKS6_NS0_5tupleIJS9_S6_EEENSD_IJSA_SA_EEENS0_18inequality_wrapperIZN2at6native12_GLOBAL__N_124unique_dim_cuda_templateIsEESt5tupleIJNSH_6TensorESM_SM_EERKSM_lbbbEUlllE0_EEPmJS6_EEE10hipError_tPvRmT3_T4_T5_T6_T7_T9_mT8_P12ihipStream_tbDpT10_ENKUlT_T0_E_clISt17integral_constantIbLb0EES1C_EEDaS17_S18_EUlS17_E_NS1_11comp_targetILNS1_3genE0ELNS1_11target_archE4294967295ELNS1_3gpuE0ELNS1_3repE0EEENS1_30default_config_static_selectorELNS0_4arch9wavefront6targetE1EEEvT1_.uses_flat_scratch, 0
	.set _ZN7rocprim17ROCPRIM_400000_NS6detail17trampoline_kernelINS0_14default_configENS1_25partition_config_selectorILNS1_17partition_subalgoE8ElNS0_10empty_typeEbEEZZNS1_14partition_implILS5_8ELb0ES3_jPlPS6_PKS6_NS0_5tupleIJS9_S6_EEENSD_IJSA_SA_EEENS0_18inequality_wrapperIZN2at6native12_GLOBAL__N_124unique_dim_cuda_templateIsEESt5tupleIJNSH_6TensorESM_SM_EERKSM_lbbbEUlllE0_EEPmJS6_EEE10hipError_tPvRmT3_T4_T5_T6_T7_T9_mT8_P12ihipStream_tbDpT10_ENKUlT_T0_E_clISt17integral_constantIbLb0EES1C_EEDaS17_S18_EUlS17_E_NS1_11comp_targetILNS1_3genE0ELNS1_11target_archE4294967295ELNS1_3gpuE0ELNS1_3repE0EEENS1_30default_config_static_selectorELNS0_4arch9wavefront6targetE1EEEvT1_.has_dyn_sized_stack, 0
	.set _ZN7rocprim17ROCPRIM_400000_NS6detail17trampoline_kernelINS0_14default_configENS1_25partition_config_selectorILNS1_17partition_subalgoE8ElNS0_10empty_typeEbEEZZNS1_14partition_implILS5_8ELb0ES3_jPlPS6_PKS6_NS0_5tupleIJS9_S6_EEENSD_IJSA_SA_EEENS0_18inequality_wrapperIZN2at6native12_GLOBAL__N_124unique_dim_cuda_templateIsEESt5tupleIJNSH_6TensorESM_SM_EERKSM_lbbbEUlllE0_EEPmJS6_EEE10hipError_tPvRmT3_T4_T5_T6_T7_T9_mT8_P12ihipStream_tbDpT10_ENKUlT_T0_E_clISt17integral_constantIbLb0EES1C_EEDaS17_S18_EUlS17_E_NS1_11comp_targetILNS1_3genE0ELNS1_11target_archE4294967295ELNS1_3gpuE0ELNS1_3repE0EEENS1_30default_config_static_selectorELNS0_4arch9wavefront6targetE1EEEvT1_.has_recursion, 0
	.set _ZN7rocprim17ROCPRIM_400000_NS6detail17trampoline_kernelINS0_14default_configENS1_25partition_config_selectorILNS1_17partition_subalgoE8ElNS0_10empty_typeEbEEZZNS1_14partition_implILS5_8ELb0ES3_jPlPS6_PKS6_NS0_5tupleIJS9_S6_EEENSD_IJSA_SA_EEENS0_18inequality_wrapperIZN2at6native12_GLOBAL__N_124unique_dim_cuda_templateIsEESt5tupleIJNSH_6TensorESM_SM_EERKSM_lbbbEUlllE0_EEPmJS6_EEE10hipError_tPvRmT3_T4_T5_T6_T7_T9_mT8_P12ihipStream_tbDpT10_ENKUlT_T0_E_clISt17integral_constantIbLb0EES1C_EEDaS17_S18_EUlS17_E_NS1_11comp_targetILNS1_3genE0ELNS1_11target_archE4294967295ELNS1_3gpuE0ELNS1_3repE0EEENS1_30default_config_static_selectorELNS0_4arch9wavefront6targetE1EEEvT1_.has_indirect_call, 0
	.section	.AMDGPU.csdata,"",@progbits
; Kernel info:
; codeLenInByte = 10796
; TotalNumSgprs: 56
; NumVgprs: 58
; NumAgprs: 0
; TotalNumVgprs: 58
; ScratchSize: 0
; MemoryBound: 0
; FloatMode: 240
; IeeeMode: 1
; LDSByteSize: 28680 bytes/workgroup (compile time only)
; SGPRBlocks: 6
; VGPRBlocks: 7
; NumSGPRsForWavesPerEU: 56
; NumVGPRsForWavesPerEU: 58
; AccumOffset: 60
; Occupancy: 8
; WaveLimiterHint : 1
; COMPUTE_PGM_RSRC2:SCRATCH_EN: 0
; COMPUTE_PGM_RSRC2:USER_SGPR: 2
; COMPUTE_PGM_RSRC2:TRAP_HANDLER: 0
; COMPUTE_PGM_RSRC2:TGID_X_EN: 1
; COMPUTE_PGM_RSRC2:TGID_Y_EN: 0
; COMPUTE_PGM_RSRC2:TGID_Z_EN: 0
; COMPUTE_PGM_RSRC2:TIDIG_COMP_CNT: 0
; COMPUTE_PGM_RSRC3_GFX90A:ACCUM_OFFSET: 14
; COMPUTE_PGM_RSRC3_GFX90A:TG_SPLIT: 0
	.section	.text._ZN7rocprim17ROCPRIM_400000_NS6detail17trampoline_kernelINS0_14default_configENS1_25partition_config_selectorILNS1_17partition_subalgoE8ElNS0_10empty_typeEbEEZZNS1_14partition_implILS5_8ELb0ES3_jPlPS6_PKS6_NS0_5tupleIJS9_S6_EEENSD_IJSA_SA_EEENS0_18inequality_wrapperIZN2at6native12_GLOBAL__N_124unique_dim_cuda_templateIsEESt5tupleIJNSH_6TensorESM_SM_EERKSM_lbbbEUlllE0_EEPmJS6_EEE10hipError_tPvRmT3_T4_T5_T6_T7_T9_mT8_P12ihipStream_tbDpT10_ENKUlT_T0_E_clISt17integral_constantIbLb0EES1C_EEDaS17_S18_EUlS17_E_NS1_11comp_targetILNS1_3genE5ELNS1_11target_archE942ELNS1_3gpuE9ELNS1_3repE0EEENS1_30default_config_static_selectorELNS0_4arch9wavefront6targetE1EEEvT1_,"axG",@progbits,_ZN7rocprim17ROCPRIM_400000_NS6detail17trampoline_kernelINS0_14default_configENS1_25partition_config_selectorILNS1_17partition_subalgoE8ElNS0_10empty_typeEbEEZZNS1_14partition_implILS5_8ELb0ES3_jPlPS6_PKS6_NS0_5tupleIJS9_S6_EEENSD_IJSA_SA_EEENS0_18inequality_wrapperIZN2at6native12_GLOBAL__N_124unique_dim_cuda_templateIsEESt5tupleIJNSH_6TensorESM_SM_EERKSM_lbbbEUlllE0_EEPmJS6_EEE10hipError_tPvRmT3_T4_T5_T6_T7_T9_mT8_P12ihipStream_tbDpT10_ENKUlT_T0_E_clISt17integral_constantIbLb0EES1C_EEDaS17_S18_EUlS17_E_NS1_11comp_targetILNS1_3genE5ELNS1_11target_archE942ELNS1_3gpuE9ELNS1_3repE0EEENS1_30default_config_static_selectorELNS0_4arch9wavefront6targetE1EEEvT1_,comdat
	.globl	_ZN7rocprim17ROCPRIM_400000_NS6detail17trampoline_kernelINS0_14default_configENS1_25partition_config_selectorILNS1_17partition_subalgoE8ElNS0_10empty_typeEbEEZZNS1_14partition_implILS5_8ELb0ES3_jPlPS6_PKS6_NS0_5tupleIJS9_S6_EEENSD_IJSA_SA_EEENS0_18inequality_wrapperIZN2at6native12_GLOBAL__N_124unique_dim_cuda_templateIsEESt5tupleIJNSH_6TensorESM_SM_EERKSM_lbbbEUlllE0_EEPmJS6_EEE10hipError_tPvRmT3_T4_T5_T6_T7_T9_mT8_P12ihipStream_tbDpT10_ENKUlT_T0_E_clISt17integral_constantIbLb0EES1C_EEDaS17_S18_EUlS17_E_NS1_11comp_targetILNS1_3genE5ELNS1_11target_archE942ELNS1_3gpuE9ELNS1_3repE0EEENS1_30default_config_static_selectorELNS0_4arch9wavefront6targetE1EEEvT1_ ; -- Begin function _ZN7rocprim17ROCPRIM_400000_NS6detail17trampoline_kernelINS0_14default_configENS1_25partition_config_selectorILNS1_17partition_subalgoE8ElNS0_10empty_typeEbEEZZNS1_14partition_implILS5_8ELb0ES3_jPlPS6_PKS6_NS0_5tupleIJS9_S6_EEENSD_IJSA_SA_EEENS0_18inequality_wrapperIZN2at6native12_GLOBAL__N_124unique_dim_cuda_templateIsEESt5tupleIJNSH_6TensorESM_SM_EERKSM_lbbbEUlllE0_EEPmJS6_EEE10hipError_tPvRmT3_T4_T5_T6_T7_T9_mT8_P12ihipStream_tbDpT10_ENKUlT_T0_E_clISt17integral_constantIbLb0EES1C_EEDaS17_S18_EUlS17_E_NS1_11comp_targetILNS1_3genE5ELNS1_11target_archE942ELNS1_3gpuE9ELNS1_3repE0EEENS1_30default_config_static_selectorELNS0_4arch9wavefront6targetE1EEEvT1_
	.p2align	8
	.type	_ZN7rocprim17ROCPRIM_400000_NS6detail17trampoline_kernelINS0_14default_configENS1_25partition_config_selectorILNS1_17partition_subalgoE8ElNS0_10empty_typeEbEEZZNS1_14partition_implILS5_8ELb0ES3_jPlPS6_PKS6_NS0_5tupleIJS9_S6_EEENSD_IJSA_SA_EEENS0_18inequality_wrapperIZN2at6native12_GLOBAL__N_124unique_dim_cuda_templateIsEESt5tupleIJNSH_6TensorESM_SM_EERKSM_lbbbEUlllE0_EEPmJS6_EEE10hipError_tPvRmT3_T4_T5_T6_T7_T9_mT8_P12ihipStream_tbDpT10_ENKUlT_T0_E_clISt17integral_constantIbLb0EES1C_EEDaS17_S18_EUlS17_E_NS1_11comp_targetILNS1_3genE5ELNS1_11target_archE942ELNS1_3gpuE9ELNS1_3repE0EEENS1_30default_config_static_selectorELNS0_4arch9wavefront6targetE1EEEvT1_,@function
_ZN7rocprim17ROCPRIM_400000_NS6detail17trampoline_kernelINS0_14default_configENS1_25partition_config_selectorILNS1_17partition_subalgoE8ElNS0_10empty_typeEbEEZZNS1_14partition_implILS5_8ELb0ES3_jPlPS6_PKS6_NS0_5tupleIJS9_S6_EEENSD_IJSA_SA_EEENS0_18inequality_wrapperIZN2at6native12_GLOBAL__N_124unique_dim_cuda_templateIsEESt5tupleIJNSH_6TensorESM_SM_EERKSM_lbbbEUlllE0_EEPmJS6_EEE10hipError_tPvRmT3_T4_T5_T6_T7_T9_mT8_P12ihipStream_tbDpT10_ENKUlT_T0_E_clISt17integral_constantIbLb0EES1C_EEDaS17_S18_EUlS17_E_NS1_11comp_targetILNS1_3genE5ELNS1_11target_archE942ELNS1_3gpuE9ELNS1_3repE0EEENS1_30default_config_static_selectorELNS0_4arch9wavefront6targetE1EEEvT1_: ; @_ZN7rocprim17ROCPRIM_400000_NS6detail17trampoline_kernelINS0_14default_configENS1_25partition_config_selectorILNS1_17partition_subalgoE8ElNS0_10empty_typeEbEEZZNS1_14partition_implILS5_8ELb0ES3_jPlPS6_PKS6_NS0_5tupleIJS9_S6_EEENSD_IJSA_SA_EEENS0_18inequality_wrapperIZN2at6native12_GLOBAL__N_124unique_dim_cuda_templateIsEESt5tupleIJNSH_6TensorESM_SM_EERKSM_lbbbEUlllE0_EEPmJS6_EEE10hipError_tPvRmT3_T4_T5_T6_T7_T9_mT8_P12ihipStream_tbDpT10_ENKUlT_T0_E_clISt17integral_constantIbLb0EES1C_EEDaS17_S18_EUlS17_E_NS1_11comp_targetILNS1_3genE5ELNS1_11target_archE942ELNS1_3gpuE9ELNS1_3repE0EEENS1_30default_config_static_selectorELNS0_4arch9wavefront6targetE1EEEvT1_
; %bb.0:
	.section	.rodata,"a",@progbits
	.p2align	6, 0x0
	.amdhsa_kernel _ZN7rocprim17ROCPRIM_400000_NS6detail17trampoline_kernelINS0_14default_configENS1_25partition_config_selectorILNS1_17partition_subalgoE8ElNS0_10empty_typeEbEEZZNS1_14partition_implILS5_8ELb0ES3_jPlPS6_PKS6_NS0_5tupleIJS9_S6_EEENSD_IJSA_SA_EEENS0_18inequality_wrapperIZN2at6native12_GLOBAL__N_124unique_dim_cuda_templateIsEESt5tupleIJNSH_6TensorESM_SM_EERKSM_lbbbEUlllE0_EEPmJS6_EEE10hipError_tPvRmT3_T4_T5_T6_T7_T9_mT8_P12ihipStream_tbDpT10_ENKUlT_T0_E_clISt17integral_constantIbLb0EES1C_EEDaS17_S18_EUlS17_E_NS1_11comp_targetILNS1_3genE5ELNS1_11target_archE942ELNS1_3gpuE9ELNS1_3repE0EEENS1_30default_config_static_selectorELNS0_4arch9wavefront6targetE1EEEvT1_
		.amdhsa_group_segment_fixed_size 0
		.amdhsa_private_segment_fixed_size 0
		.amdhsa_kernarg_size 120
		.amdhsa_user_sgpr_count 2
		.amdhsa_user_sgpr_dispatch_ptr 0
		.amdhsa_user_sgpr_queue_ptr 0
		.amdhsa_user_sgpr_kernarg_segment_ptr 1
		.amdhsa_user_sgpr_dispatch_id 0
		.amdhsa_user_sgpr_kernarg_preload_length 0
		.amdhsa_user_sgpr_kernarg_preload_offset 0
		.amdhsa_user_sgpr_private_segment_size 0
		.amdhsa_uses_dynamic_stack 0
		.amdhsa_enable_private_segment 0
		.amdhsa_system_sgpr_workgroup_id_x 1
		.amdhsa_system_sgpr_workgroup_id_y 0
		.amdhsa_system_sgpr_workgroup_id_z 0
		.amdhsa_system_sgpr_workgroup_info 0
		.amdhsa_system_vgpr_workitem_id 0
		.amdhsa_next_free_vgpr 1
		.amdhsa_next_free_sgpr 0
		.amdhsa_accum_offset 4
		.amdhsa_reserve_vcc 0
		.amdhsa_float_round_mode_32 0
		.amdhsa_float_round_mode_16_64 0
		.amdhsa_float_denorm_mode_32 3
		.amdhsa_float_denorm_mode_16_64 3
		.amdhsa_dx10_clamp 1
		.amdhsa_ieee_mode 1
		.amdhsa_fp16_overflow 0
		.amdhsa_tg_split 0
		.amdhsa_exception_fp_ieee_invalid_op 0
		.amdhsa_exception_fp_denorm_src 0
		.amdhsa_exception_fp_ieee_div_zero 0
		.amdhsa_exception_fp_ieee_overflow 0
		.amdhsa_exception_fp_ieee_underflow 0
		.amdhsa_exception_fp_ieee_inexact 0
		.amdhsa_exception_int_div_zero 0
	.end_amdhsa_kernel
	.section	.text._ZN7rocprim17ROCPRIM_400000_NS6detail17trampoline_kernelINS0_14default_configENS1_25partition_config_selectorILNS1_17partition_subalgoE8ElNS0_10empty_typeEbEEZZNS1_14partition_implILS5_8ELb0ES3_jPlPS6_PKS6_NS0_5tupleIJS9_S6_EEENSD_IJSA_SA_EEENS0_18inequality_wrapperIZN2at6native12_GLOBAL__N_124unique_dim_cuda_templateIsEESt5tupleIJNSH_6TensorESM_SM_EERKSM_lbbbEUlllE0_EEPmJS6_EEE10hipError_tPvRmT3_T4_T5_T6_T7_T9_mT8_P12ihipStream_tbDpT10_ENKUlT_T0_E_clISt17integral_constantIbLb0EES1C_EEDaS17_S18_EUlS17_E_NS1_11comp_targetILNS1_3genE5ELNS1_11target_archE942ELNS1_3gpuE9ELNS1_3repE0EEENS1_30default_config_static_selectorELNS0_4arch9wavefront6targetE1EEEvT1_,"axG",@progbits,_ZN7rocprim17ROCPRIM_400000_NS6detail17trampoline_kernelINS0_14default_configENS1_25partition_config_selectorILNS1_17partition_subalgoE8ElNS0_10empty_typeEbEEZZNS1_14partition_implILS5_8ELb0ES3_jPlPS6_PKS6_NS0_5tupleIJS9_S6_EEENSD_IJSA_SA_EEENS0_18inequality_wrapperIZN2at6native12_GLOBAL__N_124unique_dim_cuda_templateIsEESt5tupleIJNSH_6TensorESM_SM_EERKSM_lbbbEUlllE0_EEPmJS6_EEE10hipError_tPvRmT3_T4_T5_T6_T7_T9_mT8_P12ihipStream_tbDpT10_ENKUlT_T0_E_clISt17integral_constantIbLb0EES1C_EEDaS17_S18_EUlS17_E_NS1_11comp_targetILNS1_3genE5ELNS1_11target_archE942ELNS1_3gpuE9ELNS1_3repE0EEENS1_30default_config_static_selectorELNS0_4arch9wavefront6targetE1EEEvT1_,comdat
.Lfunc_end686:
	.size	_ZN7rocprim17ROCPRIM_400000_NS6detail17trampoline_kernelINS0_14default_configENS1_25partition_config_selectorILNS1_17partition_subalgoE8ElNS0_10empty_typeEbEEZZNS1_14partition_implILS5_8ELb0ES3_jPlPS6_PKS6_NS0_5tupleIJS9_S6_EEENSD_IJSA_SA_EEENS0_18inequality_wrapperIZN2at6native12_GLOBAL__N_124unique_dim_cuda_templateIsEESt5tupleIJNSH_6TensorESM_SM_EERKSM_lbbbEUlllE0_EEPmJS6_EEE10hipError_tPvRmT3_T4_T5_T6_T7_T9_mT8_P12ihipStream_tbDpT10_ENKUlT_T0_E_clISt17integral_constantIbLb0EES1C_EEDaS17_S18_EUlS17_E_NS1_11comp_targetILNS1_3genE5ELNS1_11target_archE942ELNS1_3gpuE9ELNS1_3repE0EEENS1_30default_config_static_selectorELNS0_4arch9wavefront6targetE1EEEvT1_, .Lfunc_end686-_ZN7rocprim17ROCPRIM_400000_NS6detail17trampoline_kernelINS0_14default_configENS1_25partition_config_selectorILNS1_17partition_subalgoE8ElNS0_10empty_typeEbEEZZNS1_14partition_implILS5_8ELb0ES3_jPlPS6_PKS6_NS0_5tupleIJS9_S6_EEENSD_IJSA_SA_EEENS0_18inequality_wrapperIZN2at6native12_GLOBAL__N_124unique_dim_cuda_templateIsEESt5tupleIJNSH_6TensorESM_SM_EERKSM_lbbbEUlllE0_EEPmJS6_EEE10hipError_tPvRmT3_T4_T5_T6_T7_T9_mT8_P12ihipStream_tbDpT10_ENKUlT_T0_E_clISt17integral_constantIbLb0EES1C_EEDaS17_S18_EUlS17_E_NS1_11comp_targetILNS1_3genE5ELNS1_11target_archE942ELNS1_3gpuE9ELNS1_3repE0EEENS1_30default_config_static_selectorELNS0_4arch9wavefront6targetE1EEEvT1_
                                        ; -- End function
	.set _ZN7rocprim17ROCPRIM_400000_NS6detail17trampoline_kernelINS0_14default_configENS1_25partition_config_selectorILNS1_17partition_subalgoE8ElNS0_10empty_typeEbEEZZNS1_14partition_implILS5_8ELb0ES3_jPlPS6_PKS6_NS0_5tupleIJS9_S6_EEENSD_IJSA_SA_EEENS0_18inequality_wrapperIZN2at6native12_GLOBAL__N_124unique_dim_cuda_templateIsEESt5tupleIJNSH_6TensorESM_SM_EERKSM_lbbbEUlllE0_EEPmJS6_EEE10hipError_tPvRmT3_T4_T5_T6_T7_T9_mT8_P12ihipStream_tbDpT10_ENKUlT_T0_E_clISt17integral_constantIbLb0EES1C_EEDaS17_S18_EUlS17_E_NS1_11comp_targetILNS1_3genE5ELNS1_11target_archE942ELNS1_3gpuE9ELNS1_3repE0EEENS1_30default_config_static_selectorELNS0_4arch9wavefront6targetE1EEEvT1_.num_vgpr, 0
	.set _ZN7rocprim17ROCPRIM_400000_NS6detail17trampoline_kernelINS0_14default_configENS1_25partition_config_selectorILNS1_17partition_subalgoE8ElNS0_10empty_typeEbEEZZNS1_14partition_implILS5_8ELb0ES3_jPlPS6_PKS6_NS0_5tupleIJS9_S6_EEENSD_IJSA_SA_EEENS0_18inequality_wrapperIZN2at6native12_GLOBAL__N_124unique_dim_cuda_templateIsEESt5tupleIJNSH_6TensorESM_SM_EERKSM_lbbbEUlllE0_EEPmJS6_EEE10hipError_tPvRmT3_T4_T5_T6_T7_T9_mT8_P12ihipStream_tbDpT10_ENKUlT_T0_E_clISt17integral_constantIbLb0EES1C_EEDaS17_S18_EUlS17_E_NS1_11comp_targetILNS1_3genE5ELNS1_11target_archE942ELNS1_3gpuE9ELNS1_3repE0EEENS1_30default_config_static_selectorELNS0_4arch9wavefront6targetE1EEEvT1_.num_agpr, 0
	.set _ZN7rocprim17ROCPRIM_400000_NS6detail17trampoline_kernelINS0_14default_configENS1_25partition_config_selectorILNS1_17partition_subalgoE8ElNS0_10empty_typeEbEEZZNS1_14partition_implILS5_8ELb0ES3_jPlPS6_PKS6_NS0_5tupleIJS9_S6_EEENSD_IJSA_SA_EEENS0_18inequality_wrapperIZN2at6native12_GLOBAL__N_124unique_dim_cuda_templateIsEESt5tupleIJNSH_6TensorESM_SM_EERKSM_lbbbEUlllE0_EEPmJS6_EEE10hipError_tPvRmT3_T4_T5_T6_T7_T9_mT8_P12ihipStream_tbDpT10_ENKUlT_T0_E_clISt17integral_constantIbLb0EES1C_EEDaS17_S18_EUlS17_E_NS1_11comp_targetILNS1_3genE5ELNS1_11target_archE942ELNS1_3gpuE9ELNS1_3repE0EEENS1_30default_config_static_selectorELNS0_4arch9wavefront6targetE1EEEvT1_.numbered_sgpr, 0
	.set _ZN7rocprim17ROCPRIM_400000_NS6detail17trampoline_kernelINS0_14default_configENS1_25partition_config_selectorILNS1_17partition_subalgoE8ElNS0_10empty_typeEbEEZZNS1_14partition_implILS5_8ELb0ES3_jPlPS6_PKS6_NS0_5tupleIJS9_S6_EEENSD_IJSA_SA_EEENS0_18inequality_wrapperIZN2at6native12_GLOBAL__N_124unique_dim_cuda_templateIsEESt5tupleIJNSH_6TensorESM_SM_EERKSM_lbbbEUlllE0_EEPmJS6_EEE10hipError_tPvRmT3_T4_T5_T6_T7_T9_mT8_P12ihipStream_tbDpT10_ENKUlT_T0_E_clISt17integral_constantIbLb0EES1C_EEDaS17_S18_EUlS17_E_NS1_11comp_targetILNS1_3genE5ELNS1_11target_archE942ELNS1_3gpuE9ELNS1_3repE0EEENS1_30default_config_static_selectorELNS0_4arch9wavefront6targetE1EEEvT1_.num_named_barrier, 0
	.set _ZN7rocprim17ROCPRIM_400000_NS6detail17trampoline_kernelINS0_14default_configENS1_25partition_config_selectorILNS1_17partition_subalgoE8ElNS0_10empty_typeEbEEZZNS1_14partition_implILS5_8ELb0ES3_jPlPS6_PKS6_NS0_5tupleIJS9_S6_EEENSD_IJSA_SA_EEENS0_18inequality_wrapperIZN2at6native12_GLOBAL__N_124unique_dim_cuda_templateIsEESt5tupleIJNSH_6TensorESM_SM_EERKSM_lbbbEUlllE0_EEPmJS6_EEE10hipError_tPvRmT3_T4_T5_T6_T7_T9_mT8_P12ihipStream_tbDpT10_ENKUlT_T0_E_clISt17integral_constantIbLb0EES1C_EEDaS17_S18_EUlS17_E_NS1_11comp_targetILNS1_3genE5ELNS1_11target_archE942ELNS1_3gpuE9ELNS1_3repE0EEENS1_30default_config_static_selectorELNS0_4arch9wavefront6targetE1EEEvT1_.private_seg_size, 0
	.set _ZN7rocprim17ROCPRIM_400000_NS6detail17trampoline_kernelINS0_14default_configENS1_25partition_config_selectorILNS1_17partition_subalgoE8ElNS0_10empty_typeEbEEZZNS1_14partition_implILS5_8ELb0ES3_jPlPS6_PKS6_NS0_5tupleIJS9_S6_EEENSD_IJSA_SA_EEENS0_18inequality_wrapperIZN2at6native12_GLOBAL__N_124unique_dim_cuda_templateIsEESt5tupleIJNSH_6TensorESM_SM_EERKSM_lbbbEUlllE0_EEPmJS6_EEE10hipError_tPvRmT3_T4_T5_T6_T7_T9_mT8_P12ihipStream_tbDpT10_ENKUlT_T0_E_clISt17integral_constantIbLb0EES1C_EEDaS17_S18_EUlS17_E_NS1_11comp_targetILNS1_3genE5ELNS1_11target_archE942ELNS1_3gpuE9ELNS1_3repE0EEENS1_30default_config_static_selectorELNS0_4arch9wavefront6targetE1EEEvT1_.uses_vcc, 0
	.set _ZN7rocprim17ROCPRIM_400000_NS6detail17trampoline_kernelINS0_14default_configENS1_25partition_config_selectorILNS1_17partition_subalgoE8ElNS0_10empty_typeEbEEZZNS1_14partition_implILS5_8ELb0ES3_jPlPS6_PKS6_NS0_5tupleIJS9_S6_EEENSD_IJSA_SA_EEENS0_18inequality_wrapperIZN2at6native12_GLOBAL__N_124unique_dim_cuda_templateIsEESt5tupleIJNSH_6TensorESM_SM_EERKSM_lbbbEUlllE0_EEPmJS6_EEE10hipError_tPvRmT3_T4_T5_T6_T7_T9_mT8_P12ihipStream_tbDpT10_ENKUlT_T0_E_clISt17integral_constantIbLb0EES1C_EEDaS17_S18_EUlS17_E_NS1_11comp_targetILNS1_3genE5ELNS1_11target_archE942ELNS1_3gpuE9ELNS1_3repE0EEENS1_30default_config_static_selectorELNS0_4arch9wavefront6targetE1EEEvT1_.uses_flat_scratch, 0
	.set _ZN7rocprim17ROCPRIM_400000_NS6detail17trampoline_kernelINS0_14default_configENS1_25partition_config_selectorILNS1_17partition_subalgoE8ElNS0_10empty_typeEbEEZZNS1_14partition_implILS5_8ELb0ES3_jPlPS6_PKS6_NS0_5tupleIJS9_S6_EEENSD_IJSA_SA_EEENS0_18inequality_wrapperIZN2at6native12_GLOBAL__N_124unique_dim_cuda_templateIsEESt5tupleIJNSH_6TensorESM_SM_EERKSM_lbbbEUlllE0_EEPmJS6_EEE10hipError_tPvRmT3_T4_T5_T6_T7_T9_mT8_P12ihipStream_tbDpT10_ENKUlT_T0_E_clISt17integral_constantIbLb0EES1C_EEDaS17_S18_EUlS17_E_NS1_11comp_targetILNS1_3genE5ELNS1_11target_archE942ELNS1_3gpuE9ELNS1_3repE0EEENS1_30default_config_static_selectorELNS0_4arch9wavefront6targetE1EEEvT1_.has_dyn_sized_stack, 0
	.set _ZN7rocprim17ROCPRIM_400000_NS6detail17trampoline_kernelINS0_14default_configENS1_25partition_config_selectorILNS1_17partition_subalgoE8ElNS0_10empty_typeEbEEZZNS1_14partition_implILS5_8ELb0ES3_jPlPS6_PKS6_NS0_5tupleIJS9_S6_EEENSD_IJSA_SA_EEENS0_18inequality_wrapperIZN2at6native12_GLOBAL__N_124unique_dim_cuda_templateIsEESt5tupleIJNSH_6TensorESM_SM_EERKSM_lbbbEUlllE0_EEPmJS6_EEE10hipError_tPvRmT3_T4_T5_T6_T7_T9_mT8_P12ihipStream_tbDpT10_ENKUlT_T0_E_clISt17integral_constantIbLb0EES1C_EEDaS17_S18_EUlS17_E_NS1_11comp_targetILNS1_3genE5ELNS1_11target_archE942ELNS1_3gpuE9ELNS1_3repE0EEENS1_30default_config_static_selectorELNS0_4arch9wavefront6targetE1EEEvT1_.has_recursion, 0
	.set _ZN7rocprim17ROCPRIM_400000_NS6detail17trampoline_kernelINS0_14default_configENS1_25partition_config_selectorILNS1_17partition_subalgoE8ElNS0_10empty_typeEbEEZZNS1_14partition_implILS5_8ELb0ES3_jPlPS6_PKS6_NS0_5tupleIJS9_S6_EEENSD_IJSA_SA_EEENS0_18inequality_wrapperIZN2at6native12_GLOBAL__N_124unique_dim_cuda_templateIsEESt5tupleIJNSH_6TensorESM_SM_EERKSM_lbbbEUlllE0_EEPmJS6_EEE10hipError_tPvRmT3_T4_T5_T6_T7_T9_mT8_P12ihipStream_tbDpT10_ENKUlT_T0_E_clISt17integral_constantIbLb0EES1C_EEDaS17_S18_EUlS17_E_NS1_11comp_targetILNS1_3genE5ELNS1_11target_archE942ELNS1_3gpuE9ELNS1_3repE0EEENS1_30default_config_static_selectorELNS0_4arch9wavefront6targetE1EEEvT1_.has_indirect_call, 0
	.section	.AMDGPU.csdata,"",@progbits
; Kernel info:
; codeLenInByte = 0
; TotalNumSgprs: 6
; NumVgprs: 0
; NumAgprs: 0
; TotalNumVgprs: 0
; ScratchSize: 0
; MemoryBound: 0
; FloatMode: 240
; IeeeMode: 1
; LDSByteSize: 0 bytes/workgroup (compile time only)
; SGPRBlocks: 0
; VGPRBlocks: 0
; NumSGPRsForWavesPerEU: 6
; NumVGPRsForWavesPerEU: 1
; AccumOffset: 4
; Occupancy: 8
; WaveLimiterHint : 0
; COMPUTE_PGM_RSRC2:SCRATCH_EN: 0
; COMPUTE_PGM_RSRC2:USER_SGPR: 2
; COMPUTE_PGM_RSRC2:TRAP_HANDLER: 0
; COMPUTE_PGM_RSRC2:TGID_X_EN: 1
; COMPUTE_PGM_RSRC2:TGID_Y_EN: 0
; COMPUTE_PGM_RSRC2:TGID_Z_EN: 0
; COMPUTE_PGM_RSRC2:TIDIG_COMP_CNT: 0
; COMPUTE_PGM_RSRC3_GFX90A:ACCUM_OFFSET: 0
; COMPUTE_PGM_RSRC3_GFX90A:TG_SPLIT: 0
	.section	.text._ZN7rocprim17ROCPRIM_400000_NS6detail17trampoline_kernelINS0_14default_configENS1_25partition_config_selectorILNS1_17partition_subalgoE8ElNS0_10empty_typeEbEEZZNS1_14partition_implILS5_8ELb0ES3_jPlPS6_PKS6_NS0_5tupleIJS9_S6_EEENSD_IJSA_SA_EEENS0_18inequality_wrapperIZN2at6native12_GLOBAL__N_124unique_dim_cuda_templateIsEESt5tupleIJNSH_6TensorESM_SM_EERKSM_lbbbEUlllE0_EEPmJS6_EEE10hipError_tPvRmT3_T4_T5_T6_T7_T9_mT8_P12ihipStream_tbDpT10_ENKUlT_T0_E_clISt17integral_constantIbLb0EES1C_EEDaS17_S18_EUlS17_E_NS1_11comp_targetILNS1_3genE4ELNS1_11target_archE910ELNS1_3gpuE8ELNS1_3repE0EEENS1_30default_config_static_selectorELNS0_4arch9wavefront6targetE1EEEvT1_,"axG",@progbits,_ZN7rocprim17ROCPRIM_400000_NS6detail17trampoline_kernelINS0_14default_configENS1_25partition_config_selectorILNS1_17partition_subalgoE8ElNS0_10empty_typeEbEEZZNS1_14partition_implILS5_8ELb0ES3_jPlPS6_PKS6_NS0_5tupleIJS9_S6_EEENSD_IJSA_SA_EEENS0_18inequality_wrapperIZN2at6native12_GLOBAL__N_124unique_dim_cuda_templateIsEESt5tupleIJNSH_6TensorESM_SM_EERKSM_lbbbEUlllE0_EEPmJS6_EEE10hipError_tPvRmT3_T4_T5_T6_T7_T9_mT8_P12ihipStream_tbDpT10_ENKUlT_T0_E_clISt17integral_constantIbLb0EES1C_EEDaS17_S18_EUlS17_E_NS1_11comp_targetILNS1_3genE4ELNS1_11target_archE910ELNS1_3gpuE8ELNS1_3repE0EEENS1_30default_config_static_selectorELNS0_4arch9wavefront6targetE1EEEvT1_,comdat
	.globl	_ZN7rocprim17ROCPRIM_400000_NS6detail17trampoline_kernelINS0_14default_configENS1_25partition_config_selectorILNS1_17partition_subalgoE8ElNS0_10empty_typeEbEEZZNS1_14partition_implILS5_8ELb0ES3_jPlPS6_PKS6_NS0_5tupleIJS9_S6_EEENSD_IJSA_SA_EEENS0_18inequality_wrapperIZN2at6native12_GLOBAL__N_124unique_dim_cuda_templateIsEESt5tupleIJNSH_6TensorESM_SM_EERKSM_lbbbEUlllE0_EEPmJS6_EEE10hipError_tPvRmT3_T4_T5_T6_T7_T9_mT8_P12ihipStream_tbDpT10_ENKUlT_T0_E_clISt17integral_constantIbLb0EES1C_EEDaS17_S18_EUlS17_E_NS1_11comp_targetILNS1_3genE4ELNS1_11target_archE910ELNS1_3gpuE8ELNS1_3repE0EEENS1_30default_config_static_selectorELNS0_4arch9wavefront6targetE1EEEvT1_ ; -- Begin function _ZN7rocprim17ROCPRIM_400000_NS6detail17trampoline_kernelINS0_14default_configENS1_25partition_config_selectorILNS1_17partition_subalgoE8ElNS0_10empty_typeEbEEZZNS1_14partition_implILS5_8ELb0ES3_jPlPS6_PKS6_NS0_5tupleIJS9_S6_EEENSD_IJSA_SA_EEENS0_18inequality_wrapperIZN2at6native12_GLOBAL__N_124unique_dim_cuda_templateIsEESt5tupleIJNSH_6TensorESM_SM_EERKSM_lbbbEUlllE0_EEPmJS6_EEE10hipError_tPvRmT3_T4_T5_T6_T7_T9_mT8_P12ihipStream_tbDpT10_ENKUlT_T0_E_clISt17integral_constantIbLb0EES1C_EEDaS17_S18_EUlS17_E_NS1_11comp_targetILNS1_3genE4ELNS1_11target_archE910ELNS1_3gpuE8ELNS1_3repE0EEENS1_30default_config_static_selectorELNS0_4arch9wavefront6targetE1EEEvT1_
	.p2align	8
	.type	_ZN7rocprim17ROCPRIM_400000_NS6detail17trampoline_kernelINS0_14default_configENS1_25partition_config_selectorILNS1_17partition_subalgoE8ElNS0_10empty_typeEbEEZZNS1_14partition_implILS5_8ELb0ES3_jPlPS6_PKS6_NS0_5tupleIJS9_S6_EEENSD_IJSA_SA_EEENS0_18inequality_wrapperIZN2at6native12_GLOBAL__N_124unique_dim_cuda_templateIsEESt5tupleIJNSH_6TensorESM_SM_EERKSM_lbbbEUlllE0_EEPmJS6_EEE10hipError_tPvRmT3_T4_T5_T6_T7_T9_mT8_P12ihipStream_tbDpT10_ENKUlT_T0_E_clISt17integral_constantIbLb0EES1C_EEDaS17_S18_EUlS17_E_NS1_11comp_targetILNS1_3genE4ELNS1_11target_archE910ELNS1_3gpuE8ELNS1_3repE0EEENS1_30default_config_static_selectorELNS0_4arch9wavefront6targetE1EEEvT1_,@function
_ZN7rocprim17ROCPRIM_400000_NS6detail17trampoline_kernelINS0_14default_configENS1_25partition_config_selectorILNS1_17partition_subalgoE8ElNS0_10empty_typeEbEEZZNS1_14partition_implILS5_8ELb0ES3_jPlPS6_PKS6_NS0_5tupleIJS9_S6_EEENSD_IJSA_SA_EEENS0_18inequality_wrapperIZN2at6native12_GLOBAL__N_124unique_dim_cuda_templateIsEESt5tupleIJNSH_6TensorESM_SM_EERKSM_lbbbEUlllE0_EEPmJS6_EEE10hipError_tPvRmT3_T4_T5_T6_T7_T9_mT8_P12ihipStream_tbDpT10_ENKUlT_T0_E_clISt17integral_constantIbLb0EES1C_EEDaS17_S18_EUlS17_E_NS1_11comp_targetILNS1_3genE4ELNS1_11target_archE910ELNS1_3gpuE8ELNS1_3repE0EEENS1_30default_config_static_selectorELNS0_4arch9wavefront6targetE1EEEvT1_: ; @_ZN7rocprim17ROCPRIM_400000_NS6detail17trampoline_kernelINS0_14default_configENS1_25partition_config_selectorILNS1_17partition_subalgoE8ElNS0_10empty_typeEbEEZZNS1_14partition_implILS5_8ELb0ES3_jPlPS6_PKS6_NS0_5tupleIJS9_S6_EEENSD_IJSA_SA_EEENS0_18inequality_wrapperIZN2at6native12_GLOBAL__N_124unique_dim_cuda_templateIsEESt5tupleIJNSH_6TensorESM_SM_EERKSM_lbbbEUlllE0_EEPmJS6_EEE10hipError_tPvRmT3_T4_T5_T6_T7_T9_mT8_P12ihipStream_tbDpT10_ENKUlT_T0_E_clISt17integral_constantIbLb0EES1C_EEDaS17_S18_EUlS17_E_NS1_11comp_targetILNS1_3genE4ELNS1_11target_archE910ELNS1_3gpuE8ELNS1_3repE0EEENS1_30default_config_static_selectorELNS0_4arch9wavefront6targetE1EEEvT1_
; %bb.0:
	.section	.rodata,"a",@progbits
	.p2align	6, 0x0
	.amdhsa_kernel _ZN7rocprim17ROCPRIM_400000_NS6detail17trampoline_kernelINS0_14default_configENS1_25partition_config_selectorILNS1_17partition_subalgoE8ElNS0_10empty_typeEbEEZZNS1_14partition_implILS5_8ELb0ES3_jPlPS6_PKS6_NS0_5tupleIJS9_S6_EEENSD_IJSA_SA_EEENS0_18inequality_wrapperIZN2at6native12_GLOBAL__N_124unique_dim_cuda_templateIsEESt5tupleIJNSH_6TensorESM_SM_EERKSM_lbbbEUlllE0_EEPmJS6_EEE10hipError_tPvRmT3_T4_T5_T6_T7_T9_mT8_P12ihipStream_tbDpT10_ENKUlT_T0_E_clISt17integral_constantIbLb0EES1C_EEDaS17_S18_EUlS17_E_NS1_11comp_targetILNS1_3genE4ELNS1_11target_archE910ELNS1_3gpuE8ELNS1_3repE0EEENS1_30default_config_static_selectorELNS0_4arch9wavefront6targetE1EEEvT1_
		.amdhsa_group_segment_fixed_size 0
		.amdhsa_private_segment_fixed_size 0
		.amdhsa_kernarg_size 120
		.amdhsa_user_sgpr_count 2
		.amdhsa_user_sgpr_dispatch_ptr 0
		.amdhsa_user_sgpr_queue_ptr 0
		.amdhsa_user_sgpr_kernarg_segment_ptr 1
		.amdhsa_user_sgpr_dispatch_id 0
		.amdhsa_user_sgpr_kernarg_preload_length 0
		.amdhsa_user_sgpr_kernarg_preload_offset 0
		.amdhsa_user_sgpr_private_segment_size 0
		.amdhsa_uses_dynamic_stack 0
		.amdhsa_enable_private_segment 0
		.amdhsa_system_sgpr_workgroup_id_x 1
		.amdhsa_system_sgpr_workgroup_id_y 0
		.amdhsa_system_sgpr_workgroup_id_z 0
		.amdhsa_system_sgpr_workgroup_info 0
		.amdhsa_system_vgpr_workitem_id 0
		.amdhsa_next_free_vgpr 1
		.amdhsa_next_free_sgpr 0
		.amdhsa_accum_offset 4
		.amdhsa_reserve_vcc 0
		.amdhsa_float_round_mode_32 0
		.amdhsa_float_round_mode_16_64 0
		.amdhsa_float_denorm_mode_32 3
		.amdhsa_float_denorm_mode_16_64 3
		.amdhsa_dx10_clamp 1
		.amdhsa_ieee_mode 1
		.amdhsa_fp16_overflow 0
		.amdhsa_tg_split 0
		.amdhsa_exception_fp_ieee_invalid_op 0
		.amdhsa_exception_fp_denorm_src 0
		.amdhsa_exception_fp_ieee_div_zero 0
		.amdhsa_exception_fp_ieee_overflow 0
		.amdhsa_exception_fp_ieee_underflow 0
		.amdhsa_exception_fp_ieee_inexact 0
		.amdhsa_exception_int_div_zero 0
	.end_amdhsa_kernel
	.section	.text._ZN7rocprim17ROCPRIM_400000_NS6detail17trampoline_kernelINS0_14default_configENS1_25partition_config_selectorILNS1_17partition_subalgoE8ElNS0_10empty_typeEbEEZZNS1_14partition_implILS5_8ELb0ES3_jPlPS6_PKS6_NS0_5tupleIJS9_S6_EEENSD_IJSA_SA_EEENS0_18inequality_wrapperIZN2at6native12_GLOBAL__N_124unique_dim_cuda_templateIsEESt5tupleIJNSH_6TensorESM_SM_EERKSM_lbbbEUlllE0_EEPmJS6_EEE10hipError_tPvRmT3_T4_T5_T6_T7_T9_mT8_P12ihipStream_tbDpT10_ENKUlT_T0_E_clISt17integral_constantIbLb0EES1C_EEDaS17_S18_EUlS17_E_NS1_11comp_targetILNS1_3genE4ELNS1_11target_archE910ELNS1_3gpuE8ELNS1_3repE0EEENS1_30default_config_static_selectorELNS0_4arch9wavefront6targetE1EEEvT1_,"axG",@progbits,_ZN7rocprim17ROCPRIM_400000_NS6detail17trampoline_kernelINS0_14default_configENS1_25partition_config_selectorILNS1_17partition_subalgoE8ElNS0_10empty_typeEbEEZZNS1_14partition_implILS5_8ELb0ES3_jPlPS6_PKS6_NS0_5tupleIJS9_S6_EEENSD_IJSA_SA_EEENS0_18inequality_wrapperIZN2at6native12_GLOBAL__N_124unique_dim_cuda_templateIsEESt5tupleIJNSH_6TensorESM_SM_EERKSM_lbbbEUlllE0_EEPmJS6_EEE10hipError_tPvRmT3_T4_T5_T6_T7_T9_mT8_P12ihipStream_tbDpT10_ENKUlT_T0_E_clISt17integral_constantIbLb0EES1C_EEDaS17_S18_EUlS17_E_NS1_11comp_targetILNS1_3genE4ELNS1_11target_archE910ELNS1_3gpuE8ELNS1_3repE0EEENS1_30default_config_static_selectorELNS0_4arch9wavefront6targetE1EEEvT1_,comdat
.Lfunc_end687:
	.size	_ZN7rocprim17ROCPRIM_400000_NS6detail17trampoline_kernelINS0_14default_configENS1_25partition_config_selectorILNS1_17partition_subalgoE8ElNS0_10empty_typeEbEEZZNS1_14partition_implILS5_8ELb0ES3_jPlPS6_PKS6_NS0_5tupleIJS9_S6_EEENSD_IJSA_SA_EEENS0_18inequality_wrapperIZN2at6native12_GLOBAL__N_124unique_dim_cuda_templateIsEESt5tupleIJNSH_6TensorESM_SM_EERKSM_lbbbEUlllE0_EEPmJS6_EEE10hipError_tPvRmT3_T4_T5_T6_T7_T9_mT8_P12ihipStream_tbDpT10_ENKUlT_T0_E_clISt17integral_constantIbLb0EES1C_EEDaS17_S18_EUlS17_E_NS1_11comp_targetILNS1_3genE4ELNS1_11target_archE910ELNS1_3gpuE8ELNS1_3repE0EEENS1_30default_config_static_selectorELNS0_4arch9wavefront6targetE1EEEvT1_, .Lfunc_end687-_ZN7rocprim17ROCPRIM_400000_NS6detail17trampoline_kernelINS0_14default_configENS1_25partition_config_selectorILNS1_17partition_subalgoE8ElNS0_10empty_typeEbEEZZNS1_14partition_implILS5_8ELb0ES3_jPlPS6_PKS6_NS0_5tupleIJS9_S6_EEENSD_IJSA_SA_EEENS0_18inequality_wrapperIZN2at6native12_GLOBAL__N_124unique_dim_cuda_templateIsEESt5tupleIJNSH_6TensorESM_SM_EERKSM_lbbbEUlllE0_EEPmJS6_EEE10hipError_tPvRmT3_T4_T5_T6_T7_T9_mT8_P12ihipStream_tbDpT10_ENKUlT_T0_E_clISt17integral_constantIbLb0EES1C_EEDaS17_S18_EUlS17_E_NS1_11comp_targetILNS1_3genE4ELNS1_11target_archE910ELNS1_3gpuE8ELNS1_3repE0EEENS1_30default_config_static_selectorELNS0_4arch9wavefront6targetE1EEEvT1_
                                        ; -- End function
	.set _ZN7rocprim17ROCPRIM_400000_NS6detail17trampoline_kernelINS0_14default_configENS1_25partition_config_selectorILNS1_17partition_subalgoE8ElNS0_10empty_typeEbEEZZNS1_14partition_implILS5_8ELb0ES3_jPlPS6_PKS6_NS0_5tupleIJS9_S6_EEENSD_IJSA_SA_EEENS0_18inequality_wrapperIZN2at6native12_GLOBAL__N_124unique_dim_cuda_templateIsEESt5tupleIJNSH_6TensorESM_SM_EERKSM_lbbbEUlllE0_EEPmJS6_EEE10hipError_tPvRmT3_T4_T5_T6_T7_T9_mT8_P12ihipStream_tbDpT10_ENKUlT_T0_E_clISt17integral_constantIbLb0EES1C_EEDaS17_S18_EUlS17_E_NS1_11comp_targetILNS1_3genE4ELNS1_11target_archE910ELNS1_3gpuE8ELNS1_3repE0EEENS1_30default_config_static_selectorELNS0_4arch9wavefront6targetE1EEEvT1_.num_vgpr, 0
	.set _ZN7rocprim17ROCPRIM_400000_NS6detail17trampoline_kernelINS0_14default_configENS1_25partition_config_selectorILNS1_17partition_subalgoE8ElNS0_10empty_typeEbEEZZNS1_14partition_implILS5_8ELb0ES3_jPlPS6_PKS6_NS0_5tupleIJS9_S6_EEENSD_IJSA_SA_EEENS0_18inequality_wrapperIZN2at6native12_GLOBAL__N_124unique_dim_cuda_templateIsEESt5tupleIJNSH_6TensorESM_SM_EERKSM_lbbbEUlllE0_EEPmJS6_EEE10hipError_tPvRmT3_T4_T5_T6_T7_T9_mT8_P12ihipStream_tbDpT10_ENKUlT_T0_E_clISt17integral_constantIbLb0EES1C_EEDaS17_S18_EUlS17_E_NS1_11comp_targetILNS1_3genE4ELNS1_11target_archE910ELNS1_3gpuE8ELNS1_3repE0EEENS1_30default_config_static_selectorELNS0_4arch9wavefront6targetE1EEEvT1_.num_agpr, 0
	.set _ZN7rocprim17ROCPRIM_400000_NS6detail17trampoline_kernelINS0_14default_configENS1_25partition_config_selectorILNS1_17partition_subalgoE8ElNS0_10empty_typeEbEEZZNS1_14partition_implILS5_8ELb0ES3_jPlPS6_PKS6_NS0_5tupleIJS9_S6_EEENSD_IJSA_SA_EEENS0_18inequality_wrapperIZN2at6native12_GLOBAL__N_124unique_dim_cuda_templateIsEESt5tupleIJNSH_6TensorESM_SM_EERKSM_lbbbEUlllE0_EEPmJS6_EEE10hipError_tPvRmT3_T4_T5_T6_T7_T9_mT8_P12ihipStream_tbDpT10_ENKUlT_T0_E_clISt17integral_constantIbLb0EES1C_EEDaS17_S18_EUlS17_E_NS1_11comp_targetILNS1_3genE4ELNS1_11target_archE910ELNS1_3gpuE8ELNS1_3repE0EEENS1_30default_config_static_selectorELNS0_4arch9wavefront6targetE1EEEvT1_.numbered_sgpr, 0
	.set _ZN7rocprim17ROCPRIM_400000_NS6detail17trampoline_kernelINS0_14default_configENS1_25partition_config_selectorILNS1_17partition_subalgoE8ElNS0_10empty_typeEbEEZZNS1_14partition_implILS5_8ELb0ES3_jPlPS6_PKS6_NS0_5tupleIJS9_S6_EEENSD_IJSA_SA_EEENS0_18inequality_wrapperIZN2at6native12_GLOBAL__N_124unique_dim_cuda_templateIsEESt5tupleIJNSH_6TensorESM_SM_EERKSM_lbbbEUlllE0_EEPmJS6_EEE10hipError_tPvRmT3_T4_T5_T6_T7_T9_mT8_P12ihipStream_tbDpT10_ENKUlT_T0_E_clISt17integral_constantIbLb0EES1C_EEDaS17_S18_EUlS17_E_NS1_11comp_targetILNS1_3genE4ELNS1_11target_archE910ELNS1_3gpuE8ELNS1_3repE0EEENS1_30default_config_static_selectorELNS0_4arch9wavefront6targetE1EEEvT1_.num_named_barrier, 0
	.set _ZN7rocprim17ROCPRIM_400000_NS6detail17trampoline_kernelINS0_14default_configENS1_25partition_config_selectorILNS1_17partition_subalgoE8ElNS0_10empty_typeEbEEZZNS1_14partition_implILS5_8ELb0ES3_jPlPS6_PKS6_NS0_5tupleIJS9_S6_EEENSD_IJSA_SA_EEENS0_18inequality_wrapperIZN2at6native12_GLOBAL__N_124unique_dim_cuda_templateIsEESt5tupleIJNSH_6TensorESM_SM_EERKSM_lbbbEUlllE0_EEPmJS6_EEE10hipError_tPvRmT3_T4_T5_T6_T7_T9_mT8_P12ihipStream_tbDpT10_ENKUlT_T0_E_clISt17integral_constantIbLb0EES1C_EEDaS17_S18_EUlS17_E_NS1_11comp_targetILNS1_3genE4ELNS1_11target_archE910ELNS1_3gpuE8ELNS1_3repE0EEENS1_30default_config_static_selectorELNS0_4arch9wavefront6targetE1EEEvT1_.private_seg_size, 0
	.set _ZN7rocprim17ROCPRIM_400000_NS6detail17trampoline_kernelINS0_14default_configENS1_25partition_config_selectorILNS1_17partition_subalgoE8ElNS0_10empty_typeEbEEZZNS1_14partition_implILS5_8ELb0ES3_jPlPS6_PKS6_NS0_5tupleIJS9_S6_EEENSD_IJSA_SA_EEENS0_18inequality_wrapperIZN2at6native12_GLOBAL__N_124unique_dim_cuda_templateIsEESt5tupleIJNSH_6TensorESM_SM_EERKSM_lbbbEUlllE0_EEPmJS6_EEE10hipError_tPvRmT3_T4_T5_T6_T7_T9_mT8_P12ihipStream_tbDpT10_ENKUlT_T0_E_clISt17integral_constantIbLb0EES1C_EEDaS17_S18_EUlS17_E_NS1_11comp_targetILNS1_3genE4ELNS1_11target_archE910ELNS1_3gpuE8ELNS1_3repE0EEENS1_30default_config_static_selectorELNS0_4arch9wavefront6targetE1EEEvT1_.uses_vcc, 0
	.set _ZN7rocprim17ROCPRIM_400000_NS6detail17trampoline_kernelINS0_14default_configENS1_25partition_config_selectorILNS1_17partition_subalgoE8ElNS0_10empty_typeEbEEZZNS1_14partition_implILS5_8ELb0ES3_jPlPS6_PKS6_NS0_5tupleIJS9_S6_EEENSD_IJSA_SA_EEENS0_18inequality_wrapperIZN2at6native12_GLOBAL__N_124unique_dim_cuda_templateIsEESt5tupleIJNSH_6TensorESM_SM_EERKSM_lbbbEUlllE0_EEPmJS6_EEE10hipError_tPvRmT3_T4_T5_T6_T7_T9_mT8_P12ihipStream_tbDpT10_ENKUlT_T0_E_clISt17integral_constantIbLb0EES1C_EEDaS17_S18_EUlS17_E_NS1_11comp_targetILNS1_3genE4ELNS1_11target_archE910ELNS1_3gpuE8ELNS1_3repE0EEENS1_30default_config_static_selectorELNS0_4arch9wavefront6targetE1EEEvT1_.uses_flat_scratch, 0
	.set _ZN7rocprim17ROCPRIM_400000_NS6detail17trampoline_kernelINS0_14default_configENS1_25partition_config_selectorILNS1_17partition_subalgoE8ElNS0_10empty_typeEbEEZZNS1_14partition_implILS5_8ELb0ES3_jPlPS6_PKS6_NS0_5tupleIJS9_S6_EEENSD_IJSA_SA_EEENS0_18inequality_wrapperIZN2at6native12_GLOBAL__N_124unique_dim_cuda_templateIsEESt5tupleIJNSH_6TensorESM_SM_EERKSM_lbbbEUlllE0_EEPmJS6_EEE10hipError_tPvRmT3_T4_T5_T6_T7_T9_mT8_P12ihipStream_tbDpT10_ENKUlT_T0_E_clISt17integral_constantIbLb0EES1C_EEDaS17_S18_EUlS17_E_NS1_11comp_targetILNS1_3genE4ELNS1_11target_archE910ELNS1_3gpuE8ELNS1_3repE0EEENS1_30default_config_static_selectorELNS0_4arch9wavefront6targetE1EEEvT1_.has_dyn_sized_stack, 0
	.set _ZN7rocprim17ROCPRIM_400000_NS6detail17trampoline_kernelINS0_14default_configENS1_25partition_config_selectorILNS1_17partition_subalgoE8ElNS0_10empty_typeEbEEZZNS1_14partition_implILS5_8ELb0ES3_jPlPS6_PKS6_NS0_5tupleIJS9_S6_EEENSD_IJSA_SA_EEENS0_18inequality_wrapperIZN2at6native12_GLOBAL__N_124unique_dim_cuda_templateIsEESt5tupleIJNSH_6TensorESM_SM_EERKSM_lbbbEUlllE0_EEPmJS6_EEE10hipError_tPvRmT3_T4_T5_T6_T7_T9_mT8_P12ihipStream_tbDpT10_ENKUlT_T0_E_clISt17integral_constantIbLb0EES1C_EEDaS17_S18_EUlS17_E_NS1_11comp_targetILNS1_3genE4ELNS1_11target_archE910ELNS1_3gpuE8ELNS1_3repE0EEENS1_30default_config_static_selectorELNS0_4arch9wavefront6targetE1EEEvT1_.has_recursion, 0
	.set _ZN7rocprim17ROCPRIM_400000_NS6detail17trampoline_kernelINS0_14default_configENS1_25partition_config_selectorILNS1_17partition_subalgoE8ElNS0_10empty_typeEbEEZZNS1_14partition_implILS5_8ELb0ES3_jPlPS6_PKS6_NS0_5tupleIJS9_S6_EEENSD_IJSA_SA_EEENS0_18inequality_wrapperIZN2at6native12_GLOBAL__N_124unique_dim_cuda_templateIsEESt5tupleIJNSH_6TensorESM_SM_EERKSM_lbbbEUlllE0_EEPmJS6_EEE10hipError_tPvRmT3_T4_T5_T6_T7_T9_mT8_P12ihipStream_tbDpT10_ENKUlT_T0_E_clISt17integral_constantIbLb0EES1C_EEDaS17_S18_EUlS17_E_NS1_11comp_targetILNS1_3genE4ELNS1_11target_archE910ELNS1_3gpuE8ELNS1_3repE0EEENS1_30default_config_static_selectorELNS0_4arch9wavefront6targetE1EEEvT1_.has_indirect_call, 0
	.section	.AMDGPU.csdata,"",@progbits
; Kernel info:
; codeLenInByte = 0
; TotalNumSgprs: 6
; NumVgprs: 0
; NumAgprs: 0
; TotalNumVgprs: 0
; ScratchSize: 0
; MemoryBound: 0
; FloatMode: 240
; IeeeMode: 1
; LDSByteSize: 0 bytes/workgroup (compile time only)
; SGPRBlocks: 0
; VGPRBlocks: 0
; NumSGPRsForWavesPerEU: 6
; NumVGPRsForWavesPerEU: 1
; AccumOffset: 4
; Occupancy: 8
; WaveLimiterHint : 0
; COMPUTE_PGM_RSRC2:SCRATCH_EN: 0
; COMPUTE_PGM_RSRC2:USER_SGPR: 2
; COMPUTE_PGM_RSRC2:TRAP_HANDLER: 0
; COMPUTE_PGM_RSRC2:TGID_X_EN: 1
; COMPUTE_PGM_RSRC2:TGID_Y_EN: 0
; COMPUTE_PGM_RSRC2:TGID_Z_EN: 0
; COMPUTE_PGM_RSRC2:TIDIG_COMP_CNT: 0
; COMPUTE_PGM_RSRC3_GFX90A:ACCUM_OFFSET: 0
; COMPUTE_PGM_RSRC3_GFX90A:TG_SPLIT: 0
	.section	.text._ZN7rocprim17ROCPRIM_400000_NS6detail17trampoline_kernelINS0_14default_configENS1_25partition_config_selectorILNS1_17partition_subalgoE8ElNS0_10empty_typeEbEEZZNS1_14partition_implILS5_8ELb0ES3_jPlPS6_PKS6_NS0_5tupleIJS9_S6_EEENSD_IJSA_SA_EEENS0_18inequality_wrapperIZN2at6native12_GLOBAL__N_124unique_dim_cuda_templateIsEESt5tupleIJNSH_6TensorESM_SM_EERKSM_lbbbEUlllE0_EEPmJS6_EEE10hipError_tPvRmT3_T4_T5_T6_T7_T9_mT8_P12ihipStream_tbDpT10_ENKUlT_T0_E_clISt17integral_constantIbLb0EES1C_EEDaS17_S18_EUlS17_E_NS1_11comp_targetILNS1_3genE3ELNS1_11target_archE908ELNS1_3gpuE7ELNS1_3repE0EEENS1_30default_config_static_selectorELNS0_4arch9wavefront6targetE1EEEvT1_,"axG",@progbits,_ZN7rocprim17ROCPRIM_400000_NS6detail17trampoline_kernelINS0_14default_configENS1_25partition_config_selectorILNS1_17partition_subalgoE8ElNS0_10empty_typeEbEEZZNS1_14partition_implILS5_8ELb0ES3_jPlPS6_PKS6_NS0_5tupleIJS9_S6_EEENSD_IJSA_SA_EEENS0_18inequality_wrapperIZN2at6native12_GLOBAL__N_124unique_dim_cuda_templateIsEESt5tupleIJNSH_6TensorESM_SM_EERKSM_lbbbEUlllE0_EEPmJS6_EEE10hipError_tPvRmT3_T4_T5_T6_T7_T9_mT8_P12ihipStream_tbDpT10_ENKUlT_T0_E_clISt17integral_constantIbLb0EES1C_EEDaS17_S18_EUlS17_E_NS1_11comp_targetILNS1_3genE3ELNS1_11target_archE908ELNS1_3gpuE7ELNS1_3repE0EEENS1_30default_config_static_selectorELNS0_4arch9wavefront6targetE1EEEvT1_,comdat
	.globl	_ZN7rocprim17ROCPRIM_400000_NS6detail17trampoline_kernelINS0_14default_configENS1_25partition_config_selectorILNS1_17partition_subalgoE8ElNS0_10empty_typeEbEEZZNS1_14partition_implILS5_8ELb0ES3_jPlPS6_PKS6_NS0_5tupleIJS9_S6_EEENSD_IJSA_SA_EEENS0_18inequality_wrapperIZN2at6native12_GLOBAL__N_124unique_dim_cuda_templateIsEESt5tupleIJNSH_6TensorESM_SM_EERKSM_lbbbEUlllE0_EEPmJS6_EEE10hipError_tPvRmT3_T4_T5_T6_T7_T9_mT8_P12ihipStream_tbDpT10_ENKUlT_T0_E_clISt17integral_constantIbLb0EES1C_EEDaS17_S18_EUlS17_E_NS1_11comp_targetILNS1_3genE3ELNS1_11target_archE908ELNS1_3gpuE7ELNS1_3repE0EEENS1_30default_config_static_selectorELNS0_4arch9wavefront6targetE1EEEvT1_ ; -- Begin function _ZN7rocprim17ROCPRIM_400000_NS6detail17trampoline_kernelINS0_14default_configENS1_25partition_config_selectorILNS1_17partition_subalgoE8ElNS0_10empty_typeEbEEZZNS1_14partition_implILS5_8ELb0ES3_jPlPS6_PKS6_NS0_5tupleIJS9_S6_EEENSD_IJSA_SA_EEENS0_18inequality_wrapperIZN2at6native12_GLOBAL__N_124unique_dim_cuda_templateIsEESt5tupleIJNSH_6TensorESM_SM_EERKSM_lbbbEUlllE0_EEPmJS6_EEE10hipError_tPvRmT3_T4_T5_T6_T7_T9_mT8_P12ihipStream_tbDpT10_ENKUlT_T0_E_clISt17integral_constantIbLb0EES1C_EEDaS17_S18_EUlS17_E_NS1_11comp_targetILNS1_3genE3ELNS1_11target_archE908ELNS1_3gpuE7ELNS1_3repE0EEENS1_30default_config_static_selectorELNS0_4arch9wavefront6targetE1EEEvT1_
	.p2align	8
	.type	_ZN7rocprim17ROCPRIM_400000_NS6detail17trampoline_kernelINS0_14default_configENS1_25partition_config_selectorILNS1_17partition_subalgoE8ElNS0_10empty_typeEbEEZZNS1_14partition_implILS5_8ELb0ES3_jPlPS6_PKS6_NS0_5tupleIJS9_S6_EEENSD_IJSA_SA_EEENS0_18inequality_wrapperIZN2at6native12_GLOBAL__N_124unique_dim_cuda_templateIsEESt5tupleIJNSH_6TensorESM_SM_EERKSM_lbbbEUlllE0_EEPmJS6_EEE10hipError_tPvRmT3_T4_T5_T6_T7_T9_mT8_P12ihipStream_tbDpT10_ENKUlT_T0_E_clISt17integral_constantIbLb0EES1C_EEDaS17_S18_EUlS17_E_NS1_11comp_targetILNS1_3genE3ELNS1_11target_archE908ELNS1_3gpuE7ELNS1_3repE0EEENS1_30default_config_static_selectorELNS0_4arch9wavefront6targetE1EEEvT1_,@function
_ZN7rocprim17ROCPRIM_400000_NS6detail17trampoline_kernelINS0_14default_configENS1_25partition_config_selectorILNS1_17partition_subalgoE8ElNS0_10empty_typeEbEEZZNS1_14partition_implILS5_8ELb0ES3_jPlPS6_PKS6_NS0_5tupleIJS9_S6_EEENSD_IJSA_SA_EEENS0_18inequality_wrapperIZN2at6native12_GLOBAL__N_124unique_dim_cuda_templateIsEESt5tupleIJNSH_6TensorESM_SM_EERKSM_lbbbEUlllE0_EEPmJS6_EEE10hipError_tPvRmT3_T4_T5_T6_T7_T9_mT8_P12ihipStream_tbDpT10_ENKUlT_T0_E_clISt17integral_constantIbLb0EES1C_EEDaS17_S18_EUlS17_E_NS1_11comp_targetILNS1_3genE3ELNS1_11target_archE908ELNS1_3gpuE7ELNS1_3repE0EEENS1_30default_config_static_selectorELNS0_4arch9wavefront6targetE1EEEvT1_: ; @_ZN7rocprim17ROCPRIM_400000_NS6detail17trampoline_kernelINS0_14default_configENS1_25partition_config_selectorILNS1_17partition_subalgoE8ElNS0_10empty_typeEbEEZZNS1_14partition_implILS5_8ELb0ES3_jPlPS6_PKS6_NS0_5tupleIJS9_S6_EEENSD_IJSA_SA_EEENS0_18inequality_wrapperIZN2at6native12_GLOBAL__N_124unique_dim_cuda_templateIsEESt5tupleIJNSH_6TensorESM_SM_EERKSM_lbbbEUlllE0_EEPmJS6_EEE10hipError_tPvRmT3_T4_T5_T6_T7_T9_mT8_P12ihipStream_tbDpT10_ENKUlT_T0_E_clISt17integral_constantIbLb0EES1C_EEDaS17_S18_EUlS17_E_NS1_11comp_targetILNS1_3genE3ELNS1_11target_archE908ELNS1_3gpuE7ELNS1_3repE0EEENS1_30default_config_static_selectorELNS0_4arch9wavefront6targetE1EEEvT1_
; %bb.0:
	.section	.rodata,"a",@progbits
	.p2align	6, 0x0
	.amdhsa_kernel _ZN7rocprim17ROCPRIM_400000_NS6detail17trampoline_kernelINS0_14default_configENS1_25partition_config_selectorILNS1_17partition_subalgoE8ElNS0_10empty_typeEbEEZZNS1_14partition_implILS5_8ELb0ES3_jPlPS6_PKS6_NS0_5tupleIJS9_S6_EEENSD_IJSA_SA_EEENS0_18inequality_wrapperIZN2at6native12_GLOBAL__N_124unique_dim_cuda_templateIsEESt5tupleIJNSH_6TensorESM_SM_EERKSM_lbbbEUlllE0_EEPmJS6_EEE10hipError_tPvRmT3_T4_T5_T6_T7_T9_mT8_P12ihipStream_tbDpT10_ENKUlT_T0_E_clISt17integral_constantIbLb0EES1C_EEDaS17_S18_EUlS17_E_NS1_11comp_targetILNS1_3genE3ELNS1_11target_archE908ELNS1_3gpuE7ELNS1_3repE0EEENS1_30default_config_static_selectorELNS0_4arch9wavefront6targetE1EEEvT1_
		.amdhsa_group_segment_fixed_size 0
		.amdhsa_private_segment_fixed_size 0
		.amdhsa_kernarg_size 120
		.amdhsa_user_sgpr_count 2
		.amdhsa_user_sgpr_dispatch_ptr 0
		.amdhsa_user_sgpr_queue_ptr 0
		.amdhsa_user_sgpr_kernarg_segment_ptr 1
		.amdhsa_user_sgpr_dispatch_id 0
		.amdhsa_user_sgpr_kernarg_preload_length 0
		.amdhsa_user_sgpr_kernarg_preload_offset 0
		.amdhsa_user_sgpr_private_segment_size 0
		.amdhsa_uses_dynamic_stack 0
		.amdhsa_enable_private_segment 0
		.amdhsa_system_sgpr_workgroup_id_x 1
		.amdhsa_system_sgpr_workgroup_id_y 0
		.amdhsa_system_sgpr_workgroup_id_z 0
		.amdhsa_system_sgpr_workgroup_info 0
		.amdhsa_system_vgpr_workitem_id 0
		.amdhsa_next_free_vgpr 1
		.amdhsa_next_free_sgpr 0
		.amdhsa_accum_offset 4
		.amdhsa_reserve_vcc 0
		.amdhsa_float_round_mode_32 0
		.amdhsa_float_round_mode_16_64 0
		.amdhsa_float_denorm_mode_32 3
		.amdhsa_float_denorm_mode_16_64 3
		.amdhsa_dx10_clamp 1
		.amdhsa_ieee_mode 1
		.amdhsa_fp16_overflow 0
		.amdhsa_tg_split 0
		.amdhsa_exception_fp_ieee_invalid_op 0
		.amdhsa_exception_fp_denorm_src 0
		.amdhsa_exception_fp_ieee_div_zero 0
		.amdhsa_exception_fp_ieee_overflow 0
		.amdhsa_exception_fp_ieee_underflow 0
		.amdhsa_exception_fp_ieee_inexact 0
		.amdhsa_exception_int_div_zero 0
	.end_amdhsa_kernel
	.section	.text._ZN7rocprim17ROCPRIM_400000_NS6detail17trampoline_kernelINS0_14default_configENS1_25partition_config_selectorILNS1_17partition_subalgoE8ElNS0_10empty_typeEbEEZZNS1_14partition_implILS5_8ELb0ES3_jPlPS6_PKS6_NS0_5tupleIJS9_S6_EEENSD_IJSA_SA_EEENS0_18inequality_wrapperIZN2at6native12_GLOBAL__N_124unique_dim_cuda_templateIsEESt5tupleIJNSH_6TensorESM_SM_EERKSM_lbbbEUlllE0_EEPmJS6_EEE10hipError_tPvRmT3_T4_T5_T6_T7_T9_mT8_P12ihipStream_tbDpT10_ENKUlT_T0_E_clISt17integral_constantIbLb0EES1C_EEDaS17_S18_EUlS17_E_NS1_11comp_targetILNS1_3genE3ELNS1_11target_archE908ELNS1_3gpuE7ELNS1_3repE0EEENS1_30default_config_static_selectorELNS0_4arch9wavefront6targetE1EEEvT1_,"axG",@progbits,_ZN7rocprim17ROCPRIM_400000_NS6detail17trampoline_kernelINS0_14default_configENS1_25partition_config_selectorILNS1_17partition_subalgoE8ElNS0_10empty_typeEbEEZZNS1_14partition_implILS5_8ELb0ES3_jPlPS6_PKS6_NS0_5tupleIJS9_S6_EEENSD_IJSA_SA_EEENS0_18inequality_wrapperIZN2at6native12_GLOBAL__N_124unique_dim_cuda_templateIsEESt5tupleIJNSH_6TensorESM_SM_EERKSM_lbbbEUlllE0_EEPmJS6_EEE10hipError_tPvRmT3_T4_T5_T6_T7_T9_mT8_P12ihipStream_tbDpT10_ENKUlT_T0_E_clISt17integral_constantIbLb0EES1C_EEDaS17_S18_EUlS17_E_NS1_11comp_targetILNS1_3genE3ELNS1_11target_archE908ELNS1_3gpuE7ELNS1_3repE0EEENS1_30default_config_static_selectorELNS0_4arch9wavefront6targetE1EEEvT1_,comdat
.Lfunc_end688:
	.size	_ZN7rocprim17ROCPRIM_400000_NS6detail17trampoline_kernelINS0_14default_configENS1_25partition_config_selectorILNS1_17partition_subalgoE8ElNS0_10empty_typeEbEEZZNS1_14partition_implILS5_8ELb0ES3_jPlPS6_PKS6_NS0_5tupleIJS9_S6_EEENSD_IJSA_SA_EEENS0_18inequality_wrapperIZN2at6native12_GLOBAL__N_124unique_dim_cuda_templateIsEESt5tupleIJNSH_6TensorESM_SM_EERKSM_lbbbEUlllE0_EEPmJS6_EEE10hipError_tPvRmT3_T4_T5_T6_T7_T9_mT8_P12ihipStream_tbDpT10_ENKUlT_T0_E_clISt17integral_constantIbLb0EES1C_EEDaS17_S18_EUlS17_E_NS1_11comp_targetILNS1_3genE3ELNS1_11target_archE908ELNS1_3gpuE7ELNS1_3repE0EEENS1_30default_config_static_selectorELNS0_4arch9wavefront6targetE1EEEvT1_, .Lfunc_end688-_ZN7rocprim17ROCPRIM_400000_NS6detail17trampoline_kernelINS0_14default_configENS1_25partition_config_selectorILNS1_17partition_subalgoE8ElNS0_10empty_typeEbEEZZNS1_14partition_implILS5_8ELb0ES3_jPlPS6_PKS6_NS0_5tupleIJS9_S6_EEENSD_IJSA_SA_EEENS0_18inequality_wrapperIZN2at6native12_GLOBAL__N_124unique_dim_cuda_templateIsEESt5tupleIJNSH_6TensorESM_SM_EERKSM_lbbbEUlllE0_EEPmJS6_EEE10hipError_tPvRmT3_T4_T5_T6_T7_T9_mT8_P12ihipStream_tbDpT10_ENKUlT_T0_E_clISt17integral_constantIbLb0EES1C_EEDaS17_S18_EUlS17_E_NS1_11comp_targetILNS1_3genE3ELNS1_11target_archE908ELNS1_3gpuE7ELNS1_3repE0EEENS1_30default_config_static_selectorELNS0_4arch9wavefront6targetE1EEEvT1_
                                        ; -- End function
	.set _ZN7rocprim17ROCPRIM_400000_NS6detail17trampoline_kernelINS0_14default_configENS1_25partition_config_selectorILNS1_17partition_subalgoE8ElNS0_10empty_typeEbEEZZNS1_14partition_implILS5_8ELb0ES3_jPlPS6_PKS6_NS0_5tupleIJS9_S6_EEENSD_IJSA_SA_EEENS0_18inequality_wrapperIZN2at6native12_GLOBAL__N_124unique_dim_cuda_templateIsEESt5tupleIJNSH_6TensorESM_SM_EERKSM_lbbbEUlllE0_EEPmJS6_EEE10hipError_tPvRmT3_T4_T5_T6_T7_T9_mT8_P12ihipStream_tbDpT10_ENKUlT_T0_E_clISt17integral_constantIbLb0EES1C_EEDaS17_S18_EUlS17_E_NS1_11comp_targetILNS1_3genE3ELNS1_11target_archE908ELNS1_3gpuE7ELNS1_3repE0EEENS1_30default_config_static_selectorELNS0_4arch9wavefront6targetE1EEEvT1_.num_vgpr, 0
	.set _ZN7rocprim17ROCPRIM_400000_NS6detail17trampoline_kernelINS0_14default_configENS1_25partition_config_selectorILNS1_17partition_subalgoE8ElNS0_10empty_typeEbEEZZNS1_14partition_implILS5_8ELb0ES3_jPlPS6_PKS6_NS0_5tupleIJS9_S6_EEENSD_IJSA_SA_EEENS0_18inequality_wrapperIZN2at6native12_GLOBAL__N_124unique_dim_cuda_templateIsEESt5tupleIJNSH_6TensorESM_SM_EERKSM_lbbbEUlllE0_EEPmJS6_EEE10hipError_tPvRmT3_T4_T5_T6_T7_T9_mT8_P12ihipStream_tbDpT10_ENKUlT_T0_E_clISt17integral_constantIbLb0EES1C_EEDaS17_S18_EUlS17_E_NS1_11comp_targetILNS1_3genE3ELNS1_11target_archE908ELNS1_3gpuE7ELNS1_3repE0EEENS1_30default_config_static_selectorELNS0_4arch9wavefront6targetE1EEEvT1_.num_agpr, 0
	.set _ZN7rocprim17ROCPRIM_400000_NS6detail17trampoline_kernelINS0_14default_configENS1_25partition_config_selectorILNS1_17partition_subalgoE8ElNS0_10empty_typeEbEEZZNS1_14partition_implILS5_8ELb0ES3_jPlPS6_PKS6_NS0_5tupleIJS9_S6_EEENSD_IJSA_SA_EEENS0_18inequality_wrapperIZN2at6native12_GLOBAL__N_124unique_dim_cuda_templateIsEESt5tupleIJNSH_6TensorESM_SM_EERKSM_lbbbEUlllE0_EEPmJS6_EEE10hipError_tPvRmT3_T4_T5_T6_T7_T9_mT8_P12ihipStream_tbDpT10_ENKUlT_T0_E_clISt17integral_constantIbLb0EES1C_EEDaS17_S18_EUlS17_E_NS1_11comp_targetILNS1_3genE3ELNS1_11target_archE908ELNS1_3gpuE7ELNS1_3repE0EEENS1_30default_config_static_selectorELNS0_4arch9wavefront6targetE1EEEvT1_.numbered_sgpr, 0
	.set _ZN7rocprim17ROCPRIM_400000_NS6detail17trampoline_kernelINS0_14default_configENS1_25partition_config_selectorILNS1_17partition_subalgoE8ElNS0_10empty_typeEbEEZZNS1_14partition_implILS5_8ELb0ES3_jPlPS6_PKS6_NS0_5tupleIJS9_S6_EEENSD_IJSA_SA_EEENS0_18inequality_wrapperIZN2at6native12_GLOBAL__N_124unique_dim_cuda_templateIsEESt5tupleIJNSH_6TensorESM_SM_EERKSM_lbbbEUlllE0_EEPmJS6_EEE10hipError_tPvRmT3_T4_T5_T6_T7_T9_mT8_P12ihipStream_tbDpT10_ENKUlT_T0_E_clISt17integral_constantIbLb0EES1C_EEDaS17_S18_EUlS17_E_NS1_11comp_targetILNS1_3genE3ELNS1_11target_archE908ELNS1_3gpuE7ELNS1_3repE0EEENS1_30default_config_static_selectorELNS0_4arch9wavefront6targetE1EEEvT1_.num_named_barrier, 0
	.set _ZN7rocprim17ROCPRIM_400000_NS6detail17trampoline_kernelINS0_14default_configENS1_25partition_config_selectorILNS1_17partition_subalgoE8ElNS0_10empty_typeEbEEZZNS1_14partition_implILS5_8ELb0ES3_jPlPS6_PKS6_NS0_5tupleIJS9_S6_EEENSD_IJSA_SA_EEENS0_18inequality_wrapperIZN2at6native12_GLOBAL__N_124unique_dim_cuda_templateIsEESt5tupleIJNSH_6TensorESM_SM_EERKSM_lbbbEUlllE0_EEPmJS6_EEE10hipError_tPvRmT3_T4_T5_T6_T7_T9_mT8_P12ihipStream_tbDpT10_ENKUlT_T0_E_clISt17integral_constantIbLb0EES1C_EEDaS17_S18_EUlS17_E_NS1_11comp_targetILNS1_3genE3ELNS1_11target_archE908ELNS1_3gpuE7ELNS1_3repE0EEENS1_30default_config_static_selectorELNS0_4arch9wavefront6targetE1EEEvT1_.private_seg_size, 0
	.set _ZN7rocprim17ROCPRIM_400000_NS6detail17trampoline_kernelINS0_14default_configENS1_25partition_config_selectorILNS1_17partition_subalgoE8ElNS0_10empty_typeEbEEZZNS1_14partition_implILS5_8ELb0ES3_jPlPS6_PKS6_NS0_5tupleIJS9_S6_EEENSD_IJSA_SA_EEENS0_18inequality_wrapperIZN2at6native12_GLOBAL__N_124unique_dim_cuda_templateIsEESt5tupleIJNSH_6TensorESM_SM_EERKSM_lbbbEUlllE0_EEPmJS6_EEE10hipError_tPvRmT3_T4_T5_T6_T7_T9_mT8_P12ihipStream_tbDpT10_ENKUlT_T0_E_clISt17integral_constantIbLb0EES1C_EEDaS17_S18_EUlS17_E_NS1_11comp_targetILNS1_3genE3ELNS1_11target_archE908ELNS1_3gpuE7ELNS1_3repE0EEENS1_30default_config_static_selectorELNS0_4arch9wavefront6targetE1EEEvT1_.uses_vcc, 0
	.set _ZN7rocprim17ROCPRIM_400000_NS6detail17trampoline_kernelINS0_14default_configENS1_25partition_config_selectorILNS1_17partition_subalgoE8ElNS0_10empty_typeEbEEZZNS1_14partition_implILS5_8ELb0ES3_jPlPS6_PKS6_NS0_5tupleIJS9_S6_EEENSD_IJSA_SA_EEENS0_18inequality_wrapperIZN2at6native12_GLOBAL__N_124unique_dim_cuda_templateIsEESt5tupleIJNSH_6TensorESM_SM_EERKSM_lbbbEUlllE0_EEPmJS6_EEE10hipError_tPvRmT3_T4_T5_T6_T7_T9_mT8_P12ihipStream_tbDpT10_ENKUlT_T0_E_clISt17integral_constantIbLb0EES1C_EEDaS17_S18_EUlS17_E_NS1_11comp_targetILNS1_3genE3ELNS1_11target_archE908ELNS1_3gpuE7ELNS1_3repE0EEENS1_30default_config_static_selectorELNS0_4arch9wavefront6targetE1EEEvT1_.uses_flat_scratch, 0
	.set _ZN7rocprim17ROCPRIM_400000_NS6detail17trampoline_kernelINS0_14default_configENS1_25partition_config_selectorILNS1_17partition_subalgoE8ElNS0_10empty_typeEbEEZZNS1_14partition_implILS5_8ELb0ES3_jPlPS6_PKS6_NS0_5tupleIJS9_S6_EEENSD_IJSA_SA_EEENS0_18inequality_wrapperIZN2at6native12_GLOBAL__N_124unique_dim_cuda_templateIsEESt5tupleIJNSH_6TensorESM_SM_EERKSM_lbbbEUlllE0_EEPmJS6_EEE10hipError_tPvRmT3_T4_T5_T6_T7_T9_mT8_P12ihipStream_tbDpT10_ENKUlT_T0_E_clISt17integral_constantIbLb0EES1C_EEDaS17_S18_EUlS17_E_NS1_11comp_targetILNS1_3genE3ELNS1_11target_archE908ELNS1_3gpuE7ELNS1_3repE0EEENS1_30default_config_static_selectorELNS0_4arch9wavefront6targetE1EEEvT1_.has_dyn_sized_stack, 0
	.set _ZN7rocprim17ROCPRIM_400000_NS6detail17trampoline_kernelINS0_14default_configENS1_25partition_config_selectorILNS1_17partition_subalgoE8ElNS0_10empty_typeEbEEZZNS1_14partition_implILS5_8ELb0ES3_jPlPS6_PKS6_NS0_5tupleIJS9_S6_EEENSD_IJSA_SA_EEENS0_18inequality_wrapperIZN2at6native12_GLOBAL__N_124unique_dim_cuda_templateIsEESt5tupleIJNSH_6TensorESM_SM_EERKSM_lbbbEUlllE0_EEPmJS6_EEE10hipError_tPvRmT3_T4_T5_T6_T7_T9_mT8_P12ihipStream_tbDpT10_ENKUlT_T0_E_clISt17integral_constantIbLb0EES1C_EEDaS17_S18_EUlS17_E_NS1_11comp_targetILNS1_3genE3ELNS1_11target_archE908ELNS1_3gpuE7ELNS1_3repE0EEENS1_30default_config_static_selectorELNS0_4arch9wavefront6targetE1EEEvT1_.has_recursion, 0
	.set _ZN7rocprim17ROCPRIM_400000_NS6detail17trampoline_kernelINS0_14default_configENS1_25partition_config_selectorILNS1_17partition_subalgoE8ElNS0_10empty_typeEbEEZZNS1_14partition_implILS5_8ELb0ES3_jPlPS6_PKS6_NS0_5tupleIJS9_S6_EEENSD_IJSA_SA_EEENS0_18inequality_wrapperIZN2at6native12_GLOBAL__N_124unique_dim_cuda_templateIsEESt5tupleIJNSH_6TensorESM_SM_EERKSM_lbbbEUlllE0_EEPmJS6_EEE10hipError_tPvRmT3_T4_T5_T6_T7_T9_mT8_P12ihipStream_tbDpT10_ENKUlT_T0_E_clISt17integral_constantIbLb0EES1C_EEDaS17_S18_EUlS17_E_NS1_11comp_targetILNS1_3genE3ELNS1_11target_archE908ELNS1_3gpuE7ELNS1_3repE0EEENS1_30default_config_static_selectorELNS0_4arch9wavefront6targetE1EEEvT1_.has_indirect_call, 0
	.section	.AMDGPU.csdata,"",@progbits
; Kernel info:
; codeLenInByte = 0
; TotalNumSgprs: 6
; NumVgprs: 0
; NumAgprs: 0
; TotalNumVgprs: 0
; ScratchSize: 0
; MemoryBound: 0
; FloatMode: 240
; IeeeMode: 1
; LDSByteSize: 0 bytes/workgroup (compile time only)
; SGPRBlocks: 0
; VGPRBlocks: 0
; NumSGPRsForWavesPerEU: 6
; NumVGPRsForWavesPerEU: 1
; AccumOffset: 4
; Occupancy: 8
; WaveLimiterHint : 0
; COMPUTE_PGM_RSRC2:SCRATCH_EN: 0
; COMPUTE_PGM_RSRC2:USER_SGPR: 2
; COMPUTE_PGM_RSRC2:TRAP_HANDLER: 0
; COMPUTE_PGM_RSRC2:TGID_X_EN: 1
; COMPUTE_PGM_RSRC2:TGID_Y_EN: 0
; COMPUTE_PGM_RSRC2:TGID_Z_EN: 0
; COMPUTE_PGM_RSRC2:TIDIG_COMP_CNT: 0
; COMPUTE_PGM_RSRC3_GFX90A:ACCUM_OFFSET: 0
; COMPUTE_PGM_RSRC3_GFX90A:TG_SPLIT: 0
	.section	.text._ZN7rocprim17ROCPRIM_400000_NS6detail17trampoline_kernelINS0_14default_configENS1_25partition_config_selectorILNS1_17partition_subalgoE8ElNS0_10empty_typeEbEEZZNS1_14partition_implILS5_8ELb0ES3_jPlPS6_PKS6_NS0_5tupleIJS9_S6_EEENSD_IJSA_SA_EEENS0_18inequality_wrapperIZN2at6native12_GLOBAL__N_124unique_dim_cuda_templateIsEESt5tupleIJNSH_6TensorESM_SM_EERKSM_lbbbEUlllE0_EEPmJS6_EEE10hipError_tPvRmT3_T4_T5_T6_T7_T9_mT8_P12ihipStream_tbDpT10_ENKUlT_T0_E_clISt17integral_constantIbLb0EES1C_EEDaS17_S18_EUlS17_E_NS1_11comp_targetILNS1_3genE2ELNS1_11target_archE906ELNS1_3gpuE6ELNS1_3repE0EEENS1_30default_config_static_selectorELNS0_4arch9wavefront6targetE1EEEvT1_,"axG",@progbits,_ZN7rocprim17ROCPRIM_400000_NS6detail17trampoline_kernelINS0_14default_configENS1_25partition_config_selectorILNS1_17partition_subalgoE8ElNS0_10empty_typeEbEEZZNS1_14partition_implILS5_8ELb0ES3_jPlPS6_PKS6_NS0_5tupleIJS9_S6_EEENSD_IJSA_SA_EEENS0_18inequality_wrapperIZN2at6native12_GLOBAL__N_124unique_dim_cuda_templateIsEESt5tupleIJNSH_6TensorESM_SM_EERKSM_lbbbEUlllE0_EEPmJS6_EEE10hipError_tPvRmT3_T4_T5_T6_T7_T9_mT8_P12ihipStream_tbDpT10_ENKUlT_T0_E_clISt17integral_constantIbLb0EES1C_EEDaS17_S18_EUlS17_E_NS1_11comp_targetILNS1_3genE2ELNS1_11target_archE906ELNS1_3gpuE6ELNS1_3repE0EEENS1_30default_config_static_selectorELNS0_4arch9wavefront6targetE1EEEvT1_,comdat
	.globl	_ZN7rocprim17ROCPRIM_400000_NS6detail17trampoline_kernelINS0_14default_configENS1_25partition_config_selectorILNS1_17partition_subalgoE8ElNS0_10empty_typeEbEEZZNS1_14partition_implILS5_8ELb0ES3_jPlPS6_PKS6_NS0_5tupleIJS9_S6_EEENSD_IJSA_SA_EEENS0_18inequality_wrapperIZN2at6native12_GLOBAL__N_124unique_dim_cuda_templateIsEESt5tupleIJNSH_6TensorESM_SM_EERKSM_lbbbEUlllE0_EEPmJS6_EEE10hipError_tPvRmT3_T4_T5_T6_T7_T9_mT8_P12ihipStream_tbDpT10_ENKUlT_T0_E_clISt17integral_constantIbLb0EES1C_EEDaS17_S18_EUlS17_E_NS1_11comp_targetILNS1_3genE2ELNS1_11target_archE906ELNS1_3gpuE6ELNS1_3repE0EEENS1_30default_config_static_selectorELNS0_4arch9wavefront6targetE1EEEvT1_ ; -- Begin function _ZN7rocprim17ROCPRIM_400000_NS6detail17trampoline_kernelINS0_14default_configENS1_25partition_config_selectorILNS1_17partition_subalgoE8ElNS0_10empty_typeEbEEZZNS1_14partition_implILS5_8ELb0ES3_jPlPS6_PKS6_NS0_5tupleIJS9_S6_EEENSD_IJSA_SA_EEENS0_18inequality_wrapperIZN2at6native12_GLOBAL__N_124unique_dim_cuda_templateIsEESt5tupleIJNSH_6TensorESM_SM_EERKSM_lbbbEUlllE0_EEPmJS6_EEE10hipError_tPvRmT3_T4_T5_T6_T7_T9_mT8_P12ihipStream_tbDpT10_ENKUlT_T0_E_clISt17integral_constantIbLb0EES1C_EEDaS17_S18_EUlS17_E_NS1_11comp_targetILNS1_3genE2ELNS1_11target_archE906ELNS1_3gpuE6ELNS1_3repE0EEENS1_30default_config_static_selectorELNS0_4arch9wavefront6targetE1EEEvT1_
	.p2align	8
	.type	_ZN7rocprim17ROCPRIM_400000_NS6detail17trampoline_kernelINS0_14default_configENS1_25partition_config_selectorILNS1_17partition_subalgoE8ElNS0_10empty_typeEbEEZZNS1_14partition_implILS5_8ELb0ES3_jPlPS6_PKS6_NS0_5tupleIJS9_S6_EEENSD_IJSA_SA_EEENS0_18inequality_wrapperIZN2at6native12_GLOBAL__N_124unique_dim_cuda_templateIsEESt5tupleIJNSH_6TensorESM_SM_EERKSM_lbbbEUlllE0_EEPmJS6_EEE10hipError_tPvRmT3_T4_T5_T6_T7_T9_mT8_P12ihipStream_tbDpT10_ENKUlT_T0_E_clISt17integral_constantIbLb0EES1C_EEDaS17_S18_EUlS17_E_NS1_11comp_targetILNS1_3genE2ELNS1_11target_archE906ELNS1_3gpuE6ELNS1_3repE0EEENS1_30default_config_static_selectorELNS0_4arch9wavefront6targetE1EEEvT1_,@function
_ZN7rocprim17ROCPRIM_400000_NS6detail17trampoline_kernelINS0_14default_configENS1_25partition_config_selectorILNS1_17partition_subalgoE8ElNS0_10empty_typeEbEEZZNS1_14partition_implILS5_8ELb0ES3_jPlPS6_PKS6_NS0_5tupleIJS9_S6_EEENSD_IJSA_SA_EEENS0_18inequality_wrapperIZN2at6native12_GLOBAL__N_124unique_dim_cuda_templateIsEESt5tupleIJNSH_6TensorESM_SM_EERKSM_lbbbEUlllE0_EEPmJS6_EEE10hipError_tPvRmT3_T4_T5_T6_T7_T9_mT8_P12ihipStream_tbDpT10_ENKUlT_T0_E_clISt17integral_constantIbLb0EES1C_EEDaS17_S18_EUlS17_E_NS1_11comp_targetILNS1_3genE2ELNS1_11target_archE906ELNS1_3gpuE6ELNS1_3repE0EEENS1_30default_config_static_selectorELNS0_4arch9wavefront6targetE1EEEvT1_: ; @_ZN7rocprim17ROCPRIM_400000_NS6detail17trampoline_kernelINS0_14default_configENS1_25partition_config_selectorILNS1_17partition_subalgoE8ElNS0_10empty_typeEbEEZZNS1_14partition_implILS5_8ELb0ES3_jPlPS6_PKS6_NS0_5tupleIJS9_S6_EEENSD_IJSA_SA_EEENS0_18inequality_wrapperIZN2at6native12_GLOBAL__N_124unique_dim_cuda_templateIsEESt5tupleIJNSH_6TensorESM_SM_EERKSM_lbbbEUlllE0_EEPmJS6_EEE10hipError_tPvRmT3_T4_T5_T6_T7_T9_mT8_P12ihipStream_tbDpT10_ENKUlT_T0_E_clISt17integral_constantIbLb0EES1C_EEDaS17_S18_EUlS17_E_NS1_11comp_targetILNS1_3genE2ELNS1_11target_archE906ELNS1_3gpuE6ELNS1_3repE0EEENS1_30default_config_static_selectorELNS0_4arch9wavefront6targetE1EEEvT1_
; %bb.0:
	.section	.rodata,"a",@progbits
	.p2align	6, 0x0
	.amdhsa_kernel _ZN7rocprim17ROCPRIM_400000_NS6detail17trampoline_kernelINS0_14default_configENS1_25partition_config_selectorILNS1_17partition_subalgoE8ElNS0_10empty_typeEbEEZZNS1_14partition_implILS5_8ELb0ES3_jPlPS6_PKS6_NS0_5tupleIJS9_S6_EEENSD_IJSA_SA_EEENS0_18inequality_wrapperIZN2at6native12_GLOBAL__N_124unique_dim_cuda_templateIsEESt5tupleIJNSH_6TensorESM_SM_EERKSM_lbbbEUlllE0_EEPmJS6_EEE10hipError_tPvRmT3_T4_T5_T6_T7_T9_mT8_P12ihipStream_tbDpT10_ENKUlT_T0_E_clISt17integral_constantIbLb0EES1C_EEDaS17_S18_EUlS17_E_NS1_11comp_targetILNS1_3genE2ELNS1_11target_archE906ELNS1_3gpuE6ELNS1_3repE0EEENS1_30default_config_static_selectorELNS0_4arch9wavefront6targetE1EEEvT1_
		.amdhsa_group_segment_fixed_size 0
		.amdhsa_private_segment_fixed_size 0
		.amdhsa_kernarg_size 120
		.amdhsa_user_sgpr_count 2
		.amdhsa_user_sgpr_dispatch_ptr 0
		.amdhsa_user_sgpr_queue_ptr 0
		.amdhsa_user_sgpr_kernarg_segment_ptr 1
		.amdhsa_user_sgpr_dispatch_id 0
		.amdhsa_user_sgpr_kernarg_preload_length 0
		.amdhsa_user_sgpr_kernarg_preload_offset 0
		.amdhsa_user_sgpr_private_segment_size 0
		.amdhsa_uses_dynamic_stack 0
		.amdhsa_enable_private_segment 0
		.amdhsa_system_sgpr_workgroup_id_x 1
		.amdhsa_system_sgpr_workgroup_id_y 0
		.amdhsa_system_sgpr_workgroup_id_z 0
		.amdhsa_system_sgpr_workgroup_info 0
		.amdhsa_system_vgpr_workitem_id 0
		.amdhsa_next_free_vgpr 1
		.amdhsa_next_free_sgpr 0
		.amdhsa_accum_offset 4
		.amdhsa_reserve_vcc 0
		.amdhsa_float_round_mode_32 0
		.amdhsa_float_round_mode_16_64 0
		.amdhsa_float_denorm_mode_32 3
		.amdhsa_float_denorm_mode_16_64 3
		.amdhsa_dx10_clamp 1
		.amdhsa_ieee_mode 1
		.amdhsa_fp16_overflow 0
		.amdhsa_tg_split 0
		.amdhsa_exception_fp_ieee_invalid_op 0
		.amdhsa_exception_fp_denorm_src 0
		.amdhsa_exception_fp_ieee_div_zero 0
		.amdhsa_exception_fp_ieee_overflow 0
		.amdhsa_exception_fp_ieee_underflow 0
		.amdhsa_exception_fp_ieee_inexact 0
		.amdhsa_exception_int_div_zero 0
	.end_amdhsa_kernel
	.section	.text._ZN7rocprim17ROCPRIM_400000_NS6detail17trampoline_kernelINS0_14default_configENS1_25partition_config_selectorILNS1_17partition_subalgoE8ElNS0_10empty_typeEbEEZZNS1_14partition_implILS5_8ELb0ES3_jPlPS6_PKS6_NS0_5tupleIJS9_S6_EEENSD_IJSA_SA_EEENS0_18inequality_wrapperIZN2at6native12_GLOBAL__N_124unique_dim_cuda_templateIsEESt5tupleIJNSH_6TensorESM_SM_EERKSM_lbbbEUlllE0_EEPmJS6_EEE10hipError_tPvRmT3_T4_T5_T6_T7_T9_mT8_P12ihipStream_tbDpT10_ENKUlT_T0_E_clISt17integral_constantIbLb0EES1C_EEDaS17_S18_EUlS17_E_NS1_11comp_targetILNS1_3genE2ELNS1_11target_archE906ELNS1_3gpuE6ELNS1_3repE0EEENS1_30default_config_static_selectorELNS0_4arch9wavefront6targetE1EEEvT1_,"axG",@progbits,_ZN7rocprim17ROCPRIM_400000_NS6detail17trampoline_kernelINS0_14default_configENS1_25partition_config_selectorILNS1_17partition_subalgoE8ElNS0_10empty_typeEbEEZZNS1_14partition_implILS5_8ELb0ES3_jPlPS6_PKS6_NS0_5tupleIJS9_S6_EEENSD_IJSA_SA_EEENS0_18inequality_wrapperIZN2at6native12_GLOBAL__N_124unique_dim_cuda_templateIsEESt5tupleIJNSH_6TensorESM_SM_EERKSM_lbbbEUlllE0_EEPmJS6_EEE10hipError_tPvRmT3_T4_T5_T6_T7_T9_mT8_P12ihipStream_tbDpT10_ENKUlT_T0_E_clISt17integral_constantIbLb0EES1C_EEDaS17_S18_EUlS17_E_NS1_11comp_targetILNS1_3genE2ELNS1_11target_archE906ELNS1_3gpuE6ELNS1_3repE0EEENS1_30default_config_static_selectorELNS0_4arch9wavefront6targetE1EEEvT1_,comdat
.Lfunc_end689:
	.size	_ZN7rocprim17ROCPRIM_400000_NS6detail17trampoline_kernelINS0_14default_configENS1_25partition_config_selectorILNS1_17partition_subalgoE8ElNS0_10empty_typeEbEEZZNS1_14partition_implILS5_8ELb0ES3_jPlPS6_PKS6_NS0_5tupleIJS9_S6_EEENSD_IJSA_SA_EEENS0_18inequality_wrapperIZN2at6native12_GLOBAL__N_124unique_dim_cuda_templateIsEESt5tupleIJNSH_6TensorESM_SM_EERKSM_lbbbEUlllE0_EEPmJS6_EEE10hipError_tPvRmT3_T4_T5_T6_T7_T9_mT8_P12ihipStream_tbDpT10_ENKUlT_T0_E_clISt17integral_constantIbLb0EES1C_EEDaS17_S18_EUlS17_E_NS1_11comp_targetILNS1_3genE2ELNS1_11target_archE906ELNS1_3gpuE6ELNS1_3repE0EEENS1_30default_config_static_selectorELNS0_4arch9wavefront6targetE1EEEvT1_, .Lfunc_end689-_ZN7rocprim17ROCPRIM_400000_NS6detail17trampoline_kernelINS0_14default_configENS1_25partition_config_selectorILNS1_17partition_subalgoE8ElNS0_10empty_typeEbEEZZNS1_14partition_implILS5_8ELb0ES3_jPlPS6_PKS6_NS0_5tupleIJS9_S6_EEENSD_IJSA_SA_EEENS0_18inequality_wrapperIZN2at6native12_GLOBAL__N_124unique_dim_cuda_templateIsEESt5tupleIJNSH_6TensorESM_SM_EERKSM_lbbbEUlllE0_EEPmJS6_EEE10hipError_tPvRmT3_T4_T5_T6_T7_T9_mT8_P12ihipStream_tbDpT10_ENKUlT_T0_E_clISt17integral_constantIbLb0EES1C_EEDaS17_S18_EUlS17_E_NS1_11comp_targetILNS1_3genE2ELNS1_11target_archE906ELNS1_3gpuE6ELNS1_3repE0EEENS1_30default_config_static_selectorELNS0_4arch9wavefront6targetE1EEEvT1_
                                        ; -- End function
	.set _ZN7rocprim17ROCPRIM_400000_NS6detail17trampoline_kernelINS0_14default_configENS1_25partition_config_selectorILNS1_17partition_subalgoE8ElNS0_10empty_typeEbEEZZNS1_14partition_implILS5_8ELb0ES3_jPlPS6_PKS6_NS0_5tupleIJS9_S6_EEENSD_IJSA_SA_EEENS0_18inequality_wrapperIZN2at6native12_GLOBAL__N_124unique_dim_cuda_templateIsEESt5tupleIJNSH_6TensorESM_SM_EERKSM_lbbbEUlllE0_EEPmJS6_EEE10hipError_tPvRmT3_T4_T5_T6_T7_T9_mT8_P12ihipStream_tbDpT10_ENKUlT_T0_E_clISt17integral_constantIbLb0EES1C_EEDaS17_S18_EUlS17_E_NS1_11comp_targetILNS1_3genE2ELNS1_11target_archE906ELNS1_3gpuE6ELNS1_3repE0EEENS1_30default_config_static_selectorELNS0_4arch9wavefront6targetE1EEEvT1_.num_vgpr, 0
	.set _ZN7rocprim17ROCPRIM_400000_NS6detail17trampoline_kernelINS0_14default_configENS1_25partition_config_selectorILNS1_17partition_subalgoE8ElNS0_10empty_typeEbEEZZNS1_14partition_implILS5_8ELb0ES3_jPlPS6_PKS6_NS0_5tupleIJS9_S6_EEENSD_IJSA_SA_EEENS0_18inequality_wrapperIZN2at6native12_GLOBAL__N_124unique_dim_cuda_templateIsEESt5tupleIJNSH_6TensorESM_SM_EERKSM_lbbbEUlllE0_EEPmJS6_EEE10hipError_tPvRmT3_T4_T5_T6_T7_T9_mT8_P12ihipStream_tbDpT10_ENKUlT_T0_E_clISt17integral_constantIbLb0EES1C_EEDaS17_S18_EUlS17_E_NS1_11comp_targetILNS1_3genE2ELNS1_11target_archE906ELNS1_3gpuE6ELNS1_3repE0EEENS1_30default_config_static_selectorELNS0_4arch9wavefront6targetE1EEEvT1_.num_agpr, 0
	.set _ZN7rocprim17ROCPRIM_400000_NS6detail17trampoline_kernelINS0_14default_configENS1_25partition_config_selectorILNS1_17partition_subalgoE8ElNS0_10empty_typeEbEEZZNS1_14partition_implILS5_8ELb0ES3_jPlPS6_PKS6_NS0_5tupleIJS9_S6_EEENSD_IJSA_SA_EEENS0_18inequality_wrapperIZN2at6native12_GLOBAL__N_124unique_dim_cuda_templateIsEESt5tupleIJNSH_6TensorESM_SM_EERKSM_lbbbEUlllE0_EEPmJS6_EEE10hipError_tPvRmT3_T4_T5_T6_T7_T9_mT8_P12ihipStream_tbDpT10_ENKUlT_T0_E_clISt17integral_constantIbLb0EES1C_EEDaS17_S18_EUlS17_E_NS1_11comp_targetILNS1_3genE2ELNS1_11target_archE906ELNS1_3gpuE6ELNS1_3repE0EEENS1_30default_config_static_selectorELNS0_4arch9wavefront6targetE1EEEvT1_.numbered_sgpr, 0
	.set _ZN7rocprim17ROCPRIM_400000_NS6detail17trampoline_kernelINS0_14default_configENS1_25partition_config_selectorILNS1_17partition_subalgoE8ElNS0_10empty_typeEbEEZZNS1_14partition_implILS5_8ELb0ES3_jPlPS6_PKS6_NS0_5tupleIJS9_S6_EEENSD_IJSA_SA_EEENS0_18inequality_wrapperIZN2at6native12_GLOBAL__N_124unique_dim_cuda_templateIsEESt5tupleIJNSH_6TensorESM_SM_EERKSM_lbbbEUlllE0_EEPmJS6_EEE10hipError_tPvRmT3_T4_T5_T6_T7_T9_mT8_P12ihipStream_tbDpT10_ENKUlT_T0_E_clISt17integral_constantIbLb0EES1C_EEDaS17_S18_EUlS17_E_NS1_11comp_targetILNS1_3genE2ELNS1_11target_archE906ELNS1_3gpuE6ELNS1_3repE0EEENS1_30default_config_static_selectorELNS0_4arch9wavefront6targetE1EEEvT1_.num_named_barrier, 0
	.set _ZN7rocprim17ROCPRIM_400000_NS6detail17trampoline_kernelINS0_14default_configENS1_25partition_config_selectorILNS1_17partition_subalgoE8ElNS0_10empty_typeEbEEZZNS1_14partition_implILS5_8ELb0ES3_jPlPS6_PKS6_NS0_5tupleIJS9_S6_EEENSD_IJSA_SA_EEENS0_18inequality_wrapperIZN2at6native12_GLOBAL__N_124unique_dim_cuda_templateIsEESt5tupleIJNSH_6TensorESM_SM_EERKSM_lbbbEUlllE0_EEPmJS6_EEE10hipError_tPvRmT3_T4_T5_T6_T7_T9_mT8_P12ihipStream_tbDpT10_ENKUlT_T0_E_clISt17integral_constantIbLb0EES1C_EEDaS17_S18_EUlS17_E_NS1_11comp_targetILNS1_3genE2ELNS1_11target_archE906ELNS1_3gpuE6ELNS1_3repE0EEENS1_30default_config_static_selectorELNS0_4arch9wavefront6targetE1EEEvT1_.private_seg_size, 0
	.set _ZN7rocprim17ROCPRIM_400000_NS6detail17trampoline_kernelINS0_14default_configENS1_25partition_config_selectorILNS1_17partition_subalgoE8ElNS0_10empty_typeEbEEZZNS1_14partition_implILS5_8ELb0ES3_jPlPS6_PKS6_NS0_5tupleIJS9_S6_EEENSD_IJSA_SA_EEENS0_18inequality_wrapperIZN2at6native12_GLOBAL__N_124unique_dim_cuda_templateIsEESt5tupleIJNSH_6TensorESM_SM_EERKSM_lbbbEUlllE0_EEPmJS6_EEE10hipError_tPvRmT3_T4_T5_T6_T7_T9_mT8_P12ihipStream_tbDpT10_ENKUlT_T0_E_clISt17integral_constantIbLb0EES1C_EEDaS17_S18_EUlS17_E_NS1_11comp_targetILNS1_3genE2ELNS1_11target_archE906ELNS1_3gpuE6ELNS1_3repE0EEENS1_30default_config_static_selectorELNS0_4arch9wavefront6targetE1EEEvT1_.uses_vcc, 0
	.set _ZN7rocprim17ROCPRIM_400000_NS6detail17trampoline_kernelINS0_14default_configENS1_25partition_config_selectorILNS1_17partition_subalgoE8ElNS0_10empty_typeEbEEZZNS1_14partition_implILS5_8ELb0ES3_jPlPS6_PKS6_NS0_5tupleIJS9_S6_EEENSD_IJSA_SA_EEENS0_18inequality_wrapperIZN2at6native12_GLOBAL__N_124unique_dim_cuda_templateIsEESt5tupleIJNSH_6TensorESM_SM_EERKSM_lbbbEUlllE0_EEPmJS6_EEE10hipError_tPvRmT3_T4_T5_T6_T7_T9_mT8_P12ihipStream_tbDpT10_ENKUlT_T0_E_clISt17integral_constantIbLb0EES1C_EEDaS17_S18_EUlS17_E_NS1_11comp_targetILNS1_3genE2ELNS1_11target_archE906ELNS1_3gpuE6ELNS1_3repE0EEENS1_30default_config_static_selectorELNS0_4arch9wavefront6targetE1EEEvT1_.uses_flat_scratch, 0
	.set _ZN7rocprim17ROCPRIM_400000_NS6detail17trampoline_kernelINS0_14default_configENS1_25partition_config_selectorILNS1_17partition_subalgoE8ElNS0_10empty_typeEbEEZZNS1_14partition_implILS5_8ELb0ES3_jPlPS6_PKS6_NS0_5tupleIJS9_S6_EEENSD_IJSA_SA_EEENS0_18inequality_wrapperIZN2at6native12_GLOBAL__N_124unique_dim_cuda_templateIsEESt5tupleIJNSH_6TensorESM_SM_EERKSM_lbbbEUlllE0_EEPmJS6_EEE10hipError_tPvRmT3_T4_T5_T6_T7_T9_mT8_P12ihipStream_tbDpT10_ENKUlT_T0_E_clISt17integral_constantIbLb0EES1C_EEDaS17_S18_EUlS17_E_NS1_11comp_targetILNS1_3genE2ELNS1_11target_archE906ELNS1_3gpuE6ELNS1_3repE0EEENS1_30default_config_static_selectorELNS0_4arch9wavefront6targetE1EEEvT1_.has_dyn_sized_stack, 0
	.set _ZN7rocprim17ROCPRIM_400000_NS6detail17trampoline_kernelINS0_14default_configENS1_25partition_config_selectorILNS1_17partition_subalgoE8ElNS0_10empty_typeEbEEZZNS1_14partition_implILS5_8ELb0ES3_jPlPS6_PKS6_NS0_5tupleIJS9_S6_EEENSD_IJSA_SA_EEENS0_18inequality_wrapperIZN2at6native12_GLOBAL__N_124unique_dim_cuda_templateIsEESt5tupleIJNSH_6TensorESM_SM_EERKSM_lbbbEUlllE0_EEPmJS6_EEE10hipError_tPvRmT3_T4_T5_T6_T7_T9_mT8_P12ihipStream_tbDpT10_ENKUlT_T0_E_clISt17integral_constantIbLb0EES1C_EEDaS17_S18_EUlS17_E_NS1_11comp_targetILNS1_3genE2ELNS1_11target_archE906ELNS1_3gpuE6ELNS1_3repE0EEENS1_30default_config_static_selectorELNS0_4arch9wavefront6targetE1EEEvT1_.has_recursion, 0
	.set _ZN7rocprim17ROCPRIM_400000_NS6detail17trampoline_kernelINS0_14default_configENS1_25partition_config_selectorILNS1_17partition_subalgoE8ElNS0_10empty_typeEbEEZZNS1_14partition_implILS5_8ELb0ES3_jPlPS6_PKS6_NS0_5tupleIJS9_S6_EEENSD_IJSA_SA_EEENS0_18inequality_wrapperIZN2at6native12_GLOBAL__N_124unique_dim_cuda_templateIsEESt5tupleIJNSH_6TensorESM_SM_EERKSM_lbbbEUlllE0_EEPmJS6_EEE10hipError_tPvRmT3_T4_T5_T6_T7_T9_mT8_P12ihipStream_tbDpT10_ENKUlT_T0_E_clISt17integral_constantIbLb0EES1C_EEDaS17_S18_EUlS17_E_NS1_11comp_targetILNS1_3genE2ELNS1_11target_archE906ELNS1_3gpuE6ELNS1_3repE0EEENS1_30default_config_static_selectorELNS0_4arch9wavefront6targetE1EEEvT1_.has_indirect_call, 0
	.section	.AMDGPU.csdata,"",@progbits
; Kernel info:
; codeLenInByte = 0
; TotalNumSgprs: 6
; NumVgprs: 0
; NumAgprs: 0
; TotalNumVgprs: 0
; ScratchSize: 0
; MemoryBound: 0
; FloatMode: 240
; IeeeMode: 1
; LDSByteSize: 0 bytes/workgroup (compile time only)
; SGPRBlocks: 0
; VGPRBlocks: 0
; NumSGPRsForWavesPerEU: 6
; NumVGPRsForWavesPerEU: 1
; AccumOffset: 4
; Occupancy: 8
; WaveLimiterHint : 0
; COMPUTE_PGM_RSRC2:SCRATCH_EN: 0
; COMPUTE_PGM_RSRC2:USER_SGPR: 2
; COMPUTE_PGM_RSRC2:TRAP_HANDLER: 0
; COMPUTE_PGM_RSRC2:TGID_X_EN: 1
; COMPUTE_PGM_RSRC2:TGID_Y_EN: 0
; COMPUTE_PGM_RSRC2:TGID_Z_EN: 0
; COMPUTE_PGM_RSRC2:TIDIG_COMP_CNT: 0
; COMPUTE_PGM_RSRC3_GFX90A:ACCUM_OFFSET: 0
; COMPUTE_PGM_RSRC3_GFX90A:TG_SPLIT: 0
	.section	.text._ZN7rocprim17ROCPRIM_400000_NS6detail17trampoline_kernelINS0_14default_configENS1_25partition_config_selectorILNS1_17partition_subalgoE8ElNS0_10empty_typeEbEEZZNS1_14partition_implILS5_8ELb0ES3_jPlPS6_PKS6_NS0_5tupleIJS9_S6_EEENSD_IJSA_SA_EEENS0_18inequality_wrapperIZN2at6native12_GLOBAL__N_124unique_dim_cuda_templateIsEESt5tupleIJNSH_6TensorESM_SM_EERKSM_lbbbEUlllE0_EEPmJS6_EEE10hipError_tPvRmT3_T4_T5_T6_T7_T9_mT8_P12ihipStream_tbDpT10_ENKUlT_T0_E_clISt17integral_constantIbLb0EES1C_EEDaS17_S18_EUlS17_E_NS1_11comp_targetILNS1_3genE10ELNS1_11target_archE1200ELNS1_3gpuE4ELNS1_3repE0EEENS1_30default_config_static_selectorELNS0_4arch9wavefront6targetE1EEEvT1_,"axG",@progbits,_ZN7rocprim17ROCPRIM_400000_NS6detail17trampoline_kernelINS0_14default_configENS1_25partition_config_selectorILNS1_17partition_subalgoE8ElNS0_10empty_typeEbEEZZNS1_14partition_implILS5_8ELb0ES3_jPlPS6_PKS6_NS0_5tupleIJS9_S6_EEENSD_IJSA_SA_EEENS0_18inequality_wrapperIZN2at6native12_GLOBAL__N_124unique_dim_cuda_templateIsEESt5tupleIJNSH_6TensorESM_SM_EERKSM_lbbbEUlllE0_EEPmJS6_EEE10hipError_tPvRmT3_T4_T5_T6_T7_T9_mT8_P12ihipStream_tbDpT10_ENKUlT_T0_E_clISt17integral_constantIbLb0EES1C_EEDaS17_S18_EUlS17_E_NS1_11comp_targetILNS1_3genE10ELNS1_11target_archE1200ELNS1_3gpuE4ELNS1_3repE0EEENS1_30default_config_static_selectorELNS0_4arch9wavefront6targetE1EEEvT1_,comdat
	.globl	_ZN7rocprim17ROCPRIM_400000_NS6detail17trampoline_kernelINS0_14default_configENS1_25partition_config_selectorILNS1_17partition_subalgoE8ElNS0_10empty_typeEbEEZZNS1_14partition_implILS5_8ELb0ES3_jPlPS6_PKS6_NS0_5tupleIJS9_S6_EEENSD_IJSA_SA_EEENS0_18inequality_wrapperIZN2at6native12_GLOBAL__N_124unique_dim_cuda_templateIsEESt5tupleIJNSH_6TensorESM_SM_EERKSM_lbbbEUlllE0_EEPmJS6_EEE10hipError_tPvRmT3_T4_T5_T6_T7_T9_mT8_P12ihipStream_tbDpT10_ENKUlT_T0_E_clISt17integral_constantIbLb0EES1C_EEDaS17_S18_EUlS17_E_NS1_11comp_targetILNS1_3genE10ELNS1_11target_archE1200ELNS1_3gpuE4ELNS1_3repE0EEENS1_30default_config_static_selectorELNS0_4arch9wavefront6targetE1EEEvT1_ ; -- Begin function _ZN7rocprim17ROCPRIM_400000_NS6detail17trampoline_kernelINS0_14default_configENS1_25partition_config_selectorILNS1_17partition_subalgoE8ElNS0_10empty_typeEbEEZZNS1_14partition_implILS5_8ELb0ES3_jPlPS6_PKS6_NS0_5tupleIJS9_S6_EEENSD_IJSA_SA_EEENS0_18inequality_wrapperIZN2at6native12_GLOBAL__N_124unique_dim_cuda_templateIsEESt5tupleIJNSH_6TensorESM_SM_EERKSM_lbbbEUlllE0_EEPmJS6_EEE10hipError_tPvRmT3_T4_T5_T6_T7_T9_mT8_P12ihipStream_tbDpT10_ENKUlT_T0_E_clISt17integral_constantIbLb0EES1C_EEDaS17_S18_EUlS17_E_NS1_11comp_targetILNS1_3genE10ELNS1_11target_archE1200ELNS1_3gpuE4ELNS1_3repE0EEENS1_30default_config_static_selectorELNS0_4arch9wavefront6targetE1EEEvT1_
	.p2align	8
	.type	_ZN7rocprim17ROCPRIM_400000_NS6detail17trampoline_kernelINS0_14default_configENS1_25partition_config_selectorILNS1_17partition_subalgoE8ElNS0_10empty_typeEbEEZZNS1_14partition_implILS5_8ELb0ES3_jPlPS6_PKS6_NS0_5tupleIJS9_S6_EEENSD_IJSA_SA_EEENS0_18inequality_wrapperIZN2at6native12_GLOBAL__N_124unique_dim_cuda_templateIsEESt5tupleIJNSH_6TensorESM_SM_EERKSM_lbbbEUlllE0_EEPmJS6_EEE10hipError_tPvRmT3_T4_T5_T6_T7_T9_mT8_P12ihipStream_tbDpT10_ENKUlT_T0_E_clISt17integral_constantIbLb0EES1C_EEDaS17_S18_EUlS17_E_NS1_11comp_targetILNS1_3genE10ELNS1_11target_archE1200ELNS1_3gpuE4ELNS1_3repE0EEENS1_30default_config_static_selectorELNS0_4arch9wavefront6targetE1EEEvT1_,@function
_ZN7rocprim17ROCPRIM_400000_NS6detail17trampoline_kernelINS0_14default_configENS1_25partition_config_selectorILNS1_17partition_subalgoE8ElNS0_10empty_typeEbEEZZNS1_14partition_implILS5_8ELb0ES3_jPlPS6_PKS6_NS0_5tupleIJS9_S6_EEENSD_IJSA_SA_EEENS0_18inequality_wrapperIZN2at6native12_GLOBAL__N_124unique_dim_cuda_templateIsEESt5tupleIJNSH_6TensorESM_SM_EERKSM_lbbbEUlllE0_EEPmJS6_EEE10hipError_tPvRmT3_T4_T5_T6_T7_T9_mT8_P12ihipStream_tbDpT10_ENKUlT_T0_E_clISt17integral_constantIbLb0EES1C_EEDaS17_S18_EUlS17_E_NS1_11comp_targetILNS1_3genE10ELNS1_11target_archE1200ELNS1_3gpuE4ELNS1_3repE0EEENS1_30default_config_static_selectorELNS0_4arch9wavefront6targetE1EEEvT1_: ; @_ZN7rocprim17ROCPRIM_400000_NS6detail17trampoline_kernelINS0_14default_configENS1_25partition_config_selectorILNS1_17partition_subalgoE8ElNS0_10empty_typeEbEEZZNS1_14partition_implILS5_8ELb0ES3_jPlPS6_PKS6_NS0_5tupleIJS9_S6_EEENSD_IJSA_SA_EEENS0_18inequality_wrapperIZN2at6native12_GLOBAL__N_124unique_dim_cuda_templateIsEESt5tupleIJNSH_6TensorESM_SM_EERKSM_lbbbEUlllE0_EEPmJS6_EEE10hipError_tPvRmT3_T4_T5_T6_T7_T9_mT8_P12ihipStream_tbDpT10_ENKUlT_T0_E_clISt17integral_constantIbLb0EES1C_EEDaS17_S18_EUlS17_E_NS1_11comp_targetILNS1_3genE10ELNS1_11target_archE1200ELNS1_3gpuE4ELNS1_3repE0EEENS1_30default_config_static_selectorELNS0_4arch9wavefront6targetE1EEEvT1_
; %bb.0:
	.section	.rodata,"a",@progbits
	.p2align	6, 0x0
	.amdhsa_kernel _ZN7rocprim17ROCPRIM_400000_NS6detail17trampoline_kernelINS0_14default_configENS1_25partition_config_selectorILNS1_17partition_subalgoE8ElNS0_10empty_typeEbEEZZNS1_14partition_implILS5_8ELb0ES3_jPlPS6_PKS6_NS0_5tupleIJS9_S6_EEENSD_IJSA_SA_EEENS0_18inequality_wrapperIZN2at6native12_GLOBAL__N_124unique_dim_cuda_templateIsEESt5tupleIJNSH_6TensorESM_SM_EERKSM_lbbbEUlllE0_EEPmJS6_EEE10hipError_tPvRmT3_T4_T5_T6_T7_T9_mT8_P12ihipStream_tbDpT10_ENKUlT_T0_E_clISt17integral_constantIbLb0EES1C_EEDaS17_S18_EUlS17_E_NS1_11comp_targetILNS1_3genE10ELNS1_11target_archE1200ELNS1_3gpuE4ELNS1_3repE0EEENS1_30default_config_static_selectorELNS0_4arch9wavefront6targetE1EEEvT1_
		.amdhsa_group_segment_fixed_size 0
		.amdhsa_private_segment_fixed_size 0
		.amdhsa_kernarg_size 120
		.amdhsa_user_sgpr_count 2
		.amdhsa_user_sgpr_dispatch_ptr 0
		.amdhsa_user_sgpr_queue_ptr 0
		.amdhsa_user_sgpr_kernarg_segment_ptr 1
		.amdhsa_user_sgpr_dispatch_id 0
		.amdhsa_user_sgpr_kernarg_preload_length 0
		.amdhsa_user_sgpr_kernarg_preload_offset 0
		.amdhsa_user_sgpr_private_segment_size 0
		.amdhsa_uses_dynamic_stack 0
		.amdhsa_enable_private_segment 0
		.amdhsa_system_sgpr_workgroup_id_x 1
		.amdhsa_system_sgpr_workgroup_id_y 0
		.amdhsa_system_sgpr_workgroup_id_z 0
		.amdhsa_system_sgpr_workgroup_info 0
		.amdhsa_system_vgpr_workitem_id 0
		.amdhsa_next_free_vgpr 1
		.amdhsa_next_free_sgpr 0
		.amdhsa_accum_offset 4
		.amdhsa_reserve_vcc 0
		.amdhsa_float_round_mode_32 0
		.amdhsa_float_round_mode_16_64 0
		.amdhsa_float_denorm_mode_32 3
		.amdhsa_float_denorm_mode_16_64 3
		.amdhsa_dx10_clamp 1
		.amdhsa_ieee_mode 1
		.amdhsa_fp16_overflow 0
		.amdhsa_tg_split 0
		.amdhsa_exception_fp_ieee_invalid_op 0
		.amdhsa_exception_fp_denorm_src 0
		.amdhsa_exception_fp_ieee_div_zero 0
		.amdhsa_exception_fp_ieee_overflow 0
		.amdhsa_exception_fp_ieee_underflow 0
		.amdhsa_exception_fp_ieee_inexact 0
		.amdhsa_exception_int_div_zero 0
	.end_amdhsa_kernel
	.section	.text._ZN7rocprim17ROCPRIM_400000_NS6detail17trampoline_kernelINS0_14default_configENS1_25partition_config_selectorILNS1_17partition_subalgoE8ElNS0_10empty_typeEbEEZZNS1_14partition_implILS5_8ELb0ES3_jPlPS6_PKS6_NS0_5tupleIJS9_S6_EEENSD_IJSA_SA_EEENS0_18inequality_wrapperIZN2at6native12_GLOBAL__N_124unique_dim_cuda_templateIsEESt5tupleIJNSH_6TensorESM_SM_EERKSM_lbbbEUlllE0_EEPmJS6_EEE10hipError_tPvRmT3_T4_T5_T6_T7_T9_mT8_P12ihipStream_tbDpT10_ENKUlT_T0_E_clISt17integral_constantIbLb0EES1C_EEDaS17_S18_EUlS17_E_NS1_11comp_targetILNS1_3genE10ELNS1_11target_archE1200ELNS1_3gpuE4ELNS1_3repE0EEENS1_30default_config_static_selectorELNS0_4arch9wavefront6targetE1EEEvT1_,"axG",@progbits,_ZN7rocprim17ROCPRIM_400000_NS6detail17trampoline_kernelINS0_14default_configENS1_25partition_config_selectorILNS1_17partition_subalgoE8ElNS0_10empty_typeEbEEZZNS1_14partition_implILS5_8ELb0ES3_jPlPS6_PKS6_NS0_5tupleIJS9_S6_EEENSD_IJSA_SA_EEENS0_18inequality_wrapperIZN2at6native12_GLOBAL__N_124unique_dim_cuda_templateIsEESt5tupleIJNSH_6TensorESM_SM_EERKSM_lbbbEUlllE0_EEPmJS6_EEE10hipError_tPvRmT3_T4_T5_T6_T7_T9_mT8_P12ihipStream_tbDpT10_ENKUlT_T0_E_clISt17integral_constantIbLb0EES1C_EEDaS17_S18_EUlS17_E_NS1_11comp_targetILNS1_3genE10ELNS1_11target_archE1200ELNS1_3gpuE4ELNS1_3repE0EEENS1_30default_config_static_selectorELNS0_4arch9wavefront6targetE1EEEvT1_,comdat
.Lfunc_end690:
	.size	_ZN7rocprim17ROCPRIM_400000_NS6detail17trampoline_kernelINS0_14default_configENS1_25partition_config_selectorILNS1_17partition_subalgoE8ElNS0_10empty_typeEbEEZZNS1_14partition_implILS5_8ELb0ES3_jPlPS6_PKS6_NS0_5tupleIJS9_S6_EEENSD_IJSA_SA_EEENS0_18inequality_wrapperIZN2at6native12_GLOBAL__N_124unique_dim_cuda_templateIsEESt5tupleIJNSH_6TensorESM_SM_EERKSM_lbbbEUlllE0_EEPmJS6_EEE10hipError_tPvRmT3_T4_T5_T6_T7_T9_mT8_P12ihipStream_tbDpT10_ENKUlT_T0_E_clISt17integral_constantIbLb0EES1C_EEDaS17_S18_EUlS17_E_NS1_11comp_targetILNS1_3genE10ELNS1_11target_archE1200ELNS1_3gpuE4ELNS1_3repE0EEENS1_30default_config_static_selectorELNS0_4arch9wavefront6targetE1EEEvT1_, .Lfunc_end690-_ZN7rocprim17ROCPRIM_400000_NS6detail17trampoline_kernelINS0_14default_configENS1_25partition_config_selectorILNS1_17partition_subalgoE8ElNS0_10empty_typeEbEEZZNS1_14partition_implILS5_8ELb0ES3_jPlPS6_PKS6_NS0_5tupleIJS9_S6_EEENSD_IJSA_SA_EEENS0_18inequality_wrapperIZN2at6native12_GLOBAL__N_124unique_dim_cuda_templateIsEESt5tupleIJNSH_6TensorESM_SM_EERKSM_lbbbEUlllE0_EEPmJS6_EEE10hipError_tPvRmT3_T4_T5_T6_T7_T9_mT8_P12ihipStream_tbDpT10_ENKUlT_T0_E_clISt17integral_constantIbLb0EES1C_EEDaS17_S18_EUlS17_E_NS1_11comp_targetILNS1_3genE10ELNS1_11target_archE1200ELNS1_3gpuE4ELNS1_3repE0EEENS1_30default_config_static_selectorELNS0_4arch9wavefront6targetE1EEEvT1_
                                        ; -- End function
	.set _ZN7rocprim17ROCPRIM_400000_NS6detail17trampoline_kernelINS0_14default_configENS1_25partition_config_selectorILNS1_17partition_subalgoE8ElNS0_10empty_typeEbEEZZNS1_14partition_implILS5_8ELb0ES3_jPlPS6_PKS6_NS0_5tupleIJS9_S6_EEENSD_IJSA_SA_EEENS0_18inequality_wrapperIZN2at6native12_GLOBAL__N_124unique_dim_cuda_templateIsEESt5tupleIJNSH_6TensorESM_SM_EERKSM_lbbbEUlllE0_EEPmJS6_EEE10hipError_tPvRmT3_T4_T5_T6_T7_T9_mT8_P12ihipStream_tbDpT10_ENKUlT_T0_E_clISt17integral_constantIbLb0EES1C_EEDaS17_S18_EUlS17_E_NS1_11comp_targetILNS1_3genE10ELNS1_11target_archE1200ELNS1_3gpuE4ELNS1_3repE0EEENS1_30default_config_static_selectorELNS0_4arch9wavefront6targetE1EEEvT1_.num_vgpr, 0
	.set _ZN7rocprim17ROCPRIM_400000_NS6detail17trampoline_kernelINS0_14default_configENS1_25partition_config_selectorILNS1_17partition_subalgoE8ElNS0_10empty_typeEbEEZZNS1_14partition_implILS5_8ELb0ES3_jPlPS6_PKS6_NS0_5tupleIJS9_S6_EEENSD_IJSA_SA_EEENS0_18inequality_wrapperIZN2at6native12_GLOBAL__N_124unique_dim_cuda_templateIsEESt5tupleIJNSH_6TensorESM_SM_EERKSM_lbbbEUlllE0_EEPmJS6_EEE10hipError_tPvRmT3_T4_T5_T6_T7_T9_mT8_P12ihipStream_tbDpT10_ENKUlT_T0_E_clISt17integral_constantIbLb0EES1C_EEDaS17_S18_EUlS17_E_NS1_11comp_targetILNS1_3genE10ELNS1_11target_archE1200ELNS1_3gpuE4ELNS1_3repE0EEENS1_30default_config_static_selectorELNS0_4arch9wavefront6targetE1EEEvT1_.num_agpr, 0
	.set _ZN7rocprim17ROCPRIM_400000_NS6detail17trampoline_kernelINS0_14default_configENS1_25partition_config_selectorILNS1_17partition_subalgoE8ElNS0_10empty_typeEbEEZZNS1_14partition_implILS5_8ELb0ES3_jPlPS6_PKS6_NS0_5tupleIJS9_S6_EEENSD_IJSA_SA_EEENS0_18inequality_wrapperIZN2at6native12_GLOBAL__N_124unique_dim_cuda_templateIsEESt5tupleIJNSH_6TensorESM_SM_EERKSM_lbbbEUlllE0_EEPmJS6_EEE10hipError_tPvRmT3_T4_T5_T6_T7_T9_mT8_P12ihipStream_tbDpT10_ENKUlT_T0_E_clISt17integral_constantIbLb0EES1C_EEDaS17_S18_EUlS17_E_NS1_11comp_targetILNS1_3genE10ELNS1_11target_archE1200ELNS1_3gpuE4ELNS1_3repE0EEENS1_30default_config_static_selectorELNS0_4arch9wavefront6targetE1EEEvT1_.numbered_sgpr, 0
	.set _ZN7rocprim17ROCPRIM_400000_NS6detail17trampoline_kernelINS0_14default_configENS1_25partition_config_selectorILNS1_17partition_subalgoE8ElNS0_10empty_typeEbEEZZNS1_14partition_implILS5_8ELb0ES3_jPlPS6_PKS6_NS0_5tupleIJS9_S6_EEENSD_IJSA_SA_EEENS0_18inequality_wrapperIZN2at6native12_GLOBAL__N_124unique_dim_cuda_templateIsEESt5tupleIJNSH_6TensorESM_SM_EERKSM_lbbbEUlllE0_EEPmJS6_EEE10hipError_tPvRmT3_T4_T5_T6_T7_T9_mT8_P12ihipStream_tbDpT10_ENKUlT_T0_E_clISt17integral_constantIbLb0EES1C_EEDaS17_S18_EUlS17_E_NS1_11comp_targetILNS1_3genE10ELNS1_11target_archE1200ELNS1_3gpuE4ELNS1_3repE0EEENS1_30default_config_static_selectorELNS0_4arch9wavefront6targetE1EEEvT1_.num_named_barrier, 0
	.set _ZN7rocprim17ROCPRIM_400000_NS6detail17trampoline_kernelINS0_14default_configENS1_25partition_config_selectorILNS1_17partition_subalgoE8ElNS0_10empty_typeEbEEZZNS1_14partition_implILS5_8ELb0ES3_jPlPS6_PKS6_NS0_5tupleIJS9_S6_EEENSD_IJSA_SA_EEENS0_18inequality_wrapperIZN2at6native12_GLOBAL__N_124unique_dim_cuda_templateIsEESt5tupleIJNSH_6TensorESM_SM_EERKSM_lbbbEUlllE0_EEPmJS6_EEE10hipError_tPvRmT3_T4_T5_T6_T7_T9_mT8_P12ihipStream_tbDpT10_ENKUlT_T0_E_clISt17integral_constantIbLb0EES1C_EEDaS17_S18_EUlS17_E_NS1_11comp_targetILNS1_3genE10ELNS1_11target_archE1200ELNS1_3gpuE4ELNS1_3repE0EEENS1_30default_config_static_selectorELNS0_4arch9wavefront6targetE1EEEvT1_.private_seg_size, 0
	.set _ZN7rocprim17ROCPRIM_400000_NS6detail17trampoline_kernelINS0_14default_configENS1_25partition_config_selectorILNS1_17partition_subalgoE8ElNS0_10empty_typeEbEEZZNS1_14partition_implILS5_8ELb0ES3_jPlPS6_PKS6_NS0_5tupleIJS9_S6_EEENSD_IJSA_SA_EEENS0_18inequality_wrapperIZN2at6native12_GLOBAL__N_124unique_dim_cuda_templateIsEESt5tupleIJNSH_6TensorESM_SM_EERKSM_lbbbEUlllE0_EEPmJS6_EEE10hipError_tPvRmT3_T4_T5_T6_T7_T9_mT8_P12ihipStream_tbDpT10_ENKUlT_T0_E_clISt17integral_constantIbLb0EES1C_EEDaS17_S18_EUlS17_E_NS1_11comp_targetILNS1_3genE10ELNS1_11target_archE1200ELNS1_3gpuE4ELNS1_3repE0EEENS1_30default_config_static_selectorELNS0_4arch9wavefront6targetE1EEEvT1_.uses_vcc, 0
	.set _ZN7rocprim17ROCPRIM_400000_NS6detail17trampoline_kernelINS0_14default_configENS1_25partition_config_selectorILNS1_17partition_subalgoE8ElNS0_10empty_typeEbEEZZNS1_14partition_implILS5_8ELb0ES3_jPlPS6_PKS6_NS0_5tupleIJS9_S6_EEENSD_IJSA_SA_EEENS0_18inequality_wrapperIZN2at6native12_GLOBAL__N_124unique_dim_cuda_templateIsEESt5tupleIJNSH_6TensorESM_SM_EERKSM_lbbbEUlllE0_EEPmJS6_EEE10hipError_tPvRmT3_T4_T5_T6_T7_T9_mT8_P12ihipStream_tbDpT10_ENKUlT_T0_E_clISt17integral_constantIbLb0EES1C_EEDaS17_S18_EUlS17_E_NS1_11comp_targetILNS1_3genE10ELNS1_11target_archE1200ELNS1_3gpuE4ELNS1_3repE0EEENS1_30default_config_static_selectorELNS0_4arch9wavefront6targetE1EEEvT1_.uses_flat_scratch, 0
	.set _ZN7rocprim17ROCPRIM_400000_NS6detail17trampoline_kernelINS0_14default_configENS1_25partition_config_selectorILNS1_17partition_subalgoE8ElNS0_10empty_typeEbEEZZNS1_14partition_implILS5_8ELb0ES3_jPlPS6_PKS6_NS0_5tupleIJS9_S6_EEENSD_IJSA_SA_EEENS0_18inequality_wrapperIZN2at6native12_GLOBAL__N_124unique_dim_cuda_templateIsEESt5tupleIJNSH_6TensorESM_SM_EERKSM_lbbbEUlllE0_EEPmJS6_EEE10hipError_tPvRmT3_T4_T5_T6_T7_T9_mT8_P12ihipStream_tbDpT10_ENKUlT_T0_E_clISt17integral_constantIbLb0EES1C_EEDaS17_S18_EUlS17_E_NS1_11comp_targetILNS1_3genE10ELNS1_11target_archE1200ELNS1_3gpuE4ELNS1_3repE0EEENS1_30default_config_static_selectorELNS0_4arch9wavefront6targetE1EEEvT1_.has_dyn_sized_stack, 0
	.set _ZN7rocprim17ROCPRIM_400000_NS6detail17trampoline_kernelINS0_14default_configENS1_25partition_config_selectorILNS1_17partition_subalgoE8ElNS0_10empty_typeEbEEZZNS1_14partition_implILS5_8ELb0ES3_jPlPS6_PKS6_NS0_5tupleIJS9_S6_EEENSD_IJSA_SA_EEENS0_18inequality_wrapperIZN2at6native12_GLOBAL__N_124unique_dim_cuda_templateIsEESt5tupleIJNSH_6TensorESM_SM_EERKSM_lbbbEUlllE0_EEPmJS6_EEE10hipError_tPvRmT3_T4_T5_T6_T7_T9_mT8_P12ihipStream_tbDpT10_ENKUlT_T0_E_clISt17integral_constantIbLb0EES1C_EEDaS17_S18_EUlS17_E_NS1_11comp_targetILNS1_3genE10ELNS1_11target_archE1200ELNS1_3gpuE4ELNS1_3repE0EEENS1_30default_config_static_selectorELNS0_4arch9wavefront6targetE1EEEvT1_.has_recursion, 0
	.set _ZN7rocprim17ROCPRIM_400000_NS6detail17trampoline_kernelINS0_14default_configENS1_25partition_config_selectorILNS1_17partition_subalgoE8ElNS0_10empty_typeEbEEZZNS1_14partition_implILS5_8ELb0ES3_jPlPS6_PKS6_NS0_5tupleIJS9_S6_EEENSD_IJSA_SA_EEENS0_18inequality_wrapperIZN2at6native12_GLOBAL__N_124unique_dim_cuda_templateIsEESt5tupleIJNSH_6TensorESM_SM_EERKSM_lbbbEUlllE0_EEPmJS6_EEE10hipError_tPvRmT3_T4_T5_T6_T7_T9_mT8_P12ihipStream_tbDpT10_ENKUlT_T0_E_clISt17integral_constantIbLb0EES1C_EEDaS17_S18_EUlS17_E_NS1_11comp_targetILNS1_3genE10ELNS1_11target_archE1200ELNS1_3gpuE4ELNS1_3repE0EEENS1_30default_config_static_selectorELNS0_4arch9wavefront6targetE1EEEvT1_.has_indirect_call, 0
	.section	.AMDGPU.csdata,"",@progbits
; Kernel info:
; codeLenInByte = 0
; TotalNumSgprs: 6
; NumVgprs: 0
; NumAgprs: 0
; TotalNumVgprs: 0
; ScratchSize: 0
; MemoryBound: 0
; FloatMode: 240
; IeeeMode: 1
; LDSByteSize: 0 bytes/workgroup (compile time only)
; SGPRBlocks: 0
; VGPRBlocks: 0
; NumSGPRsForWavesPerEU: 6
; NumVGPRsForWavesPerEU: 1
; AccumOffset: 4
; Occupancy: 8
; WaveLimiterHint : 0
; COMPUTE_PGM_RSRC2:SCRATCH_EN: 0
; COMPUTE_PGM_RSRC2:USER_SGPR: 2
; COMPUTE_PGM_RSRC2:TRAP_HANDLER: 0
; COMPUTE_PGM_RSRC2:TGID_X_EN: 1
; COMPUTE_PGM_RSRC2:TGID_Y_EN: 0
; COMPUTE_PGM_RSRC2:TGID_Z_EN: 0
; COMPUTE_PGM_RSRC2:TIDIG_COMP_CNT: 0
; COMPUTE_PGM_RSRC3_GFX90A:ACCUM_OFFSET: 0
; COMPUTE_PGM_RSRC3_GFX90A:TG_SPLIT: 0
	.section	.text._ZN7rocprim17ROCPRIM_400000_NS6detail17trampoline_kernelINS0_14default_configENS1_25partition_config_selectorILNS1_17partition_subalgoE8ElNS0_10empty_typeEbEEZZNS1_14partition_implILS5_8ELb0ES3_jPlPS6_PKS6_NS0_5tupleIJS9_S6_EEENSD_IJSA_SA_EEENS0_18inequality_wrapperIZN2at6native12_GLOBAL__N_124unique_dim_cuda_templateIsEESt5tupleIJNSH_6TensorESM_SM_EERKSM_lbbbEUlllE0_EEPmJS6_EEE10hipError_tPvRmT3_T4_T5_T6_T7_T9_mT8_P12ihipStream_tbDpT10_ENKUlT_T0_E_clISt17integral_constantIbLb0EES1C_EEDaS17_S18_EUlS17_E_NS1_11comp_targetILNS1_3genE9ELNS1_11target_archE1100ELNS1_3gpuE3ELNS1_3repE0EEENS1_30default_config_static_selectorELNS0_4arch9wavefront6targetE1EEEvT1_,"axG",@progbits,_ZN7rocprim17ROCPRIM_400000_NS6detail17trampoline_kernelINS0_14default_configENS1_25partition_config_selectorILNS1_17partition_subalgoE8ElNS0_10empty_typeEbEEZZNS1_14partition_implILS5_8ELb0ES3_jPlPS6_PKS6_NS0_5tupleIJS9_S6_EEENSD_IJSA_SA_EEENS0_18inequality_wrapperIZN2at6native12_GLOBAL__N_124unique_dim_cuda_templateIsEESt5tupleIJNSH_6TensorESM_SM_EERKSM_lbbbEUlllE0_EEPmJS6_EEE10hipError_tPvRmT3_T4_T5_T6_T7_T9_mT8_P12ihipStream_tbDpT10_ENKUlT_T0_E_clISt17integral_constantIbLb0EES1C_EEDaS17_S18_EUlS17_E_NS1_11comp_targetILNS1_3genE9ELNS1_11target_archE1100ELNS1_3gpuE3ELNS1_3repE0EEENS1_30default_config_static_selectorELNS0_4arch9wavefront6targetE1EEEvT1_,comdat
	.globl	_ZN7rocprim17ROCPRIM_400000_NS6detail17trampoline_kernelINS0_14default_configENS1_25partition_config_selectorILNS1_17partition_subalgoE8ElNS0_10empty_typeEbEEZZNS1_14partition_implILS5_8ELb0ES3_jPlPS6_PKS6_NS0_5tupleIJS9_S6_EEENSD_IJSA_SA_EEENS0_18inequality_wrapperIZN2at6native12_GLOBAL__N_124unique_dim_cuda_templateIsEESt5tupleIJNSH_6TensorESM_SM_EERKSM_lbbbEUlllE0_EEPmJS6_EEE10hipError_tPvRmT3_T4_T5_T6_T7_T9_mT8_P12ihipStream_tbDpT10_ENKUlT_T0_E_clISt17integral_constantIbLb0EES1C_EEDaS17_S18_EUlS17_E_NS1_11comp_targetILNS1_3genE9ELNS1_11target_archE1100ELNS1_3gpuE3ELNS1_3repE0EEENS1_30default_config_static_selectorELNS0_4arch9wavefront6targetE1EEEvT1_ ; -- Begin function _ZN7rocprim17ROCPRIM_400000_NS6detail17trampoline_kernelINS0_14default_configENS1_25partition_config_selectorILNS1_17partition_subalgoE8ElNS0_10empty_typeEbEEZZNS1_14partition_implILS5_8ELb0ES3_jPlPS6_PKS6_NS0_5tupleIJS9_S6_EEENSD_IJSA_SA_EEENS0_18inequality_wrapperIZN2at6native12_GLOBAL__N_124unique_dim_cuda_templateIsEESt5tupleIJNSH_6TensorESM_SM_EERKSM_lbbbEUlllE0_EEPmJS6_EEE10hipError_tPvRmT3_T4_T5_T6_T7_T9_mT8_P12ihipStream_tbDpT10_ENKUlT_T0_E_clISt17integral_constantIbLb0EES1C_EEDaS17_S18_EUlS17_E_NS1_11comp_targetILNS1_3genE9ELNS1_11target_archE1100ELNS1_3gpuE3ELNS1_3repE0EEENS1_30default_config_static_selectorELNS0_4arch9wavefront6targetE1EEEvT1_
	.p2align	8
	.type	_ZN7rocprim17ROCPRIM_400000_NS6detail17trampoline_kernelINS0_14default_configENS1_25partition_config_selectorILNS1_17partition_subalgoE8ElNS0_10empty_typeEbEEZZNS1_14partition_implILS5_8ELb0ES3_jPlPS6_PKS6_NS0_5tupleIJS9_S6_EEENSD_IJSA_SA_EEENS0_18inequality_wrapperIZN2at6native12_GLOBAL__N_124unique_dim_cuda_templateIsEESt5tupleIJNSH_6TensorESM_SM_EERKSM_lbbbEUlllE0_EEPmJS6_EEE10hipError_tPvRmT3_T4_T5_T6_T7_T9_mT8_P12ihipStream_tbDpT10_ENKUlT_T0_E_clISt17integral_constantIbLb0EES1C_EEDaS17_S18_EUlS17_E_NS1_11comp_targetILNS1_3genE9ELNS1_11target_archE1100ELNS1_3gpuE3ELNS1_3repE0EEENS1_30default_config_static_selectorELNS0_4arch9wavefront6targetE1EEEvT1_,@function
_ZN7rocprim17ROCPRIM_400000_NS6detail17trampoline_kernelINS0_14default_configENS1_25partition_config_selectorILNS1_17partition_subalgoE8ElNS0_10empty_typeEbEEZZNS1_14partition_implILS5_8ELb0ES3_jPlPS6_PKS6_NS0_5tupleIJS9_S6_EEENSD_IJSA_SA_EEENS0_18inequality_wrapperIZN2at6native12_GLOBAL__N_124unique_dim_cuda_templateIsEESt5tupleIJNSH_6TensorESM_SM_EERKSM_lbbbEUlllE0_EEPmJS6_EEE10hipError_tPvRmT3_T4_T5_T6_T7_T9_mT8_P12ihipStream_tbDpT10_ENKUlT_T0_E_clISt17integral_constantIbLb0EES1C_EEDaS17_S18_EUlS17_E_NS1_11comp_targetILNS1_3genE9ELNS1_11target_archE1100ELNS1_3gpuE3ELNS1_3repE0EEENS1_30default_config_static_selectorELNS0_4arch9wavefront6targetE1EEEvT1_: ; @_ZN7rocprim17ROCPRIM_400000_NS6detail17trampoline_kernelINS0_14default_configENS1_25partition_config_selectorILNS1_17partition_subalgoE8ElNS0_10empty_typeEbEEZZNS1_14partition_implILS5_8ELb0ES3_jPlPS6_PKS6_NS0_5tupleIJS9_S6_EEENSD_IJSA_SA_EEENS0_18inequality_wrapperIZN2at6native12_GLOBAL__N_124unique_dim_cuda_templateIsEESt5tupleIJNSH_6TensorESM_SM_EERKSM_lbbbEUlllE0_EEPmJS6_EEE10hipError_tPvRmT3_T4_T5_T6_T7_T9_mT8_P12ihipStream_tbDpT10_ENKUlT_T0_E_clISt17integral_constantIbLb0EES1C_EEDaS17_S18_EUlS17_E_NS1_11comp_targetILNS1_3genE9ELNS1_11target_archE1100ELNS1_3gpuE3ELNS1_3repE0EEENS1_30default_config_static_selectorELNS0_4arch9wavefront6targetE1EEEvT1_
; %bb.0:
	.section	.rodata,"a",@progbits
	.p2align	6, 0x0
	.amdhsa_kernel _ZN7rocprim17ROCPRIM_400000_NS6detail17trampoline_kernelINS0_14default_configENS1_25partition_config_selectorILNS1_17partition_subalgoE8ElNS0_10empty_typeEbEEZZNS1_14partition_implILS5_8ELb0ES3_jPlPS6_PKS6_NS0_5tupleIJS9_S6_EEENSD_IJSA_SA_EEENS0_18inequality_wrapperIZN2at6native12_GLOBAL__N_124unique_dim_cuda_templateIsEESt5tupleIJNSH_6TensorESM_SM_EERKSM_lbbbEUlllE0_EEPmJS6_EEE10hipError_tPvRmT3_T4_T5_T6_T7_T9_mT8_P12ihipStream_tbDpT10_ENKUlT_T0_E_clISt17integral_constantIbLb0EES1C_EEDaS17_S18_EUlS17_E_NS1_11comp_targetILNS1_3genE9ELNS1_11target_archE1100ELNS1_3gpuE3ELNS1_3repE0EEENS1_30default_config_static_selectorELNS0_4arch9wavefront6targetE1EEEvT1_
		.amdhsa_group_segment_fixed_size 0
		.amdhsa_private_segment_fixed_size 0
		.amdhsa_kernarg_size 120
		.amdhsa_user_sgpr_count 2
		.amdhsa_user_sgpr_dispatch_ptr 0
		.amdhsa_user_sgpr_queue_ptr 0
		.amdhsa_user_sgpr_kernarg_segment_ptr 1
		.amdhsa_user_sgpr_dispatch_id 0
		.amdhsa_user_sgpr_kernarg_preload_length 0
		.amdhsa_user_sgpr_kernarg_preload_offset 0
		.amdhsa_user_sgpr_private_segment_size 0
		.amdhsa_uses_dynamic_stack 0
		.amdhsa_enable_private_segment 0
		.amdhsa_system_sgpr_workgroup_id_x 1
		.amdhsa_system_sgpr_workgroup_id_y 0
		.amdhsa_system_sgpr_workgroup_id_z 0
		.amdhsa_system_sgpr_workgroup_info 0
		.amdhsa_system_vgpr_workitem_id 0
		.amdhsa_next_free_vgpr 1
		.amdhsa_next_free_sgpr 0
		.amdhsa_accum_offset 4
		.amdhsa_reserve_vcc 0
		.amdhsa_float_round_mode_32 0
		.amdhsa_float_round_mode_16_64 0
		.amdhsa_float_denorm_mode_32 3
		.amdhsa_float_denorm_mode_16_64 3
		.amdhsa_dx10_clamp 1
		.amdhsa_ieee_mode 1
		.amdhsa_fp16_overflow 0
		.amdhsa_tg_split 0
		.amdhsa_exception_fp_ieee_invalid_op 0
		.amdhsa_exception_fp_denorm_src 0
		.amdhsa_exception_fp_ieee_div_zero 0
		.amdhsa_exception_fp_ieee_overflow 0
		.amdhsa_exception_fp_ieee_underflow 0
		.amdhsa_exception_fp_ieee_inexact 0
		.amdhsa_exception_int_div_zero 0
	.end_amdhsa_kernel
	.section	.text._ZN7rocprim17ROCPRIM_400000_NS6detail17trampoline_kernelINS0_14default_configENS1_25partition_config_selectorILNS1_17partition_subalgoE8ElNS0_10empty_typeEbEEZZNS1_14partition_implILS5_8ELb0ES3_jPlPS6_PKS6_NS0_5tupleIJS9_S6_EEENSD_IJSA_SA_EEENS0_18inequality_wrapperIZN2at6native12_GLOBAL__N_124unique_dim_cuda_templateIsEESt5tupleIJNSH_6TensorESM_SM_EERKSM_lbbbEUlllE0_EEPmJS6_EEE10hipError_tPvRmT3_T4_T5_T6_T7_T9_mT8_P12ihipStream_tbDpT10_ENKUlT_T0_E_clISt17integral_constantIbLb0EES1C_EEDaS17_S18_EUlS17_E_NS1_11comp_targetILNS1_3genE9ELNS1_11target_archE1100ELNS1_3gpuE3ELNS1_3repE0EEENS1_30default_config_static_selectorELNS0_4arch9wavefront6targetE1EEEvT1_,"axG",@progbits,_ZN7rocprim17ROCPRIM_400000_NS6detail17trampoline_kernelINS0_14default_configENS1_25partition_config_selectorILNS1_17partition_subalgoE8ElNS0_10empty_typeEbEEZZNS1_14partition_implILS5_8ELb0ES3_jPlPS6_PKS6_NS0_5tupleIJS9_S6_EEENSD_IJSA_SA_EEENS0_18inequality_wrapperIZN2at6native12_GLOBAL__N_124unique_dim_cuda_templateIsEESt5tupleIJNSH_6TensorESM_SM_EERKSM_lbbbEUlllE0_EEPmJS6_EEE10hipError_tPvRmT3_T4_T5_T6_T7_T9_mT8_P12ihipStream_tbDpT10_ENKUlT_T0_E_clISt17integral_constantIbLb0EES1C_EEDaS17_S18_EUlS17_E_NS1_11comp_targetILNS1_3genE9ELNS1_11target_archE1100ELNS1_3gpuE3ELNS1_3repE0EEENS1_30default_config_static_selectorELNS0_4arch9wavefront6targetE1EEEvT1_,comdat
.Lfunc_end691:
	.size	_ZN7rocprim17ROCPRIM_400000_NS6detail17trampoline_kernelINS0_14default_configENS1_25partition_config_selectorILNS1_17partition_subalgoE8ElNS0_10empty_typeEbEEZZNS1_14partition_implILS5_8ELb0ES3_jPlPS6_PKS6_NS0_5tupleIJS9_S6_EEENSD_IJSA_SA_EEENS0_18inequality_wrapperIZN2at6native12_GLOBAL__N_124unique_dim_cuda_templateIsEESt5tupleIJNSH_6TensorESM_SM_EERKSM_lbbbEUlllE0_EEPmJS6_EEE10hipError_tPvRmT3_T4_T5_T6_T7_T9_mT8_P12ihipStream_tbDpT10_ENKUlT_T0_E_clISt17integral_constantIbLb0EES1C_EEDaS17_S18_EUlS17_E_NS1_11comp_targetILNS1_3genE9ELNS1_11target_archE1100ELNS1_3gpuE3ELNS1_3repE0EEENS1_30default_config_static_selectorELNS0_4arch9wavefront6targetE1EEEvT1_, .Lfunc_end691-_ZN7rocprim17ROCPRIM_400000_NS6detail17trampoline_kernelINS0_14default_configENS1_25partition_config_selectorILNS1_17partition_subalgoE8ElNS0_10empty_typeEbEEZZNS1_14partition_implILS5_8ELb0ES3_jPlPS6_PKS6_NS0_5tupleIJS9_S6_EEENSD_IJSA_SA_EEENS0_18inequality_wrapperIZN2at6native12_GLOBAL__N_124unique_dim_cuda_templateIsEESt5tupleIJNSH_6TensorESM_SM_EERKSM_lbbbEUlllE0_EEPmJS6_EEE10hipError_tPvRmT3_T4_T5_T6_T7_T9_mT8_P12ihipStream_tbDpT10_ENKUlT_T0_E_clISt17integral_constantIbLb0EES1C_EEDaS17_S18_EUlS17_E_NS1_11comp_targetILNS1_3genE9ELNS1_11target_archE1100ELNS1_3gpuE3ELNS1_3repE0EEENS1_30default_config_static_selectorELNS0_4arch9wavefront6targetE1EEEvT1_
                                        ; -- End function
	.set _ZN7rocprim17ROCPRIM_400000_NS6detail17trampoline_kernelINS0_14default_configENS1_25partition_config_selectorILNS1_17partition_subalgoE8ElNS0_10empty_typeEbEEZZNS1_14partition_implILS5_8ELb0ES3_jPlPS6_PKS6_NS0_5tupleIJS9_S6_EEENSD_IJSA_SA_EEENS0_18inequality_wrapperIZN2at6native12_GLOBAL__N_124unique_dim_cuda_templateIsEESt5tupleIJNSH_6TensorESM_SM_EERKSM_lbbbEUlllE0_EEPmJS6_EEE10hipError_tPvRmT3_T4_T5_T6_T7_T9_mT8_P12ihipStream_tbDpT10_ENKUlT_T0_E_clISt17integral_constantIbLb0EES1C_EEDaS17_S18_EUlS17_E_NS1_11comp_targetILNS1_3genE9ELNS1_11target_archE1100ELNS1_3gpuE3ELNS1_3repE0EEENS1_30default_config_static_selectorELNS0_4arch9wavefront6targetE1EEEvT1_.num_vgpr, 0
	.set _ZN7rocprim17ROCPRIM_400000_NS6detail17trampoline_kernelINS0_14default_configENS1_25partition_config_selectorILNS1_17partition_subalgoE8ElNS0_10empty_typeEbEEZZNS1_14partition_implILS5_8ELb0ES3_jPlPS6_PKS6_NS0_5tupleIJS9_S6_EEENSD_IJSA_SA_EEENS0_18inequality_wrapperIZN2at6native12_GLOBAL__N_124unique_dim_cuda_templateIsEESt5tupleIJNSH_6TensorESM_SM_EERKSM_lbbbEUlllE0_EEPmJS6_EEE10hipError_tPvRmT3_T4_T5_T6_T7_T9_mT8_P12ihipStream_tbDpT10_ENKUlT_T0_E_clISt17integral_constantIbLb0EES1C_EEDaS17_S18_EUlS17_E_NS1_11comp_targetILNS1_3genE9ELNS1_11target_archE1100ELNS1_3gpuE3ELNS1_3repE0EEENS1_30default_config_static_selectorELNS0_4arch9wavefront6targetE1EEEvT1_.num_agpr, 0
	.set _ZN7rocprim17ROCPRIM_400000_NS6detail17trampoline_kernelINS0_14default_configENS1_25partition_config_selectorILNS1_17partition_subalgoE8ElNS0_10empty_typeEbEEZZNS1_14partition_implILS5_8ELb0ES3_jPlPS6_PKS6_NS0_5tupleIJS9_S6_EEENSD_IJSA_SA_EEENS0_18inequality_wrapperIZN2at6native12_GLOBAL__N_124unique_dim_cuda_templateIsEESt5tupleIJNSH_6TensorESM_SM_EERKSM_lbbbEUlllE0_EEPmJS6_EEE10hipError_tPvRmT3_T4_T5_T6_T7_T9_mT8_P12ihipStream_tbDpT10_ENKUlT_T0_E_clISt17integral_constantIbLb0EES1C_EEDaS17_S18_EUlS17_E_NS1_11comp_targetILNS1_3genE9ELNS1_11target_archE1100ELNS1_3gpuE3ELNS1_3repE0EEENS1_30default_config_static_selectorELNS0_4arch9wavefront6targetE1EEEvT1_.numbered_sgpr, 0
	.set _ZN7rocprim17ROCPRIM_400000_NS6detail17trampoline_kernelINS0_14default_configENS1_25partition_config_selectorILNS1_17partition_subalgoE8ElNS0_10empty_typeEbEEZZNS1_14partition_implILS5_8ELb0ES3_jPlPS6_PKS6_NS0_5tupleIJS9_S6_EEENSD_IJSA_SA_EEENS0_18inequality_wrapperIZN2at6native12_GLOBAL__N_124unique_dim_cuda_templateIsEESt5tupleIJNSH_6TensorESM_SM_EERKSM_lbbbEUlllE0_EEPmJS6_EEE10hipError_tPvRmT3_T4_T5_T6_T7_T9_mT8_P12ihipStream_tbDpT10_ENKUlT_T0_E_clISt17integral_constantIbLb0EES1C_EEDaS17_S18_EUlS17_E_NS1_11comp_targetILNS1_3genE9ELNS1_11target_archE1100ELNS1_3gpuE3ELNS1_3repE0EEENS1_30default_config_static_selectorELNS0_4arch9wavefront6targetE1EEEvT1_.num_named_barrier, 0
	.set _ZN7rocprim17ROCPRIM_400000_NS6detail17trampoline_kernelINS0_14default_configENS1_25partition_config_selectorILNS1_17partition_subalgoE8ElNS0_10empty_typeEbEEZZNS1_14partition_implILS5_8ELb0ES3_jPlPS6_PKS6_NS0_5tupleIJS9_S6_EEENSD_IJSA_SA_EEENS0_18inequality_wrapperIZN2at6native12_GLOBAL__N_124unique_dim_cuda_templateIsEESt5tupleIJNSH_6TensorESM_SM_EERKSM_lbbbEUlllE0_EEPmJS6_EEE10hipError_tPvRmT3_T4_T5_T6_T7_T9_mT8_P12ihipStream_tbDpT10_ENKUlT_T0_E_clISt17integral_constantIbLb0EES1C_EEDaS17_S18_EUlS17_E_NS1_11comp_targetILNS1_3genE9ELNS1_11target_archE1100ELNS1_3gpuE3ELNS1_3repE0EEENS1_30default_config_static_selectorELNS0_4arch9wavefront6targetE1EEEvT1_.private_seg_size, 0
	.set _ZN7rocprim17ROCPRIM_400000_NS6detail17trampoline_kernelINS0_14default_configENS1_25partition_config_selectorILNS1_17partition_subalgoE8ElNS0_10empty_typeEbEEZZNS1_14partition_implILS5_8ELb0ES3_jPlPS6_PKS6_NS0_5tupleIJS9_S6_EEENSD_IJSA_SA_EEENS0_18inequality_wrapperIZN2at6native12_GLOBAL__N_124unique_dim_cuda_templateIsEESt5tupleIJNSH_6TensorESM_SM_EERKSM_lbbbEUlllE0_EEPmJS6_EEE10hipError_tPvRmT3_T4_T5_T6_T7_T9_mT8_P12ihipStream_tbDpT10_ENKUlT_T0_E_clISt17integral_constantIbLb0EES1C_EEDaS17_S18_EUlS17_E_NS1_11comp_targetILNS1_3genE9ELNS1_11target_archE1100ELNS1_3gpuE3ELNS1_3repE0EEENS1_30default_config_static_selectorELNS0_4arch9wavefront6targetE1EEEvT1_.uses_vcc, 0
	.set _ZN7rocprim17ROCPRIM_400000_NS6detail17trampoline_kernelINS0_14default_configENS1_25partition_config_selectorILNS1_17partition_subalgoE8ElNS0_10empty_typeEbEEZZNS1_14partition_implILS5_8ELb0ES3_jPlPS6_PKS6_NS0_5tupleIJS9_S6_EEENSD_IJSA_SA_EEENS0_18inequality_wrapperIZN2at6native12_GLOBAL__N_124unique_dim_cuda_templateIsEESt5tupleIJNSH_6TensorESM_SM_EERKSM_lbbbEUlllE0_EEPmJS6_EEE10hipError_tPvRmT3_T4_T5_T6_T7_T9_mT8_P12ihipStream_tbDpT10_ENKUlT_T0_E_clISt17integral_constantIbLb0EES1C_EEDaS17_S18_EUlS17_E_NS1_11comp_targetILNS1_3genE9ELNS1_11target_archE1100ELNS1_3gpuE3ELNS1_3repE0EEENS1_30default_config_static_selectorELNS0_4arch9wavefront6targetE1EEEvT1_.uses_flat_scratch, 0
	.set _ZN7rocprim17ROCPRIM_400000_NS6detail17trampoline_kernelINS0_14default_configENS1_25partition_config_selectorILNS1_17partition_subalgoE8ElNS0_10empty_typeEbEEZZNS1_14partition_implILS5_8ELb0ES3_jPlPS6_PKS6_NS0_5tupleIJS9_S6_EEENSD_IJSA_SA_EEENS0_18inequality_wrapperIZN2at6native12_GLOBAL__N_124unique_dim_cuda_templateIsEESt5tupleIJNSH_6TensorESM_SM_EERKSM_lbbbEUlllE0_EEPmJS6_EEE10hipError_tPvRmT3_T4_T5_T6_T7_T9_mT8_P12ihipStream_tbDpT10_ENKUlT_T0_E_clISt17integral_constantIbLb0EES1C_EEDaS17_S18_EUlS17_E_NS1_11comp_targetILNS1_3genE9ELNS1_11target_archE1100ELNS1_3gpuE3ELNS1_3repE0EEENS1_30default_config_static_selectorELNS0_4arch9wavefront6targetE1EEEvT1_.has_dyn_sized_stack, 0
	.set _ZN7rocprim17ROCPRIM_400000_NS6detail17trampoline_kernelINS0_14default_configENS1_25partition_config_selectorILNS1_17partition_subalgoE8ElNS0_10empty_typeEbEEZZNS1_14partition_implILS5_8ELb0ES3_jPlPS6_PKS6_NS0_5tupleIJS9_S6_EEENSD_IJSA_SA_EEENS0_18inequality_wrapperIZN2at6native12_GLOBAL__N_124unique_dim_cuda_templateIsEESt5tupleIJNSH_6TensorESM_SM_EERKSM_lbbbEUlllE0_EEPmJS6_EEE10hipError_tPvRmT3_T4_T5_T6_T7_T9_mT8_P12ihipStream_tbDpT10_ENKUlT_T0_E_clISt17integral_constantIbLb0EES1C_EEDaS17_S18_EUlS17_E_NS1_11comp_targetILNS1_3genE9ELNS1_11target_archE1100ELNS1_3gpuE3ELNS1_3repE0EEENS1_30default_config_static_selectorELNS0_4arch9wavefront6targetE1EEEvT1_.has_recursion, 0
	.set _ZN7rocprim17ROCPRIM_400000_NS6detail17trampoline_kernelINS0_14default_configENS1_25partition_config_selectorILNS1_17partition_subalgoE8ElNS0_10empty_typeEbEEZZNS1_14partition_implILS5_8ELb0ES3_jPlPS6_PKS6_NS0_5tupleIJS9_S6_EEENSD_IJSA_SA_EEENS0_18inequality_wrapperIZN2at6native12_GLOBAL__N_124unique_dim_cuda_templateIsEESt5tupleIJNSH_6TensorESM_SM_EERKSM_lbbbEUlllE0_EEPmJS6_EEE10hipError_tPvRmT3_T4_T5_T6_T7_T9_mT8_P12ihipStream_tbDpT10_ENKUlT_T0_E_clISt17integral_constantIbLb0EES1C_EEDaS17_S18_EUlS17_E_NS1_11comp_targetILNS1_3genE9ELNS1_11target_archE1100ELNS1_3gpuE3ELNS1_3repE0EEENS1_30default_config_static_selectorELNS0_4arch9wavefront6targetE1EEEvT1_.has_indirect_call, 0
	.section	.AMDGPU.csdata,"",@progbits
; Kernel info:
; codeLenInByte = 0
; TotalNumSgprs: 6
; NumVgprs: 0
; NumAgprs: 0
; TotalNumVgprs: 0
; ScratchSize: 0
; MemoryBound: 0
; FloatMode: 240
; IeeeMode: 1
; LDSByteSize: 0 bytes/workgroup (compile time only)
; SGPRBlocks: 0
; VGPRBlocks: 0
; NumSGPRsForWavesPerEU: 6
; NumVGPRsForWavesPerEU: 1
; AccumOffset: 4
; Occupancy: 8
; WaveLimiterHint : 0
; COMPUTE_PGM_RSRC2:SCRATCH_EN: 0
; COMPUTE_PGM_RSRC2:USER_SGPR: 2
; COMPUTE_PGM_RSRC2:TRAP_HANDLER: 0
; COMPUTE_PGM_RSRC2:TGID_X_EN: 1
; COMPUTE_PGM_RSRC2:TGID_Y_EN: 0
; COMPUTE_PGM_RSRC2:TGID_Z_EN: 0
; COMPUTE_PGM_RSRC2:TIDIG_COMP_CNT: 0
; COMPUTE_PGM_RSRC3_GFX90A:ACCUM_OFFSET: 0
; COMPUTE_PGM_RSRC3_GFX90A:TG_SPLIT: 0
	.section	.text._ZN7rocprim17ROCPRIM_400000_NS6detail17trampoline_kernelINS0_14default_configENS1_25partition_config_selectorILNS1_17partition_subalgoE8ElNS0_10empty_typeEbEEZZNS1_14partition_implILS5_8ELb0ES3_jPlPS6_PKS6_NS0_5tupleIJS9_S6_EEENSD_IJSA_SA_EEENS0_18inequality_wrapperIZN2at6native12_GLOBAL__N_124unique_dim_cuda_templateIsEESt5tupleIJNSH_6TensorESM_SM_EERKSM_lbbbEUlllE0_EEPmJS6_EEE10hipError_tPvRmT3_T4_T5_T6_T7_T9_mT8_P12ihipStream_tbDpT10_ENKUlT_T0_E_clISt17integral_constantIbLb0EES1C_EEDaS17_S18_EUlS17_E_NS1_11comp_targetILNS1_3genE8ELNS1_11target_archE1030ELNS1_3gpuE2ELNS1_3repE0EEENS1_30default_config_static_selectorELNS0_4arch9wavefront6targetE1EEEvT1_,"axG",@progbits,_ZN7rocprim17ROCPRIM_400000_NS6detail17trampoline_kernelINS0_14default_configENS1_25partition_config_selectorILNS1_17partition_subalgoE8ElNS0_10empty_typeEbEEZZNS1_14partition_implILS5_8ELb0ES3_jPlPS6_PKS6_NS0_5tupleIJS9_S6_EEENSD_IJSA_SA_EEENS0_18inequality_wrapperIZN2at6native12_GLOBAL__N_124unique_dim_cuda_templateIsEESt5tupleIJNSH_6TensorESM_SM_EERKSM_lbbbEUlllE0_EEPmJS6_EEE10hipError_tPvRmT3_T4_T5_T6_T7_T9_mT8_P12ihipStream_tbDpT10_ENKUlT_T0_E_clISt17integral_constantIbLb0EES1C_EEDaS17_S18_EUlS17_E_NS1_11comp_targetILNS1_3genE8ELNS1_11target_archE1030ELNS1_3gpuE2ELNS1_3repE0EEENS1_30default_config_static_selectorELNS0_4arch9wavefront6targetE1EEEvT1_,comdat
	.globl	_ZN7rocprim17ROCPRIM_400000_NS6detail17trampoline_kernelINS0_14default_configENS1_25partition_config_selectorILNS1_17partition_subalgoE8ElNS0_10empty_typeEbEEZZNS1_14partition_implILS5_8ELb0ES3_jPlPS6_PKS6_NS0_5tupleIJS9_S6_EEENSD_IJSA_SA_EEENS0_18inequality_wrapperIZN2at6native12_GLOBAL__N_124unique_dim_cuda_templateIsEESt5tupleIJNSH_6TensorESM_SM_EERKSM_lbbbEUlllE0_EEPmJS6_EEE10hipError_tPvRmT3_T4_T5_T6_T7_T9_mT8_P12ihipStream_tbDpT10_ENKUlT_T0_E_clISt17integral_constantIbLb0EES1C_EEDaS17_S18_EUlS17_E_NS1_11comp_targetILNS1_3genE8ELNS1_11target_archE1030ELNS1_3gpuE2ELNS1_3repE0EEENS1_30default_config_static_selectorELNS0_4arch9wavefront6targetE1EEEvT1_ ; -- Begin function _ZN7rocprim17ROCPRIM_400000_NS6detail17trampoline_kernelINS0_14default_configENS1_25partition_config_selectorILNS1_17partition_subalgoE8ElNS0_10empty_typeEbEEZZNS1_14partition_implILS5_8ELb0ES3_jPlPS6_PKS6_NS0_5tupleIJS9_S6_EEENSD_IJSA_SA_EEENS0_18inequality_wrapperIZN2at6native12_GLOBAL__N_124unique_dim_cuda_templateIsEESt5tupleIJNSH_6TensorESM_SM_EERKSM_lbbbEUlllE0_EEPmJS6_EEE10hipError_tPvRmT3_T4_T5_T6_T7_T9_mT8_P12ihipStream_tbDpT10_ENKUlT_T0_E_clISt17integral_constantIbLb0EES1C_EEDaS17_S18_EUlS17_E_NS1_11comp_targetILNS1_3genE8ELNS1_11target_archE1030ELNS1_3gpuE2ELNS1_3repE0EEENS1_30default_config_static_selectorELNS0_4arch9wavefront6targetE1EEEvT1_
	.p2align	8
	.type	_ZN7rocprim17ROCPRIM_400000_NS6detail17trampoline_kernelINS0_14default_configENS1_25partition_config_selectorILNS1_17partition_subalgoE8ElNS0_10empty_typeEbEEZZNS1_14partition_implILS5_8ELb0ES3_jPlPS6_PKS6_NS0_5tupleIJS9_S6_EEENSD_IJSA_SA_EEENS0_18inequality_wrapperIZN2at6native12_GLOBAL__N_124unique_dim_cuda_templateIsEESt5tupleIJNSH_6TensorESM_SM_EERKSM_lbbbEUlllE0_EEPmJS6_EEE10hipError_tPvRmT3_T4_T5_T6_T7_T9_mT8_P12ihipStream_tbDpT10_ENKUlT_T0_E_clISt17integral_constantIbLb0EES1C_EEDaS17_S18_EUlS17_E_NS1_11comp_targetILNS1_3genE8ELNS1_11target_archE1030ELNS1_3gpuE2ELNS1_3repE0EEENS1_30default_config_static_selectorELNS0_4arch9wavefront6targetE1EEEvT1_,@function
_ZN7rocprim17ROCPRIM_400000_NS6detail17trampoline_kernelINS0_14default_configENS1_25partition_config_selectorILNS1_17partition_subalgoE8ElNS0_10empty_typeEbEEZZNS1_14partition_implILS5_8ELb0ES3_jPlPS6_PKS6_NS0_5tupleIJS9_S6_EEENSD_IJSA_SA_EEENS0_18inequality_wrapperIZN2at6native12_GLOBAL__N_124unique_dim_cuda_templateIsEESt5tupleIJNSH_6TensorESM_SM_EERKSM_lbbbEUlllE0_EEPmJS6_EEE10hipError_tPvRmT3_T4_T5_T6_T7_T9_mT8_P12ihipStream_tbDpT10_ENKUlT_T0_E_clISt17integral_constantIbLb0EES1C_EEDaS17_S18_EUlS17_E_NS1_11comp_targetILNS1_3genE8ELNS1_11target_archE1030ELNS1_3gpuE2ELNS1_3repE0EEENS1_30default_config_static_selectorELNS0_4arch9wavefront6targetE1EEEvT1_: ; @_ZN7rocprim17ROCPRIM_400000_NS6detail17trampoline_kernelINS0_14default_configENS1_25partition_config_selectorILNS1_17partition_subalgoE8ElNS0_10empty_typeEbEEZZNS1_14partition_implILS5_8ELb0ES3_jPlPS6_PKS6_NS0_5tupleIJS9_S6_EEENSD_IJSA_SA_EEENS0_18inequality_wrapperIZN2at6native12_GLOBAL__N_124unique_dim_cuda_templateIsEESt5tupleIJNSH_6TensorESM_SM_EERKSM_lbbbEUlllE0_EEPmJS6_EEE10hipError_tPvRmT3_T4_T5_T6_T7_T9_mT8_P12ihipStream_tbDpT10_ENKUlT_T0_E_clISt17integral_constantIbLb0EES1C_EEDaS17_S18_EUlS17_E_NS1_11comp_targetILNS1_3genE8ELNS1_11target_archE1030ELNS1_3gpuE2ELNS1_3repE0EEENS1_30default_config_static_selectorELNS0_4arch9wavefront6targetE1EEEvT1_
; %bb.0:
	.section	.rodata,"a",@progbits
	.p2align	6, 0x0
	.amdhsa_kernel _ZN7rocprim17ROCPRIM_400000_NS6detail17trampoline_kernelINS0_14default_configENS1_25partition_config_selectorILNS1_17partition_subalgoE8ElNS0_10empty_typeEbEEZZNS1_14partition_implILS5_8ELb0ES3_jPlPS6_PKS6_NS0_5tupleIJS9_S6_EEENSD_IJSA_SA_EEENS0_18inequality_wrapperIZN2at6native12_GLOBAL__N_124unique_dim_cuda_templateIsEESt5tupleIJNSH_6TensorESM_SM_EERKSM_lbbbEUlllE0_EEPmJS6_EEE10hipError_tPvRmT3_T4_T5_T6_T7_T9_mT8_P12ihipStream_tbDpT10_ENKUlT_T0_E_clISt17integral_constantIbLb0EES1C_EEDaS17_S18_EUlS17_E_NS1_11comp_targetILNS1_3genE8ELNS1_11target_archE1030ELNS1_3gpuE2ELNS1_3repE0EEENS1_30default_config_static_selectorELNS0_4arch9wavefront6targetE1EEEvT1_
		.amdhsa_group_segment_fixed_size 0
		.amdhsa_private_segment_fixed_size 0
		.amdhsa_kernarg_size 120
		.amdhsa_user_sgpr_count 2
		.amdhsa_user_sgpr_dispatch_ptr 0
		.amdhsa_user_sgpr_queue_ptr 0
		.amdhsa_user_sgpr_kernarg_segment_ptr 1
		.amdhsa_user_sgpr_dispatch_id 0
		.amdhsa_user_sgpr_kernarg_preload_length 0
		.amdhsa_user_sgpr_kernarg_preload_offset 0
		.amdhsa_user_sgpr_private_segment_size 0
		.amdhsa_uses_dynamic_stack 0
		.amdhsa_enable_private_segment 0
		.amdhsa_system_sgpr_workgroup_id_x 1
		.amdhsa_system_sgpr_workgroup_id_y 0
		.amdhsa_system_sgpr_workgroup_id_z 0
		.amdhsa_system_sgpr_workgroup_info 0
		.amdhsa_system_vgpr_workitem_id 0
		.amdhsa_next_free_vgpr 1
		.amdhsa_next_free_sgpr 0
		.amdhsa_accum_offset 4
		.amdhsa_reserve_vcc 0
		.amdhsa_float_round_mode_32 0
		.amdhsa_float_round_mode_16_64 0
		.amdhsa_float_denorm_mode_32 3
		.amdhsa_float_denorm_mode_16_64 3
		.amdhsa_dx10_clamp 1
		.amdhsa_ieee_mode 1
		.amdhsa_fp16_overflow 0
		.amdhsa_tg_split 0
		.amdhsa_exception_fp_ieee_invalid_op 0
		.amdhsa_exception_fp_denorm_src 0
		.amdhsa_exception_fp_ieee_div_zero 0
		.amdhsa_exception_fp_ieee_overflow 0
		.amdhsa_exception_fp_ieee_underflow 0
		.amdhsa_exception_fp_ieee_inexact 0
		.amdhsa_exception_int_div_zero 0
	.end_amdhsa_kernel
	.section	.text._ZN7rocprim17ROCPRIM_400000_NS6detail17trampoline_kernelINS0_14default_configENS1_25partition_config_selectorILNS1_17partition_subalgoE8ElNS0_10empty_typeEbEEZZNS1_14partition_implILS5_8ELb0ES3_jPlPS6_PKS6_NS0_5tupleIJS9_S6_EEENSD_IJSA_SA_EEENS0_18inequality_wrapperIZN2at6native12_GLOBAL__N_124unique_dim_cuda_templateIsEESt5tupleIJNSH_6TensorESM_SM_EERKSM_lbbbEUlllE0_EEPmJS6_EEE10hipError_tPvRmT3_T4_T5_T6_T7_T9_mT8_P12ihipStream_tbDpT10_ENKUlT_T0_E_clISt17integral_constantIbLb0EES1C_EEDaS17_S18_EUlS17_E_NS1_11comp_targetILNS1_3genE8ELNS1_11target_archE1030ELNS1_3gpuE2ELNS1_3repE0EEENS1_30default_config_static_selectorELNS0_4arch9wavefront6targetE1EEEvT1_,"axG",@progbits,_ZN7rocprim17ROCPRIM_400000_NS6detail17trampoline_kernelINS0_14default_configENS1_25partition_config_selectorILNS1_17partition_subalgoE8ElNS0_10empty_typeEbEEZZNS1_14partition_implILS5_8ELb0ES3_jPlPS6_PKS6_NS0_5tupleIJS9_S6_EEENSD_IJSA_SA_EEENS0_18inequality_wrapperIZN2at6native12_GLOBAL__N_124unique_dim_cuda_templateIsEESt5tupleIJNSH_6TensorESM_SM_EERKSM_lbbbEUlllE0_EEPmJS6_EEE10hipError_tPvRmT3_T4_T5_T6_T7_T9_mT8_P12ihipStream_tbDpT10_ENKUlT_T0_E_clISt17integral_constantIbLb0EES1C_EEDaS17_S18_EUlS17_E_NS1_11comp_targetILNS1_3genE8ELNS1_11target_archE1030ELNS1_3gpuE2ELNS1_3repE0EEENS1_30default_config_static_selectorELNS0_4arch9wavefront6targetE1EEEvT1_,comdat
.Lfunc_end692:
	.size	_ZN7rocprim17ROCPRIM_400000_NS6detail17trampoline_kernelINS0_14default_configENS1_25partition_config_selectorILNS1_17partition_subalgoE8ElNS0_10empty_typeEbEEZZNS1_14partition_implILS5_8ELb0ES3_jPlPS6_PKS6_NS0_5tupleIJS9_S6_EEENSD_IJSA_SA_EEENS0_18inequality_wrapperIZN2at6native12_GLOBAL__N_124unique_dim_cuda_templateIsEESt5tupleIJNSH_6TensorESM_SM_EERKSM_lbbbEUlllE0_EEPmJS6_EEE10hipError_tPvRmT3_T4_T5_T6_T7_T9_mT8_P12ihipStream_tbDpT10_ENKUlT_T0_E_clISt17integral_constantIbLb0EES1C_EEDaS17_S18_EUlS17_E_NS1_11comp_targetILNS1_3genE8ELNS1_11target_archE1030ELNS1_3gpuE2ELNS1_3repE0EEENS1_30default_config_static_selectorELNS0_4arch9wavefront6targetE1EEEvT1_, .Lfunc_end692-_ZN7rocprim17ROCPRIM_400000_NS6detail17trampoline_kernelINS0_14default_configENS1_25partition_config_selectorILNS1_17partition_subalgoE8ElNS0_10empty_typeEbEEZZNS1_14partition_implILS5_8ELb0ES3_jPlPS6_PKS6_NS0_5tupleIJS9_S6_EEENSD_IJSA_SA_EEENS0_18inequality_wrapperIZN2at6native12_GLOBAL__N_124unique_dim_cuda_templateIsEESt5tupleIJNSH_6TensorESM_SM_EERKSM_lbbbEUlllE0_EEPmJS6_EEE10hipError_tPvRmT3_T4_T5_T6_T7_T9_mT8_P12ihipStream_tbDpT10_ENKUlT_T0_E_clISt17integral_constantIbLb0EES1C_EEDaS17_S18_EUlS17_E_NS1_11comp_targetILNS1_3genE8ELNS1_11target_archE1030ELNS1_3gpuE2ELNS1_3repE0EEENS1_30default_config_static_selectorELNS0_4arch9wavefront6targetE1EEEvT1_
                                        ; -- End function
	.set _ZN7rocprim17ROCPRIM_400000_NS6detail17trampoline_kernelINS0_14default_configENS1_25partition_config_selectorILNS1_17partition_subalgoE8ElNS0_10empty_typeEbEEZZNS1_14partition_implILS5_8ELb0ES3_jPlPS6_PKS6_NS0_5tupleIJS9_S6_EEENSD_IJSA_SA_EEENS0_18inequality_wrapperIZN2at6native12_GLOBAL__N_124unique_dim_cuda_templateIsEESt5tupleIJNSH_6TensorESM_SM_EERKSM_lbbbEUlllE0_EEPmJS6_EEE10hipError_tPvRmT3_T4_T5_T6_T7_T9_mT8_P12ihipStream_tbDpT10_ENKUlT_T0_E_clISt17integral_constantIbLb0EES1C_EEDaS17_S18_EUlS17_E_NS1_11comp_targetILNS1_3genE8ELNS1_11target_archE1030ELNS1_3gpuE2ELNS1_3repE0EEENS1_30default_config_static_selectorELNS0_4arch9wavefront6targetE1EEEvT1_.num_vgpr, 0
	.set _ZN7rocprim17ROCPRIM_400000_NS6detail17trampoline_kernelINS0_14default_configENS1_25partition_config_selectorILNS1_17partition_subalgoE8ElNS0_10empty_typeEbEEZZNS1_14partition_implILS5_8ELb0ES3_jPlPS6_PKS6_NS0_5tupleIJS9_S6_EEENSD_IJSA_SA_EEENS0_18inequality_wrapperIZN2at6native12_GLOBAL__N_124unique_dim_cuda_templateIsEESt5tupleIJNSH_6TensorESM_SM_EERKSM_lbbbEUlllE0_EEPmJS6_EEE10hipError_tPvRmT3_T4_T5_T6_T7_T9_mT8_P12ihipStream_tbDpT10_ENKUlT_T0_E_clISt17integral_constantIbLb0EES1C_EEDaS17_S18_EUlS17_E_NS1_11comp_targetILNS1_3genE8ELNS1_11target_archE1030ELNS1_3gpuE2ELNS1_3repE0EEENS1_30default_config_static_selectorELNS0_4arch9wavefront6targetE1EEEvT1_.num_agpr, 0
	.set _ZN7rocprim17ROCPRIM_400000_NS6detail17trampoline_kernelINS0_14default_configENS1_25partition_config_selectorILNS1_17partition_subalgoE8ElNS0_10empty_typeEbEEZZNS1_14partition_implILS5_8ELb0ES3_jPlPS6_PKS6_NS0_5tupleIJS9_S6_EEENSD_IJSA_SA_EEENS0_18inequality_wrapperIZN2at6native12_GLOBAL__N_124unique_dim_cuda_templateIsEESt5tupleIJNSH_6TensorESM_SM_EERKSM_lbbbEUlllE0_EEPmJS6_EEE10hipError_tPvRmT3_T4_T5_T6_T7_T9_mT8_P12ihipStream_tbDpT10_ENKUlT_T0_E_clISt17integral_constantIbLb0EES1C_EEDaS17_S18_EUlS17_E_NS1_11comp_targetILNS1_3genE8ELNS1_11target_archE1030ELNS1_3gpuE2ELNS1_3repE0EEENS1_30default_config_static_selectorELNS0_4arch9wavefront6targetE1EEEvT1_.numbered_sgpr, 0
	.set _ZN7rocprim17ROCPRIM_400000_NS6detail17trampoline_kernelINS0_14default_configENS1_25partition_config_selectorILNS1_17partition_subalgoE8ElNS0_10empty_typeEbEEZZNS1_14partition_implILS5_8ELb0ES3_jPlPS6_PKS6_NS0_5tupleIJS9_S6_EEENSD_IJSA_SA_EEENS0_18inequality_wrapperIZN2at6native12_GLOBAL__N_124unique_dim_cuda_templateIsEESt5tupleIJNSH_6TensorESM_SM_EERKSM_lbbbEUlllE0_EEPmJS6_EEE10hipError_tPvRmT3_T4_T5_T6_T7_T9_mT8_P12ihipStream_tbDpT10_ENKUlT_T0_E_clISt17integral_constantIbLb0EES1C_EEDaS17_S18_EUlS17_E_NS1_11comp_targetILNS1_3genE8ELNS1_11target_archE1030ELNS1_3gpuE2ELNS1_3repE0EEENS1_30default_config_static_selectorELNS0_4arch9wavefront6targetE1EEEvT1_.num_named_barrier, 0
	.set _ZN7rocprim17ROCPRIM_400000_NS6detail17trampoline_kernelINS0_14default_configENS1_25partition_config_selectorILNS1_17partition_subalgoE8ElNS0_10empty_typeEbEEZZNS1_14partition_implILS5_8ELb0ES3_jPlPS6_PKS6_NS0_5tupleIJS9_S6_EEENSD_IJSA_SA_EEENS0_18inequality_wrapperIZN2at6native12_GLOBAL__N_124unique_dim_cuda_templateIsEESt5tupleIJNSH_6TensorESM_SM_EERKSM_lbbbEUlllE0_EEPmJS6_EEE10hipError_tPvRmT3_T4_T5_T6_T7_T9_mT8_P12ihipStream_tbDpT10_ENKUlT_T0_E_clISt17integral_constantIbLb0EES1C_EEDaS17_S18_EUlS17_E_NS1_11comp_targetILNS1_3genE8ELNS1_11target_archE1030ELNS1_3gpuE2ELNS1_3repE0EEENS1_30default_config_static_selectorELNS0_4arch9wavefront6targetE1EEEvT1_.private_seg_size, 0
	.set _ZN7rocprim17ROCPRIM_400000_NS6detail17trampoline_kernelINS0_14default_configENS1_25partition_config_selectorILNS1_17partition_subalgoE8ElNS0_10empty_typeEbEEZZNS1_14partition_implILS5_8ELb0ES3_jPlPS6_PKS6_NS0_5tupleIJS9_S6_EEENSD_IJSA_SA_EEENS0_18inequality_wrapperIZN2at6native12_GLOBAL__N_124unique_dim_cuda_templateIsEESt5tupleIJNSH_6TensorESM_SM_EERKSM_lbbbEUlllE0_EEPmJS6_EEE10hipError_tPvRmT3_T4_T5_T6_T7_T9_mT8_P12ihipStream_tbDpT10_ENKUlT_T0_E_clISt17integral_constantIbLb0EES1C_EEDaS17_S18_EUlS17_E_NS1_11comp_targetILNS1_3genE8ELNS1_11target_archE1030ELNS1_3gpuE2ELNS1_3repE0EEENS1_30default_config_static_selectorELNS0_4arch9wavefront6targetE1EEEvT1_.uses_vcc, 0
	.set _ZN7rocprim17ROCPRIM_400000_NS6detail17trampoline_kernelINS0_14default_configENS1_25partition_config_selectorILNS1_17partition_subalgoE8ElNS0_10empty_typeEbEEZZNS1_14partition_implILS5_8ELb0ES3_jPlPS6_PKS6_NS0_5tupleIJS9_S6_EEENSD_IJSA_SA_EEENS0_18inequality_wrapperIZN2at6native12_GLOBAL__N_124unique_dim_cuda_templateIsEESt5tupleIJNSH_6TensorESM_SM_EERKSM_lbbbEUlllE0_EEPmJS6_EEE10hipError_tPvRmT3_T4_T5_T6_T7_T9_mT8_P12ihipStream_tbDpT10_ENKUlT_T0_E_clISt17integral_constantIbLb0EES1C_EEDaS17_S18_EUlS17_E_NS1_11comp_targetILNS1_3genE8ELNS1_11target_archE1030ELNS1_3gpuE2ELNS1_3repE0EEENS1_30default_config_static_selectorELNS0_4arch9wavefront6targetE1EEEvT1_.uses_flat_scratch, 0
	.set _ZN7rocprim17ROCPRIM_400000_NS6detail17trampoline_kernelINS0_14default_configENS1_25partition_config_selectorILNS1_17partition_subalgoE8ElNS0_10empty_typeEbEEZZNS1_14partition_implILS5_8ELb0ES3_jPlPS6_PKS6_NS0_5tupleIJS9_S6_EEENSD_IJSA_SA_EEENS0_18inequality_wrapperIZN2at6native12_GLOBAL__N_124unique_dim_cuda_templateIsEESt5tupleIJNSH_6TensorESM_SM_EERKSM_lbbbEUlllE0_EEPmJS6_EEE10hipError_tPvRmT3_T4_T5_T6_T7_T9_mT8_P12ihipStream_tbDpT10_ENKUlT_T0_E_clISt17integral_constantIbLb0EES1C_EEDaS17_S18_EUlS17_E_NS1_11comp_targetILNS1_3genE8ELNS1_11target_archE1030ELNS1_3gpuE2ELNS1_3repE0EEENS1_30default_config_static_selectorELNS0_4arch9wavefront6targetE1EEEvT1_.has_dyn_sized_stack, 0
	.set _ZN7rocprim17ROCPRIM_400000_NS6detail17trampoline_kernelINS0_14default_configENS1_25partition_config_selectorILNS1_17partition_subalgoE8ElNS0_10empty_typeEbEEZZNS1_14partition_implILS5_8ELb0ES3_jPlPS6_PKS6_NS0_5tupleIJS9_S6_EEENSD_IJSA_SA_EEENS0_18inequality_wrapperIZN2at6native12_GLOBAL__N_124unique_dim_cuda_templateIsEESt5tupleIJNSH_6TensorESM_SM_EERKSM_lbbbEUlllE0_EEPmJS6_EEE10hipError_tPvRmT3_T4_T5_T6_T7_T9_mT8_P12ihipStream_tbDpT10_ENKUlT_T0_E_clISt17integral_constantIbLb0EES1C_EEDaS17_S18_EUlS17_E_NS1_11comp_targetILNS1_3genE8ELNS1_11target_archE1030ELNS1_3gpuE2ELNS1_3repE0EEENS1_30default_config_static_selectorELNS0_4arch9wavefront6targetE1EEEvT1_.has_recursion, 0
	.set _ZN7rocprim17ROCPRIM_400000_NS6detail17trampoline_kernelINS0_14default_configENS1_25partition_config_selectorILNS1_17partition_subalgoE8ElNS0_10empty_typeEbEEZZNS1_14partition_implILS5_8ELb0ES3_jPlPS6_PKS6_NS0_5tupleIJS9_S6_EEENSD_IJSA_SA_EEENS0_18inequality_wrapperIZN2at6native12_GLOBAL__N_124unique_dim_cuda_templateIsEESt5tupleIJNSH_6TensorESM_SM_EERKSM_lbbbEUlllE0_EEPmJS6_EEE10hipError_tPvRmT3_T4_T5_T6_T7_T9_mT8_P12ihipStream_tbDpT10_ENKUlT_T0_E_clISt17integral_constantIbLb0EES1C_EEDaS17_S18_EUlS17_E_NS1_11comp_targetILNS1_3genE8ELNS1_11target_archE1030ELNS1_3gpuE2ELNS1_3repE0EEENS1_30default_config_static_selectorELNS0_4arch9wavefront6targetE1EEEvT1_.has_indirect_call, 0
	.section	.AMDGPU.csdata,"",@progbits
; Kernel info:
; codeLenInByte = 0
; TotalNumSgprs: 6
; NumVgprs: 0
; NumAgprs: 0
; TotalNumVgprs: 0
; ScratchSize: 0
; MemoryBound: 0
; FloatMode: 240
; IeeeMode: 1
; LDSByteSize: 0 bytes/workgroup (compile time only)
; SGPRBlocks: 0
; VGPRBlocks: 0
; NumSGPRsForWavesPerEU: 6
; NumVGPRsForWavesPerEU: 1
; AccumOffset: 4
; Occupancy: 8
; WaveLimiterHint : 0
; COMPUTE_PGM_RSRC2:SCRATCH_EN: 0
; COMPUTE_PGM_RSRC2:USER_SGPR: 2
; COMPUTE_PGM_RSRC2:TRAP_HANDLER: 0
; COMPUTE_PGM_RSRC2:TGID_X_EN: 1
; COMPUTE_PGM_RSRC2:TGID_Y_EN: 0
; COMPUTE_PGM_RSRC2:TGID_Z_EN: 0
; COMPUTE_PGM_RSRC2:TIDIG_COMP_CNT: 0
; COMPUTE_PGM_RSRC3_GFX90A:ACCUM_OFFSET: 0
; COMPUTE_PGM_RSRC3_GFX90A:TG_SPLIT: 0
	.section	.text._ZN7rocprim17ROCPRIM_400000_NS6detail17trampoline_kernelINS0_14default_configENS1_25partition_config_selectorILNS1_17partition_subalgoE8ElNS0_10empty_typeEbEEZZNS1_14partition_implILS5_8ELb0ES3_jPlPS6_PKS6_NS0_5tupleIJS9_S6_EEENSD_IJSA_SA_EEENS0_18inequality_wrapperIZN2at6native12_GLOBAL__N_124unique_dim_cuda_templateIsEESt5tupleIJNSH_6TensorESM_SM_EERKSM_lbbbEUlllE0_EEPmJS6_EEE10hipError_tPvRmT3_T4_T5_T6_T7_T9_mT8_P12ihipStream_tbDpT10_ENKUlT_T0_E_clISt17integral_constantIbLb1EES1C_EEDaS17_S18_EUlS17_E_NS1_11comp_targetILNS1_3genE0ELNS1_11target_archE4294967295ELNS1_3gpuE0ELNS1_3repE0EEENS1_30default_config_static_selectorELNS0_4arch9wavefront6targetE1EEEvT1_,"axG",@progbits,_ZN7rocprim17ROCPRIM_400000_NS6detail17trampoline_kernelINS0_14default_configENS1_25partition_config_selectorILNS1_17partition_subalgoE8ElNS0_10empty_typeEbEEZZNS1_14partition_implILS5_8ELb0ES3_jPlPS6_PKS6_NS0_5tupleIJS9_S6_EEENSD_IJSA_SA_EEENS0_18inequality_wrapperIZN2at6native12_GLOBAL__N_124unique_dim_cuda_templateIsEESt5tupleIJNSH_6TensorESM_SM_EERKSM_lbbbEUlllE0_EEPmJS6_EEE10hipError_tPvRmT3_T4_T5_T6_T7_T9_mT8_P12ihipStream_tbDpT10_ENKUlT_T0_E_clISt17integral_constantIbLb1EES1C_EEDaS17_S18_EUlS17_E_NS1_11comp_targetILNS1_3genE0ELNS1_11target_archE4294967295ELNS1_3gpuE0ELNS1_3repE0EEENS1_30default_config_static_selectorELNS0_4arch9wavefront6targetE1EEEvT1_,comdat
	.globl	_ZN7rocprim17ROCPRIM_400000_NS6detail17trampoline_kernelINS0_14default_configENS1_25partition_config_selectorILNS1_17partition_subalgoE8ElNS0_10empty_typeEbEEZZNS1_14partition_implILS5_8ELb0ES3_jPlPS6_PKS6_NS0_5tupleIJS9_S6_EEENSD_IJSA_SA_EEENS0_18inequality_wrapperIZN2at6native12_GLOBAL__N_124unique_dim_cuda_templateIsEESt5tupleIJNSH_6TensorESM_SM_EERKSM_lbbbEUlllE0_EEPmJS6_EEE10hipError_tPvRmT3_T4_T5_T6_T7_T9_mT8_P12ihipStream_tbDpT10_ENKUlT_T0_E_clISt17integral_constantIbLb1EES1C_EEDaS17_S18_EUlS17_E_NS1_11comp_targetILNS1_3genE0ELNS1_11target_archE4294967295ELNS1_3gpuE0ELNS1_3repE0EEENS1_30default_config_static_selectorELNS0_4arch9wavefront6targetE1EEEvT1_ ; -- Begin function _ZN7rocprim17ROCPRIM_400000_NS6detail17trampoline_kernelINS0_14default_configENS1_25partition_config_selectorILNS1_17partition_subalgoE8ElNS0_10empty_typeEbEEZZNS1_14partition_implILS5_8ELb0ES3_jPlPS6_PKS6_NS0_5tupleIJS9_S6_EEENSD_IJSA_SA_EEENS0_18inequality_wrapperIZN2at6native12_GLOBAL__N_124unique_dim_cuda_templateIsEESt5tupleIJNSH_6TensorESM_SM_EERKSM_lbbbEUlllE0_EEPmJS6_EEE10hipError_tPvRmT3_T4_T5_T6_T7_T9_mT8_P12ihipStream_tbDpT10_ENKUlT_T0_E_clISt17integral_constantIbLb1EES1C_EEDaS17_S18_EUlS17_E_NS1_11comp_targetILNS1_3genE0ELNS1_11target_archE4294967295ELNS1_3gpuE0ELNS1_3repE0EEENS1_30default_config_static_selectorELNS0_4arch9wavefront6targetE1EEEvT1_
	.p2align	8
	.type	_ZN7rocprim17ROCPRIM_400000_NS6detail17trampoline_kernelINS0_14default_configENS1_25partition_config_selectorILNS1_17partition_subalgoE8ElNS0_10empty_typeEbEEZZNS1_14partition_implILS5_8ELb0ES3_jPlPS6_PKS6_NS0_5tupleIJS9_S6_EEENSD_IJSA_SA_EEENS0_18inequality_wrapperIZN2at6native12_GLOBAL__N_124unique_dim_cuda_templateIsEESt5tupleIJNSH_6TensorESM_SM_EERKSM_lbbbEUlllE0_EEPmJS6_EEE10hipError_tPvRmT3_T4_T5_T6_T7_T9_mT8_P12ihipStream_tbDpT10_ENKUlT_T0_E_clISt17integral_constantIbLb1EES1C_EEDaS17_S18_EUlS17_E_NS1_11comp_targetILNS1_3genE0ELNS1_11target_archE4294967295ELNS1_3gpuE0ELNS1_3repE0EEENS1_30default_config_static_selectorELNS0_4arch9wavefront6targetE1EEEvT1_,@function
_ZN7rocprim17ROCPRIM_400000_NS6detail17trampoline_kernelINS0_14default_configENS1_25partition_config_selectorILNS1_17partition_subalgoE8ElNS0_10empty_typeEbEEZZNS1_14partition_implILS5_8ELb0ES3_jPlPS6_PKS6_NS0_5tupleIJS9_S6_EEENSD_IJSA_SA_EEENS0_18inequality_wrapperIZN2at6native12_GLOBAL__N_124unique_dim_cuda_templateIsEESt5tupleIJNSH_6TensorESM_SM_EERKSM_lbbbEUlllE0_EEPmJS6_EEE10hipError_tPvRmT3_T4_T5_T6_T7_T9_mT8_P12ihipStream_tbDpT10_ENKUlT_T0_E_clISt17integral_constantIbLb1EES1C_EEDaS17_S18_EUlS17_E_NS1_11comp_targetILNS1_3genE0ELNS1_11target_archE4294967295ELNS1_3gpuE0ELNS1_3repE0EEENS1_30default_config_static_selectorELNS0_4arch9wavefront6targetE1EEEvT1_: ; @_ZN7rocprim17ROCPRIM_400000_NS6detail17trampoline_kernelINS0_14default_configENS1_25partition_config_selectorILNS1_17partition_subalgoE8ElNS0_10empty_typeEbEEZZNS1_14partition_implILS5_8ELb0ES3_jPlPS6_PKS6_NS0_5tupleIJS9_S6_EEENSD_IJSA_SA_EEENS0_18inequality_wrapperIZN2at6native12_GLOBAL__N_124unique_dim_cuda_templateIsEESt5tupleIJNSH_6TensorESM_SM_EERKSM_lbbbEUlllE0_EEPmJS6_EEE10hipError_tPvRmT3_T4_T5_T6_T7_T9_mT8_P12ihipStream_tbDpT10_ENKUlT_T0_E_clISt17integral_constantIbLb1EES1C_EEDaS17_S18_EUlS17_E_NS1_11comp_targetILNS1_3genE0ELNS1_11target_archE4294967295ELNS1_3gpuE0ELNS1_3repE0EEENS1_30default_config_static_selectorELNS0_4arch9wavefront6targetE1EEEvT1_
; %bb.0:
	s_endpgm
	.section	.rodata,"a",@progbits
	.p2align	6, 0x0
	.amdhsa_kernel _ZN7rocprim17ROCPRIM_400000_NS6detail17trampoline_kernelINS0_14default_configENS1_25partition_config_selectorILNS1_17partition_subalgoE8ElNS0_10empty_typeEbEEZZNS1_14partition_implILS5_8ELb0ES3_jPlPS6_PKS6_NS0_5tupleIJS9_S6_EEENSD_IJSA_SA_EEENS0_18inequality_wrapperIZN2at6native12_GLOBAL__N_124unique_dim_cuda_templateIsEESt5tupleIJNSH_6TensorESM_SM_EERKSM_lbbbEUlllE0_EEPmJS6_EEE10hipError_tPvRmT3_T4_T5_T6_T7_T9_mT8_P12ihipStream_tbDpT10_ENKUlT_T0_E_clISt17integral_constantIbLb1EES1C_EEDaS17_S18_EUlS17_E_NS1_11comp_targetILNS1_3genE0ELNS1_11target_archE4294967295ELNS1_3gpuE0ELNS1_3repE0EEENS1_30default_config_static_selectorELNS0_4arch9wavefront6targetE1EEEvT1_
		.amdhsa_group_segment_fixed_size 0
		.amdhsa_private_segment_fixed_size 0
		.amdhsa_kernarg_size 136
		.amdhsa_user_sgpr_count 2
		.amdhsa_user_sgpr_dispatch_ptr 0
		.amdhsa_user_sgpr_queue_ptr 0
		.amdhsa_user_sgpr_kernarg_segment_ptr 1
		.amdhsa_user_sgpr_dispatch_id 0
		.amdhsa_user_sgpr_kernarg_preload_length 0
		.amdhsa_user_sgpr_kernarg_preload_offset 0
		.amdhsa_user_sgpr_private_segment_size 0
		.amdhsa_uses_dynamic_stack 0
		.amdhsa_enable_private_segment 0
		.amdhsa_system_sgpr_workgroup_id_x 1
		.amdhsa_system_sgpr_workgroup_id_y 0
		.amdhsa_system_sgpr_workgroup_id_z 0
		.amdhsa_system_sgpr_workgroup_info 0
		.amdhsa_system_vgpr_workitem_id 0
		.amdhsa_next_free_vgpr 1
		.amdhsa_next_free_sgpr 0
		.amdhsa_accum_offset 4
		.amdhsa_reserve_vcc 0
		.amdhsa_float_round_mode_32 0
		.amdhsa_float_round_mode_16_64 0
		.amdhsa_float_denorm_mode_32 3
		.amdhsa_float_denorm_mode_16_64 3
		.amdhsa_dx10_clamp 1
		.amdhsa_ieee_mode 1
		.amdhsa_fp16_overflow 0
		.amdhsa_tg_split 0
		.amdhsa_exception_fp_ieee_invalid_op 0
		.amdhsa_exception_fp_denorm_src 0
		.amdhsa_exception_fp_ieee_div_zero 0
		.amdhsa_exception_fp_ieee_overflow 0
		.amdhsa_exception_fp_ieee_underflow 0
		.amdhsa_exception_fp_ieee_inexact 0
		.amdhsa_exception_int_div_zero 0
	.end_amdhsa_kernel
	.section	.text._ZN7rocprim17ROCPRIM_400000_NS6detail17trampoline_kernelINS0_14default_configENS1_25partition_config_selectorILNS1_17partition_subalgoE8ElNS0_10empty_typeEbEEZZNS1_14partition_implILS5_8ELb0ES3_jPlPS6_PKS6_NS0_5tupleIJS9_S6_EEENSD_IJSA_SA_EEENS0_18inequality_wrapperIZN2at6native12_GLOBAL__N_124unique_dim_cuda_templateIsEESt5tupleIJNSH_6TensorESM_SM_EERKSM_lbbbEUlllE0_EEPmJS6_EEE10hipError_tPvRmT3_T4_T5_T6_T7_T9_mT8_P12ihipStream_tbDpT10_ENKUlT_T0_E_clISt17integral_constantIbLb1EES1C_EEDaS17_S18_EUlS17_E_NS1_11comp_targetILNS1_3genE0ELNS1_11target_archE4294967295ELNS1_3gpuE0ELNS1_3repE0EEENS1_30default_config_static_selectorELNS0_4arch9wavefront6targetE1EEEvT1_,"axG",@progbits,_ZN7rocprim17ROCPRIM_400000_NS6detail17trampoline_kernelINS0_14default_configENS1_25partition_config_selectorILNS1_17partition_subalgoE8ElNS0_10empty_typeEbEEZZNS1_14partition_implILS5_8ELb0ES3_jPlPS6_PKS6_NS0_5tupleIJS9_S6_EEENSD_IJSA_SA_EEENS0_18inequality_wrapperIZN2at6native12_GLOBAL__N_124unique_dim_cuda_templateIsEESt5tupleIJNSH_6TensorESM_SM_EERKSM_lbbbEUlllE0_EEPmJS6_EEE10hipError_tPvRmT3_T4_T5_T6_T7_T9_mT8_P12ihipStream_tbDpT10_ENKUlT_T0_E_clISt17integral_constantIbLb1EES1C_EEDaS17_S18_EUlS17_E_NS1_11comp_targetILNS1_3genE0ELNS1_11target_archE4294967295ELNS1_3gpuE0ELNS1_3repE0EEENS1_30default_config_static_selectorELNS0_4arch9wavefront6targetE1EEEvT1_,comdat
.Lfunc_end693:
	.size	_ZN7rocprim17ROCPRIM_400000_NS6detail17trampoline_kernelINS0_14default_configENS1_25partition_config_selectorILNS1_17partition_subalgoE8ElNS0_10empty_typeEbEEZZNS1_14partition_implILS5_8ELb0ES3_jPlPS6_PKS6_NS0_5tupleIJS9_S6_EEENSD_IJSA_SA_EEENS0_18inequality_wrapperIZN2at6native12_GLOBAL__N_124unique_dim_cuda_templateIsEESt5tupleIJNSH_6TensorESM_SM_EERKSM_lbbbEUlllE0_EEPmJS6_EEE10hipError_tPvRmT3_T4_T5_T6_T7_T9_mT8_P12ihipStream_tbDpT10_ENKUlT_T0_E_clISt17integral_constantIbLb1EES1C_EEDaS17_S18_EUlS17_E_NS1_11comp_targetILNS1_3genE0ELNS1_11target_archE4294967295ELNS1_3gpuE0ELNS1_3repE0EEENS1_30default_config_static_selectorELNS0_4arch9wavefront6targetE1EEEvT1_, .Lfunc_end693-_ZN7rocprim17ROCPRIM_400000_NS6detail17trampoline_kernelINS0_14default_configENS1_25partition_config_selectorILNS1_17partition_subalgoE8ElNS0_10empty_typeEbEEZZNS1_14partition_implILS5_8ELb0ES3_jPlPS6_PKS6_NS0_5tupleIJS9_S6_EEENSD_IJSA_SA_EEENS0_18inequality_wrapperIZN2at6native12_GLOBAL__N_124unique_dim_cuda_templateIsEESt5tupleIJNSH_6TensorESM_SM_EERKSM_lbbbEUlllE0_EEPmJS6_EEE10hipError_tPvRmT3_T4_T5_T6_T7_T9_mT8_P12ihipStream_tbDpT10_ENKUlT_T0_E_clISt17integral_constantIbLb1EES1C_EEDaS17_S18_EUlS17_E_NS1_11comp_targetILNS1_3genE0ELNS1_11target_archE4294967295ELNS1_3gpuE0ELNS1_3repE0EEENS1_30default_config_static_selectorELNS0_4arch9wavefront6targetE1EEEvT1_
                                        ; -- End function
	.set _ZN7rocprim17ROCPRIM_400000_NS6detail17trampoline_kernelINS0_14default_configENS1_25partition_config_selectorILNS1_17partition_subalgoE8ElNS0_10empty_typeEbEEZZNS1_14partition_implILS5_8ELb0ES3_jPlPS6_PKS6_NS0_5tupleIJS9_S6_EEENSD_IJSA_SA_EEENS0_18inequality_wrapperIZN2at6native12_GLOBAL__N_124unique_dim_cuda_templateIsEESt5tupleIJNSH_6TensorESM_SM_EERKSM_lbbbEUlllE0_EEPmJS6_EEE10hipError_tPvRmT3_T4_T5_T6_T7_T9_mT8_P12ihipStream_tbDpT10_ENKUlT_T0_E_clISt17integral_constantIbLb1EES1C_EEDaS17_S18_EUlS17_E_NS1_11comp_targetILNS1_3genE0ELNS1_11target_archE4294967295ELNS1_3gpuE0ELNS1_3repE0EEENS1_30default_config_static_selectorELNS0_4arch9wavefront6targetE1EEEvT1_.num_vgpr, 0
	.set _ZN7rocprim17ROCPRIM_400000_NS6detail17trampoline_kernelINS0_14default_configENS1_25partition_config_selectorILNS1_17partition_subalgoE8ElNS0_10empty_typeEbEEZZNS1_14partition_implILS5_8ELb0ES3_jPlPS6_PKS6_NS0_5tupleIJS9_S6_EEENSD_IJSA_SA_EEENS0_18inequality_wrapperIZN2at6native12_GLOBAL__N_124unique_dim_cuda_templateIsEESt5tupleIJNSH_6TensorESM_SM_EERKSM_lbbbEUlllE0_EEPmJS6_EEE10hipError_tPvRmT3_T4_T5_T6_T7_T9_mT8_P12ihipStream_tbDpT10_ENKUlT_T0_E_clISt17integral_constantIbLb1EES1C_EEDaS17_S18_EUlS17_E_NS1_11comp_targetILNS1_3genE0ELNS1_11target_archE4294967295ELNS1_3gpuE0ELNS1_3repE0EEENS1_30default_config_static_selectorELNS0_4arch9wavefront6targetE1EEEvT1_.num_agpr, 0
	.set _ZN7rocprim17ROCPRIM_400000_NS6detail17trampoline_kernelINS0_14default_configENS1_25partition_config_selectorILNS1_17partition_subalgoE8ElNS0_10empty_typeEbEEZZNS1_14partition_implILS5_8ELb0ES3_jPlPS6_PKS6_NS0_5tupleIJS9_S6_EEENSD_IJSA_SA_EEENS0_18inequality_wrapperIZN2at6native12_GLOBAL__N_124unique_dim_cuda_templateIsEESt5tupleIJNSH_6TensorESM_SM_EERKSM_lbbbEUlllE0_EEPmJS6_EEE10hipError_tPvRmT3_T4_T5_T6_T7_T9_mT8_P12ihipStream_tbDpT10_ENKUlT_T0_E_clISt17integral_constantIbLb1EES1C_EEDaS17_S18_EUlS17_E_NS1_11comp_targetILNS1_3genE0ELNS1_11target_archE4294967295ELNS1_3gpuE0ELNS1_3repE0EEENS1_30default_config_static_selectorELNS0_4arch9wavefront6targetE1EEEvT1_.numbered_sgpr, 0
	.set _ZN7rocprim17ROCPRIM_400000_NS6detail17trampoline_kernelINS0_14default_configENS1_25partition_config_selectorILNS1_17partition_subalgoE8ElNS0_10empty_typeEbEEZZNS1_14partition_implILS5_8ELb0ES3_jPlPS6_PKS6_NS0_5tupleIJS9_S6_EEENSD_IJSA_SA_EEENS0_18inequality_wrapperIZN2at6native12_GLOBAL__N_124unique_dim_cuda_templateIsEESt5tupleIJNSH_6TensorESM_SM_EERKSM_lbbbEUlllE0_EEPmJS6_EEE10hipError_tPvRmT3_T4_T5_T6_T7_T9_mT8_P12ihipStream_tbDpT10_ENKUlT_T0_E_clISt17integral_constantIbLb1EES1C_EEDaS17_S18_EUlS17_E_NS1_11comp_targetILNS1_3genE0ELNS1_11target_archE4294967295ELNS1_3gpuE0ELNS1_3repE0EEENS1_30default_config_static_selectorELNS0_4arch9wavefront6targetE1EEEvT1_.num_named_barrier, 0
	.set _ZN7rocprim17ROCPRIM_400000_NS6detail17trampoline_kernelINS0_14default_configENS1_25partition_config_selectorILNS1_17partition_subalgoE8ElNS0_10empty_typeEbEEZZNS1_14partition_implILS5_8ELb0ES3_jPlPS6_PKS6_NS0_5tupleIJS9_S6_EEENSD_IJSA_SA_EEENS0_18inequality_wrapperIZN2at6native12_GLOBAL__N_124unique_dim_cuda_templateIsEESt5tupleIJNSH_6TensorESM_SM_EERKSM_lbbbEUlllE0_EEPmJS6_EEE10hipError_tPvRmT3_T4_T5_T6_T7_T9_mT8_P12ihipStream_tbDpT10_ENKUlT_T0_E_clISt17integral_constantIbLb1EES1C_EEDaS17_S18_EUlS17_E_NS1_11comp_targetILNS1_3genE0ELNS1_11target_archE4294967295ELNS1_3gpuE0ELNS1_3repE0EEENS1_30default_config_static_selectorELNS0_4arch9wavefront6targetE1EEEvT1_.private_seg_size, 0
	.set _ZN7rocprim17ROCPRIM_400000_NS6detail17trampoline_kernelINS0_14default_configENS1_25partition_config_selectorILNS1_17partition_subalgoE8ElNS0_10empty_typeEbEEZZNS1_14partition_implILS5_8ELb0ES3_jPlPS6_PKS6_NS0_5tupleIJS9_S6_EEENSD_IJSA_SA_EEENS0_18inequality_wrapperIZN2at6native12_GLOBAL__N_124unique_dim_cuda_templateIsEESt5tupleIJNSH_6TensorESM_SM_EERKSM_lbbbEUlllE0_EEPmJS6_EEE10hipError_tPvRmT3_T4_T5_T6_T7_T9_mT8_P12ihipStream_tbDpT10_ENKUlT_T0_E_clISt17integral_constantIbLb1EES1C_EEDaS17_S18_EUlS17_E_NS1_11comp_targetILNS1_3genE0ELNS1_11target_archE4294967295ELNS1_3gpuE0ELNS1_3repE0EEENS1_30default_config_static_selectorELNS0_4arch9wavefront6targetE1EEEvT1_.uses_vcc, 0
	.set _ZN7rocprim17ROCPRIM_400000_NS6detail17trampoline_kernelINS0_14default_configENS1_25partition_config_selectorILNS1_17partition_subalgoE8ElNS0_10empty_typeEbEEZZNS1_14partition_implILS5_8ELb0ES3_jPlPS6_PKS6_NS0_5tupleIJS9_S6_EEENSD_IJSA_SA_EEENS0_18inequality_wrapperIZN2at6native12_GLOBAL__N_124unique_dim_cuda_templateIsEESt5tupleIJNSH_6TensorESM_SM_EERKSM_lbbbEUlllE0_EEPmJS6_EEE10hipError_tPvRmT3_T4_T5_T6_T7_T9_mT8_P12ihipStream_tbDpT10_ENKUlT_T0_E_clISt17integral_constantIbLb1EES1C_EEDaS17_S18_EUlS17_E_NS1_11comp_targetILNS1_3genE0ELNS1_11target_archE4294967295ELNS1_3gpuE0ELNS1_3repE0EEENS1_30default_config_static_selectorELNS0_4arch9wavefront6targetE1EEEvT1_.uses_flat_scratch, 0
	.set _ZN7rocprim17ROCPRIM_400000_NS6detail17trampoline_kernelINS0_14default_configENS1_25partition_config_selectorILNS1_17partition_subalgoE8ElNS0_10empty_typeEbEEZZNS1_14partition_implILS5_8ELb0ES3_jPlPS6_PKS6_NS0_5tupleIJS9_S6_EEENSD_IJSA_SA_EEENS0_18inequality_wrapperIZN2at6native12_GLOBAL__N_124unique_dim_cuda_templateIsEESt5tupleIJNSH_6TensorESM_SM_EERKSM_lbbbEUlllE0_EEPmJS6_EEE10hipError_tPvRmT3_T4_T5_T6_T7_T9_mT8_P12ihipStream_tbDpT10_ENKUlT_T0_E_clISt17integral_constantIbLb1EES1C_EEDaS17_S18_EUlS17_E_NS1_11comp_targetILNS1_3genE0ELNS1_11target_archE4294967295ELNS1_3gpuE0ELNS1_3repE0EEENS1_30default_config_static_selectorELNS0_4arch9wavefront6targetE1EEEvT1_.has_dyn_sized_stack, 0
	.set _ZN7rocprim17ROCPRIM_400000_NS6detail17trampoline_kernelINS0_14default_configENS1_25partition_config_selectorILNS1_17partition_subalgoE8ElNS0_10empty_typeEbEEZZNS1_14partition_implILS5_8ELb0ES3_jPlPS6_PKS6_NS0_5tupleIJS9_S6_EEENSD_IJSA_SA_EEENS0_18inequality_wrapperIZN2at6native12_GLOBAL__N_124unique_dim_cuda_templateIsEESt5tupleIJNSH_6TensorESM_SM_EERKSM_lbbbEUlllE0_EEPmJS6_EEE10hipError_tPvRmT3_T4_T5_T6_T7_T9_mT8_P12ihipStream_tbDpT10_ENKUlT_T0_E_clISt17integral_constantIbLb1EES1C_EEDaS17_S18_EUlS17_E_NS1_11comp_targetILNS1_3genE0ELNS1_11target_archE4294967295ELNS1_3gpuE0ELNS1_3repE0EEENS1_30default_config_static_selectorELNS0_4arch9wavefront6targetE1EEEvT1_.has_recursion, 0
	.set _ZN7rocprim17ROCPRIM_400000_NS6detail17trampoline_kernelINS0_14default_configENS1_25partition_config_selectorILNS1_17partition_subalgoE8ElNS0_10empty_typeEbEEZZNS1_14partition_implILS5_8ELb0ES3_jPlPS6_PKS6_NS0_5tupleIJS9_S6_EEENSD_IJSA_SA_EEENS0_18inequality_wrapperIZN2at6native12_GLOBAL__N_124unique_dim_cuda_templateIsEESt5tupleIJNSH_6TensorESM_SM_EERKSM_lbbbEUlllE0_EEPmJS6_EEE10hipError_tPvRmT3_T4_T5_T6_T7_T9_mT8_P12ihipStream_tbDpT10_ENKUlT_T0_E_clISt17integral_constantIbLb1EES1C_EEDaS17_S18_EUlS17_E_NS1_11comp_targetILNS1_3genE0ELNS1_11target_archE4294967295ELNS1_3gpuE0ELNS1_3repE0EEENS1_30default_config_static_selectorELNS0_4arch9wavefront6targetE1EEEvT1_.has_indirect_call, 0
	.section	.AMDGPU.csdata,"",@progbits
; Kernel info:
; codeLenInByte = 4
; TotalNumSgprs: 6
; NumVgprs: 0
; NumAgprs: 0
; TotalNumVgprs: 0
; ScratchSize: 0
; MemoryBound: 0
; FloatMode: 240
; IeeeMode: 1
; LDSByteSize: 0 bytes/workgroup (compile time only)
; SGPRBlocks: 0
; VGPRBlocks: 0
; NumSGPRsForWavesPerEU: 6
; NumVGPRsForWavesPerEU: 1
; AccumOffset: 4
; Occupancy: 8
; WaveLimiterHint : 0
; COMPUTE_PGM_RSRC2:SCRATCH_EN: 0
; COMPUTE_PGM_RSRC2:USER_SGPR: 2
; COMPUTE_PGM_RSRC2:TRAP_HANDLER: 0
; COMPUTE_PGM_RSRC2:TGID_X_EN: 1
; COMPUTE_PGM_RSRC2:TGID_Y_EN: 0
; COMPUTE_PGM_RSRC2:TGID_Z_EN: 0
; COMPUTE_PGM_RSRC2:TIDIG_COMP_CNT: 0
; COMPUTE_PGM_RSRC3_GFX90A:ACCUM_OFFSET: 0
; COMPUTE_PGM_RSRC3_GFX90A:TG_SPLIT: 0
	.section	.text._ZN7rocprim17ROCPRIM_400000_NS6detail17trampoline_kernelINS0_14default_configENS1_25partition_config_selectorILNS1_17partition_subalgoE8ElNS0_10empty_typeEbEEZZNS1_14partition_implILS5_8ELb0ES3_jPlPS6_PKS6_NS0_5tupleIJS9_S6_EEENSD_IJSA_SA_EEENS0_18inequality_wrapperIZN2at6native12_GLOBAL__N_124unique_dim_cuda_templateIsEESt5tupleIJNSH_6TensorESM_SM_EERKSM_lbbbEUlllE0_EEPmJS6_EEE10hipError_tPvRmT3_T4_T5_T6_T7_T9_mT8_P12ihipStream_tbDpT10_ENKUlT_T0_E_clISt17integral_constantIbLb1EES1C_EEDaS17_S18_EUlS17_E_NS1_11comp_targetILNS1_3genE5ELNS1_11target_archE942ELNS1_3gpuE9ELNS1_3repE0EEENS1_30default_config_static_selectorELNS0_4arch9wavefront6targetE1EEEvT1_,"axG",@progbits,_ZN7rocprim17ROCPRIM_400000_NS6detail17trampoline_kernelINS0_14default_configENS1_25partition_config_selectorILNS1_17partition_subalgoE8ElNS0_10empty_typeEbEEZZNS1_14partition_implILS5_8ELb0ES3_jPlPS6_PKS6_NS0_5tupleIJS9_S6_EEENSD_IJSA_SA_EEENS0_18inequality_wrapperIZN2at6native12_GLOBAL__N_124unique_dim_cuda_templateIsEESt5tupleIJNSH_6TensorESM_SM_EERKSM_lbbbEUlllE0_EEPmJS6_EEE10hipError_tPvRmT3_T4_T5_T6_T7_T9_mT8_P12ihipStream_tbDpT10_ENKUlT_T0_E_clISt17integral_constantIbLb1EES1C_EEDaS17_S18_EUlS17_E_NS1_11comp_targetILNS1_3genE5ELNS1_11target_archE942ELNS1_3gpuE9ELNS1_3repE0EEENS1_30default_config_static_selectorELNS0_4arch9wavefront6targetE1EEEvT1_,comdat
	.globl	_ZN7rocprim17ROCPRIM_400000_NS6detail17trampoline_kernelINS0_14default_configENS1_25partition_config_selectorILNS1_17partition_subalgoE8ElNS0_10empty_typeEbEEZZNS1_14partition_implILS5_8ELb0ES3_jPlPS6_PKS6_NS0_5tupleIJS9_S6_EEENSD_IJSA_SA_EEENS0_18inequality_wrapperIZN2at6native12_GLOBAL__N_124unique_dim_cuda_templateIsEESt5tupleIJNSH_6TensorESM_SM_EERKSM_lbbbEUlllE0_EEPmJS6_EEE10hipError_tPvRmT3_T4_T5_T6_T7_T9_mT8_P12ihipStream_tbDpT10_ENKUlT_T0_E_clISt17integral_constantIbLb1EES1C_EEDaS17_S18_EUlS17_E_NS1_11comp_targetILNS1_3genE5ELNS1_11target_archE942ELNS1_3gpuE9ELNS1_3repE0EEENS1_30default_config_static_selectorELNS0_4arch9wavefront6targetE1EEEvT1_ ; -- Begin function _ZN7rocprim17ROCPRIM_400000_NS6detail17trampoline_kernelINS0_14default_configENS1_25partition_config_selectorILNS1_17partition_subalgoE8ElNS0_10empty_typeEbEEZZNS1_14partition_implILS5_8ELb0ES3_jPlPS6_PKS6_NS0_5tupleIJS9_S6_EEENSD_IJSA_SA_EEENS0_18inequality_wrapperIZN2at6native12_GLOBAL__N_124unique_dim_cuda_templateIsEESt5tupleIJNSH_6TensorESM_SM_EERKSM_lbbbEUlllE0_EEPmJS6_EEE10hipError_tPvRmT3_T4_T5_T6_T7_T9_mT8_P12ihipStream_tbDpT10_ENKUlT_T0_E_clISt17integral_constantIbLb1EES1C_EEDaS17_S18_EUlS17_E_NS1_11comp_targetILNS1_3genE5ELNS1_11target_archE942ELNS1_3gpuE9ELNS1_3repE0EEENS1_30default_config_static_selectorELNS0_4arch9wavefront6targetE1EEEvT1_
	.p2align	8
	.type	_ZN7rocprim17ROCPRIM_400000_NS6detail17trampoline_kernelINS0_14default_configENS1_25partition_config_selectorILNS1_17partition_subalgoE8ElNS0_10empty_typeEbEEZZNS1_14partition_implILS5_8ELb0ES3_jPlPS6_PKS6_NS0_5tupleIJS9_S6_EEENSD_IJSA_SA_EEENS0_18inequality_wrapperIZN2at6native12_GLOBAL__N_124unique_dim_cuda_templateIsEESt5tupleIJNSH_6TensorESM_SM_EERKSM_lbbbEUlllE0_EEPmJS6_EEE10hipError_tPvRmT3_T4_T5_T6_T7_T9_mT8_P12ihipStream_tbDpT10_ENKUlT_T0_E_clISt17integral_constantIbLb1EES1C_EEDaS17_S18_EUlS17_E_NS1_11comp_targetILNS1_3genE5ELNS1_11target_archE942ELNS1_3gpuE9ELNS1_3repE0EEENS1_30default_config_static_selectorELNS0_4arch9wavefront6targetE1EEEvT1_,@function
_ZN7rocprim17ROCPRIM_400000_NS6detail17trampoline_kernelINS0_14default_configENS1_25partition_config_selectorILNS1_17partition_subalgoE8ElNS0_10empty_typeEbEEZZNS1_14partition_implILS5_8ELb0ES3_jPlPS6_PKS6_NS0_5tupleIJS9_S6_EEENSD_IJSA_SA_EEENS0_18inequality_wrapperIZN2at6native12_GLOBAL__N_124unique_dim_cuda_templateIsEESt5tupleIJNSH_6TensorESM_SM_EERKSM_lbbbEUlllE0_EEPmJS6_EEE10hipError_tPvRmT3_T4_T5_T6_T7_T9_mT8_P12ihipStream_tbDpT10_ENKUlT_T0_E_clISt17integral_constantIbLb1EES1C_EEDaS17_S18_EUlS17_E_NS1_11comp_targetILNS1_3genE5ELNS1_11target_archE942ELNS1_3gpuE9ELNS1_3repE0EEENS1_30default_config_static_selectorELNS0_4arch9wavefront6targetE1EEEvT1_: ; @_ZN7rocprim17ROCPRIM_400000_NS6detail17trampoline_kernelINS0_14default_configENS1_25partition_config_selectorILNS1_17partition_subalgoE8ElNS0_10empty_typeEbEEZZNS1_14partition_implILS5_8ELb0ES3_jPlPS6_PKS6_NS0_5tupleIJS9_S6_EEENSD_IJSA_SA_EEENS0_18inequality_wrapperIZN2at6native12_GLOBAL__N_124unique_dim_cuda_templateIsEESt5tupleIJNSH_6TensorESM_SM_EERKSM_lbbbEUlllE0_EEPmJS6_EEE10hipError_tPvRmT3_T4_T5_T6_T7_T9_mT8_P12ihipStream_tbDpT10_ENKUlT_T0_E_clISt17integral_constantIbLb1EES1C_EEDaS17_S18_EUlS17_E_NS1_11comp_targetILNS1_3genE5ELNS1_11target_archE942ELNS1_3gpuE9ELNS1_3repE0EEENS1_30default_config_static_selectorELNS0_4arch9wavefront6targetE1EEEvT1_
; %bb.0:
	.section	.rodata,"a",@progbits
	.p2align	6, 0x0
	.amdhsa_kernel _ZN7rocprim17ROCPRIM_400000_NS6detail17trampoline_kernelINS0_14default_configENS1_25partition_config_selectorILNS1_17partition_subalgoE8ElNS0_10empty_typeEbEEZZNS1_14partition_implILS5_8ELb0ES3_jPlPS6_PKS6_NS0_5tupleIJS9_S6_EEENSD_IJSA_SA_EEENS0_18inequality_wrapperIZN2at6native12_GLOBAL__N_124unique_dim_cuda_templateIsEESt5tupleIJNSH_6TensorESM_SM_EERKSM_lbbbEUlllE0_EEPmJS6_EEE10hipError_tPvRmT3_T4_T5_T6_T7_T9_mT8_P12ihipStream_tbDpT10_ENKUlT_T0_E_clISt17integral_constantIbLb1EES1C_EEDaS17_S18_EUlS17_E_NS1_11comp_targetILNS1_3genE5ELNS1_11target_archE942ELNS1_3gpuE9ELNS1_3repE0EEENS1_30default_config_static_selectorELNS0_4arch9wavefront6targetE1EEEvT1_
		.amdhsa_group_segment_fixed_size 0
		.amdhsa_private_segment_fixed_size 0
		.amdhsa_kernarg_size 136
		.amdhsa_user_sgpr_count 2
		.amdhsa_user_sgpr_dispatch_ptr 0
		.amdhsa_user_sgpr_queue_ptr 0
		.amdhsa_user_sgpr_kernarg_segment_ptr 1
		.amdhsa_user_sgpr_dispatch_id 0
		.amdhsa_user_sgpr_kernarg_preload_length 0
		.amdhsa_user_sgpr_kernarg_preload_offset 0
		.amdhsa_user_sgpr_private_segment_size 0
		.amdhsa_uses_dynamic_stack 0
		.amdhsa_enable_private_segment 0
		.amdhsa_system_sgpr_workgroup_id_x 1
		.amdhsa_system_sgpr_workgroup_id_y 0
		.amdhsa_system_sgpr_workgroup_id_z 0
		.amdhsa_system_sgpr_workgroup_info 0
		.amdhsa_system_vgpr_workitem_id 0
		.amdhsa_next_free_vgpr 1
		.amdhsa_next_free_sgpr 0
		.amdhsa_accum_offset 4
		.amdhsa_reserve_vcc 0
		.amdhsa_float_round_mode_32 0
		.amdhsa_float_round_mode_16_64 0
		.amdhsa_float_denorm_mode_32 3
		.amdhsa_float_denorm_mode_16_64 3
		.amdhsa_dx10_clamp 1
		.amdhsa_ieee_mode 1
		.amdhsa_fp16_overflow 0
		.amdhsa_tg_split 0
		.amdhsa_exception_fp_ieee_invalid_op 0
		.amdhsa_exception_fp_denorm_src 0
		.amdhsa_exception_fp_ieee_div_zero 0
		.amdhsa_exception_fp_ieee_overflow 0
		.amdhsa_exception_fp_ieee_underflow 0
		.amdhsa_exception_fp_ieee_inexact 0
		.amdhsa_exception_int_div_zero 0
	.end_amdhsa_kernel
	.section	.text._ZN7rocprim17ROCPRIM_400000_NS6detail17trampoline_kernelINS0_14default_configENS1_25partition_config_selectorILNS1_17partition_subalgoE8ElNS0_10empty_typeEbEEZZNS1_14partition_implILS5_8ELb0ES3_jPlPS6_PKS6_NS0_5tupleIJS9_S6_EEENSD_IJSA_SA_EEENS0_18inequality_wrapperIZN2at6native12_GLOBAL__N_124unique_dim_cuda_templateIsEESt5tupleIJNSH_6TensorESM_SM_EERKSM_lbbbEUlllE0_EEPmJS6_EEE10hipError_tPvRmT3_T4_T5_T6_T7_T9_mT8_P12ihipStream_tbDpT10_ENKUlT_T0_E_clISt17integral_constantIbLb1EES1C_EEDaS17_S18_EUlS17_E_NS1_11comp_targetILNS1_3genE5ELNS1_11target_archE942ELNS1_3gpuE9ELNS1_3repE0EEENS1_30default_config_static_selectorELNS0_4arch9wavefront6targetE1EEEvT1_,"axG",@progbits,_ZN7rocprim17ROCPRIM_400000_NS6detail17trampoline_kernelINS0_14default_configENS1_25partition_config_selectorILNS1_17partition_subalgoE8ElNS0_10empty_typeEbEEZZNS1_14partition_implILS5_8ELb0ES3_jPlPS6_PKS6_NS0_5tupleIJS9_S6_EEENSD_IJSA_SA_EEENS0_18inequality_wrapperIZN2at6native12_GLOBAL__N_124unique_dim_cuda_templateIsEESt5tupleIJNSH_6TensorESM_SM_EERKSM_lbbbEUlllE0_EEPmJS6_EEE10hipError_tPvRmT3_T4_T5_T6_T7_T9_mT8_P12ihipStream_tbDpT10_ENKUlT_T0_E_clISt17integral_constantIbLb1EES1C_EEDaS17_S18_EUlS17_E_NS1_11comp_targetILNS1_3genE5ELNS1_11target_archE942ELNS1_3gpuE9ELNS1_3repE0EEENS1_30default_config_static_selectorELNS0_4arch9wavefront6targetE1EEEvT1_,comdat
.Lfunc_end694:
	.size	_ZN7rocprim17ROCPRIM_400000_NS6detail17trampoline_kernelINS0_14default_configENS1_25partition_config_selectorILNS1_17partition_subalgoE8ElNS0_10empty_typeEbEEZZNS1_14partition_implILS5_8ELb0ES3_jPlPS6_PKS6_NS0_5tupleIJS9_S6_EEENSD_IJSA_SA_EEENS0_18inequality_wrapperIZN2at6native12_GLOBAL__N_124unique_dim_cuda_templateIsEESt5tupleIJNSH_6TensorESM_SM_EERKSM_lbbbEUlllE0_EEPmJS6_EEE10hipError_tPvRmT3_T4_T5_T6_T7_T9_mT8_P12ihipStream_tbDpT10_ENKUlT_T0_E_clISt17integral_constantIbLb1EES1C_EEDaS17_S18_EUlS17_E_NS1_11comp_targetILNS1_3genE5ELNS1_11target_archE942ELNS1_3gpuE9ELNS1_3repE0EEENS1_30default_config_static_selectorELNS0_4arch9wavefront6targetE1EEEvT1_, .Lfunc_end694-_ZN7rocprim17ROCPRIM_400000_NS6detail17trampoline_kernelINS0_14default_configENS1_25partition_config_selectorILNS1_17partition_subalgoE8ElNS0_10empty_typeEbEEZZNS1_14partition_implILS5_8ELb0ES3_jPlPS6_PKS6_NS0_5tupleIJS9_S6_EEENSD_IJSA_SA_EEENS0_18inequality_wrapperIZN2at6native12_GLOBAL__N_124unique_dim_cuda_templateIsEESt5tupleIJNSH_6TensorESM_SM_EERKSM_lbbbEUlllE0_EEPmJS6_EEE10hipError_tPvRmT3_T4_T5_T6_T7_T9_mT8_P12ihipStream_tbDpT10_ENKUlT_T0_E_clISt17integral_constantIbLb1EES1C_EEDaS17_S18_EUlS17_E_NS1_11comp_targetILNS1_3genE5ELNS1_11target_archE942ELNS1_3gpuE9ELNS1_3repE0EEENS1_30default_config_static_selectorELNS0_4arch9wavefront6targetE1EEEvT1_
                                        ; -- End function
	.set _ZN7rocprim17ROCPRIM_400000_NS6detail17trampoline_kernelINS0_14default_configENS1_25partition_config_selectorILNS1_17partition_subalgoE8ElNS0_10empty_typeEbEEZZNS1_14partition_implILS5_8ELb0ES3_jPlPS6_PKS6_NS0_5tupleIJS9_S6_EEENSD_IJSA_SA_EEENS0_18inequality_wrapperIZN2at6native12_GLOBAL__N_124unique_dim_cuda_templateIsEESt5tupleIJNSH_6TensorESM_SM_EERKSM_lbbbEUlllE0_EEPmJS6_EEE10hipError_tPvRmT3_T4_T5_T6_T7_T9_mT8_P12ihipStream_tbDpT10_ENKUlT_T0_E_clISt17integral_constantIbLb1EES1C_EEDaS17_S18_EUlS17_E_NS1_11comp_targetILNS1_3genE5ELNS1_11target_archE942ELNS1_3gpuE9ELNS1_3repE0EEENS1_30default_config_static_selectorELNS0_4arch9wavefront6targetE1EEEvT1_.num_vgpr, 0
	.set _ZN7rocprim17ROCPRIM_400000_NS6detail17trampoline_kernelINS0_14default_configENS1_25partition_config_selectorILNS1_17partition_subalgoE8ElNS0_10empty_typeEbEEZZNS1_14partition_implILS5_8ELb0ES3_jPlPS6_PKS6_NS0_5tupleIJS9_S6_EEENSD_IJSA_SA_EEENS0_18inequality_wrapperIZN2at6native12_GLOBAL__N_124unique_dim_cuda_templateIsEESt5tupleIJNSH_6TensorESM_SM_EERKSM_lbbbEUlllE0_EEPmJS6_EEE10hipError_tPvRmT3_T4_T5_T6_T7_T9_mT8_P12ihipStream_tbDpT10_ENKUlT_T0_E_clISt17integral_constantIbLb1EES1C_EEDaS17_S18_EUlS17_E_NS1_11comp_targetILNS1_3genE5ELNS1_11target_archE942ELNS1_3gpuE9ELNS1_3repE0EEENS1_30default_config_static_selectorELNS0_4arch9wavefront6targetE1EEEvT1_.num_agpr, 0
	.set _ZN7rocprim17ROCPRIM_400000_NS6detail17trampoline_kernelINS0_14default_configENS1_25partition_config_selectorILNS1_17partition_subalgoE8ElNS0_10empty_typeEbEEZZNS1_14partition_implILS5_8ELb0ES3_jPlPS6_PKS6_NS0_5tupleIJS9_S6_EEENSD_IJSA_SA_EEENS0_18inequality_wrapperIZN2at6native12_GLOBAL__N_124unique_dim_cuda_templateIsEESt5tupleIJNSH_6TensorESM_SM_EERKSM_lbbbEUlllE0_EEPmJS6_EEE10hipError_tPvRmT3_T4_T5_T6_T7_T9_mT8_P12ihipStream_tbDpT10_ENKUlT_T0_E_clISt17integral_constantIbLb1EES1C_EEDaS17_S18_EUlS17_E_NS1_11comp_targetILNS1_3genE5ELNS1_11target_archE942ELNS1_3gpuE9ELNS1_3repE0EEENS1_30default_config_static_selectorELNS0_4arch9wavefront6targetE1EEEvT1_.numbered_sgpr, 0
	.set _ZN7rocprim17ROCPRIM_400000_NS6detail17trampoline_kernelINS0_14default_configENS1_25partition_config_selectorILNS1_17partition_subalgoE8ElNS0_10empty_typeEbEEZZNS1_14partition_implILS5_8ELb0ES3_jPlPS6_PKS6_NS0_5tupleIJS9_S6_EEENSD_IJSA_SA_EEENS0_18inequality_wrapperIZN2at6native12_GLOBAL__N_124unique_dim_cuda_templateIsEESt5tupleIJNSH_6TensorESM_SM_EERKSM_lbbbEUlllE0_EEPmJS6_EEE10hipError_tPvRmT3_T4_T5_T6_T7_T9_mT8_P12ihipStream_tbDpT10_ENKUlT_T0_E_clISt17integral_constantIbLb1EES1C_EEDaS17_S18_EUlS17_E_NS1_11comp_targetILNS1_3genE5ELNS1_11target_archE942ELNS1_3gpuE9ELNS1_3repE0EEENS1_30default_config_static_selectorELNS0_4arch9wavefront6targetE1EEEvT1_.num_named_barrier, 0
	.set _ZN7rocprim17ROCPRIM_400000_NS6detail17trampoline_kernelINS0_14default_configENS1_25partition_config_selectorILNS1_17partition_subalgoE8ElNS0_10empty_typeEbEEZZNS1_14partition_implILS5_8ELb0ES3_jPlPS6_PKS6_NS0_5tupleIJS9_S6_EEENSD_IJSA_SA_EEENS0_18inequality_wrapperIZN2at6native12_GLOBAL__N_124unique_dim_cuda_templateIsEESt5tupleIJNSH_6TensorESM_SM_EERKSM_lbbbEUlllE0_EEPmJS6_EEE10hipError_tPvRmT3_T4_T5_T6_T7_T9_mT8_P12ihipStream_tbDpT10_ENKUlT_T0_E_clISt17integral_constantIbLb1EES1C_EEDaS17_S18_EUlS17_E_NS1_11comp_targetILNS1_3genE5ELNS1_11target_archE942ELNS1_3gpuE9ELNS1_3repE0EEENS1_30default_config_static_selectorELNS0_4arch9wavefront6targetE1EEEvT1_.private_seg_size, 0
	.set _ZN7rocprim17ROCPRIM_400000_NS6detail17trampoline_kernelINS0_14default_configENS1_25partition_config_selectorILNS1_17partition_subalgoE8ElNS0_10empty_typeEbEEZZNS1_14partition_implILS5_8ELb0ES3_jPlPS6_PKS6_NS0_5tupleIJS9_S6_EEENSD_IJSA_SA_EEENS0_18inequality_wrapperIZN2at6native12_GLOBAL__N_124unique_dim_cuda_templateIsEESt5tupleIJNSH_6TensorESM_SM_EERKSM_lbbbEUlllE0_EEPmJS6_EEE10hipError_tPvRmT3_T4_T5_T6_T7_T9_mT8_P12ihipStream_tbDpT10_ENKUlT_T0_E_clISt17integral_constantIbLb1EES1C_EEDaS17_S18_EUlS17_E_NS1_11comp_targetILNS1_3genE5ELNS1_11target_archE942ELNS1_3gpuE9ELNS1_3repE0EEENS1_30default_config_static_selectorELNS0_4arch9wavefront6targetE1EEEvT1_.uses_vcc, 0
	.set _ZN7rocprim17ROCPRIM_400000_NS6detail17trampoline_kernelINS0_14default_configENS1_25partition_config_selectorILNS1_17partition_subalgoE8ElNS0_10empty_typeEbEEZZNS1_14partition_implILS5_8ELb0ES3_jPlPS6_PKS6_NS0_5tupleIJS9_S6_EEENSD_IJSA_SA_EEENS0_18inequality_wrapperIZN2at6native12_GLOBAL__N_124unique_dim_cuda_templateIsEESt5tupleIJNSH_6TensorESM_SM_EERKSM_lbbbEUlllE0_EEPmJS6_EEE10hipError_tPvRmT3_T4_T5_T6_T7_T9_mT8_P12ihipStream_tbDpT10_ENKUlT_T0_E_clISt17integral_constantIbLb1EES1C_EEDaS17_S18_EUlS17_E_NS1_11comp_targetILNS1_3genE5ELNS1_11target_archE942ELNS1_3gpuE9ELNS1_3repE0EEENS1_30default_config_static_selectorELNS0_4arch9wavefront6targetE1EEEvT1_.uses_flat_scratch, 0
	.set _ZN7rocprim17ROCPRIM_400000_NS6detail17trampoline_kernelINS0_14default_configENS1_25partition_config_selectorILNS1_17partition_subalgoE8ElNS0_10empty_typeEbEEZZNS1_14partition_implILS5_8ELb0ES3_jPlPS6_PKS6_NS0_5tupleIJS9_S6_EEENSD_IJSA_SA_EEENS0_18inequality_wrapperIZN2at6native12_GLOBAL__N_124unique_dim_cuda_templateIsEESt5tupleIJNSH_6TensorESM_SM_EERKSM_lbbbEUlllE0_EEPmJS6_EEE10hipError_tPvRmT3_T4_T5_T6_T7_T9_mT8_P12ihipStream_tbDpT10_ENKUlT_T0_E_clISt17integral_constantIbLb1EES1C_EEDaS17_S18_EUlS17_E_NS1_11comp_targetILNS1_3genE5ELNS1_11target_archE942ELNS1_3gpuE9ELNS1_3repE0EEENS1_30default_config_static_selectorELNS0_4arch9wavefront6targetE1EEEvT1_.has_dyn_sized_stack, 0
	.set _ZN7rocprim17ROCPRIM_400000_NS6detail17trampoline_kernelINS0_14default_configENS1_25partition_config_selectorILNS1_17partition_subalgoE8ElNS0_10empty_typeEbEEZZNS1_14partition_implILS5_8ELb0ES3_jPlPS6_PKS6_NS0_5tupleIJS9_S6_EEENSD_IJSA_SA_EEENS0_18inequality_wrapperIZN2at6native12_GLOBAL__N_124unique_dim_cuda_templateIsEESt5tupleIJNSH_6TensorESM_SM_EERKSM_lbbbEUlllE0_EEPmJS6_EEE10hipError_tPvRmT3_T4_T5_T6_T7_T9_mT8_P12ihipStream_tbDpT10_ENKUlT_T0_E_clISt17integral_constantIbLb1EES1C_EEDaS17_S18_EUlS17_E_NS1_11comp_targetILNS1_3genE5ELNS1_11target_archE942ELNS1_3gpuE9ELNS1_3repE0EEENS1_30default_config_static_selectorELNS0_4arch9wavefront6targetE1EEEvT1_.has_recursion, 0
	.set _ZN7rocprim17ROCPRIM_400000_NS6detail17trampoline_kernelINS0_14default_configENS1_25partition_config_selectorILNS1_17partition_subalgoE8ElNS0_10empty_typeEbEEZZNS1_14partition_implILS5_8ELb0ES3_jPlPS6_PKS6_NS0_5tupleIJS9_S6_EEENSD_IJSA_SA_EEENS0_18inequality_wrapperIZN2at6native12_GLOBAL__N_124unique_dim_cuda_templateIsEESt5tupleIJNSH_6TensorESM_SM_EERKSM_lbbbEUlllE0_EEPmJS6_EEE10hipError_tPvRmT3_T4_T5_T6_T7_T9_mT8_P12ihipStream_tbDpT10_ENKUlT_T0_E_clISt17integral_constantIbLb1EES1C_EEDaS17_S18_EUlS17_E_NS1_11comp_targetILNS1_3genE5ELNS1_11target_archE942ELNS1_3gpuE9ELNS1_3repE0EEENS1_30default_config_static_selectorELNS0_4arch9wavefront6targetE1EEEvT1_.has_indirect_call, 0
	.section	.AMDGPU.csdata,"",@progbits
; Kernel info:
; codeLenInByte = 0
; TotalNumSgprs: 6
; NumVgprs: 0
; NumAgprs: 0
; TotalNumVgprs: 0
; ScratchSize: 0
; MemoryBound: 0
; FloatMode: 240
; IeeeMode: 1
; LDSByteSize: 0 bytes/workgroup (compile time only)
; SGPRBlocks: 0
; VGPRBlocks: 0
; NumSGPRsForWavesPerEU: 6
; NumVGPRsForWavesPerEU: 1
; AccumOffset: 4
; Occupancy: 8
; WaveLimiterHint : 0
; COMPUTE_PGM_RSRC2:SCRATCH_EN: 0
; COMPUTE_PGM_RSRC2:USER_SGPR: 2
; COMPUTE_PGM_RSRC2:TRAP_HANDLER: 0
; COMPUTE_PGM_RSRC2:TGID_X_EN: 1
; COMPUTE_PGM_RSRC2:TGID_Y_EN: 0
; COMPUTE_PGM_RSRC2:TGID_Z_EN: 0
; COMPUTE_PGM_RSRC2:TIDIG_COMP_CNT: 0
; COMPUTE_PGM_RSRC3_GFX90A:ACCUM_OFFSET: 0
; COMPUTE_PGM_RSRC3_GFX90A:TG_SPLIT: 0
	.section	.text._ZN7rocprim17ROCPRIM_400000_NS6detail17trampoline_kernelINS0_14default_configENS1_25partition_config_selectorILNS1_17partition_subalgoE8ElNS0_10empty_typeEbEEZZNS1_14partition_implILS5_8ELb0ES3_jPlPS6_PKS6_NS0_5tupleIJS9_S6_EEENSD_IJSA_SA_EEENS0_18inequality_wrapperIZN2at6native12_GLOBAL__N_124unique_dim_cuda_templateIsEESt5tupleIJNSH_6TensorESM_SM_EERKSM_lbbbEUlllE0_EEPmJS6_EEE10hipError_tPvRmT3_T4_T5_T6_T7_T9_mT8_P12ihipStream_tbDpT10_ENKUlT_T0_E_clISt17integral_constantIbLb1EES1C_EEDaS17_S18_EUlS17_E_NS1_11comp_targetILNS1_3genE4ELNS1_11target_archE910ELNS1_3gpuE8ELNS1_3repE0EEENS1_30default_config_static_selectorELNS0_4arch9wavefront6targetE1EEEvT1_,"axG",@progbits,_ZN7rocprim17ROCPRIM_400000_NS6detail17trampoline_kernelINS0_14default_configENS1_25partition_config_selectorILNS1_17partition_subalgoE8ElNS0_10empty_typeEbEEZZNS1_14partition_implILS5_8ELb0ES3_jPlPS6_PKS6_NS0_5tupleIJS9_S6_EEENSD_IJSA_SA_EEENS0_18inequality_wrapperIZN2at6native12_GLOBAL__N_124unique_dim_cuda_templateIsEESt5tupleIJNSH_6TensorESM_SM_EERKSM_lbbbEUlllE0_EEPmJS6_EEE10hipError_tPvRmT3_T4_T5_T6_T7_T9_mT8_P12ihipStream_tbDpT10_ENKUlT_T0_E_clISt17integral_constantIbLb1EES1C_EEDaS17_S18_EUlS17_E_NS1_11comp_targetILNS1_3genE4ELNS1_11target_archE910ELNS1_3gpuE8ELNS1_3repE0EEENS1_30default_config_static_selectorELNS0_4arch9wavefront6targetE1EEEvT1_,comdat
	.globl	_ZN7rocprim17ROCPRIM_400000_NS6detail17trampoline_kernelINS0_14default_configENS1_25partition_config_selectorILNS1_17partition_subalgoE8ElNS0_10empty_typeEbEEZZNS1_14partition_implILS5_8ELb0ES3_jPlPS6_PKS6_NS0_5tupleIJS9_S6_EEENSD_IJSA_SA_EEENS0_18inequality_wrapperIZN2at6native12_GLOBAL__N_124unique_dim_cuda_templateIsEESt5tupleIJNSH_6TensorESM_SM_EERKSM_lbbbEUlllE0_EEPmJS6_EEE10hipError_tPvRmT3_T4_T5_T6_T7_T9_mT8_P12ihipStream_tbDpT10_ENKUlT_T0_E_clISt17integral_constantIbLb1EES1C_EEDaS17_S18_EUlS17_E_NS1_11comp_targetILNS1_3genE4ELNS1_11target_archE910ELNS1_3gpuE8ELNS1_3repE0EEENS1_30default_config_static_selectorELNS0_4arch9wavefront6targetE1EEEvT1_ ; -- Begin function _ZN7rocprim17ROCPRIM_400000_NS6detail17trampoline_kernelINS0_14default_configENS1_25partition_config_selectorILNS1_17partition_subalgoE8ElNS0_10empty_typeEbEEZZNS1_14partition_implILS5_8ELb0ES3_jPlPS6_PKS6_NS0_5tupleIJS9_S6_EEENSD_IJSA_SA_EEENS0_18inequality_wrapperIZN2at6native12_GLOBAL__N_124unique_dim_cuda_templateIsEESt5tupleIJNSH_6TensorESM_SM_EERKSM_lbbbEUlllE0_EEPmJS6_EEE10hipError_tPvRmT3_T4_T5_T6_T7_T9_mT8_P12ihipStream_tbDpT10_ENKUlT_T0_E_clISt17integral_constantIbLb1EES1C_EEDaS17_S18_EUlS17_E_NS1_11comp_targetILNS1_3genE4ELNS1_11target_archE910ELNS1_3gpuE8ELNS1_3repE0EEENS1_30default_config_static_selectorELNS0_4arch9wavefront6targetE1EEEvT1_
	.p2align	8
	.type	_ZN7rocprim17ROCPRIM_400000_NS6detail17trampoline_kernelINS0_14default_configENS1_25partition_config_selectorILNS1_17partition_subalgoE8ElNS0_10empty_typeEbEEZZNS1_14partition_implILS5_8ELb0ES3_jPlPS6_PKS6_NS0_5tupleIJS9_S6_EEENSD_IJSA_SA_EEENS0_18inequality_wrapperIZN2at6native12_GLOBAL__N_124unique_dim_cuda_templateIsEESt5tupleIJNSH_6TensorESM_SM_EERKSM_lbbbEUlllE0_EEPmJS6_EEE10hipError_tPvRmT3_T4_T5_T6_T7_T9_mT8_P12ihipStream_tbDpT10_ENKUlT_T0_E_clISt17integral_constantIbLb1EES1C_EEDaS17_S18_EUlS17_E_NS1_11comp_targetILNS1_3genE4ELNS1_11target_archE910ELNS1_3gpuE8ELNS1_3repE0EEENS1_30default_config_static_selectorELNS0_4arch9wavefront6targetE1EEEvT1_,@function
_ZN7rocprim17ROCPRIM_400000_NS6detail17trampoline_kernelINS0_14default_configENS1_25partition_config_selectorILNS1_17partition_subalgoE8ElNS0_10empty_typeEbEEZZNS1_14partition_implILS5_8ELb0ES3_jPlPS6_PKS6_NS0_5tupleIJS9_S6_EEENSD_IJSA_SA_EEENS0_18inequality_wrapperIZN2at6native12_GLOBAL__N_124unique_dim_cuda_templateIsEESt5tupleIJNSH_6TensorESM_SM_EERKSM_lbbbEUlllE0_EEPmJS6_EEE10hipError_tPvRmT3_T4_T5_T6_T7_T9_mT8_P12ihipStream_tbDpT10_ENKUlT_T0_E_clISt17integral_constantIbLb1EES1C_EEDaS17_S18_EUlS17_E_NS1_11comp_targetILNS1_3genE4ELNS1_11target_archE910ELNS1_3gpuE8ELNS1_3repE0EEENS1_30default_config_static_selectorELNS0_4arch9wavefront6targetE1EEEvT1_: ; @_ZN7rocprim17ROCPRIM_400000_NS6detail17trampoline_kernelINS0_14default_configENS1_25partition_config_selectorILNS1_17partition_subalgoE8ElNS0_10empty_typeEbEEZZNS1_14partition_implILS5_8ELb0ES3_jPlPS6_PKS6_NS0_5tupleIJS9_S6_EEENSD_IJSA_SA_EEENS0_18inequality_wrapperIZN2at6native12_GLOBAL__N_124unique_dim_cuda_templateIsEESt5tupleIJNSH_6TensorESM_SM_EERKSM_lbbbEUlllE0_EEPmJS6_EEE10hipError_tPvRmT3_T4_T5_T6_T7_T9_mT8_P12ihipStream_tbDpT10_ENKUlT_T0_E_clISt17integral_constantIbLb1EES1C_EEDaS17_S18_EUlS17_E_NS1_11comp_targetILNS1_3genE4ELNS1_11target_archE910ELNS1_3gpuE8ELNS1_3repE0EEENS1_30default_config_static_selectorELNS0_4arch9wavefront6targetE1EEEvT1_
; %bb.0:
	.section	.rodata,"a",@progbits
	.p2align	6, 0x0
	.amdhsa_kernel _ZN7rocprim17ROCPRIM_400000_NS6detail17trampoline_kernelINS0_14default_configENS1_25partition_config_selectorILNS1_17partition_subalgoE8ElNS0_10empty_typeEbEEZZNS1_14partition_implILS5_8ELb0ES3_jPlPS6_PKS6_NS0_5tupleIJS9_S6_EEENSD_IJSA_SA_EEENS0_18inequality_wrapperIZN2at6native12_GLOBAL__N_124unique_dim_cuda_templateIsEESt5tupleIJNSH_6TensorESM_SM_EERKSM_lbbbEUlllE0_EEPmJS6_EEE10hipError_tPvRmT3_T4_T5_T6_T7_T9_mT8_P12ihipStream_tbDpT10_ENKUlT_T0_E_clISt17integral_constantIbLb1EES1C_EEDaS17_S18_EUlS17_E_NS1_11comp_targetILNS1_3genE4ELNS1_11target_archE910ELNS1_3gpuE8ELNS1_3repE0EEENS1_30default_config_static_selectorELNS0_4arch9wavefront6targetE1EEEvT1_
		.amdhsa_group_segment_fixed_size 0
		.amdhsa_private_segment_fixed_size 0
		.amdhsa_kernarg_size 136
		.amdhsa_user_sgpr_count 2
		.amdhsa_user_sgpr_dispatch_ptr 0
		.amdhsa_user_sgpr_queue_ptr 0
		.amdhsa_user_sgpr_kernarg_segment_ptr 1
		.amdhsa_user_sgpr_dispatch_id 0
		.amdhsa_user_sgpr_kernarg_preload_length 0
		.amdhsa_user_sgpr_kernarg_preload_offset 0
		.amdhsa_user_sgpr_private_segment_size 0
		.amdhsa_uses_dynamic_stack 0
		.amdhsa_enable_private_segment 0
		.amdhsa_system_sgpr_workgroup_id_x 1
		.amdhsa_system_sgpr_workgroup_id_y 0
		.amdhsa_system_sgpr_workgroup_id_z 0
		.amdhsa_system_sgpr_workgroup_info 0
		.amdhsa_system_vgpr_workitem_id 0
		.amdhsa_next_free_vgpr 1
		.amdhsa_next_free_sgpr 0
		.amdhsa_accum_offset 4
		.amdhsa_reserve_vcc 0
		.amdhsa_float_round_mode_32 0
		.amdhsa_float_round_mode_16_64 0
		.amdhsa_float_denorm_mode_32 3
		.amdhsa_float_denorm_mode_16_64 3
		.amdhsa_dx10_clamp 1
		.amdhsa_ieee_mode 1
		.amdhsa_fp16_overflow 0
		.amdhsa_tg_split 0
		.amdhsa_exception_fp_ieee_invalid_op 0
		.amdhsa_exception_fp_denorm_src 0
		.amdhsa_exception_fp_ieee_div_zero 0
		.amdhsa_exception_fp_ieee_overflow 0
		.amdhsa_exception_fp_ieee_underflow 0
		.amdhsa_exception_fp_ieee_inexact 0
		.amdhsa_exception_int_div_zero 0
	.end_amdhsa_kernel
	.section	.text._ZN7rocprim17ROCPRIM_400000_NS6detail17trampoline_kernelINS0_14default_configENS1_25partition_config_selectorILNS1_17partition_subalgoE8ElNS0_10empty_typeEbEEZZNS1_14partition_implILS5_8ELb0ES3_jPlPS6_PKS6_NS0_5tupleIJS9_S6_EEENSD_IJSA_SA_EEENS0_18inequality_wrapperIZN2at6native12_GLOBAL__N_124unique_dim_cuda_templateIsEESt5tupleIJNSH_6TensorESM_SM_EERKSM_lbbbEUlllE0_EEPmJS6_EEE10hipError_tPvRmT3_T4_T5_T6_T7_T9_mT8_P12ihipStream_tbDpT10_ENKUlT_T0_E_clISt17integral_constantIbLb1EES1C_EEDaS17_S18_EUlS17_E_NS1_11comp_targetILNS1_3genE4ELNS1_11target_archE910ELNS1_3gpuE8ELNS1_3repE0EEENS1_30default_config_static_selectorELNS0_4arch9wavefront6targetE1EEEvT1_,"axG",@progbits,_ZN7rocprim17ROCPRIM_400000_NS6detail17trampoline_kernelINS0_14default_configENS1_25partition_config_selectorILNS1_17partition_subalgoE8ElNS0_10empty_typeEbEEZZNS1_14partition_implILS5_8ELb0ES3_jPlPS6_PKS6_NS0_5tupleIJS9_S6_EEENSD_IJSA_SA_EEENS0_18inequality_wrapperIZN2at6native12_GLOBAL__N_124unique_dim_cuda_templateIsEESt5tupleIJNSH_6TensorESM_SM_EERKSM_lbbbEUlllE0_EEPmJS6_EEE10hipError_tPvRmT3_T4_T5_T6_T7_T9_mT8_P12ihipStream_tbDpT10_ENKUlT_T0_E_clISt17integral_constantIbLb1EES1C_EEDaS17_S18_EUlS17_E_NS1_11comp_targetILNS1_3genE4ELNS1_11target_archE910ELNS1_3gpuE8ELNS1_3repE0EEENS1_30default_config_static_selectorELNS0_4arch9wavefront6targetE1EEEvT1_,comdat
.Lfunc_end695:
	.size	_ZN7rocprim17ROCPRIM_400000_NS6detail17trampoline_kernelINS0_14default_configENS1_25partition_config_selectorILNS1_17partition_subalgoE8ElNS0_10empty_typeEbEEZZNS1_14partition_implILS5_8ELb0ES3_jPlPS6_PKS6_NS0_5tupleIJS9_S6_EEENSD_IJSA_SA_EEENS0_18inequality_wrapperIZN2at6native12_GLOBAL__N_124unique_dim_cuda_templateIsEESt5tupleIJNSH_6TensorESM_SM_EERKSM_lbbbEUlllE0_EEPmJS6_EEE10hipError_tPvRmT3_T4_T5_T6_T7_T9_mT8_P12ihipStream_tbDpT10_ENKUlT_T0_E_clISt17integral_constantIbLb1EES1C_EEDaS17_S18_EUlS17_E_NS1_11comp_targetILNS1_3genE4ELNS1_11target_archE910ELNS1_3gpuE8ELNS1_3repE0EEENS1_30default_config_static_selectorELNS0_4arch9wavefront6targetE1EEEvT1_, .Lfunc_end695-_ZN7rocprim17ROCPRIM_400000_NS6detail17trampoline_kernelINS0_14default_configENS1_25partition_config_selectorILNS1_17partition_subalgoE8ElNS0_10empty_typeEbEEZZNS1_14partition_implILS5_8ELb0ES3_jPlPS6_PKS6_NS0_5tupleIJS9_S6_EEENSD_IJSA_SA_EEENS0_18inequality_wrapperIZN2at6native12_GLOBAL__N_124unique_dim_cuda_templateIsEESt5tupleIJNSH_6TensorESM_SM_EERKSM_lbbbEUlllE0_EEPmJS6_EEE10hipError_tPvRmT3_T4_T5_T6_T7_T9_mT8_P12ihipStream_tbDpT10_ENKUlT_T0_E_clISt17integral_constantIbLb1EES1C_EEDaS17_S18_EUlS17_E_NS1_11comp_targetILNS1_3genE4ELNS1_11target_archE910ELNS1_3gpuE8ELNS1_3repE0EEENS1_30default_config_static_selectorELNS0_4arch9wavefront6targetE1EEEvT1_
                                        ; -- End function
	.set _ZN7rocprim17ROCPRIM_400000_NS6detail17trampoline_kernelINS0_14default_configENS1_25partition_config_selectorILNS1_17partition_subalgoE8ElNS0_10empty_typeEbEEZZNS1_14partition_implILS5_8ELb0ES3_jPlPS6_PKS6_NS0_5tupleIJS9_S6_EEENSD_IJSA_SA_EEENS0_18inequality_wrapperIZN2at6native12_GLOBAL__N_124unique_dim_cuda_templateIsEESt5tupleIJNSH_6TensorESM_SM_EERKSM_lbbbEUlllE0_EEPmJS6_EEE10hipError_tPvRmT3_T4_T5_T6_T7_T9_mT8_P12ihipStream_tbDpT10_ENKUlT_T0_E_clISt17integral_constantIbLb1EES1C_EEDaS17_S18_EUlS17_E_NS1_11comp_targetILNS1_3genE4ELNS1_11target_archE910ELNS1_3gpuE8ELNS1_3repE0EEENS1_30default_config_static_selectorELNS0_4arch9wavefront6targetE1EEEvT1_.num_vgpr, 0
	.set _ZN7rocprim17ROCPRIM_400000_NS6detail17trampoline_kernelINS0_14default_configENS1_25partition_config_selectorILNS1_17partition_subalgoE8ElNS0_10empty_typeEbEEZZNS1_14partition_implILS5_8ELb0ES3_jPlPS6_PKS6_NS0_5tupleIJS9_S6_EEENSD_IJSA_SA_EEENS0_18inequality_wrapperIZN2at6native12_GLOBAL__N_124unique_dim_cuda_templateIsEESt5tupleIJNSH_6TensorESM_SM_EERKSM_lbbbEUlllE0_EEPmJS6_EEE10hipError_tPvRmT3_T4_T5_T6_T7_T9_mT8_P12ihipStream_tbDpT10_ENKUlT_T0_E_clISt17integral_constantIbLb1EES1C_EEDaS17_S18_EUlS17_E_NS1_11comp_targetILNS1_3genE4ELNS1_11target_archE910ELNS1_3gpuE8ELNS1_3repE0EEENS1_30default_config_static_selectorELNS0_4arch9wavefront6targetE1EEEvT1_.num_agpr, 0
	.set _ZN7rocprim17ROCPRIM_400000_NS6detail17trampoline_kernelINS0_14default_configENS1_25partition_config_selectorILNS1_17partition_subalgoE8ElNS0_10empty_typeEbEEZZNS1_14partition_implILS5_8ELb0ES3_jPlPS6_PKS6_NS0_5tupleIJS9_S6_EEENSD_IJSA_SA_EEENS0_18inequality_wrapperIZN2at6native12_GLOBAL__N_124unique_dim_cuda_templateIsEESt5tupleIJNSH_6TensorESM_SM_EERKSM_lbbbEUlllE0_EEPmJS6_EEE10hipError_tPvRmT3_T4_T5_T6_T7_T9_mT8_P12ihipStream_tbDpT10_ENKUlT_T0_E_clISt17integral_constantIbLb1EES1C_EEDaS17_S18_EUlS17_E_NS1_11comp_targetILNS1_3genE4ELNS1_11target_archE910ELNS1_3gpuE8ELNS1_3repE0EEENS1_30default_config_static_selectorELNS0_4arch9wavefront6targetE1EEEvT1_.numbered_sgpr, 0
	.set _ZN7rocprim17ROCPRIM_400000_NS6detail17trampoline_kernelINS0_14default_configENS1_25partition_config_selectorILNS1_17partition_subalgoE8ElNS0_10empty_typeEbEEZZNS1_14partition_implILS5_8ELb0ES3_jPlPS6_PKS6_NS0_5tupleIJS9_S6_EEENSD_IJSA_SA_EEENS0_18inequality_wrapperIZN2at6native12_GLOBAL__N_124unique_dim_cuda_templateIsEESt5tupleIJNSH_6TensorESM_SM_EERKSM_lbbbEUlllE0_EEPmJS6_EEE10hipError_tPvRmT3_T4_T5_T6_T7_T9_mT8_P12ihipStream_tbDpT10_ENKUlT_T0_E_clISt17integral_constantIbLb1EES1C_EEDaS17_S18_EUlS17_E_NS1_11comp_targetILNS1_3genE4ELNS1_11target_archE910ELNS1_3gpuE8ELNS1_3repE0EEENS1_30default_config_static_selectorELNS0_4arch9wavefront6targetE1EEEvT1_.num_named_barrier, 0
	.set _ZN7rocprim17ROCPRIM_400000_NS6detail17trampoline_kernelINS0_14default_configENS1_25partition_config_selectorILNS1_17partition_subalgoE8ElNS0_10empty_typeEbEEZZNS1_14partition_implILS5_8ELb0ES3_jPlPS6_PKS6_NS0_5tupleIJS9_S6_EEENSD_IJSA_SA_EEENS0_18inequality_wrapperIZN2at6native12_GLOBAL__N_124unique_dim_cuda_templateIsEESt5tupleIJNSH_6TensorESM_SM_EERKSM_lbbbEUlllE0_EEPmJS6_EEE10hipError_tPvRmT3_T4_T5_T6_T7_T9_mT8_P12ihipStream_tbDpT10_ENKUlT_T0_E_clISt17integral_constantIbLb1EES1C_EEDaS17_S18_EUlS17_E_NS1_11comp_targetILNS1_3genE4ELNS1_11target_archE910ELNS1_3gpuE8ELNS1_3repE0EEENS1_30default_config_static_selectorELNS0_4arch9wavefront6targetE1EEEvT1_.private_seg_size, 0
	.set _ZN7rocprim17ROCPRIM_400000_NS6detail17trampoline_kernelINS0_14default_configENS1_25partition_config_selectorILNS1_17partition_subalgoE8ElNS0_10empty_typeEbEEZZNS1_14partition_implILS5_8ELb0ES3_jPlPS6_PKS6_NS0_5tupleIJS9_S6_EEENSD_IJSA_SA_EEENS0_18inequality_wrapperIZN2at6native12_GLOBAL__N_124unique_dim_cuda_templateIsEESt5tupleIJNSH_6TensorESM_SM_EERKSM_lbbbEUlllE0_EEPmJS6_EEE10hipError_tPvRmT3_T4_T5_T6_T7_T9_mT8_P12ihipStream_tbDpT10_ENKUlT_T0_E_clISt17integral_constantIbLb1EES1C_EEDaS17_S18_EUlS17_E_NS1_11comp_targetILNS1_3genE4ELNS1_11target_archE910ELNS1_3gpuE8ELNS1_3repE0EEENS1_30default_config_static_selectorELNS0_4arch9wavefront6targetE1EEEvT1_.uses_vcc, 0
	.set _ZN7rocprim17ROCPRIM_400000_NS6detail17trampoline_kernelINS0_14default_configENS1_25partition_config_selectorILNS1_17partition_subalgoE8ElNS0_10empty_typeEbEEZZNS1_14partition_implILS5_8ELb0ES3_jPlPS6_PKS6_NS0_5tupleIJS9_S6_EEENSD_IJSA_SA_EEENS0_18inequality_wrapperIZN2at6native12_GLOBAL__N_124unique_dim_cuda_templateIsEESt5tupleIJNSH_6TensorESM_SM_EERKSM_lbbbEUlllE0_EEPmJS6_EEE10hipError_tPvRmT3_T4_T5_T6_T7_T9_mT8_P12ihipStream_tbDpT10_ENKUlT_T0_E_clISt17integral_constantIbLb1EES1C_EEDaS17_S18_EUlS17_E_NS1_11comp_targetILNS1_3genE4ELNS1_11target_archE910ELNS1_3gpuE8ELNS1_3repE0EEENS1_30default_config_static_selectorELNS0_4arch9wavefront6targetE1EEEvT1_.uses_flat_scratch, 0
	.set _ZN7rocprim17ROCPRIM_400000_NS6detail17trampoline_kernelINS0_14default_configENS1_25partition_config_selectorILNS1_17partition_subalgoE8ElNS0_10empty_typeEbEEZZNS1_14partition_implILS5_8ELb0ES3_jPlPS6_PKS6_NS0_5tupleIJS9_S6_EEENSD_IJSA_SA_EEENS0_18inequality_wrapperIZN2at6native12_GLOBAL__N_124unique_dim_cuda_templateIsEESt5tupleIJNSH_6TensorESM_SM_EERKSM_lbbbEUlllE0_EEPmJS6_EEE10hipError_tPvRmT3_T4_T5_T6_T7_T9_mT8_P12ihipStream_tbDpT10_ENKUlT_T0_E_clISt17integral_constantIbLb1EES1C_EEDaS17_S18_EUlS17_E_NS1_11comp_targetILNS1_3genE4ELNS1_11target_archE910ELNS1_3gpuE8ELNS1_3repE0EEENS1_30default_config_static_selectorELNS0_4arch9wavefront6targetE1EEEvT1_.has_dyn_sized_stack, 0
	.set _ZN7rocprim17ROCPRIM_400000_NS6detail17trampoline_kernelINS0_14default_configENS1_25partition_config_selectorILNS1_17partition_subalgoE8ElNS0_10empty_typeEbEEZZNS1_14partition_implILS5_8ELb0ES3_jPlPS6_PKS6_NS0_5tupleIJS9_S6_EEENSD_IJSA_SA_EEENS0_18inequality_wrapperIZN2at6native12_GLOBAL__N_124unique_dim_cuda_templateIsEESt5tupleIJNSH_6TensorESM_SM_EERKSM_lbbbEUlllE0_EEPmJS6_EEE10hipError_tPvRmT3_T4_T5_T6_T7_T9_mT8_P12ihipStream_tbDpT10_ENKUlT_T0_E_clISt17integral_constantIbLb1EES1C_EEDaS17_S18_EUlS17_E_NS1_11comp_targetILNS1_3genE4ELNS1_11target_archE910ELNS1_3gpuE8ELNS1_3repE0EEENS1_30default_config_static_selectorELNS0_4arch9wavefront6targetE1EEEvT1_.has_recursion, 0
	.set _ZN7rocprim17ROCPRIM_400000_NS6detail17trampoline_kernelINS0_14default_configENS1_25partition_config_selectorILNS1_17partition_subalgoE8ElNS0_10empty_typeEbEEZZNS1_14partition_implILS5_8ELb0ES3_jPlPS6_PKS6_NS0_5tupleIJS9_S6_EEENSD_IJSA_SA_EEENS0_18inequality_wrapperIZN2at6native12_GLOBAL__N_124unique_dim_cuda_templateIsEESt5tupleIJNSH_6TensorESM_SM_EERKSM_lbbbEUlllE0_EEPmJS6_EEE10hipError_tPvRmT3_T4_T5_T6_T7_T9_mT8_P12ihipStream_tbDpT10_ENKUlT_T0_E_clISt17integral_constantIbLb1EES1C_EEDaS17_S18_EUlS17_E_NS1_11comp_targetILNS1_3genE4ELNS1_11target_archE910ELNS1_3gpuE8ELNS1_3repE0EEENS1_30default_config_static_selectorELNS0_4arch9wavefront6targetE1EEEvT1_.has_indirect_call, 0
	.section	.AMDGPU.csdata,"",@progbits
; Kernel info:
; codeLenInByte = 0
; TotalNumSgprs: 6
; NumVgprs: 0
; NumAgprs: 0
; TotalNumVgprs: 0
; ScratchSize: 0
; MemoryBound: 0
; FloatMode: 240
; IeeeMode: 1
; LDSByteSize: 0 bytes/workgroup (compile time only)
; SGPRBlocks: 0
; VGPRBlocks: 0
; NumSGPRsForWavesPerEU: 6
; NumVGPRsForWavesPerEU: 1
; AccumOffset: 4
; Occupancy: 8
; WaveLimiterHint : 0
; COMPUTE_PGM_RSRC2:SCRATCH_EN: 0
; COMPUTE_PGM_RSRC2:USER_SGPR: 2
; COMPUTE_PGM_RSRC2:TRAP_HANDLER: 0
; COMPUTE_PGM_RSRC2:TGID_X_EN: 1
; COMPUTE_PGM_RSRC2:TGID_Y_EN: 0
; COMPUTE_PGM_RSRC2:TGID_Z_EN: 0
; COMPUTE_PGM_RSRC2:TIDIG_COMP_CNT: 0
; COMPUTE_PGM_RSRC3_GFX90A:ACCUM_OFFSET: 0
; COMPUTE_PGM_RSRC3_GFX90A:TG_SPLIT: 0
	.section	.text._ZN7rocprim17ROCPRIM_400000_NS6detail17trampoline_kernelINS0_14default_configENS1_25partition_config_selectorILNS1_17partition_subalgoE8ElNS0_10empty_typeEbEEZZNS1_14partition_implILS5_8ELb0ES3_jPlPS6_PKS6_NS0_5tupleIJS9_S6_EEENSD_IJSA_SA_EEENS0_18inequality_wrapperIZN2at6native12_GLOBAL__N_124unique_dim_cuda_templateIsEESt5tupleIJNSH_6TensorESM_SM_EERKSM_lbbbEUlllE0_EEPmJS6_EEE10hipError_tPvRmT3_T4_T5_T6_T7_T9_mT8_P12ihipStream_tbDpT10_ENKUlT_T0_E_clISt17integral_constantIbLb1EES1C_EEDaS17_S18_EUlS17_E_NS1_11comp_targetILNS1_3genE3ELNS1_11target_archE908ELNS1_3gpuE7ELNS1_3repE0EEENS1_30default_config_static_selectorELNS0_4arch9wavefront6targetE1EEEvT1_,"axG",@progbits,_ZN7rocprim17ROCPRIM_400000_NS6detail17trampoline_kernelINS0_14default_configENS1_25partition_config_selectorILNS1_17partition_subalgoE8ElNS0_10empty_typeEbEEZZNS1_14partition_implILS5_8ELb0ES3_jPlPS6_PKS6_NS0_5tupleIJS9_S6_EEENSD_IJSA_SA_EEENS0_18inequality_wrapperIZN2at6native12_GLOBAL__N_124unique_dim_cuda_templateIsEESt5tupleIJNSH_6TensorESM_SM_EERKSM_lbbbEUlllE0_EEPmJS6_EEE10hipError_tPvRmT3_T4_T5_T6_T7_T9_mT8_P12ihipStream_tbDpT10_ENKUlT_T0_E_clISt17integral_constantIbLb1EES1C_EEDaS17_S18_EUlS17_E_NS1_11comp_targetILNS1_3genE3ELNS1_11target_archE908ELNS1_3gpuE7ELNS1_3repE0EEENS1_30default_config_static_selectorELNS0_4arch9wavefront6targetE1EEEvT1_,comdat
	.globl	_ZN7rocprim17ROCPRIM_400000_NS6detail17trampoline_kernelINS0_14default_configENS1_25partition_config_selectorILNS1_17partition_subalgoE8ElNS0_10empty_typeEbEEZZNS1_14partition_implILS5_8ELb0ES3_jPlPS6_PKS6_NS0_5tupleIJS9_S6_EEENSD_IJSA_SA_EEENS0_18inequality_wrapperIZN2at6native12_GLOBAL__N_124unique_dim_cuda_templateIsEESt5tupleIJNSH_6TensorESM_SM_EERKSM_lbbbEUlllE0_EEPmJS6_EEE10hipError_tPvRmT3_T4_T5_T6_T7_T9_mT8_P12ihipStream_tbDpT10_ENKUlT_T0_E_clISt17integral_constantIbLb1EES1C_EEDaS17_S18_EUlS17_E_NS1_11comp_targetILNS1_3genE3ELNS1_11target_archE908ELNS1_3gpuE7ELNS1_3repE0EEENS1_30default_config_static_selectorELNS0_4arch9wavefront6targetE1EEEvT1_ ; -- Begin function _ZN7rocprim17ROCPRIM_400000_NS6detail17trampoline_kernelINS0_14default_configENS1_25partition_config_selectorILNS1_17partition_subalgoE8ElNS0_10empty_typeEbEEZZNS1_14partition_implILS5_8ELb0ES3_jPlPS6_PKS6_NS0_5tupleIJS9_S6_EEENSD_IJSA_SA_EEENS0_18inequality_wrapperIZN2at6native12_GLOBAL__N_124unique_dim_cuda_templateIsEESt5tupleIJNSH_6TensorESM_SM_EERKSM_lbbbEUlllE0_EEPmJS6_EEE10hipError_tPvRmT3_T4_T5_T6_T7_T9_mT8_P12ihipStream_tbDpT10_ENKUlT_T0_E_clISt17integral_constantIbLb1EES1C_EEDaS17_S18_EUlS17_E_NS1_11comp_targetILNS1_3genE3ELNS1_11target_archE908ELNS1_3gpuE7ELNS1_3repE0EEENS1_30default_config_static_selectorELNS0_4arch9wavefront6targetE1EEEvT1_
	.p2align	8
	.type	_ZN7rocprim17ROCPRIM_400000_NS6detail17trampoline_kernelINS0_14default_configENS1_25partition_config_selectorILNS1_17partition_subalgoE8ElNS0_10empty_typeEbEEZZNS1_14partition_implILS5_8ELb0ES3_jPlPS6_PKS6_NS0_5tupleIJS9_S6_EEENSD_IJSA_SA_EEENS0_18inequality_wrapperIZN2at6native12_GLOBAL__N_124unique_dim_cuda_templateIsEESt5tupleIJNSH_6TensorESM_SM_EERKSM_lbbbEUlllE0_EEPmJS6_EEE10hipError_tPvRmT3_T4_T5_T6_T7_T9_mT8_P12ihipStream_tbDpT10_ENKUlT_T0_E_clISt17integral_constantIbLb1EES1C_EEDaS17_S18_EUlS17_E_NS1_11comp_targetILNS1_3genE3ELNS1_11target_archE908ELNS1_3gpuE7ELNS1_3repE0EEENS1_30default_config_static_selectorELNS0_4arch9wavefront6targetE1EEEvT1_,@function
_ZN7rocprim17ROCPRIM_400000_NS6detail17trampoline_kernelINS0_14default_configENS1_25partition_config_selectorILNS1_17partition_subalgoE8ElNS0_10empty_typeEbEEZZNS1_14partition_implILS5_8ELb0ES3_jPlPS6_PKS6_NS0_5tupleIJS9_S6_EEENSD_IJSA_SA_EEENS0_18inequality_wrapperIZN2at6native12_GLOBAL__N_124unique_dim_cuda_templateIsEESt5tupleIJNSH_6TensorESM_SM_EERKSM_lbbbEUlllE0_EEPmJS6_EEE10hipError_tPvRmT3_T4_T5_T6_T7_T9_mT8_P12ihipStream_tbDpT10_ENKUlT_T0_E_clISt17integral_constantIbLb1EES1C_EEDaS17_S18_EUlS17_E_NS1_11comp_targetILNS1_3genE3ELNS1_11target_archE908ELNS1_3gpuE7ELNS1_3repE0EEENS1_30default_config_static_selectorELNS0_4arch9wavefront6targetE1EEEvT1_: ; @_ZN7rocprim17ROCPRIM_400000_NS6detail17trampoline_kernelINS0_14default_configENS1_25partition_config_selectorILNS1_17partition_subalgoE8ElNS0_10empty_typeEbEEZZNS1_14partition_implILS5_8ELb0ES3_jPlPS6_PKS6_NS0_5tupleIJS9_S6_EEENSD_IJSA_SA_EEENS0_18inequality_wrapperIZN2at6native12_GLOBAL__N_124unique_dim_cuda_templateIsEESt5tupleIJNSH_6TensorESM_SM_EERKSM_lbbbEUlllE0_EEPmJS6_EEE10hipError_tPvRmT3_T4_T5_T6_T7_T9_mT8_P12ihipStream_tbDpT10_ENKUlT_T0_E_clISt17integral_constantIbLb1EES1C_EEDaS17_S18_EUlS17_E_NS1_11comp_targetILNS1_3genE3ELNS1_11target_archE908ELNS1_3gpuE7ELNS1_3repE0EEENS1_30default_config_static_selectorELNS0_4arch9wavefront6targetE1EEEvT1_
; %bb.0:
	.section	.rodata,"a",@progbits
	.p2align	6, 0x0
	.amdhsa_kernel _ZN7rocprim17ROCPRIM_400000_NS6detail17trampoline_kernelINS0_14default_configENS1_25partition_config_selectorILNS1_17partition_subalgoE8ElNS0_10empty_typeEbEEZZNS1_14partition_implILS5_8ELb0ES3_jPlPS6_PKS6_NS0_5tupleIJS9_S6_EEENSD_IJSA_SA_EEENS0_18inequality_wrapperIZN2at6native12_GLOBAL__N_124unique_dim_cuda_templateIsEESt5tupleIJNSH_6TensorESM_SM_EERKSM_lbbbEUlllE0_EEPmJS6_EEE10hipError_tPvRmT3_T4_T5_T6_T7_T9_mT8_P12ihipStream_tbDpT10_ENKUlT_T0_E_clISt17integral_constantIbLb1EES1C_EEDaS17_S18_EUlS17_E_NS1_11comp_targetILNS1_3genE3ELNS1_11target_archE908ELNS1_3gpuE7ELNS1_3repE0EEENS1_30default_config_static_selectorELNS0_4arch9wavefront6targetE1EEEvT1_
		.amdhsa_group_segment_fixed_size 0
		.amdhsa_private_segment_fixed_size 0
		.amdhsa_kernarg_size 136
		.amdhsa_user_sgpr_count 2
		.amdhsa_user_sgpr_dispatch_ptr 0
		.amdhsa_user_sgpr_queue_ptr 0
		.amdhsa_user_sgpr_kernarg_segment_ptr 1
		.amdhsa_user_sgpr_dispatch_id 0
		.amdhsa_user_sgpr_kernarg_preload_length 0
		.amdhsa_user_sgpr_kernarg_preload_offset 0
		.amdhsa_user_sgpr_private_segment_size 0
		.amdhsa_uses_dynamic_stack 0
		.amdhsa_enable_private_segment 0
		.amdhsa_system_sgpr_workgroup_id_x 1
		.amdhsa_system_sgpr_workgroup_id_y 0
		.amdhsa_system_sgpr_workgroup_id_z 0
		.amdhsa_system_sgpr_workgroup_info 0
		.amdhsa_system_vgpr_workitem_id 0
		.amdhsa_next_free_vgpr 1
		.amdhsa_next_free_sgpr 0
		.amdhsa_accum_offset 4
		.amdhsa_reserve_vcc 0
		.amdhsa_float_round_mode_32 0
		.amdhsa_float_round_mode_16_64 0
		.amdhsa_float_denorm_mode_32 3
		.amdhsa_float_denorm_mode_16_64 3
		.amdhsa_dx10_clamp 1
		.amdhsa_ieee_mode 1
		.amdhsa_fp16_overflow 0
		.amdhsa_tg_split 0
		.amdhsa_exception_fp_ieee_invalid_op 0
		.amdhsa_exception_fp_denorm_src 0
		.amdhsa_exception_fp_ieee_div_zero 0
		.amdhsa_exception_fp_ieee_overflow 0
		.amdhsa_exception_fp_ieee_underflow 0
		.amdhsa_exception_fp_ieee_inexact 0
		.amdhsa_exception_int_div_zero 0
	.end_amdhsa_kernel
	.section	.text._ZN7rocprim17ROCPRIM_400000_NS6detail17trampoline_kernelINS0_14default_configENS1_25partition_config_selectorILNS1_17partition_subalgoE8ElNS0_10empty_typeEbEEZZNS1_14partition_implILS5_8ELb0ES3_jPlPS6_PKS6_NS0_5tupleIJS9_S6_EEENSD_IJSA_SA_EEENS0_18inequality_wrapperIZN2at6native12_GLOBAL__N_124unique_dim_cuda_templateIsEESt5tupleIJNSH_6TensorESM_SM_EERKSM_lbbbEUlllE0_EEPmJS6_EEE10hipError_tPvRmT3_T4_T5_T6_T7_T9_mT8_P12ihipStream_tbDpT10_ENKUlT_T0_E_clISt17integral_constantIbLb1EES1C_EEDaS17_S18_EUlS17_E_NS1_11comp_targetILNS1_3genE3ELNS1_11target_archE908ELNS1_3gpuE7ELNS1_3repE0EEENS1_30default_config_static_selectorELNS0_4arch9wavefront6targetE1EEEvT1_,"axG",@progbits,_ZN7rocprim17ROCPRIM_400000_NS6detail17trampoline_kernelINS0_14default_configENS1_25partition_config_selectorILNS1_17partition_subalgoE8ElNS0_10empty_typeEbEEZZNS1_14partition_implILS5_8ELb0ES3_jPlPS6_PKS6_NS0_5tupleIJS9_S6_EEENSD_IJSA_SA_EEENS0_18inequality_wrapperIZN2at6native12_GLOBAL__N_124unique_dim_cuda_templateIsEESt5tupleIJNSH_6TensorESM_SM_EERKSM_lbbbEUlllE0_EEPmJS6_EEE10hipError_tPvRmT3_T4_T5_T6_T7_T9_mT8_P12ihipStream_tbDpT10_ENKUlT_T0_E_clISt17integral_constantIbLb1EES1C_EEDaS17_S18_EUlS17_E_NS1_11comp_targetILNS1_3genE3ELNS1_11target_archE908ELNS1_3gpuE7ELNS1_3repE0EEENS1_30default_config_static_selectorELNS0_4arch9wavefront6targetE1EEEvT1_,comdat
.Lfunc_end696:
	.size	_ZN7rocprim17ROCPRIM_400000_NS6detail17trampoline_kernelINS0_14default_configENS1_25partition_config_selectorILNS1_17partition_subalgoE8ElNS0_10empty_typeEbEEZZNS1_14partition_implILS5_8ELb0ES3_jPlPS6_PKS6_NS0_5tupleIJS9_S6_EEENSD_IJSA_SA_EEENS0_18inequality_wrapperIZN2at6native12_GLOBAL__N_124unique_dim_cuda_templateIsEESt5tupleIJNSH_6TensorESM_SM_EERKSM_lbbbEUlllE0_EEPmJS6_EEE10hipError_tPvRmT3_T4_T5_T6_T7_T9_mT8_P12ihipStream_tbDpT10_ENKUlT_T0_E_clISt17integral_constantIbLb1EES1C_EEDaS17_S18_EUlS17_E_NS1_11comp_targetILNS1_3genE3ELNS1_11target_archE908ELNS1_3gpuE7ELNS1_3repE0EEENS1_30default_config_static_selectorELNS0_4arch9wavefront6targetE1EEEvT1_, .Lfunc_end696-_ZN7rocprim17ROCPRIM_400000_NS6detail17trampoline_kernelINS0_14default_configENS1_25partition_config_selectorILNS1_17partition_subalgoE8ElNS0_10empty_typeEbEEZZNS1_14partition_implILS5_8ELb0ES3_jPlPS6_PKS6_NS0_5tupleIJS9_S6_EEENSD_IJSA_SA_EEENS0_18inequality_wrapperIZN2at6native12_GLOBAL__N_124unique_dim_cuda_templateIsEESt5tupleIJNSH_6TensorESM_SM_EERKSM_lbbbEUlllE0_EEPmJS6_EEE10hipError_tPvRmT3_T4_T5_T6_T7_T9_mT8_P12ihipStream_tbDpT10_ENKUlT_T0_E_clISt17integral_constantIbLb1EES1C_EEDaS17_S18_EUlS17_E_NS1_11comp_targetILNS1_3genE3ELNS1_11target_archE908ELNS1_3gpuE7ELNS1_3repE0EEENS1_30default_config_static_selectorELNS0_4arch9wavefront6targetE1EEEvT1_
                                        ; -- End function
	.set _ZN7rocprim17ROCPRIM_400000_NS6detail17trampoline_kernelINS0_14default_configENS1_25partition_config_selectorILNS1_17partition_subalgoE8ElNS0_10empty_typeEbEEZZNS1_14partition_implILS5_8ELb0ES3_jPlPS6_PKS6_NS0_5tupleIJS9_S6_EEENSD_IJSA_SA_EEENS0_18inequality_wrapperIZN2at6native12_GLOBAL__N_124unique_dim_cuda_templateIsEESt5tupleIJNSH_6TensorESM_SM_EERKSM_lbbbEUlllE0_EEPmJS6_EEE10hipError_tPvRmT3_T4_T5_T6_T7_T9_mT8_P12ihipStream_tbDpT10_ENKUlT_T0_E_clISt17integral_constantIbLb1EES1C_EEDaS17_S18_EUlS17_E_NS1_11comp_targetILNS1_3genE3ELNS1_11target_archE908ELNS1_3gpuE7ELNS1_3repE0EEENS1_30default_config_static_selectorELNS0_4arch9wavefront6targetE1EEEvT1_.num_vgpr, 0
	.set _ZN7rocprim17ROCPRIM_400000_NS6detail17trampoline_kernelINS0_14default_configENS1_25partition_config_selectorILNS1_17partition_subalgoE8ElNS0_10empty_typeEbEEZZNS1_14partition_implILS5_8ELb0ES3_jPlPS6_PKS6_NS0_5tupleIJS9_S6_EEENSD_IJSA_SA_EEENS0_18inequality_wrapperIZN2at6native12_GLOBAL__N_124unique_dim_cuda_templateIsEESt5tupleIJNSH_6TensorESM_SM_EERKSM_lbbbEUlllE0_EEPmJS6_EEE10hipError_tPvRmT3_T4_T5_T6_T7_T9_mT8_P12ihipStream_tbDpT10_ENKUlT_T0_E_clISt17integral_constantIbLb1EES1C_EEDaS17_S18_EUlS17_E_NS1_11comp_targetILNS1_3genE3ELNS1_11target_archE908ELNS1_3gpuE7ELNS1_3repE0EEENS1_30default_config_static_selectorELNS0_4arch9wavefront6targetE1EEEvT1_.num_agpr, 0
	.set _ZN7rocprim17ROCPRIM_400000_NS6detail17trampoline_kernelINS0_14default_configENS1_25partition_config_selectorILNS1_17partition_subalgoE8ElNS0_10empty_typeEbEEZZNS1_14partition_implILS5_8ELb0ES3_jPlPS6_PKS6_NS0_5tupleIJS9_S6_EEENSD_IJSA_SA_EEENS0_18inequality_wrapperIZN2at6native12_GLOBAL__N_124unique_dim_cuda_templateIsEESt5tupleIJNSH_6TensorESM_SM_EERKSM_lbbbEUlllE0_EEPmJS6_EEE10hipError_tPvRmT3_T4_T5_T6_T7_T9_mT8_P12ihipStream_tbDpT10_ENKUlT_T0_E_clISt17integral_constantIbLb1EES1C_EEDaS17_S18_EUlS17_E_NS1_11comp_targetILNS1_3genE3ELNS1_11target_archE908ELNS1_3gpuE7ELNS1_3repE0EEENS1_30default_config_static_selectorELNS0_4arch9wavefront6targetE1EEEvT1_.numbered_sgpr, 0
	.set _ZN7rocprim17ROCPRIM_400000_NS6detail17trampoline_kernelINS0_14default_configENS1_25partition_config_selectorILNS1_17partition_subalgoE8ElNS0_10empty_typeEbEEZZNS1_14partition_implILS5_8ELb0ES3_jPlPS6_PKS6_NS0_5tupleIJS9_S6_EEENSD_IJSA_SA_EEENS0_18inequality_wrapperIZN2at6native12_GLOBAL__N_124unique_dim_cuda_templateIsEESt5tupleIJNSH_6TensorESM_SM_EERKSM_lbbbEUlllE0_EEPmJS6_EEE10hipError_tPvRmT3_T4_T5_T6_T7_T9_mT8_P12ihipStream_tbDpT10_ENKUlT_T0_E_clISt17integral_constantIbLb1EES1C_EEDaS17_S18_EUlS17_E_NS1_11comp_targetILNS1_3genE3ELNS1_11target_archE908ELNS1_3gpuE7ELNS1_3repE0EEENS1_30default_config_static_selectorELNS0_4arch9wavefront6targetE1EEEvT1_.num_named_barrier, 0
	.set _ZN7rocprim17ROCPRIM_400000_NS6detail17trampoline_kernelINS0_14default_configENS1_25partition_config_selectorILNS1_17partition_subalgoE8ElNS0_10empty_typeEbEEZZNS1_14partition_implILS5_8ELb0ES3_jPlPS6_PKS6_NS0_5tupleIJS9_S6_EEENSD_IJSA_SA_EEENS0_18inequality_wrapperIZN2at6native12_GLOBAL__N_124unique_dim_cuda_templateIsEESt5tupleIJNSH_6TensorESM_SM_EERKSM_lbbbEUlllE0_EEPmJS6_EEE10hipError_tPvRmT3_T4_T5_T6_T7_T9_mT8_P12ihipStream_tbDpT10_ENKUlT_T0_E_clISt17integral_constantIbLb1EES1C_EEDaS17_S18_EUlS17_E_NS1_11comp_targetILNS1_3genE3ELNS1_11target_archE908ELNS1_3gpuE7ELNS1_3repE0EEENS1_30default_config_static_selectorELNS0_4arch9wavefront6targetE1EEEvT1_.private_seg_size, 0
	.set _ZN7rocprim17ROCPRIM_400000_NS6detail17trampoline_kernelINS0_14default_configENS1_25partition_config_selectorILNS1_17partition_subalgoE8ElNS0_10empty_typeEbEEZZNS1_14partition_implILS5_8ELb0ES3_jPlPS6_PKS6_NS0_5tupleIJS9_S6_EEENSD_IJSA_SA_EEENS0_18inequality_wrapperIZN2at6native12_GLOBAL__N_124unique_dim_cuda_templateIsEESt5tupleIJNSH_6TensorESM_SM_EERKSM_lbbbEUlllE0_EEPmJS6_EEE10hipError_tPvRmT3_T4_T5_T6_T7_T9_mT8_P12ihipStream_tbDpT10_ENKUlT_T0_E_clISt17integral_constantIbLb1EES1C_EEDaS17_S18_EUlS17_E_NS1_11comp_targetILNS1_3genE3ELNS1_11target_archE908ELNS1_3gpuE7ELNS1_3repE0EEENS1_30default_config_static_selectorELNS0_4arch9wavefront6targetE1EEEvT1_.uses_vcc, 0
	.set _ZN7rocprim17ROCPRIM_400000_NS6detail17trampoline_kernelINS0_14default_configENS1_25partition_config_selectorILNS1_17partition_subalgoE8ElNS0_10empty_typeEbEEZZNS1_14partition_implILS5_8ELb0ES3_jPlPS6_PKS6_NS0_5tupleIJS9_S6_EEENSD_IJSA_SA_EEENS0_18inequality_wrapperIZN2at6native12_GLOBAL__N_124unique_dim_cuda_templateIsEESt5tupleIJNSH_6TensorESM_SM_EERKSM_lbbbEUlllE0_EEPmJS6_EEE10hipError_tPvRmT3_T4_T5_T6_T7_T9_mT8_P12ihipStream_tbDpT10_ENKUlT_T0_E_clISt17integral_constantIbLb1EES1C_EEDaS17_S18_EUlS17_E_NS1_11comp_targetILNS1_3genE3ELNS1_11target_archE908ELNS1_3gpuE7ELNS1_3repE0EEENS1_30default_config_static_selectorELNS0_4arch9wavefront6targetE1EEEvT1_.uses_flat_scratch, 0
	.set _ZN7rocprim17ROCPRIM_400000_NS6detail17trampoline_kernelINS0_14default_configENS1_25partition_config_selectorILNS1_17partition_subalgoE8ElNS0_10empty_typeEbEEZZNS1_14partition_implILS5_8ELb0ES3_jPlPS6_PKS6_NS0_5tupleIJS9_S6_EEENSD_IJSA_SA_EEENS0_18inequality_wrapperIZN2at6native12_GLOBAL__N_124unique_dim_cuda_templateIsEESt5tupleIJNSH_6TensorESM_SM_EERKSM_lbbbEUlllE0_EEPmJS6_EEE10hipError_tPvRmT3_T4_T5_T6_T7_T9_mT8_P12ihipStream_tbDpT10_ENKUlT_T0_E_clISt17integral_constantIbLb1EES1C_EEDaS17_S18_EUlS17_E_NS1_11comp_targetILNS1_3genE3ELNS1_11target_archE908ELNS1_3gpuE7ELNS1_3repE0EEENS1_30default_config_static_selectorELNS0_4arch9wavefront6targetE1EEEvT1_.has_dyn_sized_stack, 0
	.set _ZN7rocprim17ROCPRIM_400000_NS6detail17trampoline_kernelINS0_14default_configENS1_25partition_config_selectorILNS1_17partition_subalgoE8ElNS0_10empty_typeEbEEZZNS1_14partition_implILS5_8ELb0ES3_jPlPS6_PKS6_NS0_5tupleIJS9_S6_EEENSD_IJSA_SA_EEENS0_18inequality_wrapperIZN2at6native12_GLOBAL__N_124unique_dim_cuda_templateIsEESt5tupleIJNSH_6TensorESM_SM_EERKSM_lbbbEUlllE0_EEPmJS6_EEE10hipError_tPvRmT3_T4_T5_T6_T7_T9_mT8_P12ihipStream_tbDpT10_ENKUlT_T0_E_clISt17integral_constantIbLb1EES1C_EEDaS17_S18_EUlS17_E_NS1_11comp_targetILNS1_3genE3ELNS1_11target_archE908ELNS1_3gpuE7ELNS1_3repE0EEENS1_30default_config_static_selectorELNS0_4arch9wavefront6targetE1EEEvT1_.has_recursion, 0
	.set _ZN7rocprim17ROCPRIM_400000_NS6detail17trampoline_kernelINS0_14default_configENS1_25partition_config_selectorILNS1_17partition_subalgoE8ElNS0_10empty_typeEbEEZZNS1_14partition_implILS5_8ELb0ES3_jPlPS6_PKS6_NS0_5tupleIJS9_S6_EEENSD_IJSA_SA_EEENS0_18inequality_wrapperIZN2at6native12_GLOBAL__N_124unique_dim_cuda_templateIsEESt5tupleIJNSH_6TensorESM_SM_EERKSM_lbbbEUlllE0_EEPmJS6_EEE10hipError_tPvRmT3_T4_T5_T6_T7_T9_mT8_P12ihipStream_tbDpT10_ENKUlT_T0_E_clISt17integral_constantIbLb1EES1C_EEDaS17_S18_EUlS17_E_NS1_11comp_targetILNS1_3genE3ELNS1_11target_archE908ELNS1_3gpuE7ELNS1_3repE0EEENS1_30default_config_static_selectorELNS0_4arch9wavefront6targetE1EEEvT1_.has_indirect_call, 0
	.section	.AMDGPU.csdata,"",@progbits
; Kernel info:
; codeLenInByte = 0
; TotalNumSgprs: 6
; NumVgprs: 0
; NumAgprs: 0
; TotalNumVgprs: 0
; ScratchSize: 0
; MemoryBound: 0
; FloatMode: 240
; IeeeMode: 1
; LDSByteSize: 0 bytes/workgroup (compile time only)
; SGPRBlocks: 0
; VGPRBlocks: 0
; NumSGPRsForWavesPerEU: 6
; NumVGPRsForWavesPerEU: 1
; AccumOffset: 4
; Occupancy: 8
; WaveLimiterHint : 0
; COMPUTE_PGM_RSRC2:SCRATCH_EN: 0
; COMPUTE_PGM_RSRC2:USER_SGPR: 2
; COMPUTE_PGM_RSRC2:TRAP_HANDLER: 0
; COMPUTE_PGM_RSRC2:TGID_X_EN: 1
; COMPUTE_PGM_RSRC2:TGID_Y_EN: 0
; COMPUTE_PGM_RSRC2:TGID_Z_EN: 0
; COMPUTE_PGM_RSRC2:TIDIG_COMP_CNT: 0
; COMPUTE_PGM_RSRC3_GFX90A:ACCUM_OFFSET: 0
; COMPUTE_PGM_RSRC3_GFX90A:TG_SPLIT: 0
	.section	.text._ZN7rocprim17ROCPRIM_400000_NS6detail17trampoline_kernelINS0_14default_configENS1_25partition_config_selectorILNS1_17partition_subalgoE8ElNS0_10empty_typeEbEEZZNS1_14partition_implILS5_8ELb0ES3_jPlPS6_PKS6_NS0_5tupleIJS9_S6_EEENSD_IJSA_SA_EEENS0_18inequality_wrapperIZN2at6native12_GLOBAL__N_124unique_dim_cuda_templateIsEESt5tupleIJNSH_6TensorESM_SM_EERKSM_lbbbEUlllE0_EEPmJS6_EEE10hipError_tPvRmT3_T4_T5_T6_T7_T9_mT8_P12ihipStream_tbDpT10_ENKUlT_T0_E_clISt17integral_constantIbLb1EES1C_EEDaS17_S18_EUlS17_E_NS1_11comp_targetILNS1_3genE2ELNS1_11target_archE906ELNS1_3gpuE6ELNS1_3repE0EEENS1_30default_config_static_selectorELNS0_4arch9wavefront6targetE1EEEvT1_,"axG",@progbits,_ZN7rocprim17ROCPRIM_400000_NS6detail17trampoline_kernelINS0_14default_configENS1_25partition_config_selectorILNS1_17partition_subalgoE8ElNS0_10empty_typeEbEEZZNS1_14partition_implILS5_8ELb0ES3_jPlPS6_PKS6_NS0_5tupleIJS9_S6_EEENSD_IJSA_SA_EEENS0_18inequality_wrapperIZN2at6native12_GLOBAL__N_124unique_dim_cuda_templateIsEESt5tupleIJNSH_6TensorESM_SM_EERKSM_lbbbEUlllE0_EEPmJS6_EEE10hipError_tPvRmT3_T4_T5_T6_T7_T9_mT8_P12ihipStream_tbDpT10_ENKUlT_T0_E_clISt17integral_constantIbLb1EES1C_EEDaS17_S18_EUlS17_E_NS1_11comp_targetILNS1_3genE2ELNS1_11target_archE906ELNS1_3gpuE6ELNS1_3repE0EEENS1_30default_config_static_selectorELNS0_4arch9wavefront6targetE1EEEvT1_,comdat
	.globl	_ZN7rocprim17ROCPRIM_400000_NS6detail17trampoline_kernelINS0_14default_configENS1_25partition_config_selectorILNS1_17partition_subalgoE8ElNS0_10empty_typeEbEEZZNS1_14partition_implILS5_8ELb0ES3_jPlPS6_PKS6_NS0_5tupleIJS9_S6_EEENSD_IJSA_SA_EEENS0_18inequality_wrapperIZN2at6native12_GLOBAL__N_124unique_dim_cuda_templateIsEESt5tupleIJNSH_6TensorESM_SM_EERKSM_lbbbEUlllE0_EEPmJS6_EEE10hipError_tPvRmT3_T4_T5_T6_T7_T9_mT8_P12ihipStream_tbDpT10_ENKUlT_T0_E_clISt17integral_constantIbLb1EES1C_EEDaS17_S18_EUlS17_E_NS1_11comp_targetILNS1_3genE2ELNS1_11target_archE906ELNS1_3gpuE6ELNS1_3repE0EEENS1_30default_config_static_selectorELNS0_4arch9wavefront6targetE1EEEvT1_ ; -- Begin function _ZN7rocprim17ROCPRIM_400000_NS6detail17trampoline_kernelINS0_14default_configENS1_25partition_config_selectorILNS1_17partition_subalgoE8ElNS0_10empty_typeEbEEZZNS1_14partition_implILS5_8ELb0ES3_jPlPS6_PKS6_NS0_5tupleIJS9_S6_EEENSD_IJSA_SA_EEENS0_18inequality_wrapperIZN2at6native12_GLOBAL__N_124unique_dim_cuda_templateIsEESt5tupleIJNSH_6TensorESM_SM_EERKSM_lbbbEUlllE0_EEPmJS6_EEE10hipError_tPvRmT3_T4_T5_T6_T7_T9_mT8_P12ihipStream_tbDpT10_ENKUlT_T0_E_clISt17integral_constantIbLb1EES1C_EEDaS17_S18_EUlS17_E_NS1_11comp_targetILNS1_3genE2ELNS1_11target_archE906ELNS1_3gpuE6ELNS1_3repE0EEENS1_30default_config_static_selectorELNS0_4arch9wavefront6targetE1EEEvT1_
	.p2align	8
	.type	_ZN7rocprim17ROCPRIM_400000_NS6detail17trampoline_kernelINS0_14default_configENS1_25partition_config_selectorILNS1_17partition_subalgoE8ElNS0_10empty_typeEbEEZZNS1_14partition_implILS5_8ELb0ES3_jPlPS6_PKS6_NS0_5tupleIJS9_S6_EEENSD_IJSA_SA_EEENS0_18inequality_wrapperIZN2at6native12_GLOBAL__N_124unique_dim_cuda_templateIsEESt5tupleIJNSH_6TensorESM_SM_EERKSM_lbbbEUlllE0_EEPmJS6_EEE10hipError_tPvRmT3_T4_T5_T6_T7_T9_mT8_P12ihipStream_tbDpT10_ENKUlT_T0_E_clISt17integral_constantIbLb1EES1C_EEDaS17_S18_EUlS17_E_NS1_11comp_targetILNS1_3genE2ELNS1_11target_archE906ELNS1_3gpuE6ELNS1_3repE0EEENS1_30default_config_static_selectorELNS0_4arch9wavefront6targetE1EEEvT1_,@function
_ZN7rocprim17ROCPRIM_400000_NS6detail17trampoline_kernelINS0_14default_configENS1_25partition_config_selectorILNS1_17partition_subalgoE8ElNS0_10empty_typeEbEEZZNS1_14partition_implILS5_8ELb0ES3_jPlPS6_PKS6_NS0_5tupleIJS9_S6_EEENSD_IJSA_SA_EEENS0_18inequality_wrapperIZN2at6native12_GLOBAL__N_124unique_dim_cuda_templateIsEESt5tupleIJNSH_6TensorESM_SM_EERKSM_lbbbEUlllE0_EEPmJS6_EEE10hipError_tPvRmT3_T4_T5_T6_T7_T9_mT8_P12ihipStream_tbDpT10_ENKUlT_T0_E_clISt17integral_constantIbLb1EES1C_EEDaS17_S18_EUlS17_E_NS1_11comp_targetILNS1_3genE2ELNS1_11target_archE906ELNS1_3gpuE6ELNS1_3repE0EEENS1_30default_config_static_selectorELNS0_4arch9wavefront6targetE1EEEvT1_: ; @_ZN7rocprim17ROCPRIM_400000_NS6detail17trampoline_kernelINS0_14default_configENS1_25partition_config_selectorILNS1_17partition_subalgoE8ElNS0_10empty_typeEbEEZZNS1_14partition_implILS5_8ELb0ES3_jPlPS6_PKS6_NS0_5tupleIJS9_S6_EEENSD_IJSA_SA_EEENS0_18inequality_wrapperIZN2at6native12_GLOBAL__N_124unique_dim_cuda_templateIsEESt5tupleIJNSH_6TensorESM_SM_EERKSM_lbbbEUlllE0_EEPmJS6_EEE10hipError_tPvRmT3_T4_T5_T6_T7_T9_mT8_P12ihipStream_tbDpT10_ENKUlT_T0_E_clISt17integral_constantIbLb1EES1C_EEDaS17_S18_EUlS17_E_NS1_11comp_targetILNS1_3genE2ELNS1_11target_archE906ELNS1_3gpuE6ELNS1_3repE0EEENS1_30default_config_static_selectorELNS0_4arch9wavefront6targetE1EEEvT1_
; %bb.0:
	.section	.rodata,"a",@progbits
	.p2align	6, 0x0
	.amdhsa_kernel _ZN7rocprim17ROCPRIM_400000_NS6detail17trampoline_kernelINS0_14default_configENS1_25partition_config_selectorILNS1_17partition_subalgoE8ElNS0_10empty_typeEbEEZZNS1_14partition_implILS5_8ELb0ES3_jPlPS6_PKS6_NS0_5tupleIJS9_S6_EEENSD_IJSA_SA_EEENS0_18inequality_wrapperIZN2at6native12_GLOBAL__N_124unique_dim_cuda_templateIsEESt5tupleIJNSH_6TensorESM_SM_EERKSM_lbbbEUlllE0_EEPmJS6_EEE10hipError_tPvRmT3_T4_T5_T6_T7_T9_mT8_P12ihipStream_tbDpT10_ENKUlT_T0_E_clISt17integral_constantIbLb1EES1C_EEDaS17_S18_EUlS17_E_NS1_11comp_targetILNS1_3genE2ELNS1_11target_archE906ELNS1_3gpuE6ELNS1_3repE0EEENS1_30default_config_static_selectorELNS0_4arch9wavefront6targetE1EEEvT1_
		.amdhsa_group_segment_fixed_size 0
		.amdhsa_private_segment_fixed_size 0
		.amdhsa_kernarg_size 136
		.amdhsa_user_sgpr_count 2
		.amdhsa_user_sgpr_dispatch_ptr 0
		.amdhsa_user_sgpr_queue_ptr 0
		.amdhsa_user_sgpr_kernarg_segment_ptr 1
		.amdhsa_user_sgpr_dispatch_id 0
		.amdhsa_user_sgpr_kernarg_preload_length 0
		.amdhsa_user_sgpr_kernarg_preload_offset 0
		.amdhsa_user_sgpr_private_segment_size 0
		.amdhsa_uses_dynamic_stack 0
		.amdhsa_enable_private_segment 0
		.amdhsa_system_sgpr_workgroup_id_x 1
		.amdhsa_system_sgpr_workgroup_id_y 0
		.amdhsa_system_sgpr_workgroup_id_z 0
		.amdhsa_system_sgpr_workgroup_info 0
		.amdhsa_system_vgpr_workitem_id 0
		.amdhsa_next_free_vgpr 1
		.amdhsa_next_free_sgpr 0
		.amdhsa_accum_offset 4
		.amdhsa_reserve_vcc 0
		.amdhsa_float_round_mode_32 0
		.amdhsa_float_round_mode_16_64 0
		.amdhsa_float_denorm_mode_32 3
		.amdhsa_float_denorm_mode_16_64 3
		.amdhsa_dx10_clamp 1
		.amdhsa_ieee_mode 1
		.amdhsa_fp16_overflow 0
		.amdhsa_tg_split 0
		.amdhsa_exception_fp_ieee_invalid_op 0
		.amdhsa_exception_fp_denorm_src 0
		.amdhsa_exception_fp_ieee_div_zero 0
		.amdhsa_exception_fp_ieee_overflow 0
		.amdhsa_exception_fp_ieee_underflow 0
		.amdhsa_exception_fp_ieee_inexact 0
		.amdhsa_exception_int_div_zero 0
	.end_amdhsa_kernel
	.section	.text._ZN7rocprim17ROCPRIM_400000_NS6detail17trampoline_kernelINS0_14default_configENS1_25partition_config_selectorILNS1_17partition_subalgoE8ElNS0_10empty_typeEbEEZZNS1_14partition_implILS5_8ELb0ES3_jPlPS6_PKS6_NS0_5tupleIJS9_S6_EEENSD_IJSA_SA_EEENS0_18inequality_wrapperIZN2at6native12_GLOBAL__N_124unique_dim_cuda_templateIsEESt5tupleIJNSH_6TensorESM_SM_EERKSM_lbbbEUlllE0_EEPmJS6_EEE10hipError_tPvRmT3_T4_T5_T6_T7_T9_mT8_P12ihipStream_tbDpT10_ENKUlT_T0_E_clISt17integral_constantIbLb1EES1C_EEDaS17_S18_EUlS17_E_NS1_11comp_targetILNS1_3genE2ELNS1_11target_archE906ELNS1_3gpuE6ELNS1_3repE0EEENS1_30default_config_static_selectorELNS0_4arch9wavefront6targetE1EEEvT1_,"axG",@progbits,_ZN7rocprim17ROCPRIM_400000_NS6detail17trampoline_kernelINS0_14default_configENS1_25partition_config_selectorILNS1_17partition_subalgoE8ElNS0_10empty_typeEbEEZZNS1_14partition_implILS5_8ELb0ES3_jPlPS6_PKS6_NS0_5tupleIJS9_S6_EEENSD_IJSA_SA_EEENS0_18inequality_wrapperIZN2at6native12_GLOBAL__N_124unique_dim_cuda_templateIsEESt5tupleIJNSH_6TensorESM_SM_EERKSM_lbbbEUlllE0_EEPmJS6_EEE10hipError_tPvRmT3_T4_T5_T6_T7_T9_mT8_P12ihipStream_tbDpT10_ENKUlT_T0_E_clISt17integral_constantIbLb1EES1C_EEDaS17_S18_EUlS17_E_NS1_11comp_targetILNS1_3genE2ELNS1_11target_archE906ELNS1_3gpuE6ELNS1_3repE0EEENS1_30default_config_static_selectorELNS0_4arch9wavefront6targetE1EEEvT1_,comdat
.Lfunc_end697:
	.size	_ZN7rocprim17ROCPRIM_400000_NS6detail17trampoline_kernelINS0_14default_configENS1_25partition_config_selectorILNS1_17partition_subalgoE8ElNS0_10empty_typeEbEEZZNS1_14partition_implILS5_8ELb0ES3_jPlPS6_PKS6_NS0_5tupleIJS9_S6_EEENSD_IJSA_SA_EEENS0_18inequality_wrapperIZN2at6native12_GLOBAL__N_124unique_dim_cuda_templateIsEESt5tupleIJNSH_6TensorESM_SM_EERKSM_lbbbEUlllE0_EEPmJS6_EEE10hipError_tPvRmT3_T4_T5_T6_T7_T9_mT8_P12ihipStream_tbDpT10_ENKUlT_T0_E_clISt17integral_constantIbLb1EES1C_EEDaS17_S18_EUlS17_E_NS1_11comp_targetILNS1_3genE2ELNS1_11target_archE906ELNS1_3gpuE6ELNS1_3repE0EEENS1_30default_config_static_selectorELNS0_4arch9wavefront6targetE1EEEvT1_, .Lfunc_end697-_ZN7rocprim17ROCPRIM_400000_NS6detail17trampoline_kernelINS0_14default_configENS1_25partition_config_selectorILNS1_17partition_subalgoE8ElNS0_10empty_typeEbEEZZNS1_14partition_implILS5_8ELb0ES3_jPlPS6_PKS6_NS0_5tupleIJS9_S6_EEENSD_IJSA_SA_EEENS0_18inequality_wrapperIZN2at6native12_GLOBAL__N_124unique_dim_cuda_templateIsEESt5tupleIJNSH_6TensorESM_SM_EERKSM_lbbbEUlllE0_EEPmJS6_EEE10hipError_tPvRmT3_T4_T5_T6_T7_T9_mT8_P12ihipStream_tbDpT10_ENKUlT_T0_E_clISt17integral_constantIbLb1EES1C_EEDaS17_S18_EUlS17_E_NS1_11comp_targetILNS1_3genE2ELNS1_11target_archE906ELNS1_3gpuE6ELNS1_3repE0EEENS1_30default_config_static_selectorELNS0_4arch9wavefront6targetE1EEEvT1_
                                        ; -- End function
	.set _ZN7rocprim17ROCPRIM_400000_NS6detail17trampoline_kernelINS0_14default_configENS1_25partition_config_selectorILNS1_17partition_subalgoE8ElNS0_10empty_typeEbEEZZNS1_14partition_implILS5_8ELb0ES3_jPlPS6_PKS6_NS0_5tupleIJS9_S6_EEENSD_IJSA_SA_EEENS0_18inequality_wrapperIZN2at6native12_GLOBAL__N_124unique_dim_cuda_templateIsEESt5tupleIJNSH_6TensorESM_SM_EERKSM_lbbbEUlllE0_EEPmJS6_EEE10hipError_tPvRmT3_T4_T5_T6_T7_T9_mT8_P12ihipStream_tbDpT10_ENKUlT_T0_E_clISt17integral_constantIbLb1EES1C_EEDaS17_S18_EUlS17_E_NS1_11comp_targetILNS1_3genE2ELNS1_11target_archE906ELNS1_3gpuE6ELNS1_3repE0EEENS1_30default_config_static_selectorELNS0_4arch9wavefront6targetE1EEEvT1_.num_vgpr, 0
	.set _ZN7rocprim17ROCPRIM_400000_NS6detail17trampoline_kernelINS0_14default_configENS1_25partition_config_selectorILNS1_17partition_subalgoE8ElNS0_10empty_typeEbEEZZNS1_14partition_implILS5_8ELb0ES3_jPlPS6_PKS6_NS0_5tupleIJS9_S6_EEENSD_IJSA_SA_EEENS0_18inequality_wrapperIZN2at6native12_GLOBAL__N_124unique_dim_cuda_templateIsEESt5tupleIJNSH_6TensorESM_SM_EERKSM_lbbbEUlllE0_EEPmJS6_EEE10hipError_tPvRmT3_T4_T5_T6_T7_T9_mT8_P12ihipStream_tbDpT10_ENKUlT_T0_E_clISt17integral_constantIbLb1EES1C_EEDaS17_S18_EUlS17_E_NS1_11comp_targetILNS1_3genE2ELNS1_11target_archE906ELNS1_3gpuE6ELNS1_3repE0EEENS1_30default_config_static_selectorELNS0_4arch9wavefront6targetE1EEEvT1_.num_agpr, 0
	.set _ZN7rocprim17ROCPRIM_400000_NS6detail17trampoline_kernelINS0_14default_configENS1_25partition_config_selectorILNS1_17partition_subalgoE8ElNS0_10empty_typeEbEEZZNS1_14partition_implILS5_8ELb0ES3_jPlPS6_PKS6_NS0_5tupleIJS9_S6_EEENSD_IJSA_SA_EEENS0_18inequality_wrapperIZN2at6native12_GLOBAL__N_124unique_dim_cuda_templateIsEESt5tupleIJNSH_6TensorESM_SM_EERKSM_lbbbEUlllE0_EEPmJS6_EEE10hipError_tPvRmT3_T4_T5_T6_T7_T9_mT8_P12ihipStream_tbDpT10_ENKUlT_T0_E_clISt17integral_constantIbLb1EES1C_EEDaS17_S18_EUlS17_E_NS1_11comp_targetILNS1_3genE2ELNS1_11target_archE906ELNS1_3gpuE6ELNS1_3repE0EEENS1_30default_config_static_selectorELNS0_4arch9wavefront6targetE1EEEvT1_.numbered_sgpr, 0
	.set _ZN7rocprim17ROCPRIM_400000_NS6detail17trampoline_kernelINS0_14default_configENS1_25partition_config_selectorILNS1_17partition_subalgoE8ElNS0_10empty_typeEbEEZZNS1_14partition_implILS5_8ELb0ES3_jPlPS6_PKS6_NS0_5tupleIJS9_S6_EEENSD_IJSA_SA_EEENS0_18inequality_wrapperIZN2at6native12_GLOBAL__N_124unique_dim_cuda_templateIsEESt5tupleIJNSH_6TensorESM_SM_EERKSM_lbbbEUlllE0_EEPmJS6_EEE10hipError_tPvRmT3_T4_T5_T6_T7_T9_mT8_P12ihipStream_tbDpT10_ENKUlT_T0_E_clISt17integral_constantIbLb1EES1C_EEDaS17_S18_EUlS17_E_NS1_11comp_targetILNS1_3genE2ELNS1_11target_archE906ELNS1_3gpuE6ELNS1_3repE0EEENS1_30default_config_static_selectorELNS0_4arch9wavefront6targetE1EEEvT1_.num_named_barrier, 0
	.set _ZN7rocprim17ROCPRIM_400000_NS6detail17trampoline_kernelINS0_14default_configENS1_25partition_config_selectorILNS1_17partition_subalgoE8ElNS0_10empty_typeEbEEZZNS1_14partition_implILS5_8ELb0ES3_jPlPS6_PKS6_NS0_5tupleIJS9_S6_EEENSD_IJSA_SA_EEENS0_18inequality_wrapperIZN2at6native12_GLOBAL__N_124unique_dim_cuda_templateIsEESt5tupleIJNSH_6TensorESM_SM_EERKSM_lbbbEUlllE0_EEPmJS6_EEE10hipError_tPvRmT3_T4_T5_T6_T7_T9_mT8_P12ihipStream_tbDpT10_ENKUlT_T0_E_clISt17integral_constantIbLb1EES1C_EEDaS17_S18_EUlS17_E_NS1_11comp_targetILNS1_3genE2ELNS1_11target_archE906ELNS1_3gpuE6ELNS1_3repE0EEENS1_30default_config_static_selectorELNS0_4arch9wavefront6targetE1EEEvT1_.private_seg_size, 0
	.set _ZN7rocprim17ROCPRIM_400000_NS6detail17trampoline_kernelINS0_14default_configENS1_25partition_config_selectorILNS1_17partition_subalgoE8ElNS0_10empty_typeEbEEZZNS1_14partition_implILS5_8ELb0ES3_jPlPS6_PKS6_NS0_5tupleIJS9_S6_EEENSD_IJSA_SA_EEENS0_18inequality_wrapperIZN2at6native12_GLOBAL__N_124unique_dim_cuda_templateIsEESt5tupleIJNSH_6TensorESM_SM_EERKSM_lbbbEUlllE0_EEPmJS6_EEE10hipError_tPvRmT3_T4_T5_T6_T7_T9_mT8_P12ihipStream_tbDpT10_ENKUlT_T0_E_clISt17integral_constantIbLb1EES1C_EEDaS17_S18_EUlS17_E_NS1_11comp_targetILNS1_3genE2ELNS1_11target_archE906ELNS1_3gpuE6ELNS1_3repE0EEENS1_30default_config_static_selectorELNS0_4arch9wavefront6targetE1EEEvT1_.uses_vcc, 0
	.set _ZN7rocprim17ROCPRIM_400000_NS6detail17trampoline_kernelINS0_14default_configENS1_25partition_config_selectorILNS1_17partition_subalgoE8ElNS0_10empty_typeEbEEZZNS1_14partition_implILS5_8ELb0ES3_jPlPS6_PKS6_NS0_5tupleIJS9_S6_EEENSD_IJSA_SA_EEENS0_18inequality_wrapperIZN2at6native12_GLOBAL__N_124unique_dim_cuda_templateIsEESt5tupleIJNSH_6TensorESM_SM_EERKSM_lbbbEUlllE0_EEPmJS6_EEE10hipError_tPvRmT3_T4_T5_T6_T7_T9_mT8_P12ihipStream_tbDpT10_ENKUlT_T0_E_clISt17integral_constantIbLb1EES1C_EEDaS17_S18_EUlS17_E_NS1_11comp_targetILNS1_3genE2ELNS1_11target_archE906ELNS1_3gpuE6ELNS1_3repE0EEENS1_30default_config_static_selectorELNS0_4arch9wavefront6targetE1EEEvT1_.uses_flat_scratch, 0
	.set _ZN7rocprim17ROCPRIM_400000_NS6detail17trampoline_kernelINS0_14default_configENS1_25partition_config_selectorILNS1_17partition_subalgoE8ElNS0_10empty_typeEbEEZZNS1_14partition_implILS5_8ELb0ES3_jPlPS6_PKS6_NS0_5tupleIJS9_S6_EEENSD_IJSA_SA_EEENS0_18inequality_wrapperIZN2at6native12_GLOBAL__N_124unique_dim_cuda_templateIsEESt5tupleIJNSH_6TensorESM_SM_EERKSM_lbbbEUlllE0_EEPmJS6_EEE10hipError_tPvRmT3_T4_T5_T6_T7_T9_mT8_P12ihipStream_tbDpT10_ENKUlT_T0_E_clISt17integral_constantIbLb1EES1C_EEDaS17_S18_EUlS17_E_NS1_11comp_targetILNS1_3genE2ELNS1_11target_archE906ELNS1_3gpuE6ELNS1_3repE0EEENS1_30default_config_static_selectorELNS0_4arch9wavefront6targetE1EEEvT1_.has_dyn_sized_stack, 0
	.set _ZN7rocprim17ROCPRIM_400000_NS6detail17trampoline_kernelINS0_14default_configENS1_25partition_config_selectorILNS1_17partition_subalgoE8ElNS0_10empty_typeEbEEZZNS1_14partition_implILS5_8ELb0ES3_jPlPS6_PKS6_NS0_5tupleIJS9_S6_EEENSD_IJSA_SA_EEENS0_18inequality_wrapperIZN2at6native12_GLOBAL__N_124unique_dim_cuda_templateIsEESt5tupleIJNSH_6TensorESM_SM_EERKSM_lbbbEUlllE0_EEPmJS6_EEE10hipError_tPvRmT3_T4_T5_T6_T7_T9_mT8_P12ihipStream_tbDpT10_ENKUlT_T0_E_clISt17integral_constantIbLb1EES1C_EEDaS17_S18_EUlS17_E_NS1_11comp_targetILNS1_3genE2ELNS1_11target_archE906ELNS1_3gpuE6ELNS1_3repE0EEENS1_30default_config_static_selectorELNS0_4arch9wavefront6targetE1EEEvT1_.has_recursion, 0
	.set _ZN7rocprim17ROCPRIM_400000_NS6detail17trampoline_kernelINS0_14default_configENS1_25partition_config_selectorILNS1_17partition_subalgoE8ElNS0_10empty_typeEbEEZZNS1_14partition_implILS5_8ELb0ES3_jPlPS6_PKS6_NS0_5tupleIJS9_S6_EEENSD_IJSA_SA_EEENS0_18inequality_wrapperIZN2at6native12_GLOBAL__N_124unique_dim_cuda_templateIsEESt5tupleIJNSH_6TensorESM_SM_EERKSM_lbbbEUlllE0_EEPmJS6_EEE10hipError_tPvRmT3_T4_T5_T6_T7_T9_mT8_P12ihipStream_tbDpT10_ENKUlT_T0_E_clISt17integral_constantIbLb1EES1C_EEDaS17_S18_EUlS17_E_NS1_11comp_targetILNS1_3genE2ELNS1_11target_archE906ELNS1_3gpuE6ELNS1_3repE0EEENS1_30default_config_static_selectorELNS0_4arch9wavefront6targetE1EEEvT1_.has_indirect_call, 0
	.section	.AMDGPU.csdata,"",@progbits
; Kernel info:
; codeLenInByte = 0
; TotalNumSgprs: 6
; NumVgprs: 0
; NumAgprs: 0
; TotalNumVgprs: 0
; ScratchSize: 0
; MemoryBound: 0
; FloatMode: 240
; IeeeMode: 1
; LDSByteSize: 0 bytes/workgroup (compile time only)
; SGPRBlocks: 0
; VGPRBlocks: 0
; NumSGPRsForWavesPerEU: 6
; NumVGPRsForWavesPerEU: 1
; AccumOffset: 4
; Occupancy: 8
; WaveLimiterHint : 0
; COMPUTE_PGM_RSRC2:SCRATCH_EN: 0
; COMPUTE_PGM_RSRC2:USER_SGPR: 2
; COMPUTE_PGM_RSRC2:TRAP_HANDLER: 0
; COMPUTE_PGM_RSRC2:TGID_X_EN: 1
; COMPUTE_PGM_RSRC2:TGID_Y_EN: 0
; COMPUTE_PGM_RSRC2:TGID_Z_EN: 0
; COMPUTE_PGM_RSRC2:TIDIG_COMP_CNT: 0
; COMPUTE_PGM_RSRC3_GFX90A:ACCUM_OFFSET: 0
; COMPUTE_PGM_RSRC3_GFX90A:TG_SPLIT: 0
	.section	.text._ZN7rocprim17ROCPRIM_400000_NS6detail17trampoline_kernelINS0_14default_configENS1_25partition_config_selectorILNS1_17partition_subalgoE8ElNS0_10empty_typeEbEEZZNS1_14partition_implILS5_8ELb0ES3_jPlPS6_PKS6_NS0_5tupleIJS9_S6_EEENSD_IJSA_SA_EEENS0_18inequality_wrapperIZN2at6native12_GLOBAL__N_124unique_dim_cuda_templateIsEESt5tupleIJNSH_6TensorESM_SM_EERKSM_lbbbEUlllE0_EEPmJS6_EEE10hipError_tPvRmT3_T4_T5_T6_T7_T9_mT8_P12ihipStream_tbDpT10_ENKUlT_T0_E_clISt17integral_constantIbLb1EES1C_EEDaS17_S18_EUlS17_E_NS1_11comp_targetILNS1_3genE10ELNS1_11target_archE1200ELNS1_3gpuE4ELNS1_3repE0EEENS1_30default_config_static_selectorELNS0_4arch9wavefront6targetE1EEEvT1_,"axG",@progbits,_ZN7rocprim17ROCPRIM_400000_NS6detail17trampoline_kernelINS0_14default_configENS1_25partition_config_selectorILNS1_17partition_subalgoE8ElNS0_10empty_typeEbEEZZNS1_14partition_implILS5_8ELb0ES3_jPlPS6_PKS6_NS0_5tupleIJS9_S6_EEENSD_IJSA_SA_EEENS0_18inequality_wrapperIZN2at6native12_GLOBAL__N_124unique_dim_cuda_templateIsEESt5tupleIJNSH_6TensorESM_SM_EERKSM_lbbbEUlllE0_EEPmJS6_EEE10hipError_tPvRmT3_T4_T5_T6_T7_T9_mT8_P12ihipStream_tbDpT10_ENKUlT_T0_E_clISt17integral_constantIbLb1EES1C_EEDaS17_S18_EUlS17_E_NS1_11comp_targetILNS1_3genE10ELNS1_11target_archE1200ELNS1_3gpuE4ELNS1_3repE0EEENS1_30default_config_static_selectorELNS0_4arch9wavefront6targetE1EEEvT1_,comdat
	.globl	_ZN7rocprim17ROCPRIM_400000_NS6detail17trampoline_kernelINS0_14default_configENS1_25partition_config_selectorILNS1_17partition_subalgoE8ElNS0_10empty_typeEbEEZZNS1_14partition_implILS5_8ELb0ES3_jPlPS6_PKS6_NS0_5tupleIJS9_S6_EEENSD_IJSA_SA_EEENS0_18inequality_wrapperIZN2at6native12_GLOBAL__N_124unique_dim_cuda_templateIsEESt5tupleIJNSH_6TensorESM_SM_EERKSM_lbbbEUlllE0_EEPmJS6_EEE10hipError_tPvRmT3_T4_T5_T6_T7_T9_mT8_P12ihipStream_tbDpT10_ENKUlT_T0_E_clISt17integral_constantIbLb1EES1C_EEDaS17_S18_EUlS17_E_NS1_11comp_targetILNS1_3genE10ELNS1_11target_archE1200ELNS1_3gpuE4ELNS1_3repE0EEENS1_30default_config_static_selectorELNS0_4arch9wavefront6targetE1EEEvT1_ ; -- Begin function _ZN7rocprim17ROCPRIM_400000_NS6detail17trampoline_kernelINS0_14default_configENS1_25partition_config_selectorILNS1_17partition_subalgoE8ElNS0_10empty_typeEbEEZZNS1_14partition_implILS5_8ELb0ES3_jPlPS6_PKS6_NS0_5tupleIJS9_S6_EEENSD_IJSA_SA_EEENS0_18inequality_wrapperIZN2at6native12_GLOBAL__N_124unique_dim_cuda_templateIsEESt5tupleIJNSH_6TensorESM_SM_EERKSM_lbbbEUlllE0_EEPmJS6_EEE10hipError_tPvRmT3_T4_T5_T6_T7_T9_mT8_P12ihipStream_tbDpT10_ENKUlT_T0_E_clISt17integral_constantIbLb1EES1C_EEDaS17_S18_EUlS17_E_NS1_11comp_targetILNS1_3genE10ELNS1_11target_archE1200ELNS1_3gpuE4ELNS1_3repE0EEENS1_30default_config_static_selectorELNS0_4arch9wavefront6targetE1EEEvT1_
	.p2align	8
	.type	_ZN7rocprim17ROCPRIM_400000_NS6detail17trampoline_kernelINS0_14default_configENS1_25partition_config_selectorILNS1_17partition_subalgoE8ElNS0_10empty_typeEbEEZZNS1_14partition_implILS5_8ELb0ES3_jPlPS6_PKS6_NS0_5tupleIJS9_S6_EEENSD_IJSA_SA_EEENS0_18inequality_wrapperIZN2at6native12_GLOBAL__N_124unique_dim_cuda_templateIsEESt5tupleIJNSH_6TensorESM_SM_EERKSM_lbbbEUlllE0_EEPmJS6_EEE10hipError_tPvRmT3_T4_T5_T6_T7_T9_mT8_P12ihipStream_tbDpT10_ENKUlT_T0_E_clISt17integral_constantIbLb1EES1C_EEDaS17_S18_EUlS17_E_NS1_11comp_targetILNS1_3genE10ELNS1_11target_archE1200ELNS1_3gpuE4ELNS1_3repE0EEENS1_30default_config_static_selectorELNS0_4arch9wavefront6targetE1EEEvT1_,@function
_ZN7rocprim17ROCPRIM_400000_NS6detail17trampoline_kernelINS0_14default_configENS1_25partition_config_selectorILNS1_17partition_subalgoE8ElNS0_10empty_typeEbEEZZNS1_14partition_implILS5_8ELb0ES3_jPlPS6_PKS6_NS0_5tupleIJS9_S6_EEENSD_IJSA_SA_EEENS0_18inequality_wrapperIZN2at6native12_GLOBAL__N_124unique_dim_cuda_templateIsEESt5tupleIJNSH_6TensorESM_SM_EERKSM_lbbbEUlllE0_EEPmJS6_EEE10hipError_tPvRmT3_T4_T5_T6_T7_T9_mT8_P12ihipStream_tbDpT10_ENKUlT_T0_E_clISt17integral_constantIbLb1EES1C_EEDaS17_S18_EUlS17_E_NS1_11comp_targetILNS1_3genE10ELNS1_11target_archE1200ELNS1_3gpuE4ELNS1_3repE0EEENS1_30default_config_static_selectorELNS0_4arch9wavefront6targetE1EEEvT1_: ; @_ZN7rocprim17ROCPRIM_400000_NS6detail17trampoline_kernelINS0_14default_configENS1_25partition_config_selectorILNS1_17partition_subalgoE8ElNS0_10empty_typeEbEEZZNS1_14partition_implILS5_8ELb0ES3_jPlPS6_PKS6_NS0_5tupleIJS9_S6_EEENSD_IJSA_SA_EEENS0_18inequality_wrapperIZN2at6native12_GLOBAL__N_124unique_dim_cuda_templateIsEESt5tupleIJNSH_6TensorESM_SM_EERKSM_lbbbEUlllE0_EEPmJS6_EEE10hipError_tPvRmT3_T4_T5_T6_T7_T9_mT8_P12ihipStream_tbDpT10_ENKUlT_T0_E_clISt17integral_constantIbLb1EES1C_EEDaS17_S18_EUlS17_E_NS1_11comp_targetILNS1_3genE10ELNS1_11target_archE1200ELNS1_3gpuE4ELNS1_3repE0EEENS1_30default_config_static_selectorELNS0_4arch9wavefront6targetE1EEEvT1_
; %bb.0:
	.section	.rodata,"a",@progbits
	.p2align	6, 0x0
	.amdhsa_kernel _ZN7rocprim17ROCPRIM_400000_NS6detail17trampoline_kernelINS0_14default_configENS1_25partition_config_selectorILNS1_17partition_subalgoE8ElNS0_10empty_typeEbEEZZNS1_14partition_implILS5_8ELb0ES3_jPlPS6_PKS6_NS0_5tupleIJS9_S6_EEENSD_IJSA_SA_EEENS0_18inequality_wrapperIZN2at6native12_GLOBAL__N_124unique_dim_cuda_templateIsEESt5tupleIJNSH_6TensorESM_SM_EERKSM_lbbbEUlllE0_EEPmJS6_EEE10hipError_tPvRmT3_T4_T5_T6_T7_T9_mT8_P12ihipStream_tbDpT10_ENKUlT_T0_E_clISt17integral_constantIbLb1EES1C_EEDaS17_S18_EUlS17_E_NS1_11comp_targetILNS1_3genE10ELNS1_11target_archE1200ELNS1_3gpuE4ELNS1_3repE0EEENS1_30default_config_static_selectorELNS0_4arch9wavefront6targetE1EEEvT1_
		.amdhsa_group_segment_fixed_size 0
		.amdhsa_private_segment_fixed_size 0
		.amdhsa_kernarg_size 136
		.amdhsa_user_sgpr_count 2
		.amdhsa_user_sgpr_dispatch_ptr 0
		.amdhsa_user_sgpr_queue_ptr 0
		.amdhsa_user_sgpr_kernarg_segment_ptr 1
		.amdhsa_user_sgpr_dispatch_id 0
		.amdhsa_user_sgpr_kernarg_preload_length 0
		.amdhsa_user_sgpr_kernarg_preload_offset 0
		.amdhsa_user_sgpr_private_segment_size 0
		.amdhsa_uses_dynamic_stack 0
		.amdhsa_enable_private_segment 0
		.amdhsa_system_sgpr_workgroup_id_x 1
		.amdhsa_system_sgpr_workgroup_id_y 0
		.amdhsa_system_sgpr_workgroup_id_z 0
		.amdhsa_system_sgpr_workgroup_info 0
		.amdhsa_system_vgpr_workitem_id 0
		.amdhsa_next_free_vgpr 1
		.amdhsa_next_free_sgpr 0
		.amdhsa_accum_offset 4
		.amdhsa_reserve_vcc 0
		.amdhsa_float_round_mode_32 0
		.amdhsa_float_round_mode_16_64 0
		.amdhsa_float_denorm_mode_32 3
		.amdhsa_float_denorm_mode_16_64 3
		.amdhsa_dx10_clamp 1
		.amdhsa_ieee_mode 1
		.amdhsa_fp16_overflow 0
		.amdhsa_tg_split 0
		.amdhsa_exception_fp_ieee_invalid_op 0
		.amdhsa_exception_fp_denorm_src 0
		.amdhsa_exception_fp_ieee_div_zero 0
		.amdhsa_exception_fp_ieee_overflow 0
		.amdhsa_exception_fp_ieee_underflow 0
		.amdhsa_exception_fp_ieee_inexact 0
		.amdhsa_exception_int_div_zero 0
	.end_amdhsa_kernel
	.section	.text._ZN7rocprim17ROCPRIM_400000_NS6detail17trampoline_kernelINS0_14default_configENS1_25partition_config_selectorILNS1_17partition_subalgoE8ElNS0_10empty_typeEbEEZZNS1_14partition_implILS5_8ELb0ES3_jPlPS6_PKS6_NS0_5tupleIJS9_S6_EEENSD_IJSA_SA_EEENS0_18inequality_wrapperIZN2at6native12_GLOBAL__N_124unique_dim_cuda_templateIsEESt5tupleIJNSH_6TensorESM_SM_EERKSM_lbbbEUlllE0_EEPmJS6_EEE10hipError_tPvRmT3_T4_T5_T6_T7_T9_mT8_P12ihipStream_tbDpT10_ENKUlT_T0_E_clISt17integral_constantIbLb1EES1C_EEDaS17_S18_EUlS17_E_NS1_11comp_targetILNS1_3genE10ELNS1_11target_archE1200ELNS1_3gpuE4ELNS1_3repE0EEENS1_30default_config_static_selectorELNS0_4arch9wavefront6targetE1EEEvT1_,"axG",@progbits,_ZN7rocprim17ROCPRIM_400000_NS6detail17trampoline_kernelINS0_14default_configENS1_25partition_config_selectorILNS1_17partition_subalgoE8ElNS0_10empty_typeEbEEZZNS1_14partition_implILS5_8ELb0ES3_jPlPS6_PKS6_NS0_5tupleIJS9_S6_EEENSD_IJSA_SA_EEENS0_18inequality_wrapperIZN2at6native12_GLOBAL__N_124unique_dim_cuda_templateIsEESt5tupleIJNSH_6TensorESM_SM_EERKSM_lbbbEUlllE0_EEPmJS6_EEE10hipError_tPvRmT3_T4_T5_T6_T7_T9_mT8_P12ihipStream_tbDpT10_ENKUlT_T0_E_clISt17integral_constantIbLb1EES1C_EEDaS17_S18_EUlS17_E_NS1_11comp_targetILNS1_3genE10ELNS1_11target_archE1200ELNS1_3gpuE4ELNS1_3repE0EEENS1_30default_config_static_selectorELNS0_4arch9wavefront6targetE1EEEvT1_,comdat
.Lfunc_end698:
	.size	_ZN7rocprim17ROCPRIM_400000_NS6detail17trampoline_kernelINS0_14default_configENS1_25partition_config_selectorILNS1_17partition_subalgoE8ElNS0_10empty_typeEbEEZZNS1_14partition_implILS5_8ELb0ES3_jPlPS6_PKS6_NS0_5tupleIJS9_S6_EEENSD_IJSA_SA_EEENS0_18inequality_wrapperIZN2at6native12_GLOBAL__N_124unique_dim_cuda_templateIsEESt5tupleIJNSH_6TensorESM_SM_EERKSM_lbbbEUlllE0_EEPmJS6_EEE10hipError_tPvRmT3_T4_T5_T6_T7_T9_mT8_P12ihipStream_tbDpT10_ENKUlT_T0_E_clISt17integral_constantIbLb1EES1C_EEDaS17_S18_EUlS17_E_NS1_11comp_targetILNS1_3genE10ELNS1_11target_archE1200ELNS1_3gpuE4ELNS1_3repE0EEENS1_30default_config_static_selectorELNS0_4arch9wavefront6targetE1EEEvT1_, .Lfunc_end698-_ZN7rocprim17ROCPRIM_400000_NS6detail17trampoline_kernelINS0_14default_configENS1_25partition_config_selectorILNS1_17partition_subalgoE8ElNS0_10empty_typeEbEEZZNS1_14partition_implILS5_8ELb0ES3_jPlPS6_PKS6_NS0_5tupleIJS9_S6_EEENSD_IJSA_SA_EEENS0_18inequality_wrapperIZN2at6native12_GLOBAL__N_124unique_dim_cuda_templateIsEESt5tupleIJNSH_6TensorESM_SM_EERKSM_lbbbEUlllE0_EEPmJS6_EEE10hipError_tPvRmT3_T4_T5_T6_T7_T9_mT8_P12ihipStream_tbDpT10_ENKUlT_T0_E_clISt17integral_constantIbLb1EES1C_EEDaS17_S18_EUlS17_E_NS1_11comp_targetILNS1_3genE10ELNS1_11target_archE1200ELNS1_3gpuE4ELNS1_3repE0EEENS1_30default_config_static_selectorELNS0_4arch9wavefront6targetE1EEEvT1_
                                        ; -- End function
	.set _ZN7rocprim17ROCPRIM_400000_NS6detail17trampoline_kernelINS0_14default_configENS1_25partition_config_selectorILNS1_17partition_subalgoE8ElNS0_10empty_typeEbEEZZNS1_14partition_implILS5_8ELb0ES3_jPlPS6_PKS6_NS0_5tupleIJS9_S6_EEENSD_IJSA_SA_EEENS0_18inequality_wrapperIZN2at6native12_GLOBAL__N_124unique_dim_cuda_templateIsEESt5tupleIJNSH_6TensorESM_SM_EERKSM_lbbbEUlllE0_EEPmJS6_EEE10hipError_tPvRmT3_T4_T5_T6_T7_T9_mT8_P12ihipStream_tbDpT10_ENKUlT_T0_E_clISt17integral_constantIbLb1EES1C_EEDaS17_S18_EUlS17_E_NS1_11comp_targetILNS1_3genE10ELNS1_11target_archE1200ELNS1_3gpuE4ELNS1_3repE0EEENS1_30default_config_static_selectorELNS0_4arch9wavefront6targetE1EEEvT1_.num_vgpr, 0
	.set _ZN7rocprim17ROCPRIM_400000_NS6detail17trampoline_kernelINS0_14default_configENS1_25partition_config_selectorILNS1_17partition_subalgoE8ElNS0_10empty_typeEbEEZZNS1_14partition_implILS5_8ELb0ES3_jPlPS6_PKS6_NS0_5tupleIJS9_S6_EEENSD_IJSA_SA_EEENS0_18inequality_wrapperIZN2at6native12_GLOBAL__N_124unique_dim_cuda_templateIsEESt5tupleIJNSH_6TensorESM_SM_EERKSM_lbbbEUlllE0_EEPmJS6_EEE10hipError_tPvRmT3_T4_T5_T6_T7_T9_mT8_P12ihipStream_tbDpT10_ENKUlT_T0_E_clISt17integral_constantIbLb1EES1C_EEDaS17_S18_EUlS17_E_NS1_11comp_targetILNS1_3genE10ELNS1_11target_archE1200ELNS1_3gpuE4ELNS1_3repE0EEENS1_30default_config_static_selectorELNS0_4arch9wavefront6targetE1EEEvT1_.num_agpr, 0
	.set _ZN7rocprim17ROCPRIM_400000_NS6detail17trampoline_kernelINS0_14default_configENS1_25partition_config_selectorILNS1_17partition_subalgoE8ElNS0_10empty_typeEbEEZZNS1_14partition_implILS5_8ELb0ES3_jPlPS6_PKS6_NS0_5tupleIJS9_S6_EEENSD_IJSA_SA_EEENS0_18inequality_wrapperIZN2at6native12_GLOBAL__N_124unique_dim_cuda_templateIsEESt5tupleIJNSH_6TensorESM_SM_EERKSM_lbbbEUlllE0_EEPmJS6_EEE10hipError_tPvRmT3_T4_T5_T6_T7_T9_mT8_P12ihipStream_tbDpT10_ENKUlT_T0_E_clISt17integral_constantIbLb1EES1C_EEDaS17_S18_EUlS17_E_NS1_11comp_targetILNS1_3genE10ELNS1_11target_archE1200ELNS1_3gpuE4ELNS1_3repE0EEENS1_30default_config_static_selectorELNS0_4arch9wavefront6targetE1EEEvT1_.numbered_sgpr, 0
	.set _ZN7rocprim17ROCPRIM_400000_NS6detail17trampoline_kernelINS0_14default_configENS1_25partition_config_selectorILNS1_17partition_subalgoE8ElNS0_10empty_typeEbEEZZNS1_14partition_implILS5_8ELb0ES3_jPlPS6_PKS6_NS0_5tupleIJS9_S6_EEENSD_IJSA_SA_EEENS0_18inequality_wrapperIZN2at6native12_GLOBAL__N_124unique_dim_cuda_templateIsEESt5tupleIJNSH_6TensorESM_SM_EERKSM_lbbbEUlllE0_EEPmJS6_EEE10hipError_tPvRmT3_T4_T5_T6_T7_T9_mT8_P12ihipStream_tbDpT10_ENKUlT_T0_E_clISt17integral_constantIbLb1EES1C_EEDaS17_S18_EUlS17_E_NS1_11comp_targetILNS1_3genE10ELNS1_11target_archE1200ELNS1_3gpuE4ELNS1_3repE0EEENS1_30default_config_static_selectorELNS0_4arch9wavefront6targetE1EEEvT1_.num_named_barrier, 0
	.set _ZN7rocprim17ROCPRIM_400000_NS6detail17trampoline_kernelINS0_14default_configENS1_25partition_config_selectorILNS1_17partition_subalgoE8ElNS0_10empty_typeEbEEZZNS1_14partition_implILS5_8ELb0ES3_jPlPS6_PKS6_NS0_5tupleIJS9_S6_EEENSD_IJSA_SA_EEENS0_18inequality_wrapperIZN2at6native12_GLOBAL__N_124unique_dim_cuda_templateIsEESt5tupleIJNSH_6TensorESM_SM_EERKSM_lbbbEUlllE0_EEPmJS6_EEE10hipError_tPvRmT3_T4_T5_T6_T7_T9_mT8_P12ihipStream_tbDpT10_ENKUlT_T0_E_clISt17integral_constantIbLb1EES1C_EEDaS17_S18_EUlS17_E_NS1_11comp_targetILNS1_3genE10ELNS1_11target_archE1200ELNS1_3gpuE4ELNS1_3repE0EEENS1_30default_config_static_selectorELNS0_4arch9wavefront6targetE1EEEvT1_.private_seg_size, 0
	.set _ZN7rocprim17ROCPRIM_400000_NS6detail17trampoline_kernelINS0_14default_configENS1_25partition_config_selectorILNS1_17partition_subalgoE8ElNS0_10empty_typeEbEEZZNS1_14partition_implILS5_8ELb0ES3_jPlPS6_PKS6_NS0_5tupleIJS9_S6_EEENSD_IJSA_SA_EEENS0_18inequality_wrapperIZN2at6native12_GLOBAL__N_124unique_dim_cuda_templateIsEESt5tupleIJNSH_6TensorESM_SM_EERKSM_lbbbEUlllE0_EEPmJS6_EEE10hipError_tPvRmT3_T4_T5_T6_T7_T9_mT8_P12ihipStream_tbDpT10_ENKUlT_T0_E_clISt17integral_constantIbLb1EES1C_EEDaS17_S18_EUlS17_E_NS1_11comp_targetILNS1_3genE10ELNS1_11target_archE1200ELNS1_3gpuE4ELNS1_3repE0EEENS1_30default_config_static_selectorELNS0_4arch9wavefront6targetE1EEEvT1_.uses_vcc, 0
	.set _ZN7rocprim17ROCPRIM_400000_NS6detail17trampoline_kernelINS0_14default_configENS1_25partition_config_selectorILNS1_17partition_subalgoE8ElNS0_10empty_typeEbEEZZNS1_14partition_implILS5_8ELb0ES3_jPlPS6_PKS6_NS0_5tupleIJS9_S6_EEENSD_IJSA_SA_EEENS0_18inequality_wrapperIZN2at6native12_GLOBAL__N_124unique_dim_cuda_templateIsEESt5tupleIJNSH_6TensorESM_SM_EERKSM_lbbbEUlllE0_EEPmJS6_EEE10hipError_tPvRmT3_T4_T5_T6_T7_T9_mT8_P12ihipStream_tbDpT10_ENKUlT_T0_E_clISt17integral_constantIbLb1EES1C_EEDaS17_S18_EUlS17_E_NS1_11comp_targetILNS1_3genE10ELNS1_11target_archE1200ELNS1_3gpuE4ELNS1_3repE0EEENS1_30default_config_static_selectorELNS0_4arch9wavefront6targetE1EEEvT1_.uses_flat_scratch, 0
	.set _ZN7rocprim17ROCPRIM_400000_NS6detail17trampoline_kernelINS0_14default_configENS1_25partition_config_selectorILNS1_17partition_subalgoE8ElNS0_10empty_typeEbEEZZNS1_14partition_implILS5_8ELb0ES3_jPlPS6_PKS6_NS0_5tupleIJS9_S6_EEENSD_IJSA_SA_EEENS0_18inequality_wrapperIZN2at6native12_GLOBAL__N_124unique_dim_cuda_templateIsEESt5tupleIJNSH_6TensorESM_SM_EERKSM_lbbbEUlllE0_EEPmJS6_EEE10hipError_tPvRmT3_T4_T5_T6_T7_T9_mT8_P12ihipStream_tbDpT10_ENKUlT_T0_E_clISt17integral_constantIbLb1EES1C_EEDaS17_S18_EUlS17_E_NS1_11comp_targetILNS1_3genE10ELNS1_11target_archE1200ELNS1_3gpuE4ELNS1_3repE0EEENS1_30default_config_static_selectorELNS0_4arch9wavefront6targetE1EEEvT1_.has_dyn_sized_stack, 0
	.set _ZN7rocprim17ROCPRIM_400000_NS6detail17trampoline_kernelINS0_14default_configENS1_25partition_config_selectorILNS1_17partition_subalgoE8ElNS0_10empty_typeEbEEZZNS1_14partition_implILS5_8ELb0ES3_jPlPS6_PKS6_NS0_5tupleIJS9_S6_EEENSD_IJSA_SA_EEENS0_18inequality_wrapperIZN2at6native12_GLOBAL__N_124unique_dim_cuda_templateIsEESt5tupleIJNSH_6TensorESM_SM_EERKSM_lbbbEUlllE0_EEPmJS6_EEE10hipError_tPvRmT3_T4_T5_T6_T7_T9_mT8_P12ihipStream_tbDpT10_ENKUlT_T0_E_clISt17integral_constantIbLb1EES1C_EEDaS17_S18_EUlS17_E_NS1_11comp_targetILNS1_3genE10ELNS1_11target_archE1200ELNS1_3gpuE4ELNS1_3repE0EEENS1_30default_config_static_selectorELNS0_4arch9wavefront6targetE1EEEvT1_.has_recursion, 0
	.set _ZN7rocprim17ROCPRIM_400000_NS6detail17trampoline_kernelINS0_14default_configENS1_25partition_config_selectorILNS1_17partition_subalgoE8ElNS0_10empty_typeEbEEZZNS1_14partition_implILS5_8ELb0ES3_jPlPS6_PKS6_NS0_5tupleIJS9_S6_EEENSD_IJSA_SA_EEENS0_18inequality_wrapperIZN2at6native12_GLOBAL__N_124unique_dim_cuda_templateIsEESt5tupleIJNSH_6TensorESM_SM_EERKSM_lbbbEUlllE0_EEPmJS6_EEE10hipError_tPvRmT3_T4_T5_T6_T7_T9_mT8_P12ihipStream_tbDpT10_ENKUlT_T0_E_clISt17integral_constantIbLb1EES1C_EEDaS17_S18_EUlS17_E_NS1_11comp_targetILNS1_3genE10ELNS1_11target_archE1200ELNS1_3gpuE4ELNS1_3repE0EEENS1_30default_config_static_selectorELNS0_4arch9wavefront6targetE1EEEvT1_.has_indirect_call, 0
	.section	.AMDGPU.csdata,"",@progbits
; Kernel info:
; codeLenInByte = 0
; TotalNumSgprs: 6
; NumVgprs: 0
; NumAgprs: 0
; TotalNumVgprs: 0
; ScratchSize: 0
; MemoryBound: 0
; FloatMode: 240
; IeeeMode: 1
; LDSByteSize: 0 bytes/workgroup (compile time only)
; SGPRBlocks: 0
; VGPRBlocks: 0
; NumSGPRsForWavesPerEU: 6
; NumVGPRsForWavesPerEU: 1
; AccumOffset: 4
; Occupancy: 8
; WaveLimiterHint : 0
; COMPUTE_PGM_RSRC2:SCRATCH_EN: 0
; COMPUTE_PGM_RSRC2:USER_SGPR: 2
; COMPUTE_PGM_RSRC2:TRAP_HANDLER: 0
; COMPUTE_PGM_RSRC2:TGID_X_EN: 1
; COMPUTE_PGM_RSRC2:TGID_Y_EN: 0
; COMPUTE_PGM_RSRC2:TGID_Z_EN: 0
; COMPUTE_PGM_RSRC2:TIDIG_COMP_CNT: 0
; COMPUTE_PGM_RSRC3_GFX90A:ACCUM_OFFSET: 0
; COMPUTE_PGM_RSRC3_GFX90A:TG_SPLIT: 0
	.section	.text._ZN7rocprim17ROCPRIM_400000_NS6detail17trampoline_kernelINS0_14default_configENS1_25partition_config_selectorILNS1_17partition_subalgoE8ElNS0_10empty_typeEbEEZZNS1_14partition_implILS5_8ELb0ES3_jPlPS6_PKS6_NS0_5tupleIJS9_S6_EEENSD_IJSA_SA_EEENS0_18inequality_wrapperIZN2at6native12_GLOBAL__N_124unique_dim_cuda_templateIsEESt5tupleIJNSH_6TensorESM_SM_EERKSM_lbbbEUlllE0_EEPmJS6_EEE10hipError_tPvRmT3_T4_T5_T6_T7_T9_mT8_P12ihipStream_tbDpT10_ENKUlT_T0_E_clISt17integral_constantIbLb1EES1C_EEDaS17_S18_EUlS17_E_NS1_11comp_targetILNS1_3genE9ELNS1_11target_archE1100ELNS1_3gpuE3ELNS1_3repE0EEENS1_30default_config_static_selectorELNS0_4arch9wavefront6targetE1EEEvT1_,"axG",@progbits,_ZN7rocprim17ROCPRIM_400000_NS6detail17trampoline_kernelINS0_14default_configENS1_25partition_config_selectorILNS1_17partition_subalgoE8ElNS0_10empty_typeEbEEZZNS1_14partition_implILS5_8ELb0ES3_jPlPS6_PKS6_NS0_5tupleIJS9_S6_EEENSD_IJSA_SA_EEENS0_18inequality_wrapperIZN2at6native12_GLOBAL__N_124unique_dim_cuda_templateIsEESt5tupleIJNSH_6TensorESM_SM_EERKSM_lbbbEUlllE0_EEPmJS6_EEE10hipError_tPvRmT3_T4_T5_T6_T7_T9_mT8_P12ihipStream_tbDpT10_ENKUlT_T0_E_clISt17integral_constantIbLb1EES1C_EEDaS17_S18_EUlS17_E_NS1_11comp_targetILNS1_3genE9ELNS1_11target_archE1100ELNS1_3gpuE3ELNS1_3repE0EEENS1_30default_config_static_selectorELNS0_4arch9wavefront6targetE1EEEvT1_,comdat
	.globl	_ZN7rocprim17ROCPRIM_400000_NS6detail17trampoline_kernelINS0_14default_configENS1_25partition_config_selectorILNS1_17partition_subalgoE8ElNS0_10empty_typeEbEEZZNS1_14partition_implILS5_8ELb0ES3_jPlPS6_PKS6_NS0_5tupleIJS9_S6_EEENSD_IJSA_SA_EEENS0_18inequality_wrapperIZN2at6native12_GLOBAL__N_124unique_dim_cuda_templateIsEESt5tupleIJNSH_6TensorESM_SM_EERKSM_lbbbEUlllE0_EEPmJS6_EEE10hipError_tPvRmT3_T4_T5_T6_T7_T9_mT8_P12ihipStream_tbDpT10_ENKUlT_T0_E_clISt17integral_constantIbLb1EES1C_EEDaS17_S18_EUlS17_E_NS1_11comp_targetILNS1_3genE9ELNS1_11target_archE1100ELNS1_3gpuE3ELNS1_3repE0EEENS1_30default_config_static_selectorELNS0_4arch9wavefront6targetE1EEEvT1_ ; -- Begin function _ZN7rocprim17ROCPRIM_400000_NS6detail17trampoline_kernelINS0_14default_configENS1_25partition_config_selectorILNS1_17partition_subalgoE8ElNS0_10empty_typeEbEEZZNS1_14partition_implILS5_8ELb0ES3_jPlPS6_PKS6_NS0_5tupleIJS9_S6_EEENSD_IJSA_SA_EEENS0_18inequality_wrapperIZN2at6native12_GLOBAL__N_124unique_dim_cuda_templateIsEESt5tupleIJNSH_6TensorESM_SM_EERKSM_lbbbEUlllE0_EEPmJS6_EEE10hipError_tPvRmT3_T4_T5_T6_T7_T9_mT8_P12ihipStream_tbDpT10_ENKUlT_T0_E_clISt17integral_constantIbLb1EES1C_EEDaS17_S18_EUlS17_E_NS1_11comp_targetILNS1_3genE9ELNS1_11target_archE1100ELNS1_3gpuE3ELNS1_3repE0EEENS1_30default_config_static_selectorELNS0_4arch9wavefront6targetE1EEEvT1_
	.p2align	8
	.type	_ZN7rocprim17ROCPRIM_400000_NS6detail17trampoline_kernelINS0_14default_configENS1_25partition_config_selectorILNS1_17partition_subalgoE8ElNS0_10empty_typeEbEEZZNS1_14partition_implILS5_8ELb0ES3_jPlPS6_PKS6_NS0_5tupleIJS9_S6_EEENSD_IJSA_SA_EEENS0_18inequality_wrapperIZN2at6native12_GLOBAL__N_124unique_dim_cuda_templateIsEESt5tupleIJNSH_6TensorESM_SM_EERKSM_lbbbEUlllE0_EEPmJS6_EEE10hipError_tPvRmT3_T4_T5_T6_T7_T9_mT8_P12ihipStream_tbDpT10_ENKUlT_T0_E_clISt17integral_constantIbLb1EES1C_EEDaS17_S18_EUlS17_E_NS1_11comp_targetILNS1_3genE9ELNS1_11target_archE1100ELNS1_3gpuE3ELNS1_3repE0EEENS1_30default_config_static_selectorELNS0_4arch9wavefront6targetE1EEEvT1_,@function
_ZN7rocprim17ROCPRIM_400000_NS6detail17trampoline_kernelINS0_14default_configENS1_25partition_config_selectorILNS1_17partition_subalgoE8ElNS0_10empty_typeEbEEZZNS1_14partition_implILS5_8ELb0ES3_jPlPS6_PKS6_NS0_5tupleIJS9_S6_EEENSD_IJSA_SA_EEENS0_18inequality_wrapperIZN2at6native12_GLOBAL__N_124unique_dim_cuda_templateIsEESt5tupleIJNSH_6TensorESM_SM_EERKSM_lbbbEUlllE0_EEPmJS6_EEE10hipError_tPvRmT3_T4_T5_T6_T7_T9_mT8_P12ihipStream_tbDpT10_ENKUlT_T0_E_clISt17integral_constantIbLb1EES1C_EEDaS17_S18_EUlS17_E_NS1_11comp_targetILNS1_3genE9ELNS1_11target_archE1100ELNS1_3gpuE3ELNS1_3repE0EEENS1_30default_config_static_selectorELNS0_4arch9wavefront6targetE1EEEvT1_: ; @_ZN7rocprim17ROCPRIM_400000_NS6detail17trampoline_kernelINS0_14default_configENS1_25partition_config_selectorILNS1_17partition_subalgoE8ElNS0_10empty_typeEbEEZZNS1_14partition_implILS5_8ELb0ES3_jPlPS6_PKS6_NS0_5tupleIJS9_S6_EEENSD_IJSA_SA_EEENS0_18inequality_wrapperIZN2at6native12_GLOBAL__N_124unique_dim_cuda_templateIsEESt5tupleIJNSH_6TensorESM_SM_EERKSM_lbbbEUlllE0_EEPmJS6_EEE10hipError_tPvRmT3_T4_T5_T6_T7_T9_mT8_P12ihipStream_tbDpT10_ENKUlT_T0_E_clISt17integral_constantIbLb1EES1C_EEDaS17_S18_EUlS17_E_NS1_11comp_targetILNS1_3genE9ELNS1_11target_archE1100ELNS1_3gpuE3ELNS1_3repE0EEENS1_30default_config_static_selectorELNS0_4arch9wavefront6targetE1EEEvT1_
; %bb.0:
	.section	.rodata,"a",@progbits
	.p2align	6, 0x0
	.amdhsa_kernel _ZN7rocprim17ROCPRIM_400000_NS6detail17trampoline_kernelINS0_14default_configENS1_25partition_config_selectorILNS1_17partition_subalgoE8ElNS0_10empty_typeEbEEZZNS1_14partition_implILS5_8ELb0ES3_jPlPS6_PKS6_NS0_5tupleIJS9_S6_EEENSD_IJSA_SA_EEENS0_18inequality_wrapperIZN2at6native12_GLOBAL__N_124unique_dim_cuda_templateIsEESt5tupleIJNSH_6TensorESM_SM_EERKSM_lbbbEUlllE0_EEPmJS6_EEE10hipError_tPvRmT3_T4_T5_T6_T7_T9_mT8_P12ihipStream_tbDpT10_ENKUlT_T0_E_clISt17integral_constantIbLb1EES1C_EEDaS17_S18_EUlS17_E_NS1_11comp_targetILNS1_3genE9ELNS1_11target_archE1100ELNS1_3gpuE3ELNS1_3repE0EEENS1_30default_config_static_selectorELNS0_4arch9wavefront6targetE1EEEvT1_
		.amdhsa_group_segment_fixed_size 0
		.amdhsa_private_segment_fixed_size 0
		.amdhsa_kernarg_size 136
		.amdhsa_user_sgpr_count 2
		.amdhsa_user_sgpr_dispatch_ptr 0
		.amdhsa_user_sgpr_queue_ptr 0
		.amdhsa_user_sgpr_kernarg_segment_ptr 1
		.amdhsa_user_sgpr_dispatch_id 0
		.amdhsa_user_sgpr_kernarg_preload_length 0
		.amdhsa_user_sgpr_kernarg_preload_offset 0
		.amdhsa_user_sgpr_private_segment_size 0
		.amdhsa_uses_dynamic_stack 0
		.amdhsa_enable_private_segment 0
		.amdhsa_system_sgpr_workgroup_id_x 1
		.amdhsa_system_sgpr_workgroup_id_y 0
		.amdhsa_system_sgpr_workgroup_id_z 0
		.amdhsa_system_sgpr_workgroup_info 0
		.amdhsa_system_vgpr_workitem_id 0
		.amdhsa_next_free_vgpr 1
		.amdhsa_next_free_sgpr 0
		.amdhsa_accum_offset 4
		.amdhsa_reserve_vcc 0
		.amdhsa_float_round_mode_32 0
		.amdhsa_float_round_mode_16_64 0
		.amdhsa_float_denorm_mode_32 3
		.amdhsa_float_denorm_mode_16_64 3
		.amdhsa_dx10_clamp 1
		.amdhsa_ieee_mode 1
		.amdhsa_fp16_overflow 0
		.amdhsa_tg_split 0
		.amdhsa_exception_fp_ieee_invalid_op 0
		.amdhsa_exception_fp_denorm_src 0
		.amdhsa_exception_fp_ieee_div_zero 0
		.amdhsa_exception_fp_ieee_overflow 0
		.amdhsa_exception_fp_ieee_underflow 0
		.amdhsa_exception_fp_ieee_inexact 0
		.amdhsa_exception_int_div_zero 0
	.end_amdhsa_kernel
	.section	.text._ZN7rocprim17ROCPRIM_400000_NS6detail17trampoline_kernelINS0_14default_configENS1_25partition_config_selectorILNS1_17partition_subalgoE8ElNS0_10empty_typeEbEEZZNS1_14partition_implILS5_8ELb0ES3_jPlPS6_PKS6_NS0_5tupleIJS9_S6_EEENSD_IJSA_SA_EEENS0_18inequality_wrapperIZN2at6native12_GLOBAL__N_124unique_dim_cuda_templateIsEESt5tupleIJNSH_6TensorESM_SM_EERKSM_lbbbEUlllE0_EEPmJS6_EEE10hipError_tPvRmT3_T4_T5_T6_T7_T9_mT8_P12ihipStream_tbDpT10_ENKUlT_T0_E_clISt17integral_constantIbLb1EES1C_EEDaS17_S18_EUlS17_E_NS1_11comp_targetILNS1_3genE9ELNS1_11target_archE1100ELNS1_3gpuE3ELNS1_3repE0EEENS1_30default_config_static_selectorELNS0_4arch9wavefront6targetE1EEEvT1_,"axG",@progbits,_ZN7rocprim17ROCPRIM_400000_NS6detail17trampoline_kernelINS0_14default_configENS1_25partition_config_selectorILNS1_17partition_subalgoE8ElNS0_10empty_typeEbEEZZNS1_14partition_implILS5_8ELb0ES3_jPlPS6_PKS6_NS0_5tupleIJS9_S6_EEENSD_IJSA_SA_EEENS0_18inequality_wrapperIZN2at6native12_GLOBAL__N_124unique_dim_cuda_templateIsEESt5tupleIJNSH_6TensorESM_SM_EERKSM_lbbbEUlllE0_EEPmJS6_EEE10hipError_tPvRmT3_T4_T5_T6_T7_T9_mT8_P12ihipStream_tbDpT10_ENKUlT_T0_E_clISt17integral_constantIbLb1EES1C_EEDaS17_S18_EUlS17_E_NS1_11comp_targetILNS1_3genE9ELNS1_11target_archE1100ELNS1_3gpuE3ELNS1_3repE0EEENS1_30default_config_static_selectorELNS0_4arch9wavefront6targetE1EEEvT1_,comdat
.Lfunc_end699:
	.size	_ZN7rocprim17ROCPRIM_400000_NS6detail17trampoline_kernelINS0_14default_configENS1_25partition_config_selectorILNS1_17partition_subalgoE8ElNS0_10empty_typeEbEEZZNS1_14partition_implILS5_8ELb0ES3_jPlPS6_PKS6_NS0_5tupleIJS9_S6_EEENSD_IJSA_SA_EEENS0_18inequality_wrapperIZN2at6native12_GLOBAL__N_124unique_dim_cuda_templateIsEESt5tupleIJNSH_6TensorESM_SM_EERKSM_lbbbEUlllE0_EEPmJS6_EEE10hipError_tPvRmT3_T4_T5_T6_T7_T9_mT8_P12ihipStream_tbDpT10_ENKUlT_T0_E_clISt17integral_constantIbLb1EES1C_EEDaS17_S18_EUlS17_E_NS1_11comp_targetILNS1_3genE9ELNS1_11target_archE1100ELNS1_3gpuE3ELNS1_3repE0EEENS1_30default_config_static_selectorELNS0_4arch9wavefront6targetE1EEEvT1_, .Lfunc_end699-_ZN7rocprim17ROCPRIM_400000_NS6detail17trampoline_kernelINS0_14default_configENS1_25partition_config_selectorILNS1_17partition_subalgoE8ElNS0_10empty_typeEbEEZZNS1_14partition_implILS5_8ELb0ES3_jPlPS6_PKS6_NS0_5tupleIJS9_S6_EEENSD_IJSA_SA_EEENS0_18inequality_wrapperIZN2at6native12_GLOBAL__N_124unique_dim_cuda_templateIsEESt5tupleIJNSH_6TensorESM_SM_EERKSM_lbbbEUlllE0_EEPmJS6_EEE10hipError_tPvRmT3_T4_T5_T6_T7_T9_mT8_P12ihipStream_tbDpT10_ENKUlT_T0_E_clISt17integral_constantIbLb1EES1C_EEDaS17_S18_EUlS17_E_NS1_11comp_targetILNS1_3genE9ELNS1_11target_archE1100ELNS1_3gpuE3ELNS1_3repE0EEENS1_30default_config_static_selectorELNS0_4arch9wavefront6targetE1EEEvT1_
                                        ; -- End function
	.set _ZN7rocprim17ROCPRIM_400000_NS6detail17trampoline_kernelINS0_14default_configENS1_25partition_config_selectorILNS1_17partition_subalgoE8ElNS0_10empty_typeEbEEZZNS1_14partition_implILS5_8ELb0ES3_jPlPS6_PKS6_NS0_5tupleIJS9_S6_EEENSD_IJSA_SA_EEENS0_18inequality_wrapperIZN2at6native12_GLOBAL__N_124unique_dim_cuda_templateIsEESt5tupleIJNSH_6TensorESM_SM_EERKSM_lbbbEUlllE0_EEPmJS6_EEE10hipError_tPvRmT3_T4_T5_T6_T7_T9_mT8_P12ihipStream_tbDpT10_ENKUlT_T0_E_clISt17integral_constantIbLb1EES1C_EEDaS17_S18_EUlS17_E_NS1_11comp_targetILNS1_3genE9ELNS1_11target_archE1100ELNS1_3gpuE3ELNS1_3repE0EEENS1_30default_config_static_selectorELNS0_4arch9wavefront6targetE1EEEvT1_.num_vgpr, 0
	.set _ZN7rocprim17ROCPRIM_400000_NS6detail17trampoline_kernelINS0_14default_configENS1_25partition_config_selectorILNS1_17partition_subalgoE8ElNS0_10empty_typeEbEEZZNS1_14partition_implILS5_8ELb0ES3_jPlPS6_PKS6_NS0_5tupleIJS9_S6_EEENSD_IJSA_SA_EEENS0_18inequality_wrapperIZN2at6native12_GLOBAL__N_124unique_dim_cuda_templateIsEESt5tupleIJNSH_6TensorESM_SM_EERKSM_lbbbEUlllE0_EEPmJS6_EEE10hipError_tPvRmT3_T4_T5_T6_T7_T9_mT8_P12ihipStream_tbDpT10_ENKUlT_T0_E_clISt17integral_constantIbLb1EES1C_EEDaS17_S18_EUlS17_E_NS1_11comp_targetILNS1_3genE9ELNS1_11target_archE1100ELNS1_3gpuE3ELNS1_3repE0EEENS1_30default_config_static_selectorELNS0_4arch9wavefront6targetE1EEEvT1_.num_agpr, 0
	.set _ZN7rocprim17ROCPRIM_400000_NS6detail17trampoline_kernelINS0_14default_configENS1_25partition_config_selectorILNS1_17partition_subalgoE8ElNS0_10empty_typeEbEEZZNS1_14partition_implILS5_8ELb0ES3_jPlPS6_PKS6_NS0_5tupleIJS9_S6_EEENSD_IJSA_SA_EEENS0_18inequality_wrapperIZN2at6native12_GLOBAL__N_124unique_dim_cuda_templateIsEESt5tupleIJNSH_6TensorESM_SM_EERKSM_lbbbEUlllE0_EEPmJS6_EEE10hipError_tPvRmT3_T4_T5_T6_T7_T9_mT8_P12ihipStream_tbDpT10_ENKUlT_T0_E_clISt17integral_constantIbLb1EES1C_EEDaS17_S18_EUlS17_E_NS1_11comp_targetILNS1_3genE9ELNS1_11target_archE1100ELNS1_3gpuE3ELNS1_3repE0EEENS1_30default_config_static_selectorELNS0_4arch9wavefront6targetE1EEEvT1_.numbered_sgpr, 0
	.set _ZN7rocprim17ROCPRIM_400000_NS6detail17trampoline_kernelINS0_14default_configENS1_25partition_config_selectorILNS1_17partition_subalgoE8ElNS0_10empty_typeEbEEZZNS1_14partition_implILS5_8ELb0ES3_jPlPS6_PKS6_NS0_5tupleIJS9_S6_EEENSD_IJSA_SA_EEENS0_18inequality_wrapperIZN2at6native12_GLOBAL__N_124unique_dim_cuda_templateIsEESt5tupleIJNSH_6TensorESM_SM_EERKSM_lbbbEUlllE0_EEPmJS6_EEE10hipError_tPvRmT3_T4_T5_T6_T7_T9_mT8_P12ihipStream_tbDpT10_ENKUlT_T0_E_clISt17integral_constantIbLb1EES1C_EEDaS17_S18_EUlS17_E_NS1_11comp_targetILNS1_3genE9ELNS1_11target_archE1100ELNS1_3gpuE3ELNS1_3repE0EEENS1_30default_config_static_selectorELNS0_4arch9wavefront6targetE1EEEvT1_.num_named_barrier, 0
	.set _ZN7rocprim17ROCPRIM_400000_NS6detail17trampoline_kernelINS0_14default_configENS1_25partition_config_selectorILNS1_17partition_subalgoE8ElNS0_10empty_typeEbEEZZNS1_14partition_implILS5_8ELb0ES3_jPlPS6_PKS6_NS0_5tupleIJS9_S6_EEENSD_IJSA_SA_EEENS0_18inequality_wrapperIZN2at6native12_GLOBAL__N_124unique_dim_cuda_templateIsEESt5tupleIJNSH_6TensorESM_SM_EERKSM_lbbbEUlllE0_EEPmJS6_EEE10hipError_tPvRmT3_T4_T5_T6_T7_T9_mT8_P12ihipStream_tbDpT10_ENKUlT_T0_E_clISt17integral_constantIbLb1EES1C_EEDaS17_S18_EUlS17_E_NS1_11comp_targetILNS1_3genE9ELNS1_11target_archE1100ELNS1_3gpuE3ELNS1_3repE0EEENS1_30default_config_static_selectorELNS0_4arch9wavefront6targetE1EEEvT1_.private_seg_size, 0
	.set _ZN7rocprim17ROCPRIM_400000_NS6detail17trampoline_kernelINS0_14default_configENS1_25partition_config_selectorILNS1_17partition_subalgoE8ElNS0_10empty_typeEbEEZZNS1_14partition_implILS5_8ELb0ES3_jPlPS6_PKS6_NS0_5tupleIJS9_S6_EEENSD_IJSA_SA_EEENS0_18inequality_wrapperIZN2at6native12_GLOBAL__N_124unique_dim_cuda_templateIsEESt5tupleIJNSH_6TensorESM_SM_EERKSM_lbbbEUlllE0_EEPmJS6_EEE10hipError_tPvRmT3_T4_T5_T6_T7_T9_mT8_P12ihipStream_tbDpT10_ENKUlT_T0_E_clISt17integral_constantIbLb1EES1C_EEDaS17_S18_EUlS17_E_NS1_11comp_targetILNS1_3genE9ELNS1_11target_archE1100ELNS1_3gpuE3ELNS1_3repE0EEENS1_30default_config_static_selectorELNS0_4arch9wavefront6targetE1EEEvT1_.uses_vcc, 0
	.set _ZN7rocprim17ROCPRIM_400000_NS6detail17trampoline_kernelINS0_14default_configENS1_25partition_config_selectorILNS1_17partition_subalgoE8ElNS0_10empty_typeEbEEZZNS1_14partition_implILS5_8ELb0ES3_jPlPS6_PKS6_NS0_5tupleIJS9_S6_EEENSD_IJSA_SA_EEENS0_18inequality_wrapperIZN2at6native12_GLOBAL__N_124unique_dim_cuda_templateIsEESt5tupleIJNSH_6TensorESM_SM_EERKSM_lbbbEUlllE0_EEPmJS6_EEE10hipError_tPvRmT3_T4_T5_T6_T7_T9_mT8_P12ihipStream_tbDpT10_ENKUlT_T0_E_clISt17integral_constantIbLb1EES1C_EEDaS17_S18_EUlS17_E_NS1_11comp_targetILNS1_3genE9ELNS1_11target_archE1100ELNS1_3gpuE3ELNS1_3repE0EEENS1_30default_config_static_selectorELNS0_4arch9wavefront6targetE1EEEvT1_.uses_flat_scratch, 0
	.set _ZN7rocprim17ROCPRIM_400000_NS6detail17trampoline_kernelINS0_14default_configENS1_25partition_config_selectorILNS1_17partition_subalgoE8ElNS0_10empty_typeEbEEZZNS1_14partition_implILS5_8ELb0ES3_jPlPS6_PKS6_NS0_5tupleIJS9_S6_EEENSD_IJSA_SA_EEENS0_18inequality_wrapperIZN2at6native12_GLOBAL__N_124unique_dim_cuda_templateIsEESt5tupleIJNSH_6TensorESM_SM_EERKSM_lbbbEUlllE0_EEPmJS6_EEE10hipError_tPvRmT3_T4_T5_T6_T7_T9_mT8_P12ihipStream_tbDpT10_ENKUlT_T0_E_clISt17integral_constantIbLb1EES1C_EEDaS17_S18_EUlS17_E_NS1_11comp_targetILNS1_3genE9ELNS1_11target_archE1100ELNS1_3gpuE3ELNS1_3repE0EEENS1_30default_config_static_selectorELNS0_4arch9wavefront6targetE1EEEvT1_.has_dyn_sized_stack, 0
	.set _ZN7rocprim17ROCPRIM_400000_NS6detail17trampoline_kernelINS0_14default_configENS1_25partition_config_selectorILNS1_17partition_subalgoE8ElNS0_10empty_typeEbEEZZNS1_14partition_implILS5_8ELb0ES3_jPlPS6_PKS6_NS0_5tupleIJS9_S6_EEENSD_IJSA_SA_EEENS0_18inequality_wrapperIZN2at6native12_GLOBAL__N_124unique_dim_cuda_templateIsEESt5tupleIJNSH_6TensorESM_SM_EERKSM_lbbbEUlllE0_EEPmJS6_EEE10hipError_tPvRmT3_T4_T5_T6_T7_T9_mT8_P12ihipStream_tbDpT10_ENKUlT_T0_E_clISt17integral_constantIbLb1EES1C_EEDaS17_S18_EUlS17_E_NS1_11comp_targetILNS1_3genE9ELNS1_11target_archE1100ELNS1_3gpuE3ELNS1_3repE0EEENS1_30default_config_static_selectorELNS0_4arch9wavefront6targetE1EEEvT1_.has_recursion, 0
	.set _ZN7rocprim17ROCPRIM_400000_NS6detail17trampoline_kernelINS0_14default_configENS1_25partition_config_selectorILNS1_17partition_subalgoE8ElNS0_10empty_typeEbEEZZNS1_14partition_implILS5_8ELb0ES3_jPlPS6_PKS6_NS0_5tupleIJS9_S6_EEENSD_IJSA_SA_EEENS0_18inequality_wrapperIZN2at6native12_GLOBAL__N_124unique_dim_cuda_templateIsEESt5tupleIJNSH_6TensorESM_SM_EERKSM_lbbbEUlllE0_EEPmJS6_EEE10hipError_tPvRmT3_T4_T5_T6_T7_T9_mT8_P12ihipStream_tbDpT10_ENKUlT_T0_E_clISt17integral_constantIbLb1EES1C_EEDaS17_S18_EUlS17_E_NS1_11comp_targetILNS1_3genE9ELNS1_11target_archE1100ELNS1_3gpuE3ELNS1_3repE0EEENS1_30default_config_static_selectorELNS0_4arch9wavefront6targetE1EEEvT1_.has_indirect_call, 0
	.section	.AMDGPU.csdata,"",@progbits
; Kernel info:
; codeLenInByte = 0
; TotalNumSgprs: 6
; NumVgprs: 0
; NumAgprs: 0
; TotalNumVgprs: 0
; ScratchSize: 0
; MemoryBound: 0
; FloatMode: 240
; IeeeMode: 1
; LDSByteSize: 0 bytes/workgroup (compile time only)
; SGPRBlocks: 0
; VGPRBlocks: 0
; NumSGPRsForWavesPerEU: 6
; NumVGPRsForWavesPerEU: 1
; AccumOffset: 4
; Occupancy: 8
; WaveLimiterHint : 0
; COMPUTE_PGM_RSRC2:SCRATCH_EN: 0
; COMPUTE_PGM_RSRC2:USER_SGPR: 2
; COMPUTE_PGM_RSRC2:TRAP_HANDLER: 0
; COMPUTE_PGM_RSRC2:TGID_X_EN: 1
; COMPUTE_PGM_RSRC2:TGID_Y_EN: 0
; COMPUTE_PGM_RSRC2:TGID_Z_EN: 0
; COMPUTE_PGM_RSRC2:TIDIG_COMP_CNT: 0
; COMPUTE_PGM_RSRC3_GFX90A:ACCUM_OFFSET: 0
; COMPUTE_PGM_RSRC3_GFX90A:TG_SPLIT: 0
	.section	.text._ZN7rocprim17ROCPRIM_400000_NS6detail17trampoline_kernelINS0_14default_configENS1_25partition_config_selectorILNS1_17partition_subalgoE8ElNS0_10empty_typeEbEEZZNS1_14partition_implILS5_8ELb0ES3_jPlPS6_PKS6_NS0_5tupleIJS9_S6_EEENSD_IJSA_SA_EEENS0_18inequality_wrapperIZN2at6native12_GLOBAL__N_124unique_dim_cuda_templateIsEESt5tupleIJNSH_6TensorESM_SM_EERKSM_lbbbEUlllE0_EEPmJS6_EEE10hipError_tPvRmT3_T4_T5_T6_T7_T9_mT8_P12ihipStream_tbDpT10_ENKUlT_T0_E_clISt17integral_constantIbLb1EES1C_EEDaS17_S18_EUlS17_E_NS1_11comp_targetILNS1_3genE8ELNS1_11target_archE1030ELNS1_3gpuE2ELNS1_3repE0EEENS1_30default_config_static_selectorELNS0_4arch9wavefront6targetE1EEEvT1_,"axG",@progbits,_ZN7rocprim17ROCPRIM_400000_NS6detail17trampoline_kernelINS0_14default_configENS1_25partition_config_selectorILNS1_17partition_subalgoE8ElNS0_10empty_typeEbEEZZNS1_14partition_implILS5_8ELb0ES3_jPlPS6_PKS6_NS0_5tupleIJS9_S6_EEENSD_IJSA_SA_EEENS0_18inequality_wrapperIZN2at6native12_GLOBAL__N_124unique_dim_cuda_templateIsEESt5tupleIJNSH_6TensorESM_SM_EERKSM_lbbbEUlllE0_EEPmJS6_EEE10hipError_tPvRmT3_T4_T5_T6_T7_T9_mT8_P12ihipStream_tbDpT10_ENKUlT_T0_E_clISt17integral_constantIbLb1EES1C_EEDaS17_S18_EUlS17_E_NS1_11comp_targetILNS1_3genE8ELNS1_11target_archE1030ELNS1_3gpuE2ELNS1_3repE0EEENS1_30default_config_static_selectorELNS0_4arch9wavefront6targetE1EEEvT1_,comdat
	.globl	_ZN7rocprim17ROCPRIM_400000_NS6detail17trampoline_kernelINS0_14default_configENS1_25partition_config_selectorILNS1_17partition_subalgoE8ElNS0_10empty_typeEbEEZZNS1_14partition_implILS5_8ELb0ES3_jPlPS6_PKS6_NS0_5tupleIJS9_S6_EEENSD_IJSA_SA_EEENS0_18inequality_wrapperIZN2at6native12_GLOBAL__N_124unique_dim_cuda_templateIsEESt5tupleIJNSH_6TensorESM_SM_EERKSM_lbbbEUlllE0_EEPmJS6_EEE10hipError_tPvRmT3_T4_T5_T6_T7_T9_mT8_P12ihipStream_tbDpT10_ENKUlT_T0_E_clISt17integral_constantIbLb1EES1C_EEDaS17_S18_EUlS17_E_NS1_11comp_targetILNS1_3genE8ELNS1_11target_archE1030ELNS1_3gpuE2ELNS1_3repE0EEENS1_30default_config_static_selectorELNS0_4arch9wavefront6targetE1EEEvT1_ ; -- Begin function _ZN7rocprim17ROCPRIM_400000_NS6detail17trampoline_kernelINS0_14default_configENS1_25partition_config_selectorILNS1_17partition_subalgoE8ElNS0_10empty_typeEbEEZZNS1_14partition_implILS5_8ELb0ES3_jPlPS6_PKS6_NS0_5tupleIJS9_S6_EEENSD_IJSA_SA_EEENS0_18inequality_wrapperIZN2at6native12_GLOBAL__N_124unique_dim_cuda_templateIsEESt5tupleIJNSH_6TensorESM_SM_EERKSM_lbbbEUlllE0_EEPmJS6_EEE10hipError_tPvRmT3_T4_T5_T6_T7_T9_mT8_P12ihipStream_tbDpT10_ENKUlT_T0_E_clISt17integral_constantIbLb1EES1C_EEDaS17_S18_EUlS17_E_NS1_11comp_targetILNS1_3genE8ELNS1_11target_archE1030ELNS1_3gpuE2ELNS1_3repE0EEENS1_30default_config_static_selectorELNS0_4arch9wavefront6targetE1EEEvT1_
	.p2align	8
	.type	_ZN7rocprim17ROCPRIM_400000_NS6detail17trampoline_kernelINS0_14default_configENS1_25partition_config_selectorILNS1_17partition_subalgoE8ElNS0_10empty_typeEbEEZZNS1_14partition_implILS5_8ELb0ES3_jPlPS6_PKS6_NS0_5tupleIJS9_S6_EEENSD_IJSA_SA_EEENS0_18inequality_wrapperIZN2at6native12_GLOBAL__N_124unique_dim_cuda_templateIsEESt5tupleIJNSH_6TensorESM_SM_EERKSM_lbbbEUlllE0_EEPmJS6_EEE10hipError_tPvRmT3_T4_T5_T6_T7_T9_mT8_P12ihipStream_tbDpT10_ENKUlT_T0_E_clISt17integral_constantIbLb1EES1C_EEDaS17_S18_EUlS17_E_NS1_11comp_targetILNS1_3genE8ELNS1_11target_archE1030ELNS1_3gpuE2ELNS1_3repE0EEENS1_30default_config_static_selectorELNS0_4arch9wavefront6targetE1EEEvT1_,@function
_ZN7rocprim17ROCPRIM_400000_NS6detail17trampoline_kernelINS0_14default_configENS1_25partition_config_selectorILNS1_17partition_subalgoE8ElNS0_10empty_typeEbEEZZNS1_14partition_implILS5_8ELb0ES3_jPlPS6_PKS6_NS0_5tupleIJS9_S6_EEENSD_IJSA_SA_EEENS0_18inequality_wrapperIZN2at6native12_GLOBAL__N_124unique_dim_cuda_templateIsEESt5tupleIJNSH_6TensorESM_SM_EERKSM_lbbbEUlllE0_EEPmJS6_EEE10hipError_tPvRmT3_T4_T5_T6_T7_T9_mT8_P12ihipStream_tbDpT10_ENKUlT_T0_E_clISt17integral_constantIbLb1EES1C_EEDaS17_S18_EUlS17_E_NS1_11comp_targetILNS1_3genE8ELNS1_11target_archE1030ELNS1_3gpuE2ELNS1_3repE0EEENS1_30default_config_static_selectorELNS0_4arch9wavefront6targetE1EEEvT1_: ; @_ZN7rocprim17ROCPRIM_400000_NS6detail17trampoline_kernelINS0_14default_configENS1_25partition_config_selectorILNS1_17partition_subalgoE8ElNS0_10empty_typeEbEEZZNS1_14partition_implILS5_8ELb0ES3_jPlPS6_PKS6_NS0_5tupleIJS9_S6_EEENSD_IJSA_SA_EEENS0_18inequality_wrapperIZN2at6native12_GLOBAL__N_124unique_dim_cuda_templateIsEESt5tupleIJNSH_6TensorESM_SM_EERKSM_lbbbEUlllE0_EEPmJS6_EEE10hipError_tPvRmT3_T4_T5_T6_T7_T9_mT8_P12ihipStream_tbDpT10_ENKUlT_T0_E_clISt17integral_constantIbLb1EES1C_EEDaS17_S18_EUlS17_E_NS1_11comp_targetILNS1_3genE8ELNS1_11target_archE1030ELNS1_3gpuE2ELNS1_3repE0EEENS1_30default_config_static_selectorELNS0_4arch9wavefront6targetE1EEEvT1_
; %bb.0:
	.section	.rodata,"a",@progbits
	.p2align	6, 0x0
	.amdhsa_kernel _ZN7rocprim17ROCPRIM_400000_NS6detail17trampoline_kernelINS0_14default_configENS1_25partition_config_selectorILNS1_17partition_subalgoE8ElNS0_10empty_typeEbEEZZNS1_14partition_implILS5_8ELb0ES3_jPlPS6_PKS6_NS0_5tupleIJS9_S6_EEENSD_IJSA_SA_EEENS0_18inequality_wrapperIZN2at6native12_GLOBAL__N_124unique_dim_cuda_templateIsEESt5tupleIJNSH_6TensorESM_SM_EERKSM_lbbbEUlllE0_EEPmJS6_EEE10hipError_tPvRmT3_T4_T5_T6_T7_T9_mT8_P12ihipStream_tbDpT10_ENKUlT_T0_E_clISt17integral_constantIbLb1EES1C_EEDaS17_S18_EUlS17_E_NS1_11comp_targetILNS1_3genE8ELNS1_11target_archE1030ELNS1_3gpuE2ELNS1_3repE0EEENS1_30default_config_static_selectorELNS0_4arch9wavefront6targetE1EEEvT1_
		.amdhsa_group_segment_fixed_size 0
		.amdhsa_private_segment_fixed_size 0
		.amdhsa_kernarg_size 136
		.amdhsa_user_sgpr_count 2
		.amdhsa_user_sgpr_dispatch_ptr 0
		.amdhsa_user_sgpr_queue_ptr 0
		.amdhsa_user_sgpr_kernarg_segment_ptr 1
		.amdhsa_user_sgpr_dispatch_id 0
		.amdhsa_user_sgpr_kernarg_preload_length 0
		.amdhsa_user_sgpr_kernarg_preload_offset 0
		.amdhsa_user_sgpr_private_segment_size 0
		.amdhsa_uses_dynamic_stack 0
		.amdhsa_enable_private_segment 0
		.amdhsa_system_sgpr_workgroup_id_x 1
		.amdhsa_system_sgpr_workgroup_id_y 0
		.amdhsa_system_sgpr_workgroup_id_z 0
		.amdhsa_system_sgpr_workgroup_info 0
		.amdhsa_system_vgpr_workitem_id 0
		.amdhsa_next_free_vgpr 1
		.amdhsa_next_free_sgpr 0
		.amdhsa_accum_offset 4
		.amdhsa_reserve_vcc 0
		.amdhsa_float_round_mode_32 0
		.amdhsa_float_round_mode_16_64 0
		.amdhsa_float_denorm_mode_32 3
		.amdhsa_float_denorm_mode_16_64 3
		.amdhsa_dx10_clamp 1
		.amdhsa_ieee_mode 1
		.amdhsa_fp16_overflow 0
		.amdhsa_tg_split 0
		.amdhsa_exception_fp_ieee_invalid_op 0
		.amdhsa_exception_fp_denorm_src 0
		.amdhsa_exception_fp_ieee_div_zero 0
		.amdhsa_exception_fp_ieee_overflow 0
		.amdhsa_exception_fp_ieee_underflow 0
		.amdhsa_exception_fp_ieee_inexact 0
		.amdhsa_exception_int_div_zero 0
	.end_amdhsa_kernel
	.section	.text._ZN7rocprim17ROCPRIM_400000_NS6detail17trampoline_kernelINS0_14default_configENS1_25partition_config_selectorILNS1_17partition_subalgoE8ElNS0_10empty_typeEbEEZZNS1_14partition_implILS5_8ELb0ES3_jPlPS6_PKS6_NS0_5tupleIJS9_S6_EEENSD_IJSA_SA_EEENS0_18inequality_wrapperIZN2at6native12_GLOBAL__N_124unique_dim_cuda_templateIsEESt5tupleIJNSH_6TensorESM_SM_EERKSM_lbbbEUlllE0_EEPmJS6_EEE10hipError_tPvRmT3_T4_T5_T6_T7_T9_mT8_P12ihipStream_tbDpT10_ENKUlT_T0_E_clISt17integral_constantIbLb1EES1C_EEDaS17_S18_EUlS17_E_NS1_11comp_targetILNS1_3genE8ELNS1_11target_archE1030ELNS1_3gpuE2ELNS1_3repE0EEENS1_30default_config_static_selectorELNS0_4arch9wavefront6targetE1EEEvT1_,"axG",@progbits,_ZN7rocprim17ROCPRIM_400000_NS6detail17trampoline_kernelINS0_14default_configENS1_25partition_config_selectorILNS1_17partition_subalgoE8ElNS0_10empty_typeEbEEZZNS1_14partition_implILS5_8ELb0ES3_jPlPS6_PKS6_NS0_5tupleIJS9_S6_EEENSD_IJSA_SA_EEENS0_18inequality_wrapperIZN2at6native12_GLOBAL__N_124unique_dim_cuda_templateIsEESt5tupleIJNSH_6TensorESM_SM_EERKSM_lbbbEUlllE0_EEPmJS6_EEE10hipError_tPvRmT3_T4_T5_T6_T7_T9_mT8_P12ihipStream_tbDpT10_ENKUlT_T0_E_clISt17integral_constantIbLb1EES1C_EEDaS17_S18_EUlS17_E_NS1_11comp_targetILNS1_3genE8ELNS1_11target_archE1030ELNS1_3gpuE2ELNS1_3repE0EEENS1_30default_config_static_selectorELNS0_4arch9wavefront6targetE1EEEvT1_,comdat
.Lfunc_end700:
	.size	_ZN7rocprim17ROCPRIM_400000_NS6detail17trampoline_kernelINS0_14default_configENS1_25partition_config_selectorILNS1_17partition_subalgoE8ElNS0_10empty_typeEbEEZZNS1_14partition_implILS5_8ELb0ES3_jPlPS6_PKS6_NS0_5tupleIJS9_S6_EEENSD_IJSA_SA_EEENS0_18inequality_wrapperIZN2at6native12_GLOBAL__N_124unique_dim_cuda_templateIsEESt5tupleIJNSH_6TensorESM_SM_EERKSM_lbbbEUlllE0_EEPmJS6_EEE10hipError_tPvRmT3_T4_T5_T6_T7_T9_mT8_P12ihipStream_tbDpT10_ENKUlT_T0_E_clISt17integral_constantIbLb1EES1C_EEDaS17_S18_EUlS17_E_NS1_11comp_targetILNS1_3genE8ELNS1_11target_archE1030ELNS1_3gpuE2ELNS1_3repE0EEENS1_30default_config_static_selectorELNS0_4arch9wavefront6targetE1EEEvT1_, .Lfunc_end700-_ZN7rocprim17ROCPRIM_400000_NS6detail17trampoline_kernelINS0_14default_configENS1_25partition_config_selectorILNS1_17partition_subalgoE8ElNS0_10empty_typeEbEEZZNS1_14partition_implILS5_8ELb0ES3_jPlPS6_PKS6_NS0_5tupleIJS9_S6_EEENSD_IJSA_SA_EEENS0_18inequality_wrapperIZN2at6native12_GLOBAL__N_124unique_dim_cuda_templateIsEESt5tupleIJNSH_6TensorESM_SM_EERKSM_lbbbEUlllE0_EEPmJS6_EEE10hipError_tPvRmT3_T4_T5_T6_T7_T9_mT8_P12ihipStream_tbDpT10_ENKUlT_T0_E_clISt17integral_constantIbLb1EES1C_EEDaS17_S18_EUlS17_E_NS1_11comp_targetILNS1_3genE8ELNS1_11target_archE1030ELNS1_3gpuE2ELNS1_3repE0EEENS1_30default_config_static_selectorELNS0_4arch9wavefront6targetE1EEEvT1_
                                        ; -- End function
	.set _ZN7rocprim17ROCPRIM_400000_NS6detail17trampoline_kernelINS0_14default_configENS1_25partition_config_selectorILNS1_17partition_subalgoE8ElNS0_10empty_typeEbEEZZNS1_14partition_implILS5_8ELb0ES3_jPlPS6_PKS6_NS0_5tupleIJS9_S6_EEENSD_IJSA_SA_EEENS0_18inequality_wrapperIZN2at6native12_GLOBAL__N_124unique_dim_cuda_templateIsEESt5tupleIJNSH_6TensorESM_SM_EERKSM_lbbbEUlllE0_EEPmJS6_EEE10hipError_tPvRmT3_T4_T5_T6_T7_T9_mT8_P12ihipStream_tbDpT10_ENKUlT_T0_E_clISt17integral_constantIbLb1EES1C_EEDaS17_S18_EUlS17_E_NS1_11comp_targetILNS1_3genE8ELNS1_11target_archE1030ELNS1_3gpuE2ELNS1_3repE0EEENS1_30default_config_static_selectorELNS0_4arch9wavefront6targetE1EEEvT1_.num_vgpr, 0
	.set _ZN7rocprim17ROCPRIM_400000_NS6detail17trampoline_kernelINS0_14default_configENS1_25partition_config_selectorILNS1_17partition_subalgoE8ElNS0_10empty_typeEbEEZZNS1_14partition_implILS5_8ELb0ES3_jPlPS6_PKS6_NS0_5tupleIJS9_S6_EEENSD_IJSA_SA_EEENS0_18inequality_wrapperIZN2at6native12_GLOBAL__N_124unique_dim_cuda_templateIsEESt5tupleIJNSH_6TensorESM_SM_EERKSM_lbbbEUlllE0_EEPmJS6_EEE10hipError_tPvRmT3_T4_T5_T6_T7_T9_mT8_P12ihipStream_tbDpT10_ENKUlT_T0_E_clISt17integral_constantIbLb1EES1C_EEDaS17_S18_EUlS17_E_NS1_11comp_targetILNS1_3genE8ELNS1_11target_archE1030ELNS1_3gpuE2ELNS1_3repE0EEENS1_30default_config_static_selectorELNS0_4arch9wavefront6targetE1EEEvT1_.num_agpr, 0
	.set _ZN7rocprim17ROCPRIM_400000_NS6detail17trampoline_kernelINS0_14default_configENS1_25partition_config_selectorILNS1_17partition_subalgoE8ElNS0_10empty_typeEbEEZZNS1_14partition_implILS5_8ELb0ES3_jPlPS6_PKS6_NS0_5tupleIJS9_S6_EEENSD_IJSA_SA_EEENS0_18inequality_wrapperIZN2at6native12_GLOBAL__N_124unique_dim_cuda_templateIsEESt5tupleIJNSH_6TensorESM_SM_EERKSM_lbbbEUlllE0_EEPmJS6_EEE10hipError_tPvRmT3_T4_T5_T6_T7_T9_mT8_P12ihipStream_tbDpT10_ENKUlT_T0_E_clISt17integral_constantIbLb1EES1C_EEDaS17_S18_EUlS17_E_NS1_11comp_targetILNS1_3genE8ELNS1_11target_archE1030ELNS1_3gpuE2ELNS1_3repE0EEENS1_30default_config_static_selectorELNS0_4arch9wavefront6targetE1EEEvT1_.numbered_sgpr, 0
	.set _ZN7rocprim17ROCPRIM_400000_NS6detail17trampoline_kernelINS0_14default_configENS1_25partition_config_selectorILNS1_17partition_subalgoE8ElNS0_10empty_typeEbEEZZNS1_14partition_implILS5_8ELb0ES3_jPlPS6_PKS6_NS0_5tupleIJS9_S6_EEENSD_IJSA_SA_EEENS0_18inequality_wrapperIZN2at6native12_GLOBAL__N_124unique_dim_cuda_templateIsEESt5tupleIJNSH_6TensorESM_SM_EERKSM_lbbbEUlllE0_EEPmJS6_EEE10hipError_tPvRmT3_T4_T5_T6_T7_T9_mT8_P12ihipStream_tbDpT10_ENKUlT_T0_E_clISt17integral_constantIbLb1EES1C_EEDaS17_S18_EUlS17_E_NS1_11comp_targetILNS1_3genE8ELNS1_11target_archE1030ELNS1_3gpuE2ELNS1_3repE0EEENS1_30default_config_static_selectorELNS0_4arch9wavefront6targetE1EEEvT1_.num_named_barrier, 0
	.set _ZN7rocprim17ROCPRIM_400000_NS6detail17trampoline_kernelINS0_14default_configENS1_25partition_config_selectorILNS1_17partition_subalgoE8ElNS0_10empty_typeEbEEZZNS1_14partition_implILS5_8ELb0ES3_jPlPS6_PKS6_NS0_5tupleIJS9_S6_EEENSD_IJSA_SA_EEENS0_18inequality_wrapperIZN2at6native12_GLOBAL__N_124unique_dim_cuda_templateIsEESt5tupleIJNSH_6TensorESM_SM_EERKSM_lbbbEUlllE0_EEPmJS6_EEE10hipError_tPvRmT3_T4_T5_T6_T7_T9_mT8_P12ihipStream_tbDpT10_ENKUlT_T0_E_clISt17integral_constantIbLb1EES1C_EEDaS17_S18_EUlS17_E_NS1_11comp_targetILNS1_3genE8ELNS1_11target_archE1030ELNS1_3gpuE2ELNS1_3repE0EEENS1_30default_config_static_selectorELNS0_4arch9wavefront6targetE1EEEvT1_.private_seg_size, 0
	.set _ZN7rocprim17ROCPRIM_400000_NS6detail17trampoline_kernelINS0_14default_configENS1_25partition_config_selectorILNS1_17partition_subalgoE8ElNS0_10empty_typeEbEEZZNS1_14partition_implILS5_8ELb0ES3_jPlPS6_PKS6_NS0_5tupleIJS9_S6_EEENSD_IJSA_SA_EEENS0_18inequality_wrapperIZN2at6native12_GLOBAL__N_124unique_dim_cuda_templateIsEESt5tupleIJNSH_6TensorESM_SM_EERKSM_lbbbEUlllE0_EEPmJS6_EEE10hipError_tPvRmT3_T4_T5_T6_T7_T9_mT8_P12ihipStream_tbDpT10_ENKUlT_T0_E_clISt17integral_constantIbLb1EES1C_EEDaS17_S18_EUlS17_E_NS1_11comp_targetILNS1_3genE8ELNS1_11target_archE1030ELNS1_3gpuE2ELNS1_3repE0EEENS1_30default_config_static_selectorELNS0_4arch9wavefront6targetE1EEEvT1_.uses_vcc, 0
	.set _ZN7rocprim17ROCPRIM_400000_NS6detail17trampoline_kernelINS0_14default_configENS1_25partition_config_selectorILNS1_17partition_subalgoE8ElNS0_10empty_typeEbEEZZNS1_14partition_implILS5_8ELb0ES3_jPlPS6_PKS6_NS0_5tupleIJS9_S6_EEENSD_IJSA_SA_EEENS0_18inequality_wrapperIZN2at6native12_GLOBAL__N_124unique_dim_cuda_templateIsEESt5tupleIJNSH_6TensorESM_SM_EERKSM_lbbbEUlllE0_EEPmJS6_EEE10hipError_tPvRmT3_T4_T5_T6_T7_T9_mT8_P12ihipStream_tbDpT10_ENKUlT_T0_E_clISt17integral_constantIbLb1EES1C_EEDaS17_S18_EUlS17_E_NS1_11comp_targetILNS1_3genE8ELNS1_11target_archE1030ELNS1_3gpuE2ELNS1_3repE0EEENS1_30default_config_static_selectorELNS0_4arch9wavefront6targetE1EEEvT1_.uses_flat_scratch, 0
	.set _ZN7rocprim17ROCPRIM_400000_NS6detail17trampoline_kernelINS0_14default_configENS1_25partition_config_selectorILNS1_17partition_subalgoE8ElNS0_10empty_typeEbEEZZNS1_14partition_implILS5_8ELb0ES3_jPlPS6_PKS6_NS0_5tupleIJS9_S6_EEENSD_IJSA_SA_EEENS0_18inequality_wrapperIZN2at6native12_GLOBAL__N_124unique_dim_cuda_templateIsEESt5tupleIJNSH_6TensorESM_SM_EERKSM_lbbbEUlllE0_EEPmJS6_EEE10hipError_tPvRmT3_T4_T5_T6_T7_T9_mT8_P12ihipStream_tbDpT10_ENKUlT_T0_E_clISt17integral_constantIbLb1EES1C_EEDaS17_S18_EUlS17_E_NS1_11comp_targetILNS1_3genE8ELNS1_11target_archE1030ELNS1_3gpuE2ELNS1_3repE0EEENS1_30default_config_static_selectorELNS0_4arch9wavefront6targetE1EEEvT1_.has_dyn_sized_stack, 0
	.set _ZN7rocprim17ROCPRIM_400000_NS6detail17trampoline_kernelINS0_14default_configENS1_25partition_config_selectorILNS1_17partition_subalgoE8ElNS0_10empty_typeEbEEZZNS1_14partition_implILS5_8ELb0ES3_jPlPS6_PKS6_NS0_5tupleIJS9_S6_EEENSD_IJSA_SA_EEENS0_18inequality_wrapperIZN2at6native12_GLOBAL__N_124unique_dim_cuda_templateIsEESt5tupleIJNSH_6TensorESM_SM_EERKSM_lbbbEUlllE0_EEPmJS6_EEE10hipError_tPvRmT3_T4_T5_T6_T7_T9_mT8_P12ihipStream_tbDpT10_ENKUlT_T0_E_clISt17integral_constantIbLb1EES1C_EEDaS17_S18_EUlS17_E_NS1_11comp_targetILNS1_3genE8ELNS1_11target_archE1030ELNS1_3gpuE2ELNS1_3repE0EEENS1_30default_config_static_selectorELNS0_4arch9wavefront6targetE1EEEvT1_.has_recursion, 0
	.set _ZN7rocprim17ROCPRIM_400000_NS6detail17trampoline_kernelINS0_14default_configENS1_25partition_config_selectorILNS1_17partition_subalgoE8ElNS0_10empty_typeEbEEZZNS1_14partition_implILS5_8ELb0ES3_jPlPS6_PKS6_NS0_5tupleIJS9_S6_EEENSD_IJSA_SA_EEENS0_18inequality_wrapperIZN2at6native12_GLOBAL__N_124unique_dim_cuda_templateIsEESt5tupleIJNSH_6TensorESM_SM_EERKSM_lbbbEUlllE0_EEPmJS6_EEE10hipError_tPvRmT3_T4_T5_T6_T7_T9_mT8_P12ihipStream_tbDpT10_ENKUlT_T0_E_clISt17integral_constantIbLb1EES1C_EEDaS17_S18_EUlS17_E_NS1_11comp_targetILNS1_3genE8ELNS1_11target_archE1030ELNS1_3gpuE2ELNS1_3repE0EEENS1_30default_config_static_selectorELNS0_4arch9wavefront6targetE1EEEvT1_.has_indirect_call, 0
	.section	.AMDGPU.csdata,"",@progbits
; Kernel info:
; codeLenInByte = 0
; TotalNumSgprs: 6
; NumVgprs: 0
; NumAgprs: 0
; TotalNumVgprs: 0
; ScratchSize: 0
; MemoryBound: 0
; FloatMode: 240
; IeeeMode: 1
; LDSByteSize: 0 bytes/workgroup (compile time only)
; SGPRBlocks: 0
; VGPRBlocks: 0
; NumSGPRsForWavesPerEU: 6
; NumVGPRsForWavesPerEU: 1
; AccumOffset: 4
; Occupancy: 8
; WaveLimiterHint : 0
; COMPUTE_PGM_RSRC2:SCRATCH_EN: 0
; COMPUTE_PGM_RSRC2:USER_SGPR: 2
; COMPUTE_PGM_RSRC2:TRAP_HANDLER: 0
; COMPUTE_PGM_RSRC2:TGID_X_EN: 1
; COMPUTE_PGM_RSRC2:TGID_Y_EN: 0
; COMPUTE_PGM_RSRC2:TGID_Z_EN: 0
; COMPUTE_PGM_RSRC2:TIDIG_COMP_CNT: 0
; COMPUTE_PGM_RSRC3_GFX90A:ACCUM_OFFSET: 0
; COMPUTE_PGM_RSRC3_GFX90A:TG_SPLIT: 0
	.section	.text._ZN7rocprim17ROCPRIM_400000_NS6detail17trampoline_kernelINS0_14default_configENS1_25partition_config_selectorILNS1_17partition_subalgoE8ElNS0_10empty_typeEbEEZZNS1_14partition_implILS5_8ELb0ES3_jPlPS6_PKS6_NS0_5tupleIJS9_S6_EEENSD_IJSA_SA_EEENS0_18inequality_wrapperIZN2at6native12_GLOBAL__N_124unique_dim_cuda_templateIsEESt5tupleIJNSH_6TensorESM_SM_EERKSM_lbbbEUlllE0_EEPmJS6_EEE10hipError_tPvRmT3_T4_T5_T6_T7_T9_mT8_P12ihipStream_tbDpT10_ENKUlT_T0_E_clISt17integral_constantIbLb1EES1B_IbLb0EEEEDaS17_S18_EUlS17_E_NS1_11comp_targetILNS1_3genE0ELNS1_11target_archE4294967295ELNS1_3gpuE0ELNS1_3repE0EEENS1_30default_config_static_selectorELNS0_4arch9wavefront6targetE1EEEvT1_,"axG",@progbits,_ZN7rocprim17ROCPRIM_400000_NS6detail17trampoline_kernelINS0_14default_configENS1_25partition_config_selectorILNS1_17partition_subalgoE8ElNS0_10empty_typeEbEEZZNS1_14partition_implILS5_8ELb0ES3_jPlPS6_PKS6_NS0_5tupleIJS9_S6_EEENSD_IJSA_SA_EEENS0_18inequality_wrapperIZN2at6native12_GLOBAL__N_124unique_dim_cuda_templateIsEESt5tupleIJNSH_6TensorESM_SM_EERKSM_lbbbEUlllE0_EEPmJS6_EEE10hipError_tPvRmT3_T4_T5_T6_T7_T9_mT8_P12ihipStream_tbDpT10_ENKUlT_T0_E_clISt17integral_constantIbLb1EES1B_IbLb0EEEEDaS17_S18_EUlS17_E_NS1_11comp_targetILNS1_3genE0ELNS1_11target_archE4294967295ELNS1_3gpuE0ELNS1_3repE0EEENS1_30default_config_static_selectorELNS0_4arch9wavefront6targetE1EEEvT1_,comdat
	.globl	_ZN7rocprim17ROCPRIM_400000_NS6detail17trampoline_kernelINS0_14default_configENS1_25partition_config_selectorILNS1_17partition_subalgoE8ElNS0_10empty_typeEbEEZZNS1_14partition_implILS5_8ELb0ES3_jPlPS6_PKS6_NS0_5tupleIJS9_S6_EEENSD_IJSA_SA_EEENS0_18inequality_wrapperIZN2at6native12_GLOBAL__N_124unique_dim_cuda_templateIsEESt5tupleIJNSH_6TensorESM_SM_EERKSM_lbbbEUlllE0_EEPmJS6_EEE10hipError_tPvRmT3_T4_T5_T6_T7_T9_mT8_P12ihipStream_tbDpT10_ENKUlT_T0_E_clISt17integral_constantIbLb1EES1B_IbLb0EEEEDaS17_S18_EUlS17_E_NS1_11comp_targetILNS1_3genE0ELNS1_11target_archE4294967295ELNS1_3gpuE0ELNS1_3repE0EEENS1_30default_config_static_selectorELNS0_4arch9wavefront6targetE1EEEvT1_ ; -- Begin function _ZN7rocprim17ROCPRIM_400000_NS6detail17trampoline_kernelINS0_14default_configENS1_25partition_config_selectorILNS1_17partition_subalgoE8ElNS0_10empty_typeEbEEZZNS1_14partition_implILS5_8ELb0ES3_jPlPS6_PKS6_NS0_5tupleIJS9_S6_EEENSD_IJSA_SA_EEENS0_18inequality_wrapperIZN2at6native12_GLOBAL__N_124unique_dim_cuda_templateIsEESt5tupleIJNSH_6TensorESM_SM_EERKSM_lbbbEUlllE0_EEPmJS6_EEE10hipError_tPvRmT3_T4_T5_T6_T7_T9_mT8_P12ihipStream_tbDpT10_ENKUlT_T0_E_clISt17integral_constantIbLb1EES1B_IbLb0EEEEDaS17_S18_EUlS17_E_NS1_11comp_targetILNS1_3genE0ELNS1_11target_archE4294967295ELNS1_3gpuE0ELNS1_3repE0EEENS1_30default_config_static_selectorELNS0_4arch9wavefront6targetE1EEEvT1_
	.p2align	8
	.type	_ZN7rocprim17ROCPRIM_400000_NS6detail17trampoline_kernelINS0_14default_configENS1_25partition_config_selectorILNS1_17partition_subalgoE8ElNS0_10empty_typeEbEEZZNS1_14partition_implILS5_8ELb0ES3_jPlPS6_PKS6_NS0_5tupleIJS9_S6_EEENSD_IJSA_SA_EEENS0_18inequality_wrapperIZN2at6native12_GLOBAL__N_124unique_dim_cuda_templateIsEESt5tupleIJNSH_6TensorESM_SM_EERKSM_lbbbEUlllE0_EEPmJS6_EEE10hipError_tPvRmT3_T4_T5_T6_T7_T9_mT8_P12ihipStream_tbDpT10_ENKUlT_T0_E_clISt17integral_constantIbLb1EES1B_IbLb0EEEEDaS17_S18_EUlS17_E_NS1_11comp_targetILNS1_3genE0ELNS1_11target_archE4294967295ELNS1_3gpuE0ELNS1_3repE0EEENS1_30default_config_static_selectorELNS0_4arch9wavefront6targetE1EEEvT1_,@function
_ZN7rocprim17ROCPRIM_400000_NS6detail17trampoline_kernelINS0_14default_configENS1_25partition_config_selectorILNS1_17partition_subalgoE8ElNS0_10empty_typeEbEEZZNS1_14partition_implILS5_8ELb0ES3_jPlPS6_PKS6_NS0_5tupleIJS9_S6_EEENSD_IJSA_SA_EEENS0_18inequality_wrapperIZN2at6native12_GLOBAL__N_124unique_dim_cuda_templateIsEESt5tupleIJNSH_6TensorESM_SM_EERKSM_lbbbEUlllE0_EEPmJS6_EEE10hipError_tPvRmT3_T4_T5_T6_T7_T9_mT8_P12ihipStream_tbDpT10_ENKUlT_T0_E_clISt17integral_constantIbLb1EES1B_IbLb0EEEEDaS17_S18_EUlS17_E_NS1_11comp_targetILNS1_3genE0ELNS1_11target_archE4294967295ELNS1_3gpuE0ELNS1_3repE0EEENS1_30default_config_static_selectorELNS0_4arch9wavefront6targetE1EEEvT1_: ; @_ZN7rocprim17ROCPRIM_400000_NS6detail17trampoline_kernelINS0_14default_configENS1_25partition_config_selectorILNS1_17partition_subalgoE8ElNS0_10empty_typeEbEEZZNS1_14partition_implILS5_8ELb0ES3_jPlPS6_PKS6_NS0_5tupleIJS9_S6_EEENSD_IJSA_SA_EEENS0_18inequality_wrapperIZN2at6native12_GLOBAL__N_124unique_dim_cuda_templateIsEESt5tupleIJNSH_6TensorESM_SM_EERKSM_lbbbEUlllE0_EEPmJS6_EEE10hipError_tPvRmT3_T4_T5_T6_T7_T9_mT8_P12ihipStream_tbDpT10_ENKUlT_T0_E_clISt17integral_constantIbLb1EES1B_IbLb0EEEEDaS17_S18_EUlS17_E_NS1_11comp_targetILNS1_3genE0ELNS1_11target_archE4294967295ELNS1_3gpuE0ELNS1_3repE0EEENS1_30default_config_static_selectorELNS0_4arch9wavefront6targetE1EEEvT1_
; %bb.0:
	s_endpgm
	.section	.rodata,"a",@progbits
	.p2align	6, 0x0
	.amdhsa_kernel _ZN7rocprim17ROCPRIM_400000_NS6detail17trampoline_kernelINS0_14default_configENS1_25partition_config_selectorILNS1_17partition_subalgoE8ElNS0_10empty_typeEbEEZZNS1_14partition_implILS5_8ELb0ES3_jPlPS6_PKS6_NS0_5tupleIJS9_S6_EEENSD_IJSA_SA_EEENS0_18inequality_wrapperIZN2at6native12_GLOBAL__N_124unique_dim_cuda_templateIsEESt5tupleIJNSH_6TensorESM_SM_EERKSM_lbbbEUlllE0_EEPmJS6_EEE10hipError_tPvRmT3_T4_T5_T6_T7_T9_mT8_P12ihipStream_tbDpT10_ENKUlT_T0_E_clISt17integral_constantIbLb1EES1B_IbLb0EEEEDaS17_S18_EUlS17_E_NS1_11comp_targetILNS1_3genE0ELNS1_11target_archE4294967295ELNS1_3gpuE0ELNS1_3repE0EEENS1_30default_config_static_selectorELNS0_4arch9wavefront6targetE1EEEvT1_
		.amdhsa_group_segment_fixed_size 0
		.amdhsa_private_segment_fixed_size 0
		.amdhsa_kernarg_size 120
		.amdhsa_user_sgpr_count 2
		.amdhsa_user_sgpr_dispatch_ptr 0
		.amdhsa_user_sgpr_queue_ptr 0
		.amdhsa_user_sgpr_kernarg_segment_ptr 1
		.amdhsa_user_sgpr_dispatch_id 0
		.amdhsa_user_sgpr_kernarg_preload_length 0
		.amdhsa_user_sgpr_kernarg_preload_offset 0
		.amdhsa_user_sgpr_private_segment_size 0
		.amdhsa_uses_dynamic_stack 0
		.amdhsa_enable_private_segment 0
		.amdhsa_system_sgpr_workgroup_id_x 1
		.amdhsa_system_sgpr_workgroup_id_y 0
		.amdhsa_system_sgpr_workgroup_id_z 0
		.amdhsa_system_sgpr_workgroup_info 0
		.amdhsa_system_vgpr_workitem_id 0
		.amdhsa_next_free_vgpr 1
		.amdhsa_next_free_sgpr 0
		.amdhsa_accum_offset 4
		.amdhsa_reserve_vcc 0
		.amdhsa_float_round_mode_32 0
		.amdhsa_float_round_mode_16_64 0
		.amdhsa_float_denorm_mode_32 3
		.amdhsa_float_denorm_mode_16_64 3
		.amdhsa_dx10_clamp 1
		.amdhsa_ieee_mode 1
		.amdhsa_fp16_overflow 0
		.amdhsa_tg_split 0
		.amdhsa_exception_fp_ieee_invalid_op 0
		.amdhsa_exception_fp_denorm_src 0
		.amdhsa_exception_fp_ieee_div_zero 0
		.amdhsa_exception_fp_ieee_overflow 0
		.amdhsa_exception_fp_ieee_underflow 0
		.amdhsa_exception_fp_ieee_inexact 0
		.amdhsa_exception_int_div_zero 0
	.end_amdhsa_kernel
	.section	.text._ZN7rocprim17ROCPRIM_400000_NS6detail17trampoline_kernelINS0_14default_configENS1_25partition_config_selectorILNS1_17partition_subalgoE8ElNS0_10empty_typeEbEEZZNS1_14partition_implILS5_8ELb0ES3_jPlPS6_PKS6_NS0_5tupleIJS9_S6_EEENSD_IJSA_SA_EEENS0_18inequality_wrapperIZN2at6native12_GLOBAL__N_124unique_dim_cuda_templateIsEESt5tupleIJNSH_6TensorESM_SM_EERKSM_lbbbEUlllE0_EEPmJS6_EEE10hipError_tPvRmT3_T4_T5_T6_T7_T9_mT8_P12ihipStream_tbDpT10_ENKUlT_T0_E_clISt17integral_constantIbLb1EES1B_IbLb0EEEEDaS17_S18_EUlS17_E_NS1_11comp_targetILNS1_3genE0ELNS1_11target_archE4294967295ELNS1_3gpuE0ELNS1_3repE0EEENS1_30default_config_static_selectorELNS0_4arch9wavefront6targetE1EEEvT1_,"axG",@progbits,_ZN7rocprim17ROCPRIM_400000_NS6detail17trampoline_kernelINS0_14default_configENS1_25partition_config_selectorILNS1_17partition_subalgoE8ElNS0_10empty_typeEbEEZZNS1_14partition_implILS5_8ELb0ES3_jPlPS6_PKS6_NS0_5tupleIJS9_S6_EEENSD_IJSA_SA_EEENS0_18inequality_wrapperIZN2at6native12_GLOBAL__N_124unique_dim_cuda_templateIsEESt5tupleIJNSH_6TensorESM_SM_EERKSM_lbbbEUlllE0_EEPmJS6_EEE10hipError_tPvRmT3_T4_T5_T6_T7_T9_mT8_P12ihipStream_tbDpT10_ENKUlT_T0_E_clISt17integral_constantIbLb1EES1B_IbLb0EEEEDaS17_S18_EUlS17_E_NS1_11comp_targetILNS1_3genE0ELNS1_11target_archE4294967295ELNS1_3gpuE0ELNS1_3repE0EEENS1_30default_config_static_selectorELNS0_4arch9wavefront6targetE1EEEvT1_,comdat
.Lfunc_end701:
	.size	_ZN7rocprim17ROCPRIM_400000_NS6detail17trampoline_kernelINS0_14default_configENS1_25partition_config_selectorILNS1_17partition_subalgoE8ElNS0_10empty_typeEbEEZZNS1_14partition_implILS5_8ELb0ES3_jPlPS6_PKS6_NS0_5tupleIJS9_S6_EEENSD_IJSA_SA_EEENS0_18inequality_wrapperIZN2at6native12_GLOBAL__N_124unique_dim_cuda_templateIsEESt5tupleIJNSH_6TensorESM_SM_EERKSM_lbbbEUlllE0_EEPmJS6_EEE10hipError_tPvRmT3_T4_T5_T6_T7_T9_mT8_P12ihipStream_tbDpT10_ENKUlT_T0_E_clISt17integral_constantIbLb1EES1B_IbLb0EEEEDaS17_S18_EUlS17_E_NS1_11comp_targetILNS1_3genE0ELNS1_11target_archE4294967295ELNS1_3gpuE0ELNS1_3repE0EEENS1_30default_config_static_selectorELNS0_4arch9wavefront6targetE1EEEvT1_, .Lfunc_end701-_ZN7rocprim17ROCPRIM_400000_NS6detail17trampoline_kernelINS0_14default_configENS1_25partition_config_selectorILNS1_17partition_subalgoE8ElNS0_10empty_typeEbEEZZNS1_14partition_implILS5_8ELb0ES3_jPlPS6_PKS6_NS0_5tupleIJS9_S6_EEENSD_IJSA_SA_EEENS0_18inequality_wrapperIZN2at6native12_GLOBAL__N_124unique_dim_cuda_templateIsEESt5tupleIJNSH_6TensorESM_SM_EERKSM_lbbbEUlllE0_EEPmJS6_EEE10hipError_tPvRmT3_T4_T5_T6_T7_T9_mT8_P12ihipStream_tbDpT10_ENKUlT_T0_E_clISt17integral_constantIbLb1EES1B_IbLb0EEEEDaS17_S18_EUlS17_E_NS1_11comp_targetILNS1_3genE0ELNS1_11target_archE4294967295ELNS1_3gpuE0ELNS1_3repE0EEENS1_30default_config_static_selectorELNS0_4arch9wavefront6targetE1EEEvT1_
                                        ; -- End function
	.set _ZN7rocprim17ROCPRIM_400000_NS6detail17trampoline_kernelINS0_14default_configENS1_25partition_config_selectorILNS1_17partition_subalgoE8ElNS0_10empty_typeEbEEZZNS1_14partition_implILS5_8ELb0ES3_jPlPS6_PKS6_NS0_5tupleIJS9_S6_EEENSD_IJSA_SA_EEENS0_18inequality_wrapperIZN2at6native12_GLOBAL__N_124unique_dim_cuda_templateIsEESt5tupleIJNSH_6TensorESM_SM_EERKSM_lbbbEUlllE0_EEPmJS6_EEE10hipError_tPvRmT3_T4_T5_T6_T7_T9_mT8_P12ihipStream_tbDpT10_ENKUlT_T0_E_clISt17integral_constantIbLb1EES1B_IbLb0EEEEDaS17_S18_EUlS17_E_NS1_11comp_targetILNS1_3genE0ELNS1_11target_archE4294967295ELNS1_3gpuE0ELNS1_3repE0EEENS1_30default_config_static_selectorELNS0_4arch9wavefront6targetE1EEEvT1_.num_vgpr, 0
	.set _ZN7rocprim17ROCPRIM_400000_NS6detail17trampoline_kernelINS0_14default_configENS1_25partition_config_selectorILNS1_17partition_subalgoE8ElNS0_10empty_typeEbEEZZNS1_14partition_implILS5_8ELb0ES3_jPlPS6_PKS6_NS0_5tupleIJS9_S6_EEENSD_IJSA_SA_EEENS0_18inequality_wrapperIZN2at6native12_GLOBAL__N_124unique_dim_cuda_templateIsEESt5tupleIJNSH_6TensorESM_SM_EERKSM_lbbbEUlllE0_EEPmJS6_EEE10hipError_tPvRmT3_T4_T5_T6_T7_T9_mT8_P12ihipStream_tbDpT10_ENKUlT_T0_E_clISt17integral_constantIbLb1EES1B_IbLb0EEEEDaS17_S18_EUlS17_E_NS1_11comp_targetILNS1_3genE0ELNS1_11target_archE4294967295ELNS1_3gpuE0ELNS1_3repE0EEENS1_30default_config_static_selectorELNS0_4arch9wavefront6targetE1EEEvT1_.num_agpr, 0
	.set _ZN7rocprim17ROCPRIM_400000_NS6detail17trampoline_kernelINS0_14default_configENS1_25partition_config_selectorILNS1_17partition_subalgoE8ElNS0_10empty_typeEbEEZZNS1_14partition_implILS5_8ELb0ES3_jPlPS6_PKS6_NS0_5tupleIJS9_S6_EEENSD_IJSA_SA_EEENS0_18inequality_wrapperIZN2at6native12_GLOBAL__N_124unique_dim_cuda_templateIsEESt5tupleIJNSH_6TensorESM_SM_EERKSM_lbbbEUlllE0_EEPmJS6_EEE10hipError_tPvRmT3_T4_T5_T6_T7_T9_mT8_P12ihipStream_tbDpT10_ENKUlT_T0_E_clISt17integral_constantIbLb1EES1B_IbLb0EEEEDaS17_S18_EUlS17_E_NS1_11comp_targetILNS1_3genE0ELNS1_11target_archE4294967295ELNS1_3gpuE0ELNS1_3repE0EEENS1_30default_config_static_selectorELNS0_4arch9wavefront6targetE1EEEvT1_.numbered_sgpr, 0
	.set _ZN7rocprim17ROCPRIM_400000_NS6detail17trampoline_kernelINS0_14default_configENS1_25partition_config_selectorILNS1_17partition_subalgoE8ElNS0_10empty_typeEbEEZZNS1_14partition_implILS5_8ELb0ES3_jPlPS6_PKS6_NS0_5tupleIJS9_S6_EEENSD_IJSA_SA_EEENS0_18inequality_wrapperIZN2at6native12_GLOBAL__N_124unique_dim_cuda_templateIsEESt5tupleIJNSH_6TensorESM_SM_EERKSM_lbbbEUlllE0_EEPmJS6_EEE10hipError_tPvRmT3_T4_T5_T6_T7_T9_mT8_P12ihipStream_tbDpT10_ENKUlT_T0_E_clISt17integral_constantIbLb1EES1B_IbLb0EEEEDaS17_S18_EUlS17_E_NS1_11comp_targetILNS1_3genE0ELNS1_11target_archE4294967295ELNS1_3gpuE0ELNS1_3repE0EEENS1_30default_config_static_selectorELNS0_4arch9wavefront6targetE1EEEvT1_.num_named_barrier, 0
	.set _ZN7rocprim17ROCPRIM_400000_NS6detail17trampoline_kernelINS0_14default_configENS1_25partition_config_selectorILNS1_17partition_subalgoE8ElNS0_10empty_typeEbEEZZNS1_14partition_implILS5_8ELb0ES3_jPlPS6_PKS6_NS0_5tupleIJS9_S6_EEENSD_IJSA_SA_EEENS0_18inequality_wrapperIZN2at6native12_GLOBAL__N_124unique_dim_cuda_templateIsEESt5tupleIJNSH_6TensorESM_SM_EERKSM_lbbbEUlllE0_EEPmJS6_EEE10hipError_tPvRmT3_T4_T5_T6_T7_T9_mT8_P12ihipStream_tbDpT10_ENKUlT_T0_E_clISt17integral_constantIbLb1EES1B_IbLb0EEEEDaS17_S18_EUlS17_E_NS1_11comp_targetILNS1_3genE0ELNS1_11target_archE4294967295ELNS1_3gpuE0ELNS1_3repE0EEENS1_30default_config_static_selectorELNS0_4arch9wavefront6targetE1EEEvT1_.private_seg_size, 0
	.set _ZN7rocprim17ROCPRIM_400000_NS6detail17trampoline_kernelINS0_14default_configENS1_25partition_config_selectorILNS1_17partition_subalgoE8ElNS0_10empty_typeEbEEZZNS1_14partition_implILS5_8ELb0ES3_jPlPS6_PKS6_NS0_5tupleIJS9_S6_EEENSD_IJSA_SA_EEENS0_18inequality_wrapperIZN2at6native12_GLOBAL__N_124unique_dim_cuda_templateIsEESt5tupleIJNSH_6TensorESM_SM_EERKSM_lbbbEUlllE0_EEPmJS6_EEE10hipError_tPvRmT3_T4_T5_T6_T7_T9_mT8_P12ihipStream_tbDpT10_ENKUlT_T0_E_clISt17integral_constantIbLb1EES1B_IbLb0EEEEDaS17_S18_EUlS17_E_NS1_11comp_targetILNS1_3genE0ELNS1_11target_archE4294967295ELNS1_3gpuE0ELNS1_3repE0EEENS1_30default_config_static_selectorELNS0_4arch9wavefront6targetE1EEEvT1_.uses_vcc, 0
	.set _ZN7rocprim17ROCPRIM_400000_NS6detail17trampoline_kernelINS0_14default_configENS1_25partition_config_selectorILNS1_17partition_subalgoE8ElNS0_10empty_typeEbEEZZNS1_14partition_implILS5_8ELb0ES3_jPlPS6_PKS6_NS0_5tupleIJS9_S6_EEENSD_IJSA_SA_EEENS0_18inequality_wrapperIZN2at6native12_GLOBAL__N_124unique_dim_cuda_templateIsEESt5tupleIJNSH_6TensorESM_SM_EERKSM_lbbbEUlllE0_EEPmJS6_EEE10hipError_tPvRmT3_T4_T5_T6_T7_T9_mT8_P12ihipStream_tbDpT10_ENKUlT_T0_E_clISt17integral_constantIbLb1EES1B_IbLb0EEEEDaS17_S18_EUlS17_E_NS1_11comp_targetILNS1_3genE0ELNS1_11target_archE4294967295ELNS1_3gpuE0ELNS1_3repE0EEENS1_30default_config_static_selectorELNS0_4arch9wavefront6targetE1EEEvT1_.uses_flat_scratch, 0
	.set _ZN7rocprim17ROCPRIM_400000_NS6detail17trampoline_kernelINS0_14default_configENS1_25partition_config_selectorILNS1_17partition_subalgoE8ElNS0_10empty_typeEbEEZZNS1_14partition_implILS5_8ELb0ES3_jPlPS6_PKS6_NS0_5tupleIJS9_S6_EEENSD_IJSA_SA_EEENS0_18inequality_wrapperIZN2at6native12_GLOBAL__N_124unique_dim_cuda_templateIsEESt5tupleIJNSH_6TensorESM_SM_EERKSM_lbbbEUlllE0_EEPmJS6_EEE10hipError_tPvRmT3_T4_T5_T6_T7_T9_mT8_P12ihipStream_tbDpT10_ENKUlT_T0_E_clISt17integral_constantIbLb1EES1B_IbLb0EEEEDaS17_S18_EUlS17_E_NS1_11comp_targetILNS1_3genE0ELNS1_11target_archE4294967295ELNS1_3gpuE0ELNS1_3repE0EEENS1_30default_config_static_selectorELNS0_4arch9wavefront6targetE1EEEvT1_.has_dyn_sized_stack, 0
	.set _ZN7rocprim17ROCPRIM_400000_NS6detail17trampoline_kernelINS0_14default_configENS1_25partition_config_selectorILNS1_17partition_subalgoE8ElNS0_10empty_typeEbEEZZNS1_14partition_implILS5_8ELb0ES3_jPlPS6_PKS6_NS0_5tupleIJS9_S6_EEENSD_IJSA_SA_EEENS0_18inequality_wrapperIZN2at6native12_GLOBAL__N_124unique_dim_cuda_templateIsEESt5tupleIJNSH_6TensorESM_SM_EERKSM_lbbbEUlllE0_EEPmJS6_EEE10hipError_tPvRmT3_T4_T5_T6_T7_T9_mT8_P12ihipStream_tbDpT10_ENKUlT_T0_E_clISt17integral_constantIbLb1EES1B_IbLb0EEEEDaS17_S18_EUlS17_E_NS1_11comp_targetILNS1_3genE0ELNS1_11target_archE4294967295ELNS1_3gpuE0ELNS1_3repE0EEENS1_30default_config_static_selectorELNS0_4arch9wavefront6targetE1EEEvT1_.has_recursion, 0
	.set _ZN7rocprim17ROCPRIM_400000_NS6detail17trampoline_kernelINS0_14default_configENS1_25partition_config_selectorILNS1_17partition_subalgoE8ElNS0_10empty_typeEbEEZZNS1_14partition_implILS5_8ELb0ES3_jPlPS6_PKS6_NS0_5tupleIJS9_S6_EEENSD_IJSA_SA_EEENS0_18inequality_wrapperIZN2at6native12_GLOBAL__N_124unique_dim_cuda_templateIsEESt5tupleIJNSH_6TensorESM_SM_EERKSM_lbbbEUlllE0_EEPmJS6_EEE10hipError_tPvRmT3_T4_T5_T6_T7_T9_mT8_P12ihipStream_tbDpT10_ENKUlT_T0_E_clISt17integral_constantIbLb1EES1B_IbLb0EEEEDaS17_S18_EUlS17_E_NS1_11comp_targetILNS1_3genE0ELNS1_11target_archE4294967295ELNS1_3gpuE0ELNS1_3repE0EEENS1_30default_config_static_selectorELNS0_4arch9wavefront6targetE1EEEvT1_.has_indirect_call, 0
	.section	.AMDGPU.csdata,"",@progbits
; Kernel info:
; codeLenInByte = 4
; TotalNumSgprs: 6
; NumVgprs: 0
; NumAgprs: 0
; TotalNumVgprs: 0
; ScratchSize: 0
; MemoryBound: 0
; FloatMode: 240
; IeeeMode: 1
; LDSByteSize: 0 bytes/workgroup (compile time only)
; SGPRBlocks: 0
; VGPRBlocks: 0
; NumSGPRsForWavesPerEU: 6
; NumVGPRsForWavesPerEU: 1
; AccumOffset: 4
; Occupancy: 8
; WaveLimiterHint : 0
; COMPUTE_PGM_RSRC2:SCRATCH_EN: 0
; COMPUTE_PGM_RSRC2:USER_SGPR: 2
; COMPUTE_PGM_RSRC2:TRAP_HANDLER: 0
; COMPUTE_PGM_RSRC2:TGID_X_EN: 1
; COMPUTE_PGM_RSRC2:TGID_Y_EN: 0
; COMPUTE_PGM_RSRC2:TGID_Z_EN: 0
; COMPUTE_PGM_RSRC2:TIDIG_COMP_CNT: 0
; COMPUTE_PGM_RSRC3_GFX90A:ACCUM_OFFSET: 0
; COMPUTE_PGM_RSRC3_GFX90A:TG_SPLIT: 0
	.section	.text._ZN7rocprim17ROCPRIM_400000_NS6detail17trampoline_kernelINS0_14default_configENS1_25partition_config_selectorILNS1_17partition_subalgoE8ElNS0_10empty_typeEbEEZZNS1_14partition_implILS5_8ELb0ES3_jPlPS6_PKS6_NS0_5tupleIJS9_S6_EEENSD_IJSA_SA_EEENS0_18inequality_wrapperIZN2at6native12_GLOBAL__N_124unique_dim_cuda_templateIsEESt5tupleIJNSH_6TensorESM_SM_EERKSM_lbbbEUlllE0_EEPmJS6_EEE10hipError_tPvRmT3_T4_T5_T6_T7_T9_mT8_P12ihipStream_tbDpT10_ENKUlT_T0_E_clISt17integral_constantIbLb1EES1B_IbLb0EEEEDaS17_S18_EUlS17_E_NS1_11comp_targetILNS1_3genE5ELNS1_11target_archE942ELNS1_3gpuE9ELNS1_3repE0EEENS1_30default_config_static_selectorELNS0_4arch9wavefront6targetE1EEEvT1_,"axG",@progbits,_ZN7rocprim17ROCPRIM_400000_NS6detail17trampoline_kernelINS0_14default_configENS1_25partition_config_selectorILNS1_17partition_subalgoE8ElNS0_10empty_typeEbEEZZNS1_14partition_implILS5_8ELb0ES3_jPlPS6_PKS6_NS0_5tupleIJS9_S6_EEENSD_IJSA_SA_EEENS0_18inequality_wrapperIZN2at6native12_GLOBAL__N_124unique_dim_cuda_templateIsEESt5tupleIJNSH_6TensorESM_SM_EERKSM_lbbbEUlllE0_EEPmJS6_EEE10hipError_tPvRmT3_T4_T5_T6_T7_T9_mT8_P12ihipStream_tbDpT10_ENKUlT_T0_E_clISt17integral_constantIbLb1EES1B_IbLb0EEEEDaS17_S18_EUlS17_E_NS1_11comp_targetILNS1_3genE5ELNS1_11target_archE942ELNS1_3gpuE9ELNS1_3repE0EEENS1_30default_config_static_selectorELNS0_4arch9wavefront6targetE1EEEvT1_,comdat
	.globl	_ZN7rocprim17ROCPRIM_400000_NS6detail17trampoline_kernelINS0_14default_configENS1_25partition_config_selectorILNS1_17partition_subalgoE8ElNS0_10empty_typeEbEEZZNS1_14partition_implILS5_8ELb0ES3_jPlPS6_PKS6_NS0_5tupleIJS9_S6_EEENSD_IJSA_SA_EEENS0_18inequality_wrapperIZN2at6native12_GLOBAL__N_124unique_dim_cuda_templateIsEESt5tupleIJNSH_6TensorESM_SM_EERKSM_lbbbEUlllE0_EEPmJS6_EEE10hipError_tPvRmT3_T4_T5_T6_T7_T9_mT8_P12ihipStream_tbDpT10_ENKUlT_T0_E_clISt17integral_constantIbLb1EES1B_IbLb0EEEEDaS17_S18_EUlS17_E_NS1_11comp_targetILNS1_3genE5ELNS1_11target_archE942ELNS1_3gpuE9ELNS1_3repE0EEENS1_30default_config_static_selectorELNS0_4arch9wavefront6targetE1EEEvT1_ ; -- Begin function _ZN7rocprim17ROCPRIM_400000_NS6detail17trampoline_kernelINS0_14default_configENS1_25partition_config_selectorILNS1_17partition_subalgoE8ElNS0_10empty_typeEbEEZZNS1_14partition_implILS5_8ELb0ES3_jPlPS6_PKS6_NS0_5tupleIJS9_S6_EEENSD_IJSA_SA_EEENS0_18inequality_wrapperIZN2at6native12_GLOBAL__N_124unique_dim_cuda_templateIsEESt5tupleIJNSH_6TensorESM_SM_EERKSM_lbbbEUlllE0_EEPmJS6_EEE10hipError_tPvRmT3_T4_T5_T6_T7_T9_mT8_P12ihipStream_tbDpT10_ENKUlT_T0_E_clISt17integral_constantIbLb1EES1B_IbLb0EEEEDaS17_S18_EUlS17_E_NS1_11comp_targetILNS1_3genE5ELNS1_11target_archE942ELNS1_3gpuE9ELNS1_3repE0EEENS1_30default_config_static_selectorELNS0_4arch9wavefront6targetE1EEEvT1_
	.p2align	8
	.type	_ZN7rocprim17ROCPRIM_400000_NS6detail17trampoline_kernelINS0_14default_configENS1_25partition_config_selectorILNS1_17partition_subalgoE8ElNS0_10empty_typeEbEEZZNS1_14partition_implILS5_8ELb0ES3_jPlPS6_PKS6_NS0_5tupleIJS9_S6_EEENSD_IJSA_SA_EEENS0_18inequality_wrapperIZN2at6native12_GLOBAL__N_124unique_dim_cuda_templateIsEESt5tupleIJNSH_6TensorESM_SM_EERKSM_lbbbEUlllE0_EEPmJS6_EEE10hipError_tPvRmT3_T4_T5_T6_T7_T9_mT8_P12ihipStream_tbDpT10_ENKUlT_T0_E_clISt17integral_constantIbLb1EES1B_IbLb0EEEEDaS17_S18_EUlS17_E_NS1_11comp_targetILNS1_3genE5ELNS1_11target_archE942ELNS1_3gpuE9ELNS1_3repE0EEENS1_30default_config_static_selectorELNS0_4arch9wavefront6targetE1EEEvT1_,@function
_ZN7rocprim17ROCPRIM_400000_NS6detail17trampoline_kernelINS0_14default_configENS1_25partition_config_selectorILNS1_17partition_subalgoE8ElNS0_10empty_typeEbEEZZNS1_14partition_implILS5_8ELb0ES3_jPlPS6_PKS6_NS0_5tupleIJS9_S6_EEENSD_IJSA_SA_EEENS0_18inequality_wrapperIZN2at6native12_GLOBAL__N_124unique_dim_cuda_templateIsEESt5tupleIJNSH_6TensorESM_SM_EERKSM_lbbbEUlllE0_EEPmJS6_EEE10hipError_tPvRmT3_T4_T5_T6_T7_T9_mT8_P12ihipStream_tbDpT10_ENKUlT_T0_E_clISt17integral_constantIbLb1EES1B_IbLb0EEEEDaS17_S18_EUlS17_E_NS1_11comp_targetILNS1_3genE5ELNS1_11target_archE942ELNS1_3gpuE9ELNS1_3repE0EEENS1_30default_config_static_selectorELNS0_4arch9wavefront6targetE1EEEvT1_: ; @_ZN7rocprim17ROCPRIM_400000_NS6detail17trampoline_kernelINS0_14default_configENS1_25partition_config_selectorILNS1_17partition_subalgoE8ElNS0_10empty_typeEbEEZZNS1_14partition_implILS5_8ELb0ES3_jPlPS6_PKS6_NS0_5tupleIJS9_S6_EEENSD_IJSA_SA_EEENS0_18inequality_wrapperIZN2at6native12_GLOBAL__N_124unique_dim_cuda_templateIsEESt5tupleIJNSH_6TensorESM_SM_EERKSM_lbbbEUlllE0_EEPmJS6_EEE10hipError_tPvRmT3_T4_T5_T6_T7_T9_mT8_P12ihipStream_tbDpT10_ENKUlT_T0_E_clISt17integral_constantIbLb1EES1B_IbLb0EEEEDaS17_S18_EUlS17_E_NS1_11comp_targetILNS1_3genE5ELNS1_11target_archE942ELNS1_3gpuE9ELNS1_3repE0EEENS1_30default_config_static_selectorELNS0_4arch9wavefront6targetE1EEEvT1_
; %bb.0:
	.section	.rodata,"a",@progbits
	.p2align	6, 0x0
	.amdhsa_kernel _ZN7rocprim17ROCPRIM_400000_NS6detail17trampoline_kernelINS0_14default_configENS1_25partition_config_selectorILNS1_17partition_subalgoE8ElNS0_10empty_typeEbEEZZNS1_14partition_implILS5_8ELb0ES3_jPlPS6_PKS6_NS0_5tupleIJS9_S6_EEENSD_IJSA_SA_EEENS0_18inequality_wrapperIZN2at6native12_GLOBAL__N_124unique_dim_cuda_templateIsEESt5tupleIJNSH_6TensorESM_SM_EERKSM_lbbbEUlllE0_EEPmJS6_EEE10hipError_tPvRmT3_T4_T5_T6_T7_T9_mT8_P12ihipStream_tbDpT10_ENKUlT_T0_E_clISt17integral_constantIbLb1EES1B_IbLb0EEEEDaS17_S18_EUlS17_E_NS1_11comp_targetILNS1_3genE5ELNS1_11target_archE942ELNS1_3gpuE9ELNS1_3repE0EEENS1_30default_config_static_selectorELNS0_4arch9wavefront6targetE1EEEvT1_
		.amdhsa_group_segment_fixed_size 0
		.amdhsa_private_segment_fixed_size 0
		.amdhsa_kernarg_size 120
		.amdhsa_user_sgpr_count 2
		.amdhsa_user_sgpr_dispatch_ptr 0
		.amdhsa_user_sgpr_queue_ptr 0
		.amdhsa_user_sgpr_kernarg_segment_ptr 1
		.amdhsa_user_sgpr_dispatch_id 0
		.amdhsa_user_sgpr_kernarg_preload_length 0
		.amdhsa_user_sgpr_kernarg_preload_offset 0
		.amdhsa_user_sgpr_private_segment_size 0
		.amdhsa_uses_dynamic_stack 0
		.amdhsa_enable_private_segment 0
		.amdhsa_system_sgpr_workgroup_id_x 1
		.amdhsa_system_sgpr_workgroup_id_y 0
		.amdhsa_system_sgpr_workgroup_id_z 0
		.amdhsa_system_sgpr_workgroup_info 0
		.amdhsa_system_vgpr_workitem_id 0
		.amdhsa_next_free_vgpr 1
		.amdhsa_next_free_sgpr 0
		.amdhsa_accum_offset 4
		.amdhsa_reserve_vcc 0
		.amdhsa_float_round_mode_32 0
		.amdhsa_float_round_mode_16_64 0
		.amdhsa_float_denorm_mode_32 3
		.amdhsa_float_denorm_mode_16_64 3
		.amdhsa_dx10_clamp 1
		.amdhsa_ieee_mode 1
		.amdhsa_fp16_overflow 0
		.amdhsa_tg_split 0
		.amdhsa_exception_fp_ieee_invalid_op 0
		.amdhsa_exception_fp_denorm_src 0
		.amdhsa_exception_fp_ieee_div_zero 0
		.amdhsa_exception_fp_ieee_overflow 0
		.amdhsa_exception_fp_ieee_underflow 0
		.amdhsa_exception_fp_ieee_inexact 0
		.amdhsa_exception_int_div_zero 0
	.end_amdhsa_kernel
	.section	.text._ZN7rocprim17ROCPRIM_400000_NS6detail17trampoline_kernelINS0_14default_configENS1_25partition_config_selectorILNS1_17partition_subalgoE8ElNS0_10empty_typeEbEEZZNS1_14partition_implILS5_8ELb0ES3_jPlPS6_PKS6_NS0_5tupleIJS9_S6_EEENSD_IJSA_SA_EEENS0_18inequality_wrapperIZN2at6native12_GLOBAL__N_124unique_dim_cuda_templateIsEESt5tupleIJNSH_6TensorESM_SM_EERKSM_lbbbEUlllE0_EEPmJS6_EEE10hipError_tPvRmT3_T4_T5_T6_T7_T9_mT8_P12ihipStream_tbDpT10_ENKUlT_T0_E_clISt17integral_constantIbLb1EES1B_IbLb0EEEEDaS17_S18_EUlS17_E_NS1_11comp_targetILNS1_3genE5ELNS1_11target_archE942ELNS1_3gpuE9ELNS1_3repE0EEENS1_30default_config_static_selectorELNS0_4arch9wavefront6targetE1EEEvT1_,"axG",@progbits,_ZN7rocprim17ROCPRIM_400000_NS6detail17trampoline_kernelINS0_14default_configENS1_25partition_config_selectorILNS1_17partition_subalgoE8ElNS0_10empty_typeEbEEZZNS1_14partition_implILS5_8ELb0ES3_jPlPS6_PKS6_NS0_5tupleIJS9_S6_EEENSD_IJSA_SA_EEENS0_18inequality_wrapperIZN2at6native12_GLOBAL__N_124unique_dim_cuda_templateIsEESt5tupleIJNSH_6TensorESM_SM_EERKSM_lbbbEUlllE0_EEPmJS6_EEE10hipError_tPvRmT3_T4_T5_T6_T7_T9_mT8_P12ihipStream_tbDpT10_ENKUlT_T0_E_clISt17integral_constantIbLb1EES1B_IbLb0EEEEDaS17_S18_EUlS17_E_NS1_11comp_targetILNS1_3genE5ELNS1_11target_archE942ELNS1_3gpuE9ELNS1_3repE0EEENS1_30default_config_static_selectorELNS0_4arch9wavefront6targetE1EEEvT1_,comdat
.Lfunc_end702:
	.size	_ZN7rocprim17ROCPRIM_400000_NS6detail17trampoline_kernelINS0_14default_configENS1_25partition_config_selectorILNS1_17partition_subalgoE8ElNS0_10empty_typeEbEEZZNS1_14partition_implILS5_8ELb0ES3_jPlPS6_PKS6_NS0_5tupleIJS9_S6_EEENSD_IJSA_SA_EEENS0_18inequality_wrapperIZN2at6native12_GLOBAL__N_124unique_dim_cuda_templateIsEESt5tupleIJNSH_6TensorESM_SM_EERKSM_lbbbEUlllE0_EEPmJS6_EEE10hipError_tPvRmT3_T4_T5_T6_T7_T9_mT8_P12ihipStream_tbDpT10_ENKUlT_T0_E_clISt17integral_constantIbLb1EES1B_IbLb0EEEEDaS17_S18_EUlS17_E_NS1_11comp_targetILNS1_3genE5ELNS1_11target_archE942ELNS1_3gpuE9ELNS1_3repE0EEENS1_30default_config_static_selectorELNS0_4arch9wavefront6targetE1EEEvT1_, .Lfunc_end702-_ZN7rocprim17ROCPRIM_400000_NS6detail17trampoline_kernelINS0_14default_configENS1_25partition_config_selectorILNS1_17partition_subalgoE8ElNS0_10empty_typeEbEEZZNS1_14partition_implILS5_8ELb0ES3_jPlPS6_PKS6_NS0_5tupleIJS9_S6_EEENSD_IJSA_SA_EEENS0_18inequality_wrapperIZN2at6native12_GLOBAL__N_124unique_dim_cuda_templateIsEESt5tupleIJNSH_6TensorESM_SM_EERKSM_lbbbEUlllE0_EEPmJS6_EEE10hipError_tPvRmT3_T4_T5_T6_T7_T9_mT8_P12ihipStream_tbDpT10_ENKUlT_T0_E_clISt17integral_constantIbLb1EES1B_IbLb0EEEEDaS17_S18_EUlS17_E_NS1_11comp_targetILNS1_3genE5ELNS1_11target_archE942ELNS1_3gpuE9ELNS1_3repE0EEENS1_30default_config_static_selectorELNS0_4arch9wavefront6targetE1EEEvT1_
                                        ; -- End function
	.set _ZN7rocprim17ROCPRIM_400000_NS6detail17trampoline_kernelINS0_14default_configENS1_25partition_config_selectorILNS1_17partition_subalgoE8ElNS0_10empty_typeEbEEZZNS1_14partition_implILS5_8ELb0ES3_jPlPS6_PKS6_NS0_5tupleIJS9_S6_EEENSD_IJSA_SA_EEENS0_18inequality_wrapperIZN2at6native12_GLOBAL__N_124unique_dim_cuda_templateIsEESt5tupleIJNSH_6TensorESM_SM_EERKSM_lbbbEUlllE0_EEPmJS6_EEE10hipError_tPvRmT3_T4_T5_T6_T7_T9_mT8_P12ihipStream_tbDpT10_ENKUlT_T0_E_clISt17integral_constantIbLb1EES1B_IbLb0EEEEDaS17_S18_EUlS17_E_NS1_11comp_targetILNS1_3genE5ELNS1_11target_archE942ELNS1_3gpuE9ELNS1_3repE0EEENS1_30default_config_static_selectorELNS0_4arch9wavefront6targetE1EEEvT1_.num_vgpr, 0
	.set _ZN7rocprim17ROCPRIM_400000_NS6detail17trampoline_kernelINS0_14default_configENS1_25partition_config_selectorILNS1_17partition_subalgoE8ElNS0_10empty_typeEbEEZZNS1_14partition_implILS5_8ELb0ES3_jPlPS6_PKS6_NS0_5tupleIJS9_S6_EEENSD_IJSA_SA_EEENS0_18inequality_wrapperIZN2at6native12_GLOBAL__N_124unique_dim_cuda_templateIsEESt5tupleIJNSH_6TensorESM_SM_EERKSM_lbbbEUlllE0_EEPmJS6_EEE10hipError_tPvRmT3_T4_T5_T6_T7_T9_mT8_P12ihipStream_tbDpT10_ENKUlT_T0_E_clISt17integral_constantIbLb1EES1B_IbLb0EEEEDaS17_S18_EUlS17_E_NS1_11comp_targetILNS1_3genE5ELNS1_11target_archE942ELNS1_3gpuE9ELNS1_3repE0EEENS1_30default_config_static_selectorELNS0_4arch9wavefront6targetE1EEEvT1_.num_agpr, 0
	.set _ZN7rocprim17ROCPRIM_400000_NS6detail17trampoline_kernelINS0_14default_configENS1_25partition_config_selectorILNS1_17partition_subalgoE8ElNS0_10empty_typeEbEEZZNS1_14partition_implILS5_8ELb0ES3_jPlPS6_PKS6_NS0_5tupleIJS9_S6_EEENSD_IJSA_SA_EEENS0_18inequality_wrapperIZN2at6native12_GLOBAL__N_124unique_dim_cuda_templateIsEESt5tupleIJNSH_6TensorESM_SM_EERKSM_lbbbEUlllE0_EEPmJS6_EEE10hipError_tPvRmT3_T4_T5_T6_T7_T9_mT8_P12ihipStream_tbDpT10_ENKUlT_T0_E_clISt17integral_constantIbLb1EES1B_IbLb0EEEEDaS17_S18_EUlS17_E_NS1_11comp_targetILNS1_3genE5ELNS1_11target_archE942ELNS1_3gpuE9ELNS1_3repE0EEENS1_30default_config_static_selectorELNS0_4arch9wavefront6targetE1EEEvT1_.numbered_sgpr, 0
	.set _ZN7rocprim17ROCPRIM_400000_NS6detail17trampoline_kernelINS0_14default_configENS1_25partition_config_selectorILNS1_17partition_subalgoE8ElNS0_10empty_typeEbEEZZNS1_14partition_implILS5_8ELb0ES3_jPlPS6_PKS6_NS0_5tupleIJS9_S6_EEENSD_IJSA_SA_EEENS0_18inequality_wrapperIZN2at6native12_GLOBAL__N_124unique_dim_cuda_templateIsEESt5tupleIJNSH_6TensorESM_SM_EERKSM_lbbbEUlllE0_EEPmJS6_EEE10hipError_tPvRmT3_T4_T5_T6_T7_T9_mT8_P12ihipStream_tbDpT10_ENKUlT_T0_E_clISt17integral_constantIbLb1EES1B_IbLb0EEEEDaS17_S18_EUlS17_E_NS1_11comp_targetILNS1_3genE5ELNS1_11target_archE942ELNS1_3gpuE9ELNS1_3repE0EEENS1_30default_config_static_selectorELNS0_4arch9wavefront6targetE1EEEvT1_.num_named_barrier, 0
	.set _ZN7rocprim17ROCPRIM_400000_NS6detail17trampoline_kernelINS0_14default_configENS1_25partition_config_selectorILNS1_17partition_subalgoE8ElNS0_10empty_typeEbEEZZNS1_14partition_implILS5_8ELb0ES3_jPlPS6_PKS6_NS0_5tupleIJS9_S6_EEENSD_IJSA_SA_EEENS0_18inequality_wrapperIZN2at6native12_GLOBAL__N_124unique_dim_cuda_templateIsEESt5tupleIJNSH_6TensorESM_SM_EERKSM_lbbbEUlllE0_EEPmJS6_EEE10hipError_tPvRmT3_T4_T5_T6_T7_T9_mT8_P12ihipStream_tbDpT10_ENKUlT_T0_E_clISt17integral_constantIbLb1EES1B_IbLb0EEEEDaS17_S18_EUlS17_E_NS1_11comp_targetILNS1_3genE5ELNS1_11target_archE942ELNS1_3gpuE9ELNS1_3repE0EEENS1_30default_config_static_selectorELNS0_4arch9wavefront6targetE1EEEvT1_.private_seg_size, 0
	.set _ZN7rocprim17ROCPRIM_400000_NS6detail17trampoline_kernelINS0_14default_configENS1_25partition_config_selectorILNS1_17partition_subalgoE8ElNS0_10empty_typeEbEEZZNS1_14partition_implILS5_8ELb0ES3_jPlPS6_PKS6_NS0_5tupleIJS9_S6_EEENSD_IJSA_SA_EEENS0_18inequality_wrapperIZN2at6native12_GLOBAL__N_124unique_dim_cuda_templateIsEESt5tupleIJNSH_6TensorESM_SM_EERKSM_lbbbEUlllE0_EEPmJS6_EEE10hipError_tPvRmT3_T4_T5_T6_T7_T9_mT8_P12ihipStream_tbDpT10_ENKUlT_T0_E_clISt17integral_constantIbLb1EES1B_IbLb0EEEEDaS17_S18_EUlS17_E_NS1_11comp_targetILNS1_3genE5ELNS1_11target_archE942ELNS1_3gpuE9ELNS1_3repE0EEENS1_30default_config_static_selectorELNS0_4arch9wavefront6targetE1EEEvT1_.uses_vcc, 0
	.set _ZN7rocprim17ROCPRIM_400000_NS6detail17trampoline_kernelINS0_14default_configENS1_25partition_config_selectorILNS1_17partition_subalgoE8ElNS0_10empty_typeEbEEZZNS1_14partition_implILS5_8ELb0ES3_jPlPS6_PKS6_NS0_5tupleIJS9_S6_EEENSD_IJSA_SA_EEENS0_18inequality_wrapperIZN2at6native12_GLOBAL__N_124unique_dim_cuda_templateIsEESt5tupleIJNSH_6TensorESM_SM_EERKSM_lbbbEUlllE0_EEPmJS6_EEE10hipError_tPvRmT3_T4_T5_T6_T7_T9_mT8_P12ihipStream_tbDpT10_ENKUlT_T0_E_clISt17integral_constantIbLb1EES1B_IbLb0EEEEDaS17_S18_EUlS17_E_NS1_11comp_targetILNS1_3genE5ELNS1_11target_archE942ELNS1_3gpuE9ELNS1_3repE0EEENS1_30default_config_static_selectorELNS0_4arch9wavefront6targetE1EEEvT1_.uses_flat_scratch, 0
	.set _ZN7rocprim17ROCPRIM_400000_NS6detail17trampoline_kernelINS0_14default_configENS1_25partition_config_selectorILNS1_17partition_subalgoE8ElNS0_10empty_typeEbEEZZNS1_14partition_implILS5_8ELb0ES3_jPlPS6_PKS6_NS0_5tupleIJS9_S6_EEENSD_IJSA_SA_EEENS0_18inequality_wrapperIZN2at6native12_GLOBAL__N_124unique_dim_cuda_templateIsEESt5tupleIJNSH_6TensorESM_SM_EERKSM_lbbbEUlllE0_EEPmJS6_EEE10hipError_tPvRmT3_T4_T5_T6_T7_T9_mT8_P12ihipStream_tbDpT10_ENKUlT_T0_E_clISt17integral_constantIbLb1EES1B_IbLb0EEEEDaS17_S18_EUlS17_E_NS1_11comp_targetILNS1_3genE5ELNS1_11target_archE942ELNS1_3gpuE9ELNS1_3repE0EEENS1_30default_config_static_selectorELNS0_4arch9wavefront6targetE1EEEvT1_.has_dyn_sized_stack, 0
	.set _ZN7rocprim17ROCPRIM_400000_NS6detail17trampoline_kernelINS0_14default_configENS1_25partition_config_selectorILNS1_17partition_subalgoE8ElNS0_10empty_typeEbEEZZNS1_14partition_implILS5_8ELb0ES3_jPlPS6_PKS6_NS0_5tupleIJS9_S6_EEENSD_IJSA_SA_EEENS0_18inequality_wrapperIZN2at6native12_GLOBAL__N_124unique_dim_cuda_templateIsEESt5tupleIJNSH_6TensorESM_SM_EERKSM_lbbbEUlllE0_EEPmJS6_EEE10hipError_tPvRmT3_T4_T5_T6_T7_T9_mT8_P12ihipStream_tbDpT10_ENKUlT_T0_E_clISt17integral_constantIbLb1EES1B_IbLb0EEEEDaS17_S18_EUlS17_E_NS1_11comp_targetILNS1_3genE5ELNS1_11target_archE942ELNS1_3gpuE9ELNS1_3repE0EEENS1_30default_config_static_selectorELNS0_4arch9wavefront6targetE1EEEvT1_.has_recursion, 0
	.set _ZN7rocprim17ROCPRIM_400000_NS6detail17trampoline_kernelINS0_14default_configENS1_25partition_config_selectorILNS1_17partition_subalgoE8ElNS0_10empty_typeEbEEZZNS1_14partition_implILS5_8ELb0ES3_jPlPS6_PKS6_NS0_5tupleIJS9_S6_EEENSD_IJSA_SA_EEENS0_18inequality_wrapperIZN2at6native12_GLOBAL__N_124unique_dim_cuda_templateIsEESt5tupleIJNSH_6TensorESM_SM_EERKSM_lbbbEUlllE0_EEPmJS6_EEE10hipError_tPvRmT3_T4_T5_T6_T7_T9_mT8_P12ihipStream_tbDpT10_ENKUlT_T0_E_clISt17integral_constantIbLb1EES1B_IbLb0EEEEDaS17_S18_EUlS17_E_NS1_11comp_targetILNS1_3genE5ELNS1_11target_archE942ELNS1_3gpuE9ELNS1_3repE0EEENS1_30default_config_static_selectorELNS0_4arch9wavefront6targetE1EEEvT1_.has_indirect_call, 0
	.section	.AMDGPU.csdata,"",@progbits
; Kernel info:
; codeLenInByte = 0
; TotalNumSgprs: 6
; NumVgprs: 0
; NumAgprs: 0
; TotalNumVgprs: 0
; ScratchSize: 0
; MemoryBound: 0
; FloatMode: 240
; IeeeMode: 1
; LDSByteSize: 0 bytes/workgroup (compile time only)
; SGPRBlocks: 0
; VGPRBlocks: 0
; NumSGPRsForWavesPerEU: 6
; NumVGPRsForWavesPerEU: 1
; AccumOffset: 4
; Occupancy: 8
; WaveLimiterHint : 0
; COMPUTE_PGM_RSRC2:SCRATCH_EN: 0
; COMPUTE_PGM_RSRC2:USER_SGPR: 2
; COMPUTE_PGM_RSRC2:TRAP_HANDLER: 0
; COMPUTE_PGM_RSRC2:TGID_X_EN: 1
; COMPUTE_PGM_RSRC2:TGID_Y_EN: 0
; COMPUTE_PGM_RSRC2:TGID_Z_EN: 0
; COMPUTE_PGM_RSRC2:TIDIG_COMP_CNT: 0
; COMPUTE_PGM_RSRC3_GFX90A:ACCUM_OFFSET: 0
; COMPUTE_PGM_RSRC3_GFX90A:TG_SPLIT: 0
	.section	.text._ZN7rocprim17ROCPRIM_400000_NS6detail17trampoline_kernelINS0_14default_configENS1_25partition_config_selectorILNS1_17partition_subalgoE8ElNS0_10empty_typeEbEEZZNS1_14partition_implILS5_8ELb0ES3_jPlPS6_PKS6_NS0_5tupleIJS9_S6_EEENSD_IJSA_SA_EEENS0_18inequality_wrapperIZN2at6native12_GLOBAL__N_124unique_dim_cuda_templateIsEESt5tupleIJNSH_6TensorESM_SM_EERKSM_lbbbEUlllE0_EEPmJS6_EEE10hipError_tPvRmT3_T4_T5_T6_T7_T9_mT8_P12ihipStream_tbDpT10_ENKUlT_T0_E_clISt17integral_constantIbLb1EES1B_IbLb0EEEEDaS17_S18_EUlS17_E_NS1_11comp_targetILNS1_3genE4ELNS1_11target_archE910ELNS1_3gpuE8ELNS1_3repE0EEENS1_30default_config_static_selectorELNS0_4arch9wavefront6targetE1EEEvT1_,"axG",@progbits,_ZN7rocprim17ROCPRIM_400000_NS6detail17trampoline_kernelINS0_14default_configENS1_25partition_config_selectorILNS1_17partition_subalgoE8ElNS0_10empty_typeEbEEZZNS1_14partition_implILS5_8ELb0ES3_jPlPS6_PKS6_NS0_5tupleIJS9_S6_EEENSD_IJSA_SA_EEENS0_18inequality_wrapperIZN2at6native12_GLOBAL__N_124unique_dim_cuda_templateIsEESt5tupleIJNSH_6TensorESM_SM_EERKSM_lbbbEUlllE0_EEPmJS6_EEE10hipError_tPvRmT3_T4_T5_T6_T7_T9_mT8_P12ihipStream_tbDpT10_ENKUlT_T0_E_clISt17integral_constantIbLb1EES1B_IbLb0EEEEDaS17_S18_EUlS17_E_NS1_11comp_targetILNS1_3genE4ELNS1_11target_archE910ELNS1_3gpuE8ELNS1_3repE0EEENS1_30default_config_static_selectorELNS0_4arch9wavefront6targetE1EEEvT1_,comdat
	.globl	_ZN7rocprim17ROCPRIM_400000_NS6detail17trampoline_kernelINS0_14default_configENS1_25partition_config_selectorILNS1_17partition_subalgoE8ElNS0_10empty_typeEbEEZZNS1_14partition_implILS5_8ELb0ES3_jPlPS6_PKS6_NS0_5tupleIJS9_S6_EEENSD_IJSA_SA_EEENS0_18inequality_wrapperIZN2at6native12_GLOBAL__N_124unique_dim_cuda_templateIsEESt5tupleIJNSH_6TensorESM_SM_EERKSM_lbbbEUlllE0_EEPmJS6_EEE10hipError_tPvRmT3_T4_T5_T6_T7_T9_mT8_P12ihipStream_tbDpT10_ENKUlT_T0_E_clISt17integral_constantIbLb1EES1B_IbLb0EEEEDaS17_S18_EUlS17_E_NS1_11comp_targetILNS1_3genE4ELNS1_11target_archE910ELNS1_3gpuE8ELNS1_3repE0EEENS1_30default_config_static_selectorELNS0_4arch9wavefront6targetE1EEEvT1_ ; -- Begin function _ZN7rocprim17ROCPRIM_400000_NS6detail17trampoline_kernelINS0_14default_configENS1_25partition_config_selectorILNS1_17partition_subalgoE8ElNS0_10empty_typeEbEEZZNS1_14partition_implILS5_8ELb0ES3_jPlPS6_PKS6_NS0_5tupleIJS9_S6_EEENSD_IJSA_SA_EEENS0_18inequality_wrapperIZN2at6native12_GLOBAL__N_124unique_dim_cuda_templateIsEESt5tupleIJNSH_6TensorESM_SM_EERKSM_lbbbEUlllE0_EEPmJS6_EEE10hipError_tPvRmT3_T4_T5_T6_T7_T9_mT8_P12ihipStream_tbDpT10_ENKUlT_T0_E_clISt17integral_constantIbLb1EES1B_IbLb0EEEEDaS17_S18_EUlS17_E_NS1_11comp_targetILNS1_3genE4ELNS1_11target_archE910ELNS1_3gpuE8ELNS1_3repE0EEENS1_30default_config_static_selectorELNS0_4arch9wavefront6targetE1EEEvT1_
	.p2align	8
	.type	_ZN7rocprim17ROCPRIM_400000_NS6detail17trampoline_kernelINS0_14default_configENS1_25partition_config_selectorILNS1_17partition_subalgoE8ElNS0_10empty_typeEbEEZZNS1_14partition_implILS5_8ELb0ES3_jPlPS6_PKS6_NS0_5tupleIJS9_S6_EEENSD_IJSA_SA_EEENS0_18inequality_wrapperIZN2at6native12_GLOBAL__N_124unique_dim_cuda_templateIsEESt5tupleIJNSH_6TensorESM_SM_EERKSM_lbbbEUlllE0_EEPmJS6_EEE10hipError_tPvRmT3_T4_T5_T6_T7_T9_mT8_P12ihipStream_tbDpT10_ENKUlT_T0_E_clISt17integral_constantIbLb1EES1B_IbLb0EEEEDaS17_S18_EUlS17_E_NS1_11comp_targetILNS1_3genE4ELNS1_11target_archE910ELNS1_3gpuE8ELNS1_3repE0EEENS1_30default_config_static_selectorELNS0_4arch9wavefront6targetE1EEEvT1_,@function
_ZN7rocprim17ROCPRIM_400000_NS6detail17trampoline_kernelINS0_14default_configENS1_25partition_config_selectorILNS1_17partition_subalgoE8ElNS0_10empty_typeEbEEZZNS1_14partition_implILS5_8ELb0ES3_jPlPS6_PKS6_NS0_5tupleIJS9_S6_EEENSD_IJSA_SA_EEENS0_18inequality_wrapperIZN2at6native12_GLOBAL__N_124unique_dim_cuda_templateIsEESt5tupleIJNSH_6TensorESM_SM_EERKSM_lbbbEUlllE0_EEPmJS6_EEE10hipError_tPvRmT3_T4_T5_T6_T7_T9_mT8_P12ihipStream_tbDpT10_ENKUlT_T0_E_clISt17integral_constantIbLb1EES1B_IbLb0EEEEDaS17_S18_EUlS17_E_NS1_11comp_targetILNS1_3genE4ELNS1_11target_archE910ELNS1_3gpuE8ELNS1_3repE0EEENS1_30default_config_static_selectorELNS0_4arch9wavefront6targetE1EEEvT1_: ; @_ZN7rocprim17ROCPRIM_400000_NS6detail17trampoline_kernelINS0_14default_configENS1_25partition_config_selectorILNS1_17partition_subalgoE8ElNS0_10empty_typeEbEEZZNS1_14partition_implILS5_8ELb0ES3_jPlPS6_PKS6_NS0_5tupleIJS9_S6_EEENSD_IJSA_SA_EEENS0_18inequality_wrapperIZN2at6native12_GLOBAL__N_124unique_dim_cuda_templateIsEESt5tupleIJNSH_6TensorESM_SM_EERKSM_lbbbEUlllE0_EEPmJS6_EEE10hipError_tPvRmT3_T4_T5_T6_T7_T9_mT8_P12ihipStream_tbDpT10_ENKUlT_T0_E_clISt17integral_constantIbLb1EES1B_IbLb0EEEEDaS17_S18_EUlS17_E_NS1_11comp_targetILNS1_3genE4ELNS1_11target_archE910ELNS1_3gpuE8ELNS1_3repE0EEENS1_30default_config_static_selectorELNS0_4arch9wavefront6targetE1EEEvT1_
; %bb.0:
	.section	.rodata,"a",@progbits
	.p2align	6, 0x0
	.amdhsa_kernel _ZN7rocprim17ROCPRIM_400000_NS6detail17trampoline_kernelINS0_14default_configENS1_25partition_config_selectorILNS1_17partition_subalgoE8ElNS0_10empty_typeEbEEZZNS1_14partition_implILS5_8ELb0ES3_jPlPS6_PKS6_NS0_5tupleIJS9_S6_EEENSD_IJSA_SA_EEENS0_18inequality_wrapperIZN2at6native12_GLOBAL__N_124unique_dim_cuda_templateIsEESt5tupleIJNSH_6TensorESM_SM_EERKSM_lbbbEUlllE0_EEPmJS6_EEE10hipError_tPvRmT3_T4_T5_T6_T7_T9_mT8_P12ihipStream_tbDpT10_ENKUlT_T0_E_clISt17integral_constantIbLb1EES1B_IbLb0EEEEDaS17_S18_EUlS17_E_NS1_11comp_targetILNS1_3genE4ELNS1_11target_archE910ELNS1_3gpuE8ELNS1_3repE0EEENS1_30default_config_static_selectorELNS0_4arch9wavefront6targetE1EEEvT1_
		.amdhsa_group_segment_fixed_size 0
		.amdhsa_private_segment_fixed_size 0
		.amdhsa_kernarg_size 120
		.amdhsa_user_sgpr_count 2
		.amdhsa_user_sgpr_dispatch_ptr 0
		.amdhsa_user_sgpr_queue_ptr 0
		.amdhsa_user_sgpr_kernarg_segment_ptr 1
		.amdhsa_user_sgpr_dispatch_id 0
		.amdhsa_user_sgpr_kernarg_preload_length 0
		.amdhsa_user_sgpr_kernarg_preload_offset 0
		.amdhsa_user_sgpr_private_segment_size 0
		.amdhsa_uses_dynamic_stack 0
		.amdhsa_enable_private_segment 0
		.amdhsa_system_sgpr_workgroup_id_x 1
		.amdhsa_system_sgpr_workgroup_id_y 0
		.amdhsa_system_sgpr_workgroup_id_z 0
		.amdhsa_system_sgpr_workgroup_info 0
		.amdhsa_system_vgpr_workitem_id 0
		.amdhsa_next_free_vgpr 1
		.amdhsa_next_free_sgpr 0
		.amdhsa_accum_offset 4
		.amdhsa_reserve_vcc 0
		.amdhsa_float_round_mode_32 0
		.amdhsa_float_round_mode_16_64 0
		.amdhsa_float_denorm_mode_32 3
		.amdhsa_float_denorm_mode_16_64 3
		.amdhsa_dx10_clamp 1
		.amdhsa_ieee_mode 1
		.amdhsa_fp16_overflow 0
		.amdhsa_tg_split 0
		.amdhsa_exception_fp_ieee_invalid_op 0
		.amdhsa_exception_fp_denorm_src 0
		.amdhsa_exception_fp_ieee_div_zero 0
		.amdhsa_exception_fp_ieee_overflow 0
		.amdhsa_exception_fp_ieee_underflow 0
		.amdhsa_exception_fp_ieee_inexact 0
		.amdhsa_exception_int_div_zero 0
	.end_amdhsa_kernel
	.section	.text._ZN7rocprim17ROCPRIM_400000_NS6detail17trampoline_kernelINS0_14default_configENS1_25partition_config_selectorILNS1_17partition_subalgoE8ElNS0_10empty_typeEbEEZZNS1_14partition_implILS5_8ELb0ES3_jPlPS6_PKS6_NS0_5tupleIJS9_S6_EEENSD_IJSA_SA_EEENS0_18inequality_wrapperIZN2at6native12_GLOBAL__N_124unique_dim_cuda_templateIsEESt5tupleIJNSH_6TensorESM_SM_EERKSM_lbbbEUlllE0_EEPmJS6_EEE10hipError_tPvRmT3_T4_T5_T6_T7_T9_mT8_P12ihipStream_tbDpT10_ENKUlT_T0_E_clISt17integral_constantIbLb1EES1B_IbLb0EEEEDaS17_S18_EUlS17_E_NS1_11comp_targetILNS1_3genE4ELNS1_11target_archE910ELNS1_3gpuE8ELNS1_3repE0EEENS1_30default_config_static_selectorELNS0_4arch9wavefront6targetE1EEEvT1_,"axG",@progbits,_ZN7rocprim17ROCPRIM_400000_NS6detail17trampoline_kernelINS0_14default_configENS1_25partition_config_selectorILNS1_17partition_subalgoE8ElNS0_10empty_typeEbEEZZNS1_14partition_implILS5_8ELb0ES3_jPlPS6_PKS6_NS0_5tupleIJS9_S6_EEENSD_IJSA_SA_EEENS0_18inequality_wrapperIZN2at6native12_GLOBAL__N_124unique_dim_cuda_templateIsEESt5tupleIJNSH_6TensorESM_SM_EERKSM_lbbbEUlllE0_EEPmJS6_EEE10hipError_tPvRmT3_T4_T5_T6_T7_T9_mT8_P12ihipStream_tbDpT10_ENKUlT_T0_E_clISt17integral_constantIbLb1EES1B_IbLb0EEEEDaS17_S18_EUlS17_E_NS1_11comp_targetILNS1_3genE4ELNS1_11target_archE910ELNS1_3gpuE8ELNS1_3repE0EEENS1_30default_config_static_selectorELNS0_4arch9wavefront6targetE1EEEvT1_,comdat
.Lfunc_end703:
	.size	_ZN7rocprim17ROCPRIM_400000_NS6detail17trampoline_kernelINS0_14default_configENS1_25partition_config_selectorILNS1_17partition_subalgoE8ElNS0_10empty_typeEbEEZZNS1_14partition_implILS5_8ELb0ES3_jPlPS6_PKS6_NS0_5tupleIJS9_S6_EEENSD_IJSA_SA_EEENS0_18inequality_wrapperIZN2at6native12_GLOBAL__N_124unique_dim_cuda_templateIsEESt5tupleIJNSH_6TensorESM_SM_EERKSM_lbbbEUlllE0_EEPmJS6_EEE10hipError_tPvRmT3_T4_T5_T6_T7_T9_mT8_P12ihipStream_tbDpT10_ENKUlT_T0_E_clISt17integral_constantIbLb1EES1B_IbLb0EEEEDaS17_S18_EUlS17_E_NS1_11comp_targetILNS1_3genE4ELNS1_11target_archE910ELNS1_3gpuE8ELNS1_3repE0EEENS1_30default_config_static_selectorELNS0_4arch9wavefront6targetE1EEEvT1_, .Lfunc_end703-_ZN7rocprim17ROCPRIM_400000_NS6detail17trampoline_kernelINS0_14default_configENS1_25partition_config_selectorILNS1_17partition_subalgoE8ElNS0_10empty_typeEbEEZZNS1_14partition_implILS5_8ELb0ES3_jPlPS6_PKS6_NS0_5tupleIJS9_S6_EEENSD_IJSA_SA_EEENS0_18inequality_wrapperIZN2at6native12_GLOBAL__N_124unique_dim_cuda_templateIsEESt5tupleIJNSH_6TensorESM_SM_EERKSM_lbbbEUlllE0_EEPmJS6_EEE10hipError_tPvRmT3_T4_T5_T6_T7_T9_mT8_P12ihipStream_tbDpT10_ENKUlT_T0_E_clISt17integral_constantIbLb1EES1B_IbLb0EEEEDaS17_S18_EUlS17_E_NS1_11comp_targetILNS1_3genE4ELNS1_11target_archE910ELNS1_3gpuE8ELNS1_3repE0EEENS1_30default_config_static_selectorELNS0_4arch9wavefront6targetE1EEEvT1_
                                        ; -- End function
	.set _ZN7rocprim17ROCPRIM_400000_NS6detail17trampoline_kernelINS0_14default_configENS1_25partition_config_selectorILNS1_17partition_subalgoE8ElNS0_10empty_typeEbEEZZNS1_14partition_implILS5_8ELb0ES3_jPlPS6_PKS6_NS0_5tupleIJS9_S6_EEENSD_IJSA_SA_EEENS0_18inequality_wrapperIZN2at6native12_GLOBAL__N_124unique_dim_cuda_templateIsEESt5tupleIJNSH_6TensorESM_SM_EERKSM_lbbbEUlllE0_EEPmJS6_EEE10hipError_tPvRmT3_T4_T5_T6_T7_T9_mT8_P12ihipStream_tbDpT10_ENKUlT_T0_E_clISt17integral_constantIbLb1EES1B_IbLb0EEEEDaS17_S18_EUlS17_E_NS1_11comp_targetILNS1_3genE4ELNS1_11target_archE910ELNS1_3gpuE8ELNS1_3repE0EEENS1_30default_config_static_selectorELNS0_4arch9wavefront6targetE1EEEvT1_.num_vgpr, 0
	.set _ZN7rocprim17ROCPRIM_400000_NS6detail17trampoline_kernelINS0_14default_configENS1_25partition_config_selectorILNS1_17partition_subalgoE8ElNS0_10empty_typeEbEEZZNS1_14partition_implILS5_8ELb0ES3_jPlPS6_PKS6_NS0_5tupleIJS9_S6_EEENSD_IJSA_SA_EEENS0_18inequality_wrapperIZN2at6native12_GLOBAL__N_124unique_dim_cuda_templateIsEESt5tupleIJNSH_6TensorESM_SM_EERKSM_lbbbEUlllE0_EEPmJS6_EEE10hipError_tPvRmT3_T4_T5_T6_T7_T9_mT8_P12ihipStream_tbDpT10_ENKUlT_T0_E_clISt17integral_constantIbLb1EES1B_IbLb0EEEEDaS17_S18_EUlS17_E_NS1_11comp_targetILNS1_3genE4ELNS1_11target_archE910ELNS1_3gpuE8ELNS1_3repE0EEENS1_30default_config_static_selectorELNS0_4arch9wavefront6targetE1EEEvT1_.num_agpr, 0
	.set _ZN7rocprim17ROCPRIM_400000_NS6detail17trampoline_kernelINS0_14default_configENS1_25partition_config_selectorILNS1_17partition_subalgoE8ElNS0_10empty_typeEbEEZZNS1_14partition_implILS5_8ELb0ES3_jPlPS6_PKS6_NS0_5tupleIJS9_S6_EEENSD_IJSA_SA_EEENS0_18inequality_wrapperIZN2at6native12_GLOBAL__N_124unique_dim_cuda_templateIsEESt5tupleIJNSH_6TensorESM_SM_EERKSM_lbbbEUlllE0_EEPmJS6_EEE10hipError_tPvRmT3_T4_T5_T6_T7_T9_mT8_P12ihipStream_tbDpT10_ENKUlT_T0_E_clISt17integral_constantIbLb1EES1B_IbLb0EEEEDaS17_S18_EUlS17_E_NS1_11comp_targetILNS1_3genE4ELNS1_11target_archE910ELNS1_3gpuE8ELNS1_3repE0EEENS1_30default_config_static_selectorELNS0_4arch9wavefront6targetE1EEEvT1_.numbered_sgpr, 0
	.set _ZN7rocprim17ROCPRIM_400000_NS6detail17trampoline_kernelINS0_14default_configENS1_25partition_config_selectorILNS1_17partition_subalgoE8ElNS0_10empty_typeEbEEZZNS1_14partition_implILS5_8ELb0ES3_jPlPS6_PKS6_NS0_5tupleIJS9_S6_EEENSD_IJSA_SA_EEENS0_18inequality_wrapperIZN2at6native12_GLOBAL__N_124unique_dim_cuda_templateIsEESt5tupleIJNSH_6TensorESM_SM_EERKSM_lbbbEUlllE0_EEPmJS6_EEE10hipError_tPvRmT3_T4_T5_T6_T7_T9_mT8_P12ihipStream_tbDpT10_ENKUlT_T0_E_clISt17integral_constantIbLb1EES1B_IbLb0EEEEDaS17_S18_EUlS17_E_NS1_11comp_targetILNS1_3genE4ELNS1_11target_archE910ELNS1_3gpuE8ELNS1_3repE0EEENS1_30default_config_static_selectorELNS0_4arch9wavefront6targetE1EEEvT1_.num_named_barrier, 0
	.set _ZN7rocprim17ROCPRIM_400000_NS6detail17trampoline_kernelINS0_14default_configENS1_25partition_config_selectorILNS1_17partition_subalgoE8ElNS0_10empty_typeEbEEZZNS1_14partition_implILS5_8ELb0ES3_jPlPS6_PKS6_NS0_5tupleIJS9_S6_EEENSD_IJSA_SA_EEENS0_18inequality_wrapperIZN2at6native12_GLOBAL__N_124unique_dim_cuda_templateIsEESt5tupleIJNSH_6TensorESM_SM_EERKSM_lbbbEUlllE0_EEPmJS6_EEE10hipError_tPvRmT3_T4_T5_T6_T7_T9_mT8_P12ihipStream_tbDpT10_ENKUlT_T0_E_clISt17integral_constantIbLb1EES1B_IbLb0EEEEDaS17_S18_EUlS17_E_NS1_11comp_targetILNS1_3genE4ELNS1_11target_archE910ELNS1_3gpuE8ELNS1_3repE0EEENS1_30default_config_static_selectorELNS0_4arch9wavefront6targetE1EEEvT1_.private_seg_size, 0
	.set _ZN7rocprim17ROCPRIM_400000_NS6detail17trampoline_kernelINS0_14default_configENS1_25partition_config_selectorILNS1_17partition_subalgoE8ElNS0_10empty_typeEbEEZZNS1_14partition_implILS5_8ELb0ES3_jPlPS6_PKS6_NS0_5tupleIJS9_S6_EEENSD_IJSA_SA_EEENS0_18inequality_wrapperIZN2at6native12_GLOBAL__N_124unique_dim_cuda_templateIsEESt5tupleIJNSH_6TensorESM_SM_EERKSM_lbbbEUlllE0_EEPmJS6_EEE10hipError_tPvRmT3_T4_T5_T6_T7_T9_mT8_P12ihipStream_tbDpT10_ENKUlT_T0_E_clISt17integral_constantIbLb1EES1B_IbLb0EEEEDaS17_S18_EUlS17_E_NS1_11comp_targetILNS1_3genE4ELNS1_11target_archE910ELNS1_3gpuE8ELNS1_3repE0EEENS1_30default_config_static_selectorELNS0_4arch9wavefront6targetE1EEEvT1_.uses_vcc, 0
	.set _ZN7rocprim17ROCPRIM_400000_NS6detail17trampoline_kernelINS0_14default_configENS1_25partition_config_selectorILNS1_17partition_subalgoE8ElNS0_10empty_typeEbEEZZNS1_14partition_implILS5_8ELb0ES3_jPlPS6_PKS6_NS0_5tupleIJS9_S6_EEENSD_IJSA_SA_EEENS0_18inequality_wrapperIZN2at6native12_GLOBAL__N_124unique_dim_cuda_templateIsEESt5tupleIJNSH_6TensorESM_SM_EERKSM_lbbbEUlllE0_EEPmJS6_EEE10hipError_tPvRmT3_T4_T5_T6_T7_T9_mT8_P12ihipStream_tbDpT10_ENKUlT_T0_E_clISt17integral_constantIbLb1EES1B_IbLb0EEEEDaS17_S18_EUlS17_E_NS1_11comp_targetILNS1_3genE4ELNS1_11target_archE910ELNS1_3gpuE8ELNS1_3repE0EEENS1_30default_config_static_selectorELNS0_4arch9wavefront6targetE1EEEvT1_.uses_flat_scratch, 0
	.set _ZN7rocprim17ROCPRIM_400000_NS6detail17trampoline_kernelINS0_14default_configENS1_25partition_config_selectorILNS1_17partition_subalgoE8ElNS0_10empty_typeEbEEZZNS1_14partition_implILS5_8ELb0ES3_jPlPS6_PKS6_NS0_5tupleIJS9_S6_EEENSD_IJSA_SA_EEENS0_18inequality_wrapperIZN2at6native12_GLOBAL__N_124unique_dim_cuda_templateIsEESt5tupleIJNSH_6TensorESM_SM_EERKSM_lbbbEUlllE0_EEPmJS6_EEE10hipError_tPvRmT3_T4_T5_T6_T7_T9_mT8_P12ihipStream_tbDpT10_ENKUlT_T0_E_clISt17integral_constantIbLb1EES1B_IbLb0EEEEDaS17_S18_EUlS17_E_NS1_11comp_targetILNS1_3genE4ELNS1_11target_archE910ELNS1_3gpuE8ELNS1_3repE0EEENS1_30default_config_static_selectorELNS0_4arch9wavefront6targetE1EEEvT1_.has_dyn_sized_stack, 0
	.set _ZN7rocprim17ROCPRIM_400000_NS6detail17trampoline_kernelINS0_14default_configENS1_25partition_config_selectorILNS1_17partition_subalgoE8ElNS0_10empty_typeEbEEZZNS1_14partition_implILS5_8ELb0ES3_jPlPS6_PKS6_NS0_5tupleIJS9_S6_EEENSD_IJSA_SA_EEENS0_18inequality_wrapperIZN2at6native12_GLOBAL__N_124unique_dim_cuda_templateIsEESt5tupleIJNSH_6TensorESM_SM_EERKSM_lbbbEUlllE0_EEPmJS6_EEE10hipError_tPvRmT3_T4_T5_T6_T7_T9_mT8_P12ihipStream_tbDpT10_ENKUlT_T0_E_clISt17integral_constantIbLb1EES1B_IbLb0EEEEDaS17_S18_EUlS17_E_NS1_11comp_targetILNS1_3genE4ELNS1_11target_archE910ELNS1_3gpuE8ELNS1_3repE0EEENS1_30default_config_static_selectorELNS0_4arch9wavefront6targetE1EEEvT1_.has_recursion, 0
	.set _ZN7rocprim17ROCPRIM_400000_NS6detail17trampoline_kernelINS0_14default_configENS1_25partition_config_selectorILNS1_17partition_subalgoE8ElNS0_10empty_typeEbEEZZNS1_14partition_implILS5_8ELb0ES3_jPlPS6_PKS6_NS0_5tupleIJS9_S6_EEENSD_IJSA_SA_EEENS0_18inequality_wrapperIZN2at6native12_GLOBAL__N_124unique_dim_cuda_templateIsEESt5tupleIJNSH_6TensorESM_SM_EERKSM_lbbbEUlllE0_EEPmJS6_EEE10hipError_tPvRmT3_T4_T5_T6_T7_T9_mT8_P12ihipStream_tbDpT10_ENKUlT_T0_E_clISt17integral_constantIbLb1EES1B_IbLb0EEEEDaS17_S18_EUlS17_E_NS1_11comp_targetILNS1_3genE4ELNS1_11target_archE910ELNS1_3gpuE8ELNS1_3repE0EEENS1_30default_config_static_selectorELNS0_4arch9wavefront6targetE1EEEvT1_.has_indirect_call, 0
	.section	.AMDGPU.csdata,"",@progbits
; Kernel info:
; codeLenInByte = 0
; TotalNumSgprs: 6
; NumVgprs: 0
; NumAgprs: 0
; TotalNumVgprs: 0
; ScratchSize: 0
; MemoryBound: 0
; FloatMode: 240
; IeeeMode: 1
; LDSByteSize: 0 bytes/workgroup (compile time only)
; SGPRBlocks: 0
; VGPRBlocks: 0
; NumSGPRsForWavesPerEU: 6
; NumVGPRsForWavesPerEU: 1
; AccumOffset: 4
; Occupancy: 8
; WaveLimiterHint : 0
; COMPUTE_PGM_RSRC2:SCRATCH_EN: 0
; COMPUTE_PGM_RSRC2:USER_SGPR: 2
; COMPUTE_PGM_RSRC2:TRAP_HANDLER: 0
; COMPUTE_PGM_RSRC2:TGID_X_EN: 1
; COMPUTE_PGM_RSRC2:TGID_Y_EN: 0
; COMPUTE_PGM_RSRC2:TGID_Z_EN: 0
; COMPUTE_PGM_RSRC2:TIDIG_COMP_CNT: 0
; COMPUTE_PGM_RSRC3_GFX90A:ACCUM_OFFSET: 0
; COMPUTE_PGM_RSRC3_GFX90A:TG_SPLIT: 0
	.section	.text._ZN7rocprim17ROCPRIM_400000_NS6detail17trampoline_kernelINS0_14default_configENS1_25partition_config_selectorILNS1_17partition_subalgoE8ElNS0_10empty_typeEbEEZZNS1_14partition_implILS5_8ELb0ES3_jPlPS6_PKS6_NS0_5tupleIJS9_S6_EEENSD_IJSA_SA_EEENS0_18inequality_wrapperIZN2at6native12_GLOBAL__N_124unique_dim_cuda_templateIsEESt5tupleIJNSH_6TensorESM_SM_EERKSM_lbbbEUlllE0_EEPmJS6_EEE10hipError_tPvRmT3_T4_T5_T6_T7_T9_mT8_P12ihipStream_tbDpT10_ENKUlT_T0_E_clISt17integral_constantIbLb1EES1B_IbLb0EEEEDaS17_S18_EUlS17_E_NS1_11comp_targetILNS1_3genE3ELNS1_11target_archE908ELNS1_3gpuE7ELNS1_3repE0EEENS1_30default_config_static_selectorELNS0_4arch9wavefront6targetE1EEEvT1_,"axG",@progbits,_ZN7rocprim17ROCPRIM_400000_NS6detail17trampoline_kernelINS0_14default_configENS1_25partition_config_selectorILNS1_17partition_subalgoE8ElNS0_10empty_typeEbEEZZNS1_14partition_implILS5_8ELb0ES3_jPlPS6_PKS6_NS0_5tupleIJS9_S6_EEENSD_IJSA_SA_EEENS0_18inequality_wrapperIZN2at6native12_GLOBAL__N_124unique_dim_cuda_templateIsEESt5tupleIJNSH_6TensorESM_SM_EERKSM_lbbbEUlllE0_EEPmJS6_EEE10hipError_tPvRmT3_T4_T5_T6_T7_T9_mT8_P12ihipStream_tbDpT10_ENKUlT_T0_E_clISt17integral_constantIbLb1EES1B_IbLb0EEEEDaS17_S18_EUlS17_E_NS1_11comp_targetILNS1_3genE3ELNS1_11target_archE908ELNS1_3gpuE7ELNS1_3repE0EEENS1_30default_config_static_selectorELNS0_4arch9wavefront6targetE1EEEvT1_,comdat
	.globl	_ZN7rocprim17ROCPRIM_400000_NS6detail17trampoline_kernelINS0_14default_configENS1_25partition_config_selectorILNS1_17partition_subalgoE8ElNS0_10empty_typeEbEEZZNS1_14partition_implILS5_8ELb0ES3_jPlPS6_PKS6_NS0_5tupleIJS9_S6_EEENSD_IJSA_SA_EEENS0_18inequality_wrapperIZN2at6native12_GLOBAL__N_124unique_dim_cuda_templateIsEESt5tupleIJNSH_6TensorESM_SM_EERKSM_lbbbEUlllE0_EEPmJS6_EEE10hipError_tPvRmT3_T4_T5_T6_T7_T9_mT8_P12ihipStream_tbDpT10_ENKUlT_T0_E_clISt17integral_constantIbLb1EES1B_IbLb0EEEEDaS17_S18_EUlS17_E_NS1_11comp_targetILNS1_3genE3ELNS1_11target_archE908ELNS1_3gpuE7ELNS1_3repE0EEENS1_30default_config_static_selectorELNS0_4arch9wavefront6targetE1EEEvT1_ ; -- Begin function _ZN7rocprim17ROCPRIM_400000_NS6detail17trampoline_kernelINS0_14default_configENS1_25partition_config_selectorILNS1_17partition_subalgoE8ElNS0_10empty_typeEbEEZZNS1_14partition_implILS5_8ELb0ES3_jPlPS6_PKS6_NS0_5tupleIJS9_S6_EEENSD_IJSA_SA_EEENS0_18inequality_wrapperIZN2at6native12_GLOBAL__N_124unique_dim_cuda_templateIsEESt5tupleIJNSH_6TensorESM_SM_EERKSM_lbbbEUlllE0_EEPmJS6_EEE10hipError_tPvRmT3_T4_T5_T6_T7_T9_mT8_P12ihipStream_tbDpT10_ENKUlT_T0_E_clISt17integral_constantIbLb1EES1B_IbLb0EEEEDaS17_S18_EUlS17_E_NS1_11comp_targetILNS1_3genE3ELNS1_11target_archE908ELNS1_3gpuE7ELNS1_3repE0EEENS1_30default_config_static_selectorELNS0_4arch9wavefront6targetE1EEEvT1_
	.p2align	8
	.type	_ZN7rocprim17ROCPRIM_400000_NS6detail17trampoline_kernelINS0_14default_configENS1_25partition_config_selectorILNS1_17partition_subalgoE8ElNS0_10empty_typeEbEEZZNS1_14partition_implILS5_8ELb0ES3_jPlPS6_PKS6_NS0_5tupleIJS9_S6_EEENSD_IJSA_SA_EEENS0_18inequality_wrapperIZN2at6native12_GLOBAL__N_124unique_dim_cuda_templateIsEESt5tupleIJNSH_6TensorESM_SM_EERKSM_lbbbEUlllE0_EEPmJS6_EEE10hipError_tPvRmT3_T4_T5_T6_T7_T9_mT8_P12ihipStream_tbDpT10_ENKUlT_T0_E_clISt17integral_constantIbLb1EES1B_IbLb0EEEEDaS17_S18_EUlS17_E_NS1_11comp_targetILNS1_3genE3ELNS1_11target_archE908ELNS1_3gpuE7ELNS1_3repE0EEENS1_30default_config_static_selectorELNS0_4arch9wavefront6targetE1EEEvT1_,@function
_ZN7rocprim17ROCPRIM_400000_NS6detail17trampoline_kernelINS0_14default_configENS1_25partition_config_selectorILNS1_17partition_subalgoE8ElNS0_10empty_typeEbEEZZNS1_14partition_implILS5_8ELb0ES3_jPlPS6_PKS6_NS0_5tupleIJS9_S6_EEENSD_IJSA_SA_EEENS0_18inequality_wrapperIZN2at6native12_GLOBAL__N_124unique_dim_cuda_templateIsEESt5tupleIJNSH_6TensorESM_SM_EERKSM_lbbbEUlllE0_EEPmJS6_EEE10hipError_tPvRmT3_T4_T5_T6_T7_T9_mT8_P12ihipStream_tbDpT10_ENKUlT_T0_E_clISt17integral_constantIbLb1EES1B_IbLb0EEEEDaS17_S18_EUlS17_E_NS1_11comp_targetILNS1_3genE3ELNS1_11target_archE908ELNS1_3gpuE7ELNS1_3repE0EEENS1_30default_config_static_selectorELNS0_4arch9wavefront6targetE1EEEvT1_: ; @_ZN7rocprim17ROCPRIM_400000_NS6detail17trampoline_kernelINS0_14default_configENS1_25partition_config_selectorILNS1_17partition_subalgoE8ElNS0_10empty_typeEbEEZZNS1_14partition_implILS5_8ELb0ES3_jPlPS6_PKS6_NS0_5tupleIJS9_S6_EEENSD_IJSA_SA_EEENS0_18inequality_wrapperIZN2at6native12_GLOBAL__N_124unique_dim_cuda_templateIsEESt5tupleIJNSH_6TensorESM_SM_EERKSM_lbbbEUlllE0_EEPmJS6_EEE10hipError_tPvRmT3_T4_T5_T6_T7_T9_mT8_P12ihipStream_tbDpT10_ENKUlT_T0_E_clISt17integral_constantIbLb1EES1B_IbLb0EEEEDaS17_S18_EUlS17_E_NS1_11comp_targetILNS1_3genE3ELNS1_11target_archE908ELNS1_3gpuE7ELNS1_3repE0EEENS1_30default_config_static_selectorELNS0_4arch9wavefront6targetE1EEEvT1_
; %bb.0:
	.section	.rodata,"a",@progbits
	.p2align	6, 0x0
	.amdhsa_kernel _ZN7rocprim17ROCPRIM_400000_NS6detail17trampoline_kernelINS0_14default_configENS1_25partition_config_selectorILNS1_17partition_subalgoE8ElNS0_10empty_typeEbEEZZNS1_14partition_implILS5_8ELb0ES3_jPlPS6_PKS6_NS0_5tupleIJS9_S6_EEENSD_IJSA_SA_EEENS0_18inequality_wrapperIZN2at6native12_GLOBAL__N_124unique_dim_cuda_templateIsEESt5tupleIJNSH_6TensorESM_SM_EERKSM_lbbbEUlllE0_EEPmJS6_EEE10hipError_tPvRmT3_T4_T5_T6_T7_T9_mT8_P12ihipStream_tbDpT10_ENKUlT_T0_E_clISt17integral_constantIbLb1EES1B_IbLb0EEEEDaS17_S18_EUlS17_E_NS1_11comp_targetILNS1_3genE3ELNS1_11target_archE908ELNS1_3gpuE7ELNS1_3repE0EEENS1_30default_config_static_selectorELNS0_4arch9wavefront6targetE1EEEvT1_
		.amdhsa_group_segment_fixed_size 0
		.amdhsa_private_segment_fixed_size 0
		.amdhsa_kernarg_size 120
		.amdhsa_user_sgpr_count 2
		.amdhsa_user_sgpr_dispatch_ptr 0
		.amdhsa_user_sgpr_queue_ptr 0
		.amdhsa_user_sgpr_kernarg_segment_ptr 1
		.amdhsa_user_sgpr_dispatch_id 0
		.amdhsa_user_sgpr_kernarg_preload_length 0
		.amdhsa_user_sgpr_kernarg_preload_offset 0
		.amdhsa_user_sgpr_private_segment_size 0
		.amdhsa_uses_dynamic_stack 0
		.amdhsa_enable_private_segment 0
		.amdhsa_system_sgpr_workgroup_id_x 1
		.amdhsa_system_sgpr_workgroup_id_y 0
		.amdhsa_system_sgpr_workgroup_id_z 0
		.amdhsa_system_sgpr_workgroup_info 0
		.amdhsa_system_vgpr_workitem_id 0
		.amdhsa_next_free_vgpr 1
		.amdhsa_next_free_sgpr 0
		.amdhsa_accum_offset 4
		.amdhsa_reserve_vcc 0
		.amdhsa_float_round_mode_32 0
		.amdhsa_float_round_mode_16_64 0
		.amdhsa_float_denorm_mode_32 3
		.amdhsa_float_denorm_mode_16_64 3
		.amdhsa_dx10_clamp 1
		.amdhsa_ieee_mode 1
		.amdhsa_fp16_overflow 0
		.amdhsa_tg_split 0
		.amdhsa_exception_fp_ieee_invalid_op 0
		.amdhsa_exception_fp_denorm_src 0
		.amdhsa_exception_fp_ieee_div_zero 0
		.amdhsa_exception_fp_ieee_overflow 0
		.amdhsa_exception_fp_ieee_underflow 0
		.amdhsa_exception_fp_ieee_inexact 0
		.amdhsa_exception_int_div_zero 0
	.end_amdhsa_kernel
	.section	.text._ZN7rocprim17ROCPRIM_400000_NS6detail17trampoline_kernelINS0_14default_configENS1_25partition_config_selectorILNS1_17partition_subalgoE8ElNS0_10empty_typeEbEEZZNS1_14partition_implILS5_8ELb0ES3_jPlPS6_PKS6_NS0_5tupleIJS9_S6_EEENSD_IJSA_SA_EEENS0_18inequality_wrapperIZN2at6native12_GLOBAL__N_124unique_dim_cuda_templateIsEESt5tupleIJNSH_6TensorESM_SM_EERKSM_lbbbEUlllE0_EEPmJS6_EEE10hipError_tPvRmT3_T4_T5_T6_T7_T9_mT8_P12ihipStream_tbDpT10_ENKUlT_T0_E_clISt17integral_constantIbLb1EES1B_IbLb0EEEEDaS17_S18_EUlS17_E_NS1_11comp_targetILNS1_3genE3ELNS1_11target_archE908ELNS1_3gpuE7ELNS1_3repE0EEENS1_30default_config_static_selectorELNS0_4arch9wavefront6targetE1EEEvT1_,"axG",@progbits,_ZN7rocprim17ROCPRIM_400000_NS6detail17trampoline_kernelINS0_14default_configENS1_25partition_config_selectorILNS1_17partition_subalgoE8ElNS0_10empty_typeEbEEZZNS1_14partition_implILS5_8ELb0ES3_jPlPS6_PKS6_NS0_5tupleIJS9_S6_EEENSD_IJSA_SA_EEENS0_18inequality_wrapperIZN2at6native12_GLOBAL__N_124unique_dim_cuda_templateIsEESt5tupleIJNSH_6TensorESM_SM_EERKSM_lbbbEUlllE0_EEPmJS6_EEE10hipError_tPvRmT3_T4_T5_T6_T7_T9_mT8_P12ihipStream_tbDpT10_ENKUlT_T0_E_clISt17integral_constantIbLb1EES1B_IbLb0EEEEDaS17_S18_EUlS17_E_NS1_11comp_targetILNS1_3genE3ELNS1_11target_archE908ELNS1_3gpuE7ELNS1_3repE0EEENS1_30default_config_static_selectorELNS0_4arch9wavefront6targetE1EEEvT1_,comdat
.Lfunc_end704:
	.size	_ZN7rocprim17ROCPRIM_400000_NS6detail17trampoline_kernelINS0_14default_configENS1_25partition_config_selectorILNS1_17partition_subalgoE8ElNS0_10empty_typeEbEEZZNS1_14partition_implILS5_8ELb0ES3_jPlPS6_PKS6_NS0_5tupleIJS9_S6_EEENSD_IJSA_SA_EEENS0_18inequality_wrapperIZN2at6native12_GLOBAL__N_124unique_dim_cuda_templateIsEESt5tupleIJNSH_6TensorESM_SM_EERKSM_lbbbEUlllE0_EEPmJS6_EEE10hipError_tPvRmT3_T4_T5_T6_T7_T9_mT8_P12ihipStream_tbDpT10_ENKUlT_T0_E_clISt17integral_constantIbLb1EES1B_IbLb0EEEEDaS17_S18_EUlS17_E_NS1_11comp_targetILNS1_3genE3ELNS1_11target_archE908ELNS1_3gpuE7ELNS1_3repE0EEENS1_30default_config_static_selectorELNS0_4arch9wavefront6targetE1EEEvT1_, .Lfunc_end704-_ZN7rocprim17ROCPRIM_400000_NS6detail17trampoline_kernelINS0_14default_configENS1_25partition_config_selectorILNS1_17partition_subalgoE8ElNS0_10empty_typeEbEEZZNS1_14partition_implILS5_8ELb0ES3_jPlPS6_PKS6_NS0_5tupleIJS9_S6_EEENSD_IJSA_SA_EEENS0_18inequality_wrapperIZN2at6native12_GLOBAL__N_124unique_dim_cuda_templateIsEESt5tupleIJNSH_6TensorESM_SM_EERKSM_lbbbEUlllE0_EEPmJS6_EEE10hipError_tPvRmT3_T4_T5_T6_T7_T9_mT8_P12ihipStream_tbDpT10_ENKUlT_T0_E_clISt17integral_constantIbLb1EES1B_IbLb0EEEEDaS17_S18_EUlS17_E_NS1_11comp_targetILNS1_3genE3ELNS1_11target_archE908ELNS1_3gpuE7ELNS1_3repE0EEENS1_30default_config_static_selectorELNS0_4arch9wavefront6targetE1EEEvT1_
                                        ; -- End function
	.set _ZN7rocprim17ROCPRIM_400000_NS6detail17trampoline_kernelINS0_14default_configENS1_25partition_config_selectorILNS1_17partition_subalgoE8ElNS0_10empty_typeEbEEZZNS1_14partition_implILS5_8ELb0ES3_jPlPS6_PKS6_NS0_5tupleIJS9_S6_EEENSD_IJSA_SA_EEENS0_18inequality_wrapperIZN2at6native12_GLOBAL__N_124unique_dim_cuda_templateIsEESt5tupleIJNSH_6TensorESM_SM_EERKSM_lbbbEUlllE0_EEPmJS6_EEE10hipError_tPvRmT3_T4_T5_T6_T7_T9_mT8_P12ihipStream_tbDpT10_ENKUlT_T0_E_clISt17integral_constantIbLb1EES1B_IbLb0EEEEDaS17_S18_EUlS17_E_NS1_11comp_targetILNS1_3genE3ELNS1_11target_archE908ELNS1_3gpuE7ELNS1_3repE0EEENS1_30default_config_static_selectorELNS0_4arch9wavefront6targetE1EEEvT1_.num_vgpr, 0
	.set _ZN7rocprim17ROCPRIM_400000_NS6detail17trampoline_kernelINS0_14default_configENS1_25partition_config_selectorILNS1_17partition_subalgoE8ElNS0_10empty_typeEbEEZZNS1_14partition_implILS5_8ELb0ES3_jPlPS6_PKS6_NS0_5tupleIJS9_S6_EEENSD_IJSA_SA_EEENS0_18inequality_wrapperIZN2at6native12_GLOBAL__N_124unique_dim_cuda_templateIsEESt5tupleIJNSH_6TensorESM_SM_EERKSM_lbbbEUlllE0_EEPmJS6_EEE10hipError_tPvRmT3_T4_T5_T6_T7_T9_mT8_P12ihipStream_tbDpT10_ENKUlT_T0_E_clISt17integral_constantIbLb1EES1B_IbLb0EEEEDaS17_S18_EUlS17_E_NS1_11comp_targetILNS1_3genE3ELNS1_11target_archE908ELNS1_3gpuE7ELNS1_3repE0EEENS1_30default_config_static_selectorELNS0_4arch9wavefront6targetE1EEEvT1_.num_agpr, 0
	.set _ZN7rocprim17ROCPRIM_400000_NS6detail17trampoline_kernelINS0_14default_configENS1_25partition_config_selectorILNS1_17partition_subalgoE8ElNS0_10empty_typeEbEEZZNS1_14partition_implILS5_8ELb0ES3_jPlPS6_PKS6_NS0_5tupleIJS9_S6_EEENSD_IJSA_SA_EEENS0_18inequality_wrapperIZN2at6native12_GLOBAL__N_124unique_dim_cuda_templateIsEESt5tupleIJNSH_6TensorESM_SM_EERKSM_lbbbEUlllE0_EEPmJS6_EEE10hipError_tPvRmT3_T4_T5_T6_T7_T9_mT8_P12ihipStream_tbDpT10_ENKUlT_T0_E_clISt17integral_constantIbLb1EES1B_IbLb0EEEEDaS17_S18_EUlS17_E_NS1_11comp_targetILNS1_3genE3ELNS1_11target_archE908ELNS1_3gpuE7ELNS1_3repE0EEENS1_30default_config_static_selectorELNS0_4arch9wavefront6targetE1EEEvT1_.numbered_sgpr, 0
	.set _ZN7rocprim17ROCPRIM_400000_NS6detail17trampoline_kernelINS0_14default_configENS1_25partition_config_selectorILNS1_17partition_subalgoE8ElNS0_10empty_typeEbEEZZNS1_14partition_implILS5_8ELb0ES3_jPlPS6_PKS6_NS0_5tupleIJS9_S6_EEENSD_IJSA_SA_EEENS0_18inequality_wrapperIZN2at6native12_GLOBAL__N_124unique_dim_cuda_templateIsEESt5tupleIJNSH_6TensorESM_SM_EERKSM_lbbbEUlllE0_EEPmJS6_EEE10hipError_tPvRmT3_T4_T5_T6_T7_T9_mT8_P12ihipStream_tbDpT10_ENKUlT_T0_E_clISt17integral_constantIbLb1EES1B_IbLb0EEEEDaS17_S18_EUlS17_E_NS1_11comp_targetILNS1_3genE3ELNS1_11target_archE908ELNS1_3gpuE7ELNS1_3repE0EEENS1_30default_config_static_selectorELNS0_4arch9wavefront6targetE1EEEvT1_.num_named_barrier, 0
	.set _ZN7rocprim17ROCPRIM_400000_NS6detail17trampoline_kernelINS0_14default_configENS1_25partition_config_selectorILNS1_17partition_subalgoE8ElNS0_10empty_typeEbEEZZNS1_14partition_implILS5_8ELb0ES3_jPlPS6_PKS6_NS0_5tupleIJS9_S6_EEENSD_IJSA_SA_EEENS0_18inequality_wrapperIZN2at6native12_GLOBAL__N_124unique_dim_cuda_templateIsEESt5tupleIJNSH_6TensorESM_SM_EERKSM_lbbbEUlllE0_EEPmJS6_EEE10hipError_tPvRmT3_T4_T5_T6_T7_T9_mT8_P12ihipStream_tbDpT10_ENKUlT_T0_E_clISt17integral_constantIbLb1EES1B_IbLb0EEEEDaS17_S18_EUlS17_E_NS1_11comp_targetILNS1_3genE3ELNS1_11target_archE908ELNS1_3gpuE7ELNS1_3repE0EEENS1_30default_config_static_selectorELNS0_4arch9wavefront6targetE1EEEvT1_.private_seg_size, 0
	.set _ZN7rocprim17ROCPRIM_400000_NS6detail17trampoline_kernelINS0_14default_configENS1_25partition_config_selectorILNS1_17partition_subalgoE8ElNS0_10empty_typeEbEEZZNS1_14partition_implILS5_8ELb0ES3_jPlPS6_PKS6_NS0_5tupleIJS9_S6_EEENSD_IJSA_SA_EEENS0_18inequality_wrapperIZN2at6native12_GLOBAL__N_124unique_dim_cuda_templateIsEESt5tupleIJNSH_6TensorESM_SM_EERKSM_lbbbEUlllE0_EEPmJS6_EEE10hipError_tPvRmT3_T4_T5_T6_T7_T9_mT8_P12ihipStream_tbDpT10_ENKUlT_T0_E_clISt17integral_constantIbLb1EES1B_IbLb0EEEEDaS17_S18_EUlS17_E_NS1_11comp_targetILNS1_3genE3ELNS1_11target_archE908ELNS1_3gpuE7ELNS1_3repE0EEENS1_30default_config_static_selectorELNS0_4arch9wavefront6targetE1EEEvT1_.uses_vcc, 0
	.set _ZN7rocprim17ROCPRIM_400000_NS6detail17trampoline_kernelINS0_14default_configENS1_25partition_config_selectorILNS1_17partition_subalgoE8ElNS0_10empty_typeEbEEZZNS1_14partition_implILS5_8ELb0ES3_jPlPS6_PKS6_NS0_5tupleIJS9_S6_EEENSD_IJSA_SA_EEENS0_18inequality_wrapperIZN2at6native12_GLOBAL__N_124unique_dim_cuda_templateIsEESt5tupleIJNSH_6TensorESM_SM_EERKSM_lbbbEUlllE0_EEPmJS6_EEE10hipError_tPvRmT3_T4_T5_T6_T7_T9_mT8_P12ihipStream_tbDpT10_ENKUlT_T0_E_clISt17integral_constantIbLb1EES1B_IbLb0EEEEDaS17_S18_EUlS17_E_NS1_11comp_targetILNS1_3genE3ELNS1_11target_archE908ELNS1_3gpuE7ELNS1_3repE0EEENS1_30default_config_static_selectorELNS0_4arch9wavefront6targetE1EEEvT1_.uses_flat_scratch, 0
	.set _ZN7rocprim17ROCPRIM_400000_NS6detail17trampoline_kernelINS0_14default_configENS1_25partition_config_selectorILNS1_17partition_subalgoE8ElNS0_10empty_typeEbEEZZNS1_14partition_implILS5_8ELb0ES3_jPlPS6_PKS6_NS0_5tupleIJS9_S6_EEENSD_IJSA_SA_EEENS0_18inequality_wrapperIZN2at6native12_GLOBAL__N_124unique_dim_cuda_templateIsEESt5tupleIJNSH_6TensorESM_SM_EERKSM_lbbbEUlllE0_EEPmJS6_EEE10hipError_tPvRmT3_T4_T5_T6_T7_T9_mT8_P12ihipStream_tbDpT10_ENKUlT_T0_E_clISt17integral_constantIbLb1EES1B_IbLb0EEEEDaS17_S18_EUlS17_E_NS1_11comp_targetILNS1_3genE3ELNS1_11target_archE908ELNS1_3gpuE7ELNS1_3repE0EEENS1_30default_config_static_selectorELNS0_4arch9wavefront6targetE1EEEvT1_.has_dyn_sized_stack, 0
	.set _ZN7rocprim17ROCPRIM_400000_NS6detail17trampoline_kernelINS0_14default_configENS1_25partition_config_selectorILNS1_17partition_subalgoE8ElNS0_10empty_typeEbEEZZNS1_14partition_implILS5_8ELb0ES3_jPlPS6_PKS6_NS0_5tupleIJS9_S6_EEENSD_IJSA_SA_EEENS0_18inequality_wrapperIZN2at6native12_GLOBAL__N_124unique_dim_cuda_templateIsEESt5tupleIJNSH_6TensorESM_SM_EERKSM_lbbbEUlllE0_EEPmJS6_EEE10hipError_tPvRmT3_T4_T5_T6_T7_T9_mT8_P12ihipStream_tbDpT10_ENKUlT_T0_E_clISt17integral_constantIbLb1EES1B_IbLb0EEEEDaS17_S18_EUlS17_E_NS1_11comp_targetILNS1_3genE3ELNS1_11target_archE908ELNS1_3gpuE7ELNS1_3repE0EEENS1_30default_config_static_selectorELNS0_4arch9wavefront6targetE1EEEvT1_.has_recursion, 0
	.set _ZN7rocprim17ROCPRIM_400000_NS6detail17trampoline_kernelINS0_14default_configENS1_25partition_config_selectorILNS1_17partition_subalgoE8ElNS0_10empty_typeEbEEZZNS1_14partition_implILS5_8ELb0ES3_jPlPS6_PKS6_NS0_5tupleIJS9_S6_EEENSD_IJSA_SA_EEENS0_18inequality_wrapperIZN2at6native12_GLOBAL__N_124unique_dim_cuda_templateIsEESt5tupleIJNSH_6TensorESM_SM_EERKSM_lbbbEUlllE0_EEPmJS6_EEE10hipError_tPvRmT3_T4_T5_T6_T7_T9_mT8_P12ihipStream_tbDpT10_ENKUlT_T0_E_clISt17integral_constantIbLb1EES1B_IbLb0EEEEDaS17_S18_EUlS17_E_NS1_11comp_targetILNS1_3genE3ELNS1_11target_archE908ELNS1_3gpuE7ELNS1_3repE0EEENS1_30default_config_static_selectorELNS0_4arch9wavefront6targetE1EEEvT1_.has_indirect_call, 0
	.section	.AMDGPU.csdata,"",@progbits
; Kernel info:
; codeLenInByte = 0
; TotalNumSgprs: 6
; NumVgprs: 0
; NumAgprs: 0
; TotalNumVgprs: 0
; ScratchSize: 0
; MemoryBound: 0
; FloatMode: 240
; IeeeMode: 1
; LDSByteSize: 0 bytes/workgroup (compile time only)
; SGPRBlocks: 0
; VGPRBlocks: 0
; NumSGPRsForWavesPerEU: 6
; NumVGPRsForWavesPerEU: 1
; AccumOffset: 4
; Occupancy: 8
; WaveLimiterHint : 0
; COMPUTE_PGM_RSRC2:SCRATCH_EN: 0
; COMPUTE_PGM_RSRC2:USER_SGPR: 2
; COMPUTE_PGM_RSRC2:TRAP_HANDLER: 0
; COMPUTE_PGM_RSRC2:TGID_X_EN: 1
; COMPUTE_PGM_RSRC2:TGID_Y_EN: 0
; COMPUTE_PGM_RSRC2:TGID_Z_EN: 0
; COMPUTE_PGM_RSRC2:TIDIG_COMP_CNT: 0
; COMPUTE_PGM_RSRC3_GFX90A:ACCUM_OFFSET: 0
; COMPUTE_PGM_RSRC3_GFX90A:TG_SPLIT: 0
	.section	.text._ZN7rocprim17ROCPRIM_400000_NS6detail17trampoline_kernelINS0_14default_configENS1_25partition_config_selectorILNS1_17partition_subalgoE8ElNS0_10empty_typeEbEEZZNS1_14partition_implILS5_8ELb0ES3_jPlPS6_PKS6_NS0_5tupleIJS9_S6_EEENSD_IJSA_SA_EEENS0_18inequality_wrapperIZN2at6native12_GLOBAL__N_124unique_dim_cuda_templateIsEESt5tupleIJNSH_6TensorESM_SM_EERKSM_lbbbEUlllE0_EEPmJS6_EEE10hipError_tPvRmT3_T4_T5_T6_T7_T9_mT8_P12ihipStream_tbDpT10_ENKUlT_T0_E_clISt17integral_constantIbLb1EES1B_IbLb0EEEEDaS17_S18_EUlS17_E_NS1_11comp_targetILNS1_3genE2ELNS1_11target_archE906ELNS1_3gpuE6ELNS1_3repE0EEENS1_30default_config_static_selectorELNS0_4arch9wavefront6targetE1EEEvT1_,"axG",@progbits,_ZN7rocprim17ROCPRIM_400000_NS6detail17trampoline_kernelINS0_14default_configENS1_25partition_config_selectorILNS1_17partition_subalgoE8ElNS0_10empty_typeEbEEZZNS1_14partition_implILS5_8ELb0ES3_jPlPS6_PKS6_NS0_5tupleIJS9_S6_EEENSD_IJSA_SA_EEENS0_18inequality_wrapperIZN2at6native12_GLOBAL__N_124unique_dim_cuda_templateIsEESt5tupleIJNSH_6TensorESM_SM_EERKSM_lbbbEUlllE0_EEPmJS6_EEE10hipError_tPvRmT3_T4_T5_T6_T7_T9_mT8_P12ihipStream_tbDpT10_ENKUlT_T0_E_clISt17integral_constantIbLb1EES1B_IbLb0EEEEDaS17_S18_EUlS17_E_NS1_11comp_targetILNS1_3genE2ELNS1_11target_archE906ELNS1_3gpuE6ELNS1_3repE0EEENS1_30default_config_static_selectorELNS0_4arch9wavefront6targetE1EEEvT1_,comdat
	.globl	_ZN7rocprim17ROCPRIM_400000_NS6detail17trampoline_kernelINS0_14default_configENS1_25partition_config_selectorILNS1_17partition_subalgoE8ElNS0_10empty_typeEbEEZZNS1_14partition_implILS5_8ELb0ES3_jPlPS6_PKS6_NS0_5tupleIJS9_S6_EEENSD_IJSA_SA_EEENS0_18inequality_wrapperIZN2at6native12_GLOBAL__N_124unique_dim_cuda_templateIsEESt5tupleIJNSH_6TensorESM_SM_EERKSM_lbbbEUlllE0_EEPmJS6_EEE10hipError_tPvRmT3_T4_T5_T6_T7_T9_mT8_P12ihipStream_tbDpT10_ENKUlT_T0_E_clISt17integral_constantIbLb1EES1B_IbLb0EEEEDaS17_S18_EUlS17_E_NS1_11comp_targetILNS1_3genE2ELNS1_11target_archE906ELNS1_3gpuE6ELNS1_3repE0EEENS1_30default_config_static_selectorELNS0_4arch9wavefront6targetE1EEEvT1_ ; -- Begin function _ZN7rocprim17ROCPRIM_400000_NS6detail17trampoline_kernelINS0_14default_configENS1_25partition_config_selectorILNS1_17partition_subalgoE8ElNS0_10empty_typeEbEEZZNS1_14partition_implILS5_8ELb0ES3_jPlPS6_PKS6_NS0_5tupleIJS9_S6_EEENSD_IJSA_SA_EEENS0_18inequality_wrapperIZN2at6native12_GLOBAL__N_124unique_dim_cuda_templateIsEESt5tupleIJNSH_6TensorESM_SM_EERKSM_lbbbEUlllE0_EEPmJS6_EEE10hipError_tPvRmT3_T4_T5_T6_T7_T9_mT8_P12ihipStream_tbDpT10_ENKUlT_T0_E_clISt17integral_constantIbLb1EES1B_IbLb0EEEEDaS17_S18_EUlS17_E_NS1_11comp_targetILNS1_3genE2ELNS1_11target_archE906ELNS1_3gpuE6ELNS1_3repE0EEENS1_30default_config_static_selectorELNS0_4arch9wavefront6targetE1EEEvT1_
	.p2align	8
	.type	_ZN7rocprim17ROCPRIM_400000_NS6detail17trampoline_kernelINS0_14default_configENS1_25partition_config_selectorILNS1_17partition_subalgoE8ElNS0_10empty_typeEbEEZZNS1_14partition_implILS5_8ELb0ES3_jPlPS6_PKS6_NS0_5tupleIJS9_S6_EEENSD_IJSA_SA_EEENS0_18inequality_wrapperIZN2at6native12_GLOBAL__N_124unique_dim_cuda_templateIsEESt5tupleIJNSH_6TensorESM_SM_EERKSM_lbbbEUlllE0_EEPmJS6_EEE10hipError_tPvRmT3_T4_T5_T6_T7_T9_mT8_P12ihipStream_tbDpT10_ENKUlT_T0_E_clISt17integral_constantIbLb1EES1B_IbLb0EEEEDaS17_S18_EUlS17_E_NS1_11comp_targetILNS1_3genE2ELNS1_11target_archE906ELNS1_3gpuE6ELNS1_3repE0EEENS1_30default_config_static_selectorELNS0_4arch9wavefront6targetE1EEEvT1_,@function
_ZN7rocprim17ROCPRIM_400000_NS6detail17trampoline_kernelINS0_14default_configENS1_25partition_config_selectorILNS1_17partition_subalgoE8ElNS0_10empty_typeEbEEZZNS1_14partition_implILS5_8ELb0ES3_jPlPS6_PKS6_NS0_5tupleIJS9_S6_EEENSD_IJSA_SA_EEENS0_18inequality_wrapperIZN2at6native12_GLOBAL__N_124unique_dim_cuda_templateIsEESt5tupleIJNSH_6TensorESM_SM_EERKSM_lbbbEUlllE0_EEPmJS6_EEE10hipError_tPvRmT3_T4_T5_T6_T7_T9_mT8_P12ihipStream_tbDpT10_ENKUlT_T0_E_clISt17integral_constantIbLb1EES1B_IbLb0EEEEDaS17_S18_EUlS17_E_NS1_11comp_targetILNS1_3genE2ELNS1_11target_archE906ELNS1_3gpuE6ELNS1_3repE0EEENS1_30default_config_static_selectorELNS0_4arch9wavefront6targetE1EEEvT1_: ; @_ZN7rocprim17ROCPRIM_400000_NS6detail17trampoline_kernelINS0_14default_configENS1_25partition_config_selectorILNS1_17partition_subalgoE8ElNS0_10empty_typeEbEEZZNS1_14partition_implILS5_8ELb0ES3_jPlPS6_PKS6_NS0_5tupleIJS9_S6_EEENSD_IJSA_SA_EEENS0_18inequality_wrapperIZN2at6native12_GLOBAL__N_124unique_dim_cuda_templateIsEESt5tupleIJNSH_6TensorESM_SM_EERKSM_lbbbEUlllE0_EEPmJS6_EEE10hipError_tPvRmT3_T4_T5_T6_T7_T9_mT8_P12ihipStream_tbDpT10_ENKUlT_T0_E_clISt17integral_constantIbLb1EES1B_IbLb0EEEEDaS17_S18_EUlS17_E_NS1_11comp_targetILNS1_3genE2ELNS1_11target_archE906ELNS1_3gpuE6ELNS1_3repE0EEENS1_30default_config_static_selectorELNS0_4arch9wavefront6targetE1EEEvT1_
; %bb.0:
	.section	.rodata,"a",@progbits
	.p2align	6, 0x0
	.amdhsa_kernel _ZN7rocprim17ROCPRIM_400000_NS6detail17trampoline_kernelINS0_14default_configENS1_25partition_config_selectorILNS1_17partition_subalgoE8ElNS0_10empty_typeEbEEZZNS1_14partition_implILS5_8ELb0ES3_jPlPS6_PKS6_NS0_5tupleIJS9_S6_EEENSD_IJSA_SA_EEENS0_18inequality_wrapperIZN2at6native12_GLOBAL__N_124unique_dim_cuda_templateIsEESt5tupleIJNSH_6TensorESM_SM_EERKSM_lbbbEUlllE0_EEPmJS6_EEE10hipError_tPvRmT3_T4_T5_T6_T7_T9_mT8_P12ihipStream_tbDpT10_ENKUlT_T0_E_clISt17integral_constantIbLb1EES1B_IbLb0EEEEDaS17_S18_EUlS17_E_NS1_11comp_targetILNS1_3genE2ELNS1_11target_archE906ELNS1_3gpuE6ELNS1_3repE0EEENS1_30default_config_static_selectorELNS0_4arch9wavefront6targetE1EEEvT1_
		.amdhsa_group_segment_fixed_size 0
		.amdhsa_private_segment_fixed_size 0
		.amdhsa_kernarg_size 120
		.amdhsa_user_sgpr_count 2
		.amdhsa_user_sgpr_dispatch_ptr 0
		.amdhsa_user_sgpr_queue_ptr 0
		.amdhsa_user_sgpr_kernarg_segment_ptr 1
		.amdhsa_user_sgpr_dispatch_id 0
		.amdhsa_user_sgpr_kernarg_preload_length 0
		.amdhsa_user_sgpr_kernarg_preload_offset 0
		.amdhsa_user_sgpr_private_segment_size 0
		.amdhsa_uses_dynamic_stack 0
		.amdhsa_enable_private_segment 0
		.amdhsa_system_sgpr_workgroup_id_x 1
		.amdhsa_system_sgpr_workgroup_id_y 0
		.amdhsa_system_sgpr_workgroup_id_z 0
		.amdhsa_system_sgpr_workgroup_info 0
		.amdhsa_system_vgpr_workitem_id 0
		.amdhsa_next_free_vgpr 1
		.amdhsa_next_free_sgpr 0
		.amdhsa_accum_offset 4
		.amdhsa_reserve_vcc 0
		.amdhsa_float_round_mode_32 0
		.amdhsa_float_round_mode_16_64 0
		.amdhsa_float_denorm_mode_32 3
		.amdhsa_float_denorm_mode_16_64 3
		.amdhsa_dx10_clamp 1
		.amdhsa_ieee_mode 1
		.amdhsa_fp16_overflow 0
		.amdhsa_tg_split 0
		.amdhsa_exception_fp_ieee_invalid_op 0
		.amdhsa_exception_fp_denorm_src 0
		.amdhsa_exception_fp_ieee_div_zero 0
		.amdhsa_exception_fp_ieee_overflow 0
		.amdhsa_exception_fp_ieee_underflow 0
		.amdhsa_exception_fp_ieee_inexact 0
		.amdhsa_exception_int_div_zero 0
	.end_amdhsa_kernel
	.section	.text._ZN7rocprim17ROCPRIM_400000_NS6detail17trampoline_kernelINS0_14default_configENS1_25partition_config_selectorILNS1_17partition_subalgoE8ElNS0_10empty_typeEbEEZZNS1_14partition_implILS5_8ELb0ES3_jPlPS6_PKS6_NS0_5tupleIJS9_S6_EEENSD_IJSA_SA_EEENS0_18inequality_wrapperIZN2at6native12_GLOBAL__N_124unique_dim_cuda_templateIsEESt5tupleIJNSH_6TensorESM_SM_EERKSM_lbbbEUlllE0_EEPmJS6_EEE10hipError_tPvRmT3_T4_T5_T6_T7_T9_mT8_P12ihipStream_tbDpT10_ENKUlT_T0_E_clISt17integral_constantIbLb1EES1B_IbLb0EEEEDaS17_S18_EUlS17_E_NS1_11comp_targetILNS1_3genE2ELNS1_11target_archE906ELNS1_3gpuE6ELNS1_3repE0EEENS1_30default_config_static_selectorELNS0_4arch9wavefront6targetE1EEEvT1_,"axG",@progbits,_ZN7rocprim17ROCPRIM_400000_NS6detail17trampoline_kernelINS0_14default_configENS1_25partition_config_selectorILNS1_17partition_subalgoE8ElNS0_10empty_typeEbEEZZNS1_14partition_implILS5_8ELb0ES3_jPlPS6_PKS6_NS0_5tupleIJS9_S6_EEENSD_IJSA_SA_EEENS0_18inequality_wrapperIZN2at6native12_GLOBAL__N_124unique_dim_cuda_templateIsEESt5tupleIJNSH_6TensorESM_SM_EERKSM_lbbbEUlllE0_EEPmJS6_EEE10hipError_tPvRmT3_T4_T5_T6_T7_T9_mT8_P12ihipStream_tbDpT10_ENKUlT_T0_E_clISt17integral_constantIbLb1EES1B_IbLb0EEEEDaS17_S18_EUlS17_E_NS1_11comp_targetILNS1_3genE2ELNS1_11target_archE906ELNS1_3gpuE6ELNS1_3repE0EEENS1_30default_config_static_selectorELNS0_4arch9wavefront6targetE1EEEvT1_,comdat
.Lfunc_end705:
	.size	_ZN7rocprim17ROCPRIM_400000_NS6detail17trampoline_kernelINS0_14default_configENS1_25partition_config_selectorILNS1_17partition_subalgoE8ElNS0_10empty_typeEbEEZZNS1_14partition_implILS5_8ELb0ES3_jPlPS6_PKS6_NS0_5tupleIJS9_S6_EEENSD_IJSA_SA_EEENS0_18inequality_wrapperIZN2at6native12_GLOBAL__N_124unique_dim_cuda_templateIsEESt5tupleIJNSH_6TensorESM_SM_EERKSM_lbbbEUlllE0_EEPmJS6_EEE10hipError_tPvRmT3_T4_T5_T6_T7_T9_mT8_P12ihipStream_tbDpT10_ENKUlT_T0_E_clISt17integral_constantIbLb1EES1B_IbLb0EEEEDaS17_S18_EUlS17_E_NS1_11comp_targetILNS1_3genE2ELNS1_11target_archE906ELNS1_3gpuE6ELNS1_3repE0EEENS1_30default_config_static_selectorELNS0_4arch9wavefront6targetE1EEEvT1_, .Lfunc_end705-_ZN7rocprim17ROCPRIM_400000_NS6detail17trampoline_kernelINS0_14default_configENS1_25partition_config_selectorILNS1_17partition_subalgoE8ElNS0_10empty_typeEbEEZZNS1_14partition_implILS5_8ELb0ES3_jPlPS6_PKS6_NS0_5tupleIJS9_S6_EEENSD_IJSA_SA_EEENS0_18inequality_wrapperIZN2at6native12_GLOBAL__N_124unique_dim_cuda_templateIsEESt5tupleIJNSH_6TensorESM_SM_EERKSM_lbbbEUlllE0_EEPmJS6_EEE10hipError_tPvRmT3_T4_T5_T6_T7_T9_mT8_P12ihipStream_tbDpT10_ENKUlT_T0_E_clISt17integral_constantIbLb1EES1B_IbLb0EEEEDaS17_S18_EUlS17_E_NS1_11comp_targetILNS1_3genE2ELNS1_11target_archE906ELNS1_3gpuE6ELNS1_3repE0EEENS1_30default_config_static_selectorELNS0_4arch9wavefront6targetE1EEEvT1_
                                        ; -- End function
	.set _ZN7rocprim17ROCPRIM_400000_NS6detail17trampoline_kernelINS0_14default_configENS1_25partition_config_selectorILNS1_17partition_subalgoE8ElNS0_10empty_typeEbEEZZNS1_14partition_implILS5_8ELb0ES3_jPlPS6_PKS6_NS0_5tupleIJS9_S6_EEENSD_IJSA_SA_EEENS0_18inequality_wrapperIZN2at6native12_GLOBAL__N_124unique_dim_cuda_templateIsEESt5tupleIJNSH_6TensorESM_SM_EERKSM_lbbbEUlllE0_EEPmJS6_EEE10hipError_tPvRmT3_T4_T5_T6_T7_T9_mT8_P12ihipStream_tbDpT10_ENKUlT_T0_E_clISt17integral_constantIbLb1EES1B_IbLb0EEEEDaS17_S18_EUlS17_E_NS1_11comp_targetILNS1_3genE2ELNS1_11target_archE906ELNS1_3gpuE6ELNS1_3repE0EEENS1_30default_config_static_selectorELNS0_4arch9wavefront6targetE1EEEvT1_.num_vgpr, 0
	.set _ZN7rocprim17ROCPRIM_400000_NS6detail17trampoline_kernelINS0_14default_configENS1_25partition_config_selectorILNS1_17partition_subalgoE8ElNS0_10empty_typeEbEEZZNS1_14partition_implILS5_8ELb0ES3_jPlPS6_PKS6_NS0_5tupleIJS9_S6_EEENSD_IJSA_SA_EEENS0_18inequality_wrapperIZN2at6native12_GLOBAL__N_124unique_dim_cuda_templateIsEESt5tupleIJNSH_6TensorESM_SM_EERKSM_lbbbEUlllE0_EEPmJS6_EEE10hipError_tPvRmT3_T4_T5_T6_T7_T9_mT8_P12ihipStream_tbDpT10_ENKUlT_T0_E_clISt17integral_constantIbLb1EES1B_IbLb0EEEEDaS17_S18_EUlS17_E_NS1_11comp_targetILNS1_3genE2ELNS1_11target_archE906ELNS1_3gpuE6ELNS1_3repE0EEENS1_30default_config_static_selectorELNS0_4arch9wavefront6targetE1EEEvT1_.num_agpr, 0
	.set _ZN7rocprim17ROCPRIM_400000_NS6detail17trampoline_kernelINS0_14default_configENS1_25partition_config_selectorILNS1_17partition_subalgoE8ElNS0_10empty_typeEbEEZZNS1_14partition_implILS5_8ELb0ES3_jPlPS6_PKS6_NS0_5tupleIJS9_S6_EEENSD_IJSA_SA_EEENS0_18inequality_wrapperIZN2at6native12_GLOBAL__N_124unique_dim_cuda_templateIsEESt5tupleIJNSH_6TensorESM_SM_EERKSM_lbbbEUlllE0_EEPmJS6_EEE10hipError_tPvRmT3_T4_T5_T6_T7_T9_mT8_P12ihipStream_tbDpT10_ENKUlT_T0_E_clISt17integral_constantIbLb1EES1B_IbLb0EEEEDaS17_S18_EUlS17_E_NS1_11comp_targetILNS1_3genE2ELNS1_11target_archE906ELNS1_3gpuE6ELNS1_3repE0EEENS1_30default_config_static_selectorELNS0_4arch9wavefront6targetE1EEEvT1_.numbered_sgpr, 0
	.set _ZN7rocprim17ROCPRIM_400000_NS6detail17trampoline_kernelINS0_14default_configENS1_25partition_config_selectorILNS1_17partition_subalgoE8ElNS0_10empty_typeEbEEZZNS1_14partition_implILS5_8ELb0ES3_jPlPS6_PKS6_NS0_5tupleIJS9_S6_EEENSD_IJSA_SA_EEENS0_18inequality_wrapperIZN2at6native12_GLOBAL__N_124unique_dim_cuda_templateIsEESt5tupleIJNSH_6TensorESM_SM_EERKSM_lbbbEUlllE0_EEPmJS6_EEE10hipError_tPvRmT3_T4_T5_T6_T7_T9_mT8_P12ihipStream_tbDpT10_ENKUlT_T0_E_clISt17integral_constantIbLb1EES1B_IbLb0EEEEDaS17_S18_EUlS17_E_NS1_11comp_targetILNS1_3genE2ELNS1_11target_archE906ELNS1_3gpuE6ELNS1_3repE0EEENS1_30default_config_static_selectorELNS0_4arch9wavefront6targetE1EEEvT1_.num_named_barrier, 0
	.set _ZN7rocprim17ROCPRIM_400000_NS6detail17trampoline_kernelINS0_14default_configENS1_25partition_config_selectorILNS1_17partition_subalgoE8ElNS0_10empty_typeEbEEZZNS1_14partition_implILS5_8ELb0ES3_jPlPS6_PKS6_NS0_5tupleIJS9_S6_EEENSD_IJSA_SA_EEENS0_18inequality_wrapperIZN2at6native12_GLOBAL__N_124unique_dim_cuda_templateIsEESt5tupleIJNSH_6TensorESM_SM_EERKSM_lbbbEUlllE0_EEPmJS6_EEE10hipError_tPvRmT3_T4_T5_T6_T7_T9_mT8_P12ihipStream_tbDpT10_ENKUlT_T0_E_clISt17integral_constantIbLb1EES1B_IbLb0EEEEDaS17_S18_EUlS17_E_NS1_11comp_targetILNS1_3genE2ELNS1_11target_archE906ELNS1_3gpuE6ELNS1_3repE0EEENS1_30default_config_static_selectorELNS0_4arch9wavefront6targetE1EEEvT1_.private_seg_size, 0
	.set _ZN7rocprim17ROCPRIM_400000_NS6detail17trampoline_kernelINS0_14default_configENS1_25partition_config_selectorILNS1_17partition_subalgoE8ElNS0_10empty_typeEbEEZZNS1_14partition_implILS5_8ELb0ES3_jPlPS6_PKS6_NS0_5tupleIJS9_S6_EEENSD_IJSA_SA_EEENS0_18inequality_wrapperIZN2at6native12_GLOBAL__N_124unique_dim_cuda_templateIsEESt5tupleIJNSH_6TensorESM_SM_EERKSM_lbbbEUlllE0_EEPmJS6_EEE10hipError_tPvRmT3_T4_T5_T6_T7_T9_mT8_P12ihipStream_tbDpT10_ENKUlT_T0_E_clISt17integral_constantIbLb1EES1B_IbLb0EEEEDaS17_S18_EUlS17_E_NS1_11comp_targetILNS1_3genE2ELNS1_11target_archE906ELNS1_3gpuE6ELNS1_3repE0EEENS1_30default_config_static_selectorELNS0_4arch9wavefront6targetE1EEEvT1_.uses_vcc, 0
	.set _ZN7rocprim17ROCPRIM_400000_NS6detail17trampoline_kernelINS0_14default_configENS1_25partition_config_selectorILNS1_17partition_subalgoE8ElNS0_10empty_typeEbEEZZNS1_14partition_implILS5_8ELb0ES3_jPlPS6_PKS6_NS0_5tupleIJS9_S6_EEENSD_IJSA_SA_EEENS0_18inequality_wrapperIZN2at6native12_GLOBAL__N_124unique_dim_cuda_templateIsEESt5tupleIJNSH_6TensorESM_SM_EERKSM_lbbbEUlllE0_EEPmJS6_EEE10hipError_tPvRmT3_T4_T5_T6_T7_T9_mT8_P12ihipStream_tbDpT10_ENKUlT_T0_E_clISt17integral_constantIbLb1EES1B_IbLb0EEEEDaS17_S18_EUlS17_E_NS1_11comp_targetILNS1_3genE2ELNS1_11target_archE906ELNS1_3gpuE6ELNS1_3repE0EEENS1_30default_config_static_selectorELNS0_4arch9wavefront6targetE1EEEvT1_.uses_flat_scratch, 0
	.set _ZN7rocprim17ROCPRIM_400000_NS6detail17trampoline_kernelINS0_14default_configENS1_25partition_config_selectorILNS1_17partition_subalgoE8ElNS0_10empty_typeEbEEZZNS1_14partition_implILS5_8ELb0ES3_jPlPS6_PKS6_NS0_5tupleIJS9_S6_EEENSD_IJSA_SA_EEENS0_18inequality_wrapperIZN2at6native12_GLOBAL__N_124unique_dim_cuda_templateIsEESt5tupleIJNSH_6TensorESM_SM_EERKSM_lbbbEUlllE0_EEPmJS6_EEE10hipError_tPvRmT3_T4_T5_T6_T7_T9_mT8_P12ihipStream_tbDpT10_ENKUlT_T0_E_clISt17integral_constantIbLb1EES1B_IbLb0EEEEDaS17_S18_EUlS17_E_NS1_11comp_targetILNS1_3genE2ELNS1_11target_archE906ELNS1_3gpuE6ELNS1_3repE0EEENS1_30default_config_static_selectorELNS0_4arch9wavefront6targetE1EEEvT1_.has_dyn_sized_stack, 0
	.set _ZN7rocprim17ROCPRIM_400000_NS6detail17trampoline_kernelINS0_14default_configENS1_25partition_config_selectorILNS1_17partition_subalgoE8ElNS0_10empty_typeEbEEZZNS1_14partition_implILS5_8ELb0ES3_jPlPS6_PKS6_NS0_5tupleIJS9_S6_EEENSD_IJSA_SA_EEENS0_18inequality_wrapperIZN2at6native12_GLOBAL__N_124unique_dim_cuda_templateIsEESt5tupleIJNSH_6TensorESM_SM_EERKSM_lbbbEUlllE0_EEPmJS6_EEE10hipError_tPvRmT3_T4_T5_T6_T7_T9_mT8_P12ihipStream_tbDpT10_ENKUlT_T0_E_clISt17integral_constantIbLb1EES1B_IbLb0EEEEDaS17_S18_EUlS17_E_NS1_11comp_targetILNS1_3genE2ELNS1_11target_archE906ELNS1_3gpuE6ELNS1_3repE0EEENS1_30default_config_static_selectorELNS0_4arch9wavefront6targetE1EEEvT1_.has_recursion, 0
	.set _ZN7rocprim17ROCPRIM_400000_NS6detail17trampoline_kernelINS0_14default_configENS1_25partition_config_selectorILNS1_17partition_subalgoE8ElNS0_10empty_typeEbEEZZNS1_14partition_implILS5_8ELb0ES3_jPlPS6_PKS6_NS0_5tupleIJS9_S6_EEENSD_IJSA_SA_EEENS0_18inequality_wrapperIZN2at6native12_GLOBAL__N_124unique_dim_cuda_templateIsEESt5tupleIJNSH_6TensorESM_SM_EERKSM_lbbbEUlllE0_EEPmJS6_EEE10hipError_tPvRmT3_T4_T5_T6_T7_T9_mT8_P12ihipStream_tbDpT10_ENKUlT_T0_E_clISt17integral_constantIbLb1EES1B_IbLb0EEEEDaS17_S18_EUlS17_E_NS1_11comp_targetILNS1_3genE2ELNS1_11target_archE906ELNS1_3gpuE6ELNS1_3repE0EEENS1_30default_config_static_selectorELNS0_4arch9wavefront6targetE1EEEvT1_.has_indirect_call, 0
	.section	.AMDGPU.csdata,"",@progbits
; Kernel info:
; codeLenInByte = 0
; TotalNumSgprs: 6
; NumVgprs: 0
; NumAgprs: 0
; TotalNumVgprs: 0
; ScratchSize: 0
; MemoryBound: 0
; FloatMode: 240
; IeeeMode: 1
; LDSByteSize: 0 bytes/workgroup (compile time only)
; SGPRBlocks: 0
; VGPRBlocks: 0
; NumSGPRsForWavesPerEU: 6
; NumVGPRsForWavesPerEU: 1
; AccumOffset: 4
; Occupancy: 8
; WaveLimiterHint : 0
; COMPUTE_PGM_RSRC2:SCRATCH_EN: 0
; COMPUTE_PGM_RSRC2:USER_SGPR: 2
; COMPUTE_PGM_RSRC2:TRAP_HANDLER: 0
; COMPUTE_PGM_RSRC2:TGID_X_EN: 1
; COMPUTE_PGM_RSRC2:TGID_Y_EN: 0
; COMPUTE_PGM_RSRC2:TGID_Z_EN: 0
; COMPUTE_PGM_RSRC2:TIDIG_COMP_CNT: 0
; COMPUTE_PGM_RSRC3_GFX90A:ACCUM_OFFSET: 0
; COMPUTE_PGM_RSRC3_GFX90A:TG_SPLIT: 0
	.section	.text._ZN7rocprim17ROCPRIM_400000_NS6detail17trampoline_kernelINS0_14default_configENS1_25partition_config_selectorILNS1_17partition_subalgoE8ElNS0_10empty_typeEbEEZZNS1_14partition_implILS5_8ELb0ES3_jPlPS6_PKS6_NS0_5tupleIJS9_S6_EEENSD_IJSA_SA_EEENS0_18inequality_wrapperIZN2at6native12_GLOBAL__N_124unique_dim_cuda_templateIsEESt5tupleIJNSH_6TensorESM_SM_EERKSM_lbbbEUlllE0_EEPmJS6_EEE10hipError_tPvRmT3_T4_T5_T6_T7_T9_mT8_P12ihipStream_tbDpT10_ENKUlT_T0_E_clISt17integral_constantIbLb1EES1B_IbLb0EEEEDaS17_S18_EUlS17_E_NS1_11comp_targetILNS1_3genE10ELNS1_11target_archE1200ELNS1_3gpuE4ELNS1_3repE0EEENS1_30default_config_static_selectorELNS0_4arch9wavefront6targetE1EEEvT1_,"axG",@progbits,_ZN7rocprim17ROCPRIM_400000_NS6detail17trampoline_kernelINS0_14default_configENS1_25partition_config_selectorILNS1_17partition_subalgoE8ElNS0_10empty_typeEbEEZZNS1_14partition_implILS5_8ELb0ES3_jPlPS6_PKS6_NS0_5tupleIJS9_S6_EEENSD_IJSA_SA_EEENS0_18inequality_wrapperIZN2at6native12_GLOBAL__N_124unique_dim_cuda_templateIsEESt5tupleIJNSH_6TensorESM_SM_EERKSM_lbbbEUlllE0_EEPmJS6_EEE10hipError_tPvRmT3_T4_T5_T6_T7_T9_mT8_P12ihipStream_tbDpT10_ENKUlT_T0_E_clISt17integral_constantIbLb1EES1B_IbLb0EEEEDaS17_S18_EUlS17_E_NS1_11comp_targetILNS1_3genE10ELNS1_11target_archE1200ELNS1_3gpuE4ELNS1_3repE0EEENS1_30default_config_static_selectorELNS0_4arch9wavefront6targetE1EEEvT1_,comdat
	.globl	_ZN7rocprim17ROCPRIM_400000_NS6detail17trampoline_kernelINS0_14default_configENS1_25partition_config_selectorILNS1_17partition_subalgoE8ElNS0_10empty_typeEbEEZZNS1_14partition_implILS5_8ELb0ES3_jPlPS6_PKS6_NS0_5tupleIJS9_S6_EEENSD_IJSA_SA_EEENS0_18inequality_wrapperIZN2at6native12_GLOBAL__N_124unique_dim_cuda_templateIsEESt5tupleIJNSH_6TensorESM_SM_EERKSM_lbbbEUlllE0_EEPmJS6_EEE10hipError_tPvRmT3_T4_T5_T6_T7_T9_mT8_P12ihipStream_tbDpT10_ENKUlT_T0_E_clISt17integral_constantIbLb1EES1B_IbLb0EEEEDaS17_S18_EUlS17_E_NS1_11comp_targetILNS1_3genE10ELNS1_11target_archE1200ELNS1_3gpuE4ELNS1_3repE0EEENS1_30default_config_static_selectorELNS0_4arch9wavefront6targetE1EEEvT1_ ; -- Begin function _ZN7rocprim17ROCPRIM_400000_NS6detail17trampoline_kernelINS0_14default_configENS1_25partition_config_selectorILNS1_17partition_subalgoE8ElNS0_10empty_typeEbEEZZNS1_14partition_implILS5_8ELb0ES3_jPlPS6_PKS6_NS0_5tupleIJS9_S6_EEENSD_IJSA_SA_EEENS0_18inequality_wrapperIZN2at6native12_GLOBAL__N_124unique_dim_cuda_templateIsEESt5tupleIJNSH_6TensorESM_SM_EERKSM_lbbbEUlllE0_EEPmJS6_EEE10hipError_tPvRmT3_T4_T5_T6_T7_T9_mT8_P12ihipStream_tbDpT10_ENKUlT_T0_E_clISt17integral_constantIbLb1EES1B_IbLb0EEEEDaS17_S18_EUlS17_E_NS1_11comp_targetILNS1_3genE10ELNS1_11target_archE1200ELNS1_3gpuE4ELNS1_3repE0EEENS1_30default_config_static_selectorELNS0_4arch9wavefront6targetE1EEEvT1_
	.p2align	8
	.type	_ZN7rocprim17ROCPRIM_400000_NS6detail17trampoline_kernelINS0_14default_configENS1_25partition_config_selectorILNS1_17partition_subalgoE8ElNS0_10empty_typeEbEEZZNS1_14partition_implILS5_8ELb0ES3_jPlPS6_PKS6_NS0_5tupleIJS9_S6_EEENSD_IJSA_SA_EEENS0_18inequality_wrapperIZN2at6native12_GLOBAL__N_124unique_dim_cuda_templateIsEESt5tupleIJNSH_6TensorESM_SM_EERKSM_lbbbEUlllE0_EEPmJS6_EEE10hipError_tPvRmT3_T4_T5_T6_T7_T9_mT8_P12ihipStream_tbDpT10_ENKUlT_T0_E_clISt17integral_constantIbLb1EES1B_IbLb0EEEEDaS17_S18_EUlS17_E_NS1_11comp_targetILNS1_3genE10ELNS1_11target_archE1200ELNS1_3gpuE4ELNS1_3repE0EEENS1_30default_config_static_selectorELNS0_4arch9wavefront6targetE1EEEvT1_,@function
_ZN7rocprim17ROCPRIM_400000_NS6detail17trampoline_kernelINS0_14default_configENS1_25partition_config_selectorILNS1_17partition_subalgoE8ElNS0_10empty_typeEbEEZZNS1_14partition_implILS5_8ELb0ES3_jPlPS6_PKS6_NS0_5tupleIJS9_S6_EEENSD_IJSA_SA_EEENS0_18inequality_wrapperIZN2at6native12_GLOBAL__N_124unique_dim_cuda_templateIsEESt5tupleIJNSH_6TensorESM_SM_EERKSM_lbbbEUlllE0_EEPmJS6_EEE10hipError_tPvRmT3_T4_T5_T6_T7_T9_mT8_P12ihipStream_tbDpT10_ENKUlT_T0_E_clISt17integral_constantIbLb1EES1B_IbLb0EEEEDaS17_S18_EUlS17_E_NS1_11comp_targetILNS1_3genE10ELNS1_11target_archE1200ELNS1_3gpuE4ELNS1_3repE0EEENS1_30default_config_static_selectorELNS0_4arch9wavefront6targetE1EEEvT1_: ; @_ZN7rocprim17ROCPRIM_400000_NS6detail17trampoline_kernelINS0_14default_configENS1_25partition_config_selectorILNS1_17partition_subalgoE8ElNS0_10empty_typeEbEEZZNS1_14partition_implILS5_8ELb0ES3_jPlPS6_PKS6_NS0_5tupleIJS9_S6_EEENSD_IJSA_SA_EEENS0_18inequality_wrapperIZN2at6native12_GLOBAL__N_124unique_dim_cuda_templateIsEESt5tupleIJNSH_6TensorESM_SM_EERKSM_lbbbEUlllE0_EEPmJS6_EEE10hipError_tPvRmT3_T4_T5_T6_T7_T9_mT8_P12ihipStream_tbDpT10_ENKUlT_T0_E_clISt17integral_constantIbLb1EES1B_IbLb0EEEEDaS17_S18_EUlS17_E_NS1_11comp_targetILNS1_3genE10ELNS1_11target_archE1200ELNS1_3gpuE4ELNS1_3repE0EEENS1_30default_config_static_selectorELNS0_4arch9wavefront6targetE1EEEvT1_
; %bb.0:
	.section	.rodata,"a",@progbits
	.p2align	6, 0x0
	.amdhsa_kernel _ZN7rocprim17ROCPRIM_400000_NS6detail17trampoline_kernelINS0_14default_configENS1_25partition_config_selectorILNS1_17partition_subalgoE8ElNS0_10empty_typeEbEEZZNS1_14partition_implILS5_8ELb0ES3_jPlPS6_PKS6_NS0_5tupleIJS9_S6_EEENSD_IJSA_SA_EEENS0_18inequality_wrapperIZN2at6native12_GLOBAL__N_124unique_dim_cuda_templateIsEESt5tupleIJNSH_6TensorESM_SM_EERKSM_lbbbEUlllE0_EEPmJS6_EEE10hipError_tPvRmT3_T4_T5_T6_T7_T9_mT8_P12ihipStream_tbDpT10_ENKUlT_T0_E_clISt17integral_constantIbLb1EES1B_IbLb0EEEEDaS17_S18_EUlS17_E_NS1_11comp_targetILNS1_3genE10ELNS1_11target_archE1200ELNS1_3gpuE4ELNS1_3repE0EEENS1_30default_config_static_selectorELNS0_4arch9wavefront6targetE1EEEvT1_
		.amdhsa_group_segment_fixed_size 0
		.amdhsa_private_segment_fixed_size 0
		.amdhsa_kernarg_size 120
		.amdhsa_user_sgpr_count 2
		.amdhsa_user_sgpr_dispatch_ptr 0
		.amdhsa_user_sgpr_queue_ptr 0
		.amdhsa_user_sgpr_kernarg_segment_ptr 1
		.amdhsa_user_sgpr_dispatch_id 0
		.amdhsa_user_sgpr_kernarg_preload_length 0
		.amdhsa_user_sgpr_kernarg_preload_offset 0
		.amdhsa_user_sgpr_private_segment_size 0
		.amdhsa_uses_dynamic_stack 0
		.amdhsa_enable_private_segment 0
		.amdhsa_system_sgpr_workgroup_id_x 1
		.amdhsa_system_sgpr_workgroup_id_y 0
		.amdhsa_system_sgpr_workgroup_id_z 0
		.amdhsa_system_sgpr_workgroup_info 0
		.amdhsa_system_vgpr_workitem_id 0
		.amdhsa_next_free_vgpr 1
		.amdhsa_next_free_sgpr 0
		.amdhsa_accum_offset 4
		.amdhsa_reserve_vcc 0
		.amdhsa_float_round_mode_32 0
		.amdhsa_float_round_mode_16_64 0
		.amdhsa_float_denorm_mode_32 3
		.amdhsa_float_denorm_mode_16_64 3
		.amdhsa_dx10_clamp 1
		.amdhsa_ieee_mode 1
		.amdhsa_fp16_overflow 0
		.amdhsa_tg_split 0
		.amdhsa_exception_fp_ieee_invalid_op 0
		.amdhsa_exception_fp_denorm_src 0
		.amdhsa_exception_fp_ieee_div_zero 0
		.amdhsa_exception_fp_ieee_overflow 0
		.amdhsa_exception_fp_ieee_underflow 0
		.amdhsa_exception_fp_ieee_inexact 0
		.amdhsa_exception_int_div_zero 0
	.end_amdhsa_kernel
	.section	.text._ZN7rocprim17ROCPRIM_400000_NS6detail17trampoline_kernelINS0_14default_configENS1_25partition_config_selectorILNS1_17partition_subalgoE8ElNS0_10empty_typeEbEEZZNS1_14partition_implILS5_8ELb0ES3_jPlPS6_PKS6_NS0_5tupleIJS9_S6_EEENSD_IJSA_SA_EEENS0_18inequality_wrapperIZN2at6native12_GLOBAL__N_124unique_dim_cuda_templateIsEESt5tupleIJNSH_6TensorESM_SM_EERKSM_lbbbEUlllE0_EEPmJS6_EEE10hipError_tPvRmT3_T4_T5_T6_T7_T9_mT8_P12ihipStream_tbDpT10_ENKUlT_T0_E_clISt17integral_constantIbLb1EES1B_IbLb0EEEEDaS17_S18_EUlS17_E_NS1_11comp_targetILNS1_3genE10ELNS1_11target_archE1200ELNS1_3gpuE4ELNS1_3repE0EEENS1_30default_config_static_selectorELNS0_4arch9wavefront6targetE1EEEvT1_,"axG",@progbits,_ZN7rocprim17ROCPRIM_400000_NS6detail17trampoline_kernelINS0_14default_configENS1_25partition_config_selectorILNS1_17partition_subalgoE8ElNS0_10empty_typeEbEEZZNS1_14partition_implILS5_8ELb0ES3_jPlPS6_PKS6_NS0_5tupleIJS9_S6_EEENSD_IJSA_SA_EEENS0_18inequality_wrapperIZN2at6native12_GLOBAL__N_124unique_dim_cuda_templateIsEESt5tupleIJNSH_6TensorESM_SM_EERKSM_lbbbEUlllE0_EEPmJS6_EEE10hipError_tPvRmT3_T4_T5_T6_T7_T9_mT8_P12ihipStream_tbDpT10_ENKUlT_T0_E_clISt17integral_constantIbLb1EES1B_IbLb0EEEEDaS17_S18_EUlS17_E_NS1_11comp_targetILNS1_3genE10ELNS1_11target_archE1200ELNS1_3gpuE4ELNS1_3repE0EEENS1_30default_config_static_selectorELNS0_4arch9wavefront6targetE1EEEvT1_,comdat
.Lfunc_end706:
	.size	_ZN7rocprim17ROCPRIM_400000_NS6detail17trampoline_kernelINS0_14default_configENS1_25partition_config_selectorILNS1_17partition_subalgoE8ElNS0_10empty_typeEbEEZZNS1_14partition_implILS5_8ELb0ES3_jPlPS6_PKS6_NS0_5tupleIJS9_S6_EEENSD_IJSA_SA_EEENS0_18inequality_wrapperIZN2at6native12_GLOBAL__N_124unique_dim_cuda_templateIsEESt5tupleIJNSH_6TensorESM_SM_EERKSM_lbbbEUlllE0_EEPmJS6_EEE10hipError_tPvRmT3_T4_T5_T6_T7_T9_mT8_P12ihipStream_tbDpT10_ENKUlT_T0_E_clISt17integral_constantIbLb1EES1B_IbLb0EEEEDaS17_S18_EUlS17_E_NS1_11comp_targetILNS1_3genE10ELNS1_11target_archE1200ELNS1_3gpuE4ELNS1_3repE0EEENS1_30default_config_static_selectorELNS0_4arch9wavefront6targetE1EEEvT1_, .Lfunc_end706-_ZN7rocprim17ROCPRIM_400000_NS6detail17trampoline_kernelINS0_14default_configENS1_25partition_config_selectorILNS1_17partition_subalgoE8ElNS0_10empty_typeEbEEZZNS1_14partition_implILS5_8ELb0ES3_jPlPS6_PKS6_NS0_5tupleIJS9_S6_EEENSD_IJSA_SA_EEENS0_18inequality_wrapperIZN2at6native12_GLOBAL__N_124unique_dim_cuda_templateIsEESt5tupleIJNSH_6TensorESM_SM_EERKSM_lbbbEUlllE0_EEPmJS6_EEE10hipError_tPvRmT3_T4_T5_T6_T7_T9_mT8_P12ihipStream_tbDpT10_ENKUlT_T0_E_clISt17integral_constantIbLb1EES1B_IbLb0EEEEDaS17_S18_EUlS17_E_NS1_11comp_targetILNS1_3genE10ELNS1_11target_archE1200ELNS1_3gpuE4ELNS1_3repE0EEENS1_30default_config_static_selectorELNS0_4arch9wavefront6targetE1EEEvT1_
                                        ; -- End function
	.set _ZN7rocprim17ROCPRIM_400000_NS6detail17trampoline_kernelINS0_14default_configENS1_25partition_config_selectorILNS1_17partition_subalgoE8ElNS0_10empty_typeEbEEZZNS1_14partition_implILS5_8ELb0ES3_jPlPS6_PKS6_NS0_5tupleIJS9_S6_EEENSD_IJSA_SA_EEENS0_18inequality_wrapperIZN2at6native12_GLOBAL__N_124unique_dim_cuda_templateIsEESt5tupleIJNSH_6TensorESM_SM_EERKSM_lbbbEUlllE0_EEPmJS6_EEE10hipError_tPvRmT3_T4_T5_T6_T7_T9_mT8_P12ihipStream_tbDpT10_ENKUlT_T0_E_clISt17integral_constantIbLb1EES1B_IbLb0EEEEDaS17_S18_EUlS17_E_NS1_11comp_targetILNS1_3genE10ELNS1_11target_archE1200ELNS1_3gpuE4ELNS1_3repE0EEENS1_30default_config_static_selectorELNS0_4arch9wavefront6targetE1EEEvT1_.num_vgpr, 0
	.set _ZN7rocprim17ROCPRIM_400000_NS6detail17trampoline_kernelINS0_14default_configENS1_25partition_config_selectorILNS1_17partition_subalgoE8ElNS0_10empty_typeEbEEZZNS1_14partition_implILS5_8ELb0ES3_jPlPS6_PKS6_NS0_5tupleIJS9_S6_EEENSD_IJSA_SA_EEENS0_18inequality_wrapperIZN2at6native12_GLOBAL__N_124unique_dim_cuda_templateIsEESt5tupleIJNSH_6TensorESM_SM_EERKSM_lbbbEUlllE0_EEPmJS6_EEE10hipError_tPvRmT3_T4_T5_T6_T7_T9_mT8_P12ihipStream_tbDpT10_ENKUlT_T0_E_clISt17integral_constantIbLb1EES1B_IbLb0EEEEDaS17_S18_EUlS17_E_NS1_11comp_targetILNS1_3genE10ELNS1_11target_archE1200ELNS1_3gpuE4ELNS1_3repE0EEENS1_30default_config_static_selectorELNS0_4arch9wavefront6targetE1EEEvT1_.num_agpr, 0
	.set _ZN7rocprim17ROCPRIM_400000_NS6detail17trampoline_kernelINS0_14default_configENS1_25partition_config_selectorILNS1_17partition_subalgoE8ElNS0_10empty_typeEbEEZZNS1_14partition_implILS5_8ELb0ES3_jPlPS6_PKS6_NS0_5tupleIJS9_S6_EEENSD_IJSA_SA_EEENS0_18inequality_wrapperIZN2at6native12_GLOBAL__N_124unique_dim_cuda_templateIsEESt5tupleIJNSH_6TensorESM_SM_EERKSM_lbbbEUlllE0_EEPmJS6_EEE10hipError_tPvRmT3_T4_T5_T6_T7_T9_mT8_P12ihipStream_tbDpT10_ENKUlT_T0_E_clISt17integral_constantIbLb1EES1B_IbLb0EEEEDaS17_S18_EUlS17_E_NS1_11comp_targetILNS1_3genE10ELNS1_11target_archE1200ELNS1_3gpuE4ELNS1_3repE0EEENS1_30default_config_static_selectorELNS0_4arch9wavefront6targetE1EEEvT1_.numbered_sgpr, 0
	.set _ZN7rocprim17ROCPRIM_400000_NS6detail17trampoline_kernelINS0_14default_configENS1_25partition_config_selectorILNS1_17partition_subalgoE8ElNS0_10empty_typeEbEEZZNS1_14partition_implILS5_8ELb0ES3_jPlPS6_PKS6_NS0_5tupleIJS9_S6_EEENSD_IJSA_SA_EEENS0_18inequality_wrapperIZN2at6native12_GLOBAL__N_124unique_dim_cuda_templateIsEESt5tupleIJNSH_6TensorESM_SM_EERKSM_lbbbEUlllE0_EEPmJS6_EEE10hipError_tPvRmT3_T4_T5_T6_T7_T9_mT8_P12ihipStream_tbDpT10_ENKUlT_T0_E_clISt17integral_constantIbLb1EES1B_IbLb0EEEEDaS17_S18_EUlS17_E_NS1_11comp_targetILNS1_3genE10ELNS1_11target_archE1200ELNS1_3gpuE4ELNS1_3repE0EEENS1_30default_config_static_selectorELNS0_4arch9wavefront6targetE1EEEvT1_.num_named_barrier, 0
	.set _ZN7rocprim17ROCPRIM_400000_NS6detail17trampoline_kernelINS0_14default_configENS1_25partition_config_selectorILNS1_17partition_subalgoE8ElNS0_10empty_typeEbEEZZNS1_14partition_implILS5_8ELb0ES3_jPlPS6_PKS6_NS0_5tupleIJS9_S6_EEENSD_IJSA_SA_EEENS0_18inequality_wrapperIZN2at6native12_GLOBAL__N_124unique_dim_cuda_templateIsEESt5tupleIJNSH_6TensorESM_SM_EERKSM_lbbbEUlllE0_EEPmJS6_EEE10hipError_tPvRmT3_T4_T5_T6_T7_T9_mT8_P12ihipStream_tbDpT10_ENKUlT_T0_E_clISt17integral_constantIbLb1EES1B_IbLb0EEEEDaS17_S18_EUlS17_E_NS1_11comp_targetILNS1_3genE10ELNS1_11target_archE1200ELNS1_3gpuE4ELNS1_3repE0EEENS1_30default_config_static_selectorELNS0_4arch9wavefront6targetE1EEEvT1_.private_seg_size, 0
	.set _ZN7rocprim17ROCPRIM_400000_NS6detail17trampoline_kernelINS0_14default_configENS1_25partition_config_selectorILNS1_17partition_subalgoE8ElNS0_10empty_typeEbEEZZNS1_14partition_implILS5_8ELb0ES3_jPlPS6_PKS6_NS0_5tupleIJS9_S6_EEENSD_IJSA_SA_EEENS0_18inequality_wrapperIZN2at6native12_GLOBAL__N_124unique_dim_cuda_templateIsEESt5tupleIJNSH_6TensorESM_SM_EERKSM_lbbbEUlllE0_EEPmJS6_EEE10hipError_tPvRmT3_T4_T5_T6_T7_T9_mT8_P12ihipStream_tbDpT10_ENKUlT_T0_E_clISt17integral_constantIbLb1EES1B_IbLb0EEEEDaS17_S18_EUlS17_E_NS1_11comp_targetILNS1_3genE10ELNS1_11target_archE1200ELNS1_3gpuE4ELNS1_3repE0EEENS1_30default_config_static_selectorELNS0_4arch9wavefront6targetE1EEEvT1_.uses_vcc, 0
	.set _ZN7rocprim17ROCPRIM_400000_NS6detail17trampoline_kernelINS0_14default_configENS1_25partition_config_selectorILNS1_17partition_subalgoE8ElNS0_10empty_typeEbEEZZNS1_14partition_implILS5_8ELb0ES3_jPlPS6_PKS6_NS0_5tupleIJS9_S6_EEENSD_IJSA_SA_EEENS0_18inequality_wrapperIZN2at6native12_GLOBAL__N_124unique_dim_cuda_templateIsEESt5tupleIJNSH_6TensorESM_SM_EERKSM_lbbbEUlllE0_EEPmJS6_EEE10hipError_tPvRmT3_T4_T5_T6_T7_T9_mT8_P12ihipStream_tbDpT10_ENKUlT_T0_E_clISt17integral_constantIbLb1EES1B_IbLb0EEEEDaS17_S18_EUlS17_E_NS1_11comp_targetILNS1_3genE10ELNS1_11target_archE1200ELNS1_3gpuE4ELNS1_3repE0EEENS1_30default_config_static_selectorELNS0_4arch9wavefront6targetE1EEEvT1_.uses_flat_scratch, 0
	.set _ZN7rocprim17ROCPRIM_400000_NS6detail17trampoline_kernelINS0_14default_configENS1_25partition_config_selectorILNS1_17partition_subalgoE8ElNS0_10empty_typeEbEEZZNS1_14partition_implILS5_8ELb0ES3_jPlPS6_PKS6_NS0_5tupleIJS9_S6_EEENSD_IJSA_SA_EEENS0_18inequality_wrapperIZN2at6native12_GLOBAL__N_124unique_dim_cuda_templateIsEESt5tupleIJNSH_6TensorESM_SM_EERKSM_lbbbEUlllE0_EEPmJS6_EEE10hipError_tPvRmT3_T4_T5_T6_T7_T9_mT8_P12ihipStream_tbDpT10_ENKUlT_T0_E_clISt17integral_constantIbLb1EES1B_IbLb0EEEEDaS17_S18_EUlS17_E_NS1_11comp_targetILNS1_3genE10ELNS1_11target_archE1200ELNS1_3gpuE4ELNS1_3repE0EEENS1_30default_config_static_selectorELNS0_4arch9wavefront6targetE1EEEvT1_.has_dyn_sized_stack, 0
	.set _ZN7rocprim17ROCPRIM_400000_NS6detail17trampoline_kernelINS0_14default_configENS1_25partition_config_selectorILNS1_17partition_subalgoE8ElNS0_10empty_typeEbEEZZNS1_14partition_implILS5_8ELb0ES3_jPlPS6_PKS6_NS0_5tupleIJS9_S6_EEENSD_IJSA_SA_EEENS0_18inequality_wrapperIZN2at6native12_GLOBAL__N_124unique_dim_cuda_templateIsEESt5tupleIJNSH_6TensorESM_SM_EERKSM_lbbbEUlllE0_EEPmJS6_EEE10hipError_tPvRmT3_T4_T5_T6_T7_T9_mT8_P12ihipStream_tbDpT10_ENKUlT_T0_E_clISt17integral_constantIbLb1EES1B_IbLb0EEEEDaS17_S18_EUlS17_E_NS1_11comp_targetILNS1_3genE10ELNS1_11target_archE1200ELNS1_3gpuE4ELNS1_3repE0EEENS1_30default_config_static_selectorELNS0_4arch9wavefront6targetE1EEEvT1_.has_recursion, 0
	.set _ZN7rocprim17ROCPRIM_400000_NS6detail17trampoline_kernelINS0_14default_configENS1_25partition_config_selectorILNS1_17partition_subalgoE8ElNS0_10empty_typeEbEEZZNS1_14partition_implILS5_8ELb0ES3_jPlPS6_PKS6_NS0_5tupleIJS9_S6_EEENSD_IJSA_SA_EEENS0_18inequality_wrapperIZN2at6native12_GLOBAL__N_124unique_dim_cuda_templateIsEESt5tupleIJNSH_6TensorESM_SM_EERKSM_lbbbEUlllE0_EEPmJS6_EEE10hipError_tPvRmT3_T4_T5_T6_T7_T9_mT8_P12ihipStream_tbDpT10_ENKUlT_T0_E_clISt17integral_constantIbLb1EES1B_IbLb0EEEEDaS17_S18_EUlS17_E_NS1_11comp_targetILNS1_3genE10ELNS1_11target_archE1200ELNS1_3gpuE4ELNS1_3repE0EEENS1_30default_config_static_selectorELNS0_4arch9wavefront6targetE1EEEvT1_.has_indirect_call, 0
	.section	.AMDGPU.csdata,"",@progbits
; Kernel info:
; codeLenInByte = 0
; TotalNumSgprs: 6
; NumVgprs: 0
; NumAgprs: 0
; TotalNumVgprs: 0
; ScratchSize: 0
; MemoryBound: 0
; FloatMode: 240
; IeeeMode: 1
; LDSByteSize: 0 bytes/workgroup (compile time only)
; SGPRBlocks: 0
; VGPRBlocks: 0
; NumSGPRsForWavesPerEU: 6
; NumVGPRsForWavesPerEU: 1
; AccumOffset: 4
; Occupancy: 8
; WaveLimiterHint : 0
; COMPUTE_PGM_RSRC2:SCRATCH_EN: 0
; COMPUTE_PGM_RSRC2:USER_SGPR: 2
; COMPUTE_PGM_RSRC2:TRAP_HANDLER: 0
; COMPUTE_PGM_RSRC2:TGID_X_EN: 1
; COMPUTE_PGM_RSRC2:TGID_Y_EN: 0
; COMPUTE_PGM_RSRC2:TGID_Z_EN: 0
; COMPUTE_PGM_RSRC2:TIDIG_COMP_CNT: 0
; COMPUTE_PGM_RSRC3_GFX90A:ACCUM_OFFSET: 0
; COMPUTE_PGM_RSRC3_GFX90A:TG_SPLIT: 0
	.section	.text._ZN7rocprim17ROCPRIM_400000_NS6detail17trampoline_kernelINS0_14default_configENS1_25partition_config_selectorILNS1_17partition_subalgoE8ElNS0_10empty_typeEbEEZZNS1_14partition_implILS5_8ELb0ES3_jPlPS6_PKS6_NS0_5tupleIJS9_S6_EEENSD_IJSA_SA_EEENS0_18inequality_wrapperIZN2at6native12_GLOBAL__N_124unique_dim_cuda_templateIsEESt5tupleIJNSH_6TensorESM_SM_EERKSM_lbbbEUlllE0_EEPmJS6_EEE10hipError_tPvRmT3_T4_T5_T6_T7_T9_mT8_P12ihipStream_tbDpT10_ENKUlT_T0_E_clISt17integral_constantIbLb1EES1B_IbLb0EEEEDaS17_S18_EUlS17_E_NS1_11comp_targetILNS1_3genE9ELNS1_11target_archE1100ELNS1_3gpuE3ELNS1_3repE0EEENS1_30default_config_static_selectorELNS0_4arch9wavefront6targetE1EEEvT1_,"axG",@progbits,_ZN7rocprim17ROCPRIM_400000_NS6detail17trampoline_kernelINS0_14default_configENS1_25partition_config_selectorILNS1_17partition_subalgoE8ElNS0_10empty_typeEbEEZZNS1_14partition_implILS5_8ELb0ES3_jPlPS6_PKS6_NS0_5tupleIJS9_S6_EEENSD_IJSA_SA_EEENS0_18inequality_wrapperIZN2at6native12_GLOBAL__N_124unique_dim_cuda_templateIsEESt5tupleIJNSH_6TensorESM_SM_EERKSM_lbbbEUlllE0_EEPmJS6_EEE10hipError_tPvRmT3_T4_T5_T6_T7_T9_mT8_P12ihipStream_tbDpT10_ENKUlT_T0_E_clISt17integral_constantIbLb1EES1B_IbLb0EEEEDaS17_S18_EUlS17_E_NS1_11comp_targetILNS1_3genE9ELNS1_11target_archE1100ELNS1_3gpuE3ELNS1_3repE0EEENS1_30default_config_static_selectorELNS0_4arch9wavefront6targetE1EEEvT1_,comdat
	.globl	_ZN7rocprim17ROCPRIM_400000_NS6detail17trampoline_kernelINS0_14default_configENS1_25partition_config_selectorILNS1_17partition_subalgoE8ElNS0_10empty_typeEbEEZZNS1_14partition_implILS5_8ELb0ES3_jPlPS6_PKS6_NS0_5tupleIJS9_S6_EEENSD_IJSA_SA_EEENS0_18inequality_wrapperIZN2at6native12_GLOBAL__N_124unique_dim_cuda_templateIsEESt5tupleIJNSH_6TensorESM_SM_EERKSM_lbbbEUlllE0_EEPmJS6_EEE10hipError_tPvRmT3_T4_T5_T6_T7_T9_mT8_P12ihipStream_tbDpT10_ENKUlT_T0_E_clISt17integral_constantIbLb1EES1B_IbLb0EEEEDaS17_S18_EUlS17_E_NS1_11comp_targetILNS1_3genE9ELNS1_11target_archE1100ELNS1_3gpuE3ELNS1_3repE0EEENS1_30default_config_static_selectorELNS0_4arch9wavefront6targetE1EEEvT1_ ; -- Begin function _ZN7rocprim17ROCPRIM_400000_NS6detail17trampoline_kernelINS0_14default_configENS1_25partition_config_selectorILNS1_17partition_subalgoE8ElNS0_10empty_typeEbEEZZNS1_14partition_implILS5_8ELb0ES3_jPlPS6_PKS6_NS0_5tupleIJS9_S6_EEENSD_IJSA_SA_EEENS0_18inequality_wrapperIZN2at6native12_GLOBAL__N_124unique_dim_cuda_templateIsEESt5tupleIJNSH_6TensorESM_SM_EERKSM_lbbbEUlllE0_EEPmJS6_EEE10hipError_tPvRmT3_T4_T5_T6_T7_T9_mT8_P12ihipStream_tbDpT10_ENKUlT_T0_E_clISt17integral_constantIbLb1EES1B_IbLb0EEEEDaS17_S18_EUlS17_E_NS1_11comp_targetILNS1_3genE9ELNS1_11target_archE1100ELNS1_3gpuE3ELNS1_3repE0EEENS1_30default_config_static_selectorELNS0_4arch9wavefront6targetE1EEEvT1_
	.p2align	8
	.type	_ZN7rocprim17ROCPRIM_400000_NS6detail17trampoline_kernelINS0_14default_configENS1_25partition_config_selectorILNS1_17partition_subalgoE8ElNS0_10empty_typeEbEEZZNS1_14partition_implILS5_8ELb0ES3_jPlPS6_PKS6_NS0_5tupleIJS9_S6_EEENSD_IJSA_SA_EEENS0_18inequality_wrapperIZN2at6native12_GLOBAL__N_124unique_dim_cuda_templateIsEESt5tupleIJNSH_6TensorESM_SM_EERKSM_lbbbEUlllE0_EEPmJS6_EEE10hipError_tPvRmT3_T4_T5_T6_T7_T9_mT8_P12ihipStream_tbDpT10_ENKUlT_T0_E_clISt17integral_constantIbLb1EES1B_IbLb0EEEEDaS17_S18_EUlS17_E_NS1_11comp_targetILNS1_3genE9ELNS1_11target_archE1100ELNS1_3gpuE3ELNS1_3repE0EEENS1_30default_config_static_selectorELNS0_4arch9wavefront6targetE1EEEvT1_,@function
_ZN7rocprim17ROCPRIM_400000_NS6detail17trampoline_kernelINS0_14default_configENS1_25partition_config_selectorILNS1_17partition_subalgoE8ElNS0_10empty_typeEbEEZZNS1_14partition_implILS5_8ELb0ES3_jPlPS6_PKS6_NS0_5tupleIJS9_S6_EEENSD_IJSA_SA_EEENS0_18inequality_wrapperIZN2at6native12_GLOBAL__N_124unique_dim_cuda_templateIsEESt5tupleIJNSH_6TensorESM_SM_EERKSM_lbbbEUlllE0_EEPmJS6_EEE10hipError_tPvRmT3_T4_T5_T6_T7_T9_mT8_P12ihipStream_tbDpT10_ENKUlT_T0_E_clISt17integral_constantIbLb1EES1B_IbLb0EEEEDaS17_S18_EUlS17_E_NS1_11comp_targetILNS1_3genE9ELNS1_11target_archE1100ELNS1_3gpuE3ELNS1_3repE0EEENS1_30default_config_static_selectorELNS0_4arch9wavefront6targetE1EEEvT1_: ; @_ZN7rocprim17ROCPRIM_400000_NS6detail17trampoline_kernelINS0_14default_configENS1_25partition_config_selectorILNS1_17partition_subalgoE8ElNS0_10empty_typeEbEEZZNS1_14partition_implILS5_8ELb0ES3_jPlPS6_PKS6_NS0_5tupleIJS9_S6_EEENSD_IJSA_SA_EEENS0_18inequality_wrapperIZN2at6native12_GLOBAL__N_124unique_dim_cuda_templateIsEESt5tupleIJNSH_6TensorESM_SM_EERKSM_lbbbEUlllE0_EEPmJS6_EEE10hipError_tPvRmT3_T4_T5_T6_T7_T9_mT8_P12ihipStream_tbDpT10_ENKUlT_T0_E_clISt17integral_constantIbLb1EES1B_IbLb0EEEEDaS17_S18_EUlS17_E_NS1_11comp_targetILNS1_3genE9ELNS1_11target_archE1100ELNS1_3gpuE3ELNS1_3repE0EEENS1_30default_config_static_selectorELNS0_4arch9wavefront6targetE1EEEvT1_
; %bb.0:
	.section	.rodata,"a",@progbits
	.p2align	6, 0x0
	.amdhsa_kernel _ZN7rocprim17ROCPRIM_400000_NS6detail17trampoline_kernelINS0_14default_configENS1_25partition_config_selectorILNS1_17partition_subalgoE8ElNS0_10empty_typeEbEEZZNS1_14partition_implILS5_8ELb0ES3_jPlPS6_PKS6_NS0_5tupleIJS9_S6_EEENSD_IJSA_SA_EEENS0_18inequality_wrapperIZN2at6native12_GLOBAL__N_124unique_dim_cuda_templateIsEESt5tupleIJNSH_6TensorESM_SM_EERKSM_lbbbEUlllE0_EEPmJS6_EEE10hipError_tPvRmT3_T4_T5_T6_T7_T9_mT8_P12ihipStream_tbDpT10_ENKUlT_T0_E_clISt17integral_constantIbLb1EES1B_IbLb0EEEEDaS17_S18_EUlS17_E_NS1_11comp_targetILNS1_3genE9ELNS1_11target_archE1100ELNS1_3gpuE3ELNS1_3repE0EEENS1_30default_config_static_selectorELNS0_4arch9wavefront6targetE1EEEvT1_
		.amdhsa_group_segment_fixed_size 0
		.amdhsa_private_segment_fixed_size 0
		.amdhsa_kernarg_size 120
		.amdhsa_user_sgpr_count 2
		.amdhsa_user_sgpr_dispatch_ptr 0
		.amdhsa_user_sgpr_queue_ptr 0
		.amdhsa_user_sgpr_kernarg_segment_ptr 1
		.amdhsa_user_sgpr_dispatch_id 0
		.amdhsa_user_sgpr_kernarg_preload_length 0
		.amdhsa_user_sgpr_kernarg_preload_offset 0
		.amdhsa_user_sgpr_private_segment_size 0
		.amdhsa_uses_dynamic_stack 0
		.amdhsa_enable_private_segment 0
		.amdhsa_system_sgpr_workgroup_id_x 1
		.amdhsa_system_sgpr_workgroup_id_y 0
		.amdhsa_system_sgpr_workgroup_id_z 0
		.amdhsa_system_sgpr_workgroup_info 0
		.amdhsa_system_vgpr_workitem_id 0
		.amdhsa_next_free_vgpr 1
		.amdhsa_next_free_sgpr 0
		.amdhsa_accum_offset 4
		.amdhsa_reserve_vcc 0
		.amdhsa_float_round_mode_32 0
		.amdhsa_float_round_mode_16_64 0
		.amdhsa_float_denorm_mode_32 3
		.amdhsa_float_denorm_mode_16_64 3
		.amdhsa_dx10_clamp 1
		.amdhsa_ieee_mode 1
		.amdhsa_fp16_overflow 0
		.amdhsa_tg_split 0
		.amdhsa_exception_fp_ieee_invalid_op 0
		.amdhsa_exception_fp_denorm_src 0
		.amdhsa_exception_fp_ieee_div_zero 0
		.amdhsa_exception_fp_ieee_overflow 0
		.amdhsa_exception_fp_ieee_underflow 0
		.amdhsa_exception_fp_ieee_inexact 0
		.amdhsa_exception_int_div_zero 0
	.end_amdhsa_kernel
	.section	.text._ZN7rocprim17ROCPRIM_400000_NS6detail17trampoline_kernelINS0_14default_configENS1_25partition_config_selectorILNS1_17partition_subalgoE8ElNS0_10empty_typeEbEEZZNS1_14partition_implILS5_8ELb0ES3_jPlPS6_PKS6_NS0_5tupleIJS9_S6_EEENSD_IJSA_SA_EEENS0_18inequality_wrapperIZN2at6native12_GLOBAL__N_124unique_dim_cuda_templateIsEESt5tupleIJNSH_6TensorESM_SM_EERKSM_lbbbEUlllE0_EEPmJS6_EEE10hipError_tPvRmT3_T4_T5_T6_T7_T9_mT8_P12ihipStream_tbDpT10_ENKUlT_T0_E_clISt17integral_constantIbLb1EES1B_IbLb0EEEEDaS17_S18_EUlS17_E_NS1_11comp_targetILNS1_3genE9ELNS1_11target_archE1100ELNS1_3gpuE3ELNS1_3repE0EEENS1_30default_config_static_selectorELNS0_4arch9wavefront6targetE1EEEvT1_,"axG",@progbits,_ZN7rocprim17ROCPRIM_400000_NS6detail17trampoline_kernelINS0_14default_configENS1_25partition_config_selectorILNS1_17partition_subalgoE8ElNS0_10empty_typeEbEEZZNS1_14partition_implILS5_8ELb0ES3_jPlPS6_PKS6_NS0_5tupleIJS9_S6_EEENSD_IJSA_SA_EEENS0_18inequality_wrapperIZN2at6native12_GLOBAL__N_124unique_dim_cuda_templateIsEESt5tupleIJNSH_6TensorESM_SM_EERKSM_lbbbEUlllE0_EEPmJS6_EEE10hipError_tPvRmT3_T4_T5_T6_T7_T9_mT8_P12ihipStream_tbDpT10_ENKUlT_T0_E_clISt17integral_constantIbLb1EES1B_IbLb0EEEEDaS17_S18_EUlS17_E_NS1_11comp_targetILNS1_3genE9ELNS1_11target_archE1100ELNS1_3gpuE3ELNS1_3repE0EEENS1_30default_config_static_selectorELNS0_4arch9wavefront6targetE1EEEvT1_,comdat
.Lfunc_end707:
	.size	_ZN7rocprim17ROCPRIM_400000_NS6detail17trampoline_kernelINS0_14default_configENS1_25partition_config_selectorILNS1_17partition_subalgoE8ElNS0_10empty_typeEbEEZZNS1_14partition_implILS5_8ELb0ES3_jPlPS6_PKS6_NS0_5tupleIJS9_S6_EEENSD_IJSA_SA_EEENS0_18inequality_wrapperIZN2at6native12_GLOBAL__N_124unique_dim_cuda_templateIsEESt5tupleIJNSH_6TensorESM_SM_EERKSM_lbbbEUlllE0_EEPmJS6_EEE10hipError_tPvRmT3_T4_T5_T6_T7_T9_mT8_P12ihipStream_tbDpT10_ENKUlT_T0_E_clISt17integral_constantIbLb1EES1B_IbLb0EEEEDaS17_S18_EUlS17_E_NS1_11comp_targetILNS1_3genE9ELNS1_11target_archE1100ELNS1_3gpuE3ELNS1_3repE0EEENS1_30default_config_static_selectorELNS0_4arch9wavefront6targetE1EEEvT1_, .Lfunc_end707-_ZN7rocprim17ROCPRIM_400000_NS6detail17trampoline_kernelINS0_14default_configENS1_25partition_config_selectorILNS1_17partition_subalgoE8ElNS0_10empty_typeEbEEZZNS1_14partition_implILS5_8ELb0ES3_jPlPS6_PKS6_NS0_5tupleIJS9_S6_EEENSD_IJSA_SA_EEENS0_18inequality_wrapperIZN2at6native12_GLOBAL__N_124unique_dim_cuda_templateIsEESt5tupleIJNSH_6TensorESM_SM_EERKSM_lbbbEUlllE0_EEPmJS6_EEE10hipError_tPvRmT3_T4_T5_T6_T7_T9_mT8_P12ihipStream_tbDpT10_ENKUlT_T0_E_clISt17integral_constantIbLb1EES1B_IbLb0EEEEDaS17_S18_EUlS17_E_NS1_11comp_targetILNS1_3genE9ELNS1_11target_archE1100ELNS1_3gpuE3ELNS1_3repE0EEENS1_30default_config_static_selectorELNS0_4arch9wavefront6targetE1EEEvT1_
                                        ; -- End function
	.set _ZN7rocprim17ROCPRIM_400000_NS6detail17trampoline_kernelINS0_14default_configENS1_25partition_config_selectorILNS1_17partition_subalgoE8ElNS0_10empty_typeEbEEZZNS1_14partition_implILS5_8ELb0ES3_jPlPS6_PKS6_NS0_5tupleIJS9_S6_EEENSD_IJSA_SA_EEENS0_18inequality_wrapperIZN2at6native12_GLOBAL__N_124unique_dim_cuda_templateIsEESt5tupleIJNSH_6TensorESM_SM_EERKSM_lbbbEUlllE0_EEPmJS6_EEE10hipError_tPvRmT3_T4_T5_T6_T7_T9_mT8_P12ihipStream_tbDpT10_ENKUlT_T0_E_clISt17integral_constantIbLb1EES1B_IbLb0EEEEDaS17_S18_EUlS17_E_NS1_11comp_targetILNS1_3genE9ELNS1_11target_archE1100ELNS1_3gpuE3ELNS1_3repE0EEENS1_30default_config_static_selectorELNS0_4arch9wavefront6targetE1EEEvT1_.num_vgpr, 0
	.set _ZN7rocprim17ROCPRIM_400000_NS6detail17trampoline_kernelINS0_14default_configENS1_25partition_config_selectorILNS1_17partition_subalgoE8ElNS0_10empty_typeEbEEZZNS1_14partition_implILS5_8ELb0ES3_jPlPS6_PKS6_NS0_5tupleIJS9_S6_EEENSD_IJSA_SA_EEENS0_18inequality_wrapperIZN2at6native12_GLOBAL__N_124unique_dim_cuda_templateIsEESt5tupleIJNSH_6TensorESM_SM_EERKSM_lbbbEUlllE0_EEPmJS6_EEE10hipError_tPvRmT3_T4_T5_T6_T7_T9_mT8_P12ihipStream_tbDpT10_ENKUlT_T0_E_clISt17integral_constantIbLb1EES1B_IbLb0EEEEDaS17_S18_EUlS17_E_NS1_11comp_targetILNS1_3genE9ELNS1_11target_archE1100ELNS1_3gpuE3ELNS1_3repE0EEENS1_30default_config_static_selectorELNS0_4arch9wavefront6targetE1EEEvT1_.num_agpr, 0
	.set _ZN7rocprim17ROCPRIM_400000_NS6detail17trampoline_kernelINS0_14default_configENS1_25partition_config_selectorILNS1_17partition_subalgoE8ElNS0_10empty_typeEbEEZZNS1_14partition_implILS5_8ELb0ES3_jPlPS6_PKS6_NS0_5tupleIJS9_S6_EEENSD_IJSA_SA_EEENS0_18inequality_wrapperIZN2at6native12_GLOBAL__N_124unique_dim_cuda_templateIsEESt5tupleIJNSH_6TensorESM_SM_EERKSM_lbbbEUlllE0_EEPmJS6_EEE10hipError_tPvRmT3_T4_T5_T6_T7_T9_mT8_P12ihipStream_tbDpT10_ENKUlT_T0_E_clISt17integral_constantIbLb1EES1B_IbLb0EEEEDaS17_S18_EUlS17_E_NS1_11comp_targetILNS1_3genE9ELNS1_11target_archE1100ELNS1_3gpuE3ELNS1_3repE0EEENS1_30default_config_static_selectorELNS0_4arch9wavefront6targetE1EEEvT1_.numbered_sgpr, 0
	.set _ZN7rocprim17ROCPRIM_400000_NS6detail17trampoline_kernelINS0_14default_configENS1_25partition_config_selectorILNS1_17partition_subalgoE8ElNS0_10empty_typeEbEEZZNS1_14partition_implILS5_8ELb0ES3_jPlPS6_PKS6_NS0_5tupleIJS9_S6_EEENSD_IJSA_SA_EEENS0_18inequality_wrapperIZN2at6native12_GLOBAL__N_124unique_dim_cuda_templateIsEESt5tupleIJNSH_6TensorESM_SM_EERKSM_lbbbEUlllE0_EEPmJS6_EEE10hipError_tPvRmT3_T4_T5_T6_T7_T9_mT8_P12ihipStream_tbDpT10_ENKUlT_T0_E_clISt17integral_constantIbLb1EES1B_IbLb0EEEEDaS17_S18_EUlS17_E_NS1_11comp_targetILNS1_3genE9ELNS1_11target_archE1100ELNS1_3gpuE3ELNS1_3repE0EEENS1_30default_config_static_selectorELNS0_4arch9wavefront6targetE1EEEvT1_.num_named_barrier, 0
	.set _ZN7rocprim17ROCPRIM_400000_NS6detail17trampoline_kernelINS0_14default_configENS1_25partition_config_selectorILNS1_17partition_subalgoE8ElNS0_10empty_typeEbEEZZNS1_14partition_implILS5_8ELb0ES3_jPlPS6_PKS6_NS0_5tupleIJS9_S6_EEENSD_IJSA_SA_EEENS0_18inequality_wrapperIZN2at6native12_GLOBAL__N_124unique_dim_cuda_templateIsEESt5tupleIJNSH_6TensorESM_SM_EERKSM_lbbbEUlllE0_EEPmJS6_EEE10hipError_tPvRmT3_T4_T5_T6_T7_T9_mT8_P12ihipStream_tbDpT10_ENKUlT_T0_E_clISt17integral_constantIbLb1EES1B_IbLb0EEEEDaS17_S18_EUlS17_E_NS1_11comp_targetILNS1_3genE9ELNS1_11target_archE1100ELNS1_3gpuE3ELNS1_3repE0EEENS1_30default_config_static_selectorELNS0_4arch9wavefront6targetE1EEEvT1_.private_seg_size, 0
	.set _ZN7rocprim17ROCPRIM_400000_NS6detail17trampoline_kernelINS0_14default_configENS1_25partition_config_selectorILNS1_17partition_subalgoE8ElNS0_10empty_typeEbEEZZNS1_14partition_implILS5_8ELb0ES3_jPlPS6_PKS6_NS0_5tupleIJS9_S6_EEENSD_IJSA_SA_EEENS0_18inequality_wrapperIZN2at6native12_GLOBAL__N_124unique_dim_cuda_templateIsEESt5tupleIJNSH_6TensorESM_SM_EERKSM_lbbbEUlllE0_EEPmJS6_EEE10hipError_tPvRmT3_T4_T5_T6_T7_T9_mT8_P12ihipStream_tbDpT10_ENKUlT_T0_E_clISt17integral_constantIbLb1EES1B_IbLb0EEEEDaS17_S18_EUlS17_E_NS1_11comp_targetILNS1_3genE9ELNS1_11target_archE1100ELNS1_3gpuE3ELNS1_3repE0EEENS1_30default_config_static_selectorELNS0_4arch9wavefront6targetE1EEEvT1_.uses_vcc, 0
	.set _ZN7rocprim17ROCPRIM_400000_NS6detail17trampoline_kernelINS0_14default_configENS1_25partition_config_selectorILNS1_17partition_subalgoE8ElNS0_10empty_typeEbEEZZNS1_14partition_implILS5_8ELb0ES3_jPlPS6_PKS6_NS0_5tupleIJS9_S6_EEENSD_IJSA_SA_EEENS0_18inequality_wrapperIZN2at6native12_GLOBAL__N_124unique_dim_cuda_templateIsEESt5tupleIJNSH_6TensorESM_SM_EERKSM_lbbbEUlllE0_EEPmJS6_EEE10hipError_tPvRmT3_T4_T5_T6_T7_T9_mT8_P12ihipStream_tbDpT10_ENKUlT_T0_E_clISt17integral_constantIbLb1EES1B_IbLb0EEEEDaS17_S18_EUlS17_E_NS1_11comp_targetILNS1_3genE9ELNS1_11target_archE1100ELNS1_3gpuE3ELNS1_3repE0EEENS1_30default_config_static_selectorELNS0_4arch9wavefront6targetE1EEEvT1_.uses_flat_scratch, 0
	.set _ZN7rocprim17ROCPRIM_400000_NS6detail17trampoline_kernelINS0_14default_configENS1_25partition_config_selectorILNS1_17partition_subalgoE8ElNS0_10empty_typeEbEEZZNS1_14partition_implILS5_8ELb0ES3_jPlPS6_PKS6_NS0_5tupleIJS9_S6_EEENSD_IJSA_SA_EEENS0_18inequality_wrapperIZN2at6native12_GLOBAL__N_124unique_dim_cuda_templateIsEESt5tupleIJNSH_6TensorESM_SM_EERKSM_lbbbEUlllE0_EEPmJS6_EEE10hipError_tPvRmT3_T4_T5_T6_T7_T9_mT8_P12ihipStream_tbDpT10_ENKUlT_T0_E_clISt17integral_constantIbLb1EES1B_IbLb0EEEEDaS17_S18_EUlS17_E_NS1_11comp_targetILNS1_3genE9ELNS1_11target_archE1100ELNS1_3gpuE3ELNS1_3repE0EEENS1_30default_config_static_selectorELNS0_4arch9wavefront6targetE1EEEvT1_.has_dyn_sized_stack, 0
	.set _ZN7rocprim17ROCPRIM_400000_NS6detail17trampoline_kernelINS0_14default_configENS1_25partition_config_selectorILNS1_17partition_subalgoE8ElNS0_10empty_typeEbEEZZNS1_14partition_implILS5_8ELb0ES3_jPlPS6_PKS6_NS0_5tupleIJS9_S6_EEENSD_IJSA_SA_EEENS0_18inequality_wrapperIZN2at6native12_GLOBAL__N_124unique_dim_cuda_templateIsEESt5tupleIJNSH_6TensorESM_SM_EERKSM_lbbbEUlllE0_EEPmJS6_EEE10hipError_tPvRmT3_T4_T5_T6_T7_T9_mT8_P12ihipStream_tbDpT10_ENKUlT_T0_E_clISt17integral_constantIbLb1EES1B_IbLb0EEEEDaS17_S18_EUlS17_E_NS1_11comp_targetILNS1_3genE9ELNS1_11target_archE1100ELNS1_3gpuE3ELNS1_3repE0EEENS1_30default_config_static_selectorELNS0_4arch9wavefront6targetE1EEEvT1_.has_recursion, 0
	.set _ZN7rocprim17ROCPRIM_400000_NS6detail17trampoline_kernelINS0_14default_configENS1_25partition_config_selectorILNS1_17partition_subalgoE8ElNS0_10empty_typeEbEEZZNS1_14partition_implILS5_8ELb0ES3_jPlPS6_PKS6_NS0_5tupleIJS9_S6_EEENSD_IJSA_SA_EEENS0_18inequality_wrapperIZN2at6native12_GLOBAL__N_124unique_dim_cuda_templateIsEESt5tupleIJNSH_6TensorESM_SM_EERKSM_lbbbEUlllE0_EEPmJS6_EEE10hipError_tPvRmT3_T4_T5_T6_T7_T9_mT8_P12ihipStream_tbDpT10_ENKUlT_T0_E_clISt17integral_constantIbLb1EES1B_IbLb0EEEEDaS17_S18_EUlS17_E_NS1_11comp_targetILNS1_3genE9ELNS1_11target_archE1100ELNS1_3gpuE3ELNS1_3repE0EEENS1_30default_config_static_selectorELNS0_4arch9wavefront6targetE1EEEvT1_.has_indirect_call, 0
	.section	.AMDGPU.csdata,"",@progbits
; Kernel info:
; codeLenInByte = 0
; TotalNumSgprs: 6
; NumVgprs: 0
; NumAgprs: 0
; TotalNumVgprs: 0
; ScratchSize: 0
; MemoryBound: 0
; FloatMode: 240
; IeeeMode: 1
; LDSByteSize: 0 bytes/workgroup (compile time only)
; SGPRBlocks: 0
; VGPRBlocks: 0
; NumSGPRsForWavesPerEU: 6
; NumVGPRsForWavesPerEU: 1
; AccumOffset: 4
; Occupancy: 8
; WaveLimiterHint : 0
; COMPUTE_PGM_RSRC2:SCRATCH_EN: 0
; COMPUTE_PGM_RSRC2:USER_SGPR: 2
; COMPUTE_PGM_RSRC2:TRAP_HANDLER: 0
; COMPUTE_PGM_RSRC2:TGID_X_EN: 1
; COMPUTE_PGM_RSRC2:TGID_Y_EN: 0
; COMPUTE_PGM_RSRC2:TGID_Z_EN: 0
; COMPUTE_PGM_RSRC2:TIDIG_COMP_CNT: 0
; COMPUTE_PGM_RSRC3_GFX90A:ACCUM_OFFSET: 0
; COMPUTE_PGM_RSRC3_GFX90A:TG_SPLIT: 0
	.section	.text._ZN7rocprim17ROCPRIM_400000_NS6detail17trampoline_kernelINS0_14default_configENS1_25partition_config_selectorILNS1_17partition_subalgoE8ElNS0_10empty_typeEbEEZZNS1_14partition_implILS5_8ELb0ES3_jPlPS6_PKS6_NS0_5tupleIJS9_S6_EEENSD_IJSA_SA_EEENS0_18inequality_wrapperIZN2at6native12_GLOBAL__N_124unique_dim_cuda_templateIsEESt5tupleIJNSH_6TensorESM_SM_EERKSM_lbbbEUlllE0_EEPmJS6_EEE10hipError_tPvRmT3_T4_T5_T6_T7_T9_mT8_P12ihipStream_tbDpT10_ENKUlT_T0_E_clISt17integral_constantIbLb1EES1B_IbLb0EEEEDaS17_S18_EUlS17_E_NS1_11comp_targetILNS1_3genE8ELNS1_11target_archE1030ELNS1_3gpuE2ELNS1_3repE0EEENS1_30default_config_static_selectorELNS0_4arch9wavefront6targetE1EEEvT1_,"axG",@progbits,_ZN7rocprim17ROCPRIM_400000_NS6detail17trampoline_kernelINS0_14default_configENS1_25partition_config_selectorILNS1_17partition_subalgoE8ElNS0_10empty_typeEbEEZZNS1_14partition_implILS5_8ELb0ES3_jPlPS6_PKS6_NS0_5tupleIJS9_S6_EEENSD_IJSA_SA_EEENS0_18inequality_wrapperIZN2at6native12_GLOBAL__N_124unique_dim_cuda_templateIsEESt5tupleIJNSH_6TensorESM_SM_EERKSM_lbbbEUlllE0_EEPmJS6_EEE10hipError_tPvRmT3_T4_T5_T6_T7_T9_mT8_P12ihipStream_tbDpT10_ENKUlT_T0_E_clISt17integral_constantIbLb1EES1B_IbLb0EEEEDaS17_S18_EUlS17_E_NS1_11comp_targetILNS1_3genE8ELNS1_11target_archE1030ELNS1_3gpuE2ELNS1_3repE0EEENS1_30default_config_static_selectorELNS0_4arch9wavefront6targetE1EEEvT1_,comdat
	.globl	_ZN7rocprim17ROCPRIM_400000_NS6detail17trampoline_kernelINS0_14default_configENS1_25partition_config_selectorILNS1_17partition_subalgoE8ElNS0_10empty_typeEbEEZZNS1_14partition_implILS5_8ELb0ES3_jPlPS6_PKS6_NS0_5tupleIJS9_S6_EEENSD_IJSA_SA_EEENS0_18inequality_wrapperIZN2at6native12_GLOBAL__N_124unique_dim_cuda_templateIsEESt5tupleIJNSH_6TensorESM_SM_EERKSM_lbbbEUlllE0_EEPmJS6_EEE10hipError_tPvRmT3_T4_T5_T6_T7_T9_mT8_P12ihipStream_tbDpT10_ENKUlT_T0_E_clISt17integral_constantIbLb1EES1B_IbLb0EEEEDaS17_S18_EUlS17_E_NS1_11comp_targetILNS1_3genE8ELNS1_11target_archE1030ELNS1_3gpuE2ELNS1_3repE0EEENS1_30default_config_static_selectorELNS0_4arch9wavefront6targetE1EEEvT1_ ; -- Begin function _ZN7rocprim17ROCPRIM_400000_NS6detail17trampoline_kernelINS0_14default_configENS1_25partition_config_selectorILNS1_17partition_subalgoE8ElNS0_10empty_typeEbEEZZNS1_14partition_implILS5_8ELb0ES3_jPlPS6_PKS6_NS0_5tupleIJS9_S6_EEENSD_IJSA_SA_EEENS0_18inequality_wrapperIZN2at6native12_GLOBAL__N_124unique_dim_cuda_templateIsEESt5tupleIJNSH_6TensorESM_SM_EERKSM_lbbbEUlllE0_EEPmJS6_EEE10hipError_tPvRmT3_T4_T5_T6_T7_T9_mT8_P12ihipStream_tbDpT10_ENKUlT_T0_E_clISt17integral_constantIbLb1EES1B_IbLb0EEEEDaS17_S18_EUlS17_E_NS1_11comp_targetILNS1_3genE8ELNS1_11target_archE1030ELNS1_3gpuE2ELNS1_3repE0EEENS1_30default_config_static_selectorELNS0_4arch9wavefront6targetE1EEEvT1_
	.p2align	8
	.type	_ZN7rocprim17ROCPRIM_400000_NS6detail17trampoline_kernelINS0_14default_configENS1_25partition_config_selectorILNS1_17partition_subalgoE8ElNS0_10empty_typeEbEEZZNS1_14partition_implILS5_8ELb0ES3_jPlPS6_PKS6_NS0_5tupleIJS9_S6_EEENSD_IJSA_SA_EEENS0_18inequality_wrapperIZN2at6native12_GLOBAL__N_124unique_dim_cuda_templateIsEESt5tupleIJNSH_6TensorESM_SM_EERKSM_lbbbEUlllE0_EEPmJS6_EEE10hipError_tPvRmT3_T4_T5_T6_T7_T9_mT8_P12ihipStream_tbDpT10_ENKUlT_T0_E_clISt17integral_constantIbLb1EES1B_IbLb0EEEEDaS17_S18_EUlS17_E_NS1_11comp_targetILNS1_3genE8ELNS1_11target_archE1030ELNS1_3gpuE2ELNS1_3repE0EEENS1_30default_config_static_selectorELNS0_4arch9wavefront6targetE1EEEvT1_,@function
_ZN7rocprim17ROCPRIM_400000_NS6detail17trampoline_kernelINS0_14default_configENS1_25partition_config_selectorILNS1_17partition_subalgoE8ElNS0_10empty_typeEbEEZZNS1_14partition_implILS5_8ELb0ES3_jPlPS6_PKS6_NS0_5tupleIJS9_S6_EEENSD_IJSA_SA_EEENS0_18inequality_wrapperIZN2at6native12_GLOBAL__N_124unique_dim_cuda_templateIsEESt5tupleIJNSH_6TensorESM_SM_EERKSM_lbbbEUlllE0_EEPmJS6_EEE10hipError_tPvRmT3_T4_T5_T6_T7_T9_mT8_P12ihipStream_tbDpT10_ENKUlT_T0_E_clISt17integral_constantIbLb1EES1B_IbLb0EEEEDaS17_S18_EUlS17_E_NS1_11comp_targetILNS1_3genE8ELNS1_11target_archE1030ELNS1_3gpuE2ELNS1_3repE0EEENS1_30default_config_static_selectorELNS0_4arch9wavefront6targetE1EEEvT1_: ; @_ZN7rocprim17ROCPRIM_400000_NS6detail17trampoline_kernelINS0_14default_configENS1_25partition_config_selectorILNS1_17partition_subalgoE8ElNS0_10empty_typeEbEEZZNS1_14partition_implILS5_8ELb0ES3_jPlPS6_PKS6_NS0_5tupleIJS9_S6_EEENSD_IJSA_SA_EEENS0_18inequality_wrapperIZN2at6native12_GLOBAL__N_124unique_dim_cuda_templateIsEESt5tupleIJNSH_6TensorESM_SM_EERKSM_lbbbEUlllE0_EEPmJS6_EEE10hipError_tPvRmT3_T4_T5_T6_T7_T9_mT8_P12ihipStream_tbDpT10_ENKUlT_T0_E_clISt17integral_constantIbLb1EES1B_IbLb0EEEEDaS17_S18_EUlS17_E_NS1_11comp_targetILNS1_3genE8ELNS1_11target_archE1030ELNS1_3gpuE2ELNS1_3repE0EEENS1_30default_config_static_selectorELNS0_4arch9wavefront6targetE1EEEvT1_
; %bb.0:
	.section	.rodata,"a",@progbits
	.p2align	6, 0x0
	.amdhsa_kernel _ZN7rocprim17ROCPRIM_400000_NS6detail17trampoline_kernelINS0_14default_configENS1_25partition_config_selectorILNS1_17partition_subalgoE8ElNS0_10empty_typeEbEEZZNS1_14partition_implILS5_8ELb0ES3_jPlPS6_PKS6_NS0_5tupleIJS9_S6_EEENSD_IJSA_SA_EEENS0_18inequality_wrapperIZN2at6native12_GLOBAL__N_124unique_dim_cuda_templateIsEESt5tupleIJNSH_6TensorESM_SM_EERKSM_lbbbEUlllE0_EEPmJS6_EEE10hipError_tPvRmT3_T4_T5_T6_T7_T9_mT8_P12ihipStream_tbDpT10_ENKUlT_T0_E_clISt17integral_constantIbLb1EES1B_IbLb0EEEEDaS17_S18_EUlS17_E_NS1_11comp_targetILNS1_3genE8ELNS1_11target_archE1030ELNS1_3gpuE2ELNS1_3repE0EEENS1_30default_config_static_selectorELNS0_4arch9wavefront6targetE1EEEvT1_
		.amdhsa_group_segment_fixed_size 0
		.amdhsa_private_segment_fixed_size 0
		.amdhsa_kernarg_size 120
		.amdhsa_user_sgpr_count 2
		.amdhsa_user_sgpr_dispatch_ptr 0
		.amdhsa_user_sgpr_queue_ptr 0
		.amdhsa_user_sgpr_kernarg_segment_ptr 1
		.amdhsa_user_sgpr_dispatch_id 0
		.amdhsa_user_sgpr_kernarg_preload_length 0
		.amdhsa_user_sgpr_kernarg_preload_offset 0
		.amdhsa_user_sgpr_private_segment_size 0
		.amdhsa_uses_dynamic_stack 0
		.amdhsa_enable_private_segment 0
		.amdhsa_system_sgpr_workgroup_id_x 1
		.amdhsa_system_sgpr_workgroup_id_y 0
		.amdhsa_system_sgpr_workgroup_id_z 0
		.amdhsa_system_sgpr_workgroup_info 0
		.amdhsa_system_vgpr_workitem_id 0
		.amdhsa_next_free_vgpr 1
		.amdhsa_next_free_sgpr 0
		.amdhsa_accum_offset 4
		.amdhsa_reserve_vcc 0
		.amdhsa_float_round_mode_32 0
		.amdhsa_float_round_mode_16_64 0
		.amdhsa_float_denorm_mode_32 3
		.amdhsa_float_denorm_mode_16_64 3
		.amdhsa_dx10_clamp 1
		.amdhsa_ieee_mode 1
		.amdhsa_fp16_overflow 0
		.amdhsa_tg_split 0
		.amdhsa_exception_fp_ieee_invalid_op 0
		.amdhsa_exception_fp_denorm_src 0
		.amdhsa_exception_fp_ieee_div_zero 0
		.amdhsa_exception_fp_ieee_overflow 0
		.amdhsa_exception_fp_ieee_underflow 0
		.amdhsa_exception_fp_ieee_inexact 0
		.amdhsa_exception_int_div_zero 0
	.end_amdhsa_kernel
	.section	.text._ZN7rocprim17ROCPRIM_400000_NS6detail17trampoline_kernelINS0_14default_configENS1_25partition_config_selectorILNS1_17partition_subalgoE8ElNS0_10empty_typeEbEEZZNS1_14partition_implILS5_8ELb0ES3_jPlPS6_PKS6_NS0_5tupleIJS9_S6_EEENSD_IJSA_SA_EEENS0_18inequality_wrapperIZN2at6native12_GLOBAL__N_124unique_dim_cuda_templateIsEESt5tupleIJNSH_6TensorESM_SM_EERKSM_lbbbEUlllE0_EEPmJS6_EEE10hipError_tPvRmT3_T4_T5_T6_T7_T9_mT8_P12ihipStream_tbDpT10_ENKUlT_T0_E_clISt17integral_constantIbLb1EES1B_IbLb0EEEEDaS17_S18_EUlS17_E_NS1_11comp_targetILNS1_3genE8ELNS1_11target_archE1030ELNS1_3gpuE2ELNS1_3repE0EEENS1_30default_config_static_selectorELNS0_4arch9wavefront6targetE1EEEvT1_,"axG",@progbits,_ZN7rocprim17ROCPRIM_400000_NS6detail17trampoline_kernelINS0_14default_configENS1_25partition_config_selectorILNS1_17partition_subalgoE8ElNS0_10empty_typeEbEEZZNS1_14partition_implILS5_8ELb0ES3_jPlPS6_PKS6_NS0_5tupleIJS9_S6_EEENSD_IJSA_SA_EEENS0_18inequality_wrapperIZN2at6native12_GLOBAL__N_124unique_dim_cuda_templateIsEESt5tupleIJNSH_6TensorESM_SM_EERKSM_lbbbEUlllE0_EEPmJS6_EEE10hipError_tPvRmT3_T4_T5_T6_T7_T9_mT8_P12ihipStream_tbDpT10_ENKUlT_T0_E_clISt17integral_constantIbLb1EES1B_IbLb0EEEEDaS17_S18_EUlS17_E_NS1_11comp_targetILNS1_3genE8ELNS1_11target_archE1030ELNS1_3gpuE2ELNS1_3repE0EEENS1_30default_config_static_selectorELNS0_4arch9wavefront6targetE1EEEvT1_,comdat
.Lfunc_end708:
	.size	_ZN7rocprim17ROCPRIM_400000_NS6detail17trampoline_kernelINS0_14default_configENS1_25partition_config_selectorILNS1_17partition_subalgoE8ElNS0_10empty_typeEbEEZZNS1_14partition_implILS5_8ELb0ES3_jPlPS6_PKS6_NS0_5tupleIJS9_S6_EEENSD_IJSA_SA_EEENS0_18inequality_wrapperIZN2at6native12_GLOBAL__N_124unique_dim_cuda_templateIsEESt5tupleIJNSH_6TensorESM_SM_EERKSM_lbbbEUlllE0_EEPmJS6_EEE10hipError_tPvRmT3_T4_T5_T6_T7_T9_mT8_P12ihipStream_tbDpT10_ENKUlT_T0_E_clISt17integral_constantIbLb1EES1B_IbLb0EEEEDaS17_S18_EUlS17_E_NS1_11comp_targetILNS1_3genE8ELNS1_11target_archE1030ELNS1_3gpuE2ELNS1_3repE0EEENS1_30default_config_static_selectorELNS0_4arch9wavefront6targetE1EEEvT1_, .Lfunc_end708-_ZN7rocprim17ROCPRIM_400000_NS6detail17trampoline_kernelINS0_14default_configENS1_25partition_config_selectorILNS1_17partition_subalgoE8ElNS0_10empty_typeEbEEZZNS1_14partition_implILS5_8ELb0ES3_jPlPS6_PKS6_NS0_5tupleIJS9_S6_EEENSD_IJSA_SA_EEENS0_18inequality_wrapperIZN2at6native12_GLOBAL__N_124unique_dim_cuda_templateIsEESt5tupleIJNSH_6TensorESM_SM_EERKSM_lbbbEUlllE0_EEPmJS6_EEE10hipError_tPvRmT3_T4_T5_T6_T7_T9_mT8_P12ihipStream_tbDpT10_ENKUlT_T0_E_clISt17integral_constantIbLb1EES1B_IbLb0EEEEDaS17_S18_EUlS17_E_NS1_11comp_targetILNS1_3genE8ELNS1_11target_archE1030ELNS1_3gpuE2ELNS1_3repE0EEENS1_30default_config_static_selectorELNS0_4arch9wavefront6targetE1EEEvT1_
                                        ; -- End function
	.set _ZN7rocprim17ROCPRIM_400000_NS6detail17trampoline_kernelINS0_14default_configENS1_25partition_config_selectorILNS1_17partition_subalgoE8ElNS0_10empty_typeEbEEZZNS1_14partition_implILS5_8ELb0ES3_jPlPS6_PKS6_NS0_5tupleIJS9_S6_EEENSD_IJSA_SA_EEENS0_18inequality_wrapperIZN2at6native12_GLOBAL__N_124unique_dim_cuda_templateIsEESt5tupleIJNSH_6TensorESM_SM_EERKSM_lbbbEUlllE0_EEPmJS6_EEE10hipError_tPvRmT3_T4_T5_T6_T7_T9_mT8_P12ihipStream_tbDpT10_ENKUlT_T0_E_clISt17integral_constantIbLb1EES1B_IbLb0EEEEDaS17_S18_EUlS17_E_NS1_11comp_targetILNS1_3genE8ELNS1_11target_archE1030ELNS1_3gpuE2ELNS1_3repE0EEENS1_30default_config_static_selectorELNS0_4arch9wavefront6targetE1EEEvT1_.num_vgpr, 0
	.set _ZN7rocprim17ROCPRIM_400000_NS6detail17trampoline_kernelINS0_14default_configENS1_25partition_config_selectorILNS1_17partition_subalgoE8ElNS0_10empty_typeEbEEZZNS1_14partition_implILS5_8ELb0ES3_jPlPS6_PKS6_NS0_5tupleIJS9_S6_EEENSD_IJSA_SA_EEENS0_18inequality_wrapperIZN2at6native12_GLOBAL__N_124unique_dim_cuda_templateIsEESt5tupleIJNSH_6TensorESM_SM_EERKSM_lbbbEUlllE0_EEPmJS6_EEE10hipError_tPvRmT3_T4_T5_T6_T7_T9_mT8_P12ihipStream_tbDpT10_ENKUlT_T0_E_clISt17integral_constantIbLb1EES1B_IbLb0EEEEDaS17_S18_EUlS17_E_NS1_11comp_targetILNS1_3genE8ELNS1_11target_archE1030ELNS1_3gpuE2ELNS1_3repE0EEENS1_30default_config_static_selectorELNS0_4arch9wavefront6targetE1EEEvT1_.num_agpr, 0
	.set _ZN7rocprim17ROCPRIM_400000_NS6detail17trampoline_kernelINS0_14default_configENS1_25partition_config_selectorILNS1_17partition_subalgoE8ElNS0_10empty_typeEbEEZZNS1_14partition_implILS5_8ELb0ES3_jPlPS6_PKS6_NS0_5tupleIJS9_S6_EEENSD_IJSA_SA_EEENS0_18inequality_wrapperIZN2at6native12_GLOBAL__N_124unique_dim_cuda_templateIsEESt5tupleIJNSH_6TensorESM_SM_EERKSM_lbbbEUlllE0_EEPmJS6_EEE10hipError_tPvRmT3_T4_T5_T6_T7_T9_mT8_P12ihipStream_tbDpT10_ENKUlT_T0_E_clISt17integral_constantIbLb1EES1B_IbLb0EEEEDaS17_S18_EUlS17_E_NS1_11comp_targetILNS1_3genE8ELNS1_11target_archE1030ELNS1_3gpuE2ELNS1_3repE0EEENS1_30default_config_static_selectorELNS0_4arch9wavefront6targetE1EEEvT1_.numbered_sgpr, 0
	.set _ZN7rocprim17ROCPRIM_400000_NS6detail17trampoline_kernelINS0_14default_configENS1_25partition_config_selectorILNS1_17partition_subalgoE8ElNS0_10empty_typeEbEEZZNS1_14partition_implILS5_8ELb0ES3_jPlPS6_PKS6_NS0_5tupleIJS9_S6_EEENSD_IJSA_SA_EEENS0_18inequality_wrapperIZN2at6native12_GLOBAL__N_124unique_dim_cuda_templateIsEESt5tupleIJNSH_6TensorESM_SM_EERKSM_lbbbEUlllE0_EEPmJS6_EEE10hipError_tPvRmT3_T4_T5_T6_T7_T9_mT8_P12ihipStream_tbDpT10_ENKUlT_T0_E_clISt17integral_constantIbLb1EES1B_IbLb0EEEEDaS17_S18_EUlS17_E_NS1_11comp_targetILNS1_3genE8ELNS1_11target_archE1030ELNS1_3gpuE2ELNS1_3repE0EEENS1_30default_config_static_selectorELNS0_4arch9wavefront6targetE1EEEvT1_.num_named_barrier, 0
	.set _ZN7rocprim17ROCPRIM_400000_NS6detail17trampoline_kernelINS0_14default_configENS1_25partition_config_selectorILNS1_17partition_subalgoE8ElNS0_10empty_typeEbEEZZNS1_14partition_implILS5_8ELb0ES3_jPlPS6_PKS6_NS0_5tupleIJS9_S6_EEENSD_IJSA_SA_EEENS0_18inequality_wrapperIZN2at6native12_GLOBAL__N_124unique_dim_cuda_templateIsEESt5tupleIJNSH_6TensorESM_SM_EERKSM_lbbbEUlllE0_EEPmJS6_EEE10hipError_tPvRmT3_T4_T5_T6_T7_T9_mT8_P12ihipStream_tbDpT10_ENKUlT_T0_E_clISt17integral_constantIbLb1EES1B_IbLb0EEEEDaS17_S18_EUlS17_E_NS1_11comp_targetILNS1_3genE8ELNS1_11target_archE1030ELNS1_3gpuE2ELNS1_3repE0EEENS1_30default_config_static_selectorELNS0_4arch9wavefront6targetE1EEEvT1_.private_seg_size, 0
	.set _ZN7rocprim17ROCPRIM_400000_NS6detail17trampoline_kernelINS0_14default_configENS1_25partition_config_selectorILNS1_17partition_subalgoE8ElNS0_10empty_typeEbEEZZNS1_14partition_implILS5_8ELb0ES3_jPlPS6_PKS6_NS0_5tupleIJS9_S6_EEENSD_IJSA_SA_EEENS0_18inequality_wrapperIZN2at6native12_GLOBAL__N_124unique_dim_cuda_templateIsEESt5tupleIJNSH_6TensorESM_SM_EERKSM_lbbbEUlllE0_EEPmJS6_EEE10hipError_tPvRmT3_T4_T5_T6_T7_T9_mT8_P12ihipStream_tbDpT10_ENKUlT_T0_E_clISt17integral_constantIbLb1EES1B_IbLb0EEEEDaS17_S18_EUlS17_E_NS1_11comp_targetILNS1_3genE8ELNS1_11target_archE1030ELNS1_3gpuE2ELNS1_3repE0EEENS1_30default_config_static_selectorELNS0_4arch9wavefront6targetE1EEEvT1_.uses_vcc, 0
	.set _ZN7rocprim17ROCPRIM_400000_NS6detail17trampoline_kernelINS0_14default_configENS1_25partition_config_selectorILNS1_17partition_subalgoE8ElNS0_10empty_typeEbEEZZNS1_14partition_implILS5_8ELb0ES3_jPlPS6_PKS6_NS0_5tupleIJS9_S6_EEENSD_IJSA_SA_EEENS0_18inequality_wrapperIZN2at6native12_GLOBAL__N_124unique_dim_cuda_templateIsEESt5tupleIJNSH_6TensorESM_SM_EERKSM_lbbbEUlllE0_EEPmJS6_EEE10hipError_tPvRmT3_T4_T5_T6_T7_T9_mT8_P12ihipStream_tbDpT10_ENKUlT_T0_E_clISt17integral_constantIbLb1EES1B_IbLb0EEEEDaS17_S18_EUlS17_E_NS1_11comp_targetILNS1_3genE8ELNS1_11target_archE1030ELNS1_3gpuE2ELNS1_3repE0EEENS1_30default_config_static_selectorELNS0_4arch9wavefront6targetE1EEEvT1_.uses_flat_scratch, 0
	.set _ZN7rocprim17ROCPRIM_400000_NS6detail17trampoline_kernelINS0_14default_configENS1_25partition_config_selectorILNS1_17partition_subalgoE8ElNS0_10empty_typeEbEEZZNS1_14partition_implILS5_8ELb0ES3_jPlPS6_PKS6_NS0_5tupleIJS9_S6_EEENSD_IJSA_SA_EEENS0_18inequality_wrapperIZN2at6native12_GLOBAL__N_124unique_dim_cuda_templateIsEESt5tupleIJNSH_6TensorESM_SM_EERKSM_lbbbEUlllE0_EEPmJS6_EEE10hipError_tPvRmT3_T4_T5_T6_T7_T9_mT8_P12ihipStream_tbDpT10_ENKUlT_T0_E_clISt17integral_constantIbLb1EES1B_IbLb0EEEEDaS17_S18_EUlS17_E_NS1_11comp_targetILNS1_3genE8ELNS1_11target_archE1030ELNS1_3gpuE2ELNS1_3repE0EEENS1_30default_config_static_selectorELNS0_4arch9wavefront6targetE1EEEvT1_.has_dyn_sized_stack, 0
	.set _ZN7rocprim17ROCPRIM_400000_NS6detail17trampoline_kernelINS0_14default_configENS1_25partition_config_selectorILNS1_17partition_subalgoE8ElNS0_10empty_typeEbEEZZNS1_14partition_implILS5_8ELb0ES3_jPlPS6_PKS6_NS0_5tupleIJS9_S6_EEENSD_IJSA_SA_EEENS0_18inequality_wrapperIZN2at6native12_GLOBAL__N_124unique_dim_cuda_templateIsEESt5tupleIJNSH_6TensorESM_SM_EERKSM_lbbbEUlllE0_EEPmJS6_EEE10hipError_tPvRmT3_T4_T5_T6_T7_T9_mT8_P12ihipStream_tbDpT10_ENKUlT_T0_E_clISt17integral_constantIbLb1EES1B_IbLb0EEEEDaS17_S18_EUlS17_E_NS1_11comp_targetILNS1_3genE8ELNS1_11target_archE1030ELNS1_3gpuE2ELNS1_3repE0EEENS1_30default_config_static_selectorELNS0_4arch9wavefront6targetE1EEEvT1_.has_recursion, 0
	.set _ZN7rocprim17ROCPRIM_400000_NS6detail17trampoline_kernelINS0_14default_configENS1_25partition_config_selectorILNS1_17partition_subalgoE8ElNS0_10empty_typeEbEEZZNS1_14partition_implILS5_8ELb0ES3_jPlPS6_PKS6_NS0_5tupleIJS9_S6_EEENSD_IJSA_SA_EEENS0_18inequality_wrapperIZN2at6native12_GLOBAL__N_124unique_dim_cuda_templateIsEESt5tupleIJNSH_6TensorESM_SM_EERKSM_lbbbEUlllE0_EEPmJS6_EEE10hipError_tPvRmT3_T4_T5_T6_T7_T9_mT8_P12ihipStream_tbDpT10_ENKUlT_T0_E_clISt17integral_constantIbLb1EES1B_IbLb0EEEEDaS17_S18_EUlS17_E_NS1_11comp_targetILNS1_3genE8ELNS1_11target_archE1030ELNS1_3gpuE2ELNS1_3repE0EEENS1_30default_config_static_selectorELNS0_4arch9wavefront6targetE1EEEvT1_.has_indirect_call, 0
	.section	.AMDGPU.csdata,"",@progbits
; Kernel info:
; codeLenInByte = 0
; TotalNumSgprs: 6
; NumVgprs: 0
; NumAgprs: 0
; TotalNumVgprs: 0
; ScratchSize: 0
; MemoryBound: 0
; FloatMode: 240
; IeeeMode: 1
; LDSByteSize: 0 bytes/workgroup (compile time only)
; SGPRBlocks: 0
; VGPRBlocks: 0
; NumSGPRsForWavesPerEU: 6
; NumVGPRsForWavesPerEU: 1
; AccumOffset: 4
; Occupancy: 8
; WaveLimiterHint : 0
; COMPUTE_PGM_RSRC2:SCRATCH_EN: 0
; COMPUTE_PGM_RSRC2:USER_SGPR: 2
; COMPUTE_PGM_RSRC2:TRAP_HANDLER: 0
; COMPUTE_PGM_RSRC2:TGID_X_EN: 1
; COMPUTE_PGM_RSRC2:TGID_Y_EN: 0
; COMPUTE_PGM_RSRC2:TGID_Z_EN: 0
; COMPUTE_PGM_RSRC2:TIDIG_COMP_CNT: 0
; COMPUTE_PGM_RSRC3_GFX90A:ACCUM_OFFSET: 0
; COMPUTE_PGM_RSRC3_GFX90A:TG_SPLIT: 0
	.section	.text._ZN7rocprim17ROCPRIM_400000_NS6detail17trampoline_kernelINS0_14default_configENS1_25partition_config_selectorILNS1_17partition_subalgoE8ElNS0_10empty_typeEbEEZZNS1_14partition_implILS5_8ELb0ES3_jPlPS6_PKS6_NS0_5tupleIJS9_S6_EEENSD_IJSA_SA_EEENS0_18inequality_wrapperIZN2at6native12_GLOBAL__N_124unique_dim_cuda_templateIsEESt5tupleIJNSH_6TensorESM_SM_EERKSM_lbbbEUlllE0_EEPmJS6_EEE10hipError_tPvRmT3_T4_T5_T6_T7_T9_mT8_P12ihipStream_tbDpT10_ENKUlT_T0_E_clISt17integral_constantIbLb0EES1B_IbLb1EEEEDaS17_S18_EUlS17_E_NS1_11comp_targetILNS1_3genE0ELNS1_11target_archE4294967295ELNS1_3gpuE0ELNS1_3repE0EEENS1_30default_config_static_selectorELNS0_4arch9wavefront6targetE1EEEvT1_,"axG",@progbits,_ZN7rocprim17ROCPRIM_400000_NS6detail17trampoline_kernelINS0_14default_configENS1_25partition_config_selectorILNS1_17partition_subalgoE8ElNS0_10empty_typeEbEEZZNS1_14partition_implILS5_8ELb0ES3_jPlPS6_PKS6_NS0_5tupleIJS9_S6_EEENSD_IJSA_SA_EEENS0_18inequality_wrapperIZN2at6native12_GLOBAL__N_124unique_dim_cuda_templateIsEESt5tupleIJNSH_6TensorESM_SM_EERKSM_lbbbEUlllE0_EEPmJS6_EEE10hipError_tPvRmT3_T4_T5_T6_T7_T9_mT8_P12ihipStream_tbDpT10_ENKUlT_T0_E_clISt17integral_constantIbLb0EES1B_IbLb1EEEEDaS17_S18_EUlS17_E_NS1_11comp_targetILNS1_3genE0ELNS1_11target_archE4294967295ELNS1_3gpuE0ELNS1_3repE0EEENS1_30default_config_static_selectorELNS0_4arch9wavefront6targetE1EEEvT1_,comdat
	.globl	_ZN7rocprim17ROCPRIM_400000_NS6detail17trampoline_kernelINS0_14default_configENS1_25partition_config_selectorILNS1_17partition_subalgoE8ElNS0_10empty_typeEbEEZZNS1_14partition_implILS5_8ELb0ES3_jPlPS6_PKS6_NS0_5tupleIJS9_S6_EEENSD_IJSA_SA_EEENS0_18inequality_wrapperIZN2at6native12_GLOBAL__N_124unique_dim_cuda_templateIsEESt5tupleIJNSH_6TensorESM_SM_EERKSM_lbbbEUlllE0_EEPmJS6_EEE10hipError_tPvRmT3_T4_T5_T6_T7_T9_mT8_P12ihipStream_tbDpT10_ENKUlT_T0_E_clISt17integral_constantIbLb0EES1B_IbLb1EEEEDaS17_S18_EUlS17_E_NS1_11comp_targetILNS1_3genE0ELNS1_11target_archE4294967295ELNS1_3gpuE0ELNS1_3repE0EEENS1_30default_config_static_selectorELNS0_4arch9wavefront6targetE1EEEvT1_ ; -- Begin function _ZN7rocprim17ROCPRIM_400000_NS6detail17trampoline_kernelINS0_14default_configENS1_25partition_config_selectorILNS1_17partition_subalgoE8ElNS0_10empty_typeEbEEZZNS1_14partition_implILS5_8ELb0ES3_jPlPS6_PKS6_NS0_5tupleIJS9_S6_EEENSD_IJSA_SA_EEENS0_18inequality_wrapperIZN2at6native12_GLOBAL__N_124unique_dim_cuda_templateIsEESt5tupleIJNSH_6TensorESM_SM_EERKSM_lbbbEUlllE0_EEPmJS6_EEE10hipError_tPvRmT3_T4_T5_T6_T7_T9_mT8_P12ihipStream_tbDpT10_ENKUlT_T0_E_clISt17integral_constantIbLb0EES1B_IbLb1EEEEDaS17_S18_EUlS17_E_NS1_11comp_targetILNS1_3genE0ELNS1_11target_archE4294967295ELNS1_3gpuE0ELNS1_3repE0EEENS1_30default_config_static_selectorELNS0_4arch9wavefront6targetE1EEEvT1_
	.p2align	8
	.type	_ZN7rocprim17ROCPRIM_400000_NS6detail17trampoline_kernelINS0_14default_configENS1_25partition_config_selectorILNS1_17partition_subalgoE8ElNS0_10empty_typeEbEEZZNS1_14partition_implILS5_8ELb0ES3_jPlPS6_PKS6_NS0_5tupleIJS9_S6_EEENSD_IJSA_SA_EEENS0_18inequality_wrapperIZN2at6native12_GLOBAL__N_124unique_dim_cuda_templateIsEESt5tupleIJNSH_6TensorESM_SM_EERKSM_lbbbEUlllE0_EEPmJS6_EEE10hipError_tPvRmT3_T4_T5_T6_T7_T9_mT8_P12ihipStream_tbDpT10_ENKUlT_T0_E_clISt17integral_constantIbLb0EES1B_IbLb1EEEEDaS17_S18_EUlS17_E_NS1_11comp_targetILNS1_3genE0ELNS1_11target_archE4294967295ELNS1_3gpuE0ELNS1_3repE0EEENS1_30default_config_static_selectorELNS0_4arch9wavefront6targetE1EEEvT1_,@function
_ZN7rocprim17ROCPRIM_400000_NS6detail17trampoline_kernelINS0_14default_configENS1_25partition_config_selectorILNS1_17partition_subalgoE8ElNS0_10empty_typeEbEEZZNS1_14partition_implILS5_8ELb0ES3_jPlPS6_PKS6_NS0_5tupleIJS9_S6_EEENSD_IJSA_SA_EEENS0_18inequality_wrapperIZN2at6native12_GLOBAL__N_124unique_dim_cuda_templateIsEESt5tupleIJNSH_6TensorESM_SM_EERKSM_lbbbEUlllE0_EEPmJS6_EEE10hipError_tPvRmT3_T4_T5_T6_T7_T9_mT8_P12ihipStream_tbDpT10_ENKUlT_T0_E_clISt17integral_constantIbLb0EES1B_IbLb1EEEEDaS17_S18_EUlS17_E_NS1_11comp_targetILNS1_3genE0ELNS1_11target_archE4294967295ELNS1_3gpuE0ELNS1_3repE0EEENS1_30default_config_static_selectorELNS0_4arch9wavefront6targetE1EEEvT1_: ; @_ZN7rocprim17ROCPRIM_400000_NS6detail17trampoline_kernelINS0_14default_configENS1_25partition_config_selectorILNS1_17partition_subalgoE8ElNS0_10empty_typeEbEEZZNS1_14partition_implILS5_8ELb0ES3_jPlPS6_PKS6_NS0_5tupleIJS9_S6_EEENSD_IJSA_SA_EEENS0_18inequality_wrapperIZN2at6native12_GLOBAL__N_124unique_dim_cuda_templateIsEESt5tupleIJNSH_6TensorESM_SM_EERKSM_lbbbEUlllE0_EEPmJS6_EEE10hipError_tPvRmT3_T4_T5_T6_T7_T9_mT8_P12ihipStream_tbDpT10_ENKUlT_T0_E_clISt17integral_constantIbLb0EES1B_IbLb1EEEEDaS17_S18_EUlS17_E_NS1_11comp_targetILNS1_3genE0ELNS1_11target_archE4294967295ELNS1_3gpuE0ELNS1_3repE0EEENS1_30default_config_static_selectorELNS0_4arch9wavefront6targetE1EEEvT1_
; %bb.0:
	s_load_dwordx2 s[34:35], s[0:1], 0x28
	s_load_dwordx8 s[20:27], s[0:1], 0x40
	s_load_dwordx4 s[28:31], s[0:1], 0x60
	v_cmp_ne_u32_e64 s[2:3], 0, v0
	v_cmp_eq_u32_e64 s[18:19], 0, v0
	s_and_saveexec_b64 s[4:5], s[18:19]
	s_cbranch_execz .LBB709_4
; %bb.1:
	s_mov_b64 s[8:9], exec
	v_mbcnt_lo_u32_b32 v1, s8, 0
	v_mbcnt_hi_u32_b32 v1, s9, v1
	v_cmp_eq_u32_e32 vcc, 0, v1
                                        ; implicit-def: $vgpr2
	s_and_saveexec_b64 s[6:7], vcc
	s_cbranch_execz .LBB709_3
; %bb.2:
	s_load_dwordx2 s[10:11], s[0:1], 0x78
	s_bcnt1_i32_b64 s8, s[8:9]
	v_mov_b32_e32 v2, 0
	v_mov_b32_e32 v3, s8
	s_waitcnt lgkmcnt(0)
	global_atomic_add v2, v2, v3, s[10:11] sc0
.LBB709_3:
	s_or_b64 exec, exec, s[6:7]
	s_waitcnt vmcnt(0)
	v_readfirstlane_b32 s6, v2
	v_mov_b32_e32 v2, 0
	s_nop 0
	v_add_u32_e32 v1, s6, v1
	ds_write_b32 v2, v1
.LBB709_4:
	s_or_b64 exec, exec, s[4:5]
	v_mov_b32_e32 v3, 0
	s_load_dwordx4 s[4:7], s[0:1], 0x8
	s_load_dword s8, s[0:1], 0x70
	s_waitcnt lgkmcnt(0)
	s_barrier
	ds_read_b32 v1, v3
	s_waitcnt lgkmcnt(0)
	s_barrier
	global_load_dwordx2 v[4:5], v3, s[22:23]
	s_lshl_b64 s[10:11], s[6:7], 3
	s_mul_i32 s9, s8, 0xe00
	s_add_u32 s4, s4, s10
	s_addc_u32 s5, s5, s11
	s_add_i32 s10, s8, -1
	s_add_i32 s8, s9, s6
	s_sub_i32 s50, s24, s8
	s_add_u32 s8, s6, s9
	s_addc_u32 s9, s7, 0
	v_readfirstlane_b32 s33, v1
	v_mov_b64_e32 v[6:7], s[8:9]
	s_cmp_eq_u32 s33, s10
	s_movk_i32 s12, 0xe00
	v_cmp_le_u64_e32 vcc, s[24:25], v[6:7]
	s_cselect_b64 s[24:25], -1, 0
	v_mul_lo_u32 v2, v1, s12
	s_and_b64 s[8:9], vcc, s[24:25]
	v_lshlrev_b64 v[6:7], 3, v[2:3]
	s_xor_b64 s[36:37], s[8:9], -1
	s_mov_b64 s[0:1], -1
	v_lshlrev_b32_e32 v18, 3, v0
	v_lshl_add_u64 v[20:21], s[4:5], 0, v[6:7]
	s_and_b64 vcc, exec, s[36:37]
	s_waitcnt vmcnt(0)
	v_readfirstlane_b32 s22, v4
	v_readfirstlane_b32 s23, v5
	s_cbranch_vccz .LBB709_6
; %bb.5:
	v_lshlrev_b32_e32 v2, 3, v0
	v_lshl_add_u64 v[4:5], v[20:21], 0, v[2:3]
	v_add_co_u32_e32 v8, vcc, 0x1000, v4
	v_readfirstlane_b32 s0, v20
	s_nop 0
	v_addc_co_u32_e32 v9, vcc, 0, v5, vcc
	v_add_co_u32_e32 v10, vcc, 0x2000, v4
	v_readfirstlane_b32 s1, v21
	s_nop 0
	v_addc_co_u32_e32 v11, vcc, 0, v5, vcc
	v_add_co_u32_e32 v12, vcc, 0x3000, v4
	s_nop 1
	v_addc_co_u32_e32 v13, vcc, 0, v5, vcc
	v_add_co_u32_e32 v14, vcc, 0x4000, v4
	global_load_dwordx2 v[6:7], v2, s[0:1]
	s_nop 0
	v_addc_co_u32_e32 v15, vcc, 0, v5, vcc
	global_load_dwordx2 v[16:17], v[8:9], off
	global_load_dwordx2 v[22:23], v[10:11], off
	;; [unrolled: 1-line block ×4, first 2 shown]
	v_add_co_u32_e32 v8, vcc, 0x5000, v4
	s_mov_b64 s[0:1], 0
	s_nop 0
	v_addc_co_u32_e32 v9, vcc, 0, v5, vcc
	v_add_co_u32_e32 v4, vcc, 0x6000, v4
	s_nop 1
	v_addc_co_u32_e32 v5, vcc, 0, v5, vcc
	global_load_dwordx2 v[10:11], v[8:9], off
	global_load_dwordx2 v[12:13], v[4:5], off
	s_waitcnt vmcnt(5)
	ds_write2st64_b64 v2, v[6:7], v[16:17] offset1:8
	s_waitcnt vmcnt(3)
	ds_write2st64_b64 v2, v[22:23], v[24:25] offset0:16 offset1:24
	s_waitcnt vmcnt(1)
	ds_write2st64_b64 v2, v[26:27], v[10:11] offset0:32 offset1:40
	s_waitcnt vmcnt(0)
	ds_write_b64 v2, v[12:13] offset:24576
	s_waitcnt lgkmcnt(0)
	s_barrier
.LBB709_6:
	s_andn2_b64 vcc, exec, s[0:1]
	s_addk_i32 s50, 0xe00
	s_cbranch_vccnz .LBB709_22
; %bb.7:
	v_mov_b32_e32 v2, 0
	v_cmp_gt_u32_e32 vcc, s50, v0
	v_mov_b32_e32 v3, v2
	v_mov_b32_e32 v4, v2
	;; [unrolled: 1-line block ×13, first 2 shown]
	s_and_saveexec_b64 s[0:1], vcc
	s_cbranch_execz .LBB709_9
; %bb.8:
	v_lshlrev_b32_e32 v1, 3, v0
	v_readfirstlane_b32 s4, v20
	v_readfirstlane_b32 s5, v21
	v_mov_b32_e32 v6, v2
	v_mov_b32_e32 v7, v2
	;; [unrolled: 1-line block ×5, first 2 shown]
	global_load_dwordx2 v[4:5], v1, s[4:5]
	v_mov_b32_e32 v11, v2
	v_mov_b32_e32 v12, v2
	;; [unrolled: 1-line block ×7, first 2 shown]
	s_waitcnt vmcnt(0)
	v_mov_b64_e32 v[2:3], v[4:5]
	v_mov_b64_e32 v[4:5], v[6:7]
	;; [unrolled: 1-line block ×8, first 2 shown]
.LBB709_9:
	s_or_b64 exec, exec, s[0:1]
	v_or_b32_e32 v1, 0x200, v0
	v_cmp_gt_u32_e32 vcc, s50, v1
	s_and_saveexec_b64 s[0:1], vcc
	s_cbranch_execz .LBB709_11
; %bb.10:
	v_lshlrev_b32_e32 v1, 3, v1
	v_readfirstlane_b32 s4, v20
	v_readfirstlane_b32 s5, v21
	s_nop 4
	global_load_dwordx2 v[4:5], v1, s[4:5]
.LBB709_11:
	s_or_b64 exec, exec, s[0:1]
	v_or_b32_e32 v1, 0x400, v0
	v_cmp_gt_u32_e32 vcc, s50, v1
	s_and_saveexec_b64 s[0:1], vcc
	s_cbranch_execz .LBB709_13
; %bb.12:
	v_lshlrev_b32_e32 v1, 3, v1
	v_readfirstlane_b32 s4, v20
	v_readfirstlane_b32 s5, v21
	s_nop 4
	global_load_dwordx2 v[6:7], v1, s[4:5]
.LBB709_13:
	;; [unrolled: 12-line block ×6, first 2 shown]
	s_or_b64 exec, exec, s[0:1]
	v_lshlrev_b32_e32 v1, 3, v0
	s_waitcnt vmcnt(0)
	ds_write2st64_b64 v1, v[2:3], v[4:5] offset1:8
	ds_write2st64_b64 v1, v[6:7], v[8:9] offset0:16 offset1:24
	ds_write2st64_b64 v1, v[10:11], v[12:13] offset0:32 offset1:40
	ds_write_b64 v1, v[14:15] offset:24576
	s_waitcnt lgkmcnt(0)
	s_barrier
.LBB709_22:
	v_mul_u32_u24_e32 v1, 7, v0
	v_lshlrev_b32_e32 v26, 3, v1
	ds_read2_b64 v[10:13], v26 offset1:1
	ds_read2_b64 v[6:9], v26 offset0:2 offset1:3
	ds_read2_b64 v[2:5], v26 offset0:4 offset1:5
	ds_read_b64 v[14:15], v26 offset:48
	s_cmp_lg_u32 s33, 0
	s_cselect_b64 s[16:17], -1, 0
	s_cmp_lg_u64 s[6:7], 0
	s_cselect_b64 s[0:1], -1, 0
	s_or_b64 s[0:1], s[0:1], s[16:17]
	s_mov_b64 s[10:11], 0
	s_and_b64 vcc, exec, s[0:1]
	v_cmp_gt_i64_e64 s[4:5], s[26:27], 0
	s_waitcnt lgkmcnt(0)
	s_barrier
	s_cbranch_vccz .LBB709_38
; %bb.23:
	global_load_dwordx2 v[20:21], v[20:21], off offset:-8
	v_cndmask_b32_e64 v16, 0, 1, s[4:5]
	v_lshlrev_b32_e32 v27, 3, v0
	s_mov_b64 s[0:1], 0
	s_and_b64 vcc, exec, s[36:37]
	v_cmp_ne_u32_e64 s[4:5], 1, v16
	ds_write_b64 v27, v[14:15]
	s_cbranch_vccz .LBB709_40
; %bb.24:
	s_and_b64 vcc, exec, s[4:5]
	s_cbranch_vccnz .LBB709_41
; %bb.25:
	v_mul_lo_u32 v19, v5, s26
	v_mul_lo_u32 v22, v4, s27
	v_mad_u64_u32 v[16:17], s[0:1], v4, s26, 0
	v_add3_u32 v17, v17, v22, v19
	v_mul_lo_u32 v19, v15, s26
	v_mul_lo_u32 v24, v14, s27
	v_mad_u64_u32 v[22:23], s[0:1], v14, s26, 0
	s_add_u32 s10, s26, -1
	v_lshl_add_u64 v[16:17], v[16:17], 1, s[28:29]
	v_add3_u32 v23, v23, v24, v19
	s_addc_u32 s11, s27, -1
	v_lshl_add_u64 v[22:23], v[22:23], 1, s[28:29]
	s_mov_b64 s[12:13], 0
	s_mov_b64 s[14:15], s[10:11]
	v_mov_b64_e32 v[24:25], v[16:17]
                                        ; implicit-def: $sgpr6_sgpr7
.LBB709_26:                             ; =>This Inner Loop Header: Depth=1
	global_load_ushort v19, v[24:25], off
	global_load_ushort v28, v[22:23], off
	s_add_u32 s0, s14, -1
	s_addc_u32 s1, s15, -1
	s_cmp_eq_u64 s[14:15], 0
	s_mov_b64 s[14:15], s[0:1]
	s_cselect_b64 s[38:39], -1, 0
	v_lshl_add_u64 v[24:25], v[24:25], 0, 2
	v_lshl_add_u64 v[22:23], v[22:23], 0, 2
	s_waitcnt vmcnt(0)
	v_cmp_ne_u16_e64 s[0:1], v19, v28
	s_or_b64 s[0:1], s[0:1], s[38:39]
	s_and_b64 s[0:1], exec, s[0:1]
	v_cmp_eq_u16_e32 vcc, v19, v28
	s_or_b64 s[12:13], s[0:1], s[12:13]
	s_andn2_b64 s[0:1], s[6:7], exec
	s_and_b64 s[6:7], vcc, exec
	s_or_b64 s[6:7], s[0:1], s[6:7]
	s_andn2_b64 exec, exec, s[12:13]
	s_cbranch_execnz .LBB709_26
; %bb.27:
	s_or_b64 exec, exec, s[12:13]
	v_mul_lo_u32 v19, v3, s26
	v_mul_lo_u32 v24, v2, s27
	v_mad_u64_u32 v[22:23], s[0:1], v2, s26, 0
	v_add3_u32 v23, v23, v24, v19
	v_lshl_add_u64 v[22:23], v[22:23], 1, s[28:29]
	s_mov_b64 s[14:15], 0
	s_mov_b64 s[38:39], s[10:11]
	v_mov_b64_e32 v[24:25], v[22:23]
                                        ; implicit-def: $sgpr12_sgpr13
.LBB709_28:                             ; =>This Inner Loop Header: Depth=1
	global_load_ushort v19, v[24:25], off
	global_load_ushort v28, v[16:17], off
	s_add_u32 s0, s38, -1
	s_addc_u32 s1, s39, -1
	s_cmp_eq_u64 s[38:39], 0
	s_mov_b64 s[38:39], s[0:1]
	s_cselect_b64 s[40:41], -1, 0
	v_lshl_add_u64 v[24:25], v[24:25], 0, 2
	v_lshl_add_u64 v[16:17], v[16:17], 0, 2
	s_waitcnt vmcnt(0)
	v_cmp_ne_u16_e64 s[0:1], v19, v28
	s_or_b64 s[0:1], s[0:1], s[40:41]
	s_and_b64 s[0:1], exec, s[0:1]
	v_cmp_eq_u16_e32 vcc, v19, v28
	s_or_b64 s[14:15], s[0:1], s[14:15]
	s_andn2_b64 s[0:1], s[12:13], exec
	s_and_b64 s[12:13], vcc, exec
	s_or_b64 s[12:13], s[0:1], s[12:13]
	s_andn2_b64 exec, exec, s[14:15]
	s_cbranch_execnz .LBB709_28
; %bb.29:
	s_or_b64 exec, exec, s[14:15]
	v_mul_lo_u32 v19, v9, s26
	v_mul_lo_u32 v24, v8, s27
	v_mad_u64_u32 v[16:17], s[0:1], v8, s26, 0
	v_add3_u32 v17, v17, v24, v19
	v_lshl_add_u64 v[16:17], v[16:17], 1, s[28:29]
	s_mov_b64 s[38:39], 0
	s_mov_b64 s[40:41], s[10:11]
	v_mov_b64_e32 v[24:25], v[16:17]
                                        ; implicit-def: $sgpr14_sgpr15
.LBB709_30:                             ; =>This Inner Loop Header: Depth=1
	global_load_ushort v19, v[24:25], off
	global_load_ushort v28, v[22:23], off
	s_add_u32 s0, s40, -1
	s_addc_u32 s1, s41, -1
	s_cmp_eq_u64 s[40:41], 0
	s_mov_b64 s[40:41], s[0:1]
	s_cselect_b64 s[42:43], -1, 0
	v_lshl_add_u64 v[24:25], v[24:25], 0, 2
	v_lshl_add_u64 v[22:23], v[22:23], 0, 2
	s_waitcnt vmcnt(0)
	v_cmp_ne_u16_e64 s[0:1], v19, v28
	s_or_b64 s[0:1], s[0:1], s[42:43]
	s_and_b64 s[0:1], exec, s[0:1]
	v_cmp_eq_u16_e32 vcc, v19, v28
	s_or_b64 s[38:39], s[0:1], s[38:39]
	s_andn2_b64 s[0:1], s[14:15], exec
	s_and_b64 s[14:15], vcc, exec
	s_or_b64 s[14:15], s[0:1], s[14:15]
	s_andn2_b64 exec, exec, s[38:39]
	s_cbranch_execnz .LBB709_30
; %bb.31:
	s_or_b64 exec, exec, s[38:39]
	v_mul_lo_u32 v19, v7, s26
	v_mul_lo_u32 v24, v6, s27
	v_mad_u64_u32 v[22:23], s[0:1], v6, s26, 0
	v_add3_u32 v23, v23, v24, v19
	v_lshl_add_u64 v[22:23], v[22:23], 1, s[28:29]
	s_mov_b64 s[40:41], 0
	s_mov_b64 s[42:43], s[10:11]
	v_mov_b64_e32 v[24:25], v[22:23]
                                        ; implicit-def: $sgpr38_sgpr39
.LBB709_32:                             ; =>This Inner Loop Header: Depth=1
	global_load_ushort v19, v[24:25], off
	global_load_ushort v28, v[16:17], off
	s_add_u32 s0, s42, -1
	s_addc_u32 s1, s43, -1
	s_cmp_eq_u64 s[42:43], 0
	s_mov_b64 s[42:43], s[0:1]
	s_cselect_b64 s[44:45], -1, 0
	v_lshl_add_u64 v[24:25], v[24:25], 0, 2
	v_lshl_add_u64 v[16:17], v[16:17], 0, 2
	s_waitcnt vmcnt(0)
	v_cmp_ne_u16_e64 s[0:1], v19, v28
	s_or_b64 s[0:1], s[0:1], s[44:45]
	s_and_b64 s[0:1], exec, s[0:1]
	v_cmp_eq_u16_e32 vcc, v19, v28
	s_or_b64 s[40:41], s[0:1], s[40:41]
	s_andn2_b64 s[0:1], s[38:39], exec
	s_and_b64 s[38:39], vcc, exec
	s_or_b64 s[38:39], s[0:1], s[38:39]
	s_andn2_b64 exec, exec, s[40:41]
	s_cbranch_execnz .LBB709_32
; %bb.33:
	s_or_b64 exec, exec, s[40:41]
	v_mul_lo_u32 v19, v13, s26
	v_mul_lo_u32 v24, v12, s27
	v_mad_u64_u32 v[16:17], s[0:1], v12, s26, 0
	v_add3_u32 v17, v17, v24, v19
	v_lshl_add_u64 v[16:17], v[16:17], 1, s[28:29]
	s_mov_b64 s[42:43], 0
	s_mov_b64 s[44:45], s[10:11]
	v_mov_b64_e32 v[24:25], v[16:17]
                                        ; implicit-def: $sgpr40_sgpr41
.LBB709_34:                             ; =>This Inner Loop Header: Depth=1
	global_load_ushort v19, v[24:25], off
	global_load_ushort v28, v[22:23], off
	s_add_u32 s0, s44, -1
	s_addc_u32 s1, s45, -1
	s_cmp_eq_u64 s[44:45], 0
	s_mov_b64 s[44:45], s[0:1]
	s_cselect_b64 s[46:47], -1, 0
	v_lshl_add_u64 v[24:25], v[24:25], 0, 2
	v_lshl_add_u64 v[22:23], v[22:23], 0, 2
	s_waitcnt vmcnt(0)
	v_cmp_ne_u16_e64 s[0:1], v19, v28
	s_or_b64 s[0:1], s[0:1], s[46:47]
	s_and_b64 s[0:1], exec, s[0:1]
	v_cmp_eq_u16_e32 vcc, v19, v28
	s_or_b64 s[42:43], s[0:1], s[42:43]
	s_andn2_b64 s[0:1], s[40:41], exec
	s_and_b64 s[40:41], vcc, exec
	s_or_b64 s[40:41], s[0:1], s[40:41]
	s_andn2_b64 exec, exec, s[42:43]
	s_cbranch_execnz .LBB709_34
; %bb.35:
	s_or_b64 exec, exec, s[42:43]
	v_mul_lo_u32 v19, v11, s26
	v_mul_lo_u32 v24, v10, s27
	v_mad_u64_u32 v[22:23], s[0:1], v10, s26, 0
	v_add3_u32 v23, v23, v24, v19
	v_lshl_add_u64 v[22:23], v[22:23], 1, s[28:29]
	s_mov_b64 s[44:45], 0
                                        ; implicit-def: $sgpr42_sgpr43
.LBB709_36:                             ; =>This Inner Loop Header: Depth=1
	global_load_ushort v19, v[22:23], off
	global_load_ushort v24, v[16:17], off
	s_add_u32 s0, s10, -1
	s_addc_u32 s1, s11, -1
	s_cmp_eq_u64 s[10:11], 0
	s_mov_b64 s[10:11], s[0:1]
	s_cselect_b64 s[46:47], -1, 0
	v_lshl_add_u64 v[22:23], v[22:23], 0, 2
	v_lshl_add_u64 v[16:17], v[16:17], 0, 2
	s_waitcnt vmcnt(0)
	v_cmp_ne_u16_e64 s[0:1], v19, v24
	s_or_b64 s[0:1], s[0:1], s[46:47]
	s_and_b64 s[0:1], exec, s[0:1]
	v_cmp_eq_u16_e32 vcc, v19, v24
	s_or_b64 s[44:45], s[0:1], s[44:45]
	s_andn2_b64 s[0:1], s[42:43], exec
	s_and_b64 s[42:43], vcc, exec
	s_or_b64 s[42:43], s[0:1], s[42:43]
	s_andn2_b64 exec, exec, s[44:45]
	s_cbranch_execnz .LBB709_36
; %bb.37:
	s_or_b64 exec, exec, s[44:45]
	s_xor_b64 s[0:1], s[12:13], -1
	v_cndmask_b32_e64 v40, 0, 1, s[0:1]
	s_xor_b64 s[0:1], s[38:39], -1
	v_cndmask_b32_e64 v16, 0, 1, s[0:1]
	v_lshlrev_b16_e32 v16, 8, v16
	s_xor_b64 s[0:1], s[6:7], -1
	v_lshrrev_b32_e32 v16, 8, v16
	v_mov_b32_e32 v22, 1
	s_xor_b64 s[6:7], s[40:41], -1
	v_cndmask_b32_e64 v19, 0, 1, s[0:1]
	s_xor_b64 s[0:1], s[14:15], -1
	v_and_b32_sdwa v16, v16, v22 dst_sel:BYTE_1 dst_unused:UNUSED_PAD src0_sel:DWORD src1_sel:DWORD
	v_cndmask_b32_e64 v22, 0, 1, s[6:7]
	v_cndmask_b32_e64 v17, 0, 1, s[0:1]
	s_xor_b64 s[0:1], s[42:43], -1
	v_or_b32_sdwa v24, v22, v16 dst_sel:WORD_1 dst_unused:UNUSED_PAD src0_sel:DWORD src1_sel:DWORD
	s_branch .LBB709_42
.LBB709_38:
                                        ; implicit-def: $sgpr0_sgpr1
                                        ; implicit-def: $vgpr19
                                        ; implicit-def: $vgpr40
                                        ; implicit-def: $vgpr17
                                        ; implicit-def: $vgpr22
	s_branch .LBB709_95
.LBB709_39:
                                        ; implicit-def: $vgpr42
                                        ; implicit-def: $vgpr41
                                        ; implicit-def: $vgpr20
	s_branch .LBB709_164
.LBB709_40:
                                        ; implicit-def: $sgpr0_sgpr1
                                        ; implicit-def: $vgpr19
                                        ; implicit-def: $vgpr40
                                        ; implicit-def: $vgpr17
                                        ; implicit-def: $vgpr22
	s_cbranch_execnz .LBB709_49
	s_branch .LBB709_94
.LBB709_41:
	v_mov_b32_e32 v24, 0
	v_mov_b32_e32 v19, 0
	;; [unrolled: 1-line block ×4, first 2 shown]
.LBB709_42:
	s_waitcnt vmcnt(0)
	v_mov_b64_e32 v[22:23], v[20:21]
	s_waitcnt lgkmcnt(0)
	s_barrier
	s_and_saveexec_b64 s[6:7], s[2:3]
; %bb.43:
	v_add_u32_e32 v16, -8, v27
	ds_read_b64 v[22:23], v16
; %bb.44:
	s_or_b64 exec, exec, s[6:7]
	v_cndmask_b32_e64 v25, 0, 1, s[0:1]
	v_lshrrev_b32_e32 v16, 16, v24
	s_mov_b32 s0, 0xc0c0304
	v_perm_b32 v16, v16, v24, s0
	v_lshlrev_b16_e32 v25, 8, v25
	s_movk_i32 s0, 0xff
	v_bitop3_b16 v24, v24, v25, s0 bitop3:0xec
	v_and_b32_e32 v28, 0xffff, v24
	s_mov_b64 s[6:7], 0
	s_and_b64 vcc, exec, s[4:5]
	s_mov_b64 s[0:1], 0
	s_cbranch_vccnz .LBB709_48
; %bb.45:
	s_waitcnt lgkmcnt(0)
	v_mul_lo_u32 v24, v23, s26
	v_mul_lo_u32 v25, v22, s27
	v_mad_u64_u32 v[22:23], s[0:1], v22, s26, 0
	v_add3_u32 v23, v23, v25, v24
	v_mul_lo_u32 v29, v11, s26
	v_mul_lo_u32 v30, v10, s27
	v_mad_u64_u32 v[24:25], s[0:1], v10, s26, 0
	v_add3_u32 v25, v25, v30, v29
	s_add_u32 s14, s26, -1
	v_lshl_add_u64 v[22:23], v[22:23], 1, s[28:29]
	v_lshl_add_u64 v[24:25], v[24:25], 1, s[28:29]
	s_addc_u32 s15, s27, -1
	s_mov_b64 s[10:11], 0
                                        ; implicit-def: $sgpr12_sgpr13
.LBB709_46:                             ; =>This Inner Loop Header: Depth=1
	global_load_ushort v29, v[22:23], off
	global_load_ushort v30, v[24:25], off
	s_add_u32 s0, s14, -1
	s_addc_u32 s1, s15, -1
	s_cmp_eq_u64 s[14:15], 0
	s_mov_b64 s[14:15], s[0:1]
	s_cselect_b64 s[38:39], -1, 0
	v_lshl_add_u64 v[22:23], v[22:23], 0, 2
	v_lshl_add_u64 v[24:25], v[24:25], 0, 2
	s_waitcnt vmcnt(0)
	v_cmp_ne_u16_e64 s[0:1], v29, v30
	s_or_b64 s[0:1], s[0:1], s[38:39]
	s_and_b64 s[0:1], exec, s[0:1]
	v_cmp_eq_u16_e32 vcc, v29, v30
	s_or_b64 s[10:11], s[0:1], s[10:11]
	s_andn2_b64 s[0:1], s[12:13], exec
	s_and_b64 s[12:13], vcc, exec
	s_or_b64 s[12:13], s[0:1], s[12:13]
	s_andn2_b64 exec, exec, s[10:11]
	s_cbranch_execnz .LBB709_46
; %bb.47:
	s_or_b64 exec, exec, s[10:11]
	s_xor_b64 s[0:1], s[12:13], -1
.LBB709_48:
	s_waitcnt lgkmcnt(0)
	v_lshl_or_b32 v22, v16, 16, v28
	s_and_b64 vcc, exec, s[6:7]
	s_cbranch_vccz .LBB709_94
.LBB709_49:
	v_add_u32_e32 v16, 6, v1
	v_cmp_gt_u32_e32 vcc, s50, v16
	s_mov_b64 s[10:11], 0
	s_mov_b64 s[6:7], 0
	s_and_saveexec_b64 s[12:13], vcc
	s_cbranch_execz .LBB709_55
; %bb.50:
	s_and_b64 vcc, exec, s[4:5]
	s_mov_b64 s[0:1], 0
	s_cbranch_vccnz .LBB709_54
; %bb.51:
	v_mul_lo_u32 v19, v5, s26
	v_mul_lo_u32 v22, v4, s27
	v_mad_u64_u32 v[16:17], s[0:1], v4, s26, 0
	v_add3_u32 v17, v17, v22, v19
	v_mul_lo_u32 v19, v15, s26
	v_mul_lo_u32 v24, v14, s27
	v_mad_u64_u32 v[22:23], s[0:1], v14, s26, 0
	v_add3_u32 v23, v23, v24, v19
	s_add_u32 s38, s26, -1
	v_lshl_add_u64 v[16:17], v[16:17], 1, s[28:29]
	v_lshl_add_u64 v[22:23], v[22:23], 1, s[28:29]
	s_addc_u32 s39, s27, -1
                                        ; implicit-def: $sgpr14_sgpr15
.LBB709_52:                             ; =>This Inner Loop Header: Depth=1
	global_load_ushort v19, v[16:17], off
	global_load_ushort v24, v[22:23], off
	s_add_u32 s0, s38, -1
	s_addc_u32 s1, s39, -1
	s_cmp_eq_u64 s[38:39], 0
	s_mov_b64 s[38:39], s[0:1]
	s_cselect_b64 s[40:41], -1, 0
	v_lshl_add_u64 v[16:17], v[16:17], 0, 2
	v_lshl_add_u64 v[22:23], v[22:23], 0, 2
	s_waitcnt vmcnt(0)
	v_cmp_ne_u16_e64 s[0:1], v19, v24
	s_or_b64 s[0:1], s[0:1], s[40:41]
	s_and_b64 s[0:1], exec, s[0:1]
	v_cmp_eq_u16_e32 vcc, v19, v24
	s_or_b64 s[6:7], s[0:1], s[6:7]
	s_andn2_b64 s[0:1], s[14:15], exec
	s_and_b64 s[14:15], vcc, exec
	s_or_b64 s[14:15], s[0:1], s[14:15]
	s_andn2_b64 exec, exec, s[6:7]
	s_cbranch_execnz .LBB709_52
; %bb.53:
	s_or_b64 exec, exec, s[6:7]
	s_xor_b64 s[0:1], s[14:15], -1
.LBB709_54:
	s_and_b64 s[6:7], s[0:1], exec
.LBB709_55:
	s_or_b64 exec, exec, s[12:13]
	v_add_u32_e32 v16, 5, v1
	v_cmp_gt_u32_e32 vcc, s50, v16
	s_and_saveexec_b64 s[12:13], vcc
	s_cbranch_execz .LBB709_61
; %bb.56:
	s_and_b64 vcc, exec, s[4:5]
	s_mov_b64 s[0:1], 0
	s_cbranch_vccnz .LBB709_60
; %bb.57:
	v_mul_lo_u32 v19, v3, s26
	v_mul_lo_u32 v22, v2, s27
	v_mad_u64_u32 v[16:17], s[0:1], v2, s26, 0
	v_add3_u32 v17, v17, v22, v19
	v_mul_lo_u32 v19, v5, s26
	v_mul_lo_u32 v24, v4, s27
	v_mad_u64_u32 v[22:23], s[0:1], v4, s26, 0
	v_add3_u32 v23, v23, v24, v19
	s_add_u32 s38, s26, -1
	v_lshl_add_u64 v[16:17], v[16:17], 1, s[28:29]
	v_lshl_add_u64 v[22:23], v[22:23], 1, s[28:29]
	s_addc_u32 s39, s27, -1
	s_mov_b64 s[10:11], 0
                                        ; implicit-def: $sgpr14_sgpr15
.LBB709_58:                             ; =>This Inner Loop Header: Depth=1
	global_load_ushort v19, v[16:17], off
	global_load_ushort v24, v[22:23], off
	s_add_u32 s0, s38, -1
	s_addc_u32 s1, s39, -1
	s_cmp_eq_u64 s[38:39], 0
	s_mov_b64 s[38:39], s[0:1]
	s_cselect_b64 s[40:41], -1, 0
	v_lshl_add_u64 v[16:17], v[16:17], 0, 2
	v_lshl_add_u64 v[22:23], v[22:23], 0, 2
	s_waitcnt vmcnt(0)
	v_cmp_ne_u16_e64 s[0:1], v19, v24
	s_or_b64 s[0:1], s[0:1], s[40:41]
	s_and_b64 s[0:1], exec, s[0:1]
	v_cmp_eq_u16_e32 vcc, v19, v24
	s_or_b64 s[10:11], s[0:1], s[10:11]
	s_andn2_b64 s[0:1], s[14:15], exec
	s_and_b64 s[14:15], vcc, exec
	s_or_b64 s[14:15], s[0:1], s[14:15]
	s_andn2_b64 exec, exec, s[10:11]
	s_cbranch_execnz .LBB709_58
; %bb.59:
	s_or_b64 exec, exec, s[10:11]
	s_xor_b64 s[0:1], s[14:15], -1
.LBB709_60:
	s_and_b64 s[10:11], s[0:1], exec
.LBB709_61:
	s_or_b64 exec, exec, s[12:13]
	v_add_u32_e32 v16, 4, v1
	v_cmp_gt_u32_e32 vcc, s50, v16
	s_mov_b64 s[14:15], 0
	s_mov_b64 s[12:13], 0
	s_and_saveexec_b64 s[38:39], vcc
	s_cbranch_execz .LBB709_67
; %bb.62:
	s_and_b64 vcc, exec, s[4:5]
	s_mov_b64 s[0:1], 0
	s_cbranch_vccnz .LBB709_66
; %bb.63:
	v_mul_lo_u32 v19, v9, s26
	v_mul_lo_u32 v22, v8, s27
	v_mad_u64_u32 v[16:17], s[0:1], v8, s26, 0
	v_add3_u32 v17, v17, v22, v19
	v_mul_lo_u32 v19, v3, s26
	v_mul_lo_u32 v24, v2, s27
	v_mad_u64_u32 v[22:23], s[0:1], v2, s26, 0
	v_add3_u32 v23, v23, v24, v19
	s_add_u32 s42, s26, -1
	v_lshl_add_u64 v[16:17], v[16:17], 1, s[28:29]
	v_lshl_add_u64 v[22:23], v[22:23], 1, s[28:29]
	s_addc_u32 s43, s27, -1
                                        ; implicit-def: $sgpr40_sgpr41
.LBB709_64:                             ; =>This Inner Loop Header: Depth=1
	global_load_ushort v19, v[16:17], off
	global_load_ushort v24, v[22:23], off
	s_add_u32 s0, s42, -1
	s_addc_u32 s1, s43, -1
	s_cmp_eq_u64 s[42:43], 0
	s_mov_b64 s[42:43], s[0:1]
	s_cselect_b64 s[44:45], -1, 0
	v_lshl_add_u64 v[16:17], v[16:17], 0, 2
	v_lshl_add_u64 v[22:23], v[22:23], 0, 2
	s_waitcnt vmcnt(0)
	v_cmp_ne_u16_e64 s[0:1], v19, v24
	s_or_b64 s[0:1], s[0:1], s[44:45]
	s_and_b64 s[0:1], exec, s[0:1]
	v_cmp_eq_u16_e32 vcc, v19, v24
	s_or_b64 s[12:13], s[0:1], s[12:13]
	s_andn2_b64 s[0:1], s[40:41], exec
	s_and_b64 s[40:41], vcc, exec
	s_or_b64 s[40:41], s[0:1], s[40:41]
	s_andn2_b64 exec, exec, s[12:13]
	s_cbranch_execnz .LBB709_64
; %bb.65:
	s_or_b64 exec, exec, s[12:13]
	s_xor_b64 s[0:1], s[40:41], -1
.LBB709_66:
	s_and_b64 s[12:13], s[0:1], exec
.LBB709_67:
	s_or_b64 exec, exec, s[38:39]
	v_add_u32_e32 v16, 3, v1
	v_cmp_gt_u32_e32 vcc, s50, v16
	s_and_saveexec_b64 s[38:39], vcc
	s_cbranch_execz .LBB709_73
; %bb.68:
	s_and_b64 vcc, exec, s[4:5]
	s_mov_b64 s[0:1], 0
	s_cbranch_vccnz .LBB709_72
; %bb.69:
	v_mul_lo_u32 v19, v7, s26
	v_mul_lo_u32 v22, v6, s27
	v_mad_u64_u32 v[16:17], s[0:1], v6, s26, 0
	v_add3_u32 v17, v17, v22, v19
	v_mul_lo_u32 v19, v9, s26
	v_mul_lo_u32 v24, v8, s27
	v_mad_u64_u32 v[22:23], s[0:1], v8, s26, 0
	v_add3_u32 v23, v23, v24, v19
	s_add_u32 s42, s26, -1
	v_lshl_add_u64 v[16:17], v[16:17], 1, s[28:29]
	v_lshl_add_u64 v[22:23], v[22:23], 1, s[28:29]
	s_addc_u32 s43, s27, -1
	s_mov_b64 s[14:15], 0
                                        ; implicit-def: $sgpr40_sgpr41
.LBB709_70:                             ; =>This Inner Loop Header: Depth=1
	global_load_ushort v19, v[16:17], off
	global_load_ushort v24, v[22:23], off
	s_add_u32 s0, s42, -1
	s_addc_u32 s1, s43, -1
	s_cmp_eq_u64 s[42:43], 0
	s_mov_b64 s[42:43], s[0:1]
	s_cselect_b64 s[44:45], -1, 0
	v_lshl_add_u64 v[16:17], v[16:17], 0, 2
	v_lshl_add_u64 v[22:23], v[22:23], 0, 2
	s_waitcnt vmcnt(0)
	v_cmp_ne_u16_e64 s[0:1], v19, v24
	s_or_b64 s[0:1], s[0:1], s[44:45]
	s_and_b64 s[0:1], exec, s[0:1]
	v_cmp_eq_u16_e32 vcc, v19, v24
	s_or_b64 s[14:15], s[0:1], s[14:15]
	s_andn2_b64 s[0:1], s[40:41], exec
	s_and_b64 s[40:41], vcc, exec
	s_or_b64 s[40:41], s[0:1], s[40:41]
	s_andn2_b64 exec, exec, s[14:15]
	s_cbranch_execnz .LBB709_70
; %bb.71:
	s_or_b64 exec, exec, s[14:15]
	s_xor_b64 s[0:1], s[40:41], -1
.LBB709_72:
	s_and_b64 s[14:15], s[0:1], exec
.LBB709_73:
	s_or_b64 exec, exec, s[38:39]
	v_add_u32_e32 v16, 2, v1
	v_cmp_gt_u32_e32 vcc, s50, v16
	s_mov_b64 s[38:39], 0
	s_mov_b64 s[40:41], 0
	s_and_saveexec_b64 s[42:43], vcc
	s_cbranch_execz .LBB709_79
; %bb.74:
	s_and_b64 vcc, exec, s[4:5]
	s_mov_b64 s[0:1], 0
	s_cbranch_vccnz .LBB709_78
; %bb.75:
	v_mul_lo_u32 v19, v13, s26
	v_mul_lo_u32 v22, v12, s27
	v_mad_u64_u32 v[16:17], s[0:1], v12, s26, 0
	v_add3_u32 v17, v17, v22, v19
	v_mul_lo_u32 v19, v7, s26
	v_mul_lo_u32 v24, v6, s27
	v_mad_u64_u32 v[22:23], s[0:1], v6, s26, 0
	v_add3_u32 v23, v23, v24, v19
	s_add_u32 s46, s26, -1
	v_lshl_add_u64 v[16:17], v[16:17], 1, s[28:29]
	v_lshl_add_u64 v[22:23], v[22:23], 1, s[28:29]
	s_addc_u32 s47, s27, -1
                                        ; implicit-def: $sgpr44_sgpr45
.LBB709_76:                             ; =>This Inner Loop Header: Depth=1
	global_load_ushort v19, v[16:17], off
	global_load_ushort v24, v[22:23], off
	s_add_u32 s0, s46, -1
	s_addc_u32 s1, s47, -1
	s_cmp_eq_u64 s[46:47], 0
	s_mov_b64 s[46:47], s[0:1]
	s_cselect_b64 s[48:49], -1, 0
	v_lshl_add_u64 v[16:17], v[16:17], 0, 2
	v_lshl_add_u64 v[22:23], v[22:23], 0, 2
	s_waitcnt vmcnt(0)
	v_cmp_ne_u16_e64 s[0:1], v19, v24
	s_or_b64 s[0:1], s[0:1], s[48:49]
	s_and_b64 s[0:1], exec, s[0:1]
	v_cmp_eq_u16_e32 vcc, v19, v24
	s_or_b64 s[40:41], s[0:1], s[40:41]
	s_andn2_b64 s[0:1], s[44:45], exec
	s_and_b64 s[44:45], vcc, exec
	s_or_b64 s[44:45], s[0:1], s[44:45]
	s_andn2_b64 exec, exec, s[40:41]
	s_cbranch_execnz .LBB709_76
; %bb.77:
	s_or_b64 exec, exec, s[40:41]
	s_xor_b64 s[0:1], s[44:45], -1
.LBB709_78:
	s_and_b64 s[40:41], s[0:1], exec
.LBB709_79:
	s_or_b64 exec, exec, s[42:43]
	v_add_u32_e32 v16, 1, v1
	v_cmp_gt_u32_e32 vcc, s50, v16
	s_and_saveexec_b64 s[42:43], vcc
	s_cbranch_execz .LBB709_85
; %bb.80:
	s_and_b64 vcc, exec, s[4:5]
	s_mov_b64 s[0:1], 0
	s_cbranch_vccnz .LBB709_84
; %bb.81:
	v_mul_lo_u32 v19, v11, s26
	v_mul_lo_u32 v22, v10, s27
	v_mad_u64_u32 v[16:17], s[0:1], v10, s26, 0
	v_add3_u32 v17, v17, v22, v19
	v_mul_lo_u32 v19, v13, s26
	v_mul_lo_u32 v24, v12, s27
	v_mad_u64_u32 v[22:23], s[0:1], v12, s26, 0
	v_add3_u32 v23, v23, v24, v19
	s_add_u32 s46, s26, -1
	v_lshl_add_u64 v[16:17], v[16:17], 1, s[28:29]
	v_lshl_add_u64 v[22:23], v[22:23], 1, s[28:29]
	s_addc_u32 s47, s27, -1
	s_mov_b64 s[38:39], 0
                                        ; implicit-def: $sgpr44_sgpr45
.LBB709_82:                             ; =>This Inner Loop Header: Depth=1
	global_load_ushort v19, v[16:17], off
	global_load_ushort v24, v[22:23], off
	s_add_u32 s0, s46, -1
	s_addc_u32 s1, s47, -1
	s_cmp_eq_u64 s[46:47], 0
	s_mov_b64 s[46:47], s[0:1]
	s_cselect_b64 s[48:49], -1, 0
	v_lshl_add_u64 v[16:17], v[16:17], 0, 2
	v_lshl_add_u64 v[22:23], v[22:23], 0, 2
	s_waitcnt vmcnt(0)
	v_cmp_ne_u16_e64 s[0:1], v19, v24
	s_or_b64 s[0:1], s[0:1], s[48:49]
	s_and_b64 s[0:1], exec, s[0:1]
	v_cmp_eq_u16_e32 vcc, v19, v24
	s_or_b64 s[38:39], s[0:1], s[38:39]
	s_andn2_b64 s[0:1], s[44:45], exec
	s_and_b64 s[44:45], vcc, exec
	s_or_b64 s[44:45], s[0:1], s[44:45]
	s_andn2_b64 exec, exec, s[38:39]
	s_cbranch_execnz .LBB709_82
; %bb.83:
	s_or_b64 exec, exec, s[38:39]
	s_xor_b64 s[0:1], s[44:45], -1
.LBB709_84:
	s_and_b64 s[38:39], s[0:1], exec
.LBB709_85:
	s_or_b64 exec, exec, s[42:43]
	s_waitcnt lgkmcnt(0)
	s_barrier
	s_and_saveexec_b64 s[0:1], s[2:3]
	s_cbranch_execz .LBB709_87
; %bb.86:
	v_add_u32_e32 v16, -8, v27
	s_waitcnt vmcnt(0)
	ds_read_b64 v[20:21], v16
.LBB709_87:
	s_or_b64 exec, exec, s[0:1]
	v_cndmask_b32_e64 v17, 0, 1, s[14:15]
	v_cndmask_b32_e64 v16, 0, 1, s[40:41]
	;; [unrolled: 1-line block ×3, first 2 shown]
	v_lshlrev_b16_e32 v17, 8, v17
	v_cmp_gt_u32_e32 vcc, s50, v1
	v_lshlrev_b16_e32 v22, 8, v19
	v_or_b32_sdwa v23, v16, v17 dst_sel:WORD_1 dst_unused:UNUSED_PAD src0_sel:DWORD src1_sel:DWORD
	s_mov_b64 s[0:1], 0
	s_and_saveexec_b64 s[14:15], vcc
	s_cbranch_execz .LBB709_93
; %bb.88:
	s_and_b64 vcc, exec, s[4:5]
	s_cbranch_vccnz .LBB709_92
; %bb.89:
	s_waitcnt vmcnt(0) lgkmcnt(0)
	v_mul_lo_u32 v19, v21, s26
	v_mul_lo_u32 v21, v20, s27
	v_mad_u64_u32 v[16:17], s[0:1], v20, s26, 0
	v_add3_u32 v17, v17, v21, v19
	v_mul_lo_u32 v19, v11, s26
	v_mul_lo_u32 v24, v10, s27
	v_mad_u64_u32 v[20:21], s[0:1], v10, s26, 0
	v_add3_u32 v21, v21, v24, v19
	s_add_u32 s40, s26, -1
	v_lshl_add_u64 v[16:17], v[16:17], 1, s[28:29]
	v_lshl_add_u64 v[20:21], v[20:21], 1, s[28:29]
	s_addc_u32 s41, s27, -1
	s_mov_b64 s[4:5], 0
                                        ; implicit-def: $sgpr38_sgpr39
.LBB709_90:                             ; =>This Inner Loop Header: Depth=1
	global_load_ushort v19, v[16:17], off
	global_load_ushort v24, v[20:21], off
	s_add_u32 s0, s40, -1
	s_addc_u32 s1, s41, -1
	s_cmp_eq_u64 s[40:41], 0
	s_mov_b64 s[40:41], s[0:1]
	s_cselect_b64 s[42:43], -1, 0
	v_lshl_add_u64 v[16:17], v[16:17], 0, 2
	v_lshl_add_u64 v[20:21], v[20:21], 0, 2
	s_waitcnt vmcnt(0)
	v_cmp_ne_u16_e64 s[0:1], v19, v24
	s_or_b64 s[0:1], s[0:1], s[42:43]
	s_and_b64 s[0:1], exec, s[0:1]
	v_cmp_eq_u16_e32 vcc, v19, v24
	s_or_b64 s[4:5], s[0:1], s[4:5]
	s_andn2_b64 s[0:1], s[38:39], exec
	s_and_b64 s[38:39], vcc, exec
	s_or_b64 s[38:39], s[0:1], s[38:39]
	s_andn2_b64 exec, exec, s[4:5]
	s_cbranch_execnz .LBB709_90
; %bb.91:
	s_or_b64 exec, exec, s[4:5]
	s_xor_b64 s[0:1], s[38:39], -1
.LBB709_92:
	s_and_b64 s[0:1], s[0:1], exec
.LBB709_93:
	s_or_b64 exec, exec, s[14:15]
	v_cndmask_b32_e64 v17, 0, 1, s[12:13]
	v_cndmask_b32_e64 v40, 0, 1, s[10:11]
	;; [unrolled: 1-line block ×3, first 2 shown]
	v_or_b32_e32 v22, v22, v23
.LBB709_94:
	s_mov_b64 s[10:11], -1
	s_cbranch_execnz .LBB709_39
.LBB709_95:
	s_movk_i32 s0, 0xffd0
	v_mad_i32_i24 v26, v0, s0, v26
	s_mov_b64 s[0:1], 0
	v_cmp_gt_i64_e64 s[6:7], s[26:27], 0
	s_and_b64 vcc, exec, s[36:37]
	ds_write_b64 v26, v[14:15]
	s_cbranch_vccz .LBB709_110
; %bb.96:
	v_cndmask_b32_e64 v16, 0, 1, s[6:7]
	v_cmp_ne_u32_e64 s[4:5], 1, v16
	s_andn2_b64 vcc, exec, s[6:7]
	s_cbranch_vccnz .LBB709_111
; %bb.97:
	v_mul_lo_u32 v19, v5, s26
	s_waitcnt vmcnt(0) lgkmcnt(1)
	v_mul_lo_u32 v20, v4, s27
	v_mad_u64_u32 v[16:17], s[0:1], v4, s26, 0
	v_add3_u32 v17, v17, v20, v19
	v_mul_lo_u32 v19, v15, s26
	v_mul_lo_u32 v22, v14, s27
	v_mad_u64_u32 v[20:21], s[0:1], v14, s26, 0
	s_add_u32 s14, s26, -1
	v_lshl_add_u64 v[16:17], v[16:17], 1, s[28:29]
	v_add3_u32 v21, v21, v22, v19
	s_addc_u32 s15, s27, -1
	v_lshl_add_u64 v[20:21], v[20:21], 1, s[28:29]
	s_mov_b64 s[38:39], 0
	s_mov_b64 s[40:41], s[14:15]
	v_mov_b64_e32 v[22:23], v[16:17]
                                        ; implicit-def: $sgpr12_sgpr13
.LBB709_98:                             ; =>This Inner Loop Header: Depth=1
	global_load_ushort v19, v[22:23], off
	global_load_ushort v24, v[20:21], off
	s_add_u32 s0, s40, -1
	s_addc_u32 s1, s41, -1
	s_cmp_eq_u64 s[40:41], 0
	s_mov_b64 s[40:41], s[0:1]
	s_cselect_b64 s[42:43], -1, 0
	v_lshl_add_u64 v[22:23], v[22:23], 0, 2
	v_lshl_add_u64 v[20:21], v[20:21], 0, 2
	s_waitcnt vmcnt(0)
	v_cmp_ne_u16_e64 s[0:1], v19, v24
	s_or_b64 s[0:1], s[0:1], s[42:43]
	s_and_b64 s[0:1], exec, s[0:1]
	v_cmp_eq_u16_e32 vcc, v19, v24
	s_or_b64 s[38:39], s[0:1], s[38:39]
	s_andn2_b64 s[0:1], s[12:13], exec
	s_and_b64 s[12:13], vcc, exec
	s_or_b64 s[12:13], s[0:1], s[12:13]
	s_andn2_b64 exec, exec, s[38:39]
	s_cbranch_execnz .LBB709_98
; %bb.99:
	s_or_b64 exec, exec, s[38:39]
	v_mul_lo_u32 v19, v3, s26
	v_mul_lo_u32 v22, v2, s27
	v_mad_u64_u32 v[20:21], s[0:1], v2, s26, 0
	v_add3_u32 v21, v21, v22, v19
	v_lshl_add_u64 v[20:21], v[20:21], 1, s[28:29]
	s_mov_b64 s[40:41], 0
	s_mov_b64 s[42:43], s[14:15]
	v_mov_b64_e32 v[22:23], v[20:21]
                                        ; implicit-def: $sgpr38_sgpr39
.LBB709_100:                            ; =>This Inner Loop Header: Depth=1
	global_load_ushort v19, v[22:23], off
	global_load_ushort v24, v[16:17], off
	s_add_u32 s0, s42, -1
	s_addc_u32 s1, s43, -1
	s_cmp_eq_u64 s[42:43], 0
	s_mov_b64 s[42:43], s[0:1]
	s_cselect_b64 s[44:45], -1, 0
	v_lshl_add_u64 v[22:23], v[22:23], 0, 2
	v_lshl_add_u64 v[16:17], v[16:17], 0, 2
	s_waitcnt vmcnt(0)
	v_cmp_ne_u16_e64 s[0:1], v19, v24
	s_or_b64 s[0:1], s[0:1], s[44:45]
	s_and_b64 s[0:1], exec, s[0:1]
	v_cmp_eq_u16_e32 vcc, v19, v24
	s_or_b64 s[40:41], s[0:1], s[40:41]
	s_andn2_b64 s[0:1], s[38:39], exec
	s_and_b64 s[38:39], vcc, exec
	s_or_b64 s[38:39], s[0:1], s[38:39]
	s_andn2_b64 exec, exec, s[40:41]
	s_cbranch_execnz .LBB709_100
; %bb.101:
	s_or_b64 exec, exec, s[40:41]
	v_mul_lo_u32 v19, v9, s26
	v_mul_lo_u32 v22, v8, s27
	v_mad_u64_u32 v[16:17], s[0:1], v8, s26, 0
	v_add3_u32 v17, v17, v22, v19
	v_lshl_add_u64 v[16:17], v[16:17], 1, s[28:29]
	s_mov_b64 s[42:43], 0
	s_mov_b64 s[44:45], s[14:15]
	v_mov_b64_e32 v[22:23], v[16:17]
                                        ; implicit-def: $sgpr40_sgpr41
.LBB709_102:                            ; =>This Inner Loop Header: Depth=1
	global_load_ushort v19, v[22:23], off
	global_load_ushort v24, v[20:21], off
	s_add_u32 s0, s44, -1
	s_addc_u32 s1, s45, -1
	s_cmp_eq_u64 s[44:45], 0
	s_mov_b64 s[44:45], s[0:1]
	s_cselect_b64 s[46:47], -1, 0
	v_lshl_add_u64 v[22:23], v[22:23], 0, 2
	v_lshl_add_u64 v[20:21], v[20:21], 0, 2
	s_waitcnt vmcnt(0)
	v_cmp_ne_u16_e64 s[0:1], v19, v24
	s_or_b64 s[0:1], s[0:1], s[46:47]
	s_and_b64 s[0:1], exec, s[0:1]
	v_cmp_eq_u16_e32 vcc, v19, v24
	s_or_b64 s[42:43], s[0:1], s[42:43]
	s_andn2_b64 s[0:1], s[40:41], exec
	s_and_b64 s[40:41], vcc, exec
	s_or_b64 s[40:41], s[0:1], s[40:41]
	s_andn2_b64 exec, exec, s[42:43]
	s_cbranch_execnz .LBB709_102
; %bb.103:
	s_or_b64 exec, exec, s[42:43]
	v_mul_lo_u32 v19, v7, s26
	v_mul_lo_u32 v22, v6, s27
	v_mad_u64_u32 v[20:21], s[0:1], v6, s26, 0
	v_add3_u32 v21, v21, v22, v19
	v_lshl_add_u64 v[20:21], v[20:21], 1, s[28:29]
	s_mov_b64 s[44:45], 0
	s_mov_b64 s[46:47], s[14:15]
	v_mov_b64_e32 v[22:23], v[20:21]
                                        ; implicit-def: $sgpr42_sgpr43
.LBB709_104:                            ; =>This Inner Loop Header: Depth=1
	global_load_ushort v19, v[22:23], off
	global_load_ushort v24, v[16:17], off
	s_add_u32 s0, s46, -1
	s_addc_u32 s1, s47, -1
	s_cmp_eq_u64 s[46:47], 0
	s_mov_b64 s[46:47], s[0:1]
	s_cselect_b64 s[48:49], -1, 0
	v_lshl_add_u64 v[22:23], v[22:23], 0, 2
	v_lshl_add_u64 v[16:17], v[16:17], 0, 2
	s_waitcnt vmcnt(0)
	v_cmp_ne_u16_e64 s[0:1], v19, v24
	s_or_b64 s[0:1], s[0:1], s[48:49]
	s_and_b64 s[0:1], exec, s[0:1]
	v_cmp_eq_u16_e32 vcc, v19, v24
	s_or_b64 s[44:45], s[0:1], s[44:45]
	s_andn2_b64 s[0:1], s[42:43], exec
	s_and_b64 s[42:43], vcc, exec
	s_or_b64 s[42:43], s[0:1], s[42:43]
	s_andn2_b64 exec, exec, s[44:45]
	s_cbranch_execnz .LBB709_104
; %bb.105:
	s_or_b64 exec, exec, s[44:45]
	v_mul_lo_u32 v19, v13, s26
	v_mul_lo_u32 v22, v12, s27
	v_mad_u64_u32 v[16:17], s[0:1], v12, s26, 0
	v_add3_u32 v17, v17, v22, v19
	v_lshl_add_u64 v[16:17], v[16:17], 1, s[28:29]
	s_mov_b64 s[46:47], 0
	s_mov_b64 s[48:49], s[14:15]
	v_mov_b64_e32 v[22:23], v[16:17]
                                        ; implicit-def: $sgpr44_sgpr45
.LBB709_106:                            ; =>This Inner Loop Header: Depth=1
	global_load_ushort v19, v[22:23], off
	global_load_ushort v24, v[20:21], off
	s_add_u32 s0, s48, -1
	s_addc_u32 s1, s49, -1
	s_cmp_eq_u64 s[48:49], 0
	s_mov_b64 s[48:49], s[0:1]
	s_cselect_b64 s[52:53], -1, 0
	v_lshl_add_u64 v[22:23], v[22:23], 0, 2
	v_lshl_add_u64 v[20:21], v[20:21], 0, 2
	s_waitcnt vmcnt(0)
	v_cmp_ne_u16_e64 s[0:1], v19, v24
	s_or_b64 s[0:1], s[0:1], s[52:53]
	s_and_b64 s[0:1], exec, s[0:1]
	v_cmp_eq_u16_e32 vcc, v19, v24
	s_or_b64 s[46:47], s[0:1], s[46:47]
	s_andn2_b64 s[0:1], s[44:45], exec
	s_and_b64 s[44:45], vcc, exec
	s_or_b64 s[44:45], s[0:1], s[44:45]
	s_andn2_b64 exec, exec, s[46:47]
	s_cbranch_execnz .LBB709_106
; %bb.107:
	s_or_b64 exec, exec, s[46:47]
	v_mul_lo_u32 v19, v11, s26
	v_mul_lo_u32 v22, v10, s27
	v_mad_u64_u32 v[20:21], s[0:1], v10, s26, 0
	v_add3_u32 v21, v21, v22, v19
	v_lshl_add_u64 v[20:21], v[20:21], 1, s[28:29]
	s_mov_b64 s[48:49], 0
                                        ; implicit-def: $sgpr46_sgpr47
.LBB709_108:                            ; =>This Inner Loop Header: Depth=1
	global_load_ushort v19, v[20:21], off
	global_load_ushort v22, v[16:17], off
	s_add_u32 s0, s14, -1
	s_addc_u32 s1, s15, -1
	s_cmp_eq_u64 s[14:15], 0
	s_mov_b64 s[14:15], s[0:1]
	s_cselect_b64 s[52:53], -1, 0
	v_lshl_add_u64 v[20:21], v[20:21], 0, 2
	v_lshl_add_u64 v[16:17], v[16:17], 0, 2
	s_waitcnt vmcnt(0)
	v_cmp_ne_u16_e64 s[0:1], v19, v22
	s_or_b64 s[0:1], s[0:1], s[52:53]
	s_and_b64 s[0:1], exec, s[0:1]
	v_cmp_eq_u16_e32 vcc, v19, v22
	s_or_b64 s[48:49], s[0:1], s[48:49]
	s_andn2_b64 s[0:1], s[46:47], exec
	s_and_b64 s[46:47], vcc, exec
	s_or_b64 s[46:47], s[0:1], s[46:47]
	s_andn2_b64 exec, exec, s[48:49]
	s_cbranch_execnz .LBB709_108
; %bb.109:
	s_or_b64 exec, exec, s[48:49]
	s_xor_b64 s[0:1], s[38:39], -1
	v_cndmask_b32_e64 v40, 0, 1, s[0:1]
	s_xor_b64 s[0:1], s[42:43], -1
	v_cndmask_b32_e64 v16, 0, 1, s[0:1]
	v_lshlrev_b16_e32 v16, 8, v16
	s_xor_b64 s[0:1], s[12:13], -1
	v_lshrrev_b32_e32 v16, 8, v16
	v_mov_b32_e32 v20, 1
	s_xor_b64 s[12:13], s[44:45], -1
	v_cndmask_b32_e64 v19, 0, 1, s[0:1]
	s_xor_b64 s[0:1], s[40:41], -1
	v_and_b32_sdwa v16, v16, v20 dst_sel:BYTE_1 dst_unused:UNUSED_PAD src0_sel:DWORD src1_sel:DWORD
	v_cndmask_b32_e64 v20, 0, 1, s[12:13]
	v_cndmask_b32_e64 v17, 0, 1, s[0:1]
	s_xor_b64 s[0:1], s[46:47], -1
	v_or_b32_sdwa v16, v20, v16 dst_sel:WORD_1 dst_unused:UNUSED_PAD src0_sel:DWORD src1_sel:DWORD
	s_branch .LBB709_112
.LBB709_110:
                                        ; implicit-def: $sgpr0_sgpr1
                                        ; implicit-def: $vgpr19
                                        ; implicit-def: $vgpr40
                                        ; implicit-def: $vgpr17
                                        ; implicit-def: $vgpr22
                                        ; implicit-def: $vgpr42
                                        ; implicit-def: $vgpr41
                                        ; implicit-def: $vgpr20
	s_cbranch_execnz .LBB709_119
	s_branch .LBB709_164
.LBB709_111:
	v_mov_b32_e32 v16, 0
	v_mov_b32_e32 v19, 0
	;; [unrolled: 1-line block ×4, first 2 shown]
.LBB709_112:
	v_lshrrev_b32_e32 v41, 16, v16
	s_waitcnt vmcnt(0) lgkmcnt(1)
	v_lshrrev_b32_e32 v20, 24, v16
	v_cndmask_b32_e64 v42, 0, 1, s[0:1]
	v_mov_b32_e32 v16, 1
	s_waitcnt lgkmcnt(0)
	s_barrier
                                        ; implicit-def: $sgpr0_sgpr1
                                        ; implicit-def: $vgpr22
	s_and_saveexec_b64 s[12:13], s[2:3]
	s_xor_b64 s[12:13], exec, s[12:13]
	s_cbranch_execz .LBB709_118
; %bb.113:
	v_lshlrev_b16_e32 v21, 8, v20
	s_movk_i32 s0, 0xff
	v_bitop3_b16 v21, v41, v21, s0 bitop3:0xec
	v_lshlrev_b16_e32 v22, 8, v42
	v_lshlrev_b32_e32 v21, 16, v21
	v_or_b32_e32 v22, 1, v22
	v_or_b32_sdwa v21, v22, v21 dst_sel:DWORD dst_unused:UNUSED_PAD src0_sel:WORD_0 src1_sel:DWORD
	s_mov_b32 s40, 0x3020104
	s_and_b64 vcc, exec, s[4:5]
	s_mov_b64 s[0:1], 0
	s_cbranch_vccnz .LBB709_117
; %bb.114:
	v_add_u32_e32 v22, -8, v26
	ds_read_b64 v[22:23], v22
	v_mul_lo_u32 v27, v11, s26
	v_mul_lo_u32 v28, v10, s27
	s_add_u32 s38, s26, -1
	s_addc_u32 s39, s27, -1
	s_waitcnt lgkmcnt(0)
	v_mul_lo_u32 v24, v23, s26
	v_mul_lo_u32 v25, v22, s27
	v_mad_u64_u32 v[22:23], s[0:1], v22, s26, 0
	v_add3_u32 v23, v23, v25, v24
	v_mad_u64_u32 v[24:25], s[0:1], v10, s26, 0
	v_add3_u32 v25, v25, v28, v27
	v_lshl_add_u64 v[22:23], v[22:23], 1, s[28:29]
	v_lshl_add_u64 v[24:25], v[24:25], 1, s[28:29]
	s_mov_b64 s[4:5], 0
                                        ; implicit-def: $sgpr14_sgpr15
.LBB709_115:                            ; =>This Inner Loop Header: Depth=1
	global_load_ushort v27, v[22:23], off
	global_load_ushort v28, v[24:25], off
	s_add_u32 s0, s38, -1
	s_addc_u32 s1, s39, -1
	s_cmp_eq_u64 s[38:39], 0
	s_mov_b64 s[38:39], s[0:1]
	s_cselect_b64 s[42:43], -1, 0
	v_lshl_add_u64 v[22:23], v[22:23], 0, 2
	v_lshl_add_u64 v[24:25], v[24:25], 0, 2
	s_waitcnt vmcnt(0)
	v_cmp_ne_u16_e64 s[0:1], v27, v28
	s_or_b64 s[0:1], s[0:1], s[42:43]
	s_and_b64 s[0:1], exec, s[0:1]
	v_cmp_eq_u16_e32 vcc, v27, v28
	s_or_b64 s[4:5], s[0:1], s[4:5]
	s_andn2_b64 s[0:1], s[14:15], exec
	s_and_b64 s[14:15], vcc, exec
	s_or_b64 s[14:15], s[0:1], s[14:15]
	s_andn2_b64 exec, exec, s[4:5]
	s_cbranch_execnz .LBB709_115
; %bb.116:
	s_or_b64 exec, exec, s[4:5]
	s_xor_b64 s[0:1], s[14:15], -1
.LBB709_117:
	v_perm_b32 v22, v21, v21, s40
	s_or_b64 s[10:11], s[10:11], exec
.LBB709_118:
	s_or_b64 exec, exec, s[12:13]
	s_branch .LBB709_164
.LBB709_119:
	v_add_u32_e32 v16, 6, v1
	v_cmp_gt_u32_e32 vcc, s50, v16
	s_mov_b64 s[12:13], 0
	s_mov_b64 s[4:5], 0
	s_and_saveexec_b64 s[14:15], vcc
	s_cbranch_execz .LBB709_125
; %bb.120:
	s_andn2_b64 vcc, exec, s[6:7]
	s_mov_b64 s[0:1], 0
	s_cbranch_vccnz .LBB709_124
; %bb.121:
	v_mul_lo_u32 v19, v5, s26
	s_waitcnt vmcnt(0) lgkmcnt(1)
	v_mul_lo_u32 v20, v4, s27
	v_mad_u64_u32 v[16:17], s[0:1], v4, s26, 0
	v_add3_u32 v17, v17, v20, v19
	v_mul_lo_u32 v19, v15, s26
	v_mul_lo_u32 v22, v14, s27
	v_mad_u64_u32 v[20:21], s[0:1], v14, s26, 0
	v_add3_u32 v21, v21, v22, v19
	s_add_u32 s40, s26, -1
	v_lshl_add_u64 v[16:17], v[16:17], 1, s[28:29]
	v_lshl_add_u64 v[20:21], v[20:21], 1, s[28:29]
	s_addc_u32 s41, s27, -1
                                        ; implicit-def: $sgpr38_sgpr39
.LBB709_122:                            ; =>This Inner Loop Header: Depth=1
	global_load_ushort v19, v[16:17], off
	global_load_ushort v22, v[20:21], off
	s_add_u32 s0, s40, -1
	s_addc_u32 s1, s41, -1
	s_cmp_eq_u64 s[40:41], 0
	s_mov_b64 s[40:41], s[0:1]
	s_cselect_b64 s[42:43], -1, 0
	v_lshl_add_u64 v[16:17], v[16:17], 0, 2
	v_lshl_add_u64 v[20:21], v[20:21], 0, 2
	s_waitcnt vmcnt(0)
	v_cmp_ne_u16_e64 s[0:1], v19, v22
	s_or_b64 s[0:1], s[0:1], s[42:43]
	s_and_b64 s[0:1], exec, s[0:1]
	v_cmp_eq_u16_e32 vcc, v19, v22
	s_or_b64 s[4:5], s[0:1], s[4:5]
	s_andn2_b64 s[0:1], s[38:39], exec
	s_and_b64 s[38:39], vcc, exec
	s_or_b64 s[38:39], s[0:1], s[38:39]
	s_andn2_b64 exec, exec, s[4:5]
	s_cbranch_execnz .LBB709_122
; %bb.123:
	s_or_b64 exec, exec, s[4:5]
	s_xor_b64 s[0:1], s[38:39], -1
.LBB709_124:
	s_and_b64 s[4:5], s[0:1], exec
.LBB709_125:
	s_or_b64 exec, exec, s[14:15]
	v_add_u32_e32 v16, 5, v1
	v_cmp_gt_u32_e32 vcc, s50, v16
	s_and_saveexec_b64 s[14:15], vcc
	s_cbranch_execz .LBB709_131
; %bb.126:
	s_andn2_b64 vcc, exec, s[6:7]
	s_mov_b64 s[0:1], 0
	s_cbranch_vccnz .LBB709_130
; %bb.127:
	v_mul_lo_u32 v19, v3, s26
	s_waitcnt vmcnt(0) lgkmcnt(1)
	v_mul_lo_u32 v20, v2, s27
	v_mad_u64_u32 v[16:17], s[0:1], v2, s26, 0
	v_add3_u32 v17, v17, v20, v19
	v_mul_lo_u32 v19, v5, s26
	v_mul_lo_u32 v22, v4, s27
	v_mad_u64_u32 v[20:21], s[0:1], v4, s26, 0
	v_add3_u32 v21, v21, v22, v19
	s_add_u32 s40, s26, -1
	v_lshl_add_u64 v[16:17], v[16:17], 1, s[28:29]
	v_lshl_add_u64 v[20:21], v[20:21], 1, s[28:29]
	s_addc_u32 s41, s27, -1
	s_mov_b64 s[12:13], 0
                                        ; implicit-def: $sgpr38_sgpr39
.LBB709_128:                            ; =>This Inner Loop Header: Depth=1
	global_load_ushort v19, v[16:17], off
	global_load_ushort v22, v[20:21], off
	s_add_u32 s0, s40, -1
	s_addc_u32 s1, s41, -1
	s_cmp_eq_u64 s[40:41], 0
	s_mov_b64 s[40:41], s[0:1]
	s_cselect_b64 s[42:43], -1, 0
	v_lshl_add_u64 v[16:17], v[16:17], 0, 2
	v_lshl_add_u64 v[20:21], v[20:21], 0, 2
	s_waitcnt vmcnt(0)
	v_cmp_ne_u16_e64 s[0:1], v19, v22
	s_or_b64 s[0:1], s[0:1], s[42:43]
	s_and_b64 s[0:1], exec, s[0:1]
	v_cmp_eq_u16_e32 vcc, v19, v22
	s_or_b64 s[12:13], s[0:1], s[12:13]
	s_andn2_b64 s[0:1], s[38:39], exec
	s_and_b64 s[38:39], vcc, exec
	s_or_b64 s[38:39], s[0:1], s[38:39]
	s_andn2_b64 exec, exec, s[12:13]
	s_cbranch_execnz .LBB709_128
; %bb.129:
	s_or_b64 exec, exec, s[12:13]
	s_xor_b64 s[0:1], s[38:39], -1
.LBB709_130:
	s_and_b64 s[12:13], s[0:1], exec
.LBB709_131:
	s_or_b64 exec, exec, s[14:15]
	v_add_u32_e32 v16, 4, v1
	v_cmp_gt_u32_e32 vcc, s50, v16
	s_mov_b64 s[14:15], 0
	s_mov_b64 s[38:39], 0
	s_and_saveexec_b64 s[40:41], vcc
	s_cbranch_execz .LBB709_137
; %bb.132:
	s_andn2_b64 vcc, exec, s[6:7]
	s_mov_b64 s[0:1], 0
	s_cbranch_vccnz .LBB709_136
; %bb.133:
	v_mul_lo_u32 v19, v9, s26
	s_waitcnt vmcnt(0) lgkmcnt(1)
	v_mul_lo_u32 v20, v8, s27
	v_mad_u64_u32 v[16:17], s[0:1], v8, s26, 0
	v_add3_u32 v17, v17, v20, v19
	v_mul_lo_u32 v19, v3, s26
	v_mul_lo_u32 v22, v2, s27
	v_mad_u64_u32 v[20:21], s[0:1], v2, s26, 0
	v_add3_u32 v21, v21, v22, v19
	s_add_u32 s44, s26, -1
	v_lshl_add_u64 v[16:17], v[16:17], 1, s[28:29]
	v_lshl_add_u64 v[20:21], v[20:21], 1, s[28:29]
	s_addc_u32 s45, s27, -1
                                        ; implicit-def: $sgpr42_sgpr43
.LBB709_134:                            ; =>This Inner Loop Header: Depth=1
	global_load_ushort v19, v[16:17], off
	global_load_ushort v22, v[20:21], off
	s_add_u32 s0, s44, -1
	s_addc_u32 s1, s45, -1
	s_cmp_eq_u64 s[44:45], 0
	s_mov_b64 s[44:45], s[0:1]
	s_cselect_b64 s[46:47], -1, 0
	v_lshl_add_u64 v[16:17], v[16:17], 0, 2
	v_lshl_add_u64 v[20:21], v[20:21], 0, 2
	s_waitcnt vmcnt(0)
	v_cmp_ne_u16_e64 s[0:1], v19, v22
	s_or_b64 s[0:1], s[0:1], s[46:47]
	s_and_b64 s[0:1], exec, s[0:1]
	v_cmp_eq_u16_e32 vcc, v19, v22
	s_or_b64 s[38:39], s[0:1], s[38:39]
	s_andn2_b64 s[0:1], s[42:43], exec
	s_and_b64 s[42:43], vcc, exec
	s_or_b64 s[42:43], s[0:1], s[42:43]
	s_andn2_b64 exec, exec, s[38:39]
	s_cbranch_execnz .LBB709_134
; %bb.135:
	s_or_b64 exec, exec, s[38:39]
	s_xor_b64 s[0:1], s[42:43], -1
.LBB709_136:
	s_and_b64 s[38:39], s[0:1], exec
.LBB709_137:
	s_or_b64 exec, exec, s[40:41]
	v_add_u32_e32 v16, 3, v1
	v_cmp_gt_u32_e32 vcc, s50, v16
	s_and_saveexec_b64 s[40:41], vcc
	s_cbranch_execz .LBB709_143
; %bb.138:
	s_andn2_b64 vcc, exec, s[6:7]
	s_mov_b64 s[0:1], 0
	s_cbranch_vccnz .LBB709_142
; %bb.139:
	v_mul_lo_u32 v19, v7, s26
	s_waitcnt vmcnt(0) lgkmcnt(1)
	v_mul_lo_u32 v20, v6, s27
	v_mad_u64_u32 v[16:17], s[0:1], v6, s26, 0
	v_add3_u32 v17, v17, v20, v19
	v_mul_lo_u32 v19, v9, s26
	v_mul_lo_u32 v22, v8, s27
	v_mad_u64_u32 v[20:21], s[0:1], v8, s26, 0
	v_add3_u32 v21, v21, v22, v19
	s_add_u32 s44, s26, -1
	v_lshl_add_u64 v[16:17], v[16:17], 1, s[28:29]
	v_lshl_add_u64 v[20:21], v[20:21], 1, s[28:29]
	s_addc_u32 s45, s27, -1
	s_mov_b64 s[14:15], 0
                                        ; implicit-def: $sgpr42_sgpr43
.LBB709_140:                            ; =>This Inner Loop Header: Depth=1
	global_load_ushort v19, v[16:17], off
	global_load_ushort v22, v[20:21], off
	s_add_u32 s0, s44, -1
	s_addc_u32 s1, s45, -1
	s_cmp_eq_u64 s[44:45], 0
	s_mov_b64 s[44:45], s[0:1]
	s_cselect_b64 s[46:47], -1, 0
	v_lshl_add_u64 v[16:17], v[16:17], 0, 2
	v_lshl_add_u64 v[20:21], v[20:21], 0, 2
	s_waitcnt vmcnt(0)
	v_cmp_ne_u16_e64 s[0:1], v19, v22
	s_or_b64 s[0:1], s[0:1], s[46:47]
	s_and_b64 s[0:1], exec, s[0:1]
	v_cmp_eq_u16_e32 vcc, v19, v22
	s_or_b64 s[14:15], s[0:1], s[14:15]
	s_andn2_b64 s[0:1], s[42:43], exec
	s_and_b64 s[42:43], vcc, exec
	s_or_b64 s[42:43], s[0:1], s[42:43]
	s_andn2_b64 exec, exec, s[14:15]
	s_cbranch_execnz .LBB709_140
; %bb.141:
	s_or_b64 exec, exec, s[14:15]
	s_xor_b64 s[0:1], s[42:43], -1
.LBB709_142:
	s_and_b64 s[14:15], s[0:1], exec
.LBB709_143:
	s_or_b64 exec, exec, s[40:41]
	v_add_u32_e32 v16, 2, v1
	v_cmp_gt_u32_e32 vcc, s50, v16
	s_mov_b64 s[40:41], 0
	s_mov_b64 s[42:43], 0
	s_and_saveexec_b64 s[44:45], vcc
	s_cbranch_execz .LBB709_149
; %bb.144:
	s_andn2_b64 vcc, exec, s[6:7]
	s_mov_b64 s[0:1], 0
	s_cbranch_vccnz .LBB709_148
; %bb.145:
	v_mul_lo_u32 v19, v13, s26
	s_waitcnt vmcnt(0) lgkmcnt(1)
	v_mul_lo_u32 v20, v12, s27
	v_mad_u64_u32 v[16:17], s[0:1], v12, s26, 0
	v_add3_u32 v17, v17, v20, v19
	v_mul_lo_u32 v19, v7, s26
	v_mul_lo_u32 v22, v6, s27
	v_mad_u64_u32 v[20:21], s[0:1], v6, s26, 0
	v_add3_u32 v21, v21, v22, v19
	s_add_u32 s48, s26, -1
	v_lshl_add_u64 v[16:17], v[16:17], 1, s[28:29]
	v_lshl_add_u64 v[20:21], v[20:21], 1, s[28:29]
	s_addc_u32 s49, s27, -1
                                        ; implicit-def: $sgpr46_sgpr47
.LBB709_146:                            ; =>This Inner Loop Header: Depth=1
	global_load_ushort v19, v[16:17], off
	global_load_ushort v22, v[20:21], off
	s_add_u32 s0, s48, -1
	s_addc_u32 s1, s49, -1
	s_cmp_eq_u64 s[48:49], 0
	s_mov_b64 s[48:49], s[0:1]
	s_cselect_b64 s[52:53], -1, 0
	v_lshl_add_u64 v[16:17], v[16:17], 0, 2
	v_lshl_add_u64 v[20:21], v[20:21], 0, 2
	s_waitcnt vmcnt(0)
	v_cmp_ne_u16_e64 s[0:1], v19, v22
	s_or_b64 s[0:1], s[0:1], s[52:53]
	s_and_b64 s[0:1], exec, s[0:1]
	v_cmp_eq_u16_e32 vcc, v19, v22
	s_or_b64 s[42:43], s[0:1], s[42:43]
	s_andn2_b64 s[0:1], s[46:47], exec
	s_and_b64 s[46:47], vcc, exec
	s_or_b64 s[46:47], s[0:1], s[46:47]
	s_andn2_b64 exec, exec, s[42:43]
	s_cbranch_execnz .LBB709_146
; %bb.147:
	s_or_b64 exec, exec, s[42:43]
	s_xor_b64 s[0:1], s[46:47], -1
.LBB709_148:
	s_and_b64 s[42:43], s[0:1], exec
.LBB709_149:
	s_or_b64 exec, exec, s[44:45]
	v_add_u32_e32 v16, 1, v1
	v_cmp_gt_u32_e32 vcc, s50, v16
	s_and_saveexec_b64 s[44:45], vcc
	s_cbranch_execz .LBB709_155
; %bb.150:
	s_andn2_b64 vcc, exec, s[6:7]
	s_mov_b64 s[0:1], 0
	s_cbranch_vccnz .LBB709_154
; %bb.151:
	v_mul_lo_u32 v19, v11, s26
	s_waitcnt vmcnt(0) lgkmcnt(1)
	v_mul_lo_u32 v20, v10, s27
	v_mad_u64_u32 v[16:17], s[0:1], v10, s26, 0
	v_add3_u32 v17, v17, v20, v19
	v_mul_lo_u32 v19, v13, s26
	v_mul_lo_u32 v22, v12, s27
	v_mad_u64_u32 v[20:21], s[0:1], v12, s26, 0
	v_add3_u32 v21, v21, v22, v19
	s_add_u32 s48, s26, -1
	v_lshl_add_u64 v[16:17], v[16:17], 1, s[28:29]
	v_lshl_add_u64 v[20:21], v[20:21], 1, s[28:29]
	s_addc_u32 s49, s27, -1
	s_mov_b64 s[40:41], 0
                                        ; implicit-def: $sgpr46_sgpr47
.LBB709_152:                            ; =>This Inner Loop Header: Depth=1
	global_load_ushort v19, v[16:17], off
	global_load_ushort v22, v[20:21], off
	s_add_u32 s0, s48, -1
	s_addc_u32 s1, s49, -1
	s_cmp_eq_u64 s[48:49], 0
	s_mov_b64 s[48:49], s[0:1]
	s_cselect_b64 s[52:53], -1, 0
	v_lshl_add_u64 v[16:17], v[16:17], 0, 2
	v_lshl_add_u64 v[20:21], v[20:21], 0, 2
	s_waitcnt vmcnt(0)
	v_cmp_ne_u16_e64 s[0:1], v19, v22
	s_or_b64 s[0:1], s[0:1], s[52:53]
	s_and_b64 s[0:1], exec, s[0:1]
	v_cmp_eq_u16_e32 vcc, v19, v22
	s_or_b64 s[40:41], s[0:1], s[40:41]
	s_andn2_b64 s[0:1], s[46:47], exec
	s_and_b64 s[46:47], vcc, exec
	s_or_b64 s[46:47], s[0:1], s[46:47]
	s_andn2_b64 exec, exec, s[40:41]
	s_cbranch_execnz .LBB709_152
; %bb.153:
	s_or_b64 exec, exec, s[40:41]
	s_xor_b64 s[0:1], s[46:47], -1
.LBB709_154:
	s_and_b64 s[40:41], s[0:1], exec
.LBB709_155:
	s_or_b64 exec, exec, s[44:45]
	v_cndmask_b32_e64 v17, 0, 1, s[38:39]
	v_cndmask_b32_e64 v40, 0, 1, s[12:13]
	;; [unrolled: 1-line block ×4, first 2 shown]
	s_waitcnt vmcnt(0) lgkmcnt(1)
	v_cndmask_b32_e64 v20, 0, 1, s[14:15]
	v_cndmask_b32_e64 v42, 0, 1, s[40:41]
	v_mov_b32_e32 v16, 1
	s_waitcnt lgkmcnt(0)
	s_barrier
                                        ; implicit-def: $sgpr0_sgpr1
                                        ; implicit-def: $vgpr22
	s_and_saveexec_b64 s[4:5], s[2:3]
	s_cbranch_execz .LBB709_163
; %bb.156:
	v_lshlrev_b16_e32 v21, 8, v42
	v_lshlrev_b16_e32 v22, 8, v20
	v_or_b32_e32 v21, 1, v21
	v_or_b32_sdwa v22, v41, v22 dst_sel:WORD_1 dst_unused:UNUSED_PAD src0_sel:DWORD src1_sel:DWORD
	v_cmp_gt_u32_e32 vcc, s50, v1
	v_or_b32_sdwa v21, v21, v22 dst_sel:DWORD dst_unused:UNUSED_PAD src0_sel:WORD_0 src1_sel:DWORD
	s_mov_b32 s38, 0x3020104
	s_mov_b64 s[0:1], 0
	s_and_saveexec_b64 s[2:3], vcc
	s_cbranch_execz .LBB709_162
; %bb.157:
	s_andn2_b64 vcc, exec, s[6:7]
	s_cbranch_vccnz .LBB709_161
; %bb.158:
	v_add_u32_e32 v22, -8, v26
	ds_read_b64 v[22:23], v22
	v_mul_lo_u32 v26, v11, s26
	v_mul_lo_u32 v27, v10, s27
	s_add_u32 s14, s26, -1
	s_addc_u32 s15, s27, -1
	s_waitcnt lgkmcnt(0)
	v_mul_lo_u32 v24, v23, s26
	v_mul_lo_u32 v25, v22, s27
	v_mad_u64_u32 v[22:23], s[0:1], v22, s26, 0
	v_add3_u32 v23, v23, v25, v24
	v_mad_u64_u32 v[24:25], s[0:1], v10, s26, 0
	v_add3_u32 v25, v25, v27, v26
	v_lshl_add_u64 v[22:23], v[22:23], 1, s[28:29]
	v_lshl_add_u64 v[24:25], v[24:25], 1, s[28:29]
	s_mov_b64 s[6:7], 0
                                        ; implicit-def: $sgpr12_sgpr13
.LBB709_159:                            ; =>This Inner Loop Header: Depth=1
	global_load_ushort v26, v[22:23], off
	global_load_ushort v27, v[24:25], off
	s_add_u32 s0, s14, -1
	s_addc_u32 s1, s15, -1
	s_cmp_eq_u64 s[14:15], 0
	s_mov_b64 s[14:15], s[0:1]
	s_cselect_b64 s[26:27], -1, 0
	v_lshl_add_u64 v[22:23], v[22:23], 0, 2
	v_lshl_add_u64 v[24:25], v[24:25], 0, 2
	s_waitcnt vmcnt(0)
	v_cmp_ne_u16_e64 s[0:1], v26, v27
	s_or_b64 s[0:1], s[0:1], s[26:27]
	s_and_b64 s[0:1], exec, s[0:1]
	v_cmp_eq_u16_e32 vcc, v26, v27
	s_or_b64 s[6:7], s[0:1], s[6:7]
	s_andn2_b64 s[0:1], s[12:13], exec
	s_and_b64 s[12:13], vcc, exec
	s_or_b64 s[12:13], s[0:1], s[12:13]
	s_andn2_b64 exec, exec, s[6:7]
	s_cbranch_execnz .LBB709_159
; %bb.160:
	s_or_b64 exec, exec, s[6:7]
	s_xor_b64 s[0:1], s[12:13], -1
.LBB709_161:
	s_and_b64 s[0:1], s[0:1], exec
.LBB709_162:
	s_or_b64 exec, exec, s[2:3]
	v_perm_b32 v22, v21, v21, s38
	s_or_b64 s[10:11], s[10:11], exec
.LBB709_163:
	s_or_b64 exec, exec, s[4:5]
.LBB709_164:
	s_and_saveexec_b64 s[2:3], s[10:11]
	s_cbranch_execz .LBB709_166
; %bb.165:
	s_waitcnt vmcnt(0) lgkmcnt(0)
	v_lshrrev_b32_e32 v20, 24, v22
	v_lshrrev_b32_e32 v41, 16, v22
	;; [unrolled: 1-line block ×3, first 2 shown]
	v_cndmask_b32_e64 v16, 0, 1, s[0:1]
.LBB709_166:
	s_or_b64 exec, exec, s[2:3]
	s_andn2_b64 vcc, exec, s[8:9]
	s_cbranch_vccnz .LBB709_170
; %bb.167:
	s_mov_b32 s0, 0xc0c0004
	s_waitcnt vmcnt(0) lgkmcnt(0)
	v_perm_b32 v20, v41, v20, s0
	v_perm_b32 v16, v16, v42, s0
	v_lshlrev_b32_e32 v20, 16, v20
	v_or_b32_e32 v16, v16, v20
	v_cmp_gt_u32_e32 vcc, s50, v1
	v_add_u32_e32 v22, 1, v1
	v_perm_b32 v17, v17, v40, s0
	v_cndmask_b32_e32 v20, v20, v16, vcc
	v_and_b32_e32 v20, 0xffff00ff, v20
	v_cmp_gt_u32_e32 vcc, s50, v22
	v_add_u32_e32 v22, 2, v1
	s_mov_b32 s0, 0x40c0100
	v_cndmask_b32_e32 v20, v20, v16, vcc
	v_lshrrev_b32_e32 v23, 24, v20
	v_and_b32_e32 v19, 0xff, v19
	v_perm_b32 v20, v23, v20, s0
	v_cmp_gt_u32_e32 vcc, s50, v22
	v_lshlrev_b32_e32 v19, 16, v19
	v_add_u32_e32 v22, 3, v1
	v_cndmask_b32_e32 v20, v20, v16, vcc
	s_mov_b32 s0, 0xffff00
	v_or_b32_e32 v21, v17, v19
	v_and_b32_e32 v20, 0xffffff, v20
	v_cmp_gt_u32_e32 vcc, s50, v22
	v_bitop3_b32 v17, v17, s0, v19 bitop3:0xc8
	v_add_u32_e32 v19, 4, v1
	v_cndmask_b32_e32 v20, v20, v16, vcc
	v_cmp_gt_u32_e32 vcc, s50, v19
	v_add_u32_e32 v19, 5, v1
	v_cmp_gt_u32_e64 s[0:1], s50, v19
	v_cndmask_b32_e32 v17, v17, v21, vcc
	v_and_b32_e32 v17, 0xffff00ff, v17
	s_or_b64 vcc, s[0:1], vcc
	v_cndmask_b32_e64 v17, v17, v21, s[0:1]
	v_cndmask_b32_e32 v16, v20, v16, vcc
	v_add_u32_e32 v1, 6, v1
	v_lshrrev_b32_e32 v41, 16, v16
	v_lshrrev_b32_e32 v42, 8, v16
	v_lshrrev_b64 v[20:21], 24, v[16:17]
	v_lshrrev_b32_e32 v19, 16, v17
	v_lshrrev_b32_e32 v40, 8, v17
	v_cmp_le_u32_e32 vcc, s50, v1
	s_and_saveexec_b64 s[0:1], vcc
; %bb.168:
	v_mov_b32_e32 v19, 0
; %bb.169:
	s_or_b64 exec, exec, s[0:1]
.LBB709_170:
	v_and_b32_e32 v1, 0xff, v16
	s_waitcnt vmcnt(0) lgkmcnt(0)
	v_and_b32_e32 v21, 0xff, v42
	v_and_b32_e32 v33, 0xff, v41
	;; [unrolled: 1-line block ×4, first 2 shown]
	v_add3_u32 v23, v21, v1, v33
	v_and_b32_e32 v39, 0xff, v40
	v_and_b32_e32 v22, 0xff, v19
	v_add3_u32 v23, v23, v35, v37
	v_add3_u32 v45, v23, v39, v22
	v_mbcnt_lo_u32_b32 v22, -1, 0
	v_mbcnt_hi_u32_b32 v43, -1, v22
	v_and_b32_e32 v22, 15, v43
	v_cmp_eq_u32_e64 s[14:15], 0, v22
	v_cmp_lt_u32_e64 s[12:13], 1, v22
	v_cmp_lt_u32_e64 s[10:11], 3, v22
	;; [unrolled: 1-line block ×3, first 2 shown]
	v_and_b32_e32 v22, 16, v43
	v_cmp_eq_u32_e64 s[6:7], 0, v22
	v_or_b32_e32 v22, 63, v0
	v_cmp_lt_u32_e64 s[2:3], 31, v43
	v_lshrrev_b32_e32 v44, 6, v0
	v_cmp_eq_u32_e64 s[4:5], v0, v22
	s_and_b64 vcc, exec, s[16:17]
	s_barrier
	s_cbranch_vccz .LBB709_192
; %bb.171:
	v_mov_b32_dpp v22, v45 row_shr:1 row_mask:0xf bank_mask:0xf
	v_cndmask_b32_e64 v22, v22, 0, s[14:15]
	v_add_u32_e32 v22, v22, v45
	s_nop 1
	v_mov_b32_dpp v23, v22 row_shr:2 row_mask:0xf bank_mask:0xf
	v_cndmask_b32_e64 v23, 0, v23, s[12:13]
	v_add_u32_e32 v22, v22, v23
	s_nop 1
	;; [unrolled: 4-line block ×4, first 2 shown]
	v_mov_b32_dpp v23, v22 row_bcast:15 row_mask:0xf bank_mask:0xf
	v_cndmask_b32_e64 v23, v23, 0, s[6:7]
	v_add_u32_e32 v22, v22, v23
	s_nop 1
	v_mov_b32_dpp v23, v22 row_bcast:31 row_mask:0xf bank_mask:0xf
	v_cndmask_b32_e64 v23, 0, v23, s[2:3]
	v_add_u32_e32 v22, v22, v23
	s_and_saveexec_b64 s[0:1], s[4:5]
; %bb.172:
	v_lshlrev_b32_e32 v23, 2, v44
	ds_write_b32 v23, v22
; %bb.173:
	s_or_b64 exec, exec, s[0:1]
	v_cmp_gt_u32_e32 vcc, 8, v0
	s_waitcnt lgkmcnt(0)
	s_barrier
	s_and_saveexec_b64 s[0:1], vcc
	s_cbranch_execz .LBB709_175
; %bb.174:
	v_lshlrev_b32_e32 v23, 2, v0
	ds_read_b32 v24, v23
	v_and_b32_e32 v25, 7, v43
	v_cmp_ne_u32_e32 vcc, 0, v25
	s_waitcnt lgkmcnt(0)
	v_mov_b32_dpp v26, v24 row_shr:1 row_mask:0xf bank_mask:0xf
	v_cndmask_b32_e32 v26, 0, v26, vcc
	v_add_u32_e32 v24, v26, v24
	v_cmp_lt_u32_e32 vcc, 1, v25
	s_nop 0
	v_mov_b32_dpp v26, v24 row_shr:2 row_mask:0xf bank_mask:0xf
	v_cndmask_b32_e32 v26, 0, v26, vcc
	v_add_u32_e32 v24, v24, v26
	v_cmp_lt_u32_e32 vcc, 3, v25
	s_nop 0
	v_mov_b32_dpp v26, v24 row_shr:4 row_mask:0xf bank_mask:0xf
	v_cndmask_b32_e32 v25, 0, v26, vcc
	v_add_u32_e32 v24, v24, v25
	ds_write_b32 v23, v24
.LBB709_175:
	s_or_b64 exec, exec, s[0:1]
	v_cmp_gt_u32_e32 vcc, 64, v0
	v_cmp_lt_u32_e64 s[0:1], 63, v0
	s_waitcnt lgkmcnt(0)
	s_barrier
                                        ; implicit-def: $vgpr32
	s_and_saveexec_b64 s[16:17], s[0:1]
	s_cbranch_execz .LBB709_177
; %bb.176:
	v_lshl_add_u32 v23, v44, 2, -4
	ds_read_b32 v32, v23
	s_waitcnt lgkmcnt(0)
	v_add_u32_e32 v22, v32, v22
.LBB709_177:
	s_or_b64 exec, exec, s[16:17]
	v_subrev_co_u32_e64 v23, s[16:17], 1, v43
	v_and_b32_e32 v24, 64, v43
	v_cmp_lt_i32_e64 s[0:1], v23, v24
	s_nop 1
	v_cndmask_b32_e64 v23, v23, v43, s[0:1]
	v_lshlrev_b32_e32 v23, 2, v23
	ds_bpermute_b32 v34, v23, v22
	s_and_saveexec_b64 s[0:1], vcc
	s_cbranch_execz .LBB709_197
; %bb.178:
	v_mov_b32_e32 v29, 0
	ds_read_b32 v22, v29 offset:28
	s_and_saveexec_b64 s[26:27], s[16:17]
	s_cbranch_execz .LBB709_180
; %bb.179:
	s_add_i32 s28, s33, 64
	s_mov_b32 s29, 0
	s_lshl_b64 s[28:29], s[28:29], 3
	s_add_u32 s28, s30, s28
	v_mov_b32_e32 v23, 1
	s_addc_u32 s29, s31, s29
	s_waitcnt lgkmcnt(0)
	global_store_dwordx2 v29, v[22:23], s[28:29] sc1
.LBB709_180:
	s_or_b64 exec, exec, s[26:27]
	v_xad_u32 v24, v43, -1, s33
	v_add_u32_e32 v28, 64, v24
	v_lshl_add_u64 v[30:31], v[28:29], 3, s[30:31]
	global_load_dwordx2 v[26:27], v[30:31], off sc1
	s_waitcnt vmcnt(0)
	v_cmp_eq_u16_sdwa s[28:29], v27, v29 src0_sel:BYTE_0 src1_sel:DWORD
	s_and_saveexec_b64 s[26:27], s[28:29]
	s_cbranch_execz .LBB709_184
; %bb.181:
	s_mov_b64 s[28:29], 0
	v_mov_b32_e32 v23, 0
.LBB709_182:                            ; =>This Inner Loop Header: Depth=1
	global_load_dwordx2 v[26:27], v[30:31], off sc1
	s_waitcnt vmcnt(0)
	v_cmp_ne_u16_sdwa s[38:39], v27, v23 src0_sel:BYTE_0 src1_sel:DWORD
	s_or_b64 s[28:29], s[38:39], s[28:29]
	s_andn2_b64 exec, exec, s[28:29]
	s_cbranch_execnz .LBB709_182
; %bb.183:
	s_or_b64 exec, exec, s[28:29]
.LBB709_184:
	s_or_b64 exec, exec, s[26:27]
	v_and_b32_e32 v38, 63, v43
	v_mov_b32_e32 v36, 2
	v_cmp_ne_u32_e32 vcc, 63, v38
	v_cmp_eq_u16_sdwa s[26:27], v27, v36 src0_sel:BYTE_0 src1_sel:DWORD
	v_lshlrev_b64 v[28:29], v43, -1
	v_addc_co_u32_e32 v30, vcc, 0, v43, vcc
	v_and_b32_e32 v23, s27, v29
	v_lshlrev_b32_e32 v46, 2, v30
	v_or_b32_e32 v23, 0x80000000, v23
	ds_bpermute_b32 v30, v46, v26
	v_and_b32_e32 v25, s26, v28
	v_ffbl_b32_e32 v23, v23
	v_add_u32_e32 v23, 32, v23
	v_ffbl_b32_e32 v25, v25
	v_min_u32_e32 v23, v25, v23
	v_cmp_lt_u32_e32 vcc, v38, v23
	v_add_u32_e32 v48, 2, v38
	v_add_u32_e32 v50, 4, v38
	s_waitcnt lgkmcnt(0)
	v_cndmask_b32_e32 v25, 0, v30, vcc
	v_cmp_gt_u32_e32 vcc, 62, v38
	v_add_u32_e32 v25, v25, v26
	v_add_u32_e32 v52, 8, v38
	v_cndmask_b32_e64 v26, 0, 2, vcc
	v_add_lshl_u32 v47, v26, v43, 2
	ds_bpermute_b32 v26, v47, v25
	v_cmp_le_u32_e32 vcc, v48, v23
	v_add_u32_e32 v54, 16, v38
	v_add_u32_e32 v56, 32, v38
	s_waitcnt lgkmcnt(0)
	v_cndmask_b32_e32 v26, 0, v26, vcc
	v_cmp_gt_u32_e32 vcc, 60, v38
	v_add_u32_e32 v25, v25, v26
	s_nop 0
	v_cndmask_b32_e64 v26, 0, 4, vcc
	v_add_lshl_u32 v49, v26, v43, 2
	ds_bpermute_b32 v26, v49, v25
	v_cmp_le_u32_e32 vcc, v50, v23
	s_waitcnt lgkmcnt(0)
	s_nop 0
	v_cndmask_b32_e32 v26, 0, v26, vcc
	v_cmp_gt_u32_e32 vcc, 56, v38
	v_add_u32_e32 v25, v25, v26
	s_nop 0
	v_cndmask_b32_e64 v26, 0, 8, vcc
	v_add_lshl_u32 v51, v26, v43, 2
	ds_bpermute_b32 v26, v51, v25
	v_cmp_le_u32_e32 vcc, v52, v23
	s_waitcnt lgkmcnt(0)
	s_nop 0
	;; [unrolled: 10-line block ×3, first 2 shown]
	v_cndmask_b32_e32 v26, 0, v26, vcc
	v_add_u32_e32 v25, v25, v26
	v_mov_b32_e32 v26, 0x80
	v_lshl_or_b32 v55, v43, 2, v26
	ds_bpermute_b32 v26, v55, v25
	v_cmp_le_u32_e32 vcc, v56, v23
	s_waitcnt lgkmcnt(0)
	s_nop 0
	v_cndmask_b32_e32 v23, 0, v26, vcc
	v_add_u32_e32 v26, v25, v23
	v_mov_b32_e32 v25, 0
	s_branch .LBB709_187
.LBB709_185:                            ;   in Loop: Header=BB709_187 Depth=1
	s_or_b64 exec, exec, s[26:27]
	v_cmp_eq_u16_sdwa s[26:27], v27, v36 src0_sel:BYTE_0 src1_sel:DWORD
	ds_bpermute_b32 v57, v46, v26
	v_subrev_u32_e32 v24, 64, v24
	v_and_b32_e32 v30, s27, v29
	v_or_b32_e32 v30, 0x80000000, v30
	v_and_b32_e32 v31, s26, v28
	v_ffbl_b32_e32 v30, v30
	v_add_u32_e32 v30, 32, v30
	v_ffbl_b32_e32 v31, v31
	v_min_u32_e32 v30, v31, v30
	v_cmp_lt_u32_e32 vcc, v38, v30
	s_mov_b64 s[26:27], 0
	s_waitcnt lgkmcnt(0)
	v_cndmask_b32_e32 v31, 0, v57, vcc
	v_add_u32_e32 v26, v31, v26
	ds_bpermute_b32 v31, v47, v26
	v_cmp_le_u32_e32 vcc, v48, v30
	s_waitcnt lgkmcnt(0)
	s_nop 0
	v_cndmask_b32_e32 v31, 0, v31, vcc
	v_add_u32_e32 v26, v26, v31
	ds_bpermute_b32 v31, v49, v26
	v_cmp_le_u32_e32 vcc, v50, v30
	s_waitcnt lgkmcnt(0)
	s_nop 0
	;; [unrolled: 6-line block ×5, first 2 shown]
	v_cndmask_b32_e32 v30, 0, v31, vcc
	v_add3_u32 v26, v30, v23, v26
.LBB709_186:                            ;   in Loop: Header=BB709_187 Depth=1
	s_and_b64 vcc, exec, s[26:27]
	s_cbranch_vccnz .LBB709_193
.LBB709_187:                            ; =>This Loop Header: Depth=1
                                        ;     Child Loop BB709_190 Depth 2
	v_cmp_ne_u16_sdwa s[26:27], v27, v36 src0_sel:BYTE_0 src1_sel:DWORD
	v_mov_b32_e32 v23, v26
	s_cmp_lg_u64 s[26:27], exec
	s_mov_b64 s[26:27], -1
                                        ; implicit-def: $vgpr26
                                        ; implicit-def: $vgpr27
	s_cbranch_scc1 .LBB709_186
; %bb.188:                              ;   in Loop: Header=BB709_187 Depth=1
	v_lshl_add_u64 v[30:31], v[24:25], 3, s[30:31]
	global_load_dwordx2 v[26:27], v[30:31], off sc1
	s_waitcnt vmcnt(0)
	v_cmp_eq_u16_sdwa s[28:29], v27, v25 src0_sel:BYTE_0 src1_sel:DWORD
	s_and_saveexec_b64 s[26:27], s[28:29]
	s_cbranch_execz .LBB709_185
; %bb.189:                              ;   in Loop: Header=BB709_187 Depth=1
	s_mov_b64 s[28:29], 0
.LBB709_190:                            ;   Parent Loop BB709_187 Depth=1
                                        ; =>  This Inner Loop Header: Depth=2
	global_load_dwordx2 v[26:27], v[30:31], off sc1
	s_waitcnt vmcnt(0)
	v_cmp_ne_u16_sdwa s[38:39], v27, v25 src0_sel:BYTE_0 src1_sel:DWORD
	s_or_b64 s[28:29], s[38:39], s[28:29]
	s_andn2_b64 exec, exec, s[28:29]
	s_cbranch_execnz .LBB709_190
; %bb.191:                              ;   in Loop: Header=BB709_187 Depth=1
	s_or_b64 exec, exec, s[28:29]
	s_branch .LBB709_185
.LBB709_192:
                                        ; implicit-def: $vgpr26
                                        ; implicit-def: $vgpr28
                                        ; implicit-def: $vgpr30
                                        ; implicit-def: $vgpr32
                                        ; implicit-def: $vgpr34
                                        ; implicit-def: $vgpr36
                                        ; implicit-def: $vgpr38
                                        ; implicit-def: $vgpr24
                                        ; implicit-def: $vgpr22
	s_cbranch_execnz .LBB709_198
	s_branch .LBB709_207
.LBB709_193:
	s_and_saveexec_b64 s[26:27], s[16:17]
	s_cbranch_execz .LBB709_195
; %bb.194:
	s_add_i32 s28, s33, 64
	s_mov_b32 s29, 0
	s_lshl_b64 s[28:29], s[28:29], 3
	s_add_u32 s28, s30, s28
	v_add_u32_e32 v24, v23, v22
	v_mov_b32_e32 v25, 2
	s_addc_u32 s29, s31, s29
	v_mov_b32_e32 v26, 0
	global_store_dwordx2 v26, v[24:25], s[28:29] sc1
	ds_write_b64 v26, v[22:23] offset:28672
.LBB709_195:
	s_or_b64 exec, exec, s[26:27]
	s_and_b64 exec, exec, s[18:19]
; %bb.196:
	v_mov_b32_e32 v22, 0
	ds_write_b32 v22, v23 offset:28
.LBB709_197:
	s_or_b64 exec, exec, s[0:1]
	v_mov_b32_e32 v22, 0
	s_waitcnt lgkmcnt(0)
	s_barrier
	ds_read_b32 v23, v22 offset:28
	v_cndmask_b32_e64 v24, v34, v32, s[16:17]
	v_cndmask_b32_e64 v24, v24, 0, s[18:19]
	s_waitcnt lgkmcnt(0)
	s_barrier
	v_add_u32_e32 v38, v23, v24
	v_add_u32_e32 v36, v38, v1
	ds_read_b64 v[22:23], v22 offset:28672
	v_add_u32_e32 v34, v36, v21
	v_add_u32_e32 v32, v34, v33
	;; [unrolled: 1-line block ×5, first 2 shown]
	s_waitcnt lgkmcnt(0)
	v_mov_b32_e32 v24, v23
	s_branch .LBB709_207
.LBB709_198:
	v_mov_b32_dpp v22, v45 row_shr:1 row_mask:0xf bank_mask:0xf
	v_cndmask_b32_e64 v22, v22, 0, s[14:15]
	v_add_u32_e32 v22, v22, v45
	s_nop 1
	v_mov_b32_dpp v23, v22 row_shr:2 row_mask:0xf bank_mask:0xf
	v_cndmask_b32_e64 v23, 0, v23, s[12:13]
	v_add_u32_e32 v22, v22, v23
	s_nop 1
	;; [unrolled: 4-line block ×4, first 2 shown]
	v_mov_b32_dpp v23, v22 row_bcast:15 row_mask:0xf bank_mask:0xf
	v_cndmask_b32_e64 v23, v23, 0, s[6:7]
	v_add_u32_e32 v22, v22, v23
	s_nop 1
	v_mov_b32_dpp v23, v22 row_bcast:31 row_mask:0xf bank_mask:0xf
	v_cndmask_b32_e64 v23, 0, v23, s[2:3]
	v_add_u32_e32 v22, v22, v23
	s_and_saveexec_b64 s[0:1], s[4:5]
; %bb.199:
	v_lshlrev_b32_e32 v23, 2, v44
	ds_write_b32 v23, v22
; %bb.200:
	s_or_b64 exec, exec, s[0:1]
	v_cmp_gt_u32_e32 vcc, 8, v0
	s_waitcnt lgkmcnt(0)
	s_barrier
	s_and_saveexec_b64 s[0:1], vcc
	s_cbranch_execz .LBB709_202
; %bb.201:
	v_lshlrev_b32_e32 v23, 2, v0
	ds_read_b32 v24, v23
	v_and_b32_e32 v25, 7, v43
	v_cmp_ne_u32_e32 vcc, 0, v25
	s_waitcnt lgkmcnt(0)
	v_mov_b32_dpp v26, v24 row_shr:1 row_mask:0xf bank_mask:0xf
	v_cndmask_b32_e32 v26, 0, v26, vcc
	v_add_u32_e32 v24, v26, v24
	v_cmp_lt_u32_e32 vcc, 1, v25
	s_nop 0
	v_mov_b32_dpp v26, v24 row_shr:2 row_mask:0xf bank_mask:0xf
	v_cndmask_b32_e32 v26, 0, v26, vcc
	v_add_u32_e32 v24, v24, v26
	v_cmp_lt_u32_e32 vcc, 3, v25
	s_nop 0
	v_mov_b32_dpp v26, v24 row_shr:4 row_mask:0xf bank_mask:0xf
	v_cndmask_b32_e32 v25, 0, v26, vcc
	v_add_u32_e32 v24, v24, v25
	ds_write_b32 v23, v24
.LBB709_202:
	s_or_b64 exec, exec, s[0:1]
	v_cmp_lt_u32_e32 vcc, 63, v0
	v_mov_b32_e32 v23, 0
	v_mov_b32_e32 v24, 0
	s_waitcnt lgkmcnt(0)
	s_barrier
	s_and_saveexec_b64 s[0:1], vcc
; %bb.203:
	v_lshl_add_u32 v24, v44, 2, -4
	ds_read_b32 v24, v24
; %bb.204:
	s_or_b64 exec, exec, s[0:1]
	v_subrev_co_u32_e32 v25, vcc, 1, v43
	v_and_b32_e32 v26, 64, v43
	v_cmp_lt_i32_e64 s[0:1], v25, v26
	s_waitcnt lgkmcnt(0)
	v_add_u32_e32 v22, v24, v22
	v_cndmask_b32_e64 v25, v25, v43, s[0:1]
	v_lshlrev_b32_e32 v25, 2, v25
	ds_bpermute_b32 v25, v25, v22
	ds_read_b32 v22, v23 offset:28
	s_and_saveexec_b64 s[0:1], s[18:19]
	s_cbranch_execz .LBB709_206
; %bb.205:
	v_mov_b32_e32 v26, 0
	v_mov_b32_e32 v23, 2
	s_waitcnt lgkmcnt(0)
	global_store_dwordx2 v26, v[22:23], s[30:31] offset:512 sc1
.LBB709_206:
	s_or_b64 exec, exec, s[0:1]
	s_waitcnt lgkmcnt(1)
	v_cndmask_b32_e32 v23, v25, v24, vcc
	v_cndmask_b32_e64 v38, v23, 0, s[18:19]
	v_add_u32_e32 v36, v38, v1
	v_add_u32_e32 v34, v36, v21
	v_add_u32_e32 v32, v34, v33
	v_add_u32_e32 v30, v32, v35
	v_add_u32_e32 v28, v30, v37
	v_add_u32_e32 v26, v28, v39
	s_waitcnt lgkmcnt(0)
	s_barrier
	v_mov_b32_e32 v24, 0
.LBB709_207:
	s_movk_i32 s0, 0x201
	v_cmp_gt_u32_e32 vcc, s0, v22
	v_and_b32_e32 v1, 1, v16
	s_mov_b64 s[2:3], -1
	v_cmp_eq_u32_e64 s[0:1], 1, v1
	s_cbranch_vccnz .LBB709_211
; %bb.208:
	s_and_b64 vcc, exec, s[2:3]
	s_cbranch_vccnz .LBB709_226
.LBB709_209:
	s_and_b64 s[0:1], s[18:19], s[24:25]
	s_and_saveexec_b64 s[2:3], s[0:1]
	s_cbranch_execnz .LBB709_243
.LBB709_210:
	s_endpgm
.LBB709_211:
	v_add_u32_e32 v16, v24, v22
	v_cmp_lt_u32_e32 vcc, v38, v16
	s_or_b64 s[2:3], s[36:37], vcc
	s_and_b64 s[2:3], s[2:3], s[0:1]
	s_and_saveexec_b64 s[0:1], s[2:3]
	s_cbranch_execz .LBB709_213
; %bb.212:
	s_lshl_b64 s[2:3], s[22:23], 3
	s_add_u32 s2, s34, s2
	s_addc_u32 s3, s35, s3
	v_mov_b32_e32 v39, 0
	v_lshl_add_u64 v[44:45], v[38:39], 3, s[2:3]
	global_store_dwordx2 v[44:45], v[10:11], off
.LBB709_213:
	s_or_b64 exec, exec, s[0:1]
	v_cmp_lt_u32_e32 vcc, v36, v16
	v_and_b32_e32 v21, 1, v42
	s_or_b64 s[0:1], s[36:37], vcc
	v_cmp_eq_u32_e32 vcc, 1, v21
	s_and_b64 s[2:3], s[0:1], vcc
	s_and_saveexec_b64 s[0:1], s[2:3]
	s_cbranch_execz .LBB709_215
; %bb.214:
	s_lshl_b64 s[2:3], s[22:23], 3
	s_add_u32 s2, s34, s2
	s_addc_u32 s3, s35, s3
	v_mov_b32_e32 v37, 0
	v_lshl_add_u64 v[44:45], v[36:37], 3, s[2:3]
	global_store_dwordx2 v[44:45], v[12:13], off
.LBB709_215:
	s_or_b64 exec, exec, s[0:1]
	v_cmp_lt_u32_e32 vcc, v34, v16
	v_and_b32_e32 v21, 1, v41
	s_or_b64 s[0:1], s[36:37], vcc
	v_cmp_eq_u32_e32 vcc, 1, v21
	s_and_b64 s[2:3], s[0:1], vcc
	;; [unrolled: 16-line block ×6, first 2 shown]
	s_and_saveexec_b64 s[0:1], s[2:3]
	s_cbranch_execz .LBB709_225
; %bb.224:
	s_lshl_b64 s[2:3], s[22:23], 3
	s_add_u32 s2, s34, s2
	s_addc_u32 s3, s35, s3
	v_mov_b32_e32 v27, 0
	v_lshl_add_u64 v[44:45], v[26:27], 3, s[2:3]
	global_store_dwordx2 v[44:45], v[14:15], off
.LBB709_225:
	s_or_b64 exec, exec, s[0:1]
	s_branch .LBB709_209
.LBB709_226:
	v_cmp_eq_u32_e32 vcc, 1, v1
	s_and_saveexec_b64 s[0:1], vcc
; %bb.227:
	v_sub_u32_e32 v1, v38, v24
	v_lshlrev_b32_e32 v1, 3, v1
	ds_write_b64 v1, v[10:11]
; %bb.228:
	s_or_b64 exec, exec, s[0:1]
	v_and_b32_e32 v1, 1, v42
	v_cmp_eq_u32_e32 vcc, 1, v1
	s_and_saveexec_b64 s[0:1], vcc
; %bb.229:
	v_sub_u32_e32 v1, v36, v24
	v_lshlrev_b32_e32 v1, 3, v1
	ds_write_b64 v1, v[12:13]
; %bb.230:
	s_or_b64 exec, exec, s[0:1]
	v_and_b32_e32 v1, 1, v41
	;; [unrolled: 9-line block ×6, first 2 shown]
	v_cmp_eq_u32_e32 vcc, 1, v1
	s_and_saveexec_b64 s[0:1], vcc
; %bb.239:
	v_sub_u32_e32 v1, v26, v24
	v_lshlrev_b32_e32 v1, 3, v1
	ds_write_b64 v1, v[14:15]
; %bb.240:
	s_or_b64 exec, exec, s[0:1]
	v_mov_b32_e32 v25, 0
	s_lshl_b64 s[0:1], s[22:23], 3
	v_lshlrev_b64 v[2:3], 3, v[24:25]
	v_lshl_add_u64 v[2:3], s[0:1], 0, v[2:3]
	v_mov_b32_e32 v19, v25
	v_lshl_add_u64 v[2:3], s[34:35], 0, v[2:3]
	v_lshl_add_u64 v[2:3], v[2:3], 0, v[18:19]
	s_mov_b64 s[0:1], 0
	s_mov_b64 s[2:3], 0x1000
	s_waitcnt lgkmcnt(0)
	s_barrier
.LBB709_241:                            ; =>This Inner Loop Header: Depth=1
	ds_read_b64 v[4:5], v18
	v_add_u32_e32 v0, 0x200, v0
	v_cmp_ge_u32_e32 vcc, v0, v22
	v_add_u32_e32 v18, 0x1000, v18
	s_or_b64 s[0:1], vcc, s[0:1]
	s_waitcnt lgkmcnt(0)
	global_store_dwordx2 v[2:3], v[4:5], off
	v_lshl_add_u64 v[2:3], v[2:3], 0, s[2:3]
	s_andn2_b64 exec, exec, s[0:1]
	s_cbranch_execnz .LBB709_241
; %bb.242:
	s_or_b64 exec, exec, s[0:1]
	s_and_b64 s[0:1], s[18:19], s[24:25]
	s_and_saveexec_b64 s[2:3], s[0:1]
	s_cbranch_execz .LBB709_210
.LBB709_243:
	v_mov_b32_e32 v23, 0
	v_lshl_add_u64 v[0:1], s[22:23], 0, v[22:23]
	v_mov_b32_e32 v25, v23
	v_lshl_add_u64 v[0:1], v[0:1], 0, v[24:25]
	global_store_dwordx2 v23, v[0:1], s[20:21]
	s_endpgm
	.section	.rodata,"a",@progbits
	.p2align	6, 0x0
	.amdhsa_kernel _ZN7rocprim17ROCPRIM_400000_NS6detail17trampoline_kernelINS0_14default_configENS1_25partition_config_selectorILNS1_17partition_subalgoE8ElNS0_10empty_typeEbEEZZNS1_14partition_implILS5_8ELb0ES3_jPlPS6_PKS6_NS0_5tupleIJS9_S6_EEENSD_IJSA_SA_EEENS0_18inequality_wrapperIZN2at6native12_GLOBAL__N_124unique_dim_cuda_templateIsEESt5tupleIJNSH_6TensorESM_SM_EERKSM_lbbbEUlllE0_EEPmJS6_EEE10hipError_tPvRmT3_T4_T5_T6_T7_T9_mT8_P12ihipStream_tbDpT10_ENKUlT_T0_E_clISt17integral_constantIbLb0EES1B_IbLb1EEEEDaS17_S18_EUlS17_E_NS1_11comp_targetILNS1_3genE0ELNS1_11target_archE4294967295ELNS1_3gpuE0ELNS1_3repE0EEENS1_30default_config_static_selectorELNS0_4arch9wavefront6targetE1EEEvT1_
		.amdhsa_group_segment_fixed_size 28680
		.amdhsa_private_segment_fixed_size 0
		.amdhsa_kernarg_size 136
		.amdhsa_user_sgpr_count 2
		.amdhsa_user_sgpr_dispatch_ptr 0
		.amdhsa_user_sgpr_queue_ptr 0
		.amdhsa_user_sgpr_kernarg_segment_ptr 1
		.amdhsa_user_sgpr_dispatch_id 0
		.amdhsa_user_sgpr_kernarg_preload_length 0
		.amdhsa_user_sgpr_kernarg_preload_offset 0
		.amdhsa_user_sgpr_private_segment_size 0
		.amdhsa_uses_dynamic_stack 0
		.amdhsa_enable_private_segment 0
		.amdhsa_system_sgpr_workgroup_id_x 1
		.amdhsa_system_sgpr_workgroup_id_y 0
		.amdhsa_system_sgpr_workgroup_id_z 0
		.amdhsa_system_sgpr_workgroup_info 0
		.amdhsa_system_vgpr_workitem_id 0
		.amdhsa_next_free_vgpr 58
		.amdhsa_next_free_sgpr 54
		.amdhsa_accum_offset 60
		.amdhsa_reserve_vcc 1
		.amdhsa_float_round_mode_32 0
		.amdhsa_float_round_mode_16_64 0
		.amdhsa_float_denorm_mode_32 3
		.amdhsa_float_denorm_mode_16_64 3
		.amdhsa_dx10_clamp 1
		.amdhsa_ieee_mode 1
		.amdhsa_fp16_overflow 0
		.amdhsa_tg_split 0
		.amdhsa_exception_fp_ieee_invalid_op 0
		.amdhsa_exception_fp_denorm_src 0
		.amdhsa_exception_fp_ieee_div_zero 0
		.amdhsa_exception_fp_ieee_overflow 0
		.amdhsa_exception_fp_ieee_underflow 0
		.amdhsa_exception_fp_ieee_inexact 0
		.amdhsa_exception_int_div_zero 0
	.end_amdhsa_kernel
	.section	.text._ZN7rocprim17ROCPRIM_400000_NS6detail17trampoline_kernelINS0_14default_configENS1_25partition_config_selectorILNS1_17partition_subalgoE8ElNS0_10empty_typeEbEEZZNS1_14partition_implILS5_8ELb0ES3_jPlPS6_PKS6_NS0_5tupleIJS9_S6_EEENSD_IJSA_SA_EEENS0_18inequality_wrapperIZN2at6native12_GLOBAL__N_124unique_dim_cuda_templateIsEESt5tupleIJNSH_6TensorESM_SM_EERKSM_lbbbEUlllE0_EEPmJS6_EEE10hipError_tPvRmT3_T4_T5_T6_T7_T9_mT8_P12ihipStream_tbDpT10_ENKUlT_T0_E_clISt17integral_constantIbLb0EES1B_IbLb1EEEEDaS17_S18_EUlS17_E_NS1_11comp_targetILNS1_3genE0ELNS1_11target_archE4294967295ELNS1_3gpuE0ELNS1_3repE0EEENS1_30default_config_static_selectorELNS0_4arch9wavefront6targetE1EEEvT1_,"axG",@progbits,_ZN7rocprim17ROCPRIM_400000_NS6detail17trampoline_kernelINS0_14default_configENS1_25partition_config_selectorILNS1_17partition_subalgoE8ElNS0_10empty_typeEbEEZZNS1_14partition_implILS5_8ELb0ES3_jPlPS6_PKS6_NS0_5tupleIJS9_S6_EEENSD_IJSA_SA_EEENS0_18inequality_wrapperIZN2at6native12_GLOBAL__N_124unique_dim_cuda_templateIsEESt5tupleIJNSH_6TensorESM_SM_EERKSM_lbbbEUlllE0_EEPmJS6_EEE10hipError_tPvRmT3_T4_T5_T6_T7_T9_mT8_P12ihipStream_tbDpT10_ENKUlT_T0_E_clISt17integral_constantIbLb0EES1B_IbLb1EEEEDaS17_S18_EUlS17_E_NS1_11comp_targetILNS1_3genE0ELNS1_11target_archE4294967295ELNS1_3gpuE0ELNS1_3repE0EEENS1_30default_config_static_selectorELNS0_4arch9wavefront6targetE1EEEvT1_,comdat
.Lfunc_end709:
	.size	_ZN7rocprim17ROCPRIM_400000_NS6detail17trampoline_kernelINS0_14default_configENS1_25partition_config_selectorILNS1_17partition_subalgoE8ElNS0_10empty_typeEbEEZZNS1_14partition_implILS5_8ELb0ES3_jPlPS6_PKS6_NS0_5tupleIJS9_S6_EEENSD_IJSA_SA_EEENS0_18inequality_wrapperIZN2at6native12_GLOBAL__N_124unique_dim_cuda_templateIsEESt5tupleIJNSH_6TensorESM_SM_EERKSM_lbbbEUlllE0_EEPmJS6_EEE10hipError_tPvRmT3_T4_T5_T6_T7_T9_mT8_P12ihipStream_tbDpT10_ENKUlT_T0_E_clISt17integral_constantIbLb0EES1B_IbLb1EEEEDaS17_S18_EUlS17_E_NS1_11comp_targetILNS1_3genE0ELNS1_11target_archE4294967295ELNS1_3gpuE0ELNS1_3repE0EEENS1_30default_config_static_selectorELNS0_4arch9wavefront6targetE1EEEvT1_, .Lfunc_end709-_ZN7rocprim17ROCPRIM_400000_NS6detail17trampoline_kernelINS0_14default_configENS1_25partition_config_selectorILNS1_17partition_subalgoE8ElNS0_10empty_typeEbEEZZNS1_14partition_implILS5_8ELb0ES3_jPlPS6_PKS6_NS0_5tupleIJS9_S6_EEENSD_IJSA_SA_EEENS0_18inequality_wrapperIZN2at6native12_GLOBAL__N_124unique_dim_cuda_templateIsEESt5tupleIJNSH_6TensorESM_SM_EERKSM_lbbbEUlllE0_EEPmJS6_EEE10hipError_tPvRmT3_T4_T5_T6_T7_T9_mT8_P12ihipStream_tbDpT10_ENKUlT_T0_E_clISt17integral_constantIbLb0EES1B_IbLb1EEEEDaS17_S18_EUlS17_E_NS1_11comp_targetILNS1_3genE0ELNS1_11target_archE4294967295ELNS1_3gpuE0ELNS1_3repE0EEENS1_30default_config_static_selectorELNS0_4arch9wavefront6targetE1EEEvT1_
                                        ; -- End function
	.set _ZN7rocprim17ROCPRIM_400000_NS6detail17trampoline_kernelINS0_14default_configENS1_25partition_config_selectorILNS1_17partition_subalgoE8ElNS0_10empty_typeEbEEZZNS1_14partition_implILS5_8ELb0ES3_jPlPS6_PKS6_NS0_5tupleIJS9_S6_EEENSD_IJSA_SA_EEENS0_18inequality_wrapperIZN2at6native12_GLOBAL__N_124unique_dim_cuda_templateIsEESt5tupleIJNSH_6TensorESM_SM_EERKSM_lbbbEUlllE0_EEPmJS6_EEE10hipError_tPvRmT3_T4_T5_T6_T7_T9_mT8_P12ihipStream_tbDpT10_ENKUlT_T0_E_clISt17integral_constantIbLb0EES1B_IbLb1EEEEDaS17_S18_EUlS17_E_NS1_11comp_targetILNS1_3genE0ELNS1_11target_archE4294967295ELNS1_3gpuE0ELNS1_3repE0EEENS1_30default_config_static_selectorELNS0_4arch9wavefront6targetE1EEEvT1_.num_vgpr, 58
	.set _ZN7rocprim17ROCPRIM_400000_NS6detail17trampoline_kernelINS0_14default_configENS1_25partition_config_selectorILNS1_17partition_subalgoE8ElNS0_10empty_typeEbEEZZNS1_14partition_implILS5_8ELb0ES3_jPlPS6_PKS6_NS0_5tupleIJS9_S6_EEENSD_IJSA_SA_EEENS0_18inequality_wrapperIZN2at6native12_GLOBAL__N_124unique_dim_cuda_templateIsEESt5tupleIJNSH_6TensorESM_SM_EERKSM_lbbbEUlllE0_EEPmJS6_EEE10hipError_tPvRmT3_T4_T5_T6_T7_T9_mT8_P12ihipStream_tbDpT10_ENKUlT_T0_E_clISt17integral_constantIbLb0EES1B_IbLb1EEEEDaS17_S18_EUlS17_E_NS1_11comp_targetILNS1_3genE0ELNS1_11target_archE4294967295ELNS1_3gpuE0ELNS1_3repE0EEENS1_30default_config_static_selectorELNS0_4arch9wavefront6targetE1EEEvT1_.num_agpr, 0
	.set _ZN7rocprim17ROCPRIM_400000_NS6detail17trampoline_kernelINS0_14default_configENS1_25partition_config_selectorILNS1_17partition_subalgoE8ElNS0_10empty_typeEbEEZZNS1_14partition_implILS5_8ELb0ES3_jPlPS6_PKS6_NS0_5tupleIJS9_S6_EEENSD_IJSA_SA_EEENS0_18inequality_wrapperIZN2at6native12_GLOBAL__N_124unique_dim_cuda_templateIsEESt5tupleIJNSH_6TensorESM_SM_EERKSM_lbbbEUlllE0_EEPmJS6_EEE10hipError_tPvRmT3_T4_T5_T6_T7_T9_mT8_P12ihipStream_tbDpT10_ENKUlT_T0_E_clISt17integral_constantIbLb0EES1B_IbLb1EEEEDaS17_S18_EUlS17_E_NS1_11comp_targetILNS1_3genE0ELNS1_11target_archE4294967295ELNS1_3gpuE0ELNS1_3repE0EEENS1_30default_config_static_selectorELNS0_4arch9wavefront6targetE1EEEvT1_.numbered_sgpr, 54
	.set _ZN7rocprim17ROCPRIM_400000_NS6detail17trampoline_kernelINS0_14default_configENS1_25partition_config_selectorILNS1_17partition_subalgoE8ElNS0_10empty_typeEbEEZZNS1_14partition_implILS5_8ELb0ES3_jPlPS6_PKS6_NS0_5tupleIJS9_S6_EEENSD_IJSA_SA_EEENS0_18inequality_wrapperIZN2at6native12_GLOBAL__N_124unique_dim_cuda_templateIsEESt5tupleIJNSH_6TensorESM_SM_EERKSM_lbbbEUlllE0_EEPmJS6_EEE10hipError_tPvRmT3_T4_T5_T6_T7_T9_mT8_P12ihipStream_tbDpT10_ENKUlT_T0_E_clISt17integral_constantIbLb0EES1B_IbLb1EEEEDaS17_S18_EUlS17_E_NS1_11comp_targetILNS1_3genE0ELNS1_11target_archE4294967295ELNS1_3gpuE0ELNS1_3repE0EEENS1_30default_config_static_selectorELNS0_4arch9wavefront6targetE1EEEvT1_.num_named_barrier, 0
	.set _ZN7rocprim17ROCPRIM_400000_NS6detail17trampoline_kernelINS0_14default_configENS1_25partition_config_selectorILNS1_17partition_subalgoE8ElNS0_10empty_typeEbEEZZNS1_14partition_implILS5_8ELb0ES3_jPlPS6_PKS6_NS0_5tupleIJS9_S6_EEENSD_IJSA_SA_EEENS0_18inequality_wrapperIZN2at6native12_GLOBAL__N_124unique_dim_cuda_templateIsEESt5tupleIJNSH_6TensorESM_SM_EERKSM_lbbbEUlllE0_EEPmJS6_EEE10hipError_tPvRmT3_T4_T5_T6_T7_T9_mT8_P12ihipStream_tbDpT10_ENKUlT_T0_E_clISt17integral_constantIbLb0EES1B_IbLb1EEEEDaS17_S18_EUlS17_E_NS1_11comp_targetILNS1_3genE0ELNS1_11target_archE4294967295ELNS1_3gpuE0ELNS1_3repE0EEENS1_30default_config_static_selectorELNS0_4arch9wavefront6targetE1EEEvT1_.private_seg_size, 0
	.set _ZN7rocprim17ROCPRIM_400000_NS6detail17trampoline_kernelINS0_14default_configENS1_25partition_config_selectorILNS1_17partition_subalgoE8ElNS0_10empty_typeEbEEZZNS1_14partition_implILS5_8ELb0ES3_jPlPS6_PKS6_NS0_5tupleIJS9_S6_EEENSD_IJSA_SA_EEENS0_18inequality_wrapperIZN2at6native12_GLOBAL__N_124unique_dim_cuda_templateIsEESt5tupleIJNSH_6TensorESM_SM_EERKSM_lbbbEUlllE0_EEPmJS6_EEE10hipError_tPvRmT3_T4_T5_T6_T7_T9_mT8_P12ihipStream_tbDpT10_ENKUlT_T0_E_clISt17integral_constantIbLb0EES1B_IbLb1EEEEDaS17_S18_EUlS17_E_NS1_11comp_targetILNS1_3genE0ELNS1_11target_archE4294967295ELNS1_3gpuE0ELNS1_3repE0EEENS1_30default_config_static_selectorELNS0_4arch9wavefront6targetE1EEEvT1_.uses_vcc, 1
	.set _ZN7rocprim17ROCPRIM_400000_NS6detail17trampoline_kernelINS0_14default_configENS1_25partition_config_selectorILNS1_17partition_subalgoE8ElNS0_10empty_typeEbEEZZNS1_14partition_implILS5_8ELb0ES3_jPlPS6_PKS6_NS0_5tupleIJS9_S6_EEENSD_IJSA_SA_EEENS0_18inequality_wrapperIZN2at6native12_GLOBAL__N_124unique_dim_cuda_templateIsEESt5tupleIJNSH_6TensorESM_SM_EERKSM_lbbbEUlllE0_EEPmJS6_EEE10hipError_tPvRmT3_T4_T5_T6_T7_T9_mT8_P12ihipStream_tbDpT10_ENKUlT_T0_E_clISt17integral_constantIbLb0EES1B_IbLb1EEEEDaS17_S18_EUlS17_E_NS1_11comp_targetILNS1_3genE0ELNS1_11target_archE4294967295ELNS1_3gpuE0ELNS1_3repE0EEENS1_30default_config_static_selectorELNS0_4arch9wavefront6targetE1EEEvT1_.uses_flat_scratch, 0
	.set _ZN7rocprim17ROCPRIM_400000_NS6detail17trampoline_kernelINS0_14default_configENS1_25partition_config_selectorILNS1_17partition_subalgoE8ElNS0_10empty_typeEbEEZZNS1_14partition_implILS5_8ELb0ES3_jPlPS6_PKS6_NS0_5tupleIJS9_S6_EEENSD_IJSA_SA_EEENS0_18inequality_wrapperIZN2at6native12_GLOBAL__N_124unique_dim_cuda_templateIsEESt5tupleIJNSH_6TensorESM_SM_EERKSM_lbbbEUlllE0_EEPmJS6_EEE10hipError_tPvRmT3_T4_T5_T6_T7_T9_mT8_P12ihipStream_tbDpT10_ENKUlT_T0_E_clISt17integral_constantIbLb0EES1B_IbLb1EEEEDaS17_S18_EUlS17_E_NS1_11comp_targetILNS1_3genE0ELNS1_11target_archE4294967295ELNS1_3gpuE0ELNS1_3repE0EEENS1_30default_config_static_selectorELNS0_4arch9wavefront6targetE1EEEvT1_.has_dyn_sized_stack, 0
	.set _ZN7rocprim17ROCPRIM_400000_NS6detail17trampoline_kernelINS0_14default_configENS1_25partition_config_selectorILNS1_17partition_subalgoE8ElNS0_10empty_typeEbEEZZNS1_14partition_implILS5_8ELb0ES3_jPlPS6_PKS6_NS0_5tupleIJS9_S6_EEENSD_IJSA_SA_EEENS0_18inequality_wrapperIZN2at6native12_GLOBAL__N_124unique_dim_cuda_templateIsEESt5tupleIJNSH_6TensorESM_SM_EERKSM_lbbbEUlllE0_EEPmJS6_EEE10hipError_tPvRmT3_T4_T5_T6_T7_T9_mT8_P12ihipStream_tbDpT10_ENKUlT_T0_E_clISt17integral_constantIbLb0EES1B_IbLb1EEEEDaS17_S18_EUlS17_E_NS1_11comp_targetILNS1_3genE0ELNS1_11target_archE4294967295ELNS1_3gpuE0ELNS1_3repE0EEENS1_30default_config_static_selectorELNS0_4arch9wavefront6targetE1EEEvT1_.has_recursion, 0
	.set _ZN7rocprim17ROCPRIM_400000_NS6detail17trampoline_kernelINS0_14default_configENS1_25partition_config_selectorILNS1_17partition_subalgoE8ElNS0_10empty_typeEbEEZZNS1_14partition_implILS5_8ELb0ES3_jPlPS6_PKS6_NS0_5tupleIJS9_S6_EEENSD_IJSA_SA_EEENS0_18inequality_wrapperIZN2at6native12_GLOBAL__N_124unique_dim_cuda_templateIsEESt5tupleIJNSH_6TensorESM_SM_EERKSM_lbbbEUlllE0_EEPmJS6_EEE10hipError_tPvRmT3_T4_T5_T6_T7_T9_mT8_P12ihipStream_tbDpT10_ENKUlT_T0_E_clISt17integral_constantIbLb0EES1B_IbLb1EEEEDaS17_S18_EUlS17_E_NS1_11comp_targetILNS1_3genE0ELNS1_11target_archE4294967295ELNS1_3gpuE0ELNS1_3repE0EEENS1_30default_config_static_selectorELNS0_4arch9wavefront6targetE1EEEvT1_.has_indirect_call, 0
	.section	.AMDGPU.csdata,"",@progbits
; Kernel info:
; codeLenInByte = 11008
; TotalNumSgprs: 60
; NumVgprs: 58
; NumAgprs: 0
; TotalNumVgprs: 58
; ScratchSize: 0
; MemoryBound: 0
; FloatMode: 240
; IeeeMode: 1
; LDSByteSize: 28680 bytes/workgroup (compile time only)
; SGPRBlocks: 7
; VGPRBlocks: 7
; NumSGPRsForWavesPerEU: 60
; NumVGPRsForWavesPerEU: 58
; AccumOffset: 60
; Occupancy: 8
; WaveLimiterHint : 1
; COMPUTE_PGM_RSRC2:SCRATCH_EN: 0
; COMPUTE_PGM_RSRC2:USER_SGPR: 2
; COMPUTE_PGM_RSRC2:TRAP_HANDLER: 0
; COMPUTE_PGM_RSRC2:TGID_X_EN: 1
; COMPUTE_PGM_RSRC2:TGID_Y_EN: 0
; COMPUTE_PGM_RSRC2:TGID_Z_EN: 0
; COMPUTE_PGM_RSRC2:TIDIG_COMP_CNT: 0
; COMPUTE_PGM_RSRC3_GFX90A:ACCUM_OFFSET: 14
; COMPUTE_PGM_RSRC3_GFX90A:TG_SPLIT: 0
	.section	.text._ZN7rocprim17ROCPRIM_400000_NS6detail17trampoline_kernelINS0_14default_configENS1_25partition_config_selectorILNS1_17partition_subalgoE8ElNS0_10empty_typeEbEEZZNS1_14partition_implILS5_8ELb0ES3_jPlPS6_PKS6_NS0_5tupleIJS9_S6_EEENSD_IJSA_SA_EEENS0_18inequality_wrapperIZN2at6native12_GLOBAL__N_124unique_dim_cuda_templateIsEESt5tupleIJNSH_6TensorESM_SM_EERKSM_lbbbEUlllE0_EEPmJS6_EEE10hipError_tPvRmT3_T4_T5_T6_T7_T9_mT8_P12ihipStream_tbDpT10_ENKUlT_T0_E_clISt17integral_constantIbLb0EES1B_IbLb1EEEEDaS17_S18_EUlS17_E_NS1_11comp_targetILNS1_3genE5ELNS1_11target_archE942ELNS1_3gpuE9ELNS1_3repE0EEENS1_30default_config_static_selectorELNS0_4arch9wavefront6targetE1EEEvT1_,"axG",@progbits,_ZN7rocprim17ROCPRIM_400000_NS6detail17trampoline_kernelINS0_14default_configENS1_25partition_config_selectorILNS1_17partition_subalgoE8ElNS0_10empty_typeEbEEZZNS1_14partition_implILS5_8ELb0ES3_jPlPS6_PKS6_NS0_5tupleIJS9_S6_EEENSD_IJSA_SA_EEENS0_18inequality_wrapperIZN2at6native12_GLOBAL__N_124unique_dim_cuda_templateIsEESt5tupleIJNSH_6TensorESM_SM_EERKSM_lbbbEUlllE0_EEPmJS6_EEE10hipError_tPvRmT3_T4_T5_T6_T7_T9_mT8_P12ihipStream_tbDpT10_ENKUlT_T0_E_clISt17integral_constantIbLb0EES1B_IbLb1EEEEDaS17_S18_EUlS17_E_NS1_11comp_targetILNS1_3genE5ELNS1_11target_archE942ELNS1_3gpuE9ELNS1_3repE0EEENS1_30default_config_static_selectorELNS0_4arch9wavefront6targetE1EEEvT1_,comdat
	.globl	_ZN7rocprim17ROCPRIM_400000_NS6detail17trampoline_kernelINS0_14default_configENS1_25partition_config_selectorILNS1_17partition_subalgoE8ElNS0_10empty_typeEbEEZZNS1_14partition_implILS5_8ELb0ES3_jPlPS6_PKS6_NS0_5tupleIJS9_S6_EEENSD_IJSA_SA_EEENS0_18inequality_wrapperIZN2at6native12_GLOBAL__N_124unique_dim_cuda_templateIsEESt5tupleIJNSH_6TensorESM_SM_EERKSM_lbbbEUlllE0_EEPmJS6_EEE10hipError_tPvRmT3_T4_T5_T6_T7_T9_mT8_P12ihipStream_tbDpT10_ENKUlT_T0_E_clISt17integral_constantIbLb0EES1B_IbLb1EEEEDaS17_S18_EUlS17_E_NS1_11comp_targetILNS1_3genE5ELNS1_11target_archE942ELNS1_3gpuE9ELNS1_3repE0EEENS1_30default_config_static_selectorELNS0_4arch9wavefront6targetE1EEEvT1_ ; -- Begin function _ZN7rocprim17ROCPRIM_400000_NS6detail17trampoline_kernelINS0_14default_configENS1_25partition_config_selectorILNS1_17partition_subalgoE8ElNS0_10empty_typeEbEEZZNS1_14partition_implILS5_8ELb0ES3_jPlPS6_PKS6_NS0_5tupleIJS9_S6_EEENSD_IJSA_SA_EEENS0_18inequality_wrapperIZN2at6native12_GLOBAL__N_124unique_dim_cuda_templateIsEESt5tupleIJNSH_6TensorESM_SM_EERKSM_lbbbEUlllE0_EEPmJS6_EEE10hipError_tPvRmT3_T4_T5_T6_T7_T9_mT8_P12ihipStream_tbDpT10_ENKUlT_T0_E_clISt17integral_constantIbLb0EES1B_IbLb1EEEEDaS17_S18_EUlS17_E_NS1_11comp_targetILNS1_3genE5ELNS1_11target_archE942ELNS1_3gpuE9ELNS1_3repE0EEENS1_30default_config_static_selectorELNS0_4arch9wavefront6targetE1EEEvT1_
	.p2align	8
	.type	_ZN7rocprim17ROCPRIM_400000_NS6detail17trampoline_kernelINS0_14default_configENS1_25partition_config_selectorILNS1_17partition_subalgoE8ElNS0_10empty_typeEbEEZZNS1_14partition_implILS5_8ELb0ES3_jPlPS6_PKS6_NS0_5tupleIJS9_S6_EEENSD_IJSA_SA_EEENS0_18inequality_wrapperIZN2at6native12_GLOBAL__N_124unique_dim_cuda_templateIsEESt5tupleIJNSH_6TensorESM_SM_EERKSM_lbbbEUlllE0_EEPmJS6_EEE10hipError_tPvRmT3_T4_T5_T6_T7_T9_mT8_P12ihipStream_tbDpT10_ENKUlT_T0_E_clISt17integral_constantIbLb0EES1B_IbLb1EEEEDaS17_S18_EUlS17_E_NS1_11comp_targetILNS1_3genE5ELNS1_11target_archE942ELNS1_3gpuE9ELNS1_3repE0EEENS1_30default_config_static_selectorELNS0_4arch9wavefront6targetE1EEEvT1_,@function
_ZN7rocprim17ROCPRIM_400000_NS6detail17trampoline_kernelINS0_14default_configENS1_25partition_config_selectorILNS1_17partition_subalgoE8ElNS0_10empty_typeEbEEZZNS1_14partition_implILS5_8ELb0ES3_jPlPS6_PKS6_NS0_5tupleIJS9_S6_EEENSD_IJSA_SA_EEENS0_18inequality_wrapperIZN2at6native12_GLOBAL__N_124unique_dim_cuda_templateIsEESt5tupleIJNSH_6TensorESM_SM_EERKSM_lbbbEUlllE0_EEPmJS6_EEE10hipError_tPvRmT3_T4_T5_T6_T7_T9_mT8_P12ihipStream_tbDpT10_ENKUlT_T0_E_clISt17integral_constantIbLb0EES1B_IbLb1EEEEDaS17_S18_EUlS17_E_NS1_11comp_targetILNS1_3genE5ELNS1_11target_archE942ELNS1_3gpuE9ELNS1_3repE0EEENS1_30default_config_static_selectorELNS0_4arch9wavefront6targetE1EEEvT1_: ; @_ZN7rocprim17ROCPRIM_400000_NS6detail17trampoline_kernelINS0_14default_configENS1_25partition_config_selectorILNS1_17partition_subalgoE8ElNS0_10empty_typeEbEEZZNS1_14partition_implILS5_8ELb0ES3_jPlPS6_PKS6_NS0_5tupleIJS9_S6_EEENSD_IJSA_SA_EEENS0_18inequality_wrapperIZN2at6native12_GLOBAL__N_124unique_dim_cuda_templateIsEESt5tupleIJNSH_6TensorESM_SM_EERKSM_lbbbEUlllE0_EEPmJS6_EEE10hipError_tPvRmT3_T4_T5_T6_T7_T9_mT8_P12ihipStream_tbDpT10_ENKUlT_T0_E_clISt17integral_constantIbLb0EES1B_IbLb1EEEEDaS17_S18_EUlS17_E_NS1_11comp_targetILNS1_3genE5ELNS1_11target_archE942ELNS1_3gpuE9ELNS1_3repE0EEENS1_30default_config_static_selectorELNS0_4arch9wavefront6targetE1EEEvT1_
; %bb.0:
	.section	.rodata,"a",@progbits
	.p2align	6, 0x0
	.amdhsa_kernel _ZN7rocprim17ROCPRIM_400000_NS6detail17trampoline_kernelINS0_14default_configENS1_25partition_config_selectorILNS1_17partition_subalgoE8ElNS0_10empty_typeEbEEZZNS1_14partition_implILS5_8ELb0ES3_jPlPS6_PKS6_NS0_5tupleIJS9_S6_EEENSD_IJSA_SA_EEENS0_18inequality_wrapperIZN2at6native12_GLOBAL__N_124unique_dim_cuda_templateIsEESt5tupleIJNSH_6TensorESM_SM_EERKSM_lbbbEUlllE0_EEPmJS6_EEE10hipError_tPvRmT3_T4_T5_T6_T7_T9_mT8_P12ihipStream_tbDpT10_ENKUlT_T0_E_clISt17integral_constantIbLb0EES1B_IbLb1EEEEDaS17_S18_EUlS17_E_NS1_11comp_targetILNS1_3genE5ELNS1_11target_archE942ELNS1_3gpuE9ELNS1_3repE0EEENS1_30default_config_static_selectorELNS0_4arch9wavefront6targetE1EEEvT1_
		.amdhsa_group_segment_fixed_size 0
		.amdhsa_private_segment_fixed_size 0
		.amdhsa_kernarg_size 136
		.amdhsa_user_sgpr_count 2
		.amdhsa_user_sgpr_dispatch_ptr 0
		.amdhsa_user_sgpr_queue_ptr 0
		.amdhsa_user_sgpr_kernarg_segment_ptr 1
		.amdhsa_user_sgpr_dispatch_id 0
		.amdhsa_user_sgpr_kernarg_preload_length 0
		.amdhsa_user_sgpr_kernarg_preload_offset 0
		.amdhsa_user_sgpr_private_segment_size 0
		.amdhsa_uses_dynamic_stack 0
		.amdhsa_enable_private_segment 0
		.amdhsa_system_sgpr_workgroup_id_x 1
		.amdhsa_system_sgpr_workgroup_id_y 0
		.amdhsa_system_sgpr_workgroup_id_z 0
		.amdhsa_system_sgpr_workgroup_info 0
		.amdhsa_system_vgpr_workitem_id 0
		.amdhsa_next_free_vgpr 1
		.amdhsa_next_free_sgpr 0
		.amdhsa_accum_offset 4
		.amdhsa_reserve_vcc 0
		.amdhsa_float_round_mode_32 0
		.amdhsa_float_round_mode_16_64 0
		.amdhsa_float_denorm_mode_32 3
		.amdhsa_float_denorm_mode_16_64 3
		.amdhsa_dx10_clamp 1
		.amdhsa_ieee_mode 1
		.amdhsa_fp16_overflow 0
		.amdhsa_tg_split 0
		.amdhsa_exception_fp_ieee_invalid_op 0
		.amdhsa_exception_fp_denorm_src 0
		.amdhsa_exception_fp_ieee_div_zero 0
		.amdhsa_exception_fp_ieee_overflow 0
		.amdhsa_exception_fp_ieee_underflow 0
		.amdhsa_exception_fp_ieee_inexact 0
		.amdhsa_exception_int_div_zero 0
	.end_amdhsa_kernel
	.section	.text._ZN7rocprim17ROCPRIM_400000_NS6detail17trampoline_kernelINS0_14default_configENS1_25partition_config_selectorILNS1_17partition_subalgoE8ElNS0_10empty_typeEbEEZZNS1_14partition_implILS5_8ELb0ES3_jPlPS6_PKS6_NS0_5tupleIJS9_S6_EEENSD_IJSA_SA_EEENS0_18inequality_wrapperIZN2at6native12_GLOBAL__N_124unique_dim_cuda_templateIsEESt5tupleIJNSH_6TensorESM_SM_EERKSM_lbbbEUlllE0_EEPmJS6_EEE10hipError_tPvRmT3_T4_T5_T6_T7_T9_mT8_P12ihipStream_tbDpT10_ENKUlT_T0_E_clISt17integral_constantIbLb0EES1B_IbLb1EEEEDaS17_S18_EUlS17_E_NS1_11comp_targetILNS1_3genE5ELNS1_11target_archE942ELNS1_3gpuE9ELNS1_3repE0EEENS1_30default_config_static_selectorELNS0_4arch9wavefront6targetE1EEEvT1_,"axG",@progbits,_ZN7rocprim17ROCPRIM_400000_NS6detail17trampoline_kernelINS0_14default_configENS1_25partition_config_selectorILNS1_17partition_subalgoE8ElNS0_10empty_typeEbEEZZNS1_14partition_implILS5_8ELb0ES3_jPlPS6_PKS6_NS0_5tupleIJS9_S6_EEENSD_IJSA_SA_EEENS0_18inequality_wrapperIZN2at6native12_GLOBAL__N_124unique_dim_cuda_templateIsEESt5tupleIJNSH_6TensorESM_SM_EERKSM_lbbbEUlllE0_EEPmJS6_EEE10hipError_tPvRmT3_T4_T5_T6_T7_T9_mT8_P12ihipStream_tbDpT10_ENKUlT_T0_E_clISt17integral_constantIbLb0EES1B_IbLb1EEEEDaS17_S18_EUlS17_E_NS1_11comp_targetILNS1_3genE5ELNS1_11target_archE942ELNS1_3gpuE9ELNS1_3repE0EEENS1_30default_config_static_selectorELNS0_4arch9wavefront6targetE1EEEvT1_,comdat
.Lfunc_end710:
	.size	_ZN7rocprim17ROCPRIM_400000_NS6detail17trampoline_kernelINS0_14default_configENS1_25partition_config_selectorILNS1_17partition_subalgoE8ElNS0_10empty_typeEbEEZZNS1_14partition_implILS5_8ELb0ES3_jPlPS6_PKS6_NS0_5tupleIJS9_S6_EEENSD_IJSA_SA_EEENS0_18inequality_wrapperIZN2at6native12_GLOBAL__N_124unique_dim_cuda_templateIsEESt5tupleIJNSH_6TensorESM_SM_EERKSM_lbbbEUlllE0_EEPmJS6_EEE10hipError_tPvRmT3_T4_T5_T6_T7_T9_mT8_P12ihipStream_tbDpT10_ENKUlT_T0_E_clISt17integral_constantIbLb0EES1B_IbLb1EEEEDaS17_S18_EUlS17_E_NS1_11comp_targetILNS1_3genE5ELNS1_11target_archE942ELNS1_3gpuE9ELNS1_3repE0EEENS1_30default_config_static_selectorELNS0_4arch9wavefront6targetE1EEEvT1_, .Lfunc_end710-_ZN7rocprim17ROCPRIM_400000_NS6detail17trampoline_kernelINS0_14default_configENS1_25partition_config_selectorILNS1_17partition_subalgoE8ElNS0_10empty_typeEbEEZZNS1_14partition_implILS5_8ELb0ES3_jPlPS6_PKS6_NS0_5tupleIJS9_S6_EEENSD_IJSA_SA_EEENS0_18inequality_wrapperIZN2at6native12_GLOBAL__N_124unique_dim_cuda_templateIsEESt5tupleIJNSH_6TensorESM_SM_EERKSM_lbbbEUlllE0_EEPmJS6_EEE10hipError_tPvRmT3_T4_T5_T6_T7_T9_mT8_P12ihipStream_tbDpT10_ENKUlT_T0_E_clISt17integral_constantIbLb0EES1B_IbLb1EEEEDaS17_S18_EUlS17_E_NS1_11comp_targetILNS1_3genE5ELNS1_11target_archE942ELNS1_3gpuE9ELNS1_3repE0EEENS1_30default_config_static_selectorELNS0_4arch9wavefront6targetE1EEEvT1_
                                        ; -- End function
	.set _ZN7rocprim17ROCPRIM_400000_NS6detail17trampoline_kernelINS0_14default_configENS1_25partition_config_selectorILNS1_17partition_subalgoE8ElNS0_10empty_typeEbEEZZNS1_14partition_implILS5_8ELb0ES3_jPlPS6_PKS6_NS0_5tupleIJS9_S6_EEENSD_IJSA_SA_EEENS0_18inequality_wrapperIZN2at6native12_GLOBAL__N_124unique_dim_cuda_templateIsEESt5tupleIJNSH_6TensorESM_SM_EERKSM_lbbbEUlllE0_EEPmJS6_EEE10hipError_tPvRmT3_T4_T5_T6_T7_T9_mT8_P12ihipStream_tbDpT10_ENKUlT_T0_E_clISt17integral_constantIbLb0EES1B_IbLb1EEEEDaS17_S18_EUlS17_E_NS1_11comp_targetILNS1_3genE5ELNS1_11target_archE942ELNS1_3gpuE9ELNS1_3repE0EEENS1_30default_config_static_selectorELNS0_4arch9wavefront6targetE1EEEvT1_.num_vgpr, 0
	.set _ZN7rocprim17ROCPRIM_400000_NS6detail17trampoline_kernelINS0_14default_configENS1_25partition_config_selectorILNS1_17partition_subalgoE8ElNS0_10empty_typeEbEEZZNS1_14partition_implILS5_8ELb0ES3_jPlPS6_PKS6_NS0_5tupleIJS9_S6_EEENSD_IJSA_SA_EEENS0_18inequality_wrapperIZN2at6native12_GLOBAL__N_124unique_dim_cuda_templateIsEESt5tupleIJNSH_6TensorESM_SM_EERKSM_lbbbEUlllE0_EEPmJS6_EEE10hipError_tPvRmT3_T4_T5_T6_T7_T9_mT8_P12ihipStream_tbDpT10_ENKUlT_T0_E_clISt17integral_constantIbLb0EES1B_IbLb1EEEEDaS17_S18_EUlS17_E_NS1_11comp_targetILNS1_3genE5ELNS1_11target_archE942ELNS1_3gpuE9ELNS1_3repE0EEENS1_30default_config_static_selectorELNS0_4arch9wavefront6targetE1EEEvT1_.num_agpr, 0
	.set _ZN7rocprim17ROCPRIM_400000_NS6detail17trampoline_kernelINS0_14default_configENS1_25partition_config_selectorILNS1_17partition_subalgoE8ElNS0_10empty_typeEbEEZZNS1_14partition_implILS5_8ELb0ES3_jPlPS6_PKS6_NS0_5tupleIJS9_S6_EEENSD_IJSA_SA_EEENS0_18inequality_wrapperIZN2at6native12_GLOBAL__N_124unique_dim_cuda_templateIsEESt5tupleIJNSH_6TensorESM_SM_EERKSM_lbbbEUlllE0_EEPmJS6_EEE10hipError_tPvRmT3_T4_T5_T6_T7_T9_mT8_P12ihipStream_tbDpT10_ENKUlT_T0_E_clISt17integral_constantIbLb0EES1B_IbLb1EEEEDaS17_S18_EUlS17_E_NS1_11comp_targetILNS1_3genE5ELNS1_11target_archE942ELNS1_3gpuE9ELNS1_3repE0EEENS1_30default_config_static_selectorELNS0_4arch9wavefront6targetE1EEEvT1_.numbered_sgpr, 0
	.set _ZN7rocprim17ROCPRIM_400000_NS6detail17trampoline_kernelINS0_14default_configENS1_25partition_config_selectorILNS1_17partition_subalgoE8ElNS0_10empty_typeEbEEZZNS1_14partition_implILS5_8ELb0ES3_jPlPS6_PKS6_NS0_5tupleIJS9_S6_EEENSD_IJSA_SA_EEENS0_18inequality_wrapperIZN2at6native12_GLOBAL__N_124unique_dim_cuda_templateIsEESt5tupleIJNSH_6TensorESM_SM_EERKSM_lbbbEUlllE0_EEPmJS6_EEE10hipError_tPvRmT3_T4_T5_T6_T7_T9_mT8_P12ihipStream_tbDpT10_ENKUlT_T0_E_clISt17integral_constantIbLb0EES1B_IbLb1EEEEDaS17_S18_EUlS17_E_NS1_11comp_targetILNS1_3genE5ELNS1_11target_archE942ELNS1_3gpuE9ELNS1_3repE0EEENS1_30default_config_static_selectorELNS0_4arch9wavefront6targetE1EEEvT1_.num_named_barrier, 0
	.set _ZN7rocprim17ROCPRIM_400000_NS6detail17trampoline_kernelINS0_14default_configENS1_25partition_config_selectorILNS1_17partition_subalgoE8ElNS0_10empty_typeEbEEZZNS1_14partition_implILS5_8ELb0ES3_jPlPS6_PKS6_NS0_5tupleIJS9_S6_EEENSD_IJSA_SA_EEENS0_18inequality_wrapperIZN2at6native12_GLOBAL__N_124unique_dim_cuda_templateIsEESt5tupleIJNSH_6TensorESM_SM_EERKSM_lbbbEUlllE0_EEPmJS6_EEE10hipError_tPvRmT3_T4_T5_T6_T7_T9_mT8_P12ihipStream_tbDpT10_ENKUlT_T0_E_clISt17integral_constantIbLb0EES1B_IbLb1EEEEDaS17_S18_EUlS17_E_NS1_11comp_targetILNS1_3genE5ELNS1_11target_archE942ELNS1_3gpuE9ELNS1_3repE0EEENS1_30default_config_static_selectorELNS0_4arch9wavefront6targetE1EEEvT1_.private_seg_size, 0
	.set _ZN7rocprim17ROCPRIM_400000_NS6detail17trampoline_kernelINS0_14default_configENS1_25partition_config_selectorILNS1_17partition_subalgoE8ElNS0_10empty_typeEbEEZZNS1_14partition_implILS5_8ELb0ES3_jPlPS6_PKS6_NS0_5tupleIJS9_S6_EEENSD_IJSA_SA_EEENS0_18inequality_wrapperIZN2at6native12_GLOBAL__N_124unique_dim_cuda_templateIsEESt5tupleIJNSH_6TensorESM_SM_EERKSM_lbbbEUlllE0_EEPmJS6_EEE10hipError_tPvRmT3_T4_T5_T6_T7_T9_mT8_P12ihipStream_tbDpT10_ENKUlT_T0_E_clISt17integral_constantIbLb0EES1B_IbLb1EEEEDaS17_S18_EUlS17_E_NS1_11comp_targetILNS1_3genE5ELNS1_11target_archE942ELNS1_3gpuE9ELNS1_3repE0EEENS1_30default_config_static_selectorELNS0_4arch9wavefront6targetE1EEEvT1_.uses_vcc, 0
	.set _ZN7rocprim17ROCPRIM_400000_NS6detail17trampoline_kernelINS0_14default_configENS1_25partition_config_selectorILNS1_17partition_subalgoE8ElNS0_10empty_typeEbEEZZNS1_14partition_implILS5_8ELb0ES3_jPlPS6_PKS6_NS0_5tupleIJS9_S6_EEENSD_IJSA_SA_EEENS0_18inequality_wrapperIZN2at6native12_GLOBAL__N_124unique_dim_cuda_templateIsEESt5tupleIJNSH_6TensorESM_SM_EERKSM_lbbbEUlllE0_EEPmJS6_EEE10hipError_tPvRmT3_T4_T5_T6_T7_T9_mT8_P12ihipStream_tbDpT10_ENKUlT_T0_E_clISt17integral_constantIbLb0EES1B_IbLb1EEEEDaS17_S18_EUlS17_E_NS1_11comp_targetILNS1_3genE5ELNS1_11target_archE942ELNS1_3gpuE9ELNS1_3repE0EEENS1_30default_config_static_selectorELNS0_4arch9wavefront6targetE1EEEvT1_.uses_flat_scratch, 0
	.set _ZN7rocprim17ROCPRIM_400000_NS6detail17trampoline_kernelINS0_14default_configENS1_25partition_config_selectorILNS1_17partition_subalgoE8ElNS0_10empty_typeEbEEZZNS1_14partition_implILS5_8ELb0ES3_jPlPS6_PKS6_NS0_5tupleIJS9_S6_EEENSD_IJSA_SA_EEENS0_18inequality_wrapperIZN2at6native12_GLOBAL__N_124unique_dim_cuda_templateIsEESt5tupleIJNSH_6TensorESM_SM_EERKSM_lbbbEUlllE0_EEPmJS6_EEE10hipError_tPvRmT3_T4_T5_T6_T7_T9_mT8_P12ihipStream_tbDpT10_ENKUlT_T0_E_clISt17integral_constantIbLb0EES1B_IbLb1EEEEDaS17_S18_EUlS17_E_NS1_11comp_targetILNS1_3genE5ELNS1_11target_archE942ELNS1_3gpuE9ELNS1_3repE0EEENS1_30default_config_static_selectorELNS0_4arch9wavefront6targetE1EEEvT1_.has_dyn_sized_stack, 0
	.set _ZN7rocprim17ROCPRIM_400000_NS6detail17trampoline_kernelINS0_14default_configENS1_25partition_config_selectorILNS1_17partition_subalgoE8ElNS0_10empty_typeEbEEZZNS1_14partition_implILS5_8ELb0ES3_jPlPS6_PKS6_NS0_5tupleIJS9_S6_EEENSD_IJSA_SA_EEENS0_18inequality_wrapperIZN2at6native12_GLOBAL__N_124unique_dim_cuda_templateIsEESt5tupleIJNSH_6TensorESM_SM_EERKSM_lbbbEUlllE0_EEPmJS6_EEE10hipError_tPvRmT3_T4_T5_T6_T7_T9_mT8_P12ihipStream_tbDpT10_ENKUlT_T0_E_clISt17integral_constantIbLb0EES1B_IbLb1EEEEDaS17_S18_EUlS17_E_NS1_11comp_targetILNS1_3genE5ELNS1_11target_archE942ELNS1_3gpuE9ELNS1_3repE0EEENS1_30default_config_static_selectorELNS0_4arch9wavefront6targetE1EEEvT1_.has_recursion, 0
	.set _ZN7rocprim17ROCPRIM_400000_NS6detail17trampoline_kernelINS0_14default_configENS1_25partition_config_selectorILNS1_17partition_subalgoE8ElNS0_10empty_typeEbEEZZNS1_14partition_implILS5_8ELb0ES3_jPlPS6_PKS6_NS0_5tupleIJS9_S6_EEENSD_IJSA_SA_EEENS0_18inequality_wrapperIZN2at6native12_GLOBAL__N_124unique_dim_cuda_templateIsEESt5tupleIJNSH_6TensorESM_SM_EERKSM_lbbbEUlllE0_EEPmJS6_EEE10hipError_tPvRmT3_T4_T5_T6_T7_T9_mT8_P12ihipStream_tbDpT10_ENKUlT_T0_E_clISt17integral_constantIbLb0EES1B_IbLb1EEEEDaS17_S18_EUlS17_E_NS1_11comp_targetILNS1_3genE5ELNS1_11target_archE942ELNS1_3gpuE9ELNS1_3repE0EEENS1_30default_config_static_selectorELNS0_4arch9wavefront6targetE1EEEvT1_.has_indirect_call, 0
	.section	.AMDGPU.csdata,"",@progbits
; Kernel info:
; codeLenInByte = 0
; TotalNumSgprs: 6
; NumVgprs: 0
; NumAgprs: 0
; TotalNumVgprs: 0
; ScratchSize: 0
; MemoryBound: 0
; FloatMode: 240
; IeeeMode: 1
; LDSByteSize: 0 bytes/workgroup (compile time only)
; SGPRBlocks: 0
; VGPRBlocks: 0
; NumSGPRsForWavesPerEU: 6
; NumVGPRsForWavesPerEU: 1
; AccumOffset: 4
; Occupancy: 8
; WaveLimiterHint : 0
; COMPUTE_PGM_RSRC2:SCRATCH_EN: 0
; COMPUTE_PGM_RSRC2:USER_SGPR: 2
; COMPUTE_PGM_RSRC2:TRAP_HANDLER: 0
; COMPUTE_PGM_RSRC2:TGID_X_EN: 1
; COMPUTE_PGM_RSRC2:TGID_Y_EN: 0
; COMPUTE_PGM_RSRC2:TGID_Z_EN: 0
; COMPUTE_PGM_RSRC2:TIDIG_COMP_CNT: 0
; COMPUTE_PGM_RSRC3_GFX90A:ACCUM_OFFSET: 0
; COMPUTE_PGM_RSRC3_GFX90A:TG_SPLIT: 0
	.section	.text._ZN7rocprim17ROCPRIM_400000_NS6detail17trampoline_kernelINS0_14default_configENS1_25partition_config_selectorILNS1_17partition_subalgoE8ElNS0_10empty_typeEbEEZZNS1_14partition_implILS5_8ELb0ES3_jPlPS6_PKS6_NS0_5tupleIJS9_S6_EEENSD_IJSA_SA_EEENS0_18inequality_wrapperIZN2at6native12_GLOBAL__N_124unique_dim_cuda_templateIsEESt5tupleIJNSH_6TensorESM_SM_EERKSM_lbbbEUlllE0_EEPmJS6_EEE10hipError_tPvRmT3_T4_T5_T6_T7_T9_mT8_P12ihipStream_tbDpT10_ENKUlT_T0_E_clISt17integral_constantIbLb0EES1B_IbLb1EEEEDaS17_S18_EUlS17_E_NS1_11comp_targetILNS1_3genE4ELNS1_11target_archE910ELNS1_3gpuE8ELNS1_3repE0EEENS1_30default_config_static_selectorELNS0_4arch9wavefront6targetE1EEEvT1_,"axG",@progbits,_ZN7rocprim17ROCPRIM_400000_NS6detail17trampoline_kernelINS0_14default_configENS1_25partition_config_selectorILNS1_17partition_subalgoE8ElNS0_10empty_typeEbEEZZNS1_14partition_implILS5_8ELb0ES3_jPlPS6_PKS6_NS0_5tupleIJS9_S6_EEENSD_IJSA_SA_EEENS0_18inequality_wrapperIZN2at6native12_GLOBAL__N_124unique_dim_cuda_templateIsEESt5tupleIJNSH_6TensorESM_SM_EERKSM_lbbbEUlllE0_EEPmJS6_EEE10hipError_tPvRmT3_T4_T5_T6_T7_T9_mT8_P12ihipStream_tbDpT10_ENKUlT_T0_E_clISt17integral_constantIbLb0EES1B_IbLb1EEEEDaS17_S18_EUlS17_E_NS1_11comp_targetILNS1_3genE4ELNS1_11target_archE910ELNS1_3gpuE8ELNS1_3repE0EEENS1_30default_config_static_selectorELNS0_4arch9wavefront6targetE1EEEvT1_,comdat
	.globl	_ZN7rocprim17ROCPRIM_400000_NS6detail17trampoline_kernelINS0_14default_configENS1_25partition_config_selectorILNS1_17partition_subalgoE8ElNS0_10empty_typeEbEEZZNS1_14partition_implILS5_8ELb0ES3_jPlPS6_PKS6_NS0_5tupleIJS9_S6_EEENSD_IJSA_SA_EEENS0_18inequality_wrapperIZN2at6native12_GLOBAL__N_124unique_dim_cuda_templateIsEESt5tupleIJNSH_6TensorESM_SM_EERKSM_lbbbEUlllE0_EEPmJS6_EEE10hipError_tPvRmT3_T4_T5_T6_T7_T9_mT8_P12ihipStream_tbDpT10_ENKUlT_T0_E_clISt17integral_constantIbLb0EES1B_IbLb1EEEEDaS17_S18_EUlS17_E_NS1_11comp_targetILNS1_3genE4ELNS1_11target_archE910ELNS1_3gpuE8ELNS1_3repE0EEENS1_30default_config_static_selectorELNS0_4arch9wavefront6targetE1EEEvT1_ ; -- Begin function _ZN7rocprim17ROCPRIM_400000_NS6detail17trampoline_kernelINS0_14default_configENS1_25partition_config_selectorILNS1_17partition_subalgoE8ElNS0_10empty_typeEbEEZZNS1_14partition_implILS5_8ELb0ES3_jPlPS6_PKS6_NS0_5tupleIJS9_S6_EEENSD_IJSA_SA_EEENS0_18inequality_wrapperIZN2at6native12_GLOBAL__N_124unique_dim_cuda_templateIsEESt5tupleIJNSH_6TensorESM_SM_EERKSM_lbbbEUlllE0_EEPmJS6_EEE10hipError_tPvRmT3_T4_T5_T6_T7_T9_mT8_P12ihipStream_tbDpT10_ENKUlT_T0_E_clISt17integral_constantIbLb0EES1B_IbLb1EEEEDaS17_S18_EUlS17_E_NS1_11comp_targetILNS1_3genE4ELNS1_11target_archE910ELNS1_3gpuE8ELNS1_3repE0EEENS1_30default_config_static_selectorELNS0_4arch9wavefront6targetE1EEEvT1_
	.p2align	8
	.type	_ZN7rocprim17ROCPRIM_400000_NS6detail17trampoline_kernelINS0_14default_configENS1_25partition_config_selectorILNS1_17partition_subalgoE8ElNS0_10empty_typeEbEEZZNS1_14partition_implILS5_8ELb0ES3_jPlPS6_PKS6_NS0_5tupleIJS9_S6_EEENSD_IJSA_SA_EEENS0_18inequality_wrapperIZN2at6native12_GLOBAL__N_124unique_dim_cuda_templateIsEESt5tupleIJNSH_6TensorESM_SM_EERKSM_lbbbEUlllE0_EEPmJS6_EEE10hipError_tPvRmT3_T4_T5_T6_T7_T9_mT8_P12ihipStream_tbDpT10_ENKUlT_T0_E_clISt17integral_constantIbLb0EES1B_IbLb1EEEEDaS17_S18_EUlS17_E_NS1_11comp_targetILNS1_3genE4ELNS1_11target_archE910ELNS1_3gpuE8ELNS1_3repE0EEENS1_30default_config_static_selectorELNS0_4arch9wavefront6targetE1EEEvT1_,@function
_ZN7rocprim17ROCPRIM_400000_NS6detail17trampoline_kernelINS0_14default_configENS1_25partition_config_selectorILNS1_17partition_subalgoE8ElNS0_10empty_typeEbEEZZNS1_14partition_implILS5_8ELb0ES3_jPlPS6_PKS6_NS0_5tupleIJS9_S6_EEENSD_IJSA_SA_EEENS0_18inequality_wrapperIZN2at6native12_GLOBAL__N_124unique_dim_cuda_templateIsEESt5tupleIJNSH_6TensorESM_SM_EERKSM_lbbbEUlllE0_EEPmJS6_EEE10hipError_tPvRmT3_T4_T5_T6_T7_T9_mT8_P12ihipStream_tbDpT10_ENKUlT_T0_E_clISt17integral_constantIbLb0EES1B_IbLb1EEEEDaS17_S18_EUlS17_E_NS1_11comp_targetILNS1_3genE4ELNS1_11target_archE910ELNS1_3gpuE8ELNS1_3repE0EEENS1_30default_config_static_selectorELNS0_4arch9wavefront6targetE1EEEvT1_: ; @_ZN7rocprim17ROCPRIM_400000_NS6detail17trampoline_kernelINS0_14default_configENS1_25partition_config_selectorILNS1_17partition_subalgoE8ElNS0_10empty_typeEbEEZZNS1_14partition_implILS5_8ELb0ES3_jPlPS6_PKS6_NS0_5tupleIJS9_S6_EEENSD_IJSA_SA_EEENS0_18inequality_wrapperIZN2at6native12_GLOBAL__N_124unique_dim_cuda_templateIsEESt5tupleIJNSH_6TensorESM_SM_EERKSM_lbbbEUlllE0_EEPmJS6_EEE10hipError_tPvRmT3_T4_T5_T6_T7_T9_mT8_P12ihipStream_tbDpT10_ENKUlT_T0_E_clISt17integral_constantIbLb0EES1B_IbLb1EEEEDaS17_S18_EUlS17_E_NS1_11comp_targetILNS1_3genE4ELNS1_11target_archE910ELNS1_3gpuE8ELNS1_3repE0EEENS1_30default_config_static_selectorELNS0_4arch9wavefront6targetE1EEEvT1_
; %bb.0:
	.section	.rodata,"a",@progbits
	.p2align	6, 0x0
	.amdhsa_kernel _ZN7rocprim17ROCPRIM_400000_NS6detail17trampoline_kernelINS0_14default_configENS1_25partition_config_selectorILNS1_17partition_subalgoE8ElNS0_10empty_typeEbEEZZNS1_14partition_implILS5_8ELb0ES3_jPlPS6_PKS6_NS0_5tupleIJS9_S6_EEENSD_IJSA_SA_EEENS0_18inequality_wrapperIZN2at6native12_GLOBAL__N_124unique_dim_cuda_templateIsEESt5tupleIJNSH_6TensorESM_SM_EERKSM_lbbbEUlllE0_EEPmJS6_EEE10hipError_tPvRmT3_T4_T5_T6_T7_T9_mT8_P12ihipStream_tbDpT10_ENKUlT_T0_E_clISt17integral_constantIbLb0EES1B_IbLb1EEEEDaS17_S18_EUlS17_E_NS1_11comp_targetILNS1_3genE4ELNS1_11target_archE910ELNS1_3gpuE8ELNS1_3repE0EEENS1_30default_config_static_selectorELNS0_4arch9wavefront6targetE1EEEvT1_
		.amdhsa_group_segment_fixed_size 0
		.amdhsa_private_segment_fixed_size 0
		.amdhsa_kernarg_size 136
		.amdhsa_user_sgpr_count 2
		.amdhsa_user_sgpr_dispatch_ptr 0
		.amdhsa_user_sgpr_queue_ptr 0
		.amdhsa_user_sgpr_kernarg_segment_ptr 1
		.amdhsa_user_sgpr_dispatch_id 0
		.amdhsa_user_sgpr_kernarg_preload_length 0
		.amdhsa_user_sgpr_kernarg_preload_offset 0
		.amdhsa_user_sgpr_private_segment_size 0
		.amdhsa_uses_dynamic_stack 0
		.amdhsa_enable_private_segment 0
		.amdhsa_system_sgpr_workgroup_id_x 1
		.amdhsa_system_sgpr_workgroup_id_y 0
		.amdhsa_system_sgpr_workgroup_id_z 0
		.amdhsa_system_sgpr_workgroup_info 0
		.amdhsa_system_vgpr_workitem_id 0
		.amdhsa_next_free_vgpr 1
		.amdhsa_next_free_sgpr 0
		.amdhsa_accum_offset 4
		.amdhsa_reserve_vcc 0
		.amdhsa_float_round_mode_32 0
		.amdhsa_float_round_mode_16_64 0
		.amdhsa_float_denorm_mode_32 3
		.amdhsa_float_denorm_mode_16_64 3
		.amdhsa_dx10_clamp 1
		.amdhsa_ieee_mode 1
		.amdhsa_fp16_overflow 0
		.amdhsa_tg_split 0
		.amdhsa_exception_fp_ieee_invalid_op 0
		.amdhsa_exception_fp_denorm_src 0
		.amdhsa_exception_fp_ieee_div_zero 0
		.amdhsa_exception_fp_ieee_overflow 0
		.amdhsa_exception_fp_ieee_underflow 0
		.amdhsa_exception_fp_ieee_inexact 0
		.amdhsa_exception_int_div_zero 0
	.end_amdhsa_kernel
	.section	.text._ZN7rocprim17ROCPRIM_400000_NS6detail17trampoline_kernelINS0_14default_configENS1_25partition_config_selectorILNS1_17partition_subalgoE8ElNS0_10empty_typeEbEEZZNS1_14partition_implILS5_8ELb0ES3_jPlPS6_PKS6_NS0_5tupleIJS9_S6_EEENSD_IJSA_SA_EEENS0_18inequality_wrapperIZN2at6native12_GLOBAL__N_124unique_dim_cuda_templateIsEESt5tupleIJNSH_6TensorESM_SM_EERKSM_lbbbEUlllE0_EEPmJS6_EEE10hipError_tPvRmT3_T4_T5_T6_T7_T9_mT8_P12ihipStream_tbDpT10_ENKUlT_T0_E_clISt17integral_constantIbLb0EES1B_IbLb1EEEEDaS17_S18_EUlS17_E_NS1_11comp_targetILNS1_3genE4ELNS1_11target_archE910ELNS1_3gpuE8ELNS1_3repE0EEENS1_30default_config_static_selectorELNS0_4arch9wavefront6targetE1EEEvT1_,"axG",@progbits,_ZN7rocprim17ROCPRIM_400000_NS6detail17trampoline_kernelINS0_14default_configENS1_25partition_config_selectorILNS1_17partition_subalgoE8ElNS0_10empty_typeEbEEZZNS1_14partition_implILS5_8ELb0ES3_jPlPS6_PKS6_NS0_5tupleIJS9_S6_EEENSD_IJSA_SA_EEENS0_18inequality_wrapperIZN2at6native12_GLOBAL__N_124unique_dim_cuda_templateIsEESt5tupleIJNSH_6TensorESM_SM_EERKSM_lbbbEUlllE0_EEPmJS6_EEE10hipError_tPvRmT3_T4_T5_T6_T7_T9_mT8_P12ihipStream_tbDpT10_ENKUlT_T0_E_clISt17integral_constantIbLb0EES1B_IbLb1EEEEDaS17_S18_EUlS17_E_NS1_11comp_targetILNS1_3genE4ELNS1_11target_archE910ELNS1_3gpuE8ELNS1_3repE0EEENS1_30default_config_static_selectorELNS0_4arch9wavefront6targetE1EEEvT1_,comdat
.Lfunc_end711:
	.size	_ZN7rocprim17ROCPRIM_400000_NS6detail17trampoline_kernelINS0_14default_configENS1_25partition_config_selectorILNS1_17partition_subalgoE8ElNS0_10empty_typeEbEEZZNS1_14partition_implILS5_8ELb0ES3_jPlPS6_PKS6_NS0_5tupleIJS9_S6_EEENSD_IJSA_SA_EEENS0_18inequality_wrapperIZN2at6native12_GLOBAL__N_124unique_dim_cuda_templateIsEESt5tupleIJNSH_6TensorESM_SM_EERKSM_lbbbEUlllE0_EEPmJS6_EEE10hipError_tPvRmT3_T4_T5_T6_T7_T9_mT8_P12ihipStream_tbDpT10_ENKUlT_T0_E_clISt17integral_constantIbLb0EES1B_IbLb1EEEEDaS17_S18_EUlS17_E_NS1_11comp_targetILNS1_3genE4ELNS1_11target_archE910ELNS1_3gpuE8ELNS1_3repE0EEENS1_30default_config_static_selectorELNS0_4arch9wavefront6targetE1EEEvT1_, .Lfunc_end711-_ZN7rocprim17ROCPRIM_400000_NS6detail17trampoline_kernelINS0_14default_configENS1_25partition_config_selectorILNS1_17partition_subalgoE8ElNS0_10empty_typeEbEEZZNS1_14partition_implILS5_8ELb0ES3_jPlPS6_PKS6_NS0_5tupleIJS9_S6_EEENSD_IJSA_SA_EEENS0_18inequality_wrapperIZN2at6native12_GLOBAL__N_124unique_dim_cuda_templateIsEESt5tupleIJNSH_6TensorESM_SM_EERKSM_lbbbEUlllE0_EEPmJS6_EEE10hipError_tPvRmT3_T4_T5_T6_T7_T9_mT8_P12ihipStream_tbDpT10_ENKUlT_T0_E_clISt17integral_constantIbLb0EES1B_IbLb1EEEEDaS17_S18_EUlS17_E_NS1_11comp_targetILNS1_3genE4ELNS1_11target_archE910ELNS1_3gpuE8ELNS1_3repE0EEENS1_30default_config_static_selectorELNS0_4arch9wavefront6targetE1EEEvT1_
                                        ; -- End function
	.set _ZN7rocprim17ROCPRIM_400000_NS6detail17trampoline_kernelINS0_14default_configENS1_25partition_config_selectorILNS1_17partition_subalgoE8ElNS0_10empty_typeEbEEZZNS1_14partition_implILS5_8ELb0ES3_jPlPS6_PKS6_NS0_5tupleIJS9_S6_EEENSD_IJSA_SA_EEENS0_18inequality_wrapperIZN2at6native12_GLOBAL__N_124unique_dim_cuda_templateIsEESt5tupleIJNSH_6TensorESM_SM_EERKSM_lbbbEUlllE0_EEPmJS6_EEE10hipError_tPvRmT3_T4_T5_T6_T7_T9_mT8_P12ihipStream_tbDpT10_ENKUlT_T0_E_clISt17integral_constantIbLb0EES1B_IbLb1EEEEDaS17_S18_EUlS17_E_NS1_11comp_targetILNS1_3genE4ELNS1_11target_archE910ELNS1_3gpuE8ELNS1_3repE0EEENS1_30default_config_static_selectorELNS0_4arch9wavefront6targetE1EEEvT1_.num_vgpr, 0
	.set _ZN7rocprim17ROCPRIM_400000_NS6detail17trampoline_kernelINS0_14default_configENS1_25partition_config_selectorILNS1_17partition_subalgoE8ElNS0_10empty_typeEbEEZZNS1_14partition_implILS5_8ELb0ES3_jPlPS6_PKS6_NS0_5tupleIJS9_S6_EEENSD_IJSA_SA_EEENS0_18inequality_wrapperIZN2at6native12_GLOBAL__N_124unique_dim_cuda_templateIsEESt5tupleIJNSH_6TensorESM_SM_EERKSM_lbbbEUlllE0_EEPmJS6_EEE10hipError_tPvRmT3_T4_T5_T6_T7_T9_mT8_P12ihipStream_tbDpT10_ENKUlT_T0_E_clISt17integral_constantIbLb0EES1B_IbLb1EEEEDaS17_S18_EUlS17_E_NS1_11comp_targetILNS1_3genE4ELNS1_11target_archE910ELNS1_3gpuE8ELNS1_3repE0EEENS1_30default_config_static_selectorELNS0_4arch9wavefront6targetE1EEEvT1_.num_agpr, 0
	.set _ZN7rocprim17ROCPRIM_400000_NS6detail17trampoline_kernelINS0_14default_configENS1_25partition_config_selectorILNS1_17partition_subalgoE8ElNS0_10empty_typeEbEEZZNS1_14partition_implILS5_8ELb0ES3_jPlPS6_PKS6_NS0_5tupleIJS9_S6_EEENSD_IJSA_SA_EEENS0_18inequality_wrapperIZN2at6native12_GLOBAL__N_124unique_dim_cuda_templateIsEESt5tupleIJNSH_6TensorESM_SM_EERKSM_lbbbEUlllE0_EEPmJS6_EEE10hipError_tPvRmT3_T4_T5_T6_T7_T9_mT8_P12ihipStream_tbDpT10_ENKUlT_T0_E_clISt17integral_constantIbLb0EES1B_IbLb1EEEEDaS17_S18_EUlS17_E_NS1_11comp_targetILNS1_3genE4ELNS1_11target_archE910ELNS1_3gpuE8ELNS1_3repE0EEENS1_30default_config_static_selectorELNS0_4arch9wavefront6targetE1EEEvT1_.numbered_sgpr, 0
	.set _ZN7rocprim17ROCPRIM_400000_NS6detail17trampoline_kernelINS0_14default_configENS1_25partition_config_selectorILNS1_17partition_subalgoE8ElNS0_10empty_typeEbEEZZNS1_14partition_implILS5_8ELb0ES3_jPlPS6_PKS6_NS0_5tupleIJS9_S6_EEENSD_IJSA_SA_EEENS0_18inequality_wrapperIZN2at6native12_GLOBAL__N_124unique_dim_cuda_templateIsEESt5tupleIJNSH_6TensorESM_SM_EERKSM_lbbbEUlllE0_EEPmJS6_EEE10hipError_tPvRmT3_T4_T5_T6_T7_T9_mT8_P12ihipStream_tbDpT10_ENKUlT_T0_E_clISt17integral_constantIbLb0EES1B_IbLb1EEEEDaS17_S18_EUlS17_E_NS1_11comp_targetILNS1_3genE4ELNS1_11target_archE910ELNS1_3gpuE8ELNS1_3repE0EEENS1_30default_config_static_selectorELNS0_4arch9wavefront6targetE1EEEvT1_.num_named_barrier, 0
	.set _ZN7rocprim17ROCPRIM_400000_NS6detail17trampoline_kernelINS0_14default_configENS1_25partition_config_selectorILNS1_17partition_subalgoE8ElNS0_10empty_typeEbEEZZNS1_14partition_implILS5_8ELb0ES3_jPlPS6_PKS6_NS0_5tupleIJS9_S6_EEENSD_IJSA_SA_EEENS0_18inequality_wrapperIZN2at6native12_GLOBAL__N_124unique_dim_cuda_templateIsEESt5tupleIJNSH_6TensorESM_SM_EERKSM_lbbbEUlllE0_EEPmJS6_EEE10hipError_tPvRmT3_T4_T5_T6_T7_T9_mT8_P12ihipStream_tbDpT10_ENKUlT_T0_E_clISt17integral_constantIbLb0EES1B_IbLb1EEEEDaS17_S18_EUlS17_E_NS1_11comp_targetILNS1_3genE4ELNS1_11target_archE910ELNS1_3gpuE8ELNS1_3repE0EEENS1_30default_config_static_selectorELNS0_4arch9wavefront6targetE1EEEvT1_.private_seg_size, 0
	.set _ZN7rocprim17ROCPRIM_400000_NS6detail17trampoline_kernelINS0_14default_configENS1_25partition_config_selectorILNS1_17partition_subalgoE8ElNS0_10empty_typeEbEEZZNS1_14partition_implILS5_8ELb0ES3_jPlPS6_PKS6_NS0_5tupleIJS9_S6_EEENSD_IJSA_SA_EEENS0_18inequality_wrapperIZN2at6native12_GLOBAL__N_124unique_dim_cuda_templateIsEESt5tupleIJNSH_6TensorESM_SM_EERKSM_lbbbEUlllE0_EEPmJS6_EEE10hipError_tPvRmT3_T4_T5_T6_T7_T9_mT8_P12ihipStream_tbDpT10_ENKUlT_T0_E_clISt17integral_constantIbLb0EES1B_IbLb1EEEEDaS17_S18_EUlS17_E_NS1_11comp_targetILNS1_3genE4ELNS1_11target_archE910ELNS1_3gpuE8ELNS1_3repE0EEENS1_30default_config_static_selectorELNS0_4arch9wavefront6targetE1EEEvT1_.uses_vcc, 0
	.set _ZN7rocprim17ROCPRIM_400000_NS6detail17trampoline_kernelINS0_14default_configENS1_25partition_config_selectorILNS1_17partition_subalgoE8ElNS0_10empty_typeEbEEZZNS1_14partition_implILS5_8ELb0ES3_jPlPS6_PKS6_NS0_5tupleIJS9_S6_EEENSD_IJSA_SA_EEENS0_18inequality_wrapperIZN2at6native12_GLOBAL__N_124unique_dim_cuda_templateIsEESt5tupleIJNSH_6TensorESM_SM_EERKSM_lbbbEUlllE0_EEPmJS6_EEE10hipError_tPvRmT3_T4_T5_T6_T7_T9_mT8_P12ihipStream_tbDpT10_ENKUlT_T0_E_clISt17integral_constantIbLb0EES1B_IbLb1EEEEDaS17_S18_EUlS17_E_NS1_11comp_targetILNS1_3genE4ELNS1_11target_archE910ELNS1_3gpuE8ELNS1_3repE0EEENS1_30default_config_static_selectorELNS0_4arch9wavefront6targetE1EEEvT1_.uses_flat_scratch, 0
	.set _ZN7rocprim17ROCPRIM_400000_NS6detail17trampoline_kernelINS0_14default_configENS1_25partition_config_selectorILNS1_17partition_subalgoE8ElNS0_10empty_typeEbEEZZNS1_14partition_implILS5_8ELb0ES3_jPlPS6_PKS6_NS0_5tupleIJS9_S6_EEENSD_IJSA_SA_EEENS0_18inequality_wrapperIZN2at6native12_GLOBAL__N_124unique_dim_cuda_templateIsEESt5tupleIJNSH_6TensorESM_SM_EERKSM_lbbbEUlllE0_EEPmJS6_EEE10hipError_tPvRmT3_T4_T5_T6_T7_T9_mT8_P12ihipStream_tbDpT10_ENKUlT_T0_E_clISt17integral_constantIbLb0EES1B_IbLb1EEEEDaS17_S18_EUlS17_E_NS1_11comp_targetILNS1_3genE4ELNS1_11target_archE910ELNS1_3gpuE8ELNS1_3repE0EEENS1_30default_config_static_selectorELNS0_4arch9wavefront6targetE1EEEvT1_.has_dyn_sized_stack, 0
	.set _ZN7rocprim17ROCPRIM_400000_NS6detail17trampoline_kernelINS0_14default_configENS1_25partition_config_selectorILNS1_17partition_subalgoE8ElNS0_10empty_typeEbEEZZNS1_14partition_implILS5_8ELb0ES3_jPlPS6_PKS6_NS0_5tupleIJS9_S6_EEENSD_IJSA_SA_EEENS0_18inequality_wrapperIZN2at6native12_GLOBAL__N_124unique_dim_cuda_templateIsEESt5tupleIJNSH_6TensorESM_SM_EERKSM_lbbbEUlllE0_EEPmJS6_EEE10hipError_tPvRmT3_T4_T5_T6_T7_T9_mT8_P12ihipStream_tbDpT10_ENKUlT_T0_E_clISt17integral_constantIbLb0EES1B_IbLb1EEEEDaS17_S18_EUlS17_E_NS1_11comp_targetILNS1_3genE4ELNS1_11target_archE910ELNS1_3gpuE8ELNS1_3repE0EEENS1_30default_config_static_selectorELNS0_4arch9wavefront6targetE1EEEvT1_.has_recursion, 0
	.set _ZN7rocprim17ROCPRIM_400000_NS6detail17trampoline_kernelINS0_14default_configENS1_25partition_config_selectorILNS1_17partition_subalgoE8ElNS0_10empty_typeEbEEZZNS1_14partition_implILS5_8ELb0ES3_jPlPS6_PKS6_NS0_5tupleIJS9_S6_EEENSD_IJSA_SA_EEENS0_18inequality_wrapperIZN2at6native12_GLOBAL__N_124unique_dim_cuda_templateIsEESt5tupleIJNSH_6TensorESM_SM_EERKSM_lbbbEUlllE0_EEPmJS6_EEE10hipError_tPvRmT3_T4_T5_T6_T7_T9_mT8_P12ihipStream_tbDpT10_ENKUlT_T0_E_clISt17integral_constantIbLb0EES1B_IbLb1EEEEDaS17_S18_EUlS17_E_NS1_11comp_targetILNS1_3genE4ELNS1_11target_archE910ELNS1_3gpuE8ELNS1_3repE0EEENS1_30default_config_static_selectorELNS0_4arch9wavefront6targetE1EEEvT1_.has_indirect_call, 0
	.section	.AMDGPU.csdata,"",@progbits
; Kernel info:
; codeLenInByte = 0
; TotalNumSgprs: 6
; NumVgprs: 0
; NumAgprs: 0
; TotalNumVgprs: 0
; ScratchSize: 0
; MemoryBound: 0
; FloatMode: 240
; IeeeMode: 1
; LDSByteSize: 0 bytes/workgroup (compile time only)
; SGPRBlocks: 0
; VGPRBlocks: 0
; NumSGPRsForWavesPerEU: 6
; NumVGPRsForWavesPerEU: 1
; AccumOffset: 4
; Occupancy: 8
; WaveLimiterHint : 0
; COMPUTE_PGM_RSRC2:SCRATCH_EN: 0
; COMPUTE_PGM_RSRC2:USER_SGPR: 2
; COMPUTE_PGM_RSRC2:TRAP_HANDLER: 0
; COMPUTE_PGM_RSRC2:TGID_X_EN: 1
; COMPUTE_PGM_RSRC2:TGID_Y_EN: 0
; COMPUTE_PGM_RSRC2:TGID_Z_EN: 0
; COMPUTE_PGM_RSRC2:TIDIG_COMP_CNT: 0
; COMPUTE_PGM_RSRC3_GFX90A:ACCUM_OFFSET: 0
; COMPUTE_PGM_RSRC3_GFX90A:TG_SPLIT: 0
	.section	.text._ZN7rocprim17ROCPRIM_400000_NS6detail17trampoline_kernelINS0_14default_configENS1_25partition_config_selectorILNS1_17partition_subalgoE8ElNS0_10empty_typeEbEEZZNS1_14partition_implILS5_8ELb0ES3_jPlPS6_PKS6_NS0_5tupleIJS9_S6_EEENSD_IJSA_SA_EEENS0_18inequality_wrapperIZN2at6native12_GLOBAL__N_124unique_dim_cuda_templateIsEESt5tupleIJNSH_6TensorESM_SM_EERKSM_lbbbEUlllE0_EEPmJS6_EEE10hipError_tPvRmT3_T4_T5_T6_T7_T9_mT8_P12ihipStream_tbDpT10_ENKUlT_T0_E_clISt17integral_constantIbLb0EES1B_IbLb1EEEEDaS17_S18_EUlS17_E_NS1_11comp_targetILNS1_3genE3ELNS1_11target_archE908ELNS1_3gpuE7ELNS1_3repE0EEENS1_30default_config_static_selectorELNS0_4arch9wavefront6targetE1EEEvT1_,"axG",@progbits,_ZN7rocprim17ROCPRIM_400000_NS6detail17trampoline_kernelINS0_14default_configENS1_25partition_config_selectorILNS1_17partition_subalgoE8ElNS0_10empty_typeEbEEZZNS1_14partition_implILS5_8ELb0ES3_jPlPS6_PKS6_NS0_5tupleIJS9_S6_EEENSD_IJSA_SA_EEENS0_18inequality_wrapperIZN2at6native12_GLOBAL__N_124unique_dim_cuda_templateIsEESt5tupleIJNSH_6TensorESM_SM_EERKSM_lbbbEUlllE0_EEPmJS6_EEE10hipError_tPvRmT3_T4_T5_T6_T7_T9_mT8_P12ihipStream_tbDpT10_ENKUlT_T0_E_clISt17integral_constantIbLb0EES1B_IbLb1EEEEDaS17_S18_EUlS17_E_NS1_11comp_targetILNS1_3genE3ELNS1_11target_archE908ELNS1_3gpuE7ELNS1_3repE0EEENS1_30default_config_static_selectorELNS0_4arch9wavefront6targetE1EEEvT1_,comdat
	.globl	_ZN7rocprim17ROCPRIM_400000_NS6detail17trampoline_kernelINS0_14default_configENS1_25partition_config_selectorILNS1_17partition_subalgoE8ElNS0_10empty_typeEbEEZZNS1_14partition_implILS5_8ELb0ES3_jPlPS6_PKS6_NS0_5tupleIJS9_S6_EEENSD_IJSA_SA_EEENS0_18inequality_wrapperIZN2at6native12_GLOBAL__N_124unique_dim_cuda_templateIsEESt5tupleIJNSH_6TensorESM_SM_EERKSM_lbbbEUlllE0_EEPmJS6_EEE10hipError_tPvRmT3_T4_T5_T6_T7_T9_mT8_P12ihipStream_tbDpT10_ENKUlT_T0_E_clISt17integral_constantIbLb0EES1B_IbLb1EEEEDaS17_S18_EUlS17_E_NS1_11comp_targetILNS1_3genE3ELNS1_11target_archE908ELNS1_3gpuE7ELNS1_3repE0EEENS1_30default_config_static_selectorELNS0_4arch9wavefront6targetE1EEEvT1_ ; -- Begin function _ZN7rocprim17ROCPRIM_400000_NS6detail17trampoline_kernelINS0_14default_configENS1_25partition_config_selectorILNS1_17partition_subalgoE8ElNS0_10empty_typeEbEEZZNS1_14partition_implILS5_8ELb0ES3_jPlPS6_PKS6_NS0_5tupleIJS9_S6_EEENSD_IJSA_SA_EEENS0_18inequality_wrapperIZN2at6native12_GLOBAL__N_124unique_dim_cuda_templateIsEESt5tupleIJNSH_6TensorESM_SM_EERKSM_lbbbEUlllE0_EEPmJS6_EEE10hipError_tPvRmT3_T4_T5_T6_T7_T9_mT8_P12ihipStream_tbDpT10_ENKUlT_T0_E_clISt17integral_constantIbLb0EES1B_IbLb1EEEEDaS17_S18_EUlS17_E_NS1_11comp_targetILNS1_3genE3ELNS1_11target_archE908ELNS1_3gpuE7ELNS1_3repE0EEENS1_30default_config_static_selectorELNS0_4arch9wavefront6targetE1EEEvT1_
	.p2align	8
	.type	_ZN7rocprim17ROCPRIM_400000_NS6detail17trampoline_kernelINS0_14default_configENS1_25partition_config_selectorILNS1_17partition_subalgoE8ElNS0_10empty_typeEbEEZZNS1_14partition_implILS5_8ELb0ES3_jPlPS6_PKS6_NS0_5tupleIJS9_S6_EEENSD_IJSA_SA_EEENS0_18inequality_wrapperIZN2at6native12_GLOBAL__N_124unique_dim_cuda_templateIsEESt5tupleIJNSH_6TensorESM_SM_EERKSM_lbbbEUlllE0_EEPmJS6_EEE10hipError_tPvRmT3_T4_T5_T6_T7_T9_mT8_P12ihipStream_tbDpT10_ENKUlT_T0_E_clISt17integral_constantIbLb0EES1B_IbLb1EEEEDaS17_S18_EUlS17_E_NS1_11comp_targetILNS1_3genE3ELNS1_11target_archE908ELNS1_3gpuE7ELNS1_3repE0EEENS1_30default_config_static_selectorELNS0_4arch9wavefront6targetE1EEEvT1_,@function
_ZN7rocprim17ROCPRIM_400000_NS6detail17trampoline_kernelINS0_14default_configENS1_25partition_config_selectorILNS1_17partition_subalgoE8ElNS0_10empty_typeEbEEZZNS1_14partition_implILS5_8ELb0ES3_jPlPS6_PKS6_NS0_5tupleIJS9_S6_EEENSD_IJSA_SA_EEENS0_18inequality_wrapperIZN2at6native12_GLOBAL__N_124unique_dim_cuda_templateIsEESt5tupleIJNSH_6TensorESM_SM_EERKSM_lbbbEUlllE0_EEPmJS6_EEE10hipError_tPvRmT3_T4_T5_T6_T7_T9_mT8_P12ihipStream_tbDpT10_ENKUlT_T0_E_clISt17integral_constantIbLb0EES1B_IbLb1EEEEDaS17_S18_EUlS17_E_NS1_11comp_targetILNS1_3genE3ELNS1_11target_archE908ELNS1_3gpuE7ELNS1_3repE0EEENS1_30default_config_static_selectorELNS0_4arch9wavefront6targetE1EEEvT1_: ; @_ZN7rocprim17ROCPRIM_400000_NS6detail17trampoline_kernelINS0_14default_configENS1_25partition_config_selectorILNS1_17partition_subalgoE8ElNS0_10empty_typeEbEEZZNS1_14partition_implILS5_8ELb0ES3_jPlPS6_PKS6_NS0_5tupleIJS9_S6_EEENSD_IJSA_SA_EEENS0_18inequality_wrapperIZN2at6native12_GLOBAL__N_124unique_dim_cuda_templateIsEESt5tupleIJNSH_6TensorESM_SM_EERKSM_lbbbEUlllE0_EEPmJS6_EEE10hipError_tPvRmT3_T4_T5_T6_T7_T9_mT8_P12ihipStream_tbDpT10_ENKUlT_T0_E_clISt17integral_constantIbLb0EES1B_IbLb1EEEEDaS17_S18_EUlS17_E_NS1_11comp_targetILNS1_3genE3ELNS1_11target_archE908ELNS1_3gpuE7ELNS1_3repE0EEENS1_30default_config_static_selectorELNS0_4arch9wavefront6targetE1EEEvT1_
; %bb.0:
	.section	.rodata,"a",@progbits
	.p2align	6, 0x0
	.amdhsa_kernel _ZN7rocprim17ROCPRIM_400000_NS6detail17trampoline_kernelINS0_14default_configENS1_25partition_config_selectorILNS1_17partition_subalgoE8ElNS0_10empty_typeEbEEZZNS1_14partition_implILS5_8ELb0ES3_jPlPS6_PKS6_NS0_5tupleIJS9_S6_EEENSD_IJSA_SA_EEENS0_18inequality_wrapperIZN2at6native12_GLOBAL__N_124unique_dim_cuda_templateIsEESt5tupleIJNSH_6TensorESM_SM_EERKSM_lbbbEUlllE0_EEPmJS6_EEE10hipError_tPvRmT3_T4_T5_T6_T7_T9_mT8_P12ihipStream_tbDpT10_ENKUlT_T0_E_clISt17integral_constantIbLb0EES1B_IbLb1EEEEDaS17_S18_EUlS17_E_NS1_11comp_targetILNS1_3genE3ELNS1_11target_archE908ELNS1_3gpuE7ELNS1_3repE0EEENS1_30default_config_static_selectorELNS0_4arch9wavefront6targetE1EEEvT1_
		.amdhsa_group_segment_fixed_size 0
		.amdhsa_private_segment_fixed_size 0
		.amdhsa_kernarg_size 136
		.amdhsa_user_sgpr_count 2
		.amdhsa_user_sgpr_dispatch_ptr 0
		.amdhsa_user_sgpr_queue_ptr 0
		.amdhsa_user_sgpr_kernarg_segment_ptr 1
		.amdhsa_user_sgpr_dispatch_id 0
		.amdhsa_user_sgpr_kernarg_preload_length 0
		.amdhsa_user_sgpr_kernarg_preload_offset 0
		.amdhsa_user_sgpr_private_segment_size 0
		.amdhsa_uses_dynamic_stack 0
		.amdhsa_enable_private_segment 0
		.amdhsa_system_sgpr_workgroup_id_x 1
		.amdhsa_system_sgpr_workgroup_id_y 0
		.amdhsa_system_sgpr_workgroup_id_z 0
		.amdhsa_system_sgpr_workgroup_info 0
		.amdhsa_system_vgpr_workitem_id 0
		.amdhsa_next_free_vgpr 1
		.amdhsa_next_free_sgpr 0
		.amdhsa_accum_offset 4
		.amdhsa_reserve_vcc 0
		.amdhsa_float_round_mode_32 0
		.amdhsa_float_round_mode_16_64 0
		.amdhsa_float_denorm_mode_32 3
		.amdhsa_float_denorm_mode_16_64 3
		.amdhsa_dx10_clamp 1
		.amdhsa_ieee_mode 1
		.amdhsa_fp16_overflow 0
		.amdhsa_tg_split 0
		.amdhsa_exception_fp_ieee_invalid_op 0
		.amdhsa_exception_fp_denorm_src 0
		.amdhsa_exception_fp_ieee_div_zero 0
		.amdhsa_exception_fp_ieee_overflow 0
		.amdhsa_exception_fp_ieee_underflow 0
		.amdhsa_exception_fp_ieee_inexact 0
		.amdhsa_exception_int_div_zero 0
	.end_amdhsa_kernel
	.section	.text._ZN7rocprim17ROCPRIM_400000_NS6detail17trampoline_kernelINS0_14default_configENS1_25partition_config_selectorILNS1_17partition_subalgoE8ElNS0_10empty_typeEbEEZZNS1_14partition_implILS5_8ELb0ES3_jPlPS6_PKS6_NS0_5tupleIJS9_S6_EEENSD_IJSA_SA_EEENS0_18inequality_wrapperIZN2at6native12_GLOBAL__N_124unique_dim_cuda_templateIsEESt5tupleIJNSH_6TensorESM_SM_EERKSM_lbbbEUlllE0_EEPmJS6_EEE10hipError_tPvRmT3_T4_T5_T6_T7_T9_mT8_P12ihipStream_tbDpT10_ENKUlT_T0_E_clISt17integral_constantIbLb0EES1B_IbLb1EEEEDaS17_S18_EUlS17_E_NS1_11comp_targetILNS1_3genE3ELNS1_11target_archE908ELNS1_3gpuE7ELNS1_3repE0EEENS1_30default_config_static_selectorELNS0_4arch9wavefront6targetE1EEEvT1_,"axG",@progbits,_ZN7rocprim17ROCPRIM_400000_NS6detail17trampoline_kernelINS0_14default_configENS1_25partition_config_selectorILNS1_17partition_subalgoE8ElNS0_10empty_typeEbEEZZNS1_14partition_implILS5_8ELb0ES3_jPlPS6_PKS6_NS0_5tupleIJS9_S6_EEENSD_IJSA_SA_EEENS0_18inequality_wrapperIZN2at6native12_GLOBAL__N_124unique_dim_cuda_templateIsEESt5tupleIJNSH_6TensorESM_SM_EERKSM_lbbbEUlllE0_EEPmJS6_EEE10hipError_tPvRmT3_T4_T5_T6_T7_T9_mT8_P12ihipStream_tbDpT10_ENKUlT_T0_E_clISt17integral_constantIbLb0EES1B_IbLb1EEEEDaS17_S18_EUlS17_E_NS1_11comp_targetILNS1_3genE3ELNS1_11target_archE908ELNS1_3gpuE7ELNS1_3repE0EEENS1_30default_config_static_selectorELNS0_4arch9wavefront6targetE1EEEvT1_,comdat
.Lfunc_end712:
	.size	_ZN7rocprim17ROCPRIM_400000_NS6detail17trampoline_kernelINS0_14default_configENS1_25partition_config_selectorILNS1_17partition_subalgoE8ElNS0_10empty_typeEbEEZZNS1_14partition_implILS5_8ELb0ES3_jPlPS6_PKS6_NS0_5tupleIJS9_S6_EEENSD_IJSA_SA_EEENS0_18inequality_wrapperIZN2at6native12_GLOBAL__N_124unique_dim_cuda_templateIsEESt5tupleIJNSH_6TensorESM_SM_EERKSM_lbbbEUlllE0_EEPmJS6_EEE10hipError_tPvRmT3_T4_T5_T6_T7_T9_mT8_P12ihipStream_tbDpT10_ENKUlT_T0_E_clISt17integral_constantIbLb0EES1B_IbLb1EEEEDaS17_S18_EUlS17_E_NS1_11comp_targetILNS1_3genE3ELNS1_11target_archE908ELNS1_3gpuE7ELNS1_3repE0EEENS1_30default_config_static_selectorELNS0_4arch9wavefront6targetE1EEEvT1_, .Lfunc_end712-_ZN7rocprim17ROCPRIM_400000_NS6detail17trampoline_kernelINS0_14default_configENS1_25partition_config_selectorILNS1_17partition_subalgoE8ElNS0_10empty_typeEbEEZZNS1_14partition_implILS5_8ELb0ES3_jPlPS6_PKS6_NS0_5tupleIJS9_S6_EEENSD_IJSA_SA_EEENS0_18inequality_wrapperIZN2at6native12_GLOBAL__N_124unique_dim_cuda_templateIsEESt5tupleIJNSH_6TensorESM_SM_EERKSM_lbbbEUlllE0_EEPmJS6_EEE10hipError_tPvRmT3_T4_T5_T6_T7_T9_mT8_P12ihipStream_tbDpT10_ENKUlT_T0_E_clISt17integral_constantIbLb0EES1B_IbLb1EEEEDaS17_S18_EUlS17_E_NS1_11comp_targetILNS1_3genE3ELNS1_11target_archE908ELNS1_3gpuE7ELNS1_3repE0EEENS1_30default_config_static_selectorELNS0_4arch9wavefront6targetE1EEEvT1_
                                        ; -- End function
	.set _ZN7rocprim17ROCPRIM_400000_NS6detail17trampoline_kernelINS0_14default_configENS1_25partition_config_selectorILNS1_17partition_subalgoE8ElNS0_10empty_typeEbEEZZNS1_14partition_implILS5_8ELb0ES3_jPlPS6_PKS6_NS0_5tupleIJS9_S6_EEENSD_IJSA_SA_EEENS0_18inequality_wrapperIZN2at6native12_GLOBAL__N_124unique_dim_cuda_templateIsEESt5tupleIJNSH_6TensorESM_SM_EERKSM_lbbbEUlllE0_EEPmJS6_EEE10hipError_tPvRmT3_T4_T5_T6_T7_T9_mT8_P12ihipStream_tbDpT10_ENKUlT_T0_E_clISt17integral_constantIbLb0EES1B_IbLb1EEEEDaS17_S18_EUlS17_E_NS1_11comp_targetILNS1_3genE3ELNS1_11target_archE908ELNS1_3gpuE7ELNS1_3repE0EEENS1_30default_config_static_selectorELNS0_4arch9wavefront6targetE1EEEvT1_.num_vgpr, 0
	.set _ZN7rocprim17ROCPRIM_400000_NS6detail17trampoline_kernelINS0_14default_configENS1_25partition_config_selectorILNS1_17partition_subalgoE8ElNS0_10empty_typeEbEEZZNS1_14partition_implILS5_8ELb0ES3_jPlPS6_PKS6_NS0_5tupleIJS9_S6_EEENSD_IJSA_SA_EEENS0_18inequality_wrapperIZN2at6native12_GLOBAL__N_124unique_dim_cuda_templateIsEESt5tupleIJNSH_6TensorESM_SM_EERKSM_lbbbEUlllE0_EEPmJS6_EEE10hipError_tPvRmT3_T4_T5_T6_T7_T9_mT8_P12ihipStream_tbDpT10_ENKUlT_T0_E_clISt17integral_constantIbLb0EES1B_IbLb1EEEEDaS17_S18_EUlS17_E_NS1_11comp_targetILNS1_3genE3ELNS1_11target_archE908ELNS1_3gpuE7ELNS1_3repE0EEENS1_30default_config_static_selectorELNS0_4arch9wavefront6targetE1EEEvT1_.num_agpr, 0
	.set _ZN7rocprim17ROCPRIM_400000_NS6detail17trampoline_kernelINS0_14default_configENS1_25partition_config_selectorILNS1_17partition_subalgoE8ElNS0_10empty_typeEbEEZZNS1_14partition_implILS5_8ELb0ES3_jPlPS6_PKS6_NS0_5tupleIJS9_S6_EEENSD_IJSA_SA_EEENS0_18inequality_wrapperIZN2at6native12_GLOBAL__N_124unique_dim_cuda_templateIsEESt5tupleIJNSH_6TensorESM_SM_EERKSM_lbbbEUlllE0_EEPmJS6_EEE10hipError_tPvRmT3_T4_T5_T6_T7_T9_mT8_P12ihipStream_tbDpT10_ENKUlT_T0_E_clISt17integral_constantIbLb0EES1B_IbLb1EEEEDaS17_S18_EUlS17_E_NS1_11comp_targetILNS1_3genE3ELNS1_11target_archE908ELNS1_3gpuE7ELNS1_3repE0EEENS1_30default_config_static_selectorELNS0_4arch9wavefront6targetE1EEEvT1_.numbered_sgpr, 0
	.set _ZN7rocprim17ROCPRIM_400000_NS6detail17trampoline_kernelINS0_14default_configENS1_25partition_config_selectorILNS1_17partition_subalgoE8ElNS0_10empty_typeEbEEZZNS1_14partition_implILS5_8ELb0ES3_jPlPS6_PKS6_NS0_5tupleIJS9_S6_EEENSD_IJSA_SA_EEENS0_18inequality_wrapperIZN2at6native12_GLOBAL__N_124unique_dim_cuda_templateIsEESt5tupleIJNSH_6TensorESM_SM_EERKSM_lbbbEUlllE0_EEPmJS6_EEE10hipError_tPvRmT3_T4_T5_T6_T7_T9_mT8_P12ihipStream_tbDpT10_ENKUlT_T0_E_clISt17integral_constantIbLb0EES1B_IbLb1EEEEDaS17_S18_EUlS17_E_NS1_11comp_targetILNS1_3genE3ELNS1_11target_archE908ELNS1_3gpuE7ELNS1_3repE0EEENS1_30default_config_static_selectorELNS0_4arch9wavefront6targetE1EEEvT1_.num_named_barrier, 0
	.set _ZN7rocprim17ROCPRIM_400000_NS6detail17trampoline_kernelINS0_14default_configENS1_25partition_config_selectorILNS1_17partition_subalgoE8ElNS0_10empty_typeEbEEZZNS1_14partition_implILS5_8ELb0ES3_jPlPS6_PKS6_NS0_5tupleIJS9_S6_EEENSD_IJSA_SA_EEENS0_18inequality_wrapperIZN2at6native12_GLOBAL__N_124unique_dim_cuda_templateIsEESt5tupleIJNSH_6TensorESM_SM_EERKSM_lbbbEUlllE0_EEPmJS6_EEE10hipError_tPvRmT3_T4_T5_T6_T7_T9_mT8_P12ihipStream_tbDpT10_ENKUlT_T0_E_clISt17integral_constantIbLb0EES1B_IbLb1EEEEDaS17_S18_EUlS17_E_NS1_11comp_targetILNS1_3genE3ELNS1_11target_archE908ELNS1_3gpuE7ELNS1_3repE0EEENS1_30default_config_static_selectorELNS0_4arch9wavefront6targetE1EEEvT1_.private_seg_size, 0
	.set _ZN7rocprim17ROCPRIM_400000_NS6detail17trampoline_kernelINS0_14default_configENS1_25partition_config_selectorILNS1_17partition_subalgoE8ElNS0_10empty_typeEbEEZZNS1_14partition_implILS5_8ELb0ES3_jPlPS6_PKS6_NS0_5tupleIJS9_S6_EEENSD_IJSA_SA_EEENS0_18inequality_wrapperIZN2at6native12_GLOBAL__N_124unique_dim_cuda_templateIsEESt5tupleIJNSH_6TensorESM_SM_EERKSM_lbbbEUlllE0_EEPmJS6_EEE10hipError_tPvRmT3_T4_T5_T6_T7_T9_mT8_P12ihipStream_tbDpT10_ENKUlT_T0_E_clISt17integral_constantIbLb0EES1B_IbLb1EEEEDaS17_S18_EUlS17_E_NS1_11comp_targetILNS1_3genE3ELNS1_11target_archE908ELNS1_3gpuE7ELNS1_3repE0EEENS1_30default_config_static_selectorELNS0_4arch9wavefront6targetE1EEEvT1_.uses_vcc, 0
	.set _ZN7rocprim17ROCPRIM_400000_NS6detail17trampoline_kernelINS0_14default_configENS1_25partition_config_selectorILNS1_17partition_subalgoE8ElNS0_10empty_typeEbEEZZNS1_14partition_implILS5_8ELb0ES3_jPlPS6_PKS6_NS0_5tupleIJS9_S6_EEENSD_IJSA_SA_EEENS0_18inequality_wrapperIZN2at6native12_GLOBAL__N_124unique_dim_cuda_templateIsEESt5tupleIJNSH_6TensorESM_SM_EERKSM_lbbbEUlllE0_EEPmJS6_EEE10hipError_tPvRmT3_T4_T5_T6_T7_T9_mT8_P12ihipStream_tbDpT10_ENKUlT_T0_E_clISt17integral_constantIbLb0EES1B_IbLb1EEEEDaS17_S18_EUlS17_E_NS1_11comp_targetILNS1_3genE3ELNS1_11target_archE908ELNS1_3gpuE7ELNS1_3repE0EEENS1_30default_config_static_selectorELNS0_4arch9wavefront6targetE1EEEvT1_.uses_flat_scratch, 0
	.set _ZN7rocprim17ROCPRIM_400000_NS6detail17trampoline_kernelINS0_14default_configENS1_25partition_config_selectorILNS1_17partition_subalgoE8ElNS0_10empty_typeEbEEZZNS1_14partition_implILS5_8ELb0ES3_jPlPS6_PKS6_NS0_5tupleIJS9_S6_EEENSD_IJSA_SA_EEENS0_18inequality_wrapperIZN2at6native12_GLOBAL__N_124unique_dim_cuda_templateIsEESt5tupleIJNSH_6TensorESM_SM_EERKSM_lbbbEUlllE0_EEPmJS6_EEE10hipError_tPvRmT3_T4_T5_T6_T7_T9_mT8_P12ihipStream_tbDpT10_ENKUlT_T0_E_clISt17integral_constantIbLb0EES1B_IbLb1EEEEDaS17_S18_EUlS17_E_NS1_11comp_targetILNS1_3genE3ELNS1_11target_archE908ELNS1_3gpuE7ELNS1_3repE0EEENS1_30default_config_static_selectorELNS0_4arch9wavefront6targetE1EEEvT1_.has_dyn_sized_stack, 0
	.set _ZN7rocprim17ROCPRIM_400000_NS6detail17trampoline_kernelINS0_14default_configENS1_25partition_config_selectorILNS1_17partition_subalgoE8ElNS0_10empty_typeEbEEZZNS1_14partition_implILS5_8ELb0ES3_jPlPS6_PKS6_NS0_5tupleIJS9_S6_EEENSD_IJSA_SA_EEENS0_18inequality_wrapperIZN2at6native12_GLOBAL__N_124unique_dim_cuda_templateIsEESt5tupleIJNSH_6TensorESM_SM_EERKSM_lbbbEUlllE0_EEPmJS6_EEE10hipError_tPvRmT3_T4_T5_T6_T7_T9_mT8_P12ihipStream_tbDpT10_ENKUlT_T0_E_clISt17integral_constantIbLb0EES1B_IbLb1EEEEDaS17_S18_EUlS17_E_NS1_11comp_targetILNS1_3genE3ELNS1_11target_archE908ELNS1_3gpuE7ELNS1_3repE0EEENS1_30default_config_static_selectorELNS0_4arch9wavefront6targetE1EEEvT1_.has_recursion, 0
	.set _ZN7rocprim17ROCPRIM_400000_NS6detail17trampoline_kernelINS0_14default_configENS1_25partition_config_selectorILNS1_17partition_subalgoE8ElNS0_10empty_typeEbEEZZNS1_14partition_implILS5_8ELb0ES3_jPlPS6_PKS6_NS0_5tupleIJS9_S6_EEENSD_IJSA_SA_EEENS0_18inequality_wrapperIZN2at6native12_GLOBAL__N_124unique_dim_cuda_templateIsEESt5tupleIJNSH_6TensorESM_SM_EERKSM_lbbbEUlllE0_EEPmJS6_EEE10hipError_tPvRmT3_T4_T5_T6_T7_T9_mT8_P12ihipStream_tbDpT10_ENKUlT_T0_E_clISt17integral_constantIbLb0EES1B_IbLb1EEEEDaS17_S18_EUlS17_E_NS1_11comp_targetILNS1_3genE3ELNS1_11target_archE908ELNS1_3gpuE7ELNS1_3repE0EEENS1_30default_config_static_selectorELNS0_4arch9wavefront6targetE1EEEvT1_.has_indirect_call, 0
	.section	.AMDGPU.csdata,"",@progbits
; Kernel info:
; codeLenInByte = 0
; TotalNumSgprs: 6
; NumVgprs: 0
; NumAgprs: 0
; TotalNumVgprs: 0
; ScratchSize: 0
; MemoryBound: 0
; FloatMode: 240
; IeeeMode: 1
; LDSByteSize: 0 bytes/workgroup (compile time only)
; SGPRBlocks: 0
; VGPRBlocks: 0
; NumSGPRsForWavesPerEU: 6
; NumVGPRsForWavesPerEU: 1
; AccumOffset: 4
; Occupancy: 8
; WaveLimiterHint : 0
; COMPUTE_PGM_RSRC2:SCRATCH_EN: 0
; COMPUTE_PGM_RSRC2:USER_SGPR: 2
; COMPUTE_PGM_RSRC2:TRAP_HANDLER: 0
; COMPUTE_PGM_RSRC2:TGID_X_EN: 1
; COMPUTE_PGM_RSRC2:TGID_Y_EN: 0
; COMPUTE_PGM_RSRC2:TGID_Z_EN: 0
; COMPUTE_PGM_RSRC2:TIDIG_COMP_CNT: 0
; COMPUTE_PGM_RSRC3_GFX90A:ACCUM_OFFSET: 0
; COMPUTE_PGM_RSRC3_GFX90A:TG_SPLIT: 0
	.section	.text._ZN7rocprim17ROCPRIM_400000_NS6detail17trampoline_kernelINS0_14default_configENS1_25partition_config_selectorILNS1_17partition_subalgoE8ElNS0_10empty_typeEbEEZZNS1_14partition_implILS5_8ELb0ES3_jPlPS6_PKS6_NS0_5tupleIJS9_S6_EEENSD_IJSA_SA_EEENS0_18inequality_wrapperIZN2at6native12_GLOBAL__N_124unique_dim_cuda_templateIsEESt5tupleIJNSH_6TensorESM_SM_EERKSM_lbbbEUlllE0_EEPmJS6_EEE10hipError_tPvRmT3_T4_T5_T6_T7_T9_mT8_P12ihipStream_tbDpT10_ENKUlT_T0_E_clISt17integral_constantIbLb0EES1B_IbLb1EEEEDaS17_S18_EUlS17_E_NS1_11comp_targetILNS1_3genE2ELNS1_11target_archE906ELNS1_3gpuE6ELNS1_3repE0EEENS1_30default_config_static_selectorELNS0_4arch9wavefront6targetE1EEEvT1_,"axG",@progbits,_ZN7rocprim17ROCPRIM_400000_NS6detail17trampoline_kernelINS0_14default_configENS1_25partition_config_selectorILNS1_17partition_subalgoE8ElNS0_10empty_typeEbEEZZNS1_14partition_implILS5_8ELb0ES3_jPlPS6_PKS6_NS0_5tupleIJS9_S6_EEENSD_IJSA_SA_EEENS0_18inequality_wrapperIZN2at6native12_GLOBAL__N_124unique_dim_cuda_templateIsEESt5tupleIJNSH_6TensorESM_SM_EERKSM_lbbbEUlllE0_EEPmJS6_EEE10hipError_tPvRmT3_T4_T5_T6_T7_T9_mT8_P12ihipStream_tbDpT10_ENKUlT_T0_E_clISt17integral_constantIbLb0EES1B_IbLb1EEEEDaS17_S18_EUlS17_E_NS1_11comp_targetILNS1_3genE2ELNS1_11target_archE906ELNS1_3gpuE6ELNS1_3repE0EEENS1_30default_config_static_selectorELNS0_4arch9wavefront6targetE1EEEvT1_,comdat
	.globl	_ZN7rocprim17ROCPRIM_400000_NS6detail17trampoline_kernelINS0_14default_configENS1_25partition_config_selectorILNS1_17partition_subalgoE8ElNS0_10empty_typeEbEEZZNS1_14partition_implILS5_8ELb0ES3_jPlPS6_PKS6_NS0_5tupleIJS9_S6_EEENSD_IJSA_SA_EEENS0_18inequality_wrapperIZN2at6native12_GLOBAL__N_124unique_dim_cuda_templateIsEESt5tupleIJNSH_6TensorESM_SM_EERKSM_lbbbEUlllE0_EEPmJS6_EEE10hipError_tPvRmT3_T4_T5_T6_T7_T9_mT8_P12ihipStream_tbDpT10_ENKUlT_T0_E_clISt17integral_constantIbLb0EES1B_IbLb1EEEEDaS17_S18_EUlS17_E_NS1_11comp_targetILNS1_3genE2ELNS1_11target_archE906ELNS1_3gpuE6ELNS1_3repE0EEENS1_30default_config_static_selectorELNS0_4arch9wavefront6targetE1EEEvT1_ ; -- Begin function _ZN7rocprim17ROCPRIM_400000_NS6detail17trampoline_kernelINS0_14default_configENS1_25partition_config_selectorILNS1_17partition_subalgoE8ElNS0_10empty_typeEbEEZZNS1_14partition_implILS5_8ELb0ES3_jPlPS6_PKS6_NS0_5tupleIJS9_S6_EEENSD_IJSA_SA_EEENS0_18inequality_wrapperIZN2at6native12_GLOBAL__N_124unique_dim_cuda_templateIsEESt5tupleIJNSH_6TensorESM_SM_EERKSM_lbbbEUlllE0_EEPmJS6_EEE10hipError_tPvRmT3_T4_T5_T6_T7_T9_mT8_P12ihipStream_tbDpT10_ENKUlT_T0_E_clISt17integral_constantIbLb0EES1B_IbLb1EEEEDaS17_S18_EUlS17_E_NS1_11comp_targetILNS1_3genE2ELNS1_11target_archE906ELNS1_3gpuE6ELNS1_3repE0EEENS1_30default_config_static_selectorELNS0_4arch9wavefront6targetE1EEEvT1_
	.p2align	8
	.type	_ZN7rocprim17ROCPRIM_400000_NS6detail17trampoline_kernelINS0_14default_configENS1_25partition_config_selectorILNS1_17partition_subalgoE8ElNS0_10empty_typeEbEEZZNS1_14partition_implILS5_8ELb0ES3_jPlPS6_PKS6_NS0_5tupleIJS9_S6_EEENSD_IJSA_SA_EEENS0_18inequality_wrapperIZN2at6native12_GLOBAL__N_124unique_dim_cuda_templateIsEESt5tupleIJNSH_6TensorESM_SM_EERKSM_lbbbEUlllE0_EEPmJS6_EEE10hipError_tPvRmT3_T4_T5_T6_T7_T9_mT8_P12ihipStream_tbDpT10_ENKUlT_T0_E_clISt17integral_constantIbLb0EES1B_IbLb1EEEEDaS17_S18_EUlS17_E_NS1_11comp_targetILNS1_3genE2ELNS1_11target_archE906ELNS1_3gpuE6ELNS1_3repE0EEENS1_30default_config_static_selectorELNS0_4arch9wavefront6targetE1EEEvT1_,@function
_ZN7rocprim17ROCPRIM_400000_NS6detail17trampoline_kernelINS0_14default_configENS1_25partition_config_selectorILNS1_17partition_subalgoE8ElNS0_10empty_typeEbEEZZNS1_14partition_implILS5_8ELb0ES3_jPlPS6_PKS6_NS0_5tupleIJS9_S6_EEENSD_IJSA_SA_EEENS0_18inequality_wrapperIZN2at6native12_GLOBAL__N_124unique_dim_cuda_templateIsEESt5tupleIJNSH_6TensorESM_SM_EERKSM_lbbbEUlllE0_EEPmJS6_EEE10hipError_tPvRmT3_T4_T5_T6_T7_T9_mT8_P12ihipStream_tbDpT10_ENKUlT_T0_E_clISt17integral_constantIbLb0EES1B_IbLb1EEEEDaS17_S18_EUlS17_E_NS1_11comp_targetILNS1_3genE2ELNS1_11target_archE906ELNS1_3gpuE6ELNS1_3repE0EEENS1_30default_config_static_selectorELNS0_4arch9wavefront6targetE1EEEvT1_: ; @_ZN7rocprim17ROCPRIM_400000_NS6detail17trampoline_kernelINS0_14default_configENS1_25partition_config_selectorILNS1_17partition_subalgoE8ElNS0_10empty_typeEbEEZZNS1_14partition_implILS5_8ELb0ES3_jPlPS6_PKS6_NS0_5tupleIJS9_S6_EEENSD_IJSA_SA_EEENS0_18inequality_wrapperIZN2at6native12_GLOBAL__N_124unique_dim_cuda_templateIsEESt5tupleIJNSH_6TensorESM_SM_EERKSM_lbbbEUlllE0_EEPmJS6_EEE10hipError_tPvRmT3_T4_T5_T6_T7_T9_mT8_P12ihipStream_tbDpT10_ENKUlT_T0_E_clISt17integral_constantIbLb0EES1B_IbLb1EEEEDaS17_S18_EUlS17_E_NS1_11comp_targetILNS1_3genE2ELNS1_11target_archE906ELNS1_3gpuE6ELNS1_3repE0EEENS1_30default_config_static_selectorELNS0_4arch9wavefront6targetE1EEEvT1_
; %bb.0:
	.section	.rodata,"a",@progbits
	.p2align	6, 0x0
	.amdhsa_kernel _ZN7rocprim17ROCPRIM_400000_NS6detail17trampoline_kernelINS0_14default_configENS1_25partition_config_selectorILNS1_17partition_subalgoE8ElNS0_10empty_typeEbEEZZNS1_14partition_implILS5_8ELb0ES3_jPlPS6_PKS6_NS0_5tupleIJS9_S6_EEENSD_IJSA_SA_EEENS0_18inequality_wrapperIZN2at6native12_GLOBAL__N_124unique_dim_cuda_templateIsEESt5tupleIJNSH_6TensorESM_SM_EERKSM_lbbbEUlllE0_EEPmJS6_EEE10hipError_tPvRmT3_T4_T5_T6_T7_T9_mT8_P12ihipStream_tbDpT10_ENKUlT_T0_E_clISt17integral_constantIbLb0EES1B_IbLb1EEEEDaS17_S18_EUlS17_E_NS1_11comp_targetILNS1_3genE2ELNS1_11target_archE906ELNS1_3gpuE6ELNS1_3repE0EEENS1_30default_config_static_selectorELNS0_4arch9wavefront6targetE1EEEvT1_
		.amdhsa_group_segment_fixed_size 0
		.amdhsa_private_segment_fixed_size 0
		.amdhsa_kernarg_size 136
		.amdhsa_user_sgpr_count 2
		.amdhsa_user_sgpr_dispatch_ptr 0
		.amdhsa_user_sgpr_queue_ptr 0
		.amdhsa_user_sgpr_kernarg_segment_ptr 1
		.amdhsa_user_sgpr_dispatch_id 0
		.amdhsa_user_sgpr_kernarg_preload_length 0
		.amdhsa_user_sgpr_kernarg_preload_offset 0
		.amdhsa_user_sgpr_private_segment_size 0
		.amdhsa_uses_dynamic_stack 0
		.amdhsa_enable_private_segment 0
		.amdhsa_system_sgpr_workgroup_id_x 1
		.amdhsa_system_sgpr_workgroup_id_y 0
		.amdhsa_system_sgpr_workgroup_id_z 0
		.amdhsa_system_sgpr_workgroup_info 0
		.amdhsa_system_vgpr_workitem_id 0
		.amdhsa_next_free_vgpr 1
		.amdhsa_next_free_sgpr 0
		.amdhsa_accum_offset 4
		.amdhsa_reserve_vcc 0
		.amdhsa_float_round_mode_32 0
		.amdhsa_float_round_mode_16_64 0
		.amdhsa_float_denorm_mode_32 3
		.amdhsa_float_denorm_mode_16_64 3
		.amdhsa_dx10_clamp 1
		.amdhsa_ieee_mode 1
		.amdhsa_fp16_overflow 0
		.amdhsa_tg_split 0
		.amdhsa_exception_fp_ieee_invalid_op 0
		.amdhsa_exception_fp_denorm_src 0
		.amdhsa_exception_fp_ieee_div_zero 0
		.amdhsa_exception_fp_ieee_overflow 0
		.amdhsa_exception_fp_ieee_underflow 0
		.amdhsa_exception_fp_ieee_inexact 0
		.amdhsa_exception_int_div_zero 0
	.end_amdhsa_kernel
	.section	.text._ZN7rocprim17ROCPRIM_400000_NS6detail17trampoline_kernelINS0_14default_configENS1_25partition_config_selectorILNS1_17partition_subalgoE8ElNS0_10empty_typeEbEEZZNS1_14partition_implILS5_8ELb0ES3_jPlPS6_PKS6_NS0_5tupleIJS9_S6_EEENSD_IJSA_SA_EEENS0_18inequality_wrapperIZN2at6native12_GLOBAL__N_124unique_dim_cuda_templateIsEESt5tupleIJNSH_6TensorESM_SM_EERKSM_lbbbEUlllE0_EEPmJS6_EEE10hipError_tPvRmT3_T4_T5_T6_T7_T9_mT8_P12ihipStream_tbDpT10_ENKUlT_T0_E_clISt17integral_constantIbLb0EES1B_IbLb1EEEEDaS17_S18_EUlS17_E_NS1_11comp_targetILNS1_3genE2ELNS1_11target_archE906ELNS1_3gpuE6ELNS1_3repE0EEENS1_30default_config_static_selectorELNS0_4arch9wavefront6targetE1EEEvT1_,"axG",@progbits,_ZN7rocprim17ROCPRIM_400000_NS6detail17trampoline_kernelINS0_14default_configENS1_25partition_config_selectorILNS1_17partition_subalgoE8ElNS0_10empty_typeEbEEZZNS1_14partition_implILS5_8ELb0ES3_jPlPS6_PKS6_NS0_5tupleIJS9_S6_EEENSD_IJSA_SA_EEENS0_18inequality_wrapperIZN2at6native12_GLOBAL__N_124unique_dim_cuda_templateIsEESt5tupleIJNSH_6TensorESM_SM_EERKSM_lbbbEUlllE0_EEPmJS6_EEE10hipError_tPvRmT3_T4_T5_T6_T7_T9_mT8_P12ihipStream_tbDpT10_ENKUlT_T0_E_clISt17integral_constantIbLb0EES1B_IbLb1EEEEDaS17_S18_EUlS17_E_NS1_11comp_targetILNS1_3genE2ELNS1_11target_archE906ELNS1_3gpuE6ELNS1_3repE0EEENS1_30default_config_static_selectorELNS0_4arch9wavefront6targetE1EEEvT1_,comdat
.Lfunc_end713:
	.size	_ZN7rocprim17ROCPRIM_400000_NS6detail17trampoline_kernelINS0_14default_configENS1_25partition_config_selectorILNS1_17partition_subalgoE8ElNS0_10empty_typeEbEEZZNS1_14partition_implILS5_8ELb0ES3_jPlPS6_PKS6_NS0_5tupleIJS9_S6_EEENSD_IJSA_SA_EEENS0_18inequality_wrapperIZN2at6native12_GLOBAL__N_124unique_dim_cuda_templateIsEESt5tupleIJNSH_6TensorESM_SM_EERKSM_lbbbEUlllE0_EEPmJS6_EEE10hipError_tPvRmT3_T4_T5_T6_T7_T9_mT8_P12ihipStream_tbDpT10_ENKUlT_T0_E_clISt17integral_constantIbLb0EES1B_IbLb1EEEEDaS17_S18_EUlS17_E_NS1_11comp_targetILNS1_3genE2ELNS1_11target_archE906ELNS1_3gpuE6ELNS1_3repE0EEENS1_30default_config_static_selectorELNS0_4arch9wavefront6targetE1EEEvT1_, .Lfunc_end713-_ZN7rocprim17ROCPRIM_400000_NS6detail17trampoline_kernelINS0_14default_configENS1_25partition_config_selectorILNS1_17partition_subalgoE8ElNS0_10empty_typeEbEEZZNS1_14partition_implILS5_8ELb0ES3_jPlPS6_PKS6_NS0_5tupleIJS9_S6_EEENSD_IJSA_SA_EEENS0_18inequality_wrapperIZN2at6native12_GLOBAL__N_124unique_dim_cuda_templateIsEESt5tupleIJNSH_6TensorESM_SM_EERKSM_lbbbEUlllE0_EEPmJS6_EEE10hipError_tPvRmT3_T4_T5_T6_T7_T9_mT8_P12ihipStream_tbDpT10_ENKUlT_T0_E_clISt17integral_constantIbLb0EES1B_IbLb1EEEEDaS17_S18_EUlS17_E_NS1_11comp_targetILNS1_3genE2ELNS1_11target_archE906ELNS1_3gpuE6ELNS1_3repE0EEENS1_30default_config_static_selectorELNS0_4arch9wavefront6targetE1EEEvT1_
                                        ; -- End function
	.set _ZN7rocprim17ROCPRIM_400000_NS6detail17trampoline_kernelINS0_14default_configENS1_25partition_config_selectorILNS1_17partition_subalgoE8ElNS0_10empty_typeEbEEZZNS1_14partition_implILS5_8ELb0ES3_jPlPS6_PKS6_NS0_5tupleIJS9_S6_EEENSD_IJSA_SA_EEENS0_18inequality_wrapperIZN2at6native12_GLOBAL__N_124unique_dim_cuda_templateIsEESt5tupleIJNSH_6TensorESM_SM_EERKSM_lbbbEUlllE0_EEPmJS6_EEE10hipError_tPvRmT3_T4_T5_T6_T7_T9_mT8_P12ihipStream_tbDpT10_ENKUlT_T0_E_clISt17integral_constantIbLb0EES1B_IbLb1EEEEDaS17_S18_EUlS17_E_NS1_11comp_targetILNS1_3genE2ELNS1_11target_archE906ELNS1_3gpuE6ELNS1_3repE0EEENS1_30default_config_static_selectorELNS0_4arch9wavefront6targetE1EEEvT1_.num_vgpr, 0
	.set _ZN7rocprim17ROCPRIM_400000_NS6detail17trampoline_kernelINS0_14default_configENS1_25partition_config_selectorILNS1_17partition_subalgoE8ElNS0_10empty_typeEbEEZZNS1_14partition_implILS5_8ELb0ES3_jPlPS6_PKS6_NS0_5tupleIJS9_S6_EEENSD_IJSA_SA_EEENS0_18inequality_wrapperIZN2at6native12_GLOBAL__N_124unique_dim_cuda_templateIsEESt5tupleIJNSH_6TensorESM_SM_EERKSM_lbbbEUlllE0_EEPmJS6_EEE10hipError_tPvRmT3_T4_T5_T6_T7_T9_mT8_P12ihipStream_tbDpT10_ENKUlT_T0_E_clISt17integral_constantIbLb0EES1B_IbLb1EEEEDaS17_S18_EUlS17_E_NS1_11comp_targetILNS1_3genE2ELNS1_11target_archE906ELNS1_3gpuE6ELNS1_3repE0EEENS1_30default_config_static_selectorELNS0_4arch9wavefront6targetE1EEEvT1_.num_agpr, 0
	.set _ZN7rocprim17ROCPRIM_400000_NS6detail17trampoline_kernelINS0_14default_configENS1_25partition_config_selectorILNS1_17partition_subalgoE8ElNS0_10empty_typeEbEEZZNS1_14partition_implILS5_8ELb0ES3_jPlPS6_PKS6_NS0_5tupleIJS9_S6_EEENSD_IJSA_SA_EEENS0_18inequality_wrapperIZN2at6native12_GLOBAL__N_124unique_dim_cuda_templateIsEESt5tupleIJNSH_6TensorESM_SM_EERKSM_lbbbEUlllE0_EEPmJS6_EEE10hipError_tPvRmT3_T4_T5_T6_T7_T9_mT8_P12ihipStream_tbDpT10_ENKUlT_T0_E_clISt17integral_constantIbLb0EES1B_IbLb1EEEEDaS17_S18_EUlS17_E_NS1_11comp_targetILNS1_3genE2ELNS1_11target_archE906ELNS1_3gpuE6ELNS1_3repE0EEENS1_30default_config_static_selectorELNS0_4arch9wavefront6targetE1EEEvT1_.numbered_sgpr, 0
	.set _ZN7rocprim17ROCPRIM_400000_NS6detail17trampoline_kernelINS0_14default_configENS1_25partition_config_selectorILNS1_17partition_subalgoE8ElNS0_10empty_typeEbEEZZNS1_14partition_implILS5_8ELb0ES3_jPlPS6_PKS6_NS0_5tupleIJS9_S6_EEENSD_IJSA_SA_EEENS0_18inequality_wrapperIZN2at6native12_GLOBAL__N_124unique_dim_cuda_templateIsEESt5tupleIJNSH_6TensorESM_SM_EERKSM_lbbbEUlllE0_EEPmJS6_EEE10hipError_tPvRmT3_T4_T5_T6_T7_T9_mT8_P12ihipStream_tbDpT10_ENKUlT_T0_E_clISt17integral_constantIbLb0EES1B_IbLb1EEEEDaS17_S18_EUlS17_E_NS1_11comp_targetILNS1_3genE2ELNS1_11target_archE906ELNS1_3gpuE6ELNS1_3repE0EEENS1_30default_config_static_selectorELNS0_4arch9wavefront6targetE1EEEvT1_.num_named_barrier, 0
	.set _ZN7rocprim17ROCPRIM_400000_NS6detail17trampoline_kernelINS0_14default_configENS1_25partition_config_selectorILNS1_17partition_subalgoE8ElNS0_10empty_typeEbEEZZNS1_14partition_implILS5_8ELb0ES3_jPlPS6_PKS6_NS0_5tupleIJS9_S6_EEENSD_IJSA_SA_EEENS0_18inequality_wrapperIZN2at6native12_GLOBAL__N_124unique_dim_cuda_templateIsEESt5tupleIJNSH_6TensorESM_SM_EERKSM_lbbbEUlllE0_EEPmJS6_EEE10hipError_tPvRmT3_T4_T5_T6_T7_T9_mT8_P12ihipStream_tbDpT10_ENKUlT_T0_E_clISt17integral_constantIbLb0EES1B_IbLb1EEEEDaS17_S18_EUlS17_E_NS1_11comp_targetILNS1_3genE2ELNS1_11target_archE906ELNS1_3gpuE6ELNS1_3repE0EEENS1_30default_config_static_selectorELNS0_4arch9wavefront6targetE1EEEvT1_.private_seg_size, 0
	.set _ZN7rocprim17ROCPRIM_400000_NS6detail17trampoline_kernelINS0_14default_configENS1_25partition_config_selectorILNS1_17partition_subalgoE8ElNS0_10empty_typeEbEEZZNS1_14partition_implILS5_8ELb0ES3_jPlPS6_PKS6_NS0_5tupleIJS9_S6_EEENSD_IJSA_SA_EEENS0_18inequality_wrapperIZN2at6native12_GLOBAL__N_124unique_dim_cuda_templateIsEESt5tupleIJNSH_6TensorESM_SM_EERKSM_lbbbEUlllE0_EEPmJS6_EEE10hipError_tPvRmT3_T4_T5_T6_T7_T9_mT8_P12ihipStream_tbDpT10_ENKUlT_T0_E_clISt17integral_constantIbLb0EES1B_IbLb1EEEEDaS17_S18_EUlS17_E_NS1_11comp_targetILNS1_3genE2ELNS1_11target_archE906ELNS1_3gpuE6ELNS1_3repE0EEENS1_30default_config_static_selectorELNS0_4arch9wavefront6targetE1EEEvT1_.uses_vcc, 0
	.set _ZN7rocprim17ROCPRIM_400000_NS6detail17trampoline_kernelINS0_14default_configENS1_25partition_config_selectorILNS1_17partition_subalgoE8ElNS0_10empty_typeEbEEZZNS1_14partition_implILS5_8ELb0ES3_jPlPS6_PKS6_NS0_5tupleIJS9_S6_EEENSD_IJSA_SA_EEENS0_18inequality_wrapperIZN2at6native12_GLOBAL__N_124unique_dim_cuda_templateIsEESt5tupleIJNSH_6TensorESM_SM_EERKSM_lbbbEUlllE0_EEPmJS6_EEE10hipError_tPvRmT3_T4_T5_T6_T7_T9_mT8_P12ihipStream_tbDpT10_ENKUlT_T0_E_clISt17integral_constantIbLb0EES1B_IbLb1EEEEDaS17_S18_EUlS17_E_NS1_11comp_targetILNS1_3genE2ELNS1_11target_archE906ELNS1_3gpuE6ELNS1_3repE0EEENS1_30default_config_static_selectorELNS0_4arch9wavefront6targetE1EEEvT1_.uses_flat_scratch, 0
	.set _ZN7rocprim17ROCPRIM_400000_NS6detail17trampoline_kernelINS0_14default_configENS1_25partition_config_selectorILNS1_17partition_subalgoE8ElNS0_10empty_typeEbEEZZNS1_14partition_implILS5_8ELb0ES3_jPlPS6_PKS6_NS0_5tupleIJS9_S6_EEENSD_IJSA_SA_EEENS0_18inequality_wrapperIZN2at6native12_GLOBAL__N_124unique_dim_cuda_templateIsEESt5tupleIJNSH_6TensorESM_SM_EERKSM_lbbbEUlllE0_EEPmJS6_EEE10hipError_tPvRmT3_T4_T5_T6_T7_T9_mT8_P12ihipStream_tbDpT10_ENKUlT_T0_E_clISt17integral_constantIbLb0EES1B_IbLb1EEEEDaS17_S18_EUlS17_E_NS1_11comp_targetILNS1_3genE2ELNS1_11target_archE906ELNS1_3gpuE6ELNS1_3repE0EEENS1_30default_config_static_selectorELNS0_4arch9wavefront6targetE1EEEvT1_.has_dyn_sized_stack, 0
	.set _ZN7rocprim17ROCPRIM_400000_NS6detail17trampoline_kernelINS0_14default_configENS1_25partition_config_selectorILNS1_17partition_subalgoE8ElNS0_10empty_typeEbEEZZNS1_14partition_implILS5_8ELb0ES3_jPlPS6_PKS6_NS0_5tupleIJS9_S6_EEENSD_IJSA_SA_EEENS0_18inequality_wrapperIZN2at6native12_GLOBAL__N_124unique_dim_cuda_templateIsEESt5tupleIJNSH_6TensorESM_SM_EERKSM_lbbbEUlllE0_EEPmJS6_EEE10hipError_tPvRmT3_T4_T5_T6_T7_T9_mT8_P12ihipStream_tbDpT10_ENKUlT_T0_E_clISt17integral_constantIbLb0EES1B_IbLb1EEEEDaS17_S18_EUlS17_E_NS1_11comp_targetILNS1_3genE2ELNS1_11target_archE906ELNS1_3gpuE6ELNS1_3repE0EEENS1_30default_config_static_selectorELNS0_4arch9wavefront6targetE1EEEvT1_.has_recursion, 0
	.set _ZN7rocprim17ROCPRIM_400000_NS6detail17trampoline_kernelINS0_14default_configENS1_25partition_config_selectorILNS1_17partition_subalgoE8ElNS0_10empty_typeEbEEZZNS1_14partition_implILS5_8ELb0ES3_jPlPS6_PKS6_NS0_5tupleIJS9_S6_EEENSD_IJSA_SA_EEENS0_18inequality_wrapperIZN2at6native12_GLOBAL__N_124unique_dim_cuda_templateIsEESt5tupleIJNSH_6TensorESM_SM_EERKSM_lbbbEUlllE0_EEPmJS6_EEE10hipError_tPvRmT3_T4_T5_T6_T7_T9_mT8_P12ihipStream_tbDpT10_ENKUlT_T0_E_clISt17integral_constantIbLb0EES1B_IbLb1EEEEDaS17_S18_EUlS17_E_NS1_11comp_targetILNS1_3genE2ELNS1_11target_archE906ELNS1_3gpuE6ELNS1_3repE0EEENS1_30default_config_static_selectorELNS0_4arch9wavefront6targetE1EEEvT1_.has_indirect_call, 0
	.section	.AMDGPU.csdata,"",@progbits
; Kernel info:
; codeLenInByte = 0
; TotalNumSgprs: 6
; NumVgprs: 0
; NumAgprs: 0
; TotalNumVgprs: 0
; ScratchSize: 0
; MemoryBound: 0
; FloatMode: 240
; IeeeMode: 1
; LDSByteSize: 0 bytes/workgroup (compile time only)
; SGPRBlocks: 0
; VGPRBlocks: 0
; NumSGPRsForWavesPerEU: 6
; NumVGPRsForWavesPerEU: 1
; AccumOffset: 4
; Occupancy: 8
; WaveLimiterHint : 0
; COMPUTE_PGM_RSRC2:SCRATCH_EN: 0
; COMPUTE_PGM_RSRC2:USER_SGPR: 2
; COMPUTE_PGM_RSRC2:TRAP_HANDLER: 0
; COMPUTE_PGM_RSRC2:TGID_X_EN: 1
; COMPUTE_PGM_RSRC2:TGID_Y_EN: 0
; COMPUTE_PGM_RSRC2:TGID_Z_EN: 0
; COMPUTE_PGM_RSRC2:TIDIG_COMP_CNT: 0
; COMPUTE_PGM_RSRC3_GFX90A:ACCUM_OFFSET: 0
; COMPUTE_PGM_RSRC3_GFX90A:TG_SPLIT: 0
	.section	.text._ZN7rocprim17ROCPRIM_400000_NS6detail17trampoline_kernelINS0_14default_configENS1_25partition_config_selectorILNS1_17partition_subalgoE8ElNS0_10empty_typeEbEEZZNS1_14partition_implILS5_8ELb0ES3_jPlPS6_PKS6_NS0_5tupleIJS9_S6_EEENSD_IJSA_SA_EEENS0_18inequality_wrapperIZN2at6native12_GLOBAL__N_124unique_dim_cuda_templateIsEESt5tupleIJNSH_6TensorESM_SM_EERKSM_lbbbEUlllE0_EEPmJS6_EEE10hipError_tPvRmT3_T4_T5_T6_T7_T9_mT8_P12ihipStream_tbDpT10_ENKUlT_T0_E_clISt17integral_constantIbLb0EES1B_IbLb1EEEEDaS17_S18_EUlS17_E_NS1_11comp_targetILNS1_3genE10ELNS1_11target_archE1200ELNS1_3gpuE4ELNS1_3repE0EEENS1_30default_config_static_selectorELNS0_4arch9wavefront6targetE1EEEvT1_,"axG",@progbits,_ZN7rocprim17ROCPRIM_400000_NS6detail17trampoline_kernelINS0_14default_configENS1_25partition_config_selectorILNS1_17partition_subalgoE8ElNS0_10empty_typeEbEEZZNS1_14partition_implILS5_8ELb0ES3_jPlPS6_PKS6_NS0_5tupleIJS9_S6_EEENSD_IJSA_SA_EEENS0_18inequality_wrapperIZN2at6native12_GLOBAL__N_124unique_dim_cuda_templateIsEESt5tupleIJNSH_6TensorESM_SM_EERKSM_lbbbEUlllE0_EEPmJS6_EEE10hipError_tPvRmT3_T4_T5_T6_T7_T9_mT8_P12ihipStream_tbDpT10_ENKUlT_T0_E_clISt17integral_constantIbLb0EES1B_IbLb1EEEEDaS17_S18_EUlS17_E_NS1_11comp_targetILNS1_3genE10ELNS1_11target_archE1200ELNS1_3gpuE4ELNS1_3repE0EEENS1_30default_config_static_selectorELNS0_4arch9wavefront6targetE1EEEvT1_,comdat
	.globl	_ZN7rocprim17ROCPRIM_400000_NS6detail17trampoline_kernelINS0_14default_configENS1_25partition_config_selectorILNS1_17partition_subalgoE8ElNS0_10empty_typeEbEEZZNS1_14partition_implILS5_8ELb0ES3_jPlPS6_PKS6_NS0_5tupleIJS9_S6_EEENSD_IJSA_SA_EEENS0_18inequality_wrapperIZN2at6native12_GLOBAL__N_124unique_dim_cuda_templateIsEESt5tupleIJNSH_6TensorESM_SM_EERKSM_lbbbEUlllE0_EEPmJS6_EEE10hipError_tPvRmT3_T4_T5_T6_T7_T9_mT8_P12ihipStream_tbDpT10_ENKUlT_T0_E_clISt17integral_constantIbLb0EES1B_IbLb1EEEEDaS17_S18_EUlS17_E_NS1_11comp_targetILNS1_3genE10ELNS1_11target_archE1200ELNS1_3gpuE4ELNS1_3repE0EEENS1_30default_config_static_selectorELNS0_4arch9wavefront6targetE1EEEvT1_ ; -- Begin function _ZN7rocprim17ROCPRIM_400000_NS6detail17trampoline_kernelINS0_14default_configENS1_25partition_config_selectorILNS1_17partition_subalgoE8ElNS0_10empty_typeEbEEZZNS1_14partition_implILS5_8ELb0ES3_jPlPS6_PKS6_NS0_5tupleIJS9_S6_EEENSD_IJSA_SA_EEENS0_18inequality_wrapperIZN2at6native12_GLOBAL__N_124unique_dim_cuda_templateIsEESt5tupleIJNSH_6TensorESM_SM_EERKSM_lbbbEUlllE0_EEPmJS6_EEE10hipError_tPvRmT3_T4_T5_T6_T7_T9_mT8_P12ihipStream_tbDpT10_ENKUlT_T0_E_clISt17integral_constantIbLb0EES1B_IbLb1EEEEDaS17_S18_EUlS17_E_NS1_11comp_targetILNS1_3genE10ELNS1_11target_archE1200ELNS1_3gpuE4ELNS1_3repE0EEENS1_30default_config_static_selectorELNS0_4arch9wavefront6targetE1EEEvT1_
	.p2align	8
	.type	_ZN7rocprim17ROCPRIM_400000_NS6detail17trampoline_kernelINS0_14default_configENS1_25partition_config_selectorILNS1_17partition_subalgoE8ElNS0_10empty_typeEbEEZZNS1_14partition_implILS5_8ELb0ES3_jPlPS6_PKS6_NS0_5tupleIJS9_S6_EEENSD_IJSA_SA_EEENS0_18inequality_wrapperIZN2at6native12_GLOBAL__N_124unique_dim_cuda_templateIsEESt5tupleIJNSH_6TensorESM_SM_EERKSM_lbbbEUlllE0_EEPmJS6_EEE10hipError_tPvRmT3_T4_T5_T6_T7_T9_mT8_P12ihipStream_tbDpT10_ENKUlT_T0_E_clISt17integral_constantIbLb0EES1B_IbLb1EEEEDaS17_S18_EUlS17_E_NS1_11comp_targetILNS1_3genE10ELNS1_11target_archE1200ELNS1_3gpuE4ELNS1_3repE0EEENS1_30default_config_static_selectorELNS0_4arch9wavefront6targetE1EEEvT1_,@function
_ZN7rocprim17ROCPRIM_400000_NS6detail17trampoline_kernelINS0_14default_configENS1_25partition_config_selectorILNS1_17partition_subalgoE8ElNS0_10empty_typeEbEEZZNS1_14partition_implILS5_8ELb0ES3_jPlPS6_PKS6_NS0_5tupleIJS9_S6_EEENSD_IJSA_SA_EEENS0_18inequality_wrapperIZN2at6native12_GLOBAL__N_124unique_dim_cuda_templateIsEESt5tupleIJNSH_6TensorESM_SM_EERKSM_lbbbEUlllE0_EEPmJS6_EEE10hipError_tPvRmT3_T4_T5_T6_T7_T9_mT8_P12ihipStream_tbDpT10_ENKUlT_T0_E_clISt17integral_constantIbLb0EES1B_IbLb1EEEEDaS17_S18_EUlS17_E_NS1_11comp_targetILNS1_3genE10ELNS1_11target_archE1200ELNS1_3gpuE4ELNS1_3repE0EEENS1_30default_config_static_selectorELNS0_4arch9wavefront6targetE1EEEvT1_: ; @_ZN7rocprim17ROCPRIM_400000_NS6detail17trampoline_kernelINS0_14default_configENS1_25partition_config_selectorILNS1_17partition_subalgoE8ElNS0_10empty_typeEbEEZZNS1_14partition_implILS5_8ELb0ES3_jPlPS6_PKS6_NS0_5tupleIJS9_S6_EEENSD_IJSA_SA_EEENS0_18inequality_wrapperIZN2at6native12_GLOBAL__N_124unique_dim_cuda_templateIsEESt5tupleIJNSH_6TensorESM_SM_EERKSM_lbbbEUlllE0_EEPmJS6_EEE10hipError_tPvRmT3_T4_T5_T6_T7_T9_mT8_P12ihipStream_tbDpT10_ENKUlT_T0_E_clISt17integral_constantIbLb0EES1B_IbLb1EEEEDaS17_S18_EUlS17_E_NS1_11comp_targetILNS1_3genE10ELNS1_11target_archE1200ELNS1_3gpuE4ELNS1_3repE0EEENS1_30default_config_static_selectorELNS0_4arch9wavefront6targetE1EEEvT1_
; %bb.0:
	.section	.rodata,"a",@progbits
	.p2align	6, 0x0
	.amdhsa_kernel _ZN7rocprim17ROCPRIM_400000_NS6detail17trampoline_kernelINS0_14default_configENS1_25partition_config_selectorILNS1_17partition_subalgoE8ElNS0_10empty_typeEbEEZZNS1_14partition_implILS5_8ELb0ES3_jPlPS6_PKS6_NS0_5tupleIJS9_S6_EEENSD_IJSA_SA_EEENS0_18inequality_wrapperIZN2at6native12_GLOBAL__N_124unique_dim_cuda_templateIsEESt5tupleIJNSH_6TensorESM_SM_EERKSM_lbbbEUlllE0_EEPmJS6_EEE10hipError_tPvRmT3_T4_T5_T6_T7_T9_mT8_P12ihipStream_tbDpT10_ENKUlT_T0_E_clISt17integral_constantIbLb0EES1B_IbLb1EEEEDaS17_S18_EUlS17_E_NS1_11comp_targetILNS1_3genE10ELNS1_11target_archE1200ELNS1_3gpuE4ELNS1_3repE0EEENS1_30default_config_static_selectorELNS0_4arch9wavefront6targetE1EEEvT1_
		.amdhsa_group_segment_fixed_size 0
		.amdhsa_private_segment_fixed_size 0
		.amdhsa_kernarg_size 136
		.amdhsa_user_sgpr_count 2
		.amdhsa_user_sgpr_dispatch_ptr 0
		.amdhsa_user_sgpr_queue_ptr 0
		.amdhsa_user_sgpr_kernarg_segment_ptr 1
		.amdhsa_user_sgpr_dispatch_id 0
		.amdhsa_user_sgpr_kernarg_preload_length 0
		.amdhsa_user_sgpr_kernarg_preload_offset 0
		.amdhsa_user_sgpr_private_segment_size 0
		.amdhsa_uses_dynamic_stack 0
		.amdhsa_enable_private_segment 0
		.amdhsa_system_sgpr_workgroup_id_x 1
		.amdhsa_system_sgpr_workgroup_id_y 0
		.amdhsa_system_sgpr_workgroup_id_z 0
		.amdhsa_system_sgpr_workgroup_info 0
		.amdhsa_system_vgpr_workitem_id 0
		.amdhsa_next_free_vgpr 1
		.amdhsa_next_free_sgpr 0
		.amdhsa_accum_offset 4
		.amdhsa_reserve_vcc 0
		.amdhsa_float_round_mode_32 0
		.amdhsa_float_round_mode_16_64 0
		.amdhsa_float_denorm_mode_32 3
		.amdhsa_float_denorm_mode_16_64 3
		.amdhsa_dx10_clamp 1
		.amdhsa_ieee_mode 1
		.amdhsa_fp16_overflow 0
		.amdhsa_tg_split 0
		.amdhsa_exception_fp_ieee_invalid_op 0
		.amdhsa_exception_fp_denorm_src 0
		.amdhsa_exception_fp_ieee_div_zero 0
		.amdhsa_exception_fp_ieee_overflow 0
		.amdhsa_exception_fp_ieee_underflow 0
		.amdhsa_exception_fp_ieee_inexact 0
		.amdhsa_exception_int_div_zero 0
	.end_amdhsa_kernel
	.section	.text._ZN7rocprim17ROCPRIM_400000_NS6detail17trampoline_kernelINS0_14default_configENS1_25partition_config_selectorILNS1_17partition_subalgoE8ElNS0_10empty_typeEbEEZZNS1_14partition_implILS5_8ELb0ES3_jPlPS6_PKS6_NS0_5tupleIJS9_S6_EEENSD_IJSA_SA_EEENS0_18inequality_wrapperIZN2at6native12_GLOBAL__N_124unique_dim_cuda_templateIsEESt5tupleIJNSH_6TensorESM_SM_EERKSM_lbbbEUlllE0_EEPmJS6_EEE10hipError_tPvRmT3_T4_T5_T6_T7_T9_mT8_P12ihipStream_tbDpT10_ENKUlT_T0_E_clISt17integral_constantIbLb0EES1B_IbLb1EEEEDaS17_S18_EUlS17_E_NS1_11comp_targetILNS1_3genE10ELNS1_11target_archE1200ELNS1_3gpuE4ELNS1_3repE0EEENS1_30default_config_static_selectorELNS0_4arch9wavefront6targetE1EEEvT1_,"axG",@progbits,_ZN7rocprim17ROCPRIM_400000_NS6detail17trampoline_kernelINS0_14default_configENS1_25partition_config_selectorILNS1_17partition_subalgoE8ElNS0_10empty_typeEbEEZZNS1_14partition_implILS5_8ELb0ES3_jPlPS6_PKS6_NS0_5tupleIJS9_S6_EEENSD_IJSA_SA_EEENS0_18inequality_wrapperIZN2at6native12_GLOBAL__N_124unique_dim_cuda_templateIsEESt5tupleIJNSH_6TensorESM_SM_EERKSM_lbbbEUlllE0_EEPmJS6_EEE10hipError_tPvRmT3_T4_T5_T6_T7_T9_mT8_P12ihipStream_tbDpT10_ENKUlT_T0_E_clISt17integral_constantIbLb0EES1B_IbLb1EEEEDaS17_S18_EUlS17_E_NS1_11comp_targetILNS1_3genE10ELNS1_11target_archE1200ELNS1_3gpuE4ELNS1_3repE0EEENS1_30default_config_static_selectorELNS0_4arch9wavefront6targetE1EEEvT1_,comdat
.Lfunc_end714:
	.size	_ZN7rocprim17ROCPRIM_400000_NS6detail17trampoline_kernelINS0_14default_configENS1_25partition_config_selectorILNS1_17partition_subalgoE8ElNS0_10empty_typeEbEEZZNS1_14partition_implILS5_8ELb0ES3_jPlPS6_PKS6_NS0_5tupleIJS9_S6_EEENSD_IJSA_SA_EEENS0_18inequality_wrapperIZN2at6native12_GLOBAL__N_124unique_dim_cuda_templateIsEESt5tupleIJNSH_6TensorESM_SM_EERKSM_lbbbEUlllE0_EEPmJS6_EEE10hipError_tPvRmT3_T4_T5_T6_T7_T9_mT8_P12ihipStream_tbDpT10_ENKUlT_T0_E_clISt17integral_constantIbLb0EES1B_IbLb1EEEEDaS17_S18_EUlS17_E_NS1_11comp_targetILNS1_3genE10ELNS1_11target_archE1200ELNS1_3gpuE4ELNS1_3repE0EEENS1_30default_config_static_selectorELNS0_4arch9wavefront6targetE1EEEvT1_, .Lfunc_end714-_ZN7rocprim17ROCPRIM_400000_NS6detail17trampoline_kernelINS0_14default_configENS1_25partition_config_selectorILNS1_17partition_subalgoE8ElNS0_10empty_typeEbEEZZNS1_14partition_implILS5_8ELb0ES3_jPlPS6_PKS6_NS0_5tupleIJS9_S6_EEENSD_IJSA_SA_EEENS0_18inequality_wrapperIZN2at6native12_GLOBAL__N_124unique_dim_cuda_templateIsEESt5tupleIJNSH_6TensorESM_SM_EERKSM_lbbbEUlllE0_EEPmJS6_EEE10hipError_tPvRmT3_T4_T5_T6_T7_T9_mT8_P12ihipStream_tbDpT10_ENKUlT_T0_E_clISt17integral_constantIbLb0EES1B_IbLb1EEEEDaS17_S18_EUlS17_E_NS1_11comp_targetILNS1_3genE10ELNS1_11target_archE1200ELNS1_3gpuE4ELNS1_3repE0EEENS1_30default_config_static_selectorELNS0_4arch9wavefront6targetE1EEEvT1_
                                        ; -- End function
	.set _ZN7rocprim17ROCPRIM_400000_NS6detail17trampoline_kernelINS0_14default_configENS1_25partition_config_selectorILNS1_17partition_subalgoE8ElNS0_10empty_typeEbEEZZNS1_14partition_implILS5_8ELb0ES3_jPlPS6_PKS6_NS0_5tupleIJS9_S6_EEENSD_IJSA_SA_EEENS0_18inequality_wrapperIZN2at6native12_GLOBAL__N_124unique_dim_cuda_templateIsEESt5tupleIJNSH_6TensorESM_SM_EERKSM_lbbbEUlllE0_EEPmJS6_EEE10hipError_tPvRmT3_T4_T5_T6_T7_T9_mT8_P12ihipStream_tbDpT10_ENKUlT_T0_E_clISt17integral_constantIbLb0EES1B_IbLb1EEEEDaS17_S18_EUlS17_E_NS1_11comp_targetILNS1_3genE10ELNS1_11target_archE1200ELNS1_3gpuE4ELNS1_3repE0EEENS1_30default_config_static_selectorELNS0_4arch9wavefront6targetE1EEEvT1_.num_vgpr, 0
	.set _ZN7rocprim17ROCPRIM_400000_NS6detail17trampoline_kernelINS0_14default_configENS1_25partition_config_selectorILNS1_17partition_subalgoE8ElNS0_10empty_typeEbEEZZNS1_14partition_implILS5_8ELb0ES3_jPlPS6_PKS6_NS0_5tupleIJS9_S6_EEENSD_IJSA_SA_EEENS0_18inequality_wrapperIZN2at6native12_GLOBAL__N_124unique_dim_cuda_templateIsEESt5tupleIJNSH_6TensorESM_SM_EERKSM_lbbbEUlllE0_EEPmJS6_EEE10hipError_tPvRmT3_T4_T5_T6_T7_T9_mT8_P12ihipStream_tbDpT10_ENKUlT_T0_E_clISt17integral_constantIbLb0EES1B_IbLb1EEEEDaS17_S18_EUlS17_E_NS1_11comp_targetILNS1_3genE10ELNS1_11target_archE1200ELNS1_3gpuE4ELNS1_3repE0EEENS1_30default_config_static_selectorELNS0_4arch9wavefront6targetE1EEEvT1_.num_agpr, 0
	.set _ZN7rocprim17ROCPRIM_400000_NS6detail17trampoline_kernelINS0_14default_configENS1_25partition_config_selectorILNS1_17partition_subalgoE8ElNS0_10empty_typeEbEEZZNS1_14partition_implILS5_8ELb0ES3_jPlPS6_PKS6_NS0_5tupleIJS9_S6_EEENSD_IJSA_SA_EEENS0_18inequality_wrapperIZN2at6native12_GLOBAL__N_124unique_dim_cuda_templateIsEESt5tupleIJNSH_6TensorESM_SM_EERKSM_lbbbEUlllE0_EEPmJS6_EEE10hipError_tPvRmT3_T4_T5_T6_T7_T9_mT8_P12ihipStream_tbDpT10_ENKUlT_T0_E_clISt17integral_constantIbLb0EES1B_IbLb1EEEEDaS17_S18_EUlS17_E_NS1_11comp_targetILNS1_3genE10ELNS1_11target_archE1200ELNS1_3gpuE4ELNS1_3repE0EEENS1_30default_config_static_selectorELNS0_4arch9wavefront6targetE1EEEvT1_.numbered_sgpr, 0
	.set _ZN7rocprim17ROCPRIM_400000_NS6detail17trampoline_kernelINS0_14default_configENS1_25partition_config_selectorILNS1_17partition_subalgoE8ElNS0_10empty_typeEbEEZZNS1_14partition_implILS5_8ELb0ES3_jPlPS6_PKS6_NS0_5tupleIJS9_S6_EEENSD_IJSA_SA_EEENS0_18inequality_wrapperIZN2at6native12_GLOBAL__N_124unique_dim_cuda_templateIsEESt5tupleIJNSH_6TensorESM_SM_EERKSM_lbbbEUlllE0_EEPmJS6_EEE10hipError_tPvRmT3_T4_T5_T6_T7_T9_mT8_P12ihipStream_tbDpT10_ENKUlT_T0_E_clISt17integral_constantIbLb0EES1B_IbLb1EEEEDaS17_S18_EUlS17_E_NS1_11comp_targetILNS1_3genE10ELNS1_11target_archE1200ELNS1_3gpuE4ELNS1_3repE0EEENS1_30default_config_static_selectorELNS0_4arch9wavefront6targetE1EEEvT1_.num_named_barrier, 0
	.set _ZN7rocprim17ROCPRIM_400000_NS6detail17trampoline_kernelINS0_14default_configENS1_25partition_config_selectorILNS1_17partition_subalgoE8ElNS0_10empty_typeEbEEZZNS1_14partition_implILS5_8ELb0ES3_jPlPS6_PKS6_NS0_5tupleIJS9_S6_EEENSD_IJSA_SA_EEENS0_18inequality_wrapperIZN2at6native12_GLOBAL__N_124unique_dim_cuda_templateIsEESt5tupleIJNSH_6TensorESM_SM_EERKSM_lbbbEUlllE0_EEPmJS6_EEE10hipError_tPvRmT3_T4_T5_T6_T7_T9_mT8_P12ihipStream_tbDpT10_ENKUlT_T0_E_clISt17integral_constantIbLb0EES1B_IbLb1EEEEDaS17_S18_EUlS17_E_NS1_11comp_targetILNS1_3genE10ELNS1_11target_archE1200ELNS1_3gpuE4ELNS1_3repE0EEENS1_30default_config_static_selectorELNS0_4arch9wavefront6targetE1EEEvT1_.private_seg_size, 0
	.set _ZN7rocprim17ROCPRIM_400000_NS6detail17trampoline_kernelINS0_14default_configENS1_25partition_config_selectorILNS1_17partition_subalgoE8ElNS0_10empty_typeEbEEZZNS1_14partition_implILS5_8ELb0ES3_jPlPS6_PKS6_NS0_5tupleIJS9_S6_EEENSD_IJSA_SA_EEENS0_18inequality_wrapperIZN2at6native12_GLOBAL__N_124unique_dim_cuda_templateIsEESt5tupleIJNSH_6TensorESM_SM_EERKSM_lbbbEUlllE0_EEPmJS6_EEE10hipError_tPvRmT3_T4_T5_T6_T7_T9_mT8_P12ihipStream_tbDpT10_ENKUlT_T0_E_clISt17integral_constantIbLb0EES1B_IbLb1EEEEDaS17_S18_EUlS17_E_NS1_11comp_targetILNS1_3genE10ELNS1_11target_archE1200ELNS1_3gpuE4ELNS1_3repE0EEENS1_30default_config_static_selectorELNS0_4arch9wavefront6targetE1EEEvT1_.uses_vcc, 0
	.set _ZN7rocprim17ROCPRIM_400000_NS6detail17trampoline_kernelINS0_14default_configENS1_25partition_config_selectorILNS1_17partition_subalgoE8ElNS0_10empty_typeEbEEZZNS1_14partition_implILS5_8ELb0ES3_jPlPS6_PKS6_NS0_5tupleIJS9_S6_EEENSD_IJSA_SA_EEENS0_18inequality_wrapperIZN2at6native12_GLOBAL__N_124unique_dim_cuda_templateIsEESt5tupleIJNSH_6TensorESM_SM_EERKSM_lbbbEUlllE0_EEPmJS6_EEE10hipError_tPvRmT3_T4_T5_T6_T7_T9_mT8_P12ihipStream_tbDpT10_ENKUlT_T0_E_clISt17integral_constantIbLb0EES1B_IbLb1EEEEDaS17_S18_EUlS17_E_NS1_11comp_targetILNS1_3genE10ELNS1_11target_archE1200ELNS1_3gpuE4ELNS1_3repE0EEENS1_30default_config_static_selectorELNS0_4arch9wavefront6targetE1EEEvT1_.uses_flat_scratch, 0
	.set _ZN7rocprim17ROCPRIM_400000_NS6detail17trampoline_kernelINS0_14default_configENS1_25partition_config_selectorILNS1_17partition_subalgoE8ElNS0_10empty_typeEbEEZZNS1_14partition_implILS5_8ELb0ES3_jPlPS6_PKS6_NS0_5tupleIJS9_S6_EEENSD_IJSA_SA_EEENS0_18inequality_wrapperIZN2at6native12_GLOBAL__N_124unique_dim_cuda_templateIsEESt5tupleIJNSH_6TensorESM_SM_EERKSM_lbbbEUlllE0_EEPmJS6_EEE10hipError_tPvRmT3_T4_T5_T6_T7_T9_mT8_P12ihipStream_tbDpT10_ENKUlT_T0_E_clISt17integral_constantIbLb0EES1B_IbLb1EEEEDaS17_S18_EUlS17_E_NS1_11comp_targetILNS1_3genE10ELNS1_11target_archE1200ELNS1_3gpuE4ELNS1_3repE0EEENS1_30default_config_static_selectorELNS0_4arch9wavefront6targetE1EEEvT1_.has_dyn_sized_stack, 0
	.set _ZN7rocprim17ROCPRIM_400000_NS6detail17trampoline_kernelINS0_14default_configENS1_25partition_config_selectorILNS1_17partition_subalgoE8ElNS0_10empty_typeEbEEZZNS1_14partition_implILS5_8ELb0ES3_jPlPS6_PKS6_NS0_5tupleIJS9_S6_EEENSD_IJSA_SA_EEENS0_18inequality_wrapperIZN2at6native12_GLOBAL__N_124unique_dim_cuda_templateIsEESt5tupleIJNSH_6TensorESM_SM_EERKSM_lbbbEUlllE0_EEPmJS6_EEE10hipError_tPvRmT3_T4_T5_T6_T7_T9_mT8_P12ihipStream_tbDpT10_ENKUlT_T0_E_clISt17integral_constantIbLb0EES1B_IbLb1EEEEDaS17_S18_EUlS17_E_NS1_11comp_targetILNS1_3genE10ELNS1_11target_archE1200ELNS1_3gpuE4ELNS1_3repE0EEENS1_30default_config_static_selectorELNS0_4arch9wavefront6targetE1EEEvT1_.has_recursion, 0
	.set _ZN7rocprim17ROCPRIM_400000_NS6detail17trampoline_kernelINS0_14default_configENS1_25partition_config_selectorILNS1_17partition_subalgoE8ElNS0_10empty_typeEbEEZZNS1_14partition_implILS5_8ELb0ES3_jPlPS6_PKS6_NS0_5tupleIJS9_S6_EEENSD_IJSA_SA_EEENS0_18inequality_wrapperIZN2at6native12_GLOBAL__N_124unique_dim_cuda_templateIsEESt5tupleIJNSH_6TensorESM_SM_EERKSM_lbbbEUlllE0_EEPmJS6_EEE10hipError_tPvRmT3_T4_T5_T6_T7_T9_mT8_P12ihipStream_tbDpT10_ENKUlT_T0_E_clISt17integral_constantIbLb0EES1B_IbLb1EEEEDaS17_S18_EUlS17_E_NS1_11comp_targetILNS1_3genE10ELNS1_11target_archE1200ELNS1_3gpuE4ELNS1_3repE0EEENS1_30default_config_static_selectorELNS0_4arch9wavefront6targetE1EEEvT1_.has_indirect_call, 0
	.section	.AMDGPU.csdata,"",@progbits
; Kernel info:
; codeLenInByte = 0
; TotalNumSgprs: 6
; NumVgprs: 0
; NumAgprs: 0
; TotalNumVgprs: 0
; ScratchSize: 0
; MemoryBound: 0
; FloatMode: 240
; IeeeMode: 1
; LDSByteSize: 0 bytes/workgroup (compile time only)
; SGPRBlocks: 0
; VGPRBlocks: 0
; NumSGPRsForWavesPerEU: 6
; NumVGPRsForWavesPerEU: 1
; AccumOffset: 4
; Occupancy: 8
; WaveLimiterHint : 0
; COMPUTE_PGM_RSRC2:SCRATCH_EN: 0
; COMPUTE_PGM_RSRC2:USER_SGPR: 2
; COMPUTE_PGM_RSRC2:TRAP_HANDLER: 0
; COMPUTE_PGM_RSRC2:TGID_X_EN: 1
; COMPUTE_PGM_RSRC2:TGID_Y_EN: 0
; COMPUTE_PGM_RSRC2:TGID_Z_EN: 0
; COMPUTE_PGM_RSRC2:TIDIG_COMP_CNT: 0
; COMPUTE_PGM_RSRC3_GFX90A:ACCUM_OFFSET: 0
; COMPUTE_PGM_RSRC3_GFX90A:TG_SPLIT: 0
	.section	.text._ZN7rocprim17ROCPRIM_400000_NS6detail17trampoline_kernelINS0_14default_configENS1_25partition_config_selectorILNS1_17partition_subalgoE8ElNS0_10empty_typeEbEEZZNS1_14partition_implILS5_8ELb0ES3_jPlPS6_PKS6_NS0_5tupleIJS9_S6_EEENSD_IJSA_SA_EEENS0_18inequality_wrapperIZN2at6native12_GLOBAL__N_124unique_dim_cuda_templateIsEESt5tupleIJNSH_6TensorESM_SM_EERKSM_lbbbEUlllE0_EEPmJS6_EEE10hipError_tPvRmT3_T4_T5_T6_T7_T9_mT8_P12ihipStream_tbDpT10_ENKUlT_T0_E_clISt17integral_constantIbLb0EES1B_IbLb1EEEEDaS17_S18_EUlS17_E_NS1_11comp_targetILNS1_3genE9ELNS1_11target_archE1100ELNS1_3gpuE3ELNS1_3repE0EEENS1_30default_config_static_selectorELNS0_4arch9wavefront6targetE1EEEvT1_,"axG",@progbits,_ZN7rocprim17ROCPRIM_400000_NS6detail17trampoline_kernelINS0_14default_configENS1_25partition_config_selectorILNS1_17partition_subalgoE8ElNS0_10empty_typeEbEEZZNS1_14partition_implILS5_8ELb0ES3_jPlPS6_PKS6_NS0_5tupleIJS9_S6_EEENSD_IJSA_SA_EEENS0_18inequality_wrapperIZN2at6native12_GLOBAL__N_124unique_dim_cuda_templateIsEESt5tupleIJNSH_6TensorESM_SM_EERKSM_lbbbEUlllE0_EEPmJS6_EEE10hipError_tPvRmT3_T4_T5_T6_T7_T9_mT8_P12ihipStream_tbDpT10_ENKUlT_T0_E_clISt17integral_constantIbLb0EES1B_IbLb1EEEEDaS17_S18_EUlS17_E_NS1_11comp_targetILNS1_3genE9ELNS1_11target_archE1100ELNS1_3gpuE3ELNS1_3repE0EEENS1_30default_config_static_selectorELNS0_4arch9wavefront6targetE1EEEvT1_,comdat
	.globl	_ZN7rocprim17ROCPRIM_400000_NS6detail17trampoline_kernelINS0_14default_configENS1_25partition_config_selectorILNS1_17partition_subalgoE8ElNS0_10empty_typeEbEEZZNS1_14partition_implILS5_8ELb0ES3_jPlPS6_PKS6_NS0_5tupleIJS9_S6_EEENSD_IJSA_SA_EEENS0_18inequality_wrapperIZN2at6native12_GLOBAL__N_124unique_dim_cuda_templateIsEESt5tupleIJNSH_6TensorESM_SM_EERKSM_lbbbEUlllE0_EEPmJS6_EEE10hipError_tPvRmT3_T4_T5_T6_T7_T9_mT8_P12ihipStream_tbDpT10_ENKUlT_T0_E_clISt17integral_constantIbLb0EES1B_IbLb1EEEEDaS17_S18_EUlS17_E_NS1_11comp_targetILNS1_3genE9ELNS1_11target_archE1100ELNS1_3gpuE3ELNS1_3repE0EEENS1_30default_config_static_selectorELNS0_4arch9wavefront6targetE1EEEvT1_ ; -- Begin function _ZN7rocprim17ROCPRIM_400000_NS6detail17trampoline_kernelINS0_14default_configENS1_25partition_config_selectorILNS1_17partition_subalgoE8ElNS0_10empty_typeEbEEZZNS1_14partition_implILS5_8ELb0ES3_jPlPS6_PKS6_NS0_5tupleIJS9_S6_EEENSD_IJSA_SA_EEENS0_18inequality_wrapperIZN2at6native12_GLOBAL__N_124unique_dim_cuda_templateIsEESt5tupleIJNSH_6TensorESM_SM_EERKSM_lbbbEUlllE0_EEPmJS6_EEE10hipError_tPvRmT3_T4_T5_T6_T7_T9_mT8_P12ihipStream_tbDpT10_ENKUlT_T0_E_clISt17integral_constantIbLb0EES1B_IbLb1EEEEDaS17_S18_EUlS17_E_NS1_11comp_targetILNS1_3genE9ELNS1_11target_archE1100ELNS1_3gpuE3ELNS1_3repE0EEENS1_30default_config_static_selectorELNS0_4arch9wavefront6targetE1EEEvT1_
	.p2align	8
	.type	_ZN7rocprim17ROCPRIM_400000_NS6detail17trampoline_kernelINS0_14default_configENS1_25partition_config_selectorILNS1_17partition_subalgoE8ElNS0_10empty_typeEbEEZZNS1_14partition_implILS5_8ELb0ES3_jPlPS6_PKS6_NS0_5tupleIJS9_S6_EEENSD_IJSA_SA_EEENS0_18inequality_wrapperIZN2at6native12_GLOBAL__N_124unique_dim_cuda_templateIsEESt5tupleIJNSH_6TensorESM_SM_EERKSM_lbbbEUlllE0_EEPmJS6_EEE10hipError_tPvRmT3_T4_T5_T6_T7_T9_mT8_P12ihipStream_tbDpT10_ENKUlT_T0_E_clISt17integral_constantIbLb0EES1B_IbLb1EEEEDaS17_S18_EUlS17_E_NS1_11comp_targetILNS1_3genE9ELNS1_11target_archE1100ELNS1_3gpuE3ELNS1_3repE0EEENS1_30default_config_static_selectorELNS0_4arch9wavefront6targetE1EEEvT1_,@function
_ZN7rocprim17ROCPRIM_400000_NS6detail17trampoline_kernelINS0_14default_configENS1_25partition_config_selectorILNS1_17partition_subalgoE8ElNS0_10empty_typeEbEEZZNS1_14partition_implILS5_8ELb0ES3_jPlPS6_PKS6_NS0_5tupleIJS9_S6_EEENSD_IJSA_SA_EEENS0_18inequality_wrapperIZN2at6native12_GLOBAL__N_124unique_dim_cuda_templateIsEESt5tupleIJNSH_6TensorESM_SM_EERKSM_lbbbEUlllE0_EEPmJS6_EEE10hipError_tPvRmT3_T4_T5_T6_T7_T9_mT8_P12ihipStream_tbDpT10_ENKUlT_T0_E_clISt17integral_constantIbLb0EES1B_IbLb1EEEEDaS17_S18_EUlS17_E_NS1_11comp_targetILNS1_3genE9ELNS1_11target_archE1100ELNS1_3gpuE3ELNS1_3repE0EEENS1_30default_config_static_selectorELNS0_4arch9wavefront6targetE1EEEvT1_: ; @_ZN7rocprim17ROCPRIM_400000_NS6detail17trampoline_kernelINS0_14default_configENS1_25partition_config_selectorILNS1_17partition_subalgoE8ElNS0_10empty_typeEbEEZZNS1_14partition_implILS5_8ELb0ES3_jPlPS6_PKS6_NS0_5tupleIJS9_S6_EEENSD_IJSA_SA_EEENS0_18inequality_wrapperIZN2at6native12_GLOBAL__N_124unique_dim_cuda_templateIsEESt5tupleIJNSH_6TensorESM_SM_EERKSM_lbbbEUlllE0_EEPmJS6_EEE10hipError_tPvRmT3_T4_T5_T6_T7_T9_mT8_P12ihipStream_tbDpT10_ENKUlT_T0_E_clISt17integral_constantIbLb0EES1B_IbLb1EEEEDaS17_S18_EUlS17_E_NS1_11comp_targetILNS1_3genE9ELNS1_11target_archE1100ELNS1_3gpuE3ELNS1_3repE0EEENS1_30default_config_static_selectorELNS0_4arch9wavefront6targetE1EEEvT1_
; %bb.0:
	.section	.rodata,"a",@progbits
	.p2align	6, 0x0
	.amdhsa_kernel _ZN7rocprim17ROCPRIM_400000_NS6detail17trampoline_kernelINS0_14default_configENS1_25partition_config_selectorILNS1_17partition_subalgoE8ElNS0_10empty_typeEbEEZZNS1_14partition_implILS5_8ELb0ES3_jPlPS6_PKS6_NS0_5tupleIJS9_S6_EEENSD_IJSA_SA_EEENS0_18inequality_wrapperIZN2at6native12_GLOBAL__N_124unique_dim_cuda_templateIsEESt5tupleIJNSH_6TensorESM_SM_EERKSM_lbbbEUlllE0_EEPmJS6_EEE10hipError_tPvRmT3_T4_T5_T6_T7_T9_mT8_P12ihipStream_tbDpT10_ENKUlT_T0_E_clISt17integral_constantIbLb0EES1B_IbLb1EEEEDaS17_S18_EUlS17_E_NS1_11comp_targetILNS1_3genE9ELNS1_11target_archE1100ELNS1_3gpuE3ELNS1_3repE0EEENS1_30default_config_static_selectorELNS0_4arch9wavefront6targetE1EEEvT1_
		.amdhsa_group_segment_fixed_size 0
		.amdhsa_private_segment_fixed_size 0
		.amdhsa_kernarg_size 136
		.amdhsa_user_sgpr_count 2
		.amdhsa_user_sgpr_dispatch_ptr 0
		.amdhsa_user_sgpr_queue_ptr 0
		.amdhsa_user_sgpr_kernarg_segment_ptr 1
		.amdhsa_user_sgpr_dispatch_id 0
		.amdhsa_user_sgpr_kernarg_preload_length 0
		.amdhsa_user_sgpr_kernarg_preload_offset 0
		.amdhsa_user_sgpr_private_segment_size 0
		.amdhsa_uses_dynamic_stack 0
		.amdhsa_enable_private_segment 0
		.amdhsa_system_sgpr_workgroup_id_x 1
		.amdhsa_system_sgpr_workgroup_id_y 0
		.amdhsa_system_sgpr_workgroup_id_z 0
		.amdhsa_system_sgpr_workgroup_info 0
		.amdhsa_system_vgpr_workitem_id 0
		.amdhsa_next_free_vgpr 1
		.amdhsa_next_free_sgpr 0
		.amdhsa_accum_offset 4
		.amdhsa_reserve_vcc 0
		.amdhsa_float_round_mode_32 0
		.amdhsa_float_round_mode_16_64 0
		.amdhsa_float_denorm_mode_32 3
		.amdhsa_float_denorm_mode_16_64 3
		.amdhsa_dx10_clamp 1
		.amdhsa_ieee_mode 1
		.amdhsa_fp16_overflow 0
		.amdhsa_tg_split 0
		.amdhsa_exception_fp_ieee_invalid_op 0
		.amdhsa_exception_fp_denorm_src 0
		.amdhsa_exception_fp_ieee_div_zero 0
		.amdhsa_exception_fp_ieee_overflow 0
		.amdhsa_exception_fp_ieee_underflow 0
		.amdhsa_exception_fp_ieee_inexact 0
		.amdhsa_exception_int_div_zero 0
	.end_amdhsa_kernel
	.section	.text._ZN7rocprim17ROCPRIM_400000_NS6detail17trampoline_kernelINS0_14default_configENS1_25partition_config_selectorILNS1_17partition_subalgoE8ElNS0_10empty_typeEbEEZZNS1_14partition_implILS5_8ELb0ES3_jPlPS6_PKS6_NS0_5tupleIJS9_S6_EEENSD_IJSA_SA_EEENS0_18inequality_wrapperIZN2at6native12_GLOBAL__N_124unique_dim_cuda_templateIsEESt5tupleIJNSH_6TensorESM_SM_EERKSM_lbbbEUlllE0_EEPmJS6_EEE10hipError_tPvRmT3_T4_T5_T6_T7_T9_mT8_P12ihipStream_tbDpT10_ENKUlT_T0_E_clISt17integral_constantIbLb0EES1B_IbLb1EEEEDaS17_S18_EUlS17_E_NS1_11comp_targetILNS1_3genE9ELNS1_11target_archE1100ELNS1_3gpuE3ELNS1_3repE0EEENS1_30default_config_static_selectorELNS0_4arch9wavefront6targetE1EEEvT1_,"axG",@progbits,_ZN7rocprim17ROCPRIM_400000_NS6detail17trampoline_kernelINS0_14default_configENS1_25partition_config_selectorILNS1_17partition_subalgoE8ElNS0_10empty_typeEbEEZZNS1_14partition_implILS5_8ELb0ES3_jPlPS6_PKS6_NS0_5tupleIJS9_S6_EEENSD_IJSA_SA_EEENS0_18inequality_wrapperIZN2at6native12_GLOBAL__N_124unique_dim_cuda_templateIsEESt5tupleIJNSH_6TensorESM_SM_EERKSM_lbbbEUlllE0_EEPmJS6_EEE10hipError_tPvRmT3_T4_T5_T6_T7_T9_mT8_P12ihipStream_tbDpT10_ENKUlT_T0_E_clISt17integral_constantIbLb0EES1B_IbLb1EEEEDaS17_S18_EUlS17_E_NS1_11comp_targetILNS1_3genE9ELNS1_11target_archE1100ELNS1_3gpuE3ELNS1_3repE0EEENS1_30default_config_static_selectorELNS0_4arch9wavefront6targetE1EEEvT1_,comdat
.Lfunc_end715:
	.size	_ZN7rocprim17ROCPRIM_400000_NS6detail17trampoline_kernelINS0_14default_configENS1_25partition_config_selectorILNS1_17partition_subalgoE8ElNS0_10empty_typeEbEEZZNS1_14partition_implILS5_8ELb0ES3_jPlPS6_PKS6_NS0_5tupleIJS9_S6_EEENSD_IJSA_SA_EEENS0_18inequality_wrapperIZN2at6native12_GLOBAL__N_124unique_dim_cuda_templateIsEESt5tupleIJNSH_6TensorESM_SM_EERKSM_lbbbEUlllE0_EEPmJS6_EEE10hipError_tPvRmT3_T4_T5_T6_T7_T9_mT8_P12ihipStream_tbDpT10_ENKUlT_T0_E_clISt17integral_constantIbLb0EES1B_IbLb1EEEEDaS17_S18_EUlS17_E_NS1_11comp_targetILNS1_3genE9ELNS1_11target_archE1100ELNS1_3gpuE3ELNS1_3repE0EEENS1_30default_config_static_selectorELNS0_4arch9wavefront6targetE1EEEvT1_, .Lfunc_end715-_ZN7rocprim17ROCPRIM_400000_NS6detail17trampoline_kernelINS0_14default_configENS1_25partition_config_selectorILNS1_17partition_subalgoE8ElNS0_10empty_typeEbEEZZNS1_14partition_implILS5_8ELb0ES3_jPlPS6_PKS6_NS0_5tupleIJS9_S6_EEENSD_IJSA_SA_EEENS0_18inequality_wrapperIZN2at6native12_GLOBAL__N_124unique_dim_cuda_templateIsEESt5tupleIJNSH_6TensorESM_SM_EERKSM_lbbbEUlllE0_EEPmJS6_EEE10hipError_tPvRmT3_T4_T5_T6_T7_T9_mT8_P12ihipStream_tbDpT10_ENKUlT_T0_E_clISt17integral_constantIbLb0EES1B_IbLb1EEEEDaS17_S18_EUlS17_E_NS1_11comp_targetILNS1_3genE9ELNS1_11target_archE1100ELNS1_3gpuE3ELNS1_3repE0EEENS1_30default_config_static_selectorELNS0_4arch9wavefront6targetE1EEEvT1_
                                        ; -- End function
	.set _ZN7rocprim17ROCPRIM_400000_NS6detail17trampoline_kernelINS0_14default_configENS1_25partition_config_selectorILNS1_17partition_subalgoE8ElNS0_10empty_typeEbEEZZNS1_14partition_implILS5_8ELb0ES3_jPlPS6_PKS6_NS0_5tupleIJS9_S6_EEENSD_IJSA_SA_EEENS0_18inequality_wrapperIZN2at6native12_GLOBAL__N_124unique_dim_cuda_templateIsEESt5tupleIJNSH_6TensorESM_SM_EERKSM_lbbbEUlllE0_EEPmJS6_EEE10hipError_tPvRmT3_T4_T5_T6_T7_T9_mT8_P12ihipStream_tbDpT10_ENKUlT_T0_E_clISt17integral_constantIbLb0EES1B_IbLb1EEEEDaS17_S18_EUlS17_E_NS1_11comp_targetILNS1_3genE9ELNS1_11target_archE1100ELNS1_3gpuE3ELNS1_3repE0EEENS1_30default_config_static_selectorELNS0_4arch9wavefront6targetE1EEEvT1_.num_vgpr, 0
	.set _ZN7rocprim17ROCPRIM_400000_NS6detail17trampoline_kernelINS0_14default_configENS1_25partition_config_selectorILNS1_17partition_subalgoE8ElNS0_10empty_typeEbEEZZNS1_14partition_implILS5_8ELb0ES3_jPlPS6_PKS6_NS0_5tupleIJS9_S6_EEENSD_IJSA_SA_EEENS0_18inequality_wrapperIZN2at6native12_GLOBAL__N_124unique_dim_cuda_templateIsEESt5tupleIJNSH_6TensorESM_SM_EERKSM_lbbbEUlllE0_EEPmJS6_EEE10hipError_tPvRmT3_T4_T5_T6_T7_T9_mT8_P12ihipStream_tbDpT10_ENKUlT_T0_E_clISt17integral_constantIbLb0EES1B_IbLb1EEEEDaS17_S18_EUlS17_E_NS1_11comp_targetILNS1_3genE9ELNS1_11target_archE1100ELNS1_3gpuE3ELNS1_3repE0EEENS1_30default_config_static_selectorELNS0_4arch9wavefront6targetE1EEEvT1_.num_agpr, 0
	.set _ZN7rocprim17ROCPRIM_400000_NS6detail17trampoline_kernelINS0_14default_configENS1_25partition_config_selectorILNS1_17partition_subalgoE8ElNS0_10empty_typeEbEEZZNS1_14partition_implILS5_8ELb0ES3_jPlPS6_PKS6_NS0_5tupleIJS9_S6_EEENSD_IJSA_SA_EEENS0_18inequality_wrapperIZN2at6native12_GLOBAL__N_124unique_dim_cuda_templateIsEESt5tupleIJNSH_6TensorESM_SM_EERKSM_lbbbEUlllE0_EEPmJS6_EEE10hipError_tPvRmT3_T4_T5_T6_T7_T9_mT8_P12ihipStream_tbDpT10_ENKUlT_T0_E_clISt17integral_constantIbLb0EES1B_IbLb1EEEEDaS17_S18_EUlS17_E_NS1_11comp_targetILNS1_3genE9ELNS1_11target_archE1100ELNS1_3gpuE3ELNS1_3repE0EEENS1_30default_config_static_selectorELNS0_4arch9wavefront6targetE1EEEvT1_.numbered_sgpr, 0
	.set _ZN7rocprim17ROCPRIM_400000_NS6detail17trampoline_kernelINS0_14default_configENS1_25partition_config_selectorILNS1_17partition_subalgoE8ElNS0_10empty_typeEbEEZZNS1_14partition_implILS5_8ELb0ES3_jPlPS6_PKS6_NS0_5tupleIJS9_S6_EEENSD_IJSA_SA_EEENS0_18inequality_wrapperIZN2at6native12_GLOBAL__N_124unique_dim_cuda_templateIsEESt5tupleIJNSH_6TensorESM_SM_EERKSM_lbbbEUlllE0_EEPmJS6_EEE10hipError_tPvRmT3_T4_T5_T6_T7_T9_mT8_P12ihipStream_tbDpT10_ENKUlT_T0_E_clISt17integral_constantIbLb0EES1B_IbLb1EEEEDaS17_S18_EUlS17_E_NS1_11comp_targetILNS1_3genE9ELNS1_11target_archE1100ELNS1_3gpuE3ELNS1_3repE0EEENS1_30default_config_static_selectorELNS0_4arch9wavefront6targetE1EEEvT1_.num_named_barrier, 0
	.set _ZN7rocprim17ROCPRIM_400000_NS6detail17trampoline_kernelINS0_14default_configENS1_25partition_config_selectorILNS1_17partition_subalgoE8ElNS0_10empty_typeEbEEZZNS1_14partition_implILS5_8ELb0ES3_jPlPS6_PKS6_NS0_5tupleIJS9_S6_EEENSD_IJSA_SA_EEENS0_18inequality_wrapperIZN2at6native12_GLOBAL__N_124unique_dim_cuda_templateIsEESt5tupleIJNSH_6TensorESM_SM_EERKSM_lbbbEUlllE0_EEPmJS6_EEE10hipError_tPvRmT3_T4_T5_T6_T7_T9_mT8_P12ihipStream_tbDpT10_ENKUlT_T0_E_clISt17integral_constantIbLb0EES1B_IbLb1EEEEDaS17_S18_EUlS17_E_NS1_11comp_targetILNS1_3genE9ELNS1_11target_archE1100ELNS1_3gpuE3ELNS1_3repE0EEENS1_30default_config_static_selectorELNS0_4arch9wavefront6targetE1EEEvT1_.private_seg_size, 0
	.set _ZN7rocprim17ROCPRIM_400000_NS6detail17trampoline_kernelINS0_14default_configENS1_25partition_config_selectorILNS1_17partition_subalgoE8ElNS0_10empty_typeEbEEZZNS1_14partition_implILS5_8ELb0ES3_jPlPS6_PKS6_NS0_5tupleIJS9_S6_EEENSD_IJSA_SA_EEENS0_18inequality_wrapperIZN2at6native12_GLOBAL__N_124unique_dim_cuda_templateIsEESt5tupleIJNSH_6TensorESM_SM_EERKSM_lbbbEUlllE0_EEPmJS6_EEE10hipError_tPvRmT3_T4_T5_T6_T7_T9_mT8_P12ihipStream_tbDpT10_ENKUlT_T0_E_clISt17integral_constantIbLb0EES1B_IbLb1EEEEDaS17_S18_EUlS17_E_NS1_11comp_targetILNS1_3genE9ELNS1_11target_archE1100ELNS1_3gpuE3ELNS1_3repE0EEENS1_30default_config_static_selectorELNS0_4arch9wavefront6targetE1EEEvT1_.uses_vcc, 0
	.set _ZN7rocprim17ROCPRIM_400000_NS6detail17trampoline_kernelINS0_14default_configENS1_25partition_config_selectorILNS1_17partition_subalgoE8ElNS0_10empty_typeEbEEZZNS1_14partition_implILS5_8ELb0ES3_jPlPS6_PKS6_NS0_5tupleIJS9_S6_EEENSD_IJSA_SA_EEENS0_18inequality_wrapperIZN2at6native12_GLOBAL__N_124unique_dim_cuda_templateIsEESt5tupleIJNSH_6TensorESM_SM_EERKSM_lbbbEUlllE0_EEPmJS6_EEE10hipError_tPvRmT3_T4_T5_T6_T7_T9_mT8_P12ihipStream_tbDpT10_ENKUlT_T0_E_clISt17integral_constantIbLb0EES1B_IbLb1EEEEDaS17_S18_EUlS17_E_NS1_11comp_targetILNS1_3genE9ELNS1_11target_archE1100ELNS1_3gpuE3ELNS1_3repE0EEENS1_30default_config_static_selectorELNS0_4arch9wavefront6targetE1EEEvT1_.uses_flat_scratch, 0
	.set _ZN7rocprim17ROCPRIM_400000_NS6detail17trampoline_kernelINS0_14default_configENS1_25partition_config_selectorILNS1_17partition_subalgoE8ElNS0_10empty_typeEbEEZZNS1_14partition_implILS5_8ELb0ES3_jPlPS6_PKS6_NS0_5tupleIJS9_S6_EEENSD_IJSA_SA_EEENS0_18inequality_wrapperIZN2at6native12_GLOBAL__N_124unique_dim_cuda_templateIsEESt5tupleIJNSH_6TensorESM_SM_EERKSM_lbbbEUlllE0_EEPmJS6_EEE10hipError_tPvRmT3_T4_T5_T6_T7_T9_mT8_P12ihipStream_tbDpT10_ENKUlT_T0_E_clISt17integral_constantIbLb0EES1B_IbLb1EEEEDaS17_S18_EUlS17_E_NS1_11comp_targetILNS1_3genE9ELNS1_11target_archE1100ELNS1_3gpuE3ELNS1_3repE0EEENS1_30default_config_static_selectorELNS0_4arch9wavefront6targetE1EEEvT1_.has_dyn_sized_stack, 0
	.set _ZN7rocprim17ROCPRIM_400000_NS6detail17trampoline_kernelINS0_14default_configENS1_25partition_config_selectorILNS1_17partition_subalgoE8ElNS0_10empty_typeEbEEZZNS1_14partition_implILS5_8ELb0ES3_jPlPS6_PKS6_NS0_5tupleIJS9_S6_EEENSD_IJSA_SA_EEENS0_18inequality_wrapperIZN2at6native12_GLOBAL__N_124unique_dim_cuda_templateIsEESt5tupleIJNSH_6TensorESM_SM_EERKSM_lbbbEUlllE0_EEPmJS6_EEE10hipError_tPvRmT3_T4_T5_T6_T7_T9_mT8_P12ihipStream_tbDpT10_ENKUlT_T0_E_clISt17integral_constantIbLb0EES1B_IbLb1EEEEDaS17_S18_EUlS17_E_NS1_11comp_targetILNS1_3genE9ELNS1_11target_archE1100ELNS1_3gpuE3ELNS1_3repE0EEENS1_30default_config_static_selectorELNS0_4arch9wavefront6targetE1EEEvT1_.has_recursion, 0
	.set _ZN7rocprim17ROCPRIM_400000_NS6detail17trampoline_kernelINS0_14default_configENS1_25partition_config_selectorILNS1_17partition_subalgoE8ElNS0_10empty_typeEbEEZZNS1_14partition_implILS5_8ELb0ES3_jPlPS6_PKS6_NS0_5tupleIJS9_S6_EEENSD_IJSA_SA_EEENS0_18inequality_wrapperIZN2at6native12_GLOBAL__N_124unique_dim_cuda_templateIsEESt5tupleIJNSH_6TensorESM_SM_EERKSM_lbbbEUlllE0_EEPmJS6_EEE10hipError_tPvRmT3_T4_T5_T6_T7_T9_mT8_P12ihipStream_tbDpT10_ENKUlT_T0_E_clISt17integral_constantIbLb0EES1B_IbLb1EEEEDaS17_S18_EUlS17_E_NS1_11comp_targetILNS1_3genE9ELNS1_11target_archE1100ELNS1_3gpuE3ELNS1_3repE0EEENS1_30default_config_static_selectorELNS0_4arch9wavefront6targetE1EEEvT1_.has_indirect_call, 0
	.section	.AMDGPU.csdata,"",@progbits
; Kernel info:
; codeLenInByte = 0
; TotalNumSgprs: 6
; NumVgprs: 0
; NumAgprs: 0
; TotalNumVgprs: 0
; ScratchSize: 0
; MemoryBound: 0
; FloatMode: 240
; IeeeMode: 1
; LDSByteSize: 0 bytes/workgroup (compile time only)
; SGPRBlocks: 0
; VGPRBlocks: 0
; NumSGPRsForWavesPerEU: 6
; NumVGPRsForWavesPerEU: 1
; AccumOffset: 4
; Occupancy: 8
; WaveLimiterHint : 0
; COMPUTE_PGM_RSRC2:SCRATCH_EN: 0
; COMPUTE_PGM_RSRC2:USER_SGPR: 2
; COMPUTE_PGM_RSRC2:TRAP_HANDLER: 0
; COMPUTE_PGM_RSRC2:TGID_X_EN: 1
; COMPUTE_PGM_RSRC2:TGID_Y_EN: 0
; COMPUTE_PGM_RSRC2:TGID_Z_EN: 0
; COMPUTE_PGM_RSRC2:TIDIG_COMP_CNT: 0
; COMPUTE_PGM_RSRC3_GFX90A:ACCUM_OFFSET: 0
; COMPUTE_PGM_RSRC3_GFX90A:TG_SPLIT: 0
	.section	.text._ZN7rocprim17ROCPRIM_400000_NS6detail17trampoline_kernelINS0_14default_configENS1_25partition_config_selectorILNS1_17partition_subalgoE8ElNS0_10empty_typeEbEEZZNS1_14partition_implILS5_8ELb0ES3_jPlPS6_PKS6_NS0_5tupleIJS9_S6_EEENSD_IJSA_SA_EEENS0_18inequality_wrapperIZN2at6native12_GLOBAL__N_124unique_dim_cuda_templateIsEESt5tupleIJNSH_6TensorESM_SM_EERKSM_lbbbEUlllE0_EEPmJS6_EEE10hipError_tPvRmT3_T4_T5_T6_T7_T9_mT8_P12ihipStream_tbDpT10_ENKUlT_T0_E_clISt17integral_constantIbLb0EES1B_IbLb1EEEEDaS17_S18_EUlS17_E_NS1_11comp_targetILNS1_3genE8ELNS1_11target_archE1030ELNS1_3gpuE2ELNS1_3repE0EEENS1_30default_config_static_selectorELNS0_4arch9wavefront6targetE1EEEvT1_,"axG",@progbits,_ZN7rocprim17ROCPRIM_400000_NS6detail17trampoline_kernelINS0_14default_configENS1_25partition_config_selectorILNS1_17partition_subalgoE8ElNS0_10empty_typeEbEEZZNS1_14partition_implILS5_8ELb0ES3_jPlPS6_PKS6_NS0_5tupleIJS9_S6_EEENSD_IJSA_SA_EEENS0_18inequality_wrapperIZN2at6native12_GLOBAL__N_124unique_dim_cuda_templateIsEESt5tupleIJNSH_6TensorESM_SM_EERKSM_lbbbEUlllE0_EEPmJS6_EEE10hipError_tPvRmT3_T4_T5_T6_T7_T9_mT8_P12ihipStream_tbDpT10_ENKUlT_T0_E_clISt17integral_constantIbLb0EES1B_IbLb1EEEEDaS17_S18_EUlS17_E_NS1_11comp_targetILNS1_3genE8ELNS1_11target_archE1030ELNS1_3gpuE2ELNS1_3repE0EEENS1_30default_config_static_selectorELNS0_4arch9wavefront6targetE1EEEvT1_,comdat
	.globl	_ZN7rocprim17ROCPRIM_400000_NS6detail17trampoline_kernelINS0_14default_configENS1_25partition_config_selectorILNS1_17partition_subalgoE8ElNS0_10empty_typeEbEEZZNS1_14partition_implILS5_8ELb0ES3_jPlPS6_PKS6_NS0_5tupleIJS9_S6_EEENSD_IJSA_SA_EEENS0_18inequality_wrapperIZN2at6native12_GLOBAL__N_124unique_dim_cuda_templateIsEESt5tupleIJNSH_6TensorESM_SM_EERKSM_lbbbEUlllE0_EEPmJS6_EEE10hipError_tPvRmT3_T4_T5_T6_T7_T9_mT8_P12ihipStream_tbDpT10_ENKUlT_T0_E_clISt17integral_constantIbLb0EES1B_IbLb1EEEEDaS17_S18_EUlS17_E_NS1_11comp_targetILNS1_3genE8ELNS1_11target_archE1030ELNS1_3gpuE2ELNS1_3repE0EEENS1_30default_config_static_selectorELNS0_4arch9wavefront6targetE1EEEvT1_ ; -- Begin function _ZN7rocprim17ROCPRIM_400000_NS6detail17trampoline_kernelINS0_14default_configENS1_25partition_config_selectorILNS1_17partition_subalgoE8ElNS0_10empty_typeEbEEZZNS1_14partition_implILS5_8ELb0ES3_jPlPS6_PKS6_NS0_5tupleIJS9_S6_EEENSD_IJSA_SA_EEENS0_18inequality_wrapperIZN2at6native12_GLOBAL__N_124unique_dim_cuda_templateIsEESt5tupleIJNSH_6TensorESM_SM_EERKSM_lbbbEUlllE0_EEPmJS6_EEE10hipError_tPvRmT3_T4_T5_T6_T7_T9_mT8_P12ihipStream_tbDpT10_ENKUlT_T0_E_clISt17integral_constantIbLb0EES1B_IbLb1EEEEDaS17_S18_EUlS17_E_NS1_11comp_targetILNS1_3genE8ELNS1_11target_archE1030ELNS1_3gpuE2ELNS1_3repE0EEENS1_30default_config_static_selectorELNS0_4arch9wavefront6targetE1EEEvT1_
	.p2align	8
	.type	_ZN7rocprim17ROCPRIM_400000_NS6detail17trampoline_kernelINS0_14default_configENS1_25partition_config_selectorILNS1_17partition_subalgoE8ElNS0_10empty_typeEbEEZZNS1_14partition_implILS5_8ELb0ES3_jPlPS6_PKS6_NS0_5tupleIJS9_S6_EEENSD_IJSA_SA_EEENS0_18inequality_wrapperIZN2at6native12_GLOBAL__N_124unique_dim_cuda_templateIsEESt5tupleIJNSH_6TensorESM_SM_EERKSM_lbbbEUlllE0_EEPmJS6_EEE10hipError_tPvRmT3_T4_T5_T6_T7_T9_mT8_P12ihipStream_tbDpT10_ENKUlT_T0_E_clISt17integral_constantIbLb0EES1B_IbLb1EEEEDaS17_S18_EUlS17_E_NS1_11comp_targetILNS1_3genE8ELNS1_11target_archE1030ELNS1_3gpuE2ELNS1_3repE0EEENS1_30default_config_static_selectorELNS0_4arch9wavefront6targetE1EEEvT1_,@function
_ZN7rocprim17ROCPRIM_400000_NS6detail17trampoline_kernelINS0_14default_configENS1_25partition_config_selectorILNS1_17partition_subalgoE8ElNS0_10empty_typeEbEEZZNS1_14partition_implILS5_8ELb0ES3_jPlPS6_PKS6_NS0_5tupleIJS9_S6_EEENSD_IJSA_SA_EEENS0_18inequality_wrapperIZN2at6native12_GLOBAL__N_124unique_dim_cuda_templateIsEESt5tupleIJNSH_6TensorESM_SM_EERKSM_lbbbEUlllE0_EEPmJS6_EEE10hipError_tPvRmT3_T4_T5_T6_T7_T9_mT8_P12ihipStream_tbDpT10_ENKUlT_T0_E_clISt17integral_constantIbLb0EES1B_IbLb1EEEEDaS17_S18_EUlS17_E_NS1_11comp_targetILNS1_3genE8ELNS1_11target_archE1030ELNS1_3gpuE2ELNS1_3repE0EEENS1_30default_config_static_selectorELNS0_4arch9wavefront6targetE1EEEvT1_: ; @_ZN7rocprim17ROCPRIM_400000_NS6detail17trampoline_kernelINS0_14default_configENS1_25partition_config_selectorILNS1_17partition_subalgoE8ElNS0_10empty_typeEbEEZZNS1_14partition_implILS5_8ELb0ES3_jPlPS6_PKS6_NS0_5tupleIJS9_S6_EEENSD_IJSA_SA_EEENS0_18inequality_wrapperIZN2at6native12_GLOBAL__N_124unique_dim_cuda_templateIsEESt5tupleIJNSH_6TensorESM_SM_EERKSM_lbbbEUlllE0_EEPmJS6_EEE10hipError_tPvRmT3_T4_T5_T6_T7_T9_mT8_P12ihipStream_tbDpT10_ENKUlT_T0_E_clISt17integral_constantIbLb0EES1B_IbLb1EEEEDaS17_S18_EUlS17_E_NS1_11comp_targetILNS1_3genE8ELNS1_11target_archE1030ELNS1_3gpuE2ELNS1_3repE0EEENS1_30default_config_static_selectorELNS0_4arch9wavefront6targetE1EEEvT1_
; %bb.0:
	.section	.rodata,"a",@progbits
	.p2align	6, 0x0
	.amdhsa_kernel _ZN7rocprim17ROCPRIM_400000_NS6detail17trampoline_kernelINS0_14default_configENS1_25partition_config_selectorILNS1_17partition_subalgoE8ElNS0_10empty_typeEbEEZZNS1_14partition_implILS5_8ELb0ES3_jPlPS6_PKS6_NS0_5tupleIJS9_S6_EEENSD_IJSA_SA_EEENS0_18inequality_wrapperIZN2at6native12_GLOBAL__N_124unique_dim_cuda_templateIsEESt5tupleIJNSH_6TensorESM_SM_EERKSM_lbbbEUlllE0_EEPmJS6_EEE10hipError_tPvRmT3_T4_T5_T6_T7_T9_mT8_P12ihipStream_tbDpT10_ENKUlT_T0_E_clISt17integral_constantIbLb0EES1B_IbLb1EEEEDaS17_S18_EUlS17_E_NS1_11comp_targetILNS1_3genE8ELNS1_11target_archE1030ELNS1_3gpuE2ELNS1_3repE0EEENS1_30default_config_static_selectorELNS0_4arch9wavefront6targetE1EEEvT1_
		.amdhsa_group_segment_fixed_size 0
		.amdhsa_private_segment_fixed_size 0
		.amdhsa_kernarg_size 136
		.amdhsa_user_sgpr_count 2
		.amdhsa_user_sgpr_dispatch_ptr 0
		.amdhsa_user_sgpr_queue_ptr 0
		.amdhsa_user_sgpr_kernarg_segment_ptr 1
		.amdhsa_user_sgpr_dispatch_id 0
		.amdhsa_user_sgpr_kernarg_preload_length 0
		.amdhsa_user_sgpr_kernarg_preload_offset 0
		.amdhsa_user_sgpr_private_segment_size 0
		.amdhsa_uses_dynamic_stack 0
		.amdhsa_enable_private_segment 0
		.amdhsa_system_sgpr_workgroup_id_x 1
		.amdhsa_system_sgpr_workgroup_id_y 0
		.amdhsa_system_sgpr_workgroup_id_z 0
		.amdhsa_system_sgpr_workgroup_info 0
		.amdhsa_system_vgpr_workitem_id 0
		.amdhsa_next_free_vgpr 1
		.amdhsa_next_free_sgpr 0
		.amdhsa_accum_offset 4
		.amdhsa_reserve_vcc 0
		.amdhsa_float_round_mode_32 0
		.amdhsa_float_round_mode_16_64 0
		.amdhsa_float_denorm_mode_32 3
		.amdhsa_float_denorm_mode_16_64 3
		.amdhsa_dx10_clamp 1
		.amdhsa_ieee_mode 1
		.amdhsa_fp16_overflow 0
		.amdhsa_tg_split 0
		.amdhsa_exception_fp_ieee_invalid_op 0
		.amdhsa_exception_fp_denorm_src 0
		.amdhsa_exception_fp_ieee_div_zero 0
		.amdhsa_exception_fp_ieee_overflow 0
		.amdhsa_exception_fp_ieee_underflow 0
		.amdhsa_exception_fp_ieee_inexact 0
		.amdhsa_exception_int_div_zero 0
	.end_amdhsa_kernel
	.section	.text._ZN7rocprim17ROCPRIM_400000_NS6detail17trampoline_kernelINS0_14default_configENS1_25partition_config_selectorILNS1_17partition_subalgoE8ElNS0_10empty_typeEbEEZZNS1_14partition_implILS5_8ELb0ES3_jPlPS6_PKS6_NS0_5tupleIJS9_S6_EEENSD_IJSA_SA_EEENS0_18inequality_wrapperIZN2at6native12_GLOBAL__N_124unique_dim_cuda_templateIsEESt5tupleIJNSH_6TensorESM_SM_EERKSM_lbbbEUlllE0_EEPmJS6_EEE10hipError_tPvRmT3_T4_T5_T6_T7_T9_mT8_P12ihipStream_tbDpT10_ENKUlT_T0_E_clISt17integral_constantIbLb0EES1B_IbLb1EEEEDaS17_S18_EUlS17_E_NS1_11comp_targetILNS1_3genE8ELNS1_11target_archE1030ELNS1_3gpuE2ELNS1_3repE0EEENS1_30default_config_static_selectorELNS0_4arch9wavefront6targetE1EEEvT1_,"axG",@progbits,_ZN7rocprim17ROCPRIM_400000_NS6detail17trampoline_kernelINS0_14default_configENS1_25partition_config_selectorILNS1_17partition_subalgoE8ElNS0_10empty_typeEbEEZZNS1_14partition_implILS5_8ELb0ES3_jPlPS6_PKS6_NS0_5tupleIJS9_S6_EEENSD_IJSA_SA_EEENS0_18inequality_wrapperIZN2at6native12_GLOBAL__N_124unique_dim_cuda_templateIsEESt5tupleIJNSH_6TensorESM_SM_EERKSM_lbbbEUlllE0_EEPmJS6_EEE10hipError_tPvRmT3_T4_T5_T6_T7_T9_mT8_P12ihipStream_tbDpT10_ENKUlT_T0_E_clISt17integral_constantIbLb0EES1B_IbLb1EEEEDaS17_S18_EUlS17_E_NS1_11comp_targetILNS1_3genE8ELNS1_11target_archE1030ELNS1_3gpuE2ELNS1_3repE0EEENS1_30default_config_static_selectorELNS0_4arch9wavefront6targetE1EEEvT1_,comdat
.Lfunc_end716:
	.size	_ZN7rocprim17ROCPRIM_400000_NS6detail17trampoline_kernelINS0_14default_configENS1_25partition_config_selectorILNS1_17partition_subalgoE8ElNS0_10empty_typeEbEEZZNS1_14partition_implILS5_8ELb0ES3_jPlPS6_PKS6_NS0_5tupleIJS9_S6_EEENSD_IJSA_SA_EEENS0_18inequality_wrapperIZN2at6native12_GLOBAL__N_124unique_dim_cuda_templateIsEESt5tupleIJNSH_6TensorESM_SM_EERKSM_lbbbEUlllE0_EEPmJS6_EEE10hipError_tPvRmT3_T4_T5_T6_T7_T9_mT8_P12ihipStream_tbDpT10_ENKUlT_T0_E_clISt17integral_constantIbLb0EES1B_IbLb1EEEEDaS17_S18_EUlS17_E_NS1_11comp_targetILNS1_3genE8ELNS1_11target_archE1030ELNS1_3gpuE2ELNS1_3repE0EEENS1_30default_config_static_selectorELNS0_4arch9wavefront6targetE1EEEvT1_, .Lfunc_end716-_ZN7rocprim17ROCPRIM_400000_NS6detail17trampoline_kernelINS0_14default_configENS1_25partition_config_selectorILNS1_17partition_subalgoE8ElNS0_10empty_typeEbEEZZNS1_14partition_implILS5_8ELb0ES3_jPlPS6_PKS6_NS0_5tupleIJS9_S6_EEENSD_IJSA_SA_EEENS0_18inequality_wrapperIZN2at6native12_GLOBAL__N_124unique_dim_cuda_templateIsEESt5tupleIJNSH_6TensorESM_SM_EERKSM_lbbbEUlllE0_EEPmJS6_EEE10hipError_tPvRmT3_T4_T5_T6_T7_T9_mT8_P12ihipStream_tbDpT10_ENKUlT_T0_E_clISt17integral_constantIbLb0EES1B_IbLb1EEEEDaS17_S18_EUlS17_E_NS1_11comp_targetILNS1_3genE8ELNS1_11target_archE1030ELNS1_3gpuE2ELNS1_3repE0EEENS1_30default_config_static_selectorELNS0_4arch9wavefront6targetE1EEEvT1_
                                        ; -- End function
	.set _ZN7rocprim17ROCPRIM_400000_NS6detail17trampoline_kernelINS0_14default_configENS1_25partition_config_selectorILNS1_17partition_subalgoE8ElNS0_10empty_typeEbEEZZNS1_14partition_implILS5_8ELb0ES3_jPlPS6_PKS6_NS0_5tupleIJS9_S6_EEENSD_IJSA_SA_EEENS0_18inequality_wrapperIZN2at6native12_GLOBAL__N_124unique_dim_cuda_templateIsEESt5tupleIJNSH_6TensorESM_SM_EERKSM_lbbbEUlllE0_EEPmJS6_EEE10hipError_tPvRmT3_T4_T5_T6_T7_T9_mT8_P12ihipStream_tbDpT10_ENKUlT_T0_E_clISt17integral_constantIbLb0EES1B_IbLb1EEEEDaS17_S18_EUlS17_E_NS1_11comp_targetILNS1_3genE8ELNS1_11target_archE1030ELNS1_3gpuE2ELNS1_3repE0EEENS1_30default_config_static_selectorELNS0_4arch9wavefront6targetE1EEEvT1_.num_vgpr, 0
	.set _ZN7rocprim17ROCPRIM_400000_NS6detail17trampoline_kernelINS0_14default_configENS1_25partition_config_selectorILNS1_17partition_subalgoE8ElNS0_10empty_typeEbEEZZNS1_14partition_implILS5_8ELb0ES3_jPlPS6_PKS6_NS0_5tupleIJS9_S6_EEENSD_IJSA_SA_EEENS0_18inequality_wrapperIZN2at6native12_GLOBAL__N_124unique_dim_cuda_templateIsEESt5tupleIJNSH_6TensorESM_SM_EERKSM_lbbbEUlllE0_EEPmJS6_EEE10hipError_tPvRmT3_T4_T5_T6_T7_T9_mT8_P12ihipStream_tbDpT10_ENKUlT_T0_E_clISt17integral_constantIbLb0EES1B_IbLb1EEEEDaS17_S18_EUlS17_E_NS1_11comp_targetILNS1_3genE8ELNS1_11target_archE1030ELNS1_3gpuE2ELNS1_3repE0EEENS1_30default_config_static_selectorELNS0_4arch9wavefront6targetE1EEEvT1_.num_agpr, 0
	.set _ZN7rocprim17ROCPRIM_400000_NS6detail17trampoline_kernelINS0_14default_configENS1_25partition_config_selectorILNS1_17partition_subalgoE8ElNS0_10empty_typeEbEEZZNS1_14partition_implILS5_8ELb0ES3_jPlPS6_PKS6_NS0_5tupleIJS9_S6_EEENSD_IJSA_SA_EEENS0_18inequality_wrapperIZN2at6native12_GLOBAL__N_124unique_dim_cuda_templateIsEESt5tupleIJNSH_6TensorESM_SM_EERKSM_lbbbEUlllE0_EEPmJS6_EEE10hipError_tPvRmT3_T4_T5_T6_T7_T9_mT8_P12ihipStream_tbDpT10_ENKUlT_T0_E_clISt17integral_constantIbLb0EES1B_IbLb1EEEEDaS17_S18_EUlS17_E_NS1_11comp_targetILNS1_3genE8ELNS1_11target_archE1030ELNS1_3gpuE2ELNS1_3repE0EEENS1_30default_config_static_selectorELNS0_4arch9wavefront6targetE1EEEvT1_.numbered_sgpr, 0
	.set _ZN7rocprim17ROCPRIM_400000_NS6detail17trampoline_kernelINS0_14default_configENS1_25partition_config_selectorILNS1_17partition_subalgoE8ElNS0_10empty_typeEbEEZZNS1_14partition_implILS5_8ELb0ES3_jPlPS6_PKS6_NS0_5tupleIJS9_S6_EEENSD_IJSA_SA_EEENS0_18inequality_wrapperIZN2at6native12_GLOBAL__N_124unique_dim_cuda_templateIsEESt5tupleIJNSH_6TensorESM_SM_EERKSM_lbbbEUlllE0_EEPmJS6_EEE10hipError_tPvRmT3_T4_T5_T6_T7_T9_mT8_P12ihipStream_tbDpT10_ENKUlT_T0_E_clISt17integral_constantIbLb0EES1B_IbLb1EEEEDaS17_S18_EUlS17_E_NS1_11comp_targetILNS1_3genE8ELNS1_11target_archE1030ELNS1_3gpuE2ELNS1_3repE0EEENS1_30default_config_static_selectorELNS0_4arch9wavefront6targetE1EEEvT1_.num_named_barrier, 0
	.set _ZN7rocprim17ROCPRIM_400000_NS6detail17trampoline_kernelINS0_14default_configENS1_25partition_config_selectorILNS1_17partition_subalgoE8ElNS0_10empty_typeEbEEZZNS1_14partition_implILS5_8ELb0ES3_jPlPS6_PKS6_NS0_5tupleIJS9_S6_EEENSD_IJSA_SA_EEENS0_18inequality_wrapperIZN2at6native12_GLOBAL__N_124unique_dim_cuda_templateIsEESt5tupleIJNSH_6TensorESM_SM_EERKSM_lbbbEUlllE0_EEPmJS6_EEE10hipError_tPvRmT3_T4_T5_T6_T7_T9_mT8_P12ihipStream_tbDpT10_ENKUlT_T0_E_clISt17integral_constantIbLb0EES1B_IbLb1EEEEDaS17_S18_EUlS17_E_NS1_11comp_targetILNS1_3genE8ELNS1_11target_archE1030ELNS1_3gpuE2ELNS1_3repE0EEENS1_30default_config_static_selectorELNS0_4arch9wavefront6targetE1EEEvT1_.private_seg_size, 0
	.set _ZN7rocprim17ROCPRIM_400000_NS6detail17trampoline_kernelINS0_14default_configENS1_25partition_config_selectorILNS1_17partition_subalgoE8ElNS0_10empty_typeEbEEZZNS1_14partition_implILS5_8ELb0ES3_jPlPS6_PKS6_NS0_5tupleIJS9_S6_EEENSD_IJSA_SA_EEENS0_18inequality_wrapperIZN2at6native12_GLOBAL__N_124unique_dim_cuda_templateIsEESt5tupleIJNSH_6TensorESM_SM_EERKSM_lbbbEUlllE0_EEPmJS6_EEE10hipError_tPvRmT3_T4_T5_T6_T7_T9_mT8_P12ihipStream_tbDpT10_ENKUlT_T0_E_clISt17integral_constantIbLb0EES1B_IbLb1EEEEDaS17_S18_EUlS17_E_NS1_11comp_targetILNS1_3genE8ELNS1_11target_archE1030ELNS1_3gpuE2ELNS1_3repE0EEENS1_30default_config_static_selectorELNS0_4arch9wavefront6targetE1EEEvT1_.uses_vcc, 0
	.set _ZN7rocprim17ROCPRIM_400000_NS6detail17trampoline_kernelINS0_14default_configENS1_25partition_config_selectorILNS1_17partition_subalgoE8ElNS0_10empty_typeEbEEZZNS1_14partition_implILS5_8ELb0ES3_jPlPS6_PKS6_NS0_5tupleIJS9_S6_EEENSD_IJSA_SA_EEENS0_18inequality_wrapperIZN2at6native12_GLOBAL__N_124unique_dim_cuda_templateIsEESt5tupleIJNSH_6TensorESM_SM_EERKSM_lbbbEUlllE0_EEPmJS6_EEE10hipError_tPvRmT3_T4_T5_T6_T7_T9_mT8_P12ihipStream_tbDpT10_ENKUlT_T0_E_clISt17integral_constantIbLb0EES1B_IbLb1EEEEDaS17_S18_EUlS17_E_NS1_11comp_targetILNS1_3genE8ELNS1_11target_archE1030ELNS1_3gpuE2ELNS1_3repE0EEENS1_30default_config_static_selectorELNS0_4arch9wavefront6targetE1EEEvT1_.uses_flat_scratch, 0
	.set _ZN7rocprim17ROCPRIM_400000_NS6detail17trampoline_kernelINS0_14default_configENS1_25partition_config_selectorILNS1_17partition_subalgoE8ElNS0_10empty_typeEbEEZZNS1_14partition_implILS5_8ELb0ES3_jPlPS6_PKS6_NS0_5tupleIJS9_S6_EEENSD_IJSA_SA_EEENS0_18inequality_wrapperIZN2at6native12_GLOBAL__N_124unique_dim_cuda_templateIsEESt5tupleIJNSH_6TensorESM_SM_EERKSM_lbbbEUlllE0_EEPmJS6_EEE10hipError_tPvRmT3_T4_T5_T6_T7_T9_mT8_P12ihipStream_tbDpT10_ENKUlT_T0_E_clISt17integral_constantIbLb0EES1B_IbLb1EEEEDaS17_S18_EUlS17_E_NS1_11comp_targetILNS1_3genE8ELNS1_11target_archE1030ELNS1_3gpuE2ELNS1_3repE0EEENS1_30default_config_static_selectorELNS0_4arch9wavefront6targetE1EEEvT1_.has_dyn_sized_stack, 0
	.set _ZN7rocprim17ROCPRIM_400000_NS6detail17trampoline_kernelINS0_14default_configENS1_25partition_config_selectorILNS1_17partition_subalgoE8ElNS0_10empty_typeEbEEZZNS1_14partition_implILS5_8ELb0ES3_jPlPS6_PKS6_NS0_5tupleIJS9_S6_EEENSD_IJSA_SA_EEENS0_18inequality_wrapperIZN2at6native12_GLOBAL__N_124unique_dim_cuda_templateIsEESt5tupleIJNSH_6TensorESM_SM_EERKSM_lbbbEUlllE0_EEPmJS6_EEE10hipError_tPvRmT3_T4_T5_T6_T7_T9_mT8_P12ihipStream_tbDpT10_ENKUlT_T0_E_clISt17integral_constantIbLb0EES1B_IbLb1EEEEDaS17_S18_EUlS17_E_NS1_11comp_targetILNS1_3genE8ELNS1_11target_archE1030ELNS1_3gpuE2ELNS1_3repE0EEENS1_30default_config_static_selectorELNS0_4arch9wavefront6targetE1EEEvT1_.has_recursion, 0
	.set _ZN7rocprim17ROCPRIM_400000_NS6detail17trampoline_kernelINS0_14default_configENS1_25partition_config_selectorILNS1_17partition_subalgoE8ElNS0_10empty_typeEbEEZZNS1_14partition_implILS5_8ELb0ES3_jPlPS6_PKS6_NS0_5tupleIJS9_S6_EEENSD_IJSA_SA_EEENS0_18inequality_wrapperIZN2at6native12_GLOBAL__N_124unique_dim_cuda_templateIsEESt5tupleIJNSH_6TensorESM_SM_EERKSM_lbbbEUlllE0_EEPmJS6_EEE10hipError_tPvRmT3_T4_T5_T6_T7_T9_mT8_P12ihipStream_tbDpT10_ENKUlT_T0_E_clISt17integral_constantIbLb0EES1B_IbLb1EEEEDaS17_S18_EUlS17_E_NS1_11comp_targetILNS1_3genE8ELNS1_11target_archE1030ELNS1_3gpuE2ELNS1_3repE0EEENS1_30default_config_static_selectorELNS0_4arch9wavefront6targetE1EEEvT1_.has_indirect_call, 0
	.section	.AMDGPU.csdata,"",@progbits
; Kernel info:
; codeLenInByte = 0
; TotalNumSgprs: 6
; NumVgprs: 0
; NumAgprs: 0
; TotalNumVgprs: 0
; ScratchSize: 0
; MemoryBound: 0
; FloatMode: 240
; IeeeMode: 1
; LDSByteSize: 0 bytes/workgroup (compile time only)
; SGPRBlocks: 0
; VGPRBlocks: 0
; NumSGPRsForWavesPerEU: 6
; NumVGPRsForWavesPerEU: 1
; AccumOffset: 4
; Occupancy: 8
; WaveLimiterHint : 0
; COMPUTE_PGM_RSRC2:SCRATCH_EN: 0
; COMPUTE_PGM_RSRC2:USER_SGPR: 2
; COMPUTE_PGM_RSRC2:TRAP_HANDLER: 0
; COMPUTE_PGM_RSRC2:TGID_X_EN: 1
; COMPUTE_PGM_RSRC2:TGID_Y_EN: 0
; COMPUTE_PGM_RSRC2:TGID_Z_EN: 0
; COMPUTE_PGM_RSRC2:TIDIG_COMP_CNT: 0
; COMPUTE_PGM_RSRC3_GFX90A:ACCUM_OFFSET: 0
; COMPUTE_PGM_RSRC3_GFX90A:TG_SPLIT: 0
	.section	.text._ZN7rocprim17ROCPRIM_400000_NS6detail17trampoline_kernelINS0_14default_configENS1_25partition_config_selectorILNS1_17partition_subalgoE9EllbEEZZNS1_14partition_implILS5_9ELb0ES3_jPlS8_PNS0_10empty_typeENS0_5tupleIJS8_S9_EEENSB_IJS8_SA_EEENS0_18inequality_wrapperIZN2at6native12_GLOBAL__N_124unique_dim_cuda_templateIsEESt5tupleIJNSF_6TensorESK_SK_EERKSK_lbbbEUlllE0_EEPmJS9_EEE10hipError_tPvRmT3_T4_T5_T6_T7_T9_mT8_P12ihipStream_tbDpT10_ENKUlT_T0_E_clISt17integral_constantIbLb0EES1A_EEDaS15_S16_EUlS15_E_NS1_11comp_targetILNS1_3genE0ELNS1_11target_archE4294967295ELNS1_3gpuE0ELNS1_3repE0EEENS1_30default_config_static_selectorELNS0_4arch9wavefront6targetE1EEEvT1_,"axG",@progbits,_ZN7rocprim17ROCPRIM_400000_NS6detail17trampoline_kernelINS0_14default_configENS1_25partition_config_selectorILNS1_17partition_subalgoE9EllbEEZZNS1_14partition_implILS5_9ELb0ES3_jPlS8_PNS0_10empty_typeENS0_5tupleIJS8_S9_EEENSB_IJS8_SA_EEENS0_18inequality_wrapperIZN2at6native12_GLOBAL__N_124unique_dim_cuda_templateIsEESt5tupleIJNSF_6TensorESK_SK_EERKSK_lbbbEUlllE0_EEPmJS9_EEE10hipError_tPvRmT3_T4_T5_T6_T7_T9_mT8_P12ihipStream_tbDpT10_ENKUlT_T0_E_clISt17integral_constantIbLb0EES1A_EEDaS15_S16_EUlS15_E_NS1_11comp_targetILNS1_3genE0ELNS1_11target_archE4294967295ELNS1_3gpuE0ELNS1_3repE0EEENS1_30default_config_static_selectorELNS0_4arch9wavefront6targetE1EEEvT1_,comdat
	.globl	_ZN7rocprim17ROCPRIM_400000_NS6detail17trampoline_kernelINS0_14default_configENS1_25partition_config_selectorILNS1_17partition_subalgoE9EllbEEZZNS1_14partition_implILS5_9ELb0ES3_jPlS8_PNS0_10empty_typeENS0_5tupleIJS8_S9_EEENSB_IJS8_SA_EEENS0_18inequality_wrapperIZN2at6native12_GLOBAL__N_124unique_dim_cuda_templateIsEESt5tupleIJNSF_6TensorESK_SK_EERKSK_lbbbEUlllE0_EEPmJS9_EEE10hipError_tPvRmT3_T4_T5_T6_T7_T9_mT8_P12ihipStream_tbDpT10_ENKUlT_T0_E_clISt17integral_constantIbLb0EES1A_EEDaS15_S16_EUlS15_E_NS1_11comp_targetILNS1_3genE0ELNS1_11target_archE4294967295ELNS1_3gpuE0ELNS1_3repE0EEENS1_30default_config_static_selectorELNS0_4arch9wavefront6targetE1EEEvT1_ ; -- Begin function _ZN7rocprim17ROCPRIM_400000_NS6detail17trampoline_kernelINS0_14default_configENS1_25partition_config_selectorILNS1_17partition_subalgoE9EllbEEZZNS1_14partition_implILS5_9ELb0ES3_jPlS8_PNS0_10empty_typeENS0_5tupleIJS8_S9_EEENSB_IJS8_SA_EEENS0_18inequality_wrapperIZN2at6native12_GLOBAL__N_124unique_dim_cuda_templateIsEESt5tupleIJNSF_6TensorESK_SK_EERKSK_lbbbEUlllE0_EEPmJS9_EEE10hipError_tPvRmT3_T4_T5_T6_T7_T9_mT8_P12ihipStream_tbDpT10_ENKUlT_T0_E_clISt17integral_constantIbLb0EES1A_EEDaS15_S16_EUlS15_E_NS1_11comp_targetILNS1_3genE0ELNS1_11target_archE4294967295ELNS1_3gpuE0ELNS1_3repE0EEENS1_30default_config_static_selectorELNS0_4arch9wavefront6targetE1EEEvT1_
	.p2align	8
	.type	_ZN7rocprim17ROCPRIM_400000_NS6detail17trampoline_kernelINS0_14default_configENS1_25partition_config_selectorILNS1_17partition_subalgoE9EllbEEZZNS1_14partition_implILS5_9ELb0ES3_jPlS8_PNS0_10empty_typeENS0_5tupleIJS8_S9_EEENSB_IJS8_SA_EEENS0_18inequality_wrapperIZN2at6native12_GLOBAL__N_124unique_dim_cuda_templateIsEESt5tupleIJNSF_6TensorESK_SK_EERKSK_lbbbEUlllE0_EEPmJS9_EEE10hipError_tPvRmT3_T4_T5_T6_T7_T9_mT8_P12ihipStream_tbDpT10_ENKUlT_T0_E_clISt17integral_constantIbLb0EES1A_EEDaS15_S16_EUlS15_E_NS1_11comp_targetILNS1_3genE0ELNS1_11target_archE4294967295ELNS1_3gpuE0ELNS1_3repE0EEENS1_30default_config_static_selectorELNS0_4arch9wavefront6targetE1EEEvT1_,@function
_ZN7rocprim17ROCPRIM_400000_NS6detail17trampoline_kernelINS0_14default_configENS1_25partition_config_selectorILNS1_17partition_subalgoE9EllbEEZZNS1_14partition_implILS5_9ELb0ES3_jPlS8_PNS0_10empty_typeENS0_5tupleIJS8_S9_EEENSB_IJS8_SA_EEENS0_18inequality_wrapperIZN2at6native12_GLOBAL__N_124unique_dim_cuda_templateIsEESt5tupleIJNSF_6TensorESK_SK_EERKSK_lbbbEUlllE0_EEPmJS9_EEE10hipError_tPvRmT3_T4_T5_T6_T7_T9_mT8_P12ihipStream_tbDpT10_ENKUlT_T0_E_clISt17integral_constantIbLb0EES1A_EEDaS15_S16_EUlS15_E_NS1_11comp_targetILNS1_3genE0ELNS1_11target_archE4294967295ELNS1_3gpuE0ELNS1_3repE0EEENS1_30default_config_static_selectorELNS0_4arch9wavefront6targetE1EEEvT1_: ; @_ZN7rocprim17ROCPRIM_400000_NS6detail17trampoline_kernelINS0_14default_configENS1_25partition_config_selectorILNS1_17partition_subalgoE9EllbEEZZNS1_14partition_implILS5_9ELb0ES3_jPlS8_PNS0_10empty_typeENS0_5tupleIJS8_S9_EEENSB_IJS8_SA_EEENS0_18inequality_wrapperIZN2at6native12_GLOBAL__N_124unique_dim_cuda_templateIsEESt5tupleIJNSF_6TensorESK_SK_EERKSK_lbbbEUlllE0_EEPmJS9_EEE10hipError_tPvRmT3_T4_T5_T6_T7_T9_mT8_P12ihipStream_tbDpT10_ENKUlT_T0_E_clISt17integral_constantIbLb0EES1A_EEDaS15_S16_EUlS15_E_NS1_11comp_targetILNS1_3genE0ELNS1_11target_archE4294967295ELNS1_3gpuE0ELNS1_3repE0EEENS1_30default_config_static_selectorELNS0_4arch9wavefront6targetE1EEEvT1_
; %bb.0:
	s_load_dwordx4 s[4:7], s[0:1], 0x8
	s_load_dwordx2 s[10:11], s[0:1], 0x18
	s_load_dwordx8 s[24:31], s[0:1], 0x40
	s_load_dword s3, s[0:1], 0x70
	s_mul_i32 s12, s2, 0x280
	s_waitcnt lgkmcnt(0)
	s_lshl_b64 s[14:15], s[6:7], 3
	s_add_u32 s18, s4, s14
	s_addc_u32 s19, s5, s15
	s_mul_i32 s4, s3, 0x280
	s_add_i32 s8, s3, -1
	s_add_i32 s3, s4, s6
	s_sub_i32 s3, s28, s3
	s_addk_i32 s3, 0x280
	s_add_u32 s4, s6, s4
	s_addc_u32 s5, s7, 0
	v_mov_b64_e32 v[2:3], s[4:5]
	s_cmp_eq_u32 s2, s8
	s_load_dwordx2 s[26:27], s[26:27], 0x0
	v_cmp_le_u64_e32 vcc, s[28:29], v[2:3]
	s_cselect_b64 s[28:29], -1, 0
	s_mov_b32 s13, 0
	s_and_b64 s[8:9], s[28:29], vcc
	s_xor_b64 s[34:35], s[8:9], -1
	s_lshl_b64 s[16:17], s[12:13], 3
	s_add_u32 s12, s18, s16
	s_mov_b64 s[4:5], -1
	s_addc_u32 s13, s19, s17
	s_and_b64 vcc, exec, s[34:35]
	v_lshlrev_b32_e32 v1, 3, v0
	s_cbranch_vccz .LBB717_2
; %bb.1:
	v_lshlrev_b32_e32 v2, 3, v0
	v_mov_b32_e32 v3, 0
	v_lshl_add_u64 v[4:5], s[12:13], 0, v[2:3]
	v_add_co_u32_e32 v4, vcc, 0x1000, v4
	global_load_dwordx2 v[6:7], v2, s[12:13] offset:3072
	s_nop 0
	v_addc_co_u32_e32 v5, vcc, 0, v5, vcc
	global_load_dwordx2 v[8:9], v2, s[12:13]
	global_load_dwordx2 v[10:11], v2, s[12:13] offset:1024
	global_load_dwordx2 v[12:13], v2, s[12:13] offset:2048
	global_load_dwordx2 v[14:15], v[4:5], off
	s_mov_b64 s[4:5], 0
	s_waitcnt vmcnt(2)
	ds_write2st64_b64 v2, v[8:9], v[10:11] offset1:2
	s_waitcnt vmcnt(1)
	ds_write2st64_b64 v2, v[12:13], v[6:7] offset0:4 offset1:6
	s_waitcnt vmcnt(0)
	ds_write_b64 v2, v[14:15] offset:4096
	s_waitcnt lgkmcnt(0)
	s_barrier
.LBB717_2:
	s_load_dwordx4 s[20:23], s[0:1], 0x60
	s_andn2_b64 vcc, exec, s[4:5]
	v_cmp_gt_u32_e64 s[4:5], s3, v0
	s_cbranch_vccnz .LBB717_14
; %bb.3:
	v_mov_b32_e32 v2, 0
	v_mov_b32_e32 v3, v2
	;; [unrolled: 1-line block ×10, first 2 shown]
	s_and_saveexec_b64 s[18:19], s[4:5]
	s_cbranch_execz .LBB717_5
; %bb.4:
	v_lshlrev_b32_e32 v3, 3, v0
	global_load_dwordx2 v[4:5], v3, s[12:13]
	v_mov_b32_e32 v6, v2
	v_mov_b32_e32 v7, v2
	;; [unrolled: 1-line block ×8, first 2 shown]
	s_waitcnt vmcnt(0)
	v_mov_b64_e32 v[2:3], v[4:5]
	v_mov_b64_e32 v[4:5], v[6:7]
	;; [unrolled: 1-line block ×8, first 2 shown]
.LBB717_5:
	s_or_b64 exec, exec, s[18:19]
	v_or_b32_e32 v12, 0x80, v0
	v_cmp_gt_u32_e32 vcc, s3, v12
	s_and_saveexec_b64 s[4:5], vcc
	s_cbranch_execz .LBB717_7
; %bb.6:
	v_lshlrev_b32_e32 v4, 3, v0
	global_load_dwordx2 v[4:5], v4, s[12:13] offset:1024
.LBB717_7:
	s_or_b64 exec, exec, s[4:5]
	v_or_b32_e32 v12, 0x100, v0
	v_cmp_gt_u32_e32 vcc, s3, v12
	s_and_saveexec_b64 s[4:5], vcc
	s_cbranch_execz .LBB717_9
; %bb.8:
	v_lshlrev_b32_e32 v6, 3, v0
	global_load_dwordx2 v[6:7], v6, s[12:13] offset:2048
.LBB717_9:
	;; [unrolled: 9-line block ×3, first 2 shown]
	s_or_b64 exec, exec, s[4:5]
	v_or_b32_e32 v12, 0x200, v0
	v_cmp_gt_u32_e32 vcc, s3, v12
	s_and_saveexec_b64 s[4:5], vcc
	s_cbranch_execz .LBB717_13
; %bb.12:
	v_lshlrev_b32_e32 v10, 3, v12
	global_load_dwordx2 v[10:11], v10, s[12:13]
.LBB717_13:
	s_or_b64 exec, exec, s[4:5]
	v_lshlrev_b32_e32 v12, 3, v0
	s_waitcnt vmcnt(0)
	ds_write2st64_b64 v12, v[2:3], v[4:5] offset1:2
	ds_write2st64_b64 v12, v[6:7], v[8:9] offset0:4 offset1:6
	ds_write_b64 v12, v[10:11] offset:4096
	s_waitcnt lgkmcnt(0)
	s_barrier
.LBB717_14:
	v_mul_u32_u24_e32 v22, 5, v0
	v_lshlrev_b32_e32 v20, 3, v22
	s_waitcnt lgkmcnt(0)
	ds_read2_b64 v[6:9], v20 offset1:1
	ds_read2_b64 v[2:5], v20 offset0:2 offset1:3
	ds_read_b64 v[12:13], v20 offset:32
	s_add_u32 s4, s10, s14
	s_addc_u32 s5, s11, s15
	s_add_u32 s4, s4, s16
	s_addc_u32 s5, s5, s17
	s_mov_b64 s[10:11], -1
	s_and_b64 vcc, exec, s[34:35]
	s_waitcnt lgkmcnt(0)
	s_barrier
	s_cbranch_vccz .LBB717_16
; %bb.15:
	v_lshlrev_b32_e32 v10, 3, v0
	v_mov_b32_e32 v11, 0
	v_lshl_add_u64 v[14:15], s[4:5], 0, v[10:11]
	v_add_co_u32_e32 v14, vcc, 0x1000, v14
	global_load_dwordx2 v[16:17], v10, s[4:5] offset:3072
	s_nop 0
	v_addc_co_u32_e32 v15, vcc, 0, v15, vcc
	global_load_dwordx2 v[18:19], v10, s[4:5]
	global_load_dwordx2 v[24:25], v10, s[4:5] offset:1024
	global_load_dwordx2 v[26:27], v10, s[4:5] offset:2048
	global_load_dwordx2 v[28:29], v[14:15], off
	s_mov_b64 s[10:11], 0
	s_waitcnt vmcnt(2)
	ds_write2st64_b64 v10, v[18:19], v[24:25] offset1:2
	s_waitcnt vmcnt(1)
	ds_write2st64_b64 v10, v[26:27], v[16:17] offset0:4 offset1:6
	s_waitcnt vmcnt(0)
	ds_write_b64 v10, v[28:29] offset:4096
	s_waitcnt lgkmcnt(0)
	s_barrier
.LBB717_16:
	s_andn2_b64 vcc, exec, s[10:11]
	s_cbranch_vccnz .LBB717_28
; %bb.17:
	v_cmp_gt_u32_e32 vcc, s3, v0
                                        ; implicit-def: $vgpr10_vgpr11
	s_and_saveexec_b64 s[10:11], vcc
	s_cbranch_execz .LBB717_19
; %bb.18:
	v_lshlrev_b32_e32 v10, 3, v0
	global_load_dwordx2 v[10:11], v10, s[4:5]
.LBB717_19:
	s_or_b64 exec, exec, s[10:11]
	v_or_b32_e32 v14, 0x80, v0
	v_cmp_gt_u32_e32 vcc, s3, v14
                                        ; implicit-def: $vgpr14_vgpr15
	s_and_saveexec_b64 s[10:11], vcc
	s_cbranch_execz .LBB717_21
; %bb.20:
	v_lshlrev_b32_e32 v14, 3, v0
	global_load_dwordx2 v[14:15], v14, s[4:5] offset:1024
.LBB717_21:
	s_or_b64 exec, exec, s[10:11]
	v_or_b32_e32 v16, 0x100, v0
	v_cmp_gt_u32_e32 vcc, s3, v16
                                        ; implicit-def: $vgpr16_vgpr17
	s_and_saveexec_b64 s[10:11], vcc
	s_cbranch_execz .LBB717_23
; %bb.22:
	v_lshlrev_b32_e32 v16, 3, v0
	global_load_dwordx2 v[16:17], v16, s[4:5] offset:2048
.LBB717_23:
	s_or_b64 exec, exec, s[10:11]
	v_or_b32_e32 v18, 0x180, v0
	v_cmp_gt_u32_e32 vcc, s3, v18
                                        ; implicit-def: $vgpr18_vgpr19
	s_and_saveexec_b64 s[10:11], vcc
	s_cbranch_execz .LBB717_25
; %bb.24:
	v_lshlrev_b32_e32 v18, 3, v0
	global_load_dwordx2 v[18:19], v18, s[4:5] offset:3072
.LBB717_25:
	s_or_b64 exec, exec, s[10:11]
	v_or_b32_e32 v21, 0x200, v0
	v_cmp_gt_u32_e32 vcc, s3, v21
                                        ; implicit-def: $vgpr24_vgpr25
	s_and_saveexec_b64 s[10:11], vcc
	s_cbranch_execz .LBB717_27
; %bb.26:
	v_lshlrev_b32_e32 v21, 3, v21
	global_load_dwordx2 v[24:25], v21, s[4:5]
.LBB717_27:
	s_or_b64 exec, exec, s[10:11]
	v_lshlrev_b32_e32 v21, 5, v0
	v_sub_u32_e32 v21, v20, v21
	s_waitcnt vmcnt(0)
	ds_write2st64_b64 v21, v[10:11], v[14:15] offset1:2
	ds_write2st64_b64 v21, v[16:17], v[18:19] offset0:4 offset1:6
	ds_write_b64 v21, v[24:25] offset:4096
	s_waitcnt lgkmcnt(0)
	s_barrier
.LBB717_28:
	ds_read_b64 v[10:11], v20 offset:32
	ds_read2_b64 v[52:55], v20 offset0:2 offset1:3
	ds_read2_b64 v[56:59], v20 offset1:1
	s_cmp_lg_u32 s2, 0
	s_cselect_b64 s[16:17], -1, 0
	s_cmp_lg_u64 s[6:7], 0
	s_cselect_b64 s[4:5], -1, 0
	s_or_b64 s[4:5], s[16:17], s[4:5]
	s_mov_b64 s[10:11], 0
	s_and_b64 vcc, exec, s[4:5]
	v_cmp_gt_i64_e64 s[4:5], s[30:31], 0
	s_waitcnt lgkmcnt(0)
	s_barrier
	s_cbranch_vccz .LBB717_40
; %bb.29:
	s_add_u32 s6, s12, -8
	s_addc_u32 s7, s13, -1
	s_load_dwordx2 s[10:11], s[6:7], 0x0
	v_cndmask_b32_e64 v14, 0, 1, s[4:5]
	v_lshlrev_b32_e32 v21, 3, v0
	s_mov_b64 s[6:7], 0
	s_and_b64 vcc, exec, s[34:35]
	v_cmp_ne_u32_e64 s[4:5], 1, v14
	ds_write_b64 v21, v[12:13]
	s_cbranch_vccz .LBB717_42
; %bb.30:
	s_and_b64 vcc, exec, s[4:5]
	s_cbranch_vccnz .LBB717_43
; %bb.31:
	v_mul_lo_u32 v16, v5, s30
	v_mul_lo_u32 v17, v4, s31
	v_mad_u64_u32 v[14:15], s[6:7], v4, s30, 0
	v_add3_u32 v15, v15, v17, v16
	v_mul_lo_u32 v18, v13, s30
	v_mul_lo_u32 v19, v12, s31
	v_mad_u64_u32 v[16:17], s[6:7], v12, s30, 0
	s_add_u32 s14, s30, -1
	v_lshl_add_u64 v[14:15], v[14:15], 1, s[20:21]
	v_add3_u32 v17, v17, v19, v18
	s_addc_u32 s15, s31, -1
	v_lshl_add_u64 v[16:17], v[16:17], 1, s[20:21]
	s_mov_b64 s[18:19], 0
	s_mov_b64 s[36:37], s[14:15]
	v_mov_b64_e32 v[18:19], v[14:15]
                                        ; implicit-def: $sgpr12_sgpr13
.LBB717_32:                             ; =>This Inner Loop Header: Depth=1
	global_load_ushort v23, v[18:19], off
	global_load_ushort v24, v[16:17], off
	s_add_u32 s6, s36, -1
	s_addc_u32 s7, s37, -1
	s_cmp_eq_u64 s[36:37], 0
	s_mov_b64 s[36:37], s[6:7]
	s_cselect_b64 s[38:39], -1, 0
	v_lshl_add_u64 v[18:19], v[18:19], 0, 2
	v_lshl_add_u64 v[16:17], v[16:17], 0, 2
	s_waitcnt vmcnt(0)
	v_cmp_ne_u16_e64 s[6:7], v23, v24
	s_or_b64 s[6:7], s[6:7], s[38:39]
	s_and_b64 s[6:7], exec, s[6:7]
	v_cmp_eq_u16_e32 vcc, v23, v24
	s_or_b64 s[18:19], s[6:7], s[18:19]
	s_andn2_b64 s[6:7], s[12:13], exec
	s_and_b64 s[12:13], vcc, exec
	s_or_b64 s[12:13], s[6:7], s[12:13]
	s_andn2_b64 exec, exec, s[18:19]
	s_cbranch_execnz .LBB717_32
; %bb.33:
	s_or_b64 exec, exec, s[18:19]
	v_mul_lo_u32 v18, v3, s30
	v_mul_lo_u32 v19, v2, s31
	v_mad_u64_u32 v[16:17], s[6:7], v2, s30, 0
	v_add3_u32 v17, v17, v19, v18
	v_lshl_add_u64 v[16:17], v[16:17], 1, s[20:21]
	s_mov_b64 s[36:37], 0
	s_mov_b64 s[38:39], s[14:15]
	v_mov_b64_e32 v[18:19], v[16:17]
                                        ; implicit-def: $sgpr18_sgpr19
.LBB717_34:                             ; =>This Inner Loop Header: Depth=1
	global_load_ushort v23, v[18:19], off
	global_load_ushort v24, v[14:15], off
	s_add_u32 s6, s38, -1
	s_addc_u32 s7, s39, -1
	s_cmp_eq_u64 s[38:39], 0
	s_mov_b64 s[38:39], s[6:7]
	s_cselect_b64 s[40:41], -1, 0
	v_lshl_add_u64 v[18:19], v[18:19], 0, 2
	v_lshl_add_u64 v[14:15], v[14:15], 0, 2
	s_waitcnt vmcnt(0)
	v_cmp_ne_u16_e64 s[6:7], v23, v24
	s_or_b64 s[6:7], s[6:7], s[40:41]
	s_and_b64 s[6:7], exec, s[6:7]
	v_cmp_eq_u16_e32 vcc, v23, v24
	s_or_b64 s[36:37], s[6:7], s[36:37]
	s_andn2_b64 s[6:7], s[18:19], exec
	s_and_b64 s[18:19], vcc, exec
	s_or_b64 s[18:19], s[6:7], s[18:19]
	s_andn2_b64 exec, exec, s[36:37]
	s_cbranch_execnz .LBB717_34
; %bb.35:
	s_or_b64 exec, exec, s[36:37]
	v_mul_lo_u32 v18, v9, s30
	v_mul_lo_u32 v19, v8, s31
	v_mad_u64_u32 v[14:15], s[6:7], v8, s30, 0
	v_add3_u32 v15, v15, v19, v18
	v_lshl_add_u64 v[14:15], v[14:15], 1, s[20:21]
	s_mov_b64 s[38:39], 0
	s_mov_b64 s[40:41], s[14:15]
	v_mov_b64_e32 v[18:19], v[14:15]
                                        ; implicit-def: $sgpr36_sgpr37
.LBB717_36:                             ; =>This Inner Loop Header: Depth=1
	global_load_ushort v23, v[18:19], off
	global_load_ushort v24, v[16:17], off
	s_add_u32 s6, s40, -1
	s_addc_u32 s7, s41, -1
	s_cmp_eq_u64 s[40:41], 0
	s_mov_b64 s[40:41], s[6:7]
	s_cselect_b64 s[42:43], -1, 0
	v_lshl_add_u64 v[18:19], v[18:19], 0, 2
	v_lshl_add_u64 v[16:17], v[16:17], 0, 2
	s_waitcnt vmcnt(0)
	v_cmp_ne_u16_e64 s[6:7], v23, v24
	s_or_b64 s[6:7], s[6:7], s[42:43]
	s_and_b64 s[6:7], exec, s[6:7]
	v_cmp_eq_u16_e32 vcc, v23, v24
	s_or_b64 s[38:39], s[6:7], s[38:39]
	s_andn2_b64 s[6:7], s[36:37], exec
	s_and_b64 s[36:37], vcc, exec
	s_or_b64 s[36:37], s[6:7], s[36:37]
	s_andn2_b64 exec, exec, s[38:39]
	s_cbranch_execnz .LBB717_36
; %bb.37:
	s_or_b64 exec, exec, s[38:39]
	v_mul_lo_u32 v18, v7, s30
	v_mul_lo_u32 v19, v6, s31
	v_mad_u64_u32 v[16:17], s[6:7], v6, s30, 0
	v_add3_u32 v17, v17, v19, v18
	v_lshl_add_u64 v[16:17], v[16:17], 1, s[20:21]
	s_mov_b64 s[40:41], 0
                                        ; implicit-def: $sgpr38_sgpr39
.LBB717_38:                             ; =>This Inner Loop Header: Depth=1
	global_load_ushort v18, v[16:17], off
	global_load_ushort v19, v[14:15], off
	s_add_u32 s6, s14, -1
	s_addc_u32 s7, s15, -1
	s_cmp_eq_u64 s[14:15], 0
	s_mov_b64 s[14:15], s[6:7]
	s_cselect_b64 s[42:43], -1, 0
	v_lshl_add_u64 v[16:17], v[16:17], 0, 2
	v_lshl_add_u64 v[14:15], v[14:15], 0, 2
	s_waitcnt vmcnt(0)
	v_cmp_ne_u16_e64 s[6:7], v18, v19
	s_or_b64 s[6:7], s[6:7], s[42:43]
	s_and_b64 s[6:7], exec, s[6:7]
	v_cmp_eq_u16_e32 vcc, v18, v19
	s_or_b64 s[40:41], s[6:7], s[40:41]
	s_andn2_b64 s[6:7], s[38:39], exec
	s_and_b64 s[38:39], vcc, exec
	s_or_b64 s[38:39], s[6:7], s[38:39]
	s_andn2_b64 exec, exec, s[40:41]
	s_cbranch_execnz .LBB717_38
; %bb.39:
	s_or_b64 exec, exec, s[40:41]
	s_xor_b64 s[6:7], s[12:13], -1
	v_cndmask_b32_e64 v32, 0, 1, s[6:7]
	s_xor_b64 s[6:7], s[18:19], -1
	v_cndmask_b32_e64 v14, 0, 1, s[6:7]
	v_lshlrev_b16_e32 v14, 8, v14
	v_mov_b32_e32 v15, 8
	s_xor_b64 s[12:13], s[36:37], -1
	v_lshrrev_b32_sdwa v14, v15, v14 dst_sel:BYTE_1 dst_unused:UNUSED_PAD src0_sel:DWORD src1_sel:DWORD
	v_cndmask_b32_e64 v15, 0, 1, s[12:13]
	s_xor_b64 s[6:7], s[38:39], -1
	v_or_b32_sdwa v16, v15, v14 dst_sel:WORD_1 dst_unused:UNUSED_PAD src0_sel:DWORD src1_sel:DWORD
	s_branch .LBB717_44
.LBB717_40:
                                        ; implicit-def: $sgpr6_sgpr7
                                        ; implicit-def: $vgpr32
                                        ; implicit-def: $vgpr15
	s_branch .LBB717_85
.LBB717_41:
                                        ; implicit-def: $vgpr16
                                        ; implicit-def: $vgpr34
                                        ; implicit-def: $vgpr33
                                        ; implicit-def: $vgpr14
	s_branch .LBB717_138
.LBB717_42:
                                        ; implicit-def: $sgpr6_sgpr7
                                        ; implicit-def: $vgpr32
                                        ; implicit-def: $vgpr15
	s_cbranch_execnz .LBB717_51
	s_branch .LBB717_84
.LBB717_43:
	v_mov_b32_e32 v16, 0
	v_mov_b32_e32 v32, 0
.LBB717_44:
	v_cmp_ne_u32_e32 vcc, 0, v0
	s_waitcnt lgkmcnt(0)
	v_mov_b64_e32 v[14:15], s[10:11]
	s_barrier
	s_and_saveexec_b64 s[12:13], vcc
; %bb.45:
	v_add_u32_e32 v14, -8, v21
	ds_read_b64 v[14:15], v14
; %bb.46:
	s_or_b64 exec, exec, s[12:13]
	v_cndmask_b32_e64 v17, 0, 1, s[6:7]
	v_lshrrev_b32_e32 v18, 16, v16
	s_mov_b32 s6, 0xc0c0304
	v_perm_b32 v18, v18, v16, s6
	v_lshlrev_b16_e32 v17, 8, v17
	s_movk_i32 s6, 0xff
	v_bitop3_b16 v16, v16, v17, s6 bitop3:0xec
	v_and_b32_e32 v19, 0xffff, v16
	s_mov_b64 s[12:13], 0
	s_and_b64 vcc, exec, s[4:5]
	s_mov_b64 s[6:7], 0
	s_cbranch_vccnz .LBB717_50
; %bb.47:
	s_waitcnt lgkmcnt(0)
	v_mul_lo_u32 v16, v15, s30
	v_mul_lo_u32 v17, v14, s31
	v_mad_u64_u32 v[14:15], s[6:7], v14, s30, 0
	v_add3_u32 v15, v15, v17, v16
	v_mul_lo_u32 v23, v7, s30
	v_mul_lo_u32 v24, v6, s31
	v_mad_u64_u32 v[16:17], s[6:7], v6, s30, 0
	v_add3_u32 v17, v17, v24, v23
	s_add_u32 s36, s30, -1
	v_lshl_add_u64 v[14:15], v[14:15], 1, s[20:21]
	v_lshl_add_u64 v[16:17], v[16:17], 1, s[20:21]
	s_addc_u32 s37, s31, -1
	s_mov_b64 s[14:15], 0
                                        ; implicit-def: $sgpr18_sgpr19
.LBB717_48:                             ; =>This Inner Loop Header: Depth=1
	global_load_ushort v23, v[14:15], off
	global_load_ushort v24, v[16:17], off
	s_add_u32 s6, s36, -1
	s_addc_u32 s7, s37, -1
	s_cmp_eq_u64 s[36:37], 0
	s_mov_b64 s[36:37], s[6:7]
	s_cselect_b64 s[38:39], -1, 0
	v_lshl_add_u64 v[14:15], v[14:15], 0, 2
	v_lshl_add_u64 v[16:17], v[16:17], 0, 2
	s_waitcnt vmcnt(0)
	v_cmp_ne_u16_e64 s[6:7], v23, v24
	s_or_b64 s[6:7], s[6:7], s[38:39]
	s_and_b64 s[6:7], exec, s[6:7]
	v_cmp_eq_u16_e32 vcc, v23, v24
	s_or_b64 s[14:15], s[6:7], s[14:15]
	s_andn2_b64 s[6:7], s[18:19], exec
	s_and_b64 s[18:19], vcc, exec
	s_or_b64 s[18:19], s[6:7], s[18:19]
	s_andn2_b64 exec, exec, s[14:15]
	s_cbranch_execnz .LBB717_48
; %bb.49:
	s_or_b64 exec, exec, s[14:15]
	s_xor_b64 s[6:7], s[18:19], -1
.LBB717_50:
	s_waitcnt lgkmcnt(0)
	v_lshl_or_b32 v15, v18, 16, v19
	s_and_b64 vcc, exec, s[12:13]
	s_cbranch_vccz .LBB717_84
.LBB717_51:
	v_add_u32_e32 v14, 4, v22
	v_cmp_gt_u32_e32 vcc, s3, v14
	s_mov_b64 s[14:15], 0
	s_mov_b64 s[12:13], 0
	s_and_saveexec_b64 s[18:19], vcc
	s_cbranch_execz .LBB717_57
; %bb.52:
	s_and_b64 vcc, exec, s[4:5]
	s_mov_b64 s[6:7], 0
	s_cbranch_vccnz .LBB717_56
; %bb.53:
	v_mul_lo_u32 v16, v5, s30
	v_mul_lo_u32 v17, v4, s31
	v_mad_u64_u32 v[14:15], s[6:7], v4, s30, 0
	v_add3_u32 v15, v15, v17, v16
	v_mul_lo_u32 v18, v13, s30
	v_mul_lo_u32 v19, v12, s31
	v_mad_u64_u32 v[16:17], s[6:7], v12, s30, 0
	v_add3_u32 v17, v17, v19, v18
	s_add_u32 s38, s30, -1
	v_lshl_add_u64 v[14:15], v[14:15], 1, s[20:21]
	v_lshl_add_u64 v[16:17], v[16:17], 1, s[20:21]
	s_addc_u32 s39, s31, -1
                                        ; implicit-def: $sgpr36_sgpr37
.LBB717_54:                             ; =>This Inner Loop Header: Depth=1
	global_load_ushort v18, v[14:15], off
	global_load_ushort v19, v[16:17], off
	s_add_u32 s6, s38, -1
	s_addc_u32 s7, s39, -1
	s_cmp_eq_u64 s[38:39], 0
	s_mov_b64 s[38:39], s[6:7]
	s_cselect_b64 s[40:41], -1, 0
	v_lshl_add_u64 v[14:15], v[14:15], 0, 2
	v_lshl_add_u64 v[16:17], v[16:17], 0, 2
	s_waitcnt vmcnt(0)
	v_cmp_ne_u16_e64 s[6:7], v18, v19
	s_or_b64 s[6:7], s[6:7], s[40:41]
	s_and_b64 s[6:7], exec, s[6:7]
	v_cmp_eq_u16_e32 vcc, v18, v19
	s_or_b64 s[12:13], s[6:7], s[12:13]
	s_andn2_b64 s[6:7], s[36:37], exec
	s_and_b64 s[36:37], vcc, exec
	s_or_b64 s[36:37], s[6:7], s[36:37]
	s_andn2_b64 exec, exec, s[12:13]
	s_cbranch_execnz .LBB717_54
; %bb.55:
	s_or_b64 exec, exec, s[12:13]
	s_xor_b64 s[6:7], s[36:37], -1
.LBB717_56:
	s_and_b64 s[12:13], s[6:7], exec
.LBB717_57:
	s_or_b64 exec, exec, s[18:19]
	v_add_u32_e32 v14, 3, v22
	v_cmp_gt_u32_e32 vcc, s3, v14
	s_and_saveexec_b64 s[18:19], vcc
	s_cbranch_execz .LBB717_63
; %bb.58:
	s_and_b64 vcc, exec, s[4:5]
	s_mov_b64 s[6:7], 0
	s_cbranch_vccnz .LBB717_62
; %bb.59:
	v_mul_lo_u32 v16, v3, s30
	v_mul_lo_u32 v17, v2, s31
	v_mad_u64_u32 v[14:15], s[6:7], v2, s30, 0
	v_add3_u32 v15, v15, v17, v16
	v_mul_lo_u32 v18, v5, s30
	v_mul_lo_u32 v19, v4, s31
	v_mad_u64_u32 v[16:17], s[6:7], v4, s30, 0
	v_add3_u32 v17, v17, v19, v18
	s_add_u32 s38, s30, -1
	v_lshl_add_u64 v[14:15], v[14:15], 1, s[20:21]
	v_lshl_add_u64 v[16:17], v[16:17], 1, s[20:21]
	s_addc_u32 s39, s31, -1
	s_mov_b64 s[14:15], 0
                                        ; implicit-def: $sgpr36_sgpr37
.LBB717_60:                             ; =>This Inner Loop Header: Depth=1
	global_load_ushort v18, v[14:15], off
	global_load_ushort v19, v[16:17], off
	s_add_u32 s6, s38, -1
	s_addc_u32 s7, s39, -1
	s_cmp_eq_u64 s[38:39], 0
	s_mov_b64 s[38:39], s[6:7]
	s_cselect_b64 s[40:41], -1, 0
	v_lshl_add_u64 v[14:15], v[14:15], 0, 2
	v_lshl_add_u64 v[16:17], v[16:17], 0, 2
	s_waitcnt vmcnt(0)
	v_cmp_ne_u16_e64 s[6:7], v18, v19
	s_or_b64 s[6:7], s[6:7], s[40:41]
	s_and_b64 s[6:7], exec, s[6:7]
	v_cmp_eq_u16_e32 vcc, v18, v19
	s_or_b64 s[14:15], s[6:7], s[14:15]
	s_andn2_b64 s[6:7], s[36:37], exec
	s_and_b64 s[36:37], vcc, exec
	s_or_b64 s[36:37], s[6:7], s[36:37]
	s_andn2_b64 exec, exec, s[14:15]
	s_cbranch_execnz .LBB717_60
; %bb.61:
	s_or_b64 exec, exec, s[14:15]
	s_xor_b64 s[6:7], s[36:37], -1
.LBB717_62:
	s_and_b64 s[14:15], s[6:7], exec
.LBB717_63:
	s_or_b64 exec, exec, s[18:19]
	v_add_u32_e32 v14, 2, v22
	v_cmp_gt_u32_e32 vcc, s3, v14
	s_mov_b64 s[18:19], 0
	s_mov_b64 s[36:37], 0
	s_and_saveexec_b64 s[38:39], vcc
	s_cbranch_execz .LBB717_69
; %bb.64:
	s_and_b64 vcc, exec, s[4:5]
	s_mov_b64 s[6:7], 0
	s_cbranch_vccnz .LBB717_68
; %bb.65:
	v_mul_lo_u32 v16, v9, s30
	v_mul_lo_u32 v17, v8, s31
	v_mad_u64_u32 v[14:15], s[6:7], v8, s30, 0
	v_add3_u32 v15, v15, v17, v16
	v_mul_lo_u32 v18, v3, s30
	v_mul_lo_u32 v19, v2, s31
	v_mad_u64_u32 v[16:17], s[6:7], v2, s30, 0
	v_add3_u32 v17, v17, v19, v18
	s_add_u32 s42, s30, -1
	v_lshl_add_u64 v[14:15], v[14:15], 1, s[20:21]
	v_lshl_add_u64 v[16:17], v[16:17], 1, s[20:21]
	s_addc_u32 s43, s31, -1
                                        ; implicit-def: $sgpr40_sgpr41
.LBB717_66:                             ; =>This Inner Loop Header: Depth=1
	global_load_ushort v18, v[14:15], off
	global_load_ushort v19, v[16:17], off
	s_add_u32 s6, s42, -1
	s_addc_u32 s7, s43, -1
	s_cmp_eq_u64 s[42:43], 0
	s_mov_b64 s[42:43], s[6:7]
	s_cselect_b64 s[44:45], -1, 0
	v_lshl_add_u64 v[14:15], v[14:15], 0, 2
	v_lshl_add_u64 v[16:17], v[16:17], 0, 2
	s_waitcnt vmcnt(0)
	v_cmp_ne_u16_e64 s[6:7], v18, v19
	s_or_b64 s[6:7], s[6:7], s[44:45]
	s_and_b64 s[6:7], exec, s[6:7]
	v_cmp_eq_u16_e32 vcc, v18, v19
	s_or_b64 s[36:37], s[6:7], s[36:37]
	s_andn2_b64 s[6:7], s[40:41], exec
	s_and_b64 s[40:41], vcc, exec
	s_or_b64 s[40:41], s[6:7], s[40:41]
	s_andn2_b64 exec, exec, s[36:37]
	s_cbranch_execnz .LBB717_66
; %bb.67:
	s_or_b64 exec, exec, s[36:37]
	s_xor_b64 s[6:7], s[40:41], -1
.LBB717_68:
	s_and_b64 s[36:37], s[6:7], exec
.LBB717_69:
	s_or_b64 exec, exec, s[38:39]
	v_add_u32_e32 v14, 1, v22
	v_cmp_gt_u32_e32 vcc, s3, v14
	s_and_saveexec_b64 s[38:39], vcc
	s_cbranch_execz .LBB717_75
; %bb.70:
	s_and_b64 vcc, exec, s[4:5]
	s_mov_b64 s[6:7], 0
	s_cbranch_vccnz .LBB717_74
; %bb.71:
	v_mul_lo_u32 v16, v7, s30
	v_mul_lo_u32 v17, v6, s31
	v_mad_u64_u32 v[14:15], s[6:7], v6, s30, 0
	v_add3_u32 v15, v15, v17, v16
	v_mul_lo_u32 v18, v9, s30
	v_mul_lo_u32 v19, v8, s31
	v_mad_u64_u32 v[16:17], s[6:7], v8, s30, 0
	v_add3_u32 v17, v17, v19, v18
	s_add_u32 s42, s30, -1
	v_lshl_add_u64 v[14:15], v[14:15], 1, s[20:21]
	v_lshl_add_u64 v[16:17], v[16:17], 1, s[20:21]
	s_addc_u32 s43, s31, -1
	s_mov_b64 s[18:19], 0
                                        ; implicit-def: $sgpr40_sgpr41
.LBB717_72:                             ; =>This Inner Loop Header: Depth=1
	global_load_ushort v18, v[14:15], off
	global_load_ushort v19, v[16:17], off
	s_add_u32 s6, s42, -1
	s_addc_u32 s7, s43, -1
	s_cmp_eq_u64 s[42:43], 0
	s_mov_b64 s[42:43], s[6:7]
	s_cselect_b64 s[44:45], -1, 0
	v_lshl_add_u64 v[14:15], v[14:15], 0, 2
	v_lshl_add_u64 v[16:17], v[16:17], 0, 2
	s_waitcnt vmcnt(0)
	v_cmp_ne_u16_e64 s[6:7], v18, v19
	s_or_b64 s[6:7], s[6:7], s[44:45]
	s_and_b64 s[6:7], exec, s[6:7]
	v_cmp_eq_u16_e32 vcc, v18, v19
	s_or_b64 s[18:19], s[6:7], s[18:19]
	s_andn2_b64 s[6:7], s[40:41], exec
	s_and_b64 s[40:41], vcc, exec
	s_or_b64 s[40:41], s[6:7], s[40:41]
	s_andn2_b64 exec, exec, s[18:19]
	s_cbranch_execnz .LBB717_72
; %bb.73:
	s_or_b64 exec, exec, s[18:19]
	s_xor_b64 s[6:7], s[40:41], -1
.LBB717_74:
	s_and_b64 s[18:19], s[6:7], exec
.LBB717_75:
	s_or_b64 exec, exec, s[38:39]
	v_cmp_ne_u32_e32 vcc, 0, v0
	s_waitcnt lgkmcnt(0)
	v_mov_b64_e32 v[14:15], s[10:11]
	s_barrier
	s_and_saveexec_b64 s[6:7], vcc
; %bb.76:
	v_add_u32_e32 v14, -8, v21
	ds_read_b64 v[14:15], v14
; %bb.77:
	s_or_b64 exec, exec, s[6:7]
	v_cndmask_b32_e64 v17, 0, 1, s[14:15]
	v_cndmask_b32_e64 v16, 0, 1, s[36:37]
	;; [unrolled: 1-line block ×3, first 2 shown]
	v_lshlrev_b16_e32 v17, 8, v17
	v_cmp_gt_u32_e32 vcc, s3, v22
	v_lshlrev_b16_e32 v18, 8, v18
	v_or_b32_sdwa v19, v16, v17 dst_sel:WORD_1 dst_unused:UNUSED_PAD src0_sel:DWORD src1_sel:DWORD
	s_mov_b64 s[6:7], 0
	s_and_saveexec_b64 s[10:11], vcc
	s_cbranch_execz .LBB717_83
; %bb.78:
	s_and_b64 vcc, exec, s[4:5]
	s_mov_b64 s[4:5], 0
	s_cbranch_vccnz .LBB717_82
; %bb.79:
	s_waitcnt lgkmcnt(0)
	v_mul_lo_u32 v16, v15, s30
	v_mul_lo_u32 v17, v14, s31
	v_mad_u64_u32 v[14:15], s[4:5], v14, s30, 0
	v_add3_u32 v15, v15, v17, v16
	v_mul_lo_u32 v21, v7, s30
	v_mul_lo_u32 v23, v6, s31
	v_mad_u64_u32 v[16:17], s[4:5], v6, s30, 0
	v_add3_u32 v17, v17, v23, v21
	s_add_u32 s18, s30, -1
	v_lshl_add_u64 v[14:15], v[14:15], 1, s[20:21]
	v_lshl_add_u64 v[16:17], v[16:17], 1, s[20:21]
	s_addc_u32 s19, s31, -1
                                        ; implicit-def: $sgpr14_sgpr15
.LBB717_80:                             ; =>This Inner Loop Header: Depth=1
	global_load_ushort v21, v[14:15], off
	global_load_ushort v23, v[16:17], off
	s_add_u32 s4, s18, -1
	s_addc_u32 s5, s19, -1
	s_cmp_eq_u64 s[18:19], 0
	s_mov_b64 s[18:19], s[4:5]
	s_cselect_b64 s[36:37], -1, 0
	v_lshl_add_u64 v[14:15], v[14:15], 0, 2
	v_lshl_add_u64 v[16:17], v[16:17], 0, 2
	s_waitcnt vmcnt(0)
	v_cmp_ne_u16_e64 s[4:5], v21, v23
	s_or_b64 s[4:5], s[4:5], s[36:37]
	s_and_b64 s[4:5], exec, s[4:5]
	v_cmp_eq_u16_e32 vcc, v21, v23
	s_or_b64 s[6:7], s[4:5], s[6:7]
	s_andn2_b64 s[4:5], s[14:15], exec
	s_and_b64 s[14:15], vcc, exec
	s_or_b64 s[14:15], s[4:5], s[14:15]
	s_andn2_b64 exec, exec, s[6:7]
	s_cbranch_execnz .LBB717_80
; %bb.81:
	s_or_b64 exec, exec, s[6:7]
	s_xor_b64 s[4:5], s[14:15], -1
.LBB717_82:
	s_and_b64 s[6:7], s[4:5], exec
.LBB717_83:
	s_or_b64 exec, exec, s[10:11]
	v_cndmask_b32_e64 v32, 0, 1, s[12:13]
	s_waitcnt lgkmcnt(0)
	v_or_b32_e32 v15, v18, v19
.LBB717_84:
	s_waitcnt lgkmcnt(0)
	s_mov_b64 s[10:11], -1
	s_cbranch_execnz .LBB717_41
.LBB717_85:
	v_lshlrev_b32_e32 v14, 5, v0
	v_sub_u32_e32 v23, v20, v14
	s_mov_b64 s[6:7], 0
	v_cmp_gt_i64_e64 s[12:13], s[30:31], 0
	s_and_b64 vcc, exec, s[34:35]
	ds_write_b64 v23, v[12:13]
	s_cbranch_vccz .LBB717_96
; %bb.86:
	v_cndmask_b32_e64 v14, 0, 1, s[12:13]
	v_cmp_ne_u32_e64 s[4:5], 1, v14
	s_andn2_b64 vcc, exec, s[12:13]
	s_cbranch_vccnz .LBB717_97
; %bb.87:
	v_mul_lo_u32 v16, v5, s30
	v_mul_lo_u32 v17, v4, s31
	v_mad_u64_u32 v[14:15], s[6:7], v4, s30, 0
	v_add3_u32 v15, v15, v17, v16
	v_mul_lo_u32 v18, v13, s30
	v_mul_lo_u32 v19, v12, s31
	v_mad_u64_u32 v[16:17], s[6:7], v12, s30, 0
	s_add_u32 s18, s30, -1
	v_lshl_add_u64 v[14:15], v[14:15], 1, s[20:21]
	v_add3_u32 v17, v17, v19, v18
	s_addc_u32 s19, s31, -1
	v_lshl_add_u64 v[16:17], v[16:17], 1, s[20:21]
	s_mov_b64 s[36:37], 0
	s_mov_b64 s[38:39], s[18:19]
	v_mov_b64_e32 v[18:19], v[14:15]
                                        ; implicit-def: $sgpr14_sgpr15
.LBB717_88:                             ; =>This Inner Loop Header: Depth=1
	global_load_ushort v20, v[18:19], off
	global_load_ushort v21, v[16:17], off
	s_add_u32 s6, s38, -1
	s_addc_u32 s7, s39, -1
	s_cmp_eq_u64 s[38:39], 0
	s_mov_b64 s[38:39], s[6:7]
	s_cselect_b64 s[40:41], -1, 0
	v_lshl_add_u64 v[18:19], v[18:19], 0, 2
	v_lshl_add_u64 v[16:17], v[16:17], 0, 2
	s_waitcnt vmcnt(0)
	v_cmp_ne_u16_e64 s[6:7], v20, v21
	s_or_b64 s[6:7], s[6:7], s[40:41]
	s_and_b64 s[6:7], exec, s[6:7]
	v_cmp_eq_u16_e32 vcc, v20, v21
	s_or_b64 s[36:37], s[6:7], s[36:37]
	s_andn2_b64 s[6:7], s[14:15], exec
	s_and_b64 s[14:15], vcc, exec
	s_or_b64 s[14:15], s[6:7], s[14:15]
	s_andn2_b64 exec, exec, s[36:37]
	s_cbranch_execnz .LBB717_88
; %bb.89:
	s_or_b64 exec, exec, s[36:37]
	v_mul_lo_u32 v18, v3, s30
	v_mul_lo_u32 v19, v2, s31
	v_mad_u64_u32 v[16:17], s[6:7], v2, s30, 0
	v_add3_u32 v17, v17, v19, v18
	v_lshl_add_u64 v[16:17], v[16:17], 1, s[20:21]
	s_mov_b64 s[38:39], 0
	s_mov_b64 s[40:41], s[18:19]
	v_mov_b64_e32 v[18:19], v[16:17]
                                        ; implicit-def: $sgpr36_sgpr37
.LBB717_90:                             ; =>This Inner Loop Header: Depth=1
	global_load_ushort v20, v[18:19], off
	global_load_ushort v21, v[14:15], off
	s_add_u32 s6, s40, -1
	s_addc_u32 s7, s41, -1
	s_cmp_eq_u64 s[40:41], 0
	s_mov_b64 s[40:41], s[6:7]
	s_cselect_b64 s[42:43], -1, 0
	v_lshl_add_u64 v[18:19], v[18:19], 0, 2
	v_lshl_add_u64 v[14:15], v[14:15], 0, 2
	s_waitcnt vmcnt(0)
	v_cmp_ne_u16_e64 s[6:7], v20, v21
	s_or_b64 s[6:7], s[6:7], s[42:43]
	s_and_b64 s[6:7], exec, s[6:7]
	v_cmp_eq_u16_e32 vcc, v20, v21
	s_or_b64 s[38:39], s[6:7], s[38:39]
	s_andn2_b64 s[6:7], s[36:37], exec
	s_and_b64 s[36:37], vcc, exec
	s_or_b64 s[36:37], s[6:7], s[36:37]
	s_andn2_b64 exec, exec, s[38:39]
	s_cbranch_execnz .LBB717_90
; %bb.91:
	s_or_b64 exec, exec, s[38:39]
	v_mul_lo_u32 v18, v9, s30
	v_mul_lo_u32 v19, v8, s31
	v_mad_u64_u32 v[14:15], s[6:7], v8, s30, 0
	v_add3_u32 v15, v15, v19, v18
	v_lshl_add_u64 v[14:15], v[14:15], 1, s[20:21]
	s_mov_b64 s[40:41], 0
	s_mov_b64 s[42:43], s[18:19]
	v_mov_b64_e32 v[18:19], v[14:15]
                                        ; implicit-def: $sgpr38_sgpr39
.LBB717_92:                             ; =>This Inner Loop Header: Depth=1
	global_load_ushort v20, v[18:19], off
	global_load_ushort v21, v[16:17], off
	s_add_u32 s6, s42, -1
	s_addc_u32 s7, s43, -1
	s_cmp_eq_u64 s[42:43], 0
	s_mov_b64 s[42:43], s[6:7]
	s_cselect_b64 s[44:45], -1, 0
	v_lshl_add_u64 v[18:19], v[18:19], 0, 2
	v_lshl_add_u64 v[16:17], v[16:17], 0, 2
	s_waitcnt vmcnt(0)
	v_cmp_ne_u16_e64 s[6:7], v20, v21
	s_or_b64 s[6:7], s[6:7], s[44:45]
	s_and_b64 s[6:7], exec, s[6:7]
	v_cmp_eq_u16_e32 vcc, v20, v21
	s_or_b64 s[40:41], s[6:7], s[40:41]
	s_andn2_b64 s[6:7], s[38:39], exec
	s_and_b64 s[38:39], vcc, exec
	s_or_b64 s[38:39], s[6:7], s[38:39]
	s_andn2_b64 exec, exec, s[40:41]
	s_cbranch_execnz .LBB717_92
; %bb.93:
	s_or_b64 exec, exec, s[40:41]
	v_mul_lo_u32 v18, v7, s30
	v_mul_lo_u32 v19, v6, s31
	v_mad_u64_u32 v[16:17], s[6:7], v6, s30, 0
	v_add3_u32 v17, v17, v19, v18
	v_lshl_add_u64 v[16:17], v[16:17], 1, s[20:21]
	s_mov_b64 s[42:43], 0
                                        ; implicit-def: $sgpr40_sgpr41
.LBB717_94:                             ; =>This Inner Loop Header: Depth=1
	global_load_ushort v18, v[16:17], off
	global_load_ushort v19, v[14:15], off
	s_add_u32 s6, s18, -1
	s_addc_u32 s7, s19, -1
	s_cmp_eq_u64 s[18:19], 0
	s_mov_b64 s[18:19], s[6:7]
	s_cselect_b64 s[44:45], -1, 0
	v_lshl_add_u64 v[16:17], v[16:17], 0, 2
	v_lshl_add_u64 v[14:15], v[14:15], 0, 2
	s_waitcnt vmcnt(0)
	v_cmp_ne_u16_e64 s[6:7], v18, v19
	s_or_b64 s[6:7], s[6:7], s[44:45]
	s_and_b64 s[6:7], exec, s[6:7]
	v_cmp_eq_u16_e32 vcc, v18, v19
	s_or_b64 s[42:43], s[6:7], s[42:43]
	s_andn2_b64 s[6:7], s[40:41], exec
	s_and_b64 s[40:41], vcc, exec
	s_or_b64 s[40:41], s[6:7], s[40:41]
	s_andn2_b64 exec, exec, s[42:43]
	s_cbranch_execnz .LBB717_94
; %bb.95:
	s_or_b64 exec, exec, s[42:43]
	s_xor_b64 s[6:7], s[14:15], -1
	v_cndmask_b32_e64 v32, 0, 1, s[6:7]
	s_xor_b64 s[6:7], s[36:37], -1
	v_cndmask_b32_e64 v14, 0, 1, s[6:7]
	v_lshlrev_b16_e32 v14, 8, v14
	v_mov_b32_e32 v15, 8
	s_xor_b64 s[14:15], s[38:39], -1
	v_lshrrev_b32_sdwa v14, v15, v14 dst_sel:BYTE_1 dst_unused:UNUSED_PAD src0_sel:DWORD src1_sel:DWORD
	v_cndmask_b32_e64 v15, 0, 1, s[14:15]
	s_xor_b64 s[6:7], s[40:41], -1
	v_or_b32_sdwa v14, v15, v14 dst_sel:WORD_1 dst_unused:UNUSED_PAD src0_sel:DWORD src1_sel:DWORD
	s_branch .LBB717_98
.LBB717_96:
                                        ; implicit-def: $sgpr6_sgpr7
                                        ; implicit-def: $vgpr32
                                        ; implicit-def: $vgpr15
                                        ; implicit-def: $vgpr16
                                        ; implicit-def: $vgpr34
                                        ; implicit-def: $vgpr33
                                        ; implicit-def: $vgpr14
	s_cbranch_execnz .LBB717_105
	s_branch .LBB717_138
.LBB717_97:
	v_mov_b32_e32 v14, 0
	v_mov_b32_e32 v32, 0
.LBB717_98:
	v_lshrrev_b32_e32 v33, 16, v14
	v_lshrrev_b32_e32 v14, 24, v14
	v_cndmask_b32_e64 v34, 0, 1, s[6:7]
	v_mov_b32_e32 v16, 1
	v_cmp_ne_u32_e32 vcc, 0, v0
	s_waitcnt lgkmcnt(0)
	s_barrier
                                        ; implicit-def: $sgpr6_sgpr7
                                        ; implicit-def: $vgpr15
	s_and_saveexec_b64 s[14:15], vcc
	s_xor_b64 s[14:15], exec, s[14:15]
	s_cbranch_execz .LBB717_104
; %bb.99:
	v_lshlrev_b16_e32 v15, 8, v14
	s_movk_i32 s6, 0xff
	v_bitop3_b16 v15, v33, v15, s6 bitop3:0xec
	v_lshlrev_b16_e32 v17, 8, v34
	v_lshlrev_b32_e32 v15, 16, v15
	v_or_b32_e32 v17, 1, v17
	v_or_b32_sdwa v15, v17, v15 dst_sel:DWORD dst_unused:UNUSED_PAD src0_sel:WORD_0 src1_sel:DWORD
	s_mov_b32 s33, 0x3020104
	s_and_b64 vcc, exec, s[4:5]
	s_mov_b64 s[6:7], 0
	s_cbranch_vccnz .LBB717_103
; %bb.100:
	v_add_u32_e32 v17, -8, v23
	ds_read_b64 v[18:19], v17
	v_mul_lo_u32 v17, v7, s30
	v_mul_lo_u32 v24, v6, s31
	s_add_u32 s36, s30, -1
	s_addc_u32 s37, s31, -1
	s_waitcnt lgkmcnt(0)
	v_mul_lo_u32 v20, v19, s30
	v_mul_lo_u32 v21, v18, s31
	v_mad_u64_u32 v[18:19], s[4:5], v18, s30, 0
	v_add3_u32 v19, v19, v21, v20
	v_mad_u64_u32 v[20:21], s[4:5], v6, s30, 0
	v_add3_u32 v21, v21, v24, v17
	v_lshl_add_u64 v[18:19], v[18:19], 1, s[20:21]
	v_lshl_add_u64 v[20:21], v[20:21], 1, s[20:21]
                                        ; implicit-def: $sgpr18_sgpr19
.LBB717_101:                            ; =>This Inner Loop Header: Depth=1
	global_load_ushort v17, v[18:19], off
	global_load_ushort v24, v[20:21], off
	s_add_u32 s4, s36, -1
	s_addc_u32 s5, s37, -1
	s_cmp_eq_u64 s[36:37], 0
	s_mov_b64 s[36:37], s[4:5]
	s_cselect_b64 s[38:39], -1, 0
	v_lshl_add_u64 v[18:19], v[18:19], 0, 2
	v_lshl_add_u64 v[20:21], v[20:21], 0, 2
	s_waitcnt vmcnt(0)
	v_cmp_ne_u16_e64 s[4:5], v17, v24
	s_or_b64 s[4:5], s[4:5], s[38:39]
	s_and_b64 s[4:5], exec, s[4:5]
	v_cmp_eq_u16_e32 vcc, v17, v24
	s_or_b64 s[6:7], s[4:5], s[6:7]
	s_andn2_b64 s[4:5], s[18:19], exec
	s_and_b64 s[18:19], vcc, exec
	s_or_b64 s[18:19], s[4:5], s[18:19]
	s_andn2_b64 exec, exec, s[6:7]
	s_cbranch_execnz .LBB717_101
; %bb.102:
	s_or_b64 exec, exec, s[6:7]
	s_xor_b64 s[6:7], s[18:19], -1
.LBB717_103:
	v_perm_b32 v15, v15, v15, s33
	s_or_b64 s[10:11], s[10:11], exec
.LBB717_104:
	s_or_b64 exec, exec, s[14:15]
	s_branch .LBB717_138
.LBB717_105:
	v_add_u32_e32 v14, 4, v22
	v_cmp_gt_u32_e32 vcc, s3, v14
	s_mov_b64 s[6:7], 0
	s_mov_b64 s[14:15], 0
	s_and_saveexec_b64 s[18:19], vcc
	s_cbranch_execz .LBB717_111
; %bb.106:
	s_andn2_b64 vcc, exec, s[12:13]
	s_mov_b64 s[4:5], 0
	s_cbranch_vccnz .LBB717_110
; %bb.107:
	v_mul_lo_u32 v16, v5, s30
	v_mul_lo_u32 v17, v4, s31
	v_mad_u64_u32 v[14:15], s[4:5], v4, s30, 0
	v_add3_u32 v15, v15, v17, v16
	v_mul_lo_u32 v18, v13, s30
	v_mul_lo_u32 v19, v12, s31
	v_mad_u64_u32 v[16:17], s[4:5], v12, s30, 0
	v_add3_u32 v17, v17, v19, v18
	s_add_u32 s38, s30, -1
	v_lshl_add_u64 v[14:15], v[14:15], 1, s[20:21]
	v_lshl_add_u64 v[16:17], v[16:17], 1, s[20:21]
	s_addc_u32 s39, s31, -1
                                        ; implicit-def: $sgpr36_sgpr37
.LBB717_108:                            ; =>This Inner Loop Header: Depth=1
	global_load_ushort v18, v[14:15], off
	global_load_ushort v19, v[16:17], off
	s_add_u32 s4, s38, -1
	s_addc_u32 s5, s39, -1
	s_cmp_eq_u64 s[38:39], 0
	s_mov_b64 s[38:39], s[4:5]
	s_cselect_b64 s[40:41], -1, 0
	v_lshl_add_u64 v[14:15], v[14:15], 0, 2
	v_lshl_add_u64 v[16:17], v[16:17], 0, 2
	s_waitcnt vmcnt(0)
	v_cmp_ne_u16_e64 s[4:5], v18, v19
	s_or_b64 s[4:5], s[4:5], s[40:41]
	s_and_b64 s[4:5], exec, s[4:5]
	v_cmp_eq_u16_e32 vcc, v18, v19
	s_or_b64 s[14:15], s[4:5], s[14:15]
	s_andn2_b64 s[4:5], s[36:37], exec
	s_and_b64 s[36:37], vcc, exec
	s_or_b64 s[36:37], s[4:5], s[36:37]
	s_andn2_b64 exec, exec, s[14:15]
	s_cbranch_execnz .LBB717_108
; %bb.109:
	s_or_b64 exec, exec, s[14:15]
	s_xor_b64 s[4:5], s[36:37], -1
.LBB717_110:
	s_and_b64 s[14:15], s[4:5], exec
.LBB717_111:
	s_or_b64 exec, exec, s[18:19]
	v_add_u32_e32 v14, 3, v22
	v_cmp_gt_u32_e32 vcc, s3, v14
	s_and_saveexec_b64 s[18:19], vcc
	s_cbranch_execz .LBB717_117
; %bb.112:
	s_andn2_b64 vcc, exec, s[12:13]
	s_mov_b64 s[4:5], 0
	s_cbranch_vccnz .LBB717_116
; %bb.113:
	v_mul_lo_u32 v16, v3, s30
	v_mul_lo_u32 v17, v2, s31
	v_mad_u64_u32 v[14:15], s[4:5], v2, s30, 0
	v_add3_u32 v15, v15, v17, v16
	v_mul_lo_u32 v18, v5, s30
	v_mul_lo_u32 v19, v4, s31
	v_mad_u64_u32 v[16:17], s[4:5], v4, s30, 0
	v_add3_u32 v17, v17, v19, v18
	s_add_u32 s38, s30, -1
	v_lshl_add_u64 v[14:15], v[14:15], 1, s[20:21]
	v_lshl_add_u64 v[16:17], v[16:17], 1, s[20:21]
	s_addc_u32 s39, s31, -1
	s_mov_b64 s[6:7], 0
                                        ; implicit-def: $sgpr36_sgpr37
.LBB717_114:                            ; =>This Inner Loop Header: Depth=1
	global_load_ushort v18, v[14:15], off
	global_load_ushort v19, v[16:17], off
	s_add_u32 s4, s38, -1
	s_addc_u32 s5, s39, -1
	s_cmp_eq_u64 s[38:39], 0
	s_mov_b64 s[38:39], s[4:5]
	s_cselect_b64 s[40:41], -1, 0
	v_lshl_add_u64 v[14:15], v[14:15], 0, 2
	v_lshl_add_u64 v[16:17], v[16:17], 0, 2
	s_waitcnt vmcnt(0)
	v_cmp_ne_u16_e64 s[4:5], v18, v19
	s_or_b64 s[4:5], s[4:5], s[40:41]
	s_and_b64 s[4:5], exec, s[4:5]
	v_cmp_eq_u16_e32 vcc, v18, v19
	s_or_b64 s[6:7], s[4:5], s[6:7]
	s_andn2_b64 s[4:5], s[36:37], exec
	s_and_b64 s[36:37], vcc, exec
	s_or_b64 s[36:37], s[4:5], s[36:37]
	s_andn2_b64 exec, exec, s[6:7]
	s_cbranch_execnz .LBB717_114
; %bb.115:
	s_or_b64 exec, exec, s[6:7]
	s_xor_b64 s[4:5], s[36:37], -1
.LBB717_116:
	s_and_b64 s[6:7], s[4:5], exec
.LBB717_117:
	s_or_b64 exec, exec, s[18:19]
	v_add_u32_e32 v14, 2, v22
	v_cmp_gt_u32_e32 vcc, s3, v14
	s_mov_b64 s[18:19], 0
	s_mov_b64 s[36:37], 0
	s_and_saveexec_b64 s[38:39], vcc
	s_cbranch_execz .LBB717_123
; %bb.118:
	s_andn2_b64 vcc, exec, s[12:13]
	s_mov_b64 s[4:5], 0
	s_cbranch_vccnz .LBB717_122
; %bb.119:
	v_mul_lo_u32 v16, v9, s30
	v_mul_lo_u32 v17, v8, s31
	v_mad_u64_u32 v[14:15], s[4:5], v8, s30, 0
	v_add3_u32 v15, v15, v17, v16
	v_mul_lo_u32 v18, v3, s30
	v_mul_lo_u32 v19, v2, s31
	v_mad_u64_u32 v[16:17], s[4:5], v2, s30, 0
	v_add3_u32 v17, v17, v19, v18
	s_add_u32 s42, s30, -1
	v_lshl_add_u64 v[14:15], v[14:15], 1, s[20:21]
	v_lshl_add_u64 v[16:17], v[16:17], 1, s[20:21]
	s_addc_u32 s43, s31, -1
                                        ; implicit-def: $sgpr40_sgpr41
.LBB717_120:                            ; =>This Inner Loop Header: Depth=1
	global_load_ushort v18, v[14:15], off
	global_load_ushort v19, v[16:17], off
	s_add_u32 s4, s42, -1
	s_addc_u32 s5, s43, -1
	s_cmp_eq_u64 s[42:43], 0
	s_mov_b64 s[42:43], s[4:5]
	s_cselect_b64 s[44:45], -1, 0
	v_lshl_add_u64 v[14:15], v[14:15], 0, 2
	v_lshl_add_u64 v[16:17], v[16:17], 0, 2
	s_waitcnt vmcnt(0)
	v_cmp_ne_u16_e64 s[4:5], v18, v19
	s_or_b64 s[4:5], s[4:5], s[44:45]
	s_and_b64 s[4:5], exec, s[4:5]
	v_cmp_eq_u16_e32 vcc, v18, v19
	s_or_b64 s[36:37], s[4:5], s[36:37]
	s_andn2_b64 s[4:5], s[40:41], exec
	s_and_b64 s[40:41], vcc, exec
	s_or_b64 s[40:41], s[4:5], s[40:41]
	s_andn2_b64 exec, exec, s[36:37]
	s_cbranch_execnz .LBB717_120
; %bb.121:
	s_or_b64 exec, exec, s[36:37]
	s_xor_b64 s[4:5], s[40:41], -1
.LBB717_122:
	s_and_b64 s[36:37], s[4:5], exec
.LBB717_123:
	s_or_b64 exec, exec, s[38:39]
	v_add_u32_e32 v14, 1, v22
	v_cmp_gt_u32_e32 vcc, s3, v14
	s_and_saveexec_b64 s[38:39], vcc
	s_cbranch_execz .LBB717_129
; %bb.124:
	s_andn2_b64 vcc, exec, s[12:13]
	s_mov_b64 s[4:5], 0
	s_cbranch_vccnz .LBB717_128
; %bb.125:
	v_mul_lo_u32 v16, v7, s30
	v_mul_lo_u32 v17, v6, s31
	v_mad_u64_u32 v[14:15], s[4:5], v6, s30, 0
	v_add3_u32 v15, v15, v17, v16
	v_mul_lo_u32 v18, v9, s30
	v_mul_lo_u32 v19, v8, s31
	v_mad_u64_u32 v[16:17], s[4:5], v8, s30, 0
	v_add3_u32 v17, v17, v19, v18
	s_add_u32 s42, s30, -1
	v_lshl_add_u64 v[14:15], v[14:15], 1, s[20:21]
	v_lshl_add_u64 v[16:17], v[16:17], 1, s[20:21]
	s_addc_u32 s43, s31, -1
	s_mov_b64 s[18:19], 0
                                        ; implicit-def: $sgpr40_sgpr41
.LBB717_126:                            ; =>This Inner Loop Header: Depth=1
	global_load_ushort v18, v[14:15], off
	global_load_ushort v19, v[16:17], off
	s_add_u32 s4, s42, -1
	s_addc_u32 s5, s43, -1
	s_cmp_eq_u64 s[42:43], 0
	s_mov_b64 s[42:43], s[4:5]
	s_cselect_b64 s[44:45], -1, 0
	v_lshl_add_u64 v[14:15], v[14:15], 0, 2
	v_lshl_add_u64 v[16:17], v[16:17], 0, 2
	s_waitcnt vmcnt(0)
	v_cmp_ne_u16_e64 s[4:5], v18, v19
	s_or_b64 s[4:5], s[4:5], s[44:45]
	s_and_b64 s[4:5], exec, s[4:5]
	v_cmp_eq_u16_e32 vcc, v18, v19
	s_or_b64 s[18:19], s[4:5], s[18:19]
	s_andn2_b64 s[4:5], s[40:41], exec
	s_and_b64 s[40:41], vcc, exec
	s_or_b64 s[40:41], s[4:5], s[40:41]
	s_andn2_b64 exec, exec, s[18:19]
	s_cbranch_execnz .LBB717_126
; %bb.127:
	s_or_b64 exec, exec, s[18:19]
	s_xor_b64 s[4:5], s[40:41], -1
.LBB717_128:
	s_and_b64 s[18:19], s[4:5], exec
.LBB717_129:
	s_or_b64 exec, exec, s[38:39]
	v_cndmask_b32_e64 v32, 0, 1, s[14:15]
	v_cndmask_b32_e64 v33, 0, 1, s[36:37]
	;; [unrolled: 1-line block ×4, first 2 shown]
	v_mov_b32_e32 v16, 1
	v_cmp_ne_u32_e32 vcc, 0, v0
	s_waitcnt lgkmcnt(0)
	s_barrier
                                        ; implicit-def: $sgpr6_sgpr7
                                        ; implicit-def: $vgpr15
	s_and_saveexec_b64 s[14:15], vcc
	s_cbranch_execz .LBB717_137
; %bb.130:
	v_lshlrev_b16_e32 v15, 8, v34
	v_lshlrev_b16_e32 v17, 8, v14
	v_or_b32_e32 v15, 1, v15
	v_or_b32_sdwa v17, v33, v17 dst_sel:WORD_1 dst_unused:UNUSED_PAD src0_sel:DWORD src1_sel:DWORD
	v_cmp_gt_u32_e32 vcc, s3, v22
	v_or_b32_sdwa v15, v15, v17 dst_sel:DWORD dst_unused:UNUSED_PAD src0_sel:WORD_0 src1_sel:DWORD
	s_mov_b32 s33, 0x3020104
	s_mov_b64 s[6:7], 0
	s_and_saveexec_b64 s[18:19], vcc
	s_cbranch_execz .LBB717_136
; %bb.131:
	s_andn2_b64 vcc, exec, s[12:13]
	s_mov_b64 s[4:5], 0
	s_cbranch_vccnz .LBB717_135
; %bb.132:
	v_add_u32_e32 v17, -8, v23
	ds_read_b64 v[18:19], v17
	v_mul_lo_u32 v17, v7, s30
	v_mul_lo_u32 v23, v6, s31
                                        ; implicit-def: $sgpr12_sgpr13
	s_waitcnt lgkmcnt(0)
	v_mul_lo_u32 v20, v19, s30
	v_mul_lo_u32 v21, v18, s31
	v_mad_u64_u32 v[18:19], s[4:5], v18, s30, 0
	v_add3_u32 v19, v19, v21, v20
	v_mad_u64_u32 v[20:21], s[4:5], v6, s30, 0
	v_add3_u32 v21, v21, v23, v17
	v_lshl_add_u64 v[18:19], v[18:19], 1, s[20:21]
	v_lshl_add_u64 v[20:21], v[20:21], 1, s[20:21]
	s_add_u32 s20, s30, -1
	s_addc_u32 s21, s31, -1
.LBB717_133:                            ; =>This Inner Loop Header: Depth=1
	global_load_ushort v17, v[18:19], off
	global_load_ushort v23, v[20:21], off
	s_add_u32 s4, s20, -1
	s_addc_u32 s5, s21, -1
	s_cmp_eq_u64 s[20:21], 0
	s_mov_b64 s[20:21], s[4:5]
	s_cselect_b64 s[30:31], -1, 0
	v_lshl_add_u64 v[18:19], v[18:19], 0, 2
	v_lshl_add_u64 v[20:21], v[20:21], 0, 2
	s_waitcnt vmcnt(0)
	v_cmp_ne_u16_e64 s[4:5], v17, v23
	s_or_b64 s[4:5], s[4:5], s[30:31]
	s_and_b64 s[4:5], exec, s[4:5]
	v_cmp_eq_u16_e32 vcc, v17, v23
	s_or_b64 s[6:7], s[4:5], s[6:7]
	s_andn2_b64 s[4:5], s[12:13], exec
	s_and_b64 s[12:13], vcc, exec
	s_or_b64 s[12:13], s[4:5], s[12:13]
	s_andn2_b64 exec, exec, s[6:7]
	s_cbranch_execnz .LBB717_133
; %bb.134:
	s_or_b64 exec, exec, s[6:7]
	s_xor_b64 s[4:5], s[12:13], -1
.LBB717_135:
	s_and_b64 s[6:7], s[4:5], exec
.LBB717_136:
	s_or_b64 exec, exec, s[18:19]
	v_perm_b32 v15, v15, v15, s33
	s_or_b64 s[10:11], s[10:11], exec
.LBB717_137:
	s_or_b64 exec, exec, s[14:15]
.LBB717_138:
	s_and_saveexec_b64 s[4:5], s[10:11]
; %bb.139:
	v_lshrrev_b32_e32 v14, 24, v15
	v_lshrrev_b32_e32 v33, 16, v15
	v_lshrrev_b32_e32 v34, 8, v15
	v_cndmask_b32_e64 v16, 0, 1, s[6:7]
; %bb.140:
	s_or_b64 exec, exec, s[4:5]
	s_andn2_b64 vcc, exec, s[8:9]
	s_cbranch_vccnz .LBB717_144
; %bb.141:
	s_mov_b32 s4, 0xc0c0004
	v_perm_b32 v14, v33, v14, s4
	v_perm_b32 v15, v16, v34, s4
	v_lshlrev_b32_e32 v14, 16, v14
	v_or_b32_e32 v15, v15, v14
	v_cmp_gt_u32_e32 vcc, s3, v22
	v_add_u32_e32 v16, 1, v22
	s_mov_b32 s4, 0x40c0100
	v_cndmask_b32_e32 v14, v14, v15, vcc
	v_and_b32_e32 v14, 0xffff00ff, v14
	v_cmp_gt_u32_e32 vcc, s3, v16
	v_add_u32_e32 v16, 2, v22
	v_and_b32_e32 v32, 0xff, v32
	v_cndmask_b32_e32 v14, v14, v15, vcc
	v_lshrrev_b32_e32 v18, 24, v14
	v_perm_b32 v14, v18, v14, s4
	v_cmp_gt_u32_e32 vcc, s3, v16
	v_add_u32_e32 v16, 3, v22
	v_and_b32_e32 v17, 0xffff, v32
	v_cndmask_b32_e32 v14, v14, v15, vcc
	v_and_b32_e32 v14, 0xffffff, v14
	v_cmp_gt_u32_e32 vcc, s3, v16
	s_nop 1
	v_cndmask_b32_e32 v16, v14, v15, vcc
	v_lshrrev_b64 v[14:15], 24, v[16:17]
	v_add_u32_e32 v15, 4, v22
	v_lshrrev_b32_e32 v33, 16, v16
	v_lshrrev_b32_e32 v34, 8, v16
	v_cmp_le_u32_e32 vcc, s3, v15
	s_and_saveexec_b64 s[4:5], vcc
; %bb.142:
	v_mov_b32_e32 v32, 0
; %bb.143:
	s_or_b64 exec, exec, s[4:5]
.LBB717_144:
	v_and_b32_e32 v15, 0xff, v16
	v_and_b32_e32 v17, 0xff, v34
	;; [unrolled: 1-line block ×5, first 2 shown]
	v_add3_u32 v19, v17, v15, v29
	v_add3_u32 v37, v19, v31, v18
	v_mbcnt_lo_u32_b32 v18, -1, 0
	v_mbcnt_hi_u32_b32 v35, -1, v18
	v_and_b32_e32 v18, 15, v35
	v_cmp_eq_u32_e64 s[14:15], 0, v18
	v_cmp_lt_u32_e64 s[12:13], 1, v18
	v_cmp_lt_u32_e64 s[10:11], 3, v18
	;; [unrolled: 1-line block ×3, first 2 shown]
	v_and_b32_e32 v18, 16, v35
	v_cmp_eq_u32_e64 s[6:7], 0, v18
	v_or_b32_e32 v18, 63, v0
	v_cmp_lt_u32_e64 s[18:19], 31, v35
	v_lshrrev_b32_e32 v36, 6, v0
	v_cmp_eq_u32_e64 s[4:5], v0, v18
	s_and_b64 vcc, exec, s[16:17]
	s_waitcnt lgkmcnt(0)
	s_barrier
	s_cbranch_vccz .LBB717_166
; %bb.145:
	v_mov_b32_dpp v18, v37 row_shr:1 row_mask:0xf bank_mask:0xf
	v_cndmask_b32_e64 v18, v18, 0, s[14:15]
	v_add_u32_e32 v18, v18, v37
	s_nop 1
	v_mov_b32_dpp v19, v18 row_shr:2 row_mask:0xf bank_mask:0xf
	v_cndmask_b32_e64 v19, 0, v19, s[12:13]
	v_add_u32_e32 v18, v18, v19
	s_nop 1
	;; [unrolled: 4-line block ×4, first 2 shown]
	v_mov_b32_dpp v19, v18 row_bcast:15 row_mask:0xf bank_mask:0xf
	v_cndmask_b32_e64 v19, v19, 0, s[6:7]
	v_add_u32_e32 v18, v18, v19
	s_nop 1
	v_mov_b32_dpp v19, v18 row_bcast:31 row_mask:0xf bank_mask:0xf
	v_cndmask_b32_e64 v19, 0, v19, s[18:19]
	v_add_u32_e32 v18, v18, v19
	s_and_saveexec_b64 s[16:17], s[4:5]
; %bb.146:
	v_lshlrev_b32_e32 v19, 2, v36
	ds_write_b32 v19, v18
; %bb.147:
	s_or_b64 exec, exec, s[16:17]
	v_cmp_gt_u32_e32 vcc, 2, v0
	s_waitcnt lgkmcnt(0)
	s_barrier
	s_and_saveexec_b64 s[16:17], vcc
	s_cbranch_execz .LBB717_149
; %bb.148:
	v_lshlrev_b32_e32 v19, 2, v0
	ds_read_b32 v20, v19
	v_bfe_i32 v21, v35, 0, 1
	s_waitcnt lgkmcnt(0)
	v_mov_b32_dpp v22, v20 row_shr:1 row_mask:0xf bank_mask:0xf
	v_and_b32_e32 v21, v21, v22
	v_add_u32_e32 v20, v21, v20
	ds_write_b32 v19, v20
.LBB717_149:
	s_or_b64 exec, exec, s[16:17]
	v_cmp_gt_u32_e32 vcc, 64, v0
	v_cmp_lt_u32_e64 s[16:17], 63, v0
	s_waitcnt lgkmcnt(0)
	s_barrier
                                        ; implicit-def: $vgpr28
	s_and_saveexec_b64 s[20:21], s[16:17]
	s_cbranch_execz .LBB717_151
; %bb.150:
	v_lshl_add_u32 v19, v36, 2, -4
	ds_read_b32 v28, v19
	s_waitcnt lgkmcnt(0)
	v_add_u32_e32 v18, v28, v18
.LBB717_151:
	s_or_b64 exec, exec, s[20:21]
	v_subrev_co_u32_e64 v19, s[16:17], 1, v35
	v_and_b32_e32 v20, 64, v35
	v_cmp_lt_i32_e64 s[20:21], v19, v20
	s_nop 1
	v_cndmask_b32_e64 v19, v19, v35, s[20:21]
	v_lshlrev_b32_e32 v19, 2, v19
	ds_bpermute_b32 v30, v19, v18
	s_and_saveexec_b64 s[20:21], vcc
	s_cbranch_execz .LBB717_171
; %bb.152:
	v_mov_b32_e32 v25, 0
	ds_read_b32 v18, v25 offset:4
	s_and_saveexec_b64 s[30:31], s[16:17]
	s_cbranch_execz .LBB717_154
; %bb.153:
	s_add_i32 s36, s2, 64
	s_mov_b32 s37, 0
	s_lshl_b64 s[36:37], s[36:37], 3
	s_add_u32 s36, s22, s36
	v_mov_b32_e32 v19, 1
	s_addc_u32 s37, s23, s37
	s_waitcnt lgkmcnt(0)
	global_store_dwordx2 v25, v[18:19], s[36:37] sc1
.LBB717_154:
	s_or_b64 exec, exec, s[30:31]
	v_xad_u32 v20, v35, -1, s2
	v_add_u32_e32 v24, 64, v20
	v_lshl_add_u64 v[26:27], v[24:25], 3, s[22:23]
	global_load_dwordx2 v[22:23], v[26:27], off sc1
	s_waitcnt vmcnt(0)
	v_cmp_eq_u16_sdwa s[36:37], v23, v25 src0_sel:BYTE_0 src1_sel:DWORD
	s_and_saveexec_b64 s[30:31], s[36:37]
	s_cbranch_execz .LBB717_158
; %bb.155:
	s_mov_b64 s[36:37], 0
	v_mov_b32_e32 v19, 0
.LBB717_156:                            ; =>This Inner Loop Header: Depth=1
	global_load_dwordx2 v[22:23], v[26:27], off sc1
	s_waitcnt vmcnt(0)
	v_cmp_ne_u16_sdwa s[38:39], v23, v19 src0_sel:BYTE_0 src1_sel:DWORD
	s_or_b64 s[36:37], s[38:39], s[36:37]
	s_andn2_b64 exec, exec, s[36:37]
	s_cbranch_execnz .LBB717_156
; %bb.157:
	s_or_b64 exec, exec, s[36:37]
.LBB717_158:
	s_or_b64 exec, exec, s[30:31]
	v_and_b32_e32 v39, 63, v35
	v_mov_b32_e32 v38, 2
	v_cmp_ne_u32_e32 vcc, 63, v39
	v_cmp_eq_u16_sdwa s[30:31], v23, v38 src0_sel:BYTE_0 src1_sel:DWORD
	v_lshlrev_b64 v[24:25], v35, -1
	v_addc_co_u32_e32 v26, vcc, 0, v35, vcc
	v_and_b32_e32 v19, s31, v25
	v_lshlrev_b32_e32 v40, 2, v26
	v_or_b32_e32 v19, 0x80000000, v19
	ds_bpermute_b32 v26, v40, v22
	v_and_b32_e32 v21, s30, v24
	v_ffbl_b32_e32 v19, v19
	v_add_u32_e32 v19, 32, v19
	v_ffbl_b32_e32 v21, v21
	v_min_u32_e32 v19, v21, v19
	v_cmp_lt_u32_e32 vcc, v39, v19
	v_add_u32_e32 v42, 2, v39
	v_add_u32_e32 v44, 4, v39
	s_waitcnt lgkmcnt(0)
	v_cndmask_b32_e32 v21, 0, v26, vcc
	v_cmp_gt_u32_e32 vcc, 62, v39
	v_add_u32_e32 v21, v21, v22
	v_add_u32_e32 v46, 8, v39
	v_cndmask_b32_e64 v22, 0, 2, vcc
	v_add_lshl_u32 v41, v22, v35, 2
	ds_bpermute_b32 v22, v41, v21
	v_cmp_le_u32_e32 vcc, v42, v19
	v_add_u32_e32 v48, 16, v39
	v_add_u32_e32 v50, 32, v39
	s_waitcnt lgkmcnt(0)
	v_cndmask_b32_e32 v22, 0, v22, vcc
	v_cmp_gt_u32_e32 vcc, 60, v39
	v_add_u32_e32 v21, v21, v22
	s_nop 0
	v_cndmask_b32_e64 v22, 0, 4, vcc
	v_add_lshl_u32 v43, v22, v35, 2
	ds_bpermute_b32 v22, v43, v21
	v_cmp_le_u32_e32 vcc, v44, v19
	s_waitcnt lgkmcnt(0)
	s_nop 0
	v_cndmask_b32_e32 v22, 0, v22, vcc
	v_cmp_gt_u32_e32 vcc, 56, v39
	v_add_u32_e32 v21, v21, v22
	s_nop 0
	v_cndmask_b32_e64 v22, 0, 8, vcc
	v_add_lshl_u32 v45, v22, v35, 2
	ds_bpermute_b32 v22, v45, v21
	v_cmp_le_u32_e32 vcc, v46, v19
	s_waitcnt lgkmcnt(0)
	s_nop 0
	;; [unrolled: 10-line block ×3, first 2 shown]
	v_cndmask_b32_e32 v22, 0, v22, vcc
	v_add_u32_e32 v21, v21, v22
	v_mov_b32_e32 v22, 0x80
	v_lshl_or_b32 v49, v35, 2, v22
	ds_bpermute_b32 v22, v49, v21
	v_cmp_le_u32_e32 vcc, v50, v19
	s_waitcnt lgkmcnt(0)
	s_nop 0
	v_cndmask_b32_e32 v19, 0, v22, vcc
	v_add_u32_e32 v22, v21, v19
	v_mov_b32_e32 v21, 0
	s_branch .LBB717_161
.LBB717_159:                            ;   in Loop: Header=BB717_161 Depth=1
	s_or_b64 exec, exec, s[30:31]
	v_cmp_eq_u16_sdwa s[30:31], v23, v38 src0_sel:BYTE_0 src1_sel:DWORD
	ds_bpermute_b32 v51, v40, v22
	v_subrev_u32_e32 v20, 64, v20
	v_and_b32_e32 v26, s31, v25
	v_or_b32_e32 v26, 0x80000000, v26
	v_and_b32_e32 v27, s30, v24
	v_ffbl_b32_e32 v26, v26
	v_add_u32_e32 v26, 32, v26
	v_ffbl_b32_e32 v27, v27
	v_min_u32_e32 v26, v27, v26
	v_cmp_lt_u32_e32 vcc, v39, v26
	s_mov_b64 s[30:31], 0
	s_waitcnt lgkmcnt(0)
	v_cndmask_b32_e32 v27, 0, v51, vcc
	v_add_u32_e32 v22, v27, v22
	ds_bpermute_b32 v27, v41, v22
	v_cmp_le_u32_e32 vcc, v42, v26
	s_waitcnt lgkmcnt(0)
	s_nop 0
	v_cndmask_b32_e32 v27, 0, v27, vcc
	v_add_u32_e32 v22, v22, v27
	ds_bpermute_b32 v27, v43, v22
	v_cmp_le_u32_e32 vcc, v44, v26
	s_waitcnt lgkmcnt(0)
	s_nop 0
	;; [unrolled: 6-line block ×5, first 2 shown]
	v_cndmask_b32_e32 v26, 0, v27, vcc
	v_add3_u32 v22, v26, v19, v22
.LBB717_160:                            ;   in Loop: Header=BB717_161 Depth=1
	s_and_b64 vcc, exec, s[30:31]
	s_cbranch_vccnz .LBB717_167
.LBB717_161:                            ; =>This Loop Header: Depth=1
                                        ;     Child Loop BB717_164 Depth 2
	v_cmp_ne_u16_sdwa s[30:31], v23, v38 src0_sel:BYTE_0 src1_sel:DWORD
	v_mov_b32_e32 v19, v22
	s_cmp_lg_u64 s[30:31], exec
	s_mov_b64 s[30:31], -1
                                        ; implicit-def: $vgpr22
                                        ; implicit-def: $vgpr23
	s_cbranch_scc1 .LBB717_160
; %bb.162:                              ;   in Loop: Header=BB717_161 Depth=1
	v_lshl_add_u64 v[26:27], v[20:21], 3, s[22:23]
	global_load_dwordx2 v[22:23], v[26:27], off sc1
	s_waitcnt vmcnt(0)
	v_cmp_eq_u16_sdwa s[36:37], v23, v21 src0_sel:BYTE_0 src1_sel:DWORD
	s_and_saveexec_b64 s[30:31], s[36:37]
	s_cbranch_execz .LBB717_159
; %bb.163:                              ;   in Loop: Header=BB717_161 Depth=1
	s_mov_b64 s[36:37], 0
.LBB717_164:                            ;   Parent Loop BB717_161 Depth=1
                                        ; =>  This Inner Loop Header: Depth=2
	global_load_dwordx2 v[22:23], v[26:27], off sc1
	s_waitcnt vmcnt(0)
	v_cmp_ne_u16_sdwa s[38:39], v23, v21 src0_sel:BYTE_0 src1_sel:DWORD
	s_or_b64 s[36:37], s[38:39], s[36:37]
	s_andn2_b64 exec, exec, s[36:37]
	s_cbranch_execnz .LBB717_164
; %bb.165:                              ;   in Loop: Header=BB717_161 Depth=1
	s_or_b64 exec, exec, s[36:37]
	s_branch .LBB717_159
.LBB717_166:
                                        ; implicit-def: $vgpr22
                                        ; implicit-def: $vgpr24
                                        ; implicit-def: $vgpr26
                                        ; implicit-def: $vgpr28
                                        ; implicit-def: $vgpr30
                                        ; implicit-def: $vgpr20
                                        ; implicit-def: $vgpr18
	s_cbranch_execnz .LBB717_172
	s_branch .LBB717_181
.LBB717_167:
	s_and_saveexec_b64 s[30:31], s[16:17]
	s_cbranch_execz .LBB717_169
; %bb.168:
	s_add_i32 s2, s2, 64
	s_mov_b32 s3, 0
	s_lshl_b64 s[2:3], s[2:3], 3
	s_add_u32 s2, s22, s2
	v_add_u32_e32 v20, v19, v18
	v_mov_b32_e32 v21, 2
	s_addc_u32 s3, s23, s3
	v_mov_b32_e32 v22, 0
	global_store_dwordx2 v22, v[20:21], s[2:3] sc1
	ds_write_b64 v22, v[18:19] offset:5120
.LBB717_169:
	s_or_b64 exec, exec, s[30:31]
	v_cmp_eq_u32_e32 vcc, 0, v0
	s_and_b64 exec, exec, vcc
; %bb.170:
	v_mov_b32_e32 v18, 0
	ds_write_b32 v18, v19 offset:4
.LBB717_171:
	s_or_b64 exec, exec, s[20:21]
	v_mov_b32_e32 v18, 0
	s_waitcnt lgkmcnt(0)
	s_barrier
	ds_read_b32 v19, v18 offset:4
	v_cndmask_b32_e64 v20, v30, v28, s[16:17]
	v_cmp_ne_u32_e32 vcc, 0, v0
	s_waitcnt lgkmcnt(0)
	s_barrier
	v_cndmask_b32_e32 v20, 0, v20, vcc
	v_add_u32_e32 v30, v19, v20
	ds_read_b64 v[18:19], v18 offset:5120
	v_add_u32_e32 v28, v30, v15
	v_add_u32_e32 v26, v28, v17
	;; [unrolled: 1-line block ×4, first 2 shown]
	s_waitcnt lgkmcnt(0)
	v_mov_b32_e32 v20, v19
	s_branch .LBB717_181
.LBB717_172:
	v_mov_b32_dpp v18, v37 row_shr:1 row_mask:0xf bank_mask:0xf
	v_cndmask_b32_e64 v18, v18, 0, s[14:15]
	v_add_u32_e32 v18, v18, v37
	s_nop 1
	v_mov_b32_dpp v19, v18 row_shr:2 row_mask:0xf bank_mask:0xf
	v_cndmask_b32_e64 v19, 0, v19, s[12:13]
	v_add_u32_e32 v18, v18, v19
	s_nop 1
	;; [unrolled: 4-line block ×4, first 2 shown]
	v_mov_b32_dpp v19, v18 row_bcast:15 row_mask:0xf bank_mask:0xf
	v_cndmask_b32_e64 v19, v19, 0, s[6:7]
	v_add_u32_e32 v18, v18, v19
	s_nop 1
	v_mov_b32_dpp v19, v18 row_bcast:31 row_mask:0xf bank_mask:0xf
	v_cndmask_b32_e64 v19, 0, v19, s[18:19]
	v_add_u32_e32 v18, v18, v19
	s_and_saveexec_b64 s[2:3], s[4:5]
; %bb.173:
	v_lshlrev_b32_e32 v19, 2, v36
	ds_write_b32 v19, v18
; %bb.174:
	s_or_b64 exec, exec, s[2:3]
	v_cmp_gt_u32_e32 vcc, 2, v0
	s_waitcnt lgkmcnt(0)
	s_barrier
	s_and_saveexec_b64 s[2:3], vcc
	s_cbranch_execz .LBB717_176
; %bb.175:
	v_lshlrev_b32_e32 v19, 2, v0
	ds_read_b32 v20, v19
	v_bfe_i32 v21, v35, 0, 1
	s_waitcnt lgkmcnt(0)
	v_mov_b32_dpp v22, v20 row_shr:1 row_mask:0xf bank_mask:0xf
	v_and_b32_e32 v21, v21, v22
	v_add_u32_e32 v20, v21, v20
	ds_write_b32 v19, v20
.LBB717_176:
	s_or_b64 exec, exec, s[2:3]
	v_cmp_lt_u32_e32 vcc, 63, v0
	v_mov_b32_e32 v19, 0
	v_mov_b32_e32 v20, 0
	s_waitcnt lgkmcnt(0)
	s_barrier
	s_and_saveexec_b64 s[2:3], vcc
; %bb.177:
	v_lshl_add_u32 v20, v36, 2, -4
	ds_read_b32 v20, v20
; %bb.178:
	s_or_b64 exec, exec, s[2:3]
	v_subrev_co_u32_e32 v21, vcc, 1, v35
	v_and_b32_e32 v22, 64, v35
	v_cmp_lt_i32_e64 s[2:3], v21, v22
	s_waitcnt lgkmcnt(0)
	v_add_u32_e32 v18, v20, v18
	v_cndmask_b32_e64 v21, v21, v35, s[2:3]
	v_lshlrev_b32_e32 v21, 2, v21
	ds_bpermute_b32 v21, v21, v18
	ds_read_b32 v18, v19 offset:4
	v_cmp_eq_u32_e64 s[2:3], 0, v0
	s_and_saveexec_b64 s[4:5], s[2:3]
	s_cbranch_execz .LBB717_180
; %bb.179:
	v_mov_b32_e32 v22, 0
	v_mov_b32_e32 v19, 2
	s_waitcnt lgkmcnt(0)
	global_store_dwordx2 v22, v[18:19], s[22:23] offset:512 sc1
.LBB717_180:
	s_or_b64 exec, exec, s[4:5]
	s_waitcnt lgkmcnt(1)
	v_cndmask_b32_e32 v19, v21, v20, vcc
	v_cndmask_b32_e64 v30, v19, 0, s[2:3]
	v_add_u32_e32 v28, v30, v15
	v_add_u32_e32 v26, v28, v17
	v_add_u32_e32 v24, v26, v29
	v_add_u32_e32 v22, v24, v31
	s_waitcnt lgkmcnt(0)
	s_barrier
	v_mov_b32_e32 v20, 0
.LBB717_181:
	s_load_dwordx4 s[8:11], s[0:1], 0x28
	s_movk_i32 s0, 0x81
	v_cmp_gt_u32_e64 s[0:1], s0, v18
	v_add_u32_e32 v17, v20, v18
	v_and_b32_e32 v15, 1, v16
	s_mov_b64 s[6:7], -1
	s_and_b64 vcc, exec, s[0:1]
	v_cmp_lt_u32_e64 s[2:3], v30, v17
	v_cmp_eq_u32_e64 s[4:5], 1, v15
	s_cbranch_vccz .LBB717_193
; %bb.182:
	s_or_b64 s[2:3], s[34:35], s[2:3]
	s_and_b64 s[4:5], s[2:3], s[4:5]
	s_and_saveexec_b64 s[2:3], s[4:5]
	s_cbranch_execz .LBB717_184
; %bb.183:
	s_lshl_b64 s[4:5], s[26:27], 3
	s_waitcnt lgkmcnt(0)
	s_add_u32 s4, s8, s4
	s_addc_u32 s5, s9, s5
	v_mov_b32_e32 v31, 0
	v_lshl_add_u64 v[36:37], v[30:31], 3, s[4:5]
	global_store_dwordx2 v[36:37], v[6:7], off
.LBB717_184:
	s_or_b64 exec, exec, s[2:3]
	v_cmp_lt_u32_e32 vcc, v28, v17
	v_and_b32_e32 v16, 1, v34
	s_or_b64 s[2:3], s[34:35], vcc
	v_cmp_eq_u32_e32 vcc, 1, v16
	s_and_b64 s[4:5], s[2:3], vcc
	s_and_saveexec_b64 s[2:3], s[4:5]
	s_cbranch_execz .LBB717_186
; %bb.185:
	s_lshl_b64 s[4:5], s[26:27], 3
	s_waitcnt lgkmcnt(0)
	s_add_u32 s4, s8, s4
	s_addc_u32 s5, s9, s5
	v_mov_b32_e32 v29, 0
	v_lshl_add_u64 v[36:37], v[28:29], 3, s[4:5]
	global_store_dwordx2 v[36:37], v[8:9], off
.LBB717_186:
	s_or_b64 exec, exec, s[2:3]
	v_cmp_lt_u32_e32 vcc, v26, v17
	v_and_b32_e32 v16, 1, v33
	s_or_b64 s[2:3], s[34:35], vcc
	v_cmp_eq_u32_e32 vcc, 1, v16
	s_and_b64 s[4:5], s[2:3], vcc
	;; [unrolled: 17-line block ×4, first 2 shown]
	s_and_saveexec_b64 s[2:3], s[4:5]
	s_cbranch_execz .LBB717_192
; %bb.191:
	s_lshl_b64 s[4:5], s[26:27], 3
	s_waitcnt lgkmcnt(0)
	s_add_u32 s4, s8, s4
	s_addc_u32 s5, s9, s5
	v_mov_b32_e32 v23, 0
	v_lshl_add_u64 v[36:37], v[22:23], 3, s[4:5]
	global_store_dwordx2 v[36:37], v[12:13], off
.LBB717_192:
	s_or_b64 exec, exec, s[2:3]
	s_mov_b64 s[6:7], 0
.LBB717_193:
	s_and_b64 vcc, exec, s[6:7]
	s_cbranch_vccz .LBB717_207
; %bb.194:
	v_cmp_eq_u32_e32 vcc, 1, v15
	s_and_saveexec_b64 s[2:3], vcc
; %bb.195:
	v_sub_u32_e32 v16, v30, v20
	v_lshlrev_b32_e32 v16, 3, v16
	ds_write_b64 v16, v[6:7]
; %bb.196:
	s_or_b64 exec, exec, s[2:3]
	v_and_b32_e32 v6, 1, v34
	v_cmp_eq_u32_e32 vcc, 1, v6
	s_and_saveexec_b64 s[2:3], vcc
; %bb.197:
	v_sub_u32_e32 v6, v28, v20
	v_lshlrev_b32_e32 v6, 3, v6
	ds_write_b64 v6, v[8:9]
; %bb.198:
	s_or_b64 exec, exec, s[2:3]
	v_and_b32_e32 v6, 1, v33
	;; [unrolled: 9-line block ×4, first 2 shown]
	v_cmp_eq_u32_e32 vcc, 1, v2
	s_and_saveexec_b64 s[2:3], vcc
; %bb.203:
	v_sub_u32_e32 v2, v22, v20
	v_lshlrev_b32_e32 v2, 3, v2
	ds_write_b64 v2, v[12:13]
; %bb.204:
	s_or_b64 exec, exec, s[2:3]
	v_mov_b32_e32 v3, 0
	v_mov_b32_e32 v21, v3
	v_lshlrev_b64 v[4:5], 3, v[20:21]
	s_waitcnt lgkmcnt(0)
	v_lshl_add_u64 v[4:5], s[8:9], 0, v[4:5]
	s_lshl_b64 s[2:3], s[26:27], 3
	v_lshl_add_u64 v[4:5], v[4:5], 0, s[2:3]
	v_lshlrev_b32_e32 v6, 3, v0
	s_mov_b64 s[2:3], 0
	v_mov_b32_e32 v2, v0
	s_barrier
.LBB717_205:                            ; =>This Inner Loop Header: Depth=1
	ds_read_b64 v[8:9], v6
	v_lshl_add_u64 v[12:13], v[2:3], 3, v[4:5]
	v_add_u32_e32 v2, 0x80, v2
	v_cmp_ge_u32_e32 vcc, v2, v18
	v_add_u32_e32 v6, 0x400, v6
	s_or_b64 s[2:3], vcc, s[2:3]
	s_waitcnt lgkmcnt(0)
	global_store_dwordx2 v[12:13], v[8:9], off
	s_andn2_b64 exec, exec, s[2:3]
	s_cbranch_execnz .LBB717_205
; %bb.206:
	s_or_b64 exec, exec, s[2:3]
.LBB717_207:
	s_mov_b64 s[2:3], -1
	s_and_b64 vcc, exec, s[0:1]
	s_waitcnt lgkmcnt(0)
	s_barrier
	s_cbranch_vccnz .LBB717_211
; %bb.208:
	s_and_b64 vcc, exec, s[2:3]
	s_cbranch_vccnz .LBB717_222
.LBB717_209:
	v_cmp_eq_u32_e32 vcc, 0, v0
	s_and_b64 s[0:1], vcc, s[28:29]
	s_and_saveexec_b64 s[2:3], s[0:1]
	s_cbranch_execnz .LBB717_235
.LBB717_210:
	s_endpgm
.LBB717_211:
	v_cmp_lt_u32_e32 vcc, v30, v17
	s_or_b64 s[0:1], s[34:35], vcc
	v_cmp_eq_u32_e32 vcc, 1, v15
	s_and_b64 s[2:3], s[0:1], vcc
	s_and_saveexec_b64 s[0:1], s[2:3]
	s_cbranch_execz .LBB717_213
; %bb.212:
	s_lshl_b64 s[2:3], s[26:27], 3
	s_add_u32 s2, s10, s2
	s_addc_u32 s3, s11, s3
	v_mov_b32_e32 v31, 0
	v_lshl_add_u64 v[2:3], v[30:31], 3, s[2:3]
	global_store_dwordx2 v[2:3], v[56:57], off
.LBB717_213:
	s_or_b64 exec, exec, s[0:1]
	v_cmp_lt_u32_e32 vcc, v28, v17
	v_and_b32_e32 v2, 1, v34
	s_or_b64 s[0:1], s[34:35], vcc
	v_cmp_eq_u32_e32 vcc, 1, v2
	s_and_b64 s[2:3], s[0:1], vcc
	s_and_saveexec_b64 s[0:1], s[2:3]
	s_cbranch_execz .LBB717_215
; %bb.214:
	s_lshl_b64 s[2:3], s[26:27], 3
	s_add_u32 s2, s10, s2
	s_addc_u32 s3, s11, s3
	v_mov_b32_e32 v29, 0
	v_lshl_add_u64 v[2:3], v[28:29], 3, s[2:3]
	global_store_dwordx2 v[2:3], v[58:59], off
.LBB717_215:
	s_or_b64 exec, exec, s[0:1]
	v_cmp_lt_u32_e32 vcc, v26, v17
	v_and_b32_e32 v2, 1, v33
	;; [unrolled: 16-line block ×4, first 2 shown]
	s_or_b64 s[0:1], s[34:35], vcc
	v_cmp_eq_u32_e32 vcc, 1, v2
	s_and_b64 s[2:3], s[0:1], vcc
	s_and_saveexec_b64 s[0:1], s[2:3]
	s_cbranch_execz .LBB717_221
; %bb.220:
	s_lshl_b64 s[2:3], s[26:27], 3
	s_add_u32 s2, s10, s2
	s_addc_u32 s3, s11, s3
	v_mov_b32_e32 v23, 0
	v_lshl_add_u64 v[2:3], v[22:23], 3, s[2:3]
	global_store_dwordx2 v[2:3], v[10:11], off
.LBB717_221:
	s_or_b64 exec, exec, s[0:1]
	s_branch .LBB717_209
.LBB717_222:
	v_cmp_eq_u32_e32 vcc, 1, v15
	s_and_saveexec_b64 s[0:1], vcc
; %bb.223:
	v_sub_u32_e32 v2, v30, v20
	v_lshlrev_b32_e32 v2, 3, v2
	ds_write_b64 v2, v[56:57]
; %bb.224:
	s_or_b64 exec, exec, s[0:1]
	v_and_b32_e32 v2, 1, v34
	v_cmp_eq_u32_e32 vcc, 1, v2
	s_and_saveexec_b64 s[0:1], vcc
; %bb.225:
	v_sub_u32_e32 v2, v28, v20
	v_lshlrev_b32_e32 v2, 3, v2
	ds_write_b64 v2, v[58:59]
; %bb.226:
	s_or_b64 exec, exec, s[0:1]
	v_and_b32_e32 v2, 1, v33
	;; [unrolled: 9-line block ×4, first 2 shown]
	v_cmp_eq_u32_e32 vcc, 1, v2
	s_and_saveexec_b64 s[0:1], vcc
; %bb.231:
	v_sub_u32_e32 v2, v22, v20
	v_lshlrev_b32_e32 v2, 3, v2
	ds_write_b64 v2, v[10:11]
; %bb.232:
	s_or_b64 exec, exec, s[0:1]
	v_mov_b32_e32 v3, 0
	v_mov_b32_e32 v21, v3
	v_lshlrev_b64 v[4:5], 3, v[20:21]
	v_lshl_add_u64 v[4:5], s[10:11], 0, v[4:5]
	s_lshl_b64 s[0:1], s[26:27], 3
	v_lshl_add_u64 v[4:5], v[4:5], 0, s[0:1]
	s_mov_b64 s[0:1], 0
	v_mov_b32_e32 v2, v0
	s_waitcnt lgkmcnt(0)
	s_barrier
.LBB717_233:                            ; =>This Inner Loop Header: Depth=1
	ds_read_b64 v[6:7], v1
	v_lshl_add_u64 v[8:9], v[2:3], 3, v[4:5]
	v_add_u32_e32 v2, 0x80, v2
	v_cmp_ge_u32_e32 vcc, v2, v18
	v_add_u32_e32 v1, 0x400, v1
	s_or_b64 s[0:1], vcc, s[0:1]
	s_waitcnt lgkmcnt(0)
	global_store_dwordx2 v[8:9], v[6:7], off
	s_andn2_b64 exec, exec, s[0:1]
	s_cbranch_execnz .LBB717_233
; %bb.234:
	s_or_b64 exec, exec, s[0:1]
	v_cmp_eq_u32_e32 vcc, 0, v0
	s_and_b64 s[0:1], vcc, s[28:29]
	s_and_saveexec_b64 s[2:3], s[0:1]
	s_cbranch_execz .LBB717_210
.LBB717_235:
	v_mov_b32_e32 v19, 0
	v_lshl_add_u64 v[0:1], s[26:27], 0, v[18:19]
	v_mov_b32_e32 v21, v19
	v_lshl_add_u64 v[0:1], v[0:1], 0, v[20:21]
	global_store_dwordx2 v19, v[0:1], s[24:25]
	s_endpgm
	.section	.rodata,"a",@progbits
	.p2align	6, 0x0
	.amdhsa_kernel _ZN7rocprim17ROCPRIM_400000_NS6detail17trampoline_kernelINS0_14default_configENS1_25partition_config_selectorILNS1_17partition_subalgoE9EllbEEZZNS1_14partition_implILS5_9ELb0ES3_jPlS8_PNS0_10empty_typeENS0_5tupleIJS8_S9_EEENSB_IJS8_SA_EEENS0_18inequality_wrapperIZN2at6native12_GLOBAL__N_124unique_dim_cuda_templateIsEESt5tupleIJNSF_6TensorESK_SK_EERKSK_lbbbEUlllE0_EEPmJS9_EEE10hipError_tPvRmT3_T4_T5_T6_T7_T9_mT8_P12ihipStream_tbDpT10_ENKUlT_T0_E_clISt17integral_constantIbLb0EES1A_EEDaS15_S16_EUlS15_E_NS1_11comp_targetILNS1_3genE0ELNS1_11target_archE4294967295ELNS1_3gpuE0ELNS1_3repE0EEENS1_30default_config_static_selectorELNS0_4arch9wavefront6targetE1EEEvT1_
		.amdhsa_group_segment_fixed_size 5128
		.amdhsa_private_segment_fixed_size 0
		.amdhsa_kernarg_size 120
		.amdhsa_user_sgpr_count 2
		.amdhsa_user_sgpr_dispatch_ptr 0
		.amdhsa_user_sgpr_queue_ptr 0
		.amdhsa_user_sgpr_kernarg_segment_ptr 1
		.amdhsa_user_sgpr_dispatch_id 0
		.amdhsa_user_sgpr_kernarg_preload_length 0
		.amdhsa_user_sgpr_kernarg_preload_offset 0
		.amdhsa_user_sgpr_private_segment_size 0
		.amdhsa_uses_dynamic_stack 0
		.amdhsa_enable_private_segment 0
		.amdhsa_system_sgpr_workgroup_id_x 1
		.amdhsa_system_sgpr_workgroup_id_y 0
		.amdhsa_system_sgpr_workgroup_id_z 0
		.amdhsa_system_sgpr_workgroup_info 0
		.amdhsa_system_vgpr_workitem_id 0
		.amdhsa_next_free_vgpr 60
		.amdhsa_next_free_sgpr 46
		.amdhsa_accum_offset 60
		.amdhsa_reserve_vcc 1
		.amdhsa_float_round_mode_32 0
		.amdhsa_float_round_mode_16_64 0
		.amdhsa_float_denorm_mode_32 3
		.amdhsa_float_denorm_mode_16_64 3
		.amdhsa_dx10_clamp 1
		.amdhsa_ieee_mode 1
		.amdhsa_fp16_overflow 0
		.amdhsa_tg_split 0
		.amdhsa_exception_fp_ieee_invalid_op 0
		.amdhsa_exception_fp_denorm_src 0
		.amdhsa_exception_fp_ieee_div_zero 0
		.amdhsa_exception_fp_ieee_overflow 0
		.amdhsa_exception_fp_ieee_underflow 0
		.amdhsa_exception_fp_ieee_inexact 0
		.amdhsa_exception_int_div_zero 0
	.end_amdhsa_kernel
	.section	.text._ZN7rocprim17ROCPRIM_400000_NS6detail17trampoline_kernelINS0_14default_configENS1_25partition_config_selectorILNS1_17partition_subalgoE9EllbEEZZNS1_14partition_implILS5_9ELb0ES3_jPlS8_PNS0_10empty_typeENS0_5tupleIJS8_S9_EEENSB_IJS8_SA_EEENS0_18inequality_wrapperIZN2at6native12_GLOBAL__N_124unique_dim_cuda_templateIsEESt5tupleIJNSF_6TensorESK_SK_EERKSK_lbbbEUlllE0_EEPmJS9_EEE10hipError_tPvRmT3_T4_T5_T6_T7_T9_mT8_P12ihipStream_tbDpT10_ENKUlT_T0_E_clISt17integral_constantIbLb0EES1A_EEDaS15_S16_EUlS15_E_NS1_11comp_targetILNS1_3genE0ELNS1_11target_archE4294967295ELNS1_3gpuE0ELNS1_3repE0EEENS1_30default_config_static_selectorELNS0_4arch9wavefront6targetE1EEEvT1_,"axG",@progbits,_ZN7rocprim17ROCPRIM_400000_NS6detail17trampoline_kernelINS0_14default_configENS1_25partition_config_selectorILNS1_17partition_subalgoE9EllbEEZZNS1_14partition_implILS5_9ELb0ES3_jPlS8_PNS0_10empty_typeENS0_5tupleIJS8_S9_EEENSB_IJS8_SA_EEENS0_18inequality_wrapperIZN2at6native12_GLOBAL__N_124unique_dim_cuda_templateIsEESt5tupleIJNSF_6TensorESK_SK_EERKSK_lbbbEUlllE0_EEPmJS9_EEE10hipError_tPvRmT3_T4_T5_T6_T7_T9_mT8_P12ihipStream_tbDpT10_ENKUlT_T0_E_clISt17integral_constantIbLb0EES1A_EEDaS15_S16_EUlS15_E_NS1_11comp_targetILNS1_3genE0ELNS1_11target_archE4294967295ELNS1_3gpuE0ELNS1_3repE0EEENS1_30default_config_static_selectorELNS0_4arch9wavefront6targetE1EEEvT1_,comdat
.Lfunc_end717:
	.size	_ZN7rocprim17ROCPRIM_400000_NS6detail17trampoline_kernelINS0_14default_configENS1_25partition_config_selectorILNS1_17partition_subalgoE9EllbEEZZNS1_14partition_implILS5_9ELb0ES3_jPlS8_PNS0_10empty_typeENS0_5tupleIJS8_S9_EEENSB_IJS8_SA_EEENS0_18inequality_wrapperIZN2at6native12_GLOBAL__N_124unique_dim_cuda_templateIsEESt5tupleIJNSF_6TensorESK_SK_EERKSK_lbbbEUlllE0_EEPmJS9_EEE10hipError_tPvRmT3_T4_T5_T6_T7_T9_mT8_P12ihipStream_tbDpT10_ENKUlT_T0_E_clISt17integral_constantIbLb0EES1A_EEDaS15_S16_EUlS15_E_NS1_11comp_targetILNS1_3genE0ELNS1_11target_archE4294967295ELNS1_3gpuE0ELNS1_3repE0EEENS1_30default_config_static_selectorELNS0_4arch9wavefront6targetE1EEEvT1_, .Lfunc_end717-_ZN7rocprim17ROCPRIM_400000_NS6detail17trampoline_kernelINS0_14default_configENS1_25partition_config_selectorILNS1_17partition_subalgoE9EllbEEZZNS1_14partition_implILS5_9ELb0ES3_jPlS8_PNS0_10empty_typeENS0_5tupleIJS8_S9_EEENSB_IJS8_SA_EEENS0_18inequality_wrapperIZN2at6native12_GLOBAL__N_124unique_dim_cuda_templateIsEESt5tupleIJNSF_6TensorESK_SK_EERKSK_lbbbEUlllE0_EEPmJS9_EEE10hipError_tPvRmT3_T4_T5_T6_T7_T9_mT8_P12ihipStream_tbDpT10_ENKUlT_T0_E_clISt17integral_constantIbLb0EES1A_EEDaS15_S16_EUlS15_E_NS1_11comp_targetILNS1_3genE0ELNS1_11target_archE4294967295ELNS1_3gpuE0ELNS1_3repE0EEENS1_30default_config_static_selectorELNS0_4arch9wavefront6targetE1EEEvT1_
                                        ; -- End function
	.set _ZN7rocprim17ROCPRIM_400000_NS6detail17trampoline_kernelINS0_14default_configENS1_25partition_config_selectorILNS1_17partition_subalgoE9EllbEEZZNS1_14partition_implILS5_9ELb0ES3_jPlS8_PNS0_10empty_typeENS0_5tupleIJS8_S9_EEENSB_IJS8_SA_EEENS0_18inequality_wrapperIZN2at6native12_GLOBAL__N_124unique_dim_cuda_templateIsEESt5tupleIJNSF_6TensorESK_SK_EERKSK_lbbbEUlllE0_EEPmJS9_EEE10hipError_tPvRmT3_T4_T5_T6_T7_T9_mT8_P12ihipStream_tbDpT10_ENKUlT_T0_E_clISt17integral_constantIbLb0EES1A_EEDaS15_S16_EUlS15_E_NS1_11comp_targetILNS1_3genE0ELNS1_11target_archE4294967295ELNS1_3gpuE0ELNS1_3repE0EEENS1_30default_config_static_selectorELNS0_4arch9wavefront6targetE1EEEvT1_.num_vgpr, 60
	.set _ZN7rocprim17ROCPRIM_400000_NS6detail17trampoline_kernelINS0_14default_configENS1_25partition_config_selectorILNS1_17partition_subalgoE9EllbEEZZNS1_14partition_implILS5_9ELb0ES3_jPlS8_PNS0_10empty_typeENS0_5tupleIJS8_S9_EEENSB_IJS8_SA_EEENS0_18inequality_wrapperIZN2at6native12_GLOBAL__N_124unique_dim_cuda_templateIsEESt5tupleIJNSF_6TensorESK_SK_EERKSK_lbbbEUlllE0_EEPmJS9_EEE10hipError_tPvRmT3_T4_T5_T6_T7_T9_mT8_P12ihipStream_tbDpT10_ENKUlT_T0_E_clISt17integral_constantIbLb0EES1A_EEDaS15_S16_EUlS15_E_NS1_11comp_targetILNS1_3genE0ELNS1_11target_archE4294967295ELNS1_3gpuE0ELNS1_3repE0EEENS1_30default_config_static_selectorELNS0_4arch9wavefront6targetE1EEEvT1_.num_agpr, 0
	.set _ZN7rocprim17ROCPRIM_400000_NS6detail17trampoline_kernelINS0_14default_configENS1_25partition_config_selectorILNS1_17partition_subalgoE9EllbEEZZNS1_14partition_implILS5_9ELb0ES3_jPlS8_PNS0_10empty_typeENS0_5tupleIJS8_S9_EEENSB_IJS8_SA_EEENS0_18inequality_wrapperIZN2at6native12_GLOBAL__N_124unique_dim_cuda_templateIsEESt5tupleIJNSF_6TensorESK_SK_EERKSK_lbbbEUlllE0_EEPmJS9_EEE10hipError_tPvRmT3_T4_T5_T6_T7_T9_mT8_P12ihipStream_tbDpT10_ENKUlT_T0_E_clISt17integral_constantIbLb0EES1A_EEDaS15_S16_EUlS15_E_NS1_11comp_targetILNS1_3genE0ELNS1_11target_archE4294967295ELNS1_3gpuE0ELNS1_3repE0EEENS1_30default_config_static_selectorELNS0_4arch9wavefront6targetE1EEEvT1_.numbered_sgpr, 46
	.set _ZN7rocprim17ROCPRIM_400000_NS6detail17trampoline_kernelINS0_14default_configENS1_25partition_config_selectorILNS1_17partition_subalgoE9EllbEEZZNS1_14partition_implILS5_9ELb0ES3_jPlS8_PNS0_10empty_typeENS0_5tupleIJS8_S9_EEENSB_IJS8_SA_EEENS0_18inequality_wrapperIZN2at6native12_GLOBAL__N_124unique_dim_cuda_templateIsEESt5tupleIJNSF_6TensorESK_SK_EERKSK_lbbbEUlllE0_EEPmJS9_EEE10hipError_tPvRmT3_T4_T5_T6_T7_T9_mT8_P12ihipStream_tbDpT10_ENKUlT_T0_E_clISt17integral_constantIbLb0EES1A_EEDaS15_S16_EUlS15_E_NS1_11comp_targetILNS1_3genE0ELNS1_11target_archE4294967295ELNS1_3gpuE0ELNS1_3repE0EEENS1_30default_config_static_selectorELNS0_4arch9wavefront6targetE1EEEvT1_.num_named_barrier, 0
	.set _ZN7rocprim17ROCPRIM_400000_NS6detail17trampoline_kernelINS0_14default_configENS1_25partition_config_selectorILNS1_17partition_subalgoE9EllbEEZZNS1_14partition_implILS5_9ELb0ES3_jPlS8_PNS0_10empty_typeENS0_5tupleIJS8_S9_EEENSB_IJS8_SA_EEENS0_18inequality_wrapperIZN2at6native12_GLOBAL__N_124unique_dim_cuda_templateIsEESt5tupleIJNSF_6TensorESK_SK_EERKSK_lbbbEUlllE0_EEPmJS9_EEE10hipError_tPvRmT3_T4_T5_T6_T7_T9_mT8_P12ihipStream_tbDpT10_ENKUlT_T0_E_clISt17integral_constantIbLb0EES1A_EEDaS15_S16_EUlS15_E_NS1_11comp_targetILNS1_3genE0ELNS1_11target_archE4294967295ELNS1_3gpuE0ELNS1_3repE0EEENS1_30default_config_static_selectorELNS0_4arch9wavefront6targetE1EEEvT1_.private_seg_size, 0
	.set _ZN7rocprim17ROCPRIM_400000_NS6detail17trampoline_kernelINS0_14default_configENS1_25partition_config_selectorILNS1_17partition_subalgoE9EllbEEZZNS1_14partition_implILS5_9ELb0ES3_jPlS8_PNS0_10empty_typeENS0_5tupleIJS8_S9_EEENSB_IJS8_SA_EEENS0_18inequality_wrapperIZN2at6native12_GLOBAL__N_124unique_dim_cuda_templateIsEESt5tupleIJNSF_6TensorESK_SK_EERKSK_lbbbEUlllE0_EEPmJS9_EEE10hipError_tPvRmT3_T4_T5_T6_T7_T9_mT8_P12ihipStream_tbDpT10_ENKUlT_T0_E_clISt17integral_constantIbLb0EES1A_EEDaS15_S16_EUlS15_E_NS1_11comp_targetILNS1_3genE0ELNS1_11target_archE4294967295ELNS1_3gpuE0ELNS1_3repE0EEENS1_30default_config_static_selectorELNS0_4arch9wavefront6targetE1EEEvT1_.uses_vcc, 1
	.set _ZN7rocprim17ROCPRIM_400000_NS6detail17trampoline_kernelINS0_14default_configENS1_25partition_config_selectorILNS1_17partition_subalgoE9EllbEEZZNS1_14partition_implILS5_9ELb0ES3_jPlS8_PNS0_10empty_typeENS0_5tupleIJS8_S9_EEENSB_IJS8_SA_EEENS0_18inequality_wrapperIZN2at6native12_GLOBAL__N_124unique_dim_cuda_templateIsEESt5tupleIJNSF_6TensorESK_SK_EERKSK_lbbbEUlllE0_EEPmJS9_EEE10hipError_tPvRmT3_T4_T5_T6_T7_T9_mT8_P12ihipStream_tbDpT10_ENKUlT_T0_E_clISt17integral_constantIbLb0EES1A_EEDaS15_S16_EUlS15_E_NS1_11comp_targetILNS1_3genE0ELNS1_11target_archE4294967295ELNS1_3gpuE0ELNS1_3repE0EEENS1_30default_config_static_selectorELNS0_4arch9wavefront6targetE1EEEvT1_.uses_flat_scratch, 0
	.set _ZN7rocprim17ROCPRIM_400000_NS6detail17trampoline_kernelINS0_14default_configENS1_25partition_config_selectorILNS1_17partition_subalgoE9EllbEEZZNS1_14partition_implILS5_9ELb0ES3_jPlS8_PNS0_10empty_typeENS0_5tupleIJS8_S9_EEENSB_IJS8_SA_EEENS0_18inequality_wrapperIZN2at6native12_GLOBAL__N_124unique_dim_cuda_templateIsEESt5tupleIJNSF_6TensorESK_SK_EERKSK_lbbbEUlllE0_EEPmJS9_EEE10hipError_tPvRmT3_T4_T5_T6_T7_T9_mT8_P12ihipStream_tbDpT10_ENKUlT_T0_E_clISt17integral_constantIbLb0EES1A_EEDaS15_S16_EUlS15_E_NS1_11comp_targetILNS1_3genE0ELNS1_11target_archE4294967295ELNS1_3gpuE0ELNS1_3repE0EEENS1_30default_config_static_selectorELNS0_4arch9wavefront6targetE1EEEvT1_.has_dyn_sized_stack, 0
	.set _ZN7rocprim17ROCPRIM_400000_NS6detail17trampoline_kernelINS0_14default_configENS1_25partition_config_selectorILNS1_17partition_subalgoE9EllbEEZZNS1_14partition_implILS5_9ELb0ES3_jPlS8_PNS0_10empty_typeENS0_5tupleIJS8_S9_EEENSB_IJS8_SA_EEENS0_18inequality_wrapperIZN2at6native12_GLOBAL__N_124unique_dim_cuda_templateIsEESt5tupleIJNSF_6TensorESK_SK_EERKSK_lbbbEUlllE0_EEPmJS9_EEE10hipError_tPvRmT3_T4_T5_T6_T7_T9_mT8_P12ihipStream_tbDpT10_ENKUlT_T0_E_clISt17integral_constantIbLb0EES1A_EEDaS15_S16_EUlS15_E_NS1_11comp_targetILNS1_3genE0ELNS1_11target_archE4294967295ELNS1_3gpuE0ELNS1_3repE0EEENS1_30default_config_static_selectorELNS0_4arch9wavefront6targetE1EEEvT1_.has_recursion, 0
	.set _ZN7rocprim17ROCPRIM_400000_NS6detail17trampoline_kernelINS0_14default_configENS1_25partition_config_selectorILNS1_17partition_subalgoE9EllbEEZZNS1_14partition_implILS5_9ELb0ES3_jPlS8_PNS0_10empty_typeENS0_5tupleIJS8_S9_EEENSB_IJS8_SA_EEENS0_18inequality_wrapperIZN2at6native12_GLOBAL__N_124unique_dim_cuda_templateIsEESt5tupleIJNSF_6TensorESK_SK_EERKSK_lbbbEUlllE0_EEPmJS9_EEE10hipError_tPvRmT3_T4_T5_T6_T7_T9_mT8_P12ihipStream_tbDpT10_ENKUlT_T0_E_clISt17integral_constantIbLb0EES1A_EEDaS15_S16_EUlS15_E_NS1_11comp_targetILNS1_3genE0ELNS1_11target_archE4294967295ELNS1_3gpuE0ELNS1_3repE0EEENS1_30default_config_static_selectorELNS0_4arch9wavefront6targetE1EEEvT1_.has_indirect_call, 0
	.section	.AMDGPU.csdata,"",@progbits
; Kernel info:
; codeLenInByte = 9496
; TotalNumSgprs: 52
; NumVgprs: 60
; NumAgprs: 0
; TotalNumVgprs: 60
; ScratchSize: 0
; MemoryBound: 0
; FloatMode: 240
; IeeeMode: 1
; LDSByteSize: 5128 bytes/workgroup (compile time only)
; SGPRBlocks: 6
; VGPRBlocks: 7
; NumSGPRsForWavesPerEU: 52
; NumVGPRsForWavesPerEU: 60
; AccumOffset: 60
; Occupancy: 8
; WaveLimiterHint : 1
; COMPUTE_PGM_RSRC2:SCRATCH_EN: 0
; COMPUTE_PGM_RSRC2:USER_SGPR: 2
; COMPUTE_PGM_RSRC2:TRAP_HANDLER: 0
; COMPUTE_PGM_RSRC2:TGID_X_EN: 1
; COMPUTE_PGM_RSRC2:TGID_Y_EN: 0
; COMPUTE_PGM_RSRC2:TGID_Z_EN: 0
; COMPUTE_PGM_RSRC2:TIDIG_COMP_CNT: 0
; COMPUTE_PGM_RSRC3_GFX90A:ACCUM_OFFSET: 14
; COMPUTE_PGM_RSRC3_GFX90A:TG_SPLIT: 0
	.section	.text._ZN7rocprim17ROCPRIM_400000_NS6detail17trampoline_kernelINS0_14default_configENS1_25partition_config_selectorILNS1_17partition_subalgoE9EllbEEZZNS1_14partition_implILS5_9ELb0ES3_jPlS8_PNS0_10empty_typeENS0_5tupleIJS8_S9_EEENSB_IJS8_SA_EEENS0_18inequality_wrapperIZN2at6native12_GLOBAL__N_124unique_dim_cuda_templateIsEESt5tupleIJNSF_6TensorESK_SK_EERKSK_lbbbEUlllE0_EEPmJS9_EEE10hipError_tPvRmT3_T4_T5_T6_T7_T9_mT8_P12ihipStream_tbDpT10_ENKUlT_T0_E_clISt17integral_constantIbLb0EES1A_EEDaS15_S16_EUlS15_E_NS1_11comp_targetILNS1_3genE5ELNS1_11target_archE942ELNS1_3gpuE9ELNS1_3repE0EEENS1_30default_config_static_selectorELNS0_4arch9wavefront6targetE1EEEvT1_,"axG",@progbits,_ZN7rocprim17ROCPRIM_400000_NS6detail17trampoline_kernelINS0_14default_configENS1_25partition_config_selectorILNS1_17partition_subalgoE9EllbEEZZNS1_14partition_implILS5_9ELb0ES3_jPlS8_PNS0_10empty_typeENS0_5tupleIJS8_S9_EEENSB_IJS8_SA_EEENS0_18inequality_wrapperIZN2at6native12_GLOBAL__N_124unique_dim_cuda_templateIsEESt5tupleIJNSF_6TensorESK_SK_EERKSK_lbbbEUlllE0_EEPmJS9_EEE10hipError_tPvRmT3_T4_T5_T6_T7_T9_mT8_P12ihipStream_tbDpT10_ENKUlT_T0_E_clISt17integral_constantIbLb0EES1A_EEDaS15_S16_EUlS15_E_NS1_11comp_targetILNS1_3genE5ELNS1_11target_archE942ELNS1_3gpuE9ELNS1_3repE0EEENS1_30default_config_static_selectorELNS0_4arch9wavefront6targetE1EEEvT1_,comdat
	.globl	_ZN7rocprim17ROCPRIM_400000_NS6detail17trampoline_kernelINS0_14default_configENS1_25partition_config_selectorILNS1_17partition_subalgoE9EllbEEZZNS1_14partition_implILS5_9ELb0ES3_jPlS8_PNS0_10empty_typeENS0_5tupleIJS8_S9_EEENSB_IJS8_SA_EEENS0_18inequality_wrapperIZN2at6native12_GLOBAL__N_124unique_dim_cuda_templateIsEESt5tupleIJNSF_6TensorESK_SK_EERKSK_lbbbEUlllE0_EEPmJS9_EEE10hipError_tPvRmT3_T4_T5_T6_T7_T9_mT8_P12ihipStream_tbDpT10_ENKUlT_T0_E_clISt17integral_constantIbLb0EES1A_EEDaS15_S16_EUlS15_E_NS1_11comp_targetILNS1_3genE5ELNS1_11target_archE942ELNS1_3gpuE9ELNS1_3repE0EEENS1_30default_config_static_selectorELNS0_4arch9wavefront6targetE1EEEvT1_ ; -- Begin function _ZN7rocprim17ROCPRIM_400000_NS6detail17trampoline_kernelINS0_14default_configENS1_25partition_config_selectorILNS1_17partition_subalgoE9EllbEEZZNS1_14partition_implILS5_9ELb0ES3_jPlS8_PNS0_10empty_typeENS0_5tupleIJS8_S9_EEENSB_IJS8_SA_EEENS0_18inequality_wrapperIZN2at6native12_GLOBAL__N_124unique_dim_cuda_templateIsEESt5tupleIJNSF_6TensorESK_SK_EERKSK_lbbbEUlllE0_EEPmJS9_EEE10hipError_tPvRmT3_T4_T5_T6_T7_T9_mT8_P12ihipStream_tbDpT10_ENKUlT_T0_E_clISt17integral_constantIbLb0EES1A_EEDaS15_S16_EUlS15_E_NS1_11comp_targetILNS1_3genE5ELNS1_11target_archE942ELNS1_3gpuE9ELNS1_3repE0EEENS1_30default_config_static_selectorELNS0_4arch9wavefront6targetE1EEEvT1_
	.p2align	8
	.type	_ZN7rocprim17ROCPRIM_400000_NS6detail17trampoline_kernelINS0_14default_configENS1_25partition_config_selectorILNS1_17partition_subalgoE9EllbEEZZNS1_14partition_implILS5_9ELb0ES3_jPlS8_PNS0_10empty_typeENS0_5tupleIJS8_S9_EEENSB_IJS8_SA_EEENS0_18inequality_wrapperIZN2at6native12_GLOBAL__N_124unique_dim_cuda_templateIsEESt5tupleIJNSF_6TensorESK_SK_EERKSK_lbbbEUlllE0_EEPmJS9_EEE10hipError_tPvRmT3_T4_T5_T6_T7_T9_mT8_P12ihipStream_tbDpT10_ENKUlT_T0_E_clISt17integral_constantIbLb0EES1A_EEDaS15_S16_EUlS15_E_NS1_11comp_targetILNS1_3genE5ELNS1_11target_archE942ELNS1_3gpuE9ELNS1_3repE0EEENS1_30default_config_static_selectorELNS0_4arch9wavefront6targetE1EEEvT1_,@function
_ZN7rocprim17ROCPRIM_400000_NS6detail17trampoline_kernelINS0_14default_configENS1_25partition_config_selectorILNS1_17partition_subalgoE9EllbEEZZNS1_14partition_implILS5_9ELb0ES3_jPlS8_PNS0_10empty_typeENS0_5tupleIJS8_S9_EEENSB_IJS8_SA_EEENS0_18inequality_wrapperIZN2at6native12_GLOBAL__N_124unique_dim_cuda_templateIsEESt5tupleIJNSF_6TensorESK_SK_EERKSK_lbbbEUlllE0_EEPmJS9_EEE10hipError_tPvRmT3_T4_T5_T6_T7_T9_mT8_P12ihipStream_tbDpT10_ENKUlT_T0_E_clISt17integral_constantIbLb0EES1A_EEDaS15_S16_EUlS15_E_NS1_11comp_targetILNS1_3genE5ELNS1_11target_archE942ELNS1_3gpuE9ELNS1_3repE0EEENS1_30default_config_static_selectorELNS0_4arch9wavefront6targetE1EEEvT1_: ; @_ZN7rocprim17ROCPRIM_400000_NS6detail17trampoline_kernelINS0_14default_configENS1_25partition_config_selectorILNS1_17partition_subalgoE9EllbEEZZNS1_14partition_implILS5_9ELb0ES3_jPlS8_PNS0_10empty_typeENS0_5tupleIJS8_S9_EEENSB_IJS8_SA_EEENS0_18inequality_wrapperIZN2at6native12_GLOBAL__N_124unique_dim_cuda_templateIsEESt5tupleIJNSF_6TensorESK_SK_EERKSK_lbbbEUlllE0_EEPmJS9_EEE10hipError_tPvRmT3_T4_T5_T6_T7_T9_mT8_P12ihipStream_tbDpT10_ENKUlT_T0_E_clISt17integral_constantIbLb0EES1A_EEDaS15_S16_EUlS15_E_NS1_11comp_targetILNS1_3genE5ELNS1_11target_archE942ELNS1_3gpuE9ELNS1_3repE0EEENS1_30default_config_static_selectorELNS0_4arch9wavefront6targetE1EEEvT1_
; %bb.0:
	.section	.rodata,"a",@progbits
	.p2align	6, 0x0
	.amdhsa_kernel _ZN7rocprim17ROCPRIM_400000_NS6detail17trampoline_kernelINS0_14default_configENS1_25partition_config_selectorILNS1_17partition_subalgoE9EllbEEZZNS1_14partition_implILS5_9ELb0ES3_jPlS8_PNS0_10empty_typeENS0_5tupleIJS8_S9_EEENSB_IJS8_SA_EEENS0_18inequality_wrapperIZN2at6native12_GLOBAL__N_124unique_dim_cuda_templateIsEESt5tupleIJNSF_6TensorESK_SK_EERKSK_lbbbEUlllE0_EEPmJS9_EEE10hipError_tPvRmT3_T4_T5_T6_T7_T9_mT8_P12ihipStream_tbDpT10_ENKUlT_T0_E_clISt17integral_constantIbLb0EES1A_EEDaS15_S16_EUlS15_E_NS1_11comp_targetILNS1_3genE5ELNS1_11target_archE942ELNS1_3gpuE9ELNS1_3repE0EEENS1_30default_config_static_selectorELNS0_4arch9wavefront6targetE1EEEvT1_
		.amdhsa_group_segment_fixed_size 0
		.amdhsa_private_segment_fixed_size 0
		.amdhsa_kernarg_size 120
		.amdhsa_user_sgpr_count 2
		.amdhsa_user_sgpr_dispatch_ptr 0
		.amdhsa_user_sgpr_queue_ptr 0
		.amdhsa_user_sgpr_kernarg_segment_ptr 1
		.amdhsa_user_sgpr_dispatch_id 0
		.amdhsa_user_sgpr_kernarg_preload_length 0
		.amdhsa_user_sgpr_kernarg_preload_offset 0
		.amdhsa_user_sgpr_private_segment_size 0
		.amdhsa_uses_dynamic_stack 0
		.amdhsa_enable_private_segment 0
		.amdhsa_system_sgpr_workgroup_id_x 1
		.amdhsa_system_sgpr_workgroup_id_y 0
		.amdhsa_system_sgpr_workgroup_id_z 0
		.amdhsa_system_sgpr_workgroup_info 0
		.amdhsa_system_vgpr_workitem_id 0
		.amdhsa_next_free_vgpr 1
		.amdhsa_next_free_sgpr 0
		.amdhsa_accum_offset 4
		.amdhsa_reserve_vcc 0
		.amdhsa_float_round_mode_32 0
		.amdhsa_float_round_mode_16_64 0
		.amdhsa_float_denorm_mode_32 3
		.amdhsa_float_denorm_mode_16_64 3
		.amdhsa_dx10_clamp 1
		.amdhsa_ieee_mode 1
		.amdhsa_fp16_overflow 0
		.amdhsa_tg_split 0
		.amdhsa_exception_fp_ieee_invalid_op 0
		.amdhsa_exception_fp_denorm_src 0
		.amdhsa_exception_fp_ieee_div_zero 0
		.amdhsa_exception_fp_ieee_overflow 0
		.amdhsa_exception_fp_ieee_underflow 0
		.amdhsa_exception_fp_ieee_inexact 0
		.amdhsa_exception_int_div_zero 0
	.end_amdhsa_kernel
	.section	.text._ZN7rocprim17ROCPRIM_400000_NS6detail17trampoline_kernelINS0_14default_configENS1_25partition_config_selectorILNS1_17partition_subalgoE9EllbEEZZNS1_14partition_implILS5_9ELb0ES3_jPlS8_PNS0_10empty_typeENS0_5tupleIJS8_S9_EEENSB_IJS8_SA_EEENS0_18inequality_wrapperIZN2at6native12_GLOBAL__N_124unique_dim_cuda_templateIsEESt5tupleIJNSF_6TensorESK_SK_EERKSK_lbbbEUlllE0_EEPmJS9_EEE10hipError_tPvRmT3_T4_T5_T6_T7_T9_mT8_P12ihipStream_tbDpT10_ENKUlT_T0_E_clISt17integral_constantIbLb0EES1A_EEDaS15_S16_EUlS15_E_NS1_11comp_targetILNS1_3genE5ELNS1_11target_archE942ELNS1_3gpuE9ELNS1_3repE0EEENS1_30default_config_static_selectorELNS0_4arch9wavefront6targetE1EEEvT1_,"axG",@progbits,_ZN7rocprim17ROCPRIM_400000_NS6detail17trampoline_kernelINS0_14default_configENS1_25partition_config_selectorILNS1_17partition_subalgoE9EllbEEZZNS1_14partition_implILS5_9ELb0ES3_jPlS8_PNS0_10empty_typeENS0_5tupleIJS8_S9_EEENSB_IJS8_SA_EEENS0_18inequality_wrapperIZN2at6native12_GLOBAL__N_124unique_dim_cuda_templateIsEESt5tupleIJNSF_6TensorESK_SK_EERKSK_lbbbEUlllE0_EEPmJS9_EEE10hipError_tPvRmT3_T4_T5_T6_T7_T9_mT8_P12ihipStream_tbDpT10_ENKUlT_T0_E_clISt17integral_constantIbLb0EES1A_EEDaS15_S16_EUlS15_E_NS1_11comp_targetILNS1_3genE5ELNS1_11target_archE942ELNS1_3gpuE9ELNS1_3repE0EEENS1_30default_config_static_selectorELNS0_4arch9wavefront6targetE1EEEvT1_,comdat
.Lfunc_end718:
	.size	_ZN7rocprim17ROCPRIM_400000_NS6detail17trampoline_kernelINS0_14default_configENS1_25partition_config_selectorILNS1_17partition_subalgoE9EllbEEZZNS1_14partition_implILS5_9ELb0ES3_jPlS8_PNS0_10empty_typeENS0_5tupleIJS8_S9_EEENSB_IJS8_SA_EEENS0_18inequality_wrapperIZN2at6native12_GLOBAL__N_124unique_dim_cuda_templateIsEESt5tupleIJNSF_6TensorESK_SK_EERKSK_lbbbEUlllE0_EEPmJS9_EEE10hipError_tPvRmT3_T4_T5_T6_T7_T9_mT8_P12ihipStream_tbDpT10_ENKUlT_T0_E_clISt17integral_constantIbLb0EES1A_EEDaS15_S16_EUlS15_E_NS1_11comp_targetILNS1_3genE5ELNS1_11target_archE942ELNS1_3gpuE9ELNS1_3repE0EEENS1_30default_config_static_selectorELNS0_4arch9wavefront6targetE1EEEvT1_, .Lfunc_end718-_ZN7rocprim17ROCPRIM_400000_NS6detail17trampoline_kernelINS0_14default_configENS1_25partition_config_selectorILNS1_17partition_subalgoE9EllbEEZZNS1_14partition_implILS5_9ELb0ES3_jPlS8_PNS0_10empty_typeENS0_5tupleIJS8_S9_EEENSB_IJS8_SA_EEENS0_18inequality_wrapperIZN2at6native12_GLOBAL__N_124unique_dim_cuda_templateIsEESt5tupleIJNSF_6TensorESK_SK_EERKSK_lbbbEUlllE0_EEPmJS9_EEE10hipError_tPvRmT3_T4_T5_T6_T7_T9_mT8_P12ihipStream_tbDpT10_ENKUlT_T0_E_clISt17integral_constantIbLb0EES1A_EEDaS15_S16_EUlS15_E_NS1_11comp_targetILNS1_3genE5ELNS1_11target_archE942ELNS1_3gpuE9ELNS1_3repE0EEENS1_30default_config_static_selectorELNS0_4arch9wavefront6targetE1EEEvT1_
                                        ; -- End function
	.set _ZN7rocprim17ROCPRIM_400000_NS6detail17trampoline_kernelINS0_14default_configENS1_25partition_config_selectorILNS1_17partition_subalgoE9EllbEEZZNS1_14partition_implILS5_9ELb0ES3_jPlS8_PNS0_10empty_typeENS0_5tupleIJS8_S9_EEENSB_IJS8_SA_EEENS0_18inequality_wrapperIZN2at6native12_GLOBAL__N_124unique_dim_cuda_templateIsEESt5tupleIJNSF_6TensorESK_SK_EERKSK_lbbbEUlllE0_EEPmJS9_EEE10hipError_tPvRmT3_T4_T5_T6_T7_T9_mT8_P12ihipStream_tbDpT10_ENKUlT_T0_E_clISt17integral_constantIbLb0EES1A_EEDaS15_S16_EUlS15_E_NS1_11comp_targetILNS1_3genE5ELNS1_11target_archE942ELNS1_3gpuE9ELNS1_3repE0EEENS1_30default_config_static_selectorELNS0_4arch9wavefront6targetE1EEEvT1_.num_vgpr, 0
	.set _ZN7rocprim17ROCPRIM_400000_NS6detail17trampoline_kernelINS0_14default_configENS1_25partition_config_selectorILNS1_17partition_subalgoE9EllbEEZZNS1_14partition_implILS5_9ELb0ES3_jPlS8_PNS0_10empty_typeENS0_5tupleIJS8_S9_EEENSB_IJS8_SA_EEENS0_18inequality_wrapperIZN2at6native12_GLOBAL__N_124unique_dim_cuda_templateIsEESt5tupleIJNSF_6TensorESK_SK_EERKSK_lbbbEUlllE0_EEPmJS9_EEE10hipError_tPvRmT3_T4_T5_T6_T7_T9_mT8_P12ihipStream_tbDpT10_ENKUlT_T0_E_clISt17integral_constantIbLb0EES1A_EEDaS15_S16_EUlS15_E_NS1_11comp_targetILNS1_3genE5ELNS1_11target_archE942ELNS1_3gpuE9ELNS1_3repE0EEENS1_30default_config_static_selectorELNS0_4arch9wavefront6targetE1EEEvT1_.num_agpr, 0
	.set _ZN7rocprim17ROCPRIM_400000_NS6detail17trampoline_kernelINS0_14default_configENS1_25partition_config_selectorILNS1_17partition_subalgoE9EllbEEZZNS1_14partition_implILS5_9ELb0ES3_jPlS8_PNS0_10empty_typeENS0_5tupleIJS8_S9_EEENSB_IJS8_SA_EEENS0_18inequality_wrapperIZN2at6native12_GLOBAL__N_124unique_dim_cuda_templateIsEESt5tupleIJNSF_6TensorESK_SK_EERKSK_lbbbEUlllE0_EEPmJS9_EEE10hipError_tPvRmT3_T4_T5_T6_T7_T9_mT8_P12ihipStream_tbDpT10_ENKUlT_T0_E_clISt17integral_constantIbLb0EES1A_EEDaS15_S16_EUlS15_E_NS1_11comp_targetILNS1_3genE5ELNS1_11target_archE942ELNS1_3gpuE9ELNS1_3repE0EEENS1_30default_config_static_selectorELNS0_4arch9wavefront6targetE1EEEvT1_.numbered_sgpr, 0
	.set _ZN7rocprim17ROCPRIM_400000_NS6detail17trampoline_kernelINS0_14default_configENS1_25partition_config_selectorILNS1_17partition_subalgoE9EllbEEZZNS1_14partition_implILS5_9ELb0ES3_jPlS8_PNS0_10empty_typeENS0_5tupleIJS8_S9_EEENSB_IJS8_SA_EEENS0_18inequality_wrapperIZN2at6native12_GLOBAL__N_124unique_dim_cuda_templateIsEESt5tupleIJNSF_6TensorESK_SK_EERKSK_lbbbEUlllE0_EEPmJS9_EEE10hipError_tPvRmT3_T4_T5_T6_T7_T9_mT8_P12ihipStream_tbDpT10_ENKUlT_T0_E_clISt17integral_constantIbLb0EES1A_EEDaS15_S16_EUlS15_E_NS1_11comp_targetILNS1_3genE5ELNS1_11target_archE942ELNS1_3gpuE9ELNS1_3repE0EEENS1_30default_config_static_selectorELNS0_4arch9wavefront6targetE1EEEvT1_.num_named_barrier, 0
	.set _ZN7rocprim17ROCPRIM_400000_NS6detail17trampoline_kernelINS0_14default_configENS1_25partition_config_selectorILNS1_17partition_subalgoE9EllbEEZZNS1_14partition_implILS5_9ELb0ES3_jPlS8_PNS0_10empty_typeENS0_5tupleIJS8_S9_EEENSB_IJS8_SA_EEENS0_18inequality_wrapperIZN2at6native12_GLOBAL__N_124unique_dim_cuda_templateIsEESt5tupleIJNSF_6TensorESK_SK_EERKSK_lbbbEUlllE0_EEPmJS9_EEE10hipError_tPvRmT3_T4_T5_T6_T7_T9_mT8_P12ihipStream_tbDpT10_ENKUlT_T0_E_clISt17integral_constantIbLb0EES1A_EEDaS15_S16_EUlS15_E_NS1_11comp_targetILNS1_3genE5ELNS1_11target_archE942ELNS1_3gpuE9ELNS1_3repE0EEENS1_30default_config_static_selectorELNS0_4arch9wavefront6targetE1EEEvT1_.private_seg_size, 0
	.set _ZN7rocprim17ROCPRIM_400000_NS6detail17trampoline_kernelINS0_14default_configENS1_25partition_config_selectorILNS1_17partition_subalgoE9EllbEEZZNS1_14partition_implILS5_9ELb0ES3_jPlS8_PNS0_10empty_typeENS0_5tupleIJS8_S9_EEENSB_IJS8_SA_EEENS0_18inequality_wrapperIZN2at6native12_GLOBAL__N_124unique_dim_cuda_templateIsEESt5tupleIJNSF_6TensorESK_SK_EERKSK_lbbbEUlllE0_EEPmJS9_EEE10hipError_tPvRmT3_T4_T5_T6_T7_T9_mT8_P12ihipStream_tbDpT10_ENKUlT_T0_E_clISt17integral_constantIbLb0EES1A_EEDaS15_S16_EUlS15_E_NS1_11comp_targetILNS1_3genE5ELNS1_11target_archE942ELNS1_3gpuE9ELNS1_3repE0EEENS1_30default_config_static_selectorELNS0_4arch9wavefront6targetE1EEEvT1_.uses_vcc, 0
	.set _ZN7rocprim17ROCPRIM_400000_NS6detail17trampoline_kernelINS0_14default_configENS1_25partition_config_selectorILNS1_17partition_subalgoE9EllbEEZZNS1_14partition_implILS5_9ELb0ES3_jPlS8_PNS0_10empty_typeENS0_5tupleIJS8_S9_EEENSB_IJS8_SA_EEENS0_18inequality_wrapperIZN2at6native12_GLOBAL__N_124unique_dim_cuda_templateIsEESt5tupleIJNSF_6TensorESK_SK_EERKSK_lbbbEUlllE0_EEPmJS9_EEE10hipError_tPvRmT3_T4_T5_T6_T7_T9_mT8_P12ihipStream_tbDpT10_ENKUlT_T0_E_clISt17integral_constantIbLb0EES1A_EEDaS15_S16_EUlS15_E_NS1_11comp_targetILNS1_3genE5ELNS1_11target_archE942ELNS1_3gpuE9ELNS1_3repE0EEENS1_30default_config_static_selectorELNS0_4arch9wavefront6targetE1EEEvT1_.uses_flat_scratch, 0
	.set _ZN7rocprim17ROCPRIM_400000_NS6detail17trampoline_kernelINS0_14default_configENS1_25partition_config_selectorILNS1_17partition_subalgoE9EllbEEZZNS1_14partition_implILS5_9ELb0ES3_jPlS8_PNS0_10empty_typeENS0_5tupleIJS8_S9_EEENSB_IJS8_SA_EEENS0_18inequality_wrapperIZN2at6native12_GLOBAL__N_124unique_dim_cuda_templateIsEESt5tupleIJNSF_6TensorESK_SK_EERKSK_lbbbEUlllE0_EEPmJS9_EEE10hipError_tPvRmT3_T4_T5_T6_T7_T9_mT8_P12ihipStream_tbDpT10_ENKUlT_T0_E_clISt17integral_constantIbLb0EES1A_EEDaS15_S16_EUlS15_E_NS1_11comp_targetILNS1_3genE5ELNS1_11target_archE942ELNS1_3gpuE9ELNS1_3repE0EEENS1_30default_config_static_selectorELNS0_4arch9wavefront6targetE1EEEvT1_.has_dyn_sized_stack, 0
	.set _ZN7rocprim17ROCPRIM_400000_NS6detail17trampoline_kernelINS0_14default_configENS1_25partition_config_selectorILNS1_17partition_subalgoE9EllbEEZZNS1_14partition_implILS5_9ELb0ES3_jPlS8_PNS0_10empty_typeENS0_5tupleIJS8_S9_EEENSB_IJS8_SA_EEENS0_18inequality_wrapperIZN2at6native12_GLOBAL__N_124unique_dim_cuda_templateIsEESt5tupleIJNSF_6TensorESK_SK_EERKSK_lbbbEUlllE0_EEPmJS9_EEE10hipError_tPvRmT3_T4_T5_T6_T7_T9_mT8_P12ihipStream_tbDpT10_ENKUlT_T0_E_clISt17integral_constantIbLb0EES1A_EEDaS15_S16_EUlS15_E_NS1_11comp_targetILNS1_3genE5ELNS1_11target_archE942ELNS1_3gpuE9ELNS1_3repE0EEENS1_30default_config_static_selectorELNS0_4arch9wavefront6targetE1EEEvT1_.has_recursion, 0
	.set _ZN7rocprim17ROCPRIM_400000_NS6detail17trampoline_kernelINS0_14default_configENS1_25partition_config_selectorILNS1_17partition_subalgoE9EllbEEZZNS1_14partition_implILS5_9ELb0ES3_jPlS8_PNS0_10empty_typeENS0_5tupleIJS8_S9_EEENSB_IJS8_SA_EEENS0_18inequality_wrapperIZN2at6native12_GLOBAL__N_124unique_dim_cuda_templateIsEESt5tupleIJNSF_6TensorESK_SK_EERKSK_lbbbEUlllE0_EEPmJS9_EEE10hipError_tPvRmT3_T4_T5_T6_T7_T9_mT8_P12ihipStream_tbDpT10_ENKUlT_T0_E_clISt17integral_constantIbLb0EES1A_EEDaS15_S16_EUlS15_E_NS1_11comp_targetILNS1_3genE5ELNS1_11target_archE942ELNS1_3gpuE9ELNS1_3repE0EEENS1_30default_config_static_selectorELNS0_4arch9wavefront6targetE1EEEvT1_.has_indirect_call, 0
	.section	.AMDGPU.csdata,"",@progbits
; Kernel info:
; codeLenInByte = 0
; TotalNumSgprs: 6
; NumVgprs: 0
; NumAgprs: 0
; TotalNumVgprs: 0
; ScratchSize: 0
; MemoryBound: 0
; FloatMode: 240
; IeeeMode: 1
; LDSByteSize: 0 bytes/workgroup (compile time only)
; SGPRBlocks: 0
; VGPRBlocks: 0
; NumSGPRsForWavesPerEU: 6
; NumVGPRsForWavesPerEU: 1
; AccumOffset: 4
; Occupancy: 8
; WaveLimiterHint : 0
; COMPUTE_PGM_RSRC2:SCRATCH_EN: 0
; COMPUTE_PGM_RSRC2:USER_SGPR: 2
; COMPUTE_PGM_RSRC2:TRAP_HANDLER: 0
; COMPUTE_PGM_RSRC2:TGID_X_EN: 1
; COMPUTE_PGM_RSRC2:TGID_Y_EN: 0
; COMPUTE_PGM_RSRC2:TGID_Z_EN: 0
; COMPUTE_PGM_RSRC2:TIDIG_COMP_CNT: 0
; COMPUTE_PGM_RSRC3_GFX90A:ACCUM_OFFSET: 0
; COMPUTE_PGM_RSRC3_GFX90A:TG_SPLIT: 0
	.section	.text._ZN7rocprim17ROCPRIM_400000_NS6detail17trampoline_kernelINS0_14default_configENS1_25partition_config_selectorILNS1_17partition_subalgoE9EllbEEZZNS1_14partition_implILS5_9ELb0ES3_jPlS8_PNS0_10empty_typeENS0_5tupleIJS8_S9_EEENSB_IJS8_SA_EEENS0_18inequality_wrapperIZN2at6native12_GLOBAL__N_124unique_dim_cuda_templateIsEESt5tupleIJNSF_6TensorESK_SK_EERKSK_lbbbEUlllE0_EEPmJS9_EEE10hipError_tPvRmT3_T4_T5_T6_T7_T9_mT8_P12ihipStream_tbDpT10_ENKUlT_T0_E_clISt17integral_constantIbLb0EES1A_EEDaS15_S16_EUlS15_E_NS1_11comp_targetILNS1_3genE4ELNS1_11target_archE910ELNS1_3gpuE8ELNS1_3repE0EEENS1_30default_config_static_selectorELNS0_4arch9wavefront6targetE1EEEvT1_,"axG",@progbits,_ZN7rocprim17ROCPRIM_400000_NS6detail17trampoline_kernelINS0_14default_configENS1_25partition_config_selectorILNS1_17partition_subalgoE9EllbEEZZNS1_14partition_implILS5_9ELb0ES3_jPlS8_PNS0_10empty_typeENS0_5tupleIJS8_S9_EEENSB_IJS8_SA_EEENS0_18inequality_wrapperIZN2at6native12_GLOBAL__N_124unique_dim_cuda_templateIsEESt5tupleIJNSF_6TensorESK_SK_EERKSK_lbbbEUlllE0_EEPmJS9_EEE10hipError_tPvRmT3_T4_T5_T6_T7_T9_mT8_P12ihipStream_tbDpT10_ENKUlT_T0_E_clISt17integral_constantIbLb0EES1A_EEDaS15_S16_EUlS15_E_NS1_11comp_targetILNS1_3genE4ELNS1_11target_archE910ELNS1_3gpuE8ELNS1_3repE0EEENS1_30default_config_static_selectorELNS0_4arch9wavefront6targetE1EEEvT1_,comdat
	.globl	_ZN7rocprim17ROCPRIM_400000_NS6detail17trampoline_kernelINS0_14default_configENS1_25partition_config_selectorILNS1_17partition_subalgoE9EllbEEZZNS1_14partition_implILS5_9ELb0ES3_jPlS8_PNS0_10empty_typeENS0_5tupleIJS8_S9_EEENSB_IJS8_SA_EEENS0_18inequality_wrapperIZN2at6native12_GLOBAL__N_124unique_dim_cuda_templateIsEESt5tupleIJNSF_6TensorESK_SK_EERKSK_lbbbEUlllE0_EEPmJS9_EEE10hipError_tPvRmT3_T4_T5_T6_T7_T9_mT8_P12ihipStream_tbDpT10_ENKUlT_T0_E_clISt17integral_constantIbLb0EES1A_EEDaS15_S16_EUlS15_E_NS1_11comp_targetILNS1_3genE4ELNS1_11target_archE910ELNS1_3gpuE8ELNS1_3repE0EEENS1_30default_config_static_selectorELNS0_4arch9wavefront6targetE1EEEvT1_ ; -- Begin function _ZN7rocprim17ROCPRIM_400000_NS6detail17trampoline_kernelINS0_14default_configENS1_25partition_config_selectorILNS1_17partition_subalgoE9EllbEEZZNS1_14partition_implILS5_9ELb0ES3_jPlS8_PNS0_10empty_typeENS0_5tupleIJS8_S9_EEENSB_IJS8_SA_EEENS0_18inequality_wrapperIZN2at6native12_GLOBAL__N_124unique_dim_cuda_templateIsEESt5tupleIJNSF_6TensorESK_SK_EERKSK_lbbbEUlllE0_EEPmJS9_EEE10hipError_tPvRmT3_T4_T5_T6_T7_T9_mT8_P12ihipStream_tbDpT10_ENKUlT_T0_E_clISt17integral_constantIbLb0EES1A_EEDaS15_S16_EUlS15_E_NS1_11comp_targetILNS1_3genE4ELNS1_11target_archE910ELNS1_3gpuE8ELNS1_3repE0EEENS1_30default_config_static_selectorELNS0_4arch9wavefront6targetE1EEEvT1_
	.p2align	8
	.type	_ZN7rocprim17ROCPRIM_400000_NS6detail17trampoline_kernelINS0_14default_configENS1_25partition_config_selectorILNS1_17partition_subalgoE9EllbEEZZNS1_14partition_implILS5_9ELb0ES3_jPlS8_PNS0_10empty_typeENS0_5tupleIJS8_S9_EEENSB_IJS8_SA_EEENS0_18inequality_wrapperIZN2at6native12_GLOBAL__N_124unique_dim_cuda_templateIsEESt5tupleIJNSF_6TensorESK_SK_EERKSK_lbbbEUlllE0_EEPmJS9_EEE10hipError_tPvRmT3_T4_T5_T6_T7_T9_mT8_P12ihipStream_tbDpT10_ENKUlT_T0_E_clISt17integral_constantIbLb0EES1A_EEDaS15_S16_EUlS15_E_NS1_11comp_targetILNS1_3genE4ELNS1_11target_archE910ELNS1_3gpuE8ELNS1_3repE0EEENS1_30default_config_static_selectorELNS0_4arch9wavefront6targetE1EEEvT1_,@function
_ZN7rocprim17ROCPRIM_400000_NS6detail17trampoline_kernelINS0_14default_configENS1_25partition_config_selectorILNS1_17partition_subalgoE9EllbEEZZNS1_14partition_implILS5_9ELb0ES3_jPlS8_PNS0_10empty_typeENS0_5tupleIJS8_S9_EEENSB_IJS8_SA_EEENS0_18inequality_wrapperIZN2at6native12_GLOBAL__N_124unique_dim_cuda_templateIsEESt5tupleIJNSF_6TensorESK_SK_EERKSK_lbbbEUlllE0_EEPmJS9_EEE10hipError_tPvRmT3_T4_T5_T6_T7_T9_mT8_P12ihipStream_tbDpT10_ENKUlT_T0_E_clISt17integral_constantIbLb0EES1A_EEDaS15_S16_EUlS15_E_NS1_11comp_targetILNS1_3genE4ELNS1_11target_archE910ELNS1_3gpuE8ELNS1_3repE0EEENS1_30default_config_static_selectorELNS0_4arch9wavefront6targetE1EEEvT1_: ; @_ZN7rocprim17ROCPRIM_400000_NS6detail17trampoline_kernelINS0_14default_configENS1_25partition_config_selectorILNS1_17partition_subalgoE9EllbEEZZNS1_14partition_implILS5_9ELb0ES3_jPlS8_PNS0_10empty_typeENS0_5tupleIJS8_S9_EEENSB_IJS8_SA_EEENS0_18inequality_wrapperIZN2at6native12_GLOBAL__N_124unique_dim_cuda_templateIsEESt5tupleIJNSF_6TensorESK_SK_EERKSK_lbbbEUlllE0_EEPmJS9_EEE10hipError_tPvRmT3_T4_T5_T6_T7_T9_mT8_P12ihipStream_tbDpT10_ENKUlT_T0_E_clISt17integral_constantIbLb0EES1A_EEDaS15_S16_EUlS15_E_NS1_11comp_targetILNS1_3genE4ELNS1_11target_archE910ELNS1_3gpuE8ELNS1_3repE0EEENS1_30default_config_static_selectorELNS0_4arch9wavefront6targetE1EEEvT1_
; %bb.0:
	.section	.rodata,"a",@progbits
	.p2align	6, 0x0
	.amdhsa_kernel _ZN7rocprim17ROCPRIM_400000_NS6detail17trampoline_kernelINS0_14default_configENS1_25partition_config_selectorILNS1_17partition_subalgoE9EllbEEZZNS1_14partition_implILS5_9ELb0ES3_jPlS8_PNS0_10empty_typeENS0_5tupleIJS8_S9_EEENSB_IJS8_SA_EEENS0_18inequality_wrapperIZN2at6native12_GLOBAL__N_124unique_dim_cuda_templateIsEESt5tupleIJNSF_6TensorESK_SK_EERKSK_lbbbEUlllE0_EEPmJS9_EEE10hipError_tPvRmT3_T4_T5_T6_T7_T9_mT8_P12ihipStream_tbDpT10_ENKUlT_T0_E_clISt17integral_constantIbLb0EES1A_EEDaS15_S16_EUlS15_E_NS1_11comp_targetILNS1_3genE4ELNS1_11target_archE910ELNS1_3gpuE8ELNS1_3repE0EEENS1_30default_config_static_selectorELNS0_4arch9wavefront6targetE1EEEvT1_
		.amdhsa_group_segment_fixed_size 0
		.amdhsa_private_segment_fixed_size 0
		.amdhsa_kernarg_size 120
		.amdhsa_user_sgpr_count 2
		.amdhsa_user_sgpr_dispatch_ptr 0
		.amdhsa_user_sgpr_queue_ptr 0
		.amdhsa_user_sgpr_kernarg_segment_ptr 1
		.amdhsa_user_sgpr_dispatch_id 0
		.amdhsa_user_sgpr_kernarg_preload_length 0
		.amdhsa_user_sgpr_kernarg_preload_offset 0
		.amdhsa_user_sgpr_private_segment_size 0
		.amdhsa_uses_dynamic_stack 0
		.amdhsa_enable_private_segment 0
		.amdhsa_system_sgpr_workgroup_id_x 1
		.amdhsa_system_sgpr_workgroup_id_y 0
		.amdhsa_system_sgpr_workgroup_id_z 0
		.amdhsa_system_sgpr_workgroup_info 0
		.amdhsa_system_vgpr_workitem_id 0
		.amdhsa_next_free_vgpr 1
		.amdhsa_next_free_sgpr 0
		.amdhsa_accum_offset 4
		.amdhsa_reserve_vcc 0
		.amdhsa_float_round_mode_32 0
		.amdhsa_float_round_mode_16_64 0
		.amdhsa_float_denorm_mode_32 3
		.amdhsa_float_denorm_mode_16_64 3
		.amdhsa_dx10_clamp 1
		.amdhsa_ieee_mode 1
		.amdhsa_fp16_overflow 0
		.amdhsa_tg_split 0
		.amdhsa_exception_fp_ieee_invalid_op 0
		.amdhsa_exception_fp_denorm_src 0
		.amdhsa_exception_fp_ieee_div_zero 0
		.amdhsa_exception_fp_ieee_overflow 0
		.amdhsa_exception_fp_ieee_underflow 0
		.amdhsa_exception_fp_ieee_inexact 0
		.amdhsa_exception_int_div_zero 0
	.end_amdhsa_kernel
	.section	.text._ZN7rocprim17ROCPRIM_400000_NS6detail17trampoline_kernelINS0_14default_configENS1_25partition_config_selectorILNS1_17partition_subalgoE9EllbEEZZNS1_14partition_implILS5_9ELb0ES3_jPlS8_PNS0_10empty_typeENS0_5tupleIJS8_S9_EEENSB_IJS8_SA_EEENS0_18inequality_wrapperIZN2at6native12_GLOBAL__N_124unique_dim_cuda_templateIsEESt5tupleIJNSF_6TensorESK_SK_EERKSK_lbbbEUlllE0_EEPmJS9_EEE10hipError_tPvRmT3_T4_T5_T6_T7_T9_mT8_P12ihipStream_tbDpT10_ENKUlT_T0_E_clISt17integral_constantIbLb0EES1A_EEDaS15_S16_EUlS15_E_NS1_11comp_targetILNS1_3genE4ELNS1_11target_archE910ELNS1_3gpuE8ELNS1_3repE0EEENS1_30default_config_static_selectorELNS0_4arch9wavefront6targetE1EEEvT1_,"axG",@progbits,_ZN7rocprim17ROCPRIM_400000_NS6detail17trampoline_kernelINS0_14default_configENS1_25partition_config_selectorILNS1_17partition_subalgoE9EllbEEZZNS1_14partition_implILS5_9ELb0ES3_jPlS8_PNS0_10empty_typeENS0_5tupleIJS8_S9_EEENSB_IJS8_SA_EEENS0_18inequality_wrapperIZN2at6native12_GLOBAL__N_124unique_dim_cuda_templateIsEESt5tupleIJNSF_6TensorESK_SK_EERKSK_lbbbEUlllE0_EEPmJS9_EEE10hipError_tPvRmT3_T4_T5_T6_T7_T9_mT8_P12ihipStream_tbDpT10_ENKUlT_T0_E_clISt17integral_constantIbLb0EES1A_EEDaS15_S16_EUlS15_E_NS1_11comp_targetILNS1_3genE4ELNS1_11target_archE910ELNS1_3gpuE8ELNS1_3repE0EEENS1_30default_config_static_selectorELNS0_4arch9wavefront6targetE1EEEvT1_,comdat
.Lfunc_end719:
	.size	_ZN7rocprim17ROCPRIM_400000_NS6detail17trampoline_kernelINS0_14default_configENS1_25partition_config_selectorILNS1_17partition_subalgoE9EllbEEZZNS1_14partition_implILS5_9ELb0ES3_jPlS8_PNS0_10empty_typeENS0_5tupleIJS8_S9_EEENSB_IJS8_SA_EEENS0_18inequality_wrapperIZN2at6native12_GLOBAL__N_124unique_dim_cuda_templateIsEESt5tupleIJNSF_6TensorESK_SK_EERKSK_lbbbEUlllE0_EEPmJS9_EEE10hipError_tPvRmT3_T4_T5_T6_T7_T9_mT8_P12ihipStream_tbDpT10_ENKUlT_T0_E_clISt17integral_constantIbLb0EES1A_EEDaS15_S16_EUlS15_E_NS1_11comp_targetILNS1_3genE4ELNS1_11target_archE910ELNS1_3gpuE8ELNS1_3repE0EEENS1_30default_config_static_selectorELNS0_4arch9wavefront6targetE1EEEvT1_, .Lfunc_end719-_ZN7rocprim17ROCPRIM_400000_NS6detail17trampoline_kernelINS0_14default_configENS1_25partition_config_selectorILNS1_17partition_subalgoE9EllbEEZZNS1_14partition_implILS5_9ELb0ES3_jPlS8_PNS0_10empty_typeENS0_5tupleIJS8_S9_EEENSB_IJS8_SA_EEENS0_18inequality_wrapperIZN2at6native12_GLOBAL__N_124unique_dim_cuda_templateIsEESt5tupleIJNSF_6TensorESK_SK_EERKSK_lbbbEUlllE0_EEPmJS9_EEE10hipError_tPvRmT3_T4_T5_T6_T7_T9_mT8_P12ihipStream_tbDpT10_ENKUlT_T0_E_clISt17integral_constantIbLb0EES1A_EEDaS15_S16_EUlS15_E_NS1_11comp_targetILNS1_3genE4ELNS1_11target_archE910ELNS1_3gpuE8ELNS1_3repE0EEENS1_30default_config_static_selectorELNS0_4arch9wavefront6targetE1EEEvT1_
                                        ; -- End function
	.set _ZN7rocprim17ROCPRIM_400000_NS6detail17trampoline_kernelINS0_14default_configENS1_25partition_config_selectorILNS1_17partition_subalgoE9EllbEEZZNS1_14partition_implILS5_9ELb0ES3_jPlS8_PNS0_10empty_typeENS0_5tupleIJS8_S9_EEENSB_IJS8_SA_EEENS0_18inequality_wrapperIZN2at6native12_GLOBAL__N_124unique_dim_cuda_templateIsEESt5tupleIJNSF_6TensorESK_SK_EERKSK_lbbbEUlllE0_EEPmJS9_EEE10hipError_tPvRmT3_T4_T5_T6_T7_T9_mT8_P12ihipStream_tbDpT10_ENKUlT_T0_E_clISt17integral_constantIbLb0EES1A_EEDaS15_S16_EUlS15_E_NS1_11comp_targetILNS1_3genE4ELNS1_11target_archE910ELNS1_3gpuE8ELNS1_3repE0EEENS1_30default_config_static_selectorELNS0_4arch9wavefront6targetE1EEEvT1_.num_vgpr, 0
	.set _ZN7rocprim17ROCPRIM_400000_NS6detail17trampoline_kernelINS0_14default_configENS1_25partition_config_selectorILNS1_17partition_subalgoE9EllbEEZZNS1_14partition_implILS5_9ELb0ES3_jPlS8_PNS0_10empty_typeENS0_5tupleIJS8_S9_EEENSB_IJS8_SA_EEENS0_18inequality_wrapperIZN2at6native12_GLOBAL__N_124unique_dim_cuda_templateIsEESt5tupleIJNSF_6TensorESK_SK_EERKSK_lbbbEUlllE0_EEPmJS9_EEE10hipError_tPvRmT3_T4_T5_T6_T7_T9_mT8_P12ihipStream_tbDpT10_ENKUlT_T0_E_clISt17integral_constantIbLb0EES1A_EEDaS15_S16_EUlS15_E_NS1_11comp_targetILNS1_3genE4ELNS1_11target_archE910ELNS1_3gpuE8ELNS1_3repE0EEENS1_30default_config_static_selectorELNS0_4arch9wavefront6targetE1EEEvT1_.num_agpr, 0
	.set _ZN7rocprim17ROCPRIM_400000_NS6detail17trampoline_kernelINS0_14default_configENS1_25partition_config_selectorILNS1_17partition_subalgoE9EllbEEZZNS1_14partition_implILS5_9ELb0ES3_jPlS8_PNS0_10empty_typeENS0_5tupleIJS8_S9_EEENSB_IJS8_SA_EEENS0_18inequality_wrapperIZN2at6native12_GLOBAL__N_124unique_dim_cuda_templateIsEESt5tupleIJNSF_6TensorESK_SK_EERKSK_lbbbEUlllE0_EEPmJS9_EEE10hipError_tPvRmT3_T4_T5_T6_T7_T9_mT8_P12ihipStream_tbDpT10_ENKUlT_T0_E_clISt17integral_constantIbLb0EES1A_EEDaS15_S16_EUlS15_E_NS1_11comp_targetILNS1_3genE4ELNS1_11target_archE910ELNS1_3gpuE8ELNS1_3repE0EEENS1_30default_config_static_selectorELNS0_4arch9wavefront6targetE1EEEvT1_.numbered_sgpr, 0
	.set _ZN7rocprim17ROCPRIM_400000_NS6detail17trampoline_kernelINS0_14default_configENS1_25partition_config_selectorILNS1_17partition_subalgoE9EllbEEZZNS1_14partition_implILS5_9ELb0ES3_jPlS8_PNS0_10empty_typeENS0_5tupleIJS8_S9_EEENSB_IJS8_SA_EEENS0_18inequality_wrapperIZN2at6native12_GLOBAL__N_124unique_dim_cuda_templateIsEESt5tupleIJNSF_6TensorESK_SK_EERKSK_lbbbEUlllE0_EEPmJS9_EEE10hipError_tPvRmT3_T4_T5_T6_T7_T9_mT8_P12ihipStream_tbDpT10_ENKUlT_T0_E_clISt17integral_constantIbLb0EES1A_EEDaS15_S16_EUlS15_E_NS1_11comp_targetILNS1_3genE4ELNS1_11target_archE910ELNS1_3gpuE8ELNS1_3repE0EEENS1_30default_config_static_selectorELNS0_4arch9wavefront6targetE1EEEvT1_.num_named_barrier, 0
	.set _ZN7rocprim17ROCPRIM_400000_NS6detail17trampoline_kernelINS0_14default_configENS1_25partition_config_selectorILNS1_17partition_subalgoE9EllbEEZZNS1_14partition_implILS5_9ELb0ES3_jPlS8_PNS0_10empty_typeENS0_5tupleIJS8_S9_EEENSB_IJS8_SA_EEENS0_18inequality_wrapperIZN2at6native12_GLOBAL__N_124unique_dim_cuda_templateIsEESt5tupleIJNSF_6TensorESK_SK_EERKSK_lbbbEUlllE0_EEPmJS9_EEE10hipError_tPvRmT3_T4_T5_T6_T7_T9_mT8_P12ihipStream_tbDpT10_ENKUlT_T0_E_clISt17integral_constantIbLb0EES1A_EEDaS15_S16_EUlS15_E_NS1_11comp_targetILNS1_3genE4ELNS1_11target_archE910ELNS1_3gpuE8ELNS1_3repE0EEENS1_30default_config_static_selectorELNS0_4arch9wavefront6targetE1EEEvT1_.private_seg_size, 0
	.set _ZN7rocprim17ROCPRIM_400000_NS6detail17trampoline_kernelINS0_14default_configENS1_25partition_config_selectorILNS1_17partition_subalgoE9EllbEEZZNS1_14partition_implILS5_9ELb0ES3_jPlS8_PNS0_10empty_typeENS0_5tupleIJS8_S9_EEENSB_IJS8_SA_EEENS0_18inequality_wrapperIZN2at6native12_GLOBAL__N_124unique_dim_cuda_templateIsEESt5tupleIJNSF_6TensorESK_SK_EERKSK_lbbbEUlllE0_EEPmJS9_EEE10hipError_tPvRmT3_T4_T5_T6_T7_T9_mT8_P12ihipStream_tbDpT10_ENKUlT_T0_E_clISt17integral_constantIbLb0EES1A_EEDaS15_S16_EUlS15_E_NS1_11comp_targetILNS1_3genE4ELNS1_11target_archE910ELNS1_3gpuE8ELNS1_3repE0EEENS1_30default_config_static_selectorELNS0_4arch9wavefront6targetE1EEEvT1_.uses_vcc, 0
	.set _ZN7rocprim17ROCPRIM_400000_NS6detail17trampoline_kernelINS0_14default_configENS1_25partition_config_selectorILNS1_17partition_subalgoE9EllbEEZZNS1_14partition_implILS5_9ELb0ES3_jPlS8_PNS0_10empty_typeENS0_5tupleIJS8_S9_EEENSB_IJS8_SA_EEENS0_18inequality_wrapperIZN2at6native12_GLOBAL__N_124unique_dim_cuda_templateIsEESt5tupleIJNSF_6TensorESK_SK_EERKSK_lbbbEUlllE0_EEPmJS9_EEE10hipError_tPvRmT3_T4_T5_T6_T7_T9_mT8_P12ihipStream_tbDpT10_ENKUlT_T0_E_clISt17integral_constantIbLb0EES1A_EEDaS15_S16_EUlS15_E_NS1_11comp_targetILNS1_3genE4ELNS1_11target_archE910ELNS1_3gpuE8ELNS1_3repE0EEENS1_30default_config_static_selectorELNS0_4arch9wavefront6targetE1EEEvT1_.uses_flat_scratch, 0
	.set _ZN7rocprim17ROCPRIM_400000_NS6detail17trampoline_kernelINS0_14default_configENS1_25partition_config_selectorILNS1_17partition_subalgoE9EllbEEZZNS1_14partition_implILS5_9ELb0ES3_jPlS8_PNS0_10empty_typeENS0_5tupleIJS8_S9_EEENSB_IJS8_SA_EEENS0_18inequality_wrapperIZN2at6native12_GLOBAL__N_124unique_dim_cuda_templateIsEESt5tupleIJNSF_6TensorESK_SK_EERKSK_lbbbEUlllE0_EEPmJS9_EEE10hipError_tPvRmT3_T4_T5_T6_T7_T9_mT8_P12ihipStream_tbDpT10_ENKUlT_T0_E_clISt17integral_constantIbLb0EES1A_EEDaS15_S16_EUlS15_E_NS1_11comp_targetILNS1_3genE4ELNS1_11target_archE910ELNS1_3gpuE8ELNS1_3repE0EEENS1_30default_config_static_selectorELNS0_4arch9wavefront6targetE1EEEvT1_.has_dyn_sized_stack, 0
	.set _ZN7rocprim17ROCPRIM_400000_NS6detail17trampoline_kernelINS0_14default_configENS1_25partition_config_selectorILNS1_17partition_subalgoE9EllbEEZZNS1_14partition_implILS5_9ELb0ES3_jPlS8_PNS0_10empty_typeENS0_5tupleIJS8_S9_EEENSB_IJS8_SA_EEENS0_18inequality_wrapperIZN2at6native12_GLOBAL__N_124unique_dim_cuda_templateIsEESt5tupleIJNSF_6TensorESK_SK_EERKSK_lbbbEUlllE0_EEPmJS9_EEE10hipError_tPvRmT3_T4_T5_T6_T7_T9_mT8_P12ihipStream_tbDpT10_ENKUlT_T0_E_clISt17integral_constantIbLb0EES1A_EEDaS15_S16_EUlS15_E_NS1_11comp_targetILNS1_3genE4ELNS1_11target_archE910ELNS1_3gpuE8ELNS1_3repE0EEENS1_30default_config_static_selectorELNS0_4arch9wavefront6targetE1EEEvT1_.has_recursion, 0
	.set _ZN7rocprim17ROCPRIM_400000_NS6detail17trampoline_kernelINS0_14default_configENS1_25partition_config_selectorILNS1_17partition_subalgoE9EllbEEZZNS1_14partition_implILS5_9ELb0ES3_jPlS8_PNS0_10empty_typeENS0_5tupleIJS8_S9_EEENSB_IJS8_SA_EEENS0_18inequality_wrapperIZN2at6native12_GLOBAL__N_124unique_dim_cuda_templateIsEESt5tupleIJNSF_6TensorESK_SK_EERKSK_lbbbEUlllE0_EEPmJS9_EEE10hipError_tPvRmT3_T4_T5_T6_T7_T9_mT8_P12ihipStream_tbDpT10_ENKUlT_T0_E_clISt17integral_constantIbLb0EES1A_EEDaS15_S16_EUlS15_E_NS1_11comp_targetILNS1_3genE4ELNS1_11target_archE910ELNS1_3gpuE8ELNS1_3repE0EEENS1_30default_config_static_selectorELNS0_4arch9wavefront6targetE1EEEvT1_.has_indirect_call, 0
	.section	.AMDGPU.csdata,"",@progbits
; Kernel info:
; codeLenInByte = 0
; TotalNumSgprs: 6
; NumVgprs: 0
; NumAgprs: 0
; TotalNumVgprs: 0
; ScratchSize: 0
; MemoryBound: 0
; FloatMode: 240
; IeeeMode: 1
; LDSByteSize: 0 bytes/workgroup (compile time only)
; SGPRBlocks: 0
; VGPRBlocks: 0
; NumSGPRsForWavesPerEU: 6
; NumVGPRsForWavesPerEU: 1
; AccumOffset: 4
; Occupancy: 8
; WaveLimiterHint : 0
; COMPUTE_PGM_RSRC2:SCRATCH_EN: 0
; COMPUTE_PGM_RSRC2:USER_SGPR: 2
; COMPUTE_PGM_RSRC2:TRAP_HANDLER: 0
; COMPUTE_PGM_RSRC2:TGID_X_EN: 1
; COMPUTE_PGM_RSRC2:TGID_Y_EN: 0
; COMPUTE_PGM_RSRC2:TGID_Z_EN: 0
; COMPUTE_PGM_RSRC2:TIDIG_COMP_CNT: 0
; COMPUTE_PGM_RSRC3_GFX90A:ACCUM_OFFSET: 0
; COMPUTE_PGM_RSRC3_GFX90A:TG_SPLIT: 0
	.section	.text._ZN7rocprim17ROCPRIM_400000_NS6detail17trampoline_kernelINS0_14default_configENS1_25partition_config_selectorILNS1_17partition_subalgoE9EllbEEZZNS1_14partition_implILS5_9ELb0ES3_jPlS8_PNS0_10empty_typeENS0_5tupleIJS8_S9_EEENSB_IJS8_SA_EEENS0_18inequality_wrapperIZN2at6native12_GLOBAL__N_124unique_dim_cuda_templateIsEESt5tupleIJNSF_6TensorESK_SK_EERKSK_lbbbEUlllE0_EEPmJS9_EEE10hipError_tPvRmT3_T4_T5_T6_T7_T9_mT8_P12ihipStream_tbDpT10_ENKUlT_T0_E_clISt17integral_constantIbLb0EES1A_EEDaS15_S16_EUlS15_E_NS1_11comp_targetILNS1_3genE3ELNS1_11target_archE908ELNS1_3gpuE7ELNS1_3repE0EEENS1_30default_config_static_selectorELNS0_4arch9wavefront6targetE1EEEvT1_,"axG",@progbits,_ZN7rocprim17ROCPRIM_400000_NS6detail17trampoline_kernelINS0_14default_configENS1_25partition_config_selectorILNS1_17partition_subalgoE9EllbEEZZNS1_14partition_implILS5_9ELb0ES3_jPlS8_PNS0_10empty_typeENS0_5tupleIJS8_S9_EEENSB_IJS8_SA_EEENS0_18inequality_wrapperIZN2at6native12_GLOBAL__N_124unique_dim_cuda_templateIsEESt5tupleIJNSF_6TensorESK_SK_EERKSK_lbbbEUlllE0_EEPmJS9_EEE10hipError_tPvRmT3_T4_T5_T6_T7_T9_mT8_P12ihipStream_tbDpT10_ENKUlT_T0_E_clISt17integral_constantIbLb0EES1A_EEDaS15_S16_EUlS15_E_NS1_11comp_targetILNS1_3genE3ELNS1_11target_archE908ELNS1_3gpuE7ELNS1_3repE0EEENS1_30default_config_static_selectorELNS0_4arch9wavefront6targetE1EEEvT1_,comdat
	.globl	_ZN7rocprim17ROCPRIM_400000_NS6detail17trampoline_kernelINS0_14default_configENS1_25partition_config_selectorILNS1_17partition_subalgoE9EllbEEZZNS1_14partition_implILS5_9ELb0ES3_jPlS8_PNS0_10empty_typeENS0_5tupleIJS8_S9_EEENSB_IJS8_SA_EEENS0_18inequality_wrapperIZN2at6native12_GLOBAL__N_124unique_dim_cuda_templateIsEESt5tupleIJNSF_6TensorESK_SK_EERKSK_lbbbEUlllE0_EEPmJS9_EEE10hipError_tPvRmT3_T4_T5_T6_T7_T9_mT8_P12ihipStream_tbDpT10_ENKUlT_T0_E_clISt17integral_constantIbLb0EES1A_EEDaS15_S16_EUlS15_E_NS1_11comp_targetILNS1_3genE3ELNS1_11target_archE908ELNS1_3gpuE7ELNS1_3repE0EEENS1_30default_config_static_selectorELNS0_4arch9wavefront6targetE1EEEvT1_ ; -- Begin function _ZN7rocprim17ROCPRIM_400000_NS6detail17trampoline_kernelINS0_14default_configENS1_25partition_config_selectorILNS1_17partition_subalgoE9EllbEEZZNS1_14partition_implILS5_9ELb0ES3_jPlS8_PNS0_10empty_typeENS0_5tupleIJS8_S9_EEENSB_IJS8_SA_EEENS0_18inequality_wrapperIZN2at6native12_GLOBAL__N_124unique_dim_cuda_templateIsEESt5tupleIJNSF_6TensorESK_SK_EERKSK_lbbbEUlllE0_EEPmJS9_EEE10hipError_tPvRmT3_T4_T5_T6_T7_T9_mT8_P12ihipStream_tbDpT10_ENKUlT_T0_E_clISt17integral_constantIbLb0EES1A_EEDaS15_S16_EUlS15_E_NS1_11comp_targetILNS1_3genE3ELNS1_11target_archE908ELNS1_3gpuE7ELNS1_3repE0EEENS1_30default_config_static_selectorELNS0_4arch9wavefront6targetE1EEEvT1_
	.p2align	8
	.type	_ZN7rocprim17ROCPRIM_400000_NS6detail17trampoline_kernelINS0_14default_configENS1_25partition_config_selectorILNS1_17partition_subalgoE9EllbEEZZNS1_14partition_implILS5_9ELb0ES3_jPlS8_PNS0_10empty_typeENS0_5tupleIJS8_S9_EEENSB_IJS8_SA_EEENS0_18inequality_wrapperIZN2at6native12_GLOBAL__N_124unique_dim_cuda_templateIsEESt5tupleIJNSF_6TensorESK_SK_EERKSK_lbbbEUlllE0_EEPmJS9_EEE10hipError_tPvRmT3_T4_T5_T6_T7_T9_mT8_P12ihipStream_tbDpT10_ENKUlT_T0_E_clISt17integral_constantIbLb0EES1A_EEDaS15_S16_EUlS15_E_NS1_11comp_targetILNS1_3genE3ELNS1_11target_archE908ELNS1_3gpuE7ELNS1_3repE0EEENS1_30default_config_static_selectorELNS0_4arch9wavefront6targetE1EEEvT1_,@function
_ZN7rocprim17ROCPRIM_400000_NS6detail17trampoline_kernelINS0_14default_configENS1_25partition_config_selectorILNS1_17partition_subalgoE9EllbEEZZNS1_14partition_implILS5_9ELb0ES3_jPlS8_PNS0_10empty_typeENS0_5tupleIJS8_S9_EEENSB_IJS8_SA_EEENS0_18inequality_wrapperIZN2at6native12_GLOBAL__N_124unique_dim_cuda_templateIsEESt5tupleIJNSF_6TensorESK_SK_EERKSK_lbbbEUlllE0_EEPmJS9_EEE10hipError_tPvRmT3_T4_T5_T6_T7_T9_mT8_P12ihipStream_tbDpT10_ENKUlT_T0_E_clISt17integral_constantIbLb0EES1A_EEDaS15_S16_EUlS15_E_NS1_11comp_targetILNS1_3genE3ELNS1_11target_archE908ELNS1_3gpuE7ELNS1_3repE0EEENS1_30default_config_static_selectorELNS0_4arch9wavefront6targetE1EEEvT1_: ; @_ZN7rocprim17ROCPRIM_400000_NS6detail17trampoline_kernelINS0_14default_configENS1_25partition_config_selectorILNS1_17partition_subalgoE9EllbEEZZNS1_14partition_implILS5_9ELb0ES3_jPlS8_PNS0_10empty_typeENS0_5tupleIJS8_S9_EEENSB_IJS8_SA_EEENS0_18inequality_wrapperIZN2at6native12_GLOBAL__N_124unique_dim_cuda_templateIsEESt5tupleIJNSF_6TensorESK_SK_EERKSK_lbbbEUlllE0_EEPmJS9_EEE10hipError_tPvRmT3_T4_T5_T6_T7_T9_mT8_P12ihipStream_tbDpT10_ENKUlT_T0_E_clISt17integral_constantIbLb0EES1A_EEDaS15_S16_EUlS15_E_NS1_11comp_targetILNS1_3genE3ELNS1_11target_archE908ELNS1_3gpuE7ELNS1_3repE0EEENS1_30default_config_static_selectorELNS0_4arch9wavefront6targetE1EEEvT1_
; %bb.0:
	.section	.rodata,"a",@progbits
	.p2align	6, 0x0
	.amdhsa_kernel _ZN7rocprim17ROCPRIM_400000_NS6detail17trampoline_kernelINS0_14default_configENS1_25partition_config_selectorILNS1_17partition_subalgoE9EllbEEZZNS1_14partition_implILS5_9ELb0ES3_jPlS8_PNS0_10empty_typeENS0_5tupleIJS8_S9_EEENSB_IJS8_SA_EEENS0_18inequality_wrapperIZN2at6native12_GLOBAL__N_124unique_dim_cuda_templateIsEESt5tupleIJNSF_6TensorESK_SK_EERKSK_lbbbEUlllE0_EEPmJS9_EEE10hipError_tPvRmT3_T4_T5_T6_T7_T9_mT8_P12ihipStream_tbDpT10_ENKUlT_T0_E_clISt17integral_constantIbLb0EES1A_EEDaS15_S16_EUlS15_E_NS1_11comp_targetILNS1_3genE3ELNS1_11target_archE908ELNS1_3gpuE7ELNS1_3repE0EEENS1_30default_config_static_selectorELNS0_4arch9wavefront6targetE1EEEvT1_
		.amdhsa_group_segment_fixed_size 0
		.amdhsa_private_segment_fixed_size 0
		.amdhsa_kernarg_size 120
		.amdhsa_user_sgpr_count 2
		.amdhsa_user_sgpr_dispatch_ptr 0
		.amdhsa_user_sgpr_queue_ptr 0
		.amdhsa_user_sgpr_kernarg_segment_ptr 1
		.amdhsa_user_sgpr_dispatch_id 0
		.amdhsa_user_sgpr_kernarg_preload_length 0
		.amdhsa_user_sgpr_kernarg_preload_offset 0
		.amdhsa_user_sgpr_private_segment_size 0
		.amdhsa_uses_dynamic_stack 0
		.amdhsa_enable_private_segment 0
		.amdhsa_system_sgpr_workgroup_id_x 1
		.amdhsa_system_sgpr_workgroup_id_y 0
		.amdhsa_system_sgpr_workgroup_id_z 0
		.amdhsa_system_sgpr_workgroup_info 0
		.amdhsa_system_vgpr_workitem_id 0
		.amdhsa_next_free_vgpr 1
		.amdhsa_next_free_sgpr 0
		.amdhsa_accum_offset 4
		.amdhsa_reserve_vcc 0
		.amdhsa_float_round_mode_32 0
		.amdhsa_float_round_mode_16_64 0
		.amdhsa_float_denorm_mode_32 3
		.amdhsa_float_denorm_mode_16_64 3
		.amdhsa_dx10_clamp 1
		.amdhsa_ieee_mode 1
		.amdhsa_fp16_overflow 0
		.amdhsa_tg_split 0
		.amdhsa_exception_fp_ieee_invalid_op 0
		.amdhsa_exception_fp_denorm_src 0
		.amdhsa_exception_fp_ieee_div_zero 0
		.amdhsa_exception_fp_ieee_overflow 0
		.amdhsa_exception_fp_ieee_underflow 0
		.amdhsa_exception_fp_ieee_inexact 0
		.amdhsa_exception_int_div_zero 0
	.end_amdhsa_kernel
	.section	.text._ZN7rocprim17ROCPRIM_400000_NS6detail17trampoline_kernelINS0_14default_configENS1_25partition_config_selectorILNS1_17partition_subalgoE9EllbEEZZNS1_14partition_implILS5_9ELb0ES3_jPlS8_PNS0_10empty_typeENS0_5tupleIJS8_S9_EEENSB_IJS8_SA_EEENS0_18inequality_wrapperIZN2at6native12_GLOBAL__N_124unique_dim_cuda_templateIsEESt5tupleIJNSF_6TensorESK_SK_EERKSK_lbbbEUlllE0_EEPmJS9_EEE10hipError_tPvRmT3_T4_T5_T6_T7_T9_mT8_P12ihipStream_tbDpT10_ENKUlT_T0_E_clISt17integral_constantIbLb0EES1A_EEDaS15_S16_EUlS15_E_NS1_11comp_targetILNS1_3genE3ELNS1_11target_archE908ELNS1_3gpuE7ELNS1_3repE0EEENS1_30default_config_static_selectorELNS0_4arch9wavefront6targetE1EEEvT1_,"axG",@progbits,_ZN7rocprim17ROCPRIM_400000_NS6detail17trampoline_kernelINS0_14default_configENS1_25partition_config_selectorILNS1_17partition_subalgoE9EllbEEZZNS1_14partition_implILS5_9ELb0ES3_jPlS8_PNS0_10empty_typeENS0_5tupleIJS8_S9_EEENSB_IJS8_SA_EEENS0_18inequality_wrapperIZN2at6native12_GLOBAL__N_124unique_dim_cuda_templateIsEESt5tupleIJNSF_6TensorESK_SK_EERKSK_lbbbEUlllE0_EEPmJS9_EEE10hipError_tPvRmT3_T4_T5_T6_T7_T9_mT8_P12ihipStream_tbDpT10_ENKUlT_T0_E_clISt17integral_constantIbLb0EES1A_EEDaS15_S16_EUlS15_E_NS1_11comp_targetILNS1_3genE3ELNS1_11target_archE908ELNS1_3gpuE7ELNS1_3repE0EEENS1_30default_config_static_selectorELNS0_4arch9wavefront6targetE1EEEvT1_,comdat
.Lfunc_end720:
	.size	_ZN7rocprim17ROCPRIM_400000_NS6detail17trampoline_kernelINS0_14default_configENS1_25partition_config_selectorILNS1_17partition_subalgoE9EllbEEZZNS1_14partition_implILS5_9ELb0ES3_jPlS8_PNS0_10empty_typeENS0_5tupleIJS8_S9_EEENSB_IJS8_SA_EEENS0_18inequality_wrapperIZN2at6native12_GLOBAL__N_124unique_dim_cuda_templateIsEESt5tupleIJNSF_6TensorESK_SK_EERKSK_lbbbEUlllE0_EEPmJS9_EEE10hipError_tPvRmT3_T4_T5_T6_T7_T9_mT8_P12ihipStream_tbDpT10_ENKUlT_T0_E_clISt17integral_constantIbLb0EES1A_EEDaS15_S16_EUlS15_E_NS1_11comp_targetILNS1_3genE3ELNS1_11target_archE908ELNS1_3gpuE7ELNS1_3repE0EEENS1_30default_config_static_selectorELNS0_4arch9wavefront6targetE1EEEvT1_, .Lfunc_end720-_ZN7rocprim17ROCPRIM_400000_NS6detail17trampoline_kernelINS0_14default_configENS1_25partition_config_selectorILNS1_17partition_subalgoE9EllbEEZZNS1_14partition_implILS5_9ELb0ES3_jPlS8_PNS0_10empty_typeENS0_5tupleIJS8_S9_EEENSB_IJS8_SA_EEENS0_18inequality_wrapperIZN2at6native12_GLOBAL__N_124unique_dim_cuda_templateIsEESt5tupleIJNSF_6TensorESK_SK_EERKSK_lbbbEUlllE0_EEPmJS9_EEE10hipError_tPvRmT3_T4_T5_T6_T7_T9_mT8_P12ihipStream_tbDpT10_ENKUlT_T0_E_clISt17integral_constantIbLb0EES1A_EEDaS15_S16_EUlS15_E_NS1_11comp_targetILNS1_3genE3ELNS1_11target_archE908ELNS1_3gpuE7ELNS1_3repE0EEENS1_30default_config_static_selectorELNS0_4arch9wavefront6targetE1EEEvT1_
                                        ; -- End function
	.set _ZN7rocprim17ROCPRIM_400000_NS6detail17trampoline_kernelINS0_14default_configENS1_25partition_config_selectorILNS1_17partition_subalgoE9EllbEEZZNS1_14partition_implILS5_9ELb0ES3_jPlS8_PNS0_10empty_typeENS0_5tupleIJS8_S9_EEENSB_IJS8_SA_EEENS0_18inequality_wrapperIZN2at6native12_GLOBAL__N_124unique_dim_cuda_templateIsEESt5tupleIJNSF_6TensorESK_SK_EERKSK_lbbbEUlllE0_EEPmJS9_EEE10hipError_tPvRmT3_T4_T5_T6_T7_T9_mT8_P12ihipStream_tbDpT10_ENKUlT_T0_E_clISt17integral_constantIbLb0EES1A_EEDaS15_S16_EUlS15_E_NS1_11comp_targetILNS1_3genE3ELNS1_11target_archE908ELNS1_3gpuE7ELNS1_3repE0EEENS1_30default_config_static_selectorELNS0_4arch9wavefront6targetE1EEEvT1_.num_vgpr, 0
	.set _ZN7rocprim17ROCPRIM_400000_NS6detail17trampoline_kernelINS0_14default_configENS1_25partition_config_selectorILNS1_17partition_subalgoE9EllbEEZZNS1_14partition_implILS5_9ELb0ES3_jPlS8_PNS0_10empty_typeENS0_5tupleIJS8_S9_EEENSB_IJS8_SA_EEENS0_18inequality_wrapperIZN2at6native12_GLOBAL__N_124unique_dim_cuda_templateIsEESt5tupleIJNSF_6TensorESK_SK_EERKSK_lbbbEUlllE0_EEPmJS9_EEE10hipError_tPvRmT3_T4_T5_T6_T7_T9_mT8_P12ihipStream_tbDpT10_ENKUlT_T0_E_clISt17integral_constantIbLb0EES1A_EEDaS15_S16_EUlS15_E_NS1_11comp_targetILNS1_3genE3ELNS1_11target_archE908ELNS1_3gpuE7ELNS1_3repE0EEENS1_30default_config_static_selectorELNS0_4arch9wavefront6targetE1EEEvT1_.num_agpr, 0
	.set _ZN7rocprim17ROCPRIM_400000_NS6detail17trampoline_kernelINS0_14default_configENS1_25partition_config_selectorILNS1_17partition_subalgoE9EllbEEZZNS1_14partition_implILS5_9ELb0ES3_jPlS8_PNS0_10empty_typeENS0_5tupleIJS8_S9_EEENSB_IJS8_SA_EEENS0_18inequality_wrapperIZN2at6native12_GLOBAL__N_124unique_dim_cuda_templateIsEESt5tupleIJNSF_6TensorESK_SK_EERKSK_lbbbEUlllE0_EEPmJS9_EEE10hipError_tPvRmT3_T4_T5_T6_T7_T9_mT8_P12ihipStream_tbDpT10_ENKUlT_T0_E_clISt17integral_constantIbLb0EES1A_EEDaS15_S16_EUlS15_E_NS1_11comp_targetILNS1_3genE3ELNS1_11target_archE908ELNS1_3gpuE7ELNS1_3repE0EEENS1_30default_config_static_selectorELNS0_4arch9wavefront6targetE1EEEvT1_.numbered_sgpr, 0
	.set _ZN7rocprim17ROCPRIM_400000_NS6detail17trampoline_kernelINS0_14default_configENS1_25partition_config_selectorILNS1_17partition_subalgoE9EllbEEZZNS1_14partition_implILS5_9ELb0ES3_jPlS8_PNS0_10empty_typeENS0_5tupleIJS8_S9_EEENSB_IJS8_SA_EEENS0_18inequality_wrapperIZN2at6native12_GLOBAL__N_124unique_dim_cuda_templateIsEESt5tupleIJNSF_6TensorESK_SK_EERKSK_lbbbEUlllE0_EEPmJS9_EEE10hipError_tPvRmT3_T4_T5_T6_T7_T9_mT8_P12ihipStream_tbDpT10_ENKUlT_T0_E_clISt17integral_constantIbLb0EES1A_EEDaS15_S16_EUlS15_E_NS1_11comp_targetILNS1_3genE3ELNS1_11target_archE908ELNS1_3gpuE7ELNS1_3repE0EEENS1_30default_config_static_selectorELNS0_4arch9wavefront6targetE1EEEvT1_.num_named_barrier, 0
	.set _ZN7rocprim17ROCPRIM_400000_NS6detail17trampoline_kernelINS0_14default_configENS1_25partition_config_selectorILNS1_17partition_subalgoE9EllbEEZZNS1_14partition_implILS5_9ELb0ES3_jPlS8_PNS0_10empty_typeENS0_5tupleIJS8_S9_EEENSB_IJS8_SA_EEENS0_18inequality_wrapperIZN2at6native12_GLOBAL__N_124unique_dim_cuda_templateIsEESt5tupleIJNSF_6TensorESK_SK_EERKSK_lbbbEUlllE0_EEPmJS9_EEE10hipError_tPvRmT3_T4_T5_T6_T7_T9_mT8_P12ihipStream_tbDpT10_ENKUlT_T0_E_clISt17integral_constantIbLb0EES1A_EEDaS15_S16_EUlS15_E_NS1_11comp_targetILNS1_3genE3ELNS1_11target_archE908ELNS1_3gpuE7ELNS1_3repE0EEENS1_30default_config_static_selectorELNS0_4arch9wavefront6targetE1EEEvT1_.private_seg_size, 0
	.set _ZN7rocprim17ROCPRIM_400000_NS6detail17trampoline_kernelINS0_14default_configENS1_25partition_config_selectorILNS1_17partition_subalgoE9EllbEEZZNS1_14partition_implILS5_9ELb0ES3_jPlS8_PNS0_10empty_typeENS0_5tupleIJS8_S9_EEENSB_IJS8_SA_EEENS0_18inequality_wrapperIZN2at6native12_GLOBAL__N_124unique_dim_cuda_templateIsEESt5tupleIJNSF_6TensorESK_SK_EERKSK_lbbbEUlllE0_EEPmJS9_EEE10hipError_tPvRmT3_T4_T5_T6_T7_T9_mT8_P12ihipStream_tbDpT10_ENKUlT_T0_E_clISt17integral_constantIbLb0EES1A_EEDaS15_S16_EUlS15_E_NS1_11comp_targetILNS1_3genE3ELNS1_11target_archE908ELNS1_3gpuE7ELNS1_3repE0EEENS1_30default_config_static_selectorELNS0_4arch9wavefront6targetE1EEEvT1_.uses_vcc, 0
	.set _ZN7rocprim17ROCPRIM_400000_NS6detail17trampoline_kernelINS0_14default_configENS1_25partition_config_selectorILNS1_17partition_subalgoE9EllbEEZZNS1_14partition_implILS5_9ELb0ES3_jPlS8_PNS0_10empty_typeENS0_5tupleIJS8_S9_EEENSB_IJS8_SA_EEENS0_18inequality_wrapperIZN2at6native12_GLOBAL__N_124unique_dim_cuda_templateIsEESt5tupleIJNSF_6TensorESK_SK_EERKSK_lbbbEUlllE0_EEPmJS9_EEE10hipError_tPvRmT3_T4_T5_T6_T7_T9_mT8_P12ihipStream_tbDpT10_ENKUlT_T0_E_clISt17integral_constantIbLb0EES1A_EEDaS15_S16_EUlS15_E_NS1_11comp_targetILNS1_3genE3ELNS1_11target_archE908ELNS1_3gpuE7ELNS1_3repE0EEENS1_30default_config_static_selectorELNS0_4arch9wavefront6targetE1EEEvT1_.uses_flat_scratch, 0
	.set _ZN7rocprim17ROCPRIM_400000_NS6detail17trampoline_kernelINS0_14default_configENS1_25partition_config_selectorILNS1_17partition_subalgoE9EllbEEZZNS1_14partition_implILS5_9ELb0ES3_jPlS8_PNS0_10empty_typeENS0_5tupleIJS8_S9_EEENSB_IJS8_SA_EEENS0_18inequality_wrapperIZN2at6native12_GLOBAL__N_124unique_dim_cuda_templateIsEESt5tupleIJNSF_6TensorESK_SK_EERKSK_lbbbEUlllE0_EEPmJS9_EEE10hipError_tPvRmT3_T4_T5_T6_T7_T9_mT8_P12ihipStream_tbDpT10_ENKUlT_T0_E_clISt17integral_constantIbLb0EES1A_EEDaS15_S16_EUlS15_E_NS1_11comp_targetILNS1_3genE3ELNS1_11target_archE908ELNS1_3gpuE7ELNS1_3repE0EEENS1_30default_config_static_selectorELNS0_4arch9wavefront6targetE1EEEvT1_.has_dyn_sized_stack, 0
	.set _ZN7rocprim17ROCPRIM_400000_NS6detail17trampoline_kernelINS0_14default_configENS1_25partition_config_selectorILNS1_17partition_subalgoE9EllbEEZZNS1_14partition_implILS5_9ELb0ES3_jPlS8_PNS0_10empty_typeENS0_5tupleIJS8_S9_EEENSB_IJS8_SA_EEENS0_18inequality_wrapperIZN2at6native12_GLOBAL__N_124unique_dim_cuda_templateIsEESt5tupleIJNSF_6TensorESK_SK_EERKSK_lbbbEUlllE0_EEPmJS9_EEE10hipError_tPvRmT3_T4_T5_T6_T7_T9_mT8_P12ihipStream_tbDpT10_ENKUlT_T0_E_clISt17integral_constantIbLb0EES1A_EEDaS15_S16_EUlS15_E_NS1_11comp_targetILNS1_3genE3ELNS1_11target_archE908ELNS1_3gpuE7ELNS1_3repE0EEENS1_30default_config_static_selectorELNS0_4arch9wavefront6targetE1EEEvT1_.has_recursion, 0
	.set _ZN7rocprim17ROCPRIM_400000_NS6detail17trampoline_kernelINS0_14default_configENS1_25partition_config_selectorILNS1_17partition_subalgoE9EllbEEZZNS1_14partition_implILS5_9ELb0ES3_jPlS8_PNS0_10empty_typeENS0_5tupleIJS8_S9_EEENSB_IJS8_SA_EEENS0_18inequality_wrapperIZN2at6native12_GLOBAL__N_124unique_dim_cuda_templateIsEESt5tupleIJNSF_6TensorESK_SK_EERKSK_lbbbEUlllE0_EEPmJS9_EEE10hipError_tPvRmT3_T4_T5_T6_T7_T9_mT8_P12ihipStream_tbDpT10_ENKUlT_T0_E_clISt17integral_constantIbLb0EES1A_EEDaS15_S16_EUlS15_E_NS1_11comp_targetILNS1_3genE3ELNS1_11target_archE908ELNS1_3gpuE7ELNS1_3repE0EEENS1_30default_config_static_selectorELNS0_4arch9wavefront6targetE1EEEvT1_.has_indirect_call, 0
	.section	.AMDGPU.csdata,"",@progbits
; Kernel info:
; codeLenInByte = 0
; TotalNumSgprs: 6
; NumVgprs: 0
; NumAgprs: 0
; TotalNumVgprs: 0
; ScratchSize: 0
; MemoryBound: 0
; FloatMode: 240
; IeeeMode: 1
; LDSByteSize: 0 bytes/workgroup (compile time only)
; SGPRBlocks: 0
; VGPRBlocks: 0
; NumSGPRsForWavesPerEU: 6
; NumVGPRsForWavesPerEU: 1
; AccumOffset: 4
; Occupancy: 8
; WaveLimiterHint : 0
; COMPUTE_PGM_RSRC2:SCRATCH_EN: 0
; COMPUTE_PGM_RSRC2:USER_SGPR: 2
; COMPUTE_PGM_RSRC2:TRAP_HANDLER: 0
; COMPUTE_PGM_RSRC2:TGID_X_EN: 1
; COMPUTE_PGM_RSRC2:TGID_Y_EN: 0
; COMPUTE_PGM_RSRC2:TGID_Z_EN: 0
; COMPUTE_PGM_RSRC2:TIDIG_COMP_CNT: 0
; COMPUTE_PGM_RSRC3_GFX90A:ACCUM_OFFSET: 0
; COMPUTE_PGM_RSRC3_GFX90A:TG_SPLIT: 0
	.section	.text._ZN7rocprim17ROCPRIM_400000_NS6detail17trampoline_kernelINS0_14default_configENS1_25partition_config_selectorILNS1_17partition_subalgoE9EllbEEZZNS1_14partition_implILS5_9ELb0ES3_jPlS8_PNS0_10empty_typeENS0_5tupleIJS8_S9_EEENSB_IJS8_SA_EEENS0_18inequality_wrapperIZN2at6native12_GLOBAL__N_124unique_dim_cuda_templateIsEESt5tupleIJNSF_6TensorESK_SK_EERKSK_lbbbEUlllE0_EEPmJS9_EEE10hipError_tPvRmT3_T4_T5_T6_T7_T9_mT8_P12ihipStream_tbDpT10_ENKUlT_T0_E_clISt17integral_constantIbLb0EES1A_EEDaS15_S16_EUlS15_E_NS1_11comp_targetILNS1_3genE2ELNS1_11target_archE906ELNS1_3gpuE6ELNS1_3repE0EEENS1_30default_config_static_selectorELNS0_4arch9wavefront6targetE1EEEvT1_,"axG",@progbits,_ZN7rocprim17ROCPRIM_400000_NS6detail17trampoline_kernelINS0_14default_configENS1_25partition_config_selectorILNS1_17partition_subalgoE9EllbEEZZNS1_14partition_implILS5_9ELb0ES3_jPlS8_PNS0_10empty_typeENS0_5tupleIJS8_S9_EEENSB_IJS8_SA_EEENS0_18inequality_wrapperIZN2at6native12_GLOBAL__N_124unique_dim_cuda_templateIsEESt5tupleIJNSF_6TensorESK_SK_EERKSK_lbbbEUlllE0_EEPmJS9_EEE10hipError_tPvRmT3_T4_T5_T6_T7_T9_mT8_P12ihipStream_tbDpT10_ENKUlT_T0_E_clISt17integral_constantIbLb0EES1A_EEDaS15_S16_EUlS15_E_NS1_11comp_targetILNS1_3genE2ELNS1_11target_archE906ELNS1_3gpuE6ELNS1_3repE0EEENS1_30default_config_static_selectorELNS0_4arch9wavefront6targetE1EEEvT1_,comdat
	.globl	_ZN7rocprim17ROCPRIM_400000_NS6detail17trampoline_kernelINS0_14default_configENS1_25partition_config_selectorILNS1_17partition_subalgoE9EllbEEZZNS1_14partition_implILS5_9ELb0ES3_jPlS8_PNS0_10empty_typeENS0_5tupleIJS8_S9_EEENSB_IJS8_SA_EEENS0_18inequality_wrapperIZN2at6native12_GLOBAL__N_124unique_dim_cuda_templateIsEESt5tupleIJNSF_6TensorESK_SK_EERKSK_lbbbEUlllE0_EEPmJS9_EEE10hipError_tPvRmT3_T4_T5_T6_T7_T9_mT8_P12ihipStream_tbDpT10_ENKUlT_T0_E_clISt17integral_constantIbLb0EES1A_EEDaS15_S16_EUlS15_E_NS1_11comp_targetILNS1_3genE2ELNS1_11target_archE906ELNS1_3gpuE6ELNS1_3repE0EEENS1_30default_config_static_selectorELNS0_4arch9wavefront6targetE1EEEvT1_ ; -- Begin function _ZN7rocprim17ROCPRIM_400000_NS6detail17trampoline_kernelINS0_14default_configENS1_25partition_config_selectorILNS1_17partition_subalgoE9EllbEEZZNS1_14partition_implILS5_9ELb0ES3_jPlS8_PNS0_10empty_typeENS0_5tupleIJS8_S9_EEENSB_IJS8_SA_EEENS0_18inequality_wrapperIZN2at6native12_GLOBAL__N_124unique_dim_cuda_templateIsEESt5tupleIJNSF_6TensorESK_SK_EERKSK_lbbbEUlllE0_EEPmJS9_EEE10hipError_tPvRmT3_T4_T5_T6_T7_T9_mT8_P12ihipStream_tbDpT10_ENKUlT_T0_E_clISt17integral_constantIbLb0EES1A_EEDaS15_S16_EUlS15_E_NS1_11comp_targetILNS1_3genE2ELNS1_11target_archE906ELNS1_3gpuE6ELNS1_3repE0EEENS1_30default_config_static_selectorELNS0_4arch9wavefront6targetE1EEEvT1_
	.p2align	8
	.type	_ZN7rocprim17ROCPRIM_400000_NS6detail17trampoline_kernelINS0_14default_configENS1_25partition_config_selectorILNS1_17partition_subalgoE9EllbEEZZNS1_14partition_implILS5_9ELb0ES3_jPlS8_PNS0_10empty_typeENS0_5tupleIJS8_S9_EEENSB_IJS8_SA_EEENS0_18inequality_wrapperIZN2at6native12_GLOBAL__N_124unique_dim_cuda_templateIsEESt5tupleIJNSF_6TensorESK_SK_EERKSK_lbbbEUlllE0_EEPmJS9_EEE10hipError_tPvRmT3_T4_T5_T6_T7_T9_mT8_P12ihipStream_tbDpT10_ENKUlT_T0_E_clISt17integral_constantIbLb0EES1A_EEDaS15_S16_EUlS15_E_NS1_11comp_targetILNS1_3genE2ELNS1_11target_archE906ELNS1_3gpuE6ELNS1_3repE0EEENS1_30default_config_static_selectorELNS0_4arch9wavefront6targetE1EEEvT1_,@function
_ZN7rocprim17ROCPRIM_400000_NS6detail17trampoline_kernelINS0_14default_configENS1_25partition_config_selectorILNS1_17partition_subalgoE9EllbEEZZNS1_14partition_implILS5_9ELb0ES3_jPlS8_PNS0_10empty_typeENS0_5tupleIJS8_S9_EEENSB_IJS8_SA_EEENS0_18inequality_wrapperIZN2at6native12_GLOBAL__N_124unique_dim_cuda_templateIsEESt5tupleIJNSF_6TensorESK_SK_EERKSK_lbbbEUlllE0_EEPmJS9_EEE10hipError_tPvRmT3_T4_T5_T6_T7_T9_mT8_P12ihipStream_tbDpT10_ENKUlT_T0_E_clISt17integral_constantIbLb0EES1A_EEDaS15_S16_EUlS15_E_NS1_11comp_targetILNS1_3genE2ELNS1_11target_archE906ELNS1_3gpuE6ELNS1_3repE0EEENS1_30default_config_static_selectorELNS0_4arch9wavefront6targetE1EEEvT1_: ; @_ZN7rocprim17ROCPRIM_400000_NS6detail17trampoline_kernelINS0_14default_configENS1_25partition_config_selectorILNS1_17partition_subalgoE9EllbEEZZNS1_14partition_implILS5_9ELb0ES3_jPlS8_PNS0_10empty_typeENS0_5tupleIJS8_S9_EEENSB_IJS8_SA_EEENS0_18inequality_wrapperIZN2at6native12_GLOBAL__N_124unique_dim_cuda_templateIsEESt5tupleIJNSF_6TensorESK_SK_EERKSK_lbbbEUlllE0_EEPmJS9_EEE10hipError_tPvRmT3_T4_T5_T6_T7_T9_mT8_P12ihipStream_tbDpT10_ENKUlT_T0_E_clISt17integral_constantIbLb0EES1A_EEDaS15_S16_EUlS15_E_NS1_11comp_targetILNS1_3genE2ELNS1_11target_archE906ELNS1_3gpuE6ELNS1_3repE0EEENS1_30default_config_static_selectorELNS0_4arch9wavefront6targetE1EEEvT1_
; %bb.0:
	.section	.rodata,"a",@progbits
	.p2align	6, 0x0
	.amdhsa_kernel _ZN7rocprim17ROCPRIM_400000_NS6detail17trampoline_kernelINS0_14default_configENS1_25partition_config_selectorILNS1_17partition_subalgoE9EllbEEZZNS1_14partition_implILS5_9ELb0ES3_jPlS8_PNS0_10empty_typeENS0_5tupleIJS8_S9_EEENSB_IJS8_SA_EEENS0_18inequality_wrapperIZN2at6native12_GLOBAL__N_124unique_dim_cuda_templateIsEESt5tupleIJNSF_6TensorESK_SK_EERKSK_lbbbEUlllE0_EEPmJS9_EEE10hipError_tPvRmT3_T4_T5_T6_T7_T9_mT8_P12ihipStream_tbDpT10_ENKUlT_T0_E_clISt17integral_constantIbLb0EES1A_EEDaS15_S16_EUlS15_E_NS1_11comp_targetILNS1_3genE2ELNS1_11target_archE906ELNS1_3gpuE6ELNS1_3repE0EEENS1_30default_config_static_selectorELNS0_4arch9wavefront6targetE1EEEvT1_
		.amdhsa_group_segment_fixed_size 0
		.amdhsa_private_segment_fixed_size 0
		.amdhsa_kernarg_size 120
		.amdhsa_user_sgpr_count 2
		.amdhsa_user_sgpr_dispatch_ptr 0
		.amdhsa_user_sgpr_queue_ptr 0
		.amdhsa_user_sgpr_kernarg_segment_ptr 1
		.amdhsa_user_sgpr_dispatch_id 0
		.amdhsa_user_sgpr_kernarg_preload_length 0
		.amdhsa_user_sgpr_kernarg_preload_offset 0
		.amdhsa_user_sgpr_private_segment_size 0
		.amdhsa_uses_dynamic_stack 0
		.amdhsa_enable_private_segment 0
		.amdhsa_system_sgpr_workgroup_id_x 1
		.amdhsa_system_sgpr_workgroup_id_y 0
		.amdhsa_system_sgpr_workgroup_id_z 0
		.amdhsa_system_sgpr_workgroup_info 0
		.amdhsa_system_vgpr_workitem_id 0
		.amdhsa_next_free_vgpr 1
		.amdhsa_next_free_sgpr 0
		.amdhsa_accum_offset 4
		.amdhsa_reserve_vcc 0
		.amdhsa_float_round_mode_32 0
		.amdhsa_float_round_mode_16_64 0
		.amdhsa_float_denorm_mode_32 3
		.amdhsa_float_denorm_mode_16_64 3
		.amdhsa_dx10_clamp 1
		.amdhsa_ieee_mode 1
		.amdhsa_fp16_overflow 0
		.amdhsa_tg_split 0
		.amdhsa_exception_fp_ieee_invalid_op 0
		.amdhsa_exception_fp_denorm_src 0
		.amdhsa_exception_fp_ieee_div_zero 0
		.amdhsa_exception_fp_ieee_overflow 0
		.amdhsa_exception_fp_ieee_underflow 0
		.amdhsa_exception_fp_ieee_inexact 0
		.amdhsa_exception_int_div_zero 0
	.end_amdhsa_kernel
	.section	.text._ZN7rocprim17ROCPRIM_400000_NS6detail17trampoline_kernelINS0_14default_configENS1_25partition_config_selectorILNS1_17partition_subalgoE9EllbEEZZNS1_14partition_implILS5_9ELb0ES3_jPlS8_PNS0_10empty_typeENS0_5tupleIJS8_S9_EEENSB_IJS8_SA_EEENS0_18inequality_wrapperIZN2at6native12_GLOBAL__N_124unique_dim_cuda_templateIsEESt5tupleIJNSF_6TensorESK_SK_EERKSK_lbbbEUlllE0_EEPmJS9_EEE10hipError_tPvRmT3_T4_T5_T6_T7_T9_mT8_P12ihipStream_tbDpT10_ENKUlT_T0_E_clISt17integral_constantIbLb0EES1A_EEDaS15_S16_EUlS15_E_NS1_11comp_targetILNS1_3genE2ELNS1_11target_archE906ELNS1_3gpuE6ELNS1_3repE0EEENS1_30default_config_static_selectorELNS0_4arch9wavefront6targetE1EEEvT1_,"axG",@progbits,_ZN7rocprim17ROCPRIM_400000_NS6detail17trampoline_kernelINS0_14default_configENS1_25partition_config_selectorILNS1_17partition_subalgoE9EllbEEZZNS1_14partition_implILS5_9ELb0ES3_jPlS8_PNS0_10empty_typeENS0_5tupleIJS8_S9_EEENSB_IJS8_SA_EEENS0_18inequality_wrapperIZN2at6native12_GLOBAL__N_124unique_dim_cuda_templateIsEESt5tupleIJNSF_6TensorESK_SK_EERKSK_lbbbEUlllE0_EEPmJS9_EEE10hipError_tPvRmT3_T4_T5_T6_T7_T9_mT8_P12ihipStream_tbDpT10_ENKUlT_T0_E_clISt17integral_constantIbLb0EES1A_EEDaS15_S16_EUlS15_E_NS1_11comp_targetILNS1_3genE2ELNS1_11target_archE906ELNS1_3gpuE6ELNS1_3repE0EEENS1_30default_config_static_selectorELNS0_4arch9wavefront6targetE1EEEvT1_,comdat
.Lfunc_end721:
	.size	_ZN7rocprim17ROCPRIM_400000_NS6detail17trampoline_kernelINS0_14default_configENS1_25partition_config_selectorILNS1_17partition_subalgoE9EllbEEZZNS1_14partition_implILS5_9ELb0ES3_jPlS8_PNS0_10empty_typeENS0_5tupleIJS8_S9_EEENSB_IJS8_SA_EEENS0_18inequality_wrapperIZN2at6native12_GLOBAL__N_124unique_dim_cuda_templateIsEESt5tupleIJNSF_6TensorESK_SK_EERKSK_lbbbEUlllE0_EEPmJS9_EEE10hipError_tPvRmT3_T4_T5_T6_T7_T9_mT8_P12ihipStream_tbDpT10_ENKUlT_T0_E_clISt17integral_constantIbLb0EES1A_EEDaS15_S16_EUlS15_E_NS1_11comp_targetILNS1_3genE2ELNS1_11target_archE906ELNS1_3gpuE6ELNS1_3repE0EEENS1_30default_config_static_selectorELNS0_4arch9wavefront6targetE1EEEvT1_, .Lfunc_end721-_ZN7rocprim17ROCPRIM_400000_NS6detail17trampoline_kernelINS0_14default_configENS1_25partition_config_selectorILNS1_17partition_subalgoE9EllbEEZZNS1_14partition_implILS5_9ELb0ES3_jPlS8_PNS0_10empty_typeENS0_5tupleIJS8_S9_EEENSB_IJS8_SA_EEENS0_18inequality_wrapperIZN2at6native12_GLOBAL__N_124unique_dim_cuda_templateIsEESt5tupleIJNSF_6TensorESK_SK_EERKSK_lbbbEUlllE0_EEPmJS9_EEE10hipError_tPvRmT3_T4_T5_T6_T7_T9_mT8_P12ihipStream_tbDpT10_ENKUlT_T0_E_clISt17integral_constantIbLb0EES1A_EEDaS15_S16_EUlS15_E_NS1_11comp_targetILNS1_3genE2ELNS1_11target_archE906ELNS1_3gpuE6ELNS1_3repE0EEENS1_30default_config_static_selectorELNS0_4arch9wavefront6targetE1EEEvT1_
                                        ; -- End function
	.set _ZN7rocprim17ROCPRIM_400000_NS6detail17trampoline_kernelINS0_14default_configENS1_25partition_config_selectorILNS1_17partition_subalgoE9EllbEEZZNS1_14partition_implILS5_9ELb0ES3_jPlS8_PNS0_10empty_typeENS0_5tupleIJS8_S9_EEENSB_IJS8_SA_EEENS0_18inequality_wrapperIZN2at6native12_GLOBAL__N_124unique_dim_cuda_templateIsEESt5tupleIJNSF_6TensorESK_SK_EERKSK_lbbbEUlllE0_EEPmJS9_EEE10hipError_tPvRmT3_T4_T5_T6_T7_T9_mT8_P12ihipStream_tbDpT10_ENKUlT_T0_E_clISt17integral_constantIbLb0EES1A_EEDaS15_S16_EUlS15_E_NS1_11comp_targetILNS1_3genE2ELNS1_11target_archE906ELNS1_3gpuE6ELNS1_3repE0EEENS1_30default_config_static_selectorELNS0_4arch9wavefront6targetE1EEEvT1_.num_vgpr, 0
	.set _ZN7rocprim17ROCPRIM_400000_NS6detail17trampoline_kernelINS0_14default_configENS1_25partition_config_selectorILNS1_17partition_subalgoE9EllbEEZZNS1_14partition_implILS5_9ELb0ES3_jPlS8_PNS0_10empty_typeENS0_5tupleIJS8_S9_EEENSB_IJS8_SA_EEENS0_18inequality_wrapperIZN2at6native12_GLOBAL__N_124unique_dim_cuda_templateIsEESt5tupleIJNSF_6TensorESK_SK_EERKSK_lbbbEUlllE0_EEPmJS9_EEE10hipError_tPvRmT3_T4_T5_T6_T7_T9_mT8_P12ihipStream_tbDpT10_ENKUlT_T0_E_clISt17integral_constantIbLb0EES1A_EEDaS15_S16_EUlS15_E_NS1_11comp_targetILNS1_3genE2ELNS1_11target_archE906ELNS1_3gpuE6ELNS1_3repE0EEENS1_30default_config_static_selectorELNS0_4arch9wavefront6targetE1EEEvT1_.num_agpr, 0
	.set _ZN7rocprim17ROCPRIM_400000_NS6detail17trampoline_kernelINS0_14default_configENS1_25partition_config_selectorILNS1_17partition_subalgoE9EllbEEZZNS1_14partition_implILS5_9ELb0ES3_jPlS8_PNS0_10empty_typeENS0_5tupleIJS8_S9_EEENSB_IJS8_SA_EEENS0_18inequality_wrapperIZN2at6native12_GLOBAL__N_124unique_dim_cuda_templateIsEESt5tupleIJNSF_6TensorESK_SK_EERKSK_lbbbEUlllE0_EEPmJS9_EEE10hipError_tPvRmT3_T4_T5_T6_T7_T9_mT8_P12ihipStream_tbDpT10_ENKUlT_T0_E_clISt17integral_constantIbLb0EES1A_EEDaS15_S16_EUlS15_E_NS1_11comp_targetILNS1_3genE2ELNS1_11target_archE906ELNS1_3gpuE6ELNS1_3repE0EEENS1_30default_config_static_selectorELNS0_4arch9wavefront6targetE1EEEvT1_.numbered_sgpr, 0
	.set _ZN7rocprim17ROCPRIM_400000_NS6detail17trampoline_kernelINS0_14default_configENS1_25partition_config_selectorILNS1_17partition_subalgoE9EllbEEZZNS1_14partition_implILS5_9ELb0ES3_jPlS8_PNS0_10empty_typeENS0_5tupleIJS8_S9_EEENSB_IJS8_SA_EEENS0_18inequality_wrapperIZN2at6native12_GLOBAL__N_124unique_dim_cuda_templateIsEESt5tupleIJNSF_6TensorESK_SK_EERKSK_lbbbEUlllE0_EEPmJS9_EEE10hipError_tPvRmT3_T4_T5_T6_T7_T9_mT8_P12ihipStream_tbDpT10_ENKUlT_T0_E_clISt17integral_constantIbLb0EES1A_EEDaS15_S16_EUlS15_E_NS1_11comp_targetILNS1_3genE2ELNS1_11target_archE906ELNS1_3gpuE6ELNS1_3repE0EEENS1_30default_config_static_selectorELNS0_4arch9wavefront6targetE1EEEvT1_.num_named_barrier, 0
	.set _ZN7rocprim17ROCPRIM_400000_NS6detail17trampoline_kernelINS0_14default_configENS1_25partition_config_selectorILNS1_17partition_subalgoE9EllbEEZZNS1_14partition_implILS5_9ELb0ES3_jPlS8_PNS0_10empty_typeENS0_5tupleIJS8_S9_EEENSB_IJS8_SA_EEENS0_18inequality_wrapperIZN2at6native12_GLOBAL__N_124unique_dim_cuda_templateIsEESt5tupleIJNSF_6TensorESK_SK_EERKSK_lbbbEUlllE0_EEPmJS9_EEE10hipError_tPvRmT3_T4_T5_T6_T7_T9_mT8_P12ihipStream_tbDpT10_ENKUlT_T0_E_clISt17integral_constantIbLb0EES1A_EEDaS15_S16_EUlS15_E_NS1_11comp_targetILNS1_3genE2ELNS1_11target_archE906ELNS1_3gpuE6ELNS1_3repE0EEENS1_30default_config_static_selectorELNS0_4arch9wavefront6targetE1EEEvT1_.private_seg_size, 0
	.set _ZN7rocprim17ROCPRIM_400000_NS6detail17trampoline_kernelINS0_14default_configENS1_25partition_config_selectorILNS1_17partition_subalgoE9EllbEEZZNS1_14partition_implILS5_9ELb0ES3_jPlS8_PNS0_10empty_typeENS0_5tupleIJS8_S9_EEENSB_IJS8_SA_EEENS0_18inequality_wrapperIZN2at6native12_GLOBAL__N_124unique_dim_cuda_templateIsEESt5tupleIJNSF_6TensorESK_SK_EERKSK_lbbbEUlllE0_EEPmJS9_EEE10hipError_tPvRmT3_T4_T5_T6_T7_T9_mT8_P12ihipStream_tbDpT10_ENKUlT_T0_E_clISt17integral_constantIbLb0EES1A_EEDaS15_S16_EUlS15_E_NS1_11comp_targetILNS1_3genE2ELNS1_11target_archE906ELNS1_3gpuE6ELNS1_3repE0EEENS1_30default_config_static_selectorELNS0_4arch9wavefront6targetE1EEEvT1_.uses_vcc, 0
	.set _ZN7rocprim17ROCPRIM_400000_NS6detail17trampoline_kernelINS0_14default_configENS1_25partition_config_selectorILNS1_17partition_subalgoE9EllbEEZZNS1_14partition_implILS5_9ELb0ES3_jPlS8_PNS0_10empty_typeENS0_5tupleIJS8_S9_EEENSB_IJS8_SA_EEENS0_18inequality_wrapperIZN2at6native12_GLOBAL__N_124unique_dim_cuda_templateIsEESt5tupleIJNSF_6TensorESK_SK_EERKSK_lbbbEUlllE0_EEPmJS9_EEE10hipError_tPvRmT3_T4_T5_T6_T7_T9_mT8_P12ihipStream_tbDpT10_ENKUlT_T0_E_clISt17integral_constantIbLb0EES1A_EEDaS15_S16_EUlS15_E_NS1_11comp_targetILNS1_3genE2ELNS1_11target_archE906ELNS1_3gpuE6ELNS1_3repE0EEENS1_30default_config_static_selectorELNS0_4arch9wavefront6targetE1EEEvT1_.uses_flat_scratch, 0
	.set _ZN7rocprim17ROCPRIM_400000_NS6detail17trampoline_kernelINS0_14default_configENS1_25partition_config_selectorILNS1_17partition_subalgoE9EllbEEZZNS1_14partition_implILS5_9ELb0ES3_jPlS8_PNS0_10empty_typeENS0_5tupleIJS8_S9_EEENSB_IJS8_SA_EEENS0_18inequality_wrapperIZN2at6native12_GLOBAL__N_124unique_dim_cuda_templateIsEESt5tupleIJNSF_6TensorESK_SK_EERKSK_lbbbEUlllE0_EEPmJS9_EEE10hipError_tPvRmT3_T4_T5_T6_T7_T9_mT8_P12ihipStream_tbDpT10_ENKUlT_T0_E_clISt17integral_constantIbLb0EES1A_EEDaS15_S16_EUlS15_E_NS1_11comp_targetILNS1_3genE2ELNS1_11target_archE906ELNS1_3gpuE6ELNS1_3repE0EEENS1_30default_config_static_selectorELNS0_4arch9wavefront6targetE1EEEvT1_.has_dyn_sized_stack, 0
	.set _ZN7rocprim17ROCPRIM_400000_NS6detail17trampoline_kernelINS0_14default_configENS1_25partition_config_selectorILNS1_17partition_subalgoE9EllbEEZZNS1_14partition_implILS5_9ELb0ES3_jPlS8_PNS0_10empty_typeENS0_5tupleIJS8_S9_EEENSB_IJS8_SA_EEENS0_18inequality_wrapperIZN2at6native12_GLOBAL__N_124unique_dim_cuda_templateIsEESt5tupleIJNSF_6TensorESK_SK_EERKSK_lbbbEUlllE0_EEPmJS9_EEE10hipError_tPvRmT3_T4_T5_T6_T7_T9_mT8_P12ihipStream_tbDpT10_ENKUlT_T0_E_clISt17integral_constantIbLb0EES1A_EEDaS15_S16_EUlS15_E_NS1_11comp_targetILNS1_3genE2ELNS1_11target_archE906ELNS1_3gpuE6ELNS1_3repE0EEENS1_30default_config_static_selectorELNS0_4arch9wavefront6targetE1EEEvT1_.has_recursion, 0
	.set _ZN7rocprim17ROCPRIM_400000_NS6detail17trampoline_kernelINS0_14default_configENS1_25partition_config_selectorILNS1_17partition_subalgoE9EllbEEZZNS1_14partition_implILS5_9ELb0ES3_jPlS8_PNS0_10empty_typeENS0_5tupleIJS8_S9_EEENSB_IJS8_SA_EEENS0_18inequality_wrapperIZN2at6native12_GLOBAL__N_124unique_dim_cuda_templateIsEESt5tupleIJNSF_6TensorESK_SK_EERKSK_lbbbEUlllE0_EEPmJS9_EEE10hipError_tPvRmT3_T4_T5_T6_T7_T9_mT8_P12ihipStream_tbDpT10_ENKUlT_T0_E_clISt17integral_constantIbLb0EES1A_EEDaS15_S16_EUlS15_E_NS1_11comp_targetILNS1_3genE2ELNS1_11target_archE906ELNS1_3gpuE6ELNS1_3repE0EEENS1_30default_config_static_selectorELNS0_4arch9wavefront6targetE1EEEvT1_.has_indirect_call, 0
	.section	.AMDGPU.csdata,"",@progbits
; Kernel info:
; codeLenInByte = 0
; TotalNumSgprs: 6
; NumVgprs: 0
; NumAgprs: 0
; TotalNumVgprs: 0
; ScratchSize: 0
; MemoryBound: 0
; FloatMode: 240
; IeeeMode: 1
; LDSByteSize: 0 bytes/workgroup (compile time only)
; SGPRBlocks: 0
; VGPRBlocks: 0
; NumSGPRsForWavesPerEU: 6
; NumVGPRsForWavesPerEU: 1
; AccumOffset: 4
; Occupancy: 8
; WaveLimiterHint : 0
; COMPUTE_PGM_RSRC2:SCRATCH_EN: 0
; COMPUTE_PGM_RSRC2:USER_SGPR: 2
; COMPUTE_PGM_RSRC2:TRAP_HANDLER: 0
; COMPUTE_PGM_RSRC2:TGID_X_EN: 1
; COMPUTE_PGM_RSRC2:TGID_Y_EN: 0
; COMPUTE_PGM_RSRC2:TGID_Z_EN: 0
; COMPUTE_PGM_RSRC2:TIDIG_COMP_CNT: 0
; COMPUTE_PGM_RSRC3_GFX90A:ACCUM_OFFSET: 0
; COMPUTE_PGM_RSRC3_GFX90A:TG_SPLIT: 0
	.section	.text._ZN7rocprim17ROCPRIM_400000_NS6detail17trampoline_kernelINS0_14default_configENS1_25partition_config_selectorILNS1_17partition_subalgoE9EllbEEZZNS1_14partition_implILS5_9ELb0ES3_jPlS8_PNS0_10empty_typeENS0_5tupleIJS8_S9_EEENSB_IJS8_SA_EEENS0_18inequality_wrapperIZN2at6native12_GLOBAL__N_124unique_dim_cuda_templateIsEESt5tupleIJNSF_6TensorESK_SK_EERKSK_lbbbEUlllE0_EEPmJS9_EEE10hipError_tPvRmT3_T4_T5_T6_T7_T9_mT8_P12ihipStream_tbDpT10_ENKUlT_T0_E_clISt17integral_constantIbLb0EES1A_EEDaS15_S16_EUlS15_E_NS1_11comp_targetILNS1_3genE10ELNS1_11target_archE1200ELNS1_3gpuE4ELNS1_3repE0EEENS1_30default_config_static_selectorELNS0_4arch9wavefront6targetE1EEEvT1_,"axG",@progbits,_ZN7rocprim17ROCPRIM_400000_NS6detail17trampoline_kernelINS0_14default_configENS1_25partition_config_selectorILNS1_17partition_subalgoE9EllbEEZZNS1_14partition_implILS5_9ELb0ES3_jPlS8_PNS0_10empty_typeENS0_5tupleIJS8_S9_EEENSB_IJS8_SA_EEENS0_18inequality_wrapperIZN2at6native12_GLOBAL__N_124unique_dim_cuda_templateIsEESt5tupleIJNSF_6TensorESK_SK_EERKSK_lbbbEUlllE0_EEPmJS9_EEE10hipError_tPvRmT3_T4_T5_T6_T7_T9_mT8_P12ihipStream_tbDpT10_ENKUlT_T0_E_clISt17integral_constantIbLb0EES1A_EEDaS15_S16_EUlS15_E_NS1_11comp_targetILNS1_3genE10ELNS1_11target_archE1200ELNS1_3gpuE4ELNS1_3repE0EEENS1_30default_config_static_selectorELNS0_4arch9wavefront6targetE1EEEvT1_,comdat
	.globl	_ZN7rocprim17ROCPRIM_400000_NS6detail17trampoline_kernelINS0_14default_configENS1_25partition_config_selectorILNS1_17partition_subalgoE9EllbEEZZNS1_14partition_implILS5_9ELb0ES3_jPlS8_PNS0_10empty_typeENS0_5tupleIJS8_S9_EEENSB_IJS8_SA_EEENS0_18inequality_wrapperIZN2at6native12_GLOBAL__N_124unique_dim_cuda_templateIsEESt5tupleIJNSF_6TensorESK_SK_EERKSK_lbbbEUlllE0_EEPmJS9_EEE10hipError_tPvRmT3_T4_T5_T6_T7_T9_mT8_P12ihipStream_tbDpT10_ENKUlT_T0_E_clISt17integral_constantIbLb0EES1A_EEDaS15_S16_EUlS15_E_NS1_11comp_targetILNS1_3genE10ELNS1_11target_archE1200ELNS1_3gpuE4ELNS1_3repE0EEENS1_30default_config_static_selectorELNS0_4arch9wavefront6targetE1EEEvT1_ ; -- Begin function _ZN7rocprim17ROCPRIM_400000_NS6detail17trampoline_kernelINS0_14default_configENS1_25partition_config_selectorILNS1_17partition_subalgoE9EllbEEZZNS1_14partition_implILS5_9ELb0ES3_jPlS8_PNS0_10empty_typeENS0_5tupleIJS8_S9_EEENSB_IJS8_SA_EEENS0_18inequality_wrapperIZN2at6native12_GLOBAL__N_124unique_dim_cuda_templateIsEESt5tupleIJNSF_6TensorESK_SK_EERKSK_lbbbEUlllE0_EEPmJS9_EEE10hipError_tPvRmT3_T4_T5_T6_T7_T9_mT8_P12ihipStream_tbDpT10_ENKUlT_T0_E_clISt17integral_constantIbLb0EES1A_EEDaS15_S16_EUlS15_E_NS1_11comp_targetILNS1_3genE10ELNS1_11target_archE1200ELNS1_3gpuE4ELNS1_3repE0EEENS1_30default_config_static_selectorELNS0_4arch9wavefront6targetE1EEEvT1_
	.p2align	8
	.type	_ZN7rocprim17ROCPRIM_400000_NS6detail17trampoline_kernelINS0_14default_configENS1_25partition_config_selectorILNS1_17partition_subalgoE9EllbEEZZNS1_14partition_implILS5_9ELb0ES3_jPlS8_PNS0_10empty_typeENS0_5tupleIJS8_S9_EEENSB_IJS8_SA_EEENS0_18inequality_wrapperIZN2at6native12_GLOBAL__N_124unique_dim_cuda_templateIsEESt5tupleIJNSF_6TensorESK_SK_EERKSK_lbbbEUlllE0_EEPmJS9_EEE10hipError_tPvRmT3_T4_T5_T6_T7_T9_mT8_P12ihipStream_tbDpT10_ENKUlT_T0_E_clISt17integral_constantIbLb0EES1A_EEDaS15_S16_EUlS15_E_NS1_11comp_targetILNS1_3genE10ELNS1_11target_archE1200ELNS1_3gpuE4ELNS1_3repE0EEENS1_30default_config_static_selectorELNS0_4arch9wavefront6targetE1EEEvT1_,@function
_ZN7rocprim17ROCPRIM_400000_NS6detail17trampoline_kernelINS0_14default_configENS1_25partition_config_selectorILNS1_17partition_subalgoE9EllbEEZZNS1_14partition_implILS5_9ELb0ES3_jPlS8_PNS0_10empty_typeENS0_5tupleIJS8_S9_EEENSB_IJS8_SA_EEENS0_18inequality_wrapperIZN2at6native12_GLOBAL__N_124unique_dim_cuda_templateIsEESt5tupleIJNSF_6TensorESK_SK_EERKSK_lbbbEUlllE0_EEPmJS9_EEE10hipError_tPvRmT3_T4_T5_T6_T7_T9_mT8_P12ihipStream_tbDpT10_ENKUlT_T0_E_clISt17integral_constantIbLb0EES1A_EEDaS15_S16_EUlS15_E_NS1_11comp_targetILNS1_3genE10ELNS1_11target_archE1200ELNS1_3gpuE4ELNS1_3repE0EEENS1_30default_config_static_selectorELNS0_4arch9wavefront6targetE1EEEvT1_: ; @_ZN7rocprim17ROCPRIM_400000_NS6detail17trampoline_kernelINS0_14default_configENS1_25partition_config_selectorILNS1_17partition_subalgoE9EllbEEZZNS1_14partition_implILS5_9ELb0ES3_jPlS8_PNS0_10empty_typeENS0_5tupleIJS8_S9_EEENSB_IJS8_SA_EEENS0_18inequality_wrapperIZN2at6native12_GLOBAL__N_124unique_dim_cuda_templateIsEESt5tupleIJNSF_6TensorESK_SK_EERKSK_lbbbEUlllE0_EEPmJS9_EEE10hipError_tPvRmT3_T4_T5_T6_T7_T9_mT8_P12ihipStream_tbDpT10_ENKUlT_T0_E_clISt17integral_constantIbLb0EES1A_EEDaS15_S16_EUlS15_E_NS1_11comp_targetILNS1_3genE10ELNS1_11target_archE1200ELNS1_3gpuE4ELNS1_3repE0EEENS1_30default_config_static_selectorELNS0_4arch9wavefront6targetE1EEEvT1_
; %bb.0:
	.section	.rodata,"a",@progbits
	.p2align	6, 0x0
	.amdhsa_kernel _ZN7rocprim17ROCPRIM_400000_NS6detail17trampoline_kernelINS0_14default_configENS1_25partition_config_selectorILNS1_17partition_subalgoE9EllbEEZZNS1_14partition_implILS5_9ELb0ES3_jPlS8_PNS0_10empty_typeENS0_5tupleIJS8_S9_EEENSB_IJS8_SA_EEENS0_18inequality_wrapperIZN2at6native12_GLOBAL__N_124unique_dim_cuda_templateIsEESt5tupleIJNSF_6TensorESK_SK_EERKSK_lbbbEUlllE0_EEPmJS9_EEE10hipError_tPvRmT3_T4_T5_T6_T7_T9_mT8_P12ihipStream_tbDpT10_ENKUlT_T0_E_clISt17integral_constantIbLb0EES1A_EEDaS15_S16_EUlS15_E_NS1_11comp_targetILNS1_3genE10ELNS1_11target_archE1200ELNS1_3gpuE4ELNS1_3repE0EEENS1_30default_config_static_selectorELNS0_4arch9wavefront6targetE1EEEvT1_
		.amdhsa_group_segment_fixed_size 0
		.amdhsa_private_segment_fixed_size 0
		.amdhsa_kernarg_size 120
		.amdhsa_user_sgpr_count 2
		.amdhsa_user_sgpr_dispatch_ptr 0
		.amdhsa_user_sgpr_queue_ptr 0
		.amdhsa_user_sgpr_kernarg_segment_ptr 1
		.amdhsa_user_sgpr_dispatch_id 0
		.amdhsa_user_sgpr_kernarg_preload_length 0
		.amdhsa_user_sgpr_kernarg_preload_offset 0
		.amdhsa_user_sgpr_private_segment_size 0
		.amdhsa_uses_dynamic_stack 0
		.amdhsa_enable_private_segment 0
		.amdhsa_system_sgpr_workgroup_id_x 1
		.amdhsa_system_sgpr_workgroup_id_y 0
		.amdhsa_system_sgpr_workgroup_id_z 0
		.amdhsa_system_sgpr_workgroup_info 0
		.amdhsa_system_vgpr_workitem_id 0
		.amdhsa_next_free_vgpr 1
		.amdhsa_next_free_sgpr 0
		.amdhsa_accum_offset 4
		.amdhsa_reserve_vcc 0
		.amdhsa_float_round_mode_32 0
		.amdhsa_float_round_mode_16_64 0
		.amdhsa_float_denorm_mode_32 3
		.amdhsa_float_denorm_mode_16_64 3
		.amdhsa_dx10_clamp 1
		.amdhsa_ieee_mode 1
		.amdhsa_fp16_overflow 0
		.amdhsa_tg_split 0
		.amdhsa_exception_fp_ieee_invalid_op 0
		.amdhsa_exception_fp_denorm_src 0
		.amdhsa_exception_fp_ieee_div_zero 0
		.amdhsa_exception_fp_ieee_overflow 0
		.amdhsa_exception_fp_ieee_underflow 0
		.amdhsa_exception_fp_ieee_inexact 0
		.amdhsa_exception_int_div_zero 0
	.end_amdhsa_kernel
	.section	.text._ZN7rocprim17ROCPRIM_400000_NS6detail17trampoline_kernelINS0_14default_configENS1_25partition_config_selectorILNS1_17partition_subalgoE9EllbEEZZNS1_14partition_implILS5_9ELb0ES3_jPlS8_PNS0_10empty_typeENS0_5tupleIJS8_S9_EEENSB_IJS8_SA_EEENS0_18inequality_wrapperIZN2at6native12_GLOBAL__N_124unique_dim_cuda_templateIsEESt5tupleIJNSF_6TensorESK_SK_EERKSK_lbbbEUlllE0_EEPmJS9_EEE10hipError_tPvRmT3_T4_T5_T6_T7_T9_mT8_P12ihipStream_tbDpT10_ENKUlT_T0_E_clISt17integral_constantIbLb0EES1A_EEDaS15_S16_EUlS15_E_NS1_11comp_targetILNS1_3genE10ELNS1_11target_archE1200ELNS1_3gpuE4ELNS1_3repE0EEENS1_30default_config_static_selectorELNS0_4arch9wavefront6targetE1EEEvT1_,"axG",@progbits,_ZN7rocprim17ROCPRIM_400000_NS6detail17trampoline_kernelINS0_14default_configENS1_25partition_config_selectorILNS1_17partition_subalgoE9EllbEEZZNS1_14partition_implILS5_9ELb0ES3_jPlS8_PNS0_10empty_typeENS0_5tupleIJS8_S9_EEENSB_IJS8_SA_EEENS0_18inequality_wrapperIZN2at6native12_GLOBAL__N_124unique_dim_cuda_templateIsEESt5tupleIJNSF_6TensorESK_SK_EERKSK_lbbbEUlllE0_EEPmJS9_EEE10hipError_tPvRmT3_T4_T5_T6_T7_T9_mT8_P12ihipStream_tbDpT10_ENKUlT_T0_E_clISt17integral_constantIbLb0EES1A_EEDaS15_S16_EUlS15_E_NS1_11comp_targetILNS1_3genE10ELNS1_11target_archE1200ELNS1_3gpuE4ELNS1_3repE0EEENS1_30default_config_static_selectorELNS0_4arch9wavefront6targetE1EEEvT1_,comdat
.Lfunc_end722:
	.size	_ZN7rocprim17ROCPRIM_400000_NS6detail17trampoline_kernelINS0_14default_configENS1_25partition_config_selectorILNS1_17partition_subalgoE9EllbEEZZNS1_14partition_implILS5_9ELb0ES3_jPlS8_PNS0_10empty_typeENS0_5tupleIJS8_S9_EEENSB_IJS8_SA_EEENS0_18inequality_wrapperIZN2at6native12_GLOBAL__N_124unique_dim_cuda_templateIsEESt5tupleIJNSF_6TensorESK_SK_EERKSK_lbbbEUlllE0_EEPmJS9_EEE10hipError_tPvRmT3_T4_T5_T6_T7_T9_mT8_P12ihipStream_tbDpT10_ENKUlT_T0_E_clISt17integral_constantIbLb0EES1A_EEDaS15_S16_EUlS15_E_NS1_11comp_targetILNS1_3genE10ELNS1_11target_archE1200ELNS1_3gpuE4ELNS1_3repE0EEENS1_30default_config_static_selectorELNS0_4arch9wavefront6targetE1EEEvT1_, .Lfunc_end722-_ZN7rocprim17ROCPRIM_400000_NS6detail17trampoline_kernelINS0_14default_configENS1_25partition_config_selectorILNS1_17partition_subalgoE9EllbEEZZNS1_14partition_implILS5_9ELb0ES3_jPlS8_PNS0_10empty_typeENS0_5tupleIJS8_S9_EEENSB_IJS8_SA_EEENS0_18inequality_wrapperIZN2at6native12_GLOBAL__N_124unique_dim_cuda_templateIsEESt5tupleIJNSF_6TensorESK_SK_EERKSK_lbbbEUlllE0_EEPmJS9_EEE10hipError_tPvRmT3_T4_T5_T6_T7_T9_mT8_P12ihipStream_tbDpT10_ENKUlT_T0_E_clISt17integral_constantIbLb0EES1A_EEDaS15_S16_EUlS15_E_NS1_11comp_targetILNS1_3genE10ELNS1_11target_archE1200ELNS1_3gpuE4ELNS1_3repE0EEENS1_30default_config_static_selectorELNS0_4arch9wavefront6targetE1EEEvT1_
                                        ; -- End function
	.set _ZN7rocprim17ROCPRIM_400000_NS6detail17trampoline_kernelINS0_14default_configENS1_25partition_config_selectorILNS1_17partition_subalgoE9EllbEEZZNS1_14partition_implILS5_9ELb0ES3_jPlS8_PNS0_10empty_typeENS0_5tupleIJS8_S9_EEENSB_IJS8_SA_EEENS0_18inequality_wrapperIZN2at6native12_GLOBAL__N_124unique_dim_cuda_templateIsEESt5tupleIJNSF_6TensorESK_SK_EERKSK_lbbbEUlllE0_EEPmJS9_EEE10hipError_tPvRmT3_T4_T5_T6_T7_T9_mT8_P12ihipStream_tbDpT10_ENKUlT_T0_E_clISt17integral_constantIbLb0EES1A_EEDaS15_S16_EUlS15_E_NS1_11comp_targetILNS1_3genE10ELNS1_11target_archE1200ELNS1_3gpuE4ELNS1_3repE0EEENS1_30default_config_static_selectorELNS0_4arch9wavefront6targetE1EEEvT1_.num_vgpr, 0
	.set _ZN7rocprim17ROCPRIM_400000_NS6detail17trampoline_kernelINS0_14default_configENS1_25partition_config_selectorILNS1_17partition_subalgoE9EllbEEZZNS1_14partition_implILS5_9ELb0ES3_jPlS8_PNS0_10empty_typeENS0_5tupleIJS8_S9_EEENSB_IJS8_SA_EEENS0_18inequality_wrapperIZN2at6native12_GLOBAL__N_124unique_dim_cuda_templateIsEESt5tupleIJNSF_6TensorESK_SK_EERKSK_lbbbEUlllE0_EEPmJS9_EEE10hipError_tPvRmT3_T4_T5_T6_T7_T9_mT8_P12ihipStream_tbDpT10_ENKUlT_T0_E_clISt17integral_constantIbLb0EES1A_EEDaS15_S16_EUlS15_E_NS1_11comp_targetILNS1_3genE10ELNS1_11target_archE1200ELNS1_3gpuE4ELNS1_3repE0EEENS1_30default_config_static_selectorELNS0_4arch9wavefront6targetE1EEEvT1_.num_agpr, 0
	.set _ZN7rocprim17ROCPRIM_400000_NS6detail17trampoline_kernelINS0_14default_configENS1_25partition_config_selectorILNS1_17partition_subalgoE9EllbEEZZNS1_14partition_implILS5_9ELb0ES3_jPlS8_PNS0_10empty_typeENS0_5tupleIJS8_S9_EEENSB_IJS8_SA_EEENS0_18inequality_wrapperIZN2at6native12_GLOBAL__N_124unique_dim_cuda_templateIsEESt5tupleIJNSF_6TensorESK_SK_EERKSK_lbbbEUlllE0_EEPmJS9_EEE10hipError_tPvRmT3_T4_T5_T6_T7_T9_mT8_P12ihipStream_tbDpT10_ENKUlT_T0_E_clISt17integral_constantIbLb0EES1A_EEDaS15_S16_EUlS15_E_NS1_11comp_targetILNS1_3genE10ELNS1_11target_archE1200ELNS1_3gpuE4ELNS1_3repE0EEENS1_30default_config_static_selectorELNS0_4arch9wavefront6targetE1EEEvT1_.numbered_sgpr, 0
	.set _ZN7rocprim17ROCPRIM_400000_NS6detail17trampoline_kernelINS0_14default_configENS1_25partition_config_selectorILNS1_17partition_subalgoE9EllbEEZZNS1_14partition_implILS5_9ELb0ES3_jPlS8_PNS0_10empty_typeENS0_5tupleIJS8_S9_EEENSB_IJS8_SA_EEENS0_18inequality_wrapperIZN2at6native12_GLOBAL__N_124unique_dim_cuda_templateIsEESt5tupleIJNSF_6TensorESK_SK_EERKSK_lbbbEUlllE0_EEPmJS9_EEE10hipError_tPvRmT3_T4_T5_T6_T7_T9_mT8_P12ihipStream_tbDpT10_ENKUlT_T0_E_clISt17integral_constantIbLb0EES1A_EEDaS15_S16_EUlS15_E_NS1_11comp_targetILNS1_3genE10ELNS1_11target_archE1200ELNS1_3gpuE4ELNS1_3repE0EEENS1_30default_config_static_selectorELNS0_4arch9wavefront6targetE1EEEvT1_.num_named_barrier, 0
	.set _ZN7rocprim17ROCPRIM_400000_NS6detail17trampoline_kernelINS0_14default_configENS1_25partition_config_selectorILNS1_17partition_subalgoE9EllbEEZZNS1_14partition_implILS5_9ELb0ES3_jPlS8_PNS0_10empty_typeENS0_5tupleIJS8_S9_EEENSB_IJS8_SA_EEENS0_18inequality_wrapperIZN2at6native12_GLOBAL__N_124unique_dim_cuda_templateIsEESt5tupleIJNSF_6TensorESK_SK_EERKSK_lbbbEUlllE0_EEPmJS9_EEE10hipError_tPvRmT3_T4_T5_T6_T7_T9_mT8_P12ihipStream_tbDpT10_ENKUlT_T0_E_clISt17integral_constantIbLb0EES1A_EEDaS15_S16_EUlS15_E_NS1_11comp_targetILNS1_3genE10ELNS1_11target_archE1200ELNS1_3gpuE4ELNS1_3repE0EEENS1_30default_config_static_selectorELNS0_4arch9wavefront6targetE1EEEvT1_.private_seg_size, 0
	.set _ZN7rocprim17ROCPRIM_400000_NS6detail17trampoline_kernelINS0_14default_configENS1_25partition_config_selectorILNS1_17partition_subalgoE9EllbEEZZNS1_14partition_implILS5_9ELb0ES3_jPlS8_PNS0_10empty_typeENS0_5tupleIJS8_S9_EEENSB_IJS8_SA_EEENS0_18inequality_wrapperIZN2at6native12_GLOBAL__N_124unique_dim_cuda_templateIsEESt5tupleIJNSF_6TensorESK_SK_EERKSK_lbbbEUlllE0_EEPmJS9_EEE10hipError_tPvRmT3_T4_T5_T6_T7_T9_mT8_P12ihipStream_tbDpT10_ENKUlT_T0_E_clISt17integral_constantIbLb0EES1A_EEDaS15_S16_EUlS15_E_NS1_11comp_targetILNS1_3genE10ELNS1_11target_archE1200ELNS1_3gpuE4ELNS1_3repE0EEENS1_30default_config_static_selectorELNS0_4arch9wavefront6targetE1EEEvT1_.uses_vcc, 0
	.set _ZN7rocprim17ROCPRIM_400000_NS6detail17trampoline_kernelINS0_14default_configENS1_25partition_config_selectorILNS1_17partition_subalgoE9EllbEEZZNS1_14partition_implILS5_9ELb0ES3_jPlS8_PNS0_10empty_typeENS0_5tupleIJS8_S9_EEENSB_IJS8_SA_EEENS0_18inequality_wrapperIZN2at6native12_GLOBAL__N_124unique_dim_cuda_templateIsEESt5tupleIJNSF_6TensorESK_SK_EERKSK_lbbbEUlllE0_EEPmJS9_EEE10hipError_tPvRmT3_T4_T5_T6_T7_T9_mT8_P12ihipStream_tbDpT10_ENKUlT_T0_E_clISt17integral_constantIbLb0EES1A_EEDaS15_S16_EUlS15_E_NS1_11comp_targetILNS1_3genE10ELNS1_11target_archE1200ELNS1_3gpuE4ELNS1_3repE0EEENS1_30default_config_static_selectorELNS0_4arch9wavefront6targetE1EEEvT1_.uses_flat_scratch, 0
	.set _ZN7rocprim17ROCPRIM_400000_NS6detail17trampoline_kernelINS0_14default_configENS1_25partition_config_selectorILNS1_17partition_subalgoE9EllbEEZZNS1_14partition_implILS5_9ELb0ES3_jPlS8_PNS0_10empty_typeENS0_5tupleIJS8_S9_EEENSB_IJS8_SA_EEENS0_18inequality_wrapperIZN2at6native12_GLOBAL__N_124unique_dim_cuda_templateIsEESt5tupleIJNSF_6TensorESK_SK_EERKSK_lbbbEUlllE0_EEPmJS9_EEE10hipError_tPvRmT3_T4_T5_T6_T7_T9_mT8_P12ihipStream_tbDpT10_ENKUlT_T0_E_clISt17integral_constantIbLb0EES1A_EEDaS15_S16_EUlS15_E_NS1_11comp_targetILNS1_3genE10ELNS1_11target_archE1200ELNS1_3gpuE4ELNS1_3repE0EEENS1_30default_config_static_selectorELNS0_4arch9wavefront6targetE1EEEvT1_.has_dyn_sized_stack, 0
	.set _ZN7rocprim17ROCPRIM_400000_NS6detail17trampoline_kernelINS0_14default_configENS1_25partition_config_selectorILNS1_17partition_subalgoE9EllbEEZZNS1_14partition_implILS5_9ELb0ES3_jPlS8_PNS0_10empty_typeENS0_5tupleIJS8_S9_EEENSB_IJS8_SA_EEENS0_18inequality_wrapperIZN2at6native12_GLOBAL__N_124unique_dim_cuda_templateIsEESt5tupleIJNSF_6TensorESK_SK_EERKSK_lbbbEUlllE0_EEPmJS9_EEE10hipError_tPvRmT3_T4_T5_T6_T7_T9_mT8_P12ihipStream_tbDpT10_ENKUlT_T0_E_clISt17integral_constantIbLb0EES1A_EEDaS15_S16_EUlS15_E_NS1_11comp_targetILNS1_3genE10ELNS1_11target_archE1200ELNS1_3gpuE4ELNS1_3repE0EEENS1_30default_config_static_selectorELNS0_4arch9wavefront6targetE1EEEvT1_.has_recursion, 0
	.set _ZN7rocprim17ROCPRIM_400000_NS6detail17trampoline_kernelINS0_14default_configENS1_25partition_config_selectorILNS1_17partition_subalgoE9EllbEEZZNS1_14partition_implILS5_9ELb0ES3_jPlS8_PNS0_10empty_typeENS0_5tupleIJS8_S9_EEENSB_IJS8_SA_EEENS0_18inequality_wrapperIZN2at6native12_GLOBAL__N_124unique_dim_cuda_templateIsEESt5tupleIJNSF_6TensorESK_SK_EERKSK_lbbbEUlllE0_EEPmJS9_EEE10hipError_tPvRmT3_T4_T5_T6_T7_T9_mT8_P12ihipStream_tbDpT10_ENKUlT_T0_E_clISt17integral_constantIbLb0EES1A_EEDaS15_S16_EUlS15_E_NS1_11comp_targetILNS1_3genE10ELNS1_11target_archE1200ELNS1_3gpuE4ELNS1_3repE0EEENS1_30default_config_static_selectorELNS0_4arch9wavefront6targetE1EEEvT1_.has_indirect_call, 0
	.section	.AMDGPU.csdata,"",@progbits
; Kernel info:
; codeLenInByte = 0
; TotalNumSgprs: 6
; NumVgprs: 0
; NumAgprs: 0
; TotalNumVgprs: 0
; ScratchSize: 0
; MemoryBound: 0
; FloatMode: 240
; IeeeMode: 1
; LDSByteSize: 0 bytes/workgroup (compile time only)
; SGPRBlocks: 0
; VGPRBlocks: 0
; NumSGPRsForWavesPerEU: 6
; NumVGPRsForWavesPerEU: 1
; AccumOffset: 4
; Occupancy: 8
; WaveLimiterHint : 0
; COMPUTE_PGM_RSRC2:SCRATCH_EN: 0
; COMPUTE_PGM_RSRC2:USER_SGPR: 2
; COMPUTE_PGM_RSRC2:TRAP_HANDLER: 0
; COMPUTE_PGM_RSRC2:TGID_X_EN: 1
; COMPUTE_PGM_RSRC2:TGID_Y_EN: 0
; COMPUTE_PGM_RSRC2:TGID_Z_EN: 0
; COMPUTE_PGM_RSRC2:TIDIG_COMP_CNT: 0
; COMPUTE_PGM_RSRC3_GFX90A:ACCUM_OFFSET: 0
; COMPUTE_PGM_RSRC3_GFX90A:TG_SPLIT: 0
	.section	.text._ZN7rocprim17ROCPRIM_400000_NS6detail17trampoline_kernelINS0_14default_configENS1_25partition_config_selectorILNS1_17partition_subalgoE9EllbEEZZNS1_14partition_implILS5_9ELb0ES3_jPlS8_PNS0_10empty_typeENS0_5tupleIJS8_S9_EEENSB_IJS8_SA_EEENS0_18inequality_wrapperIZN2at6native12_GLOBAL__N_124unique_dim_cuda_templateIsEESt5tupleIJNSF_6TensorESK_SK_EERKSK_lbbbEUlllE0_EEPmJS9_EEE10hipError_tPvRmT3_T4_T5_T6_T7_T9_mT8_P12ihipStream_tbDpT10_ENKUlT_T0_E_clISt17integral_constantIbLb0EES1A_EEDaS15_S16_EUlS15_E_NS1_11comp_targetILNS1_3genE9ELNS1_11target_archE1100ELNS1_3gpuE3ELNS1_3repE0EEENS1_30default_config_static_selectorELNS0_4arch9wavefront6targetE1EEEvT1_,"axG",@progbits,_ZN7rocprim17ROCPRIM_400000_NS6detail17trampoline_kernelINS0_14default_configENS1_25partition_config_selectorILNS1_17partition_subalgoE9EllbEEZZNS1_14partition_implILS5_9ELb0ES3_jPlS8_PNS0_10empty_typeENS0_5tupleIJS8_S9_EEENSB_IJS8_SA_EEENS0_18inequality_wrapperIZN2at6native12_GLOBAL__N_124unique_dim_cuda_templateIsEESt5tupleIJNSF_6TensorESK_SK_EERKSK_lbbbEUlllE0_EEPmJS9_EEE10hipError_tPvRmT3_T4_T5_T6_T7_T9_mT8_P12ihipStream_tbDpT10_ENKUlT_T0_E_clISt17integral_constantIbLb0EES1A_EEDaS15_S16_EUlS15_E_NS1_11comp_targetILNS1_3genE9ELNS1_11target_archE1100ELNS1_3gpuE3ELNS1_3repE0EEENS1_30default_config_static_selectorELNS0_4arch9wavefront6targetE1EEEvT1_,comdat
	.globl	_ZN7rocprim17ROCPRIM_400000_NS6detail17trampoline_kernelINS0_14default_configENS1_25partition_config_selectorILNS1_17partition_subalgoE9EllbEEZZNS1_14partition_implILS5_9ELb0ES3_jPlS8_PNS0_10empty_typeENS0_5tupleIJS8_S9_EEENSB_IJS8_SA_EEENS0_18inequality_wrapperIZN2at6native12_GLOBAL__N_124unique_dim_cuda_templateIsEESt5tupleIJNSF_6TensorESK_SK_EERKSK_lbbbEUlllE0_EEPmJS9_EEE10hipError_tPvRmT3_T4_T5_T6_T7_T9_mT8_P12ihipStream_tbDpT10_ENKUlT_T0_E_clISt17integral_constantIbLb0EES1A_EEDaS15_S16_EUlS15_E_NS1_11comp_targetILNS1_3genE9ELNS1_11target_archE1100ELNS1_3gpuE3ELNS1_3repE0EEENS1_30default_config_static_selectorELNS0_4arch9wavefront6targetE1EEEvT1_ ; -- Begin function _ZN7rocprim17ROCPRIM_400000_NS6detail17trampoline_kernelINS0_14default_configENS1_25partition_config_selectorILNS1_17partition_subalgoE9EllbEEZZNS1_14partition_implILS5_9ELb0ES3_jPlS8_PNS0_10empty_typeENS0_5tupleIJS8_S9_EEENSB_IJS8_SA_EEENS0_18inequality_wrapperIZN2at6native12_GLOBAL__N_124unique_dim_cuda_templateIsEESt5tupleIJNSF_6TensorESK_SK_EERKSK_lbbbEUlllE0_EEPmJS9_EEE10hipError_tPvRmT3_T4_T5_T6_T7_T9_mT8_P12ihipStream_tbDpT10_ENKUlT_T0_E_clISt17integral_constantIbLb0EES1A_EEDaS15_S16_EUlS15_E_NS1_11comp_targetILNS1_3genE9ELNS1_11target_archE1100ELNS1_3gpuE3ELNS1_3repE0EEENS1_30default_config_static_selectorELNS0_4arch9wavefront6targetE1EEEvT1_
	.p2align	8
	.type	_ZN7rocprim17ROCPRIM_400000_NS6detail17trampoline_kernelINS0_14default_configENS1_25partition_config_selectorILNS1_17partition_subalgoE9EllbEEZZNS1_14partition_implILS5_9ELb0ES3_jPlS8_PNS0_10empty_typeENS0_5tupleIJS8_S9_EEENSB_IJS8_SA_EEENS0_18inequality_wrapperIZN2at6native12_GLOBAL__N_124unique_dim_cuda_templateIsEESt5tupleIJNSF_6TensorESK_SK_EERKSK_lbbbEUlllE0_EEPmJS9_EEE10hipError_tPvRmT3_T4_T5_T6_T7_T9_mT8_P12ihipStream_tbDpT10_ENKUlT_T0_E_clISt17integral_constantIbLb0EES1A_EEDaS15_S16_EUlS15_E_NS1_11comp_targetILNS1_3genE9ELNS1_11target_archE1100ELNS1_3gpuE3ELNS1_3repE0EEENS1_30default_config_static_selectorELNS0_4arch9wavefront6targetE1EEEvT1_,@function
_ZN7rocprim17ROCPRIM_400000_NS6detail17trampoline_kernelINS0_14default_configENS1_25partition_config_selectorILNS1_17partition_subalgoE9EllbEEZZNS1_14partition_implILS5_9ELb0ES3_jPlS8_PNS0_10empty_typeENS0_5tupleIJS8_S9_EEENSB_IJS8_SA_EEENS0_18inequality_wrapperIZN2at6native12_GLOBAL__N_124unique_dim_cuda_templateIsEESt5tupleIJNSF_6TensorESK_SK_EERKSK_lbbbEUlllE0_EEPmJS9_EEE10hipError_tPvRmT3_T4_T5_T6_T7_T9_mT8_P12ihipStream_tbDpT10_ENKUlT_T0_E_clISt17integral_constantIbLb0EES1A_EEDaS15_S16_EUlS15_E_NS1_11comp_targetILNS1_3genE9ELNS1_11target_archE1100ELNS1_3gpuE3ELNS1_3repE0EEENS1_30default_config_static_selectorELNS0_4arch9wavefront6targetE1EEEvT1_: ; @_ZN7rocprim17ROCPRIM_400000_NS6detail17trampoline_kernelINS0_14default_configENS1_25partition_config_selectorILNS1_17partition_subalgoE9EllbEEZZNS1_14partition_implILS5_9ELb0ES3_jPlS8_PNS0_10empty_typeENS0_5tupleIJS8_S9_EEENSB_IJS8_SA_EEENS0_18inequality_wrapperIZN2at6native12_GLOBAL__N_124unique_dim_cuda_templateIsEESt5tupleIJNSF_6TensorESK_SK_EERKSK_lbbbEUlllE0_EEPmJS9_EEE10hipError_tPvRmT3_T4_T5_T6_T7_T9_mT8_P12ihipStream_tbDpT10_ENKUlT_T0_E_clISt17integral_constantIbLb0EES1A_EEDaS15_S16_EUlS15_E_NS1_11comp_targetILNS1_3genE9ELNS1_11target_archE1100ELNS1_3gpuE3ELNS1_3repE0EEENS1_30default_config_static_selectorELNS0_4arch9wavefront6targetE1EEEvT1_
; %bb.0:
	.section	.rodata,"a",@progbits
	.p2align	6, 0x0
	.amdhsa_kernel _ZN7rocprim17ROCPRIM_400000_NS6detail17trampoline_kernelINS0_14default_configENS1_25partition_config_selectorILNS1_17partition_subalgoE9EllbEEZZNS1_14partition_implILS5_9ELb0ES3_jPlS8_PNS0_10empty_typeENS0_5tupleIJS8_S9_EEENSB_IJS8_SA_EEENS0_18inequality_wrapperIZN2at6native12_GLOBAL__N_124unique_dim_cuda_templateIsEESt5tupleIJNSF_6TensorESK_SK_EERKSK_lbbbEUlllE0_EEPmJS9_EEE10hipError_tPvRmT3_T4_T5_T6_T7_T9_mT8_P12ihipStream_tbDpT10_ENKUlT_T0_E_clISt17integral_constantIbLb0EES1A_EEDaS15_S16_EUlS15_E_NS1_11comp_targetILNS1_3genE9ELNS1_11target_archE1100ELNS1_3gpuE3ELNS1_3repE0EEENS1_30default_config_static_selectorELNS0_4arch9wavefront6targetE1EEEvT1_
		.amdhsa_group_segment_fixed_size 0
		.amdhsa_private_segment_fixed_size 0
		.amdhsa_kernarg_size 120
		.amdhsa_user_sgpr_count 2
		.amdhsa_user_sgpr_dispatch_ptr 0
		.amdhsa_user_sgpr_queue_ptr 0
		.amdhsa_user_sgpr_kernarg_segment_ptr 1
		.amdhsa_user_sgpr_dispatch_id 0
		.amdhsa_user_sgpr_kernarg_preload_length 0
		.amdhsa_user_sgpr_kernarg_preload_offset 0
		.amdhsa_user_sgpr_private_segment_size 0
		.amdhsa_uses_dynamic_stack 0
		.amdhsa_enable_private_segment 0
		.amdhsa_system_sgpr_workgroup_id_x 1
		.amdhsa_system_sgpr_workgroup_id_y 0
		.amdhsa_system_sgpr_workgroup_id_z 0
		.amdhsa_system_sgpr_workgroup_info 0
		.amdhsa_system_vgpr_workitem_id 0
		.amdhsa_next_free_vgpr 1
		.amdhsa_next_free_sgpr 0
		.amdhsa_accum_offset 4
		.amdhsa_reserve_vcc 0
		.amdhsa_float_round_mode_32 0
		.amdhsa_float_round_mode_16_64 0
		.amdhsa_float_denorm_mode_32 3
		.amdhsa_float_denorm_mode_16_64 3
		.amdhsa_dx10_clamp 1
		.amdhsa_ieee_mode 1
		.amdhsa_fp16_overflow 0
		.amdhsa_tg_split 0
		.amdhsa_exception_fp_ieee_invalid_op 0
		.amdhsa_exception_fp_denorm_src 0
		.amdhsa_exception_fp_ieee_div_zero 0
		.amdhsa_exception_fp_ieee_overflow 0
		.amdhsa_exception_fp_ieee_underflow 0
		.amdhsa_exception_fp_ieee_inexact 0
		.amdhsa_exception_int_div_zero 0
	.end_amdhsa_kernel
	.section	.text._ZN7rocprim17ROCPRIM_400000_NS6detail17trampoline_kernelINS0_14default_configENS1_25partition_config_selectorILNS1_17partition_subalgoE9EllbEEZZNS1_14partition_implILS5_9ELb0ES3_jPlS8_PNS0_10empty_typeENS0_5tupleIJS8_S9_EEENSB_IJS8_SA_EEENS0_18inequality_wrapperIZN2at6native12_GLOBAL__N_124unique_dim_cuda_templateIsEESt5tupleIJNSF_6TensorESK_SK_EERKSK_lbbbEUlllE0_EEPmJS9_EEE10hipError_tPvRmT3_T4_T5_T6_T7_T9_mT8_P12ihipStream_tbDpT10_ENKUlT_T0_E_clISt17integral_constantIbLb0EES1A_EEDaS15_S16_EUlS15_E_NS1_11comp_targetILNS1_3genE9ELNS1_11target_archE1100ELNS1_3gpuE3ELNS1_3repE0EEENS1_30default_config_static_selectorELNS0_4arch9wavefront6targetE1EEEvT1_,"axG",@progbits,_ZN7rocprim17ROCPRIM_400000_NS6detail17trampoline_kernelINS0_14default_configENS1_25partition_config_selectorILNS1_17partition_subalgoE9EllbEEZZNS1_14partition_implILS5_9ELb0ES3_jPlS8_PNS0_10empty_typeENS0_5tupleIJS8_S9_EEENSB_IJS8_SA_EEENS0_18inequality_wrapperIZN2at6native12_GLOBAL__N_124unique_dim_cuda_templateIsEESt5tupleIJNSF_6TensorESK_SK_EERKSK_lbbbEUlllE0_EEPmJS9_EEE10hipError_tPvRmT3_T4_T5_T6_T7_T9_mT8_P12ihipStream_tbDpT10_ENKUlT_T0_E_clISt17integral_constantIbLb0EES1A_EEDaS15_S16_EUlS15_E_NS1_11comp_targetILNS1_3genE9ELNS1_11target_archE1100ELNS1_3gpuE3ELNS1_3repE0EEENS1_30default_config_static_selectorELNS0_4arch9wavefront6targetE1EEEvT1_,comdat
.Lfunc_end723:
	.size	_ZN7rocprim17ROCPRIM_400000_NS6detail17trampoline_kernelINS0_14default_configENS1_25partition_config_selectorILNS1_17partition_subalgoE9EllbEEZZNS1_14partition_implILS5_9ELb0ES3_jPlS8_PNS0_10empty_typeENS0_5tupleIJS8_S9_EEENSB_IJS8_SA_EEENS0_18inequality_wrapperIZN2at6native12_GLOBAL__N_124unique_dim_cuda_templateIsEESt5tupleIJNSF_6TensorESK_SK_EERKSK_lbbbEUlllE0_EEPmJS9_EEE10hipError_tPvRmT3_T4_T5_T6_T7_T9_mT8_P12ihipStream_tbDpT10_ENKUlT_T0_E_clISt17integral_constantIbLb0EES1A_EEDaS15_S16_EUlS15_E_NS1_11comp_targetILNS1_3genE9ELNS1_11target_archE1100ELNS1_3gpuE3ELNS1_3repE0EEENS1_30default_config_static_selectorELNS0_4arch9wavefront6targetE1EEEvT1_, .Lfunc_end723-_ZN7rocprim17ROCPRIM_400000_NS6detail17trampoline_kernelINS0_14default_configENS1_25partition_config_selectorILNS1_17partition_subalgoE9EllbEEZZNS1_14partition_implILS5_9ELb0ES3_jPlS8_PNS0_10empty_typeENS0_5tupleIJS8_S9_EEENSB_IJS8_SA_EEENS0_18inequality_wrapperIZN2at6native12_GLOBAL__N_124unique_dim_cuda_templateIsEESt5tupleIJNSF_6TensorESK_SK_EERKSK_lbbbEUlllE0_EEPmJS9_EEE10hipError_tPvRmT3_T4_T5_T6_T7_T9_mT8_P12ihipStream_tbDpT10_ENKUlT_T0_E_clISt17integral_constantIbLb0EES1A_EEDaS15_S16_EUlS15_E_NS1_11comp_targetILNS1_3genE9ELNS1_11target_archE1100ELNS1_3gpuE3ELNS1_3repE0EEENS1_30default_config_static_selectorELNS0_4arch9wavefront6targetE1EEEvT1_
                                        ; -- End function
	.set _ZN7rocprim17ROCPRIM_400000_NS6detail17trampoline_kernelINS0_14default_configENS1_25partition_config_selectorILNS1_17partition_subalgoE9EllbEEZZNS1_14partition_implILS5_9ELb0ES3_jPlS8_PNS0_10empty_typeENS0_5tupleIJS8_S9_EEENSB_IJS8_SA_EEENS0_18inequality_wrapperIZN2at6native12_GLOBAL__N_124unique_dim_cuda_templateIsEESt5tupleIJNSF_6TensorESK_SK_EERKSK_lbbbEUlllE0_EEPmJS9_EEE10hipError_tPvRmT3_T4_T5_T6_T7_T9_mT8_P12ihipStream_tbDpT10_ENKUlT_T0_E_clISt17integral_constantIbLb0EES1A_EEDaS15_S16_EUlS15_E_NS1_11comp_targetILNS1_3genE9ELNS1_11target_archE1100ELNS1_3gpuE3ELNS1_3repE0EEENS1_30default_config_static_selectorELNS0_4arch9wavefront6targetE1EEEvT1_.num_vgpr, 0
	.set _ZN7rocprim17ROCPRIM_400000_NS6detail17trampoline_kernelINS0_14default_configENS1_25partition_config_selectorILNS1_17partition_subalgoE9EllbEEZZNS1_14partition_implILS5_9ELb0ES3_jPlS8_PNS0_10empty_typeENS0_5tupleIJS8_S9_EEENSB_IJS8_SA_EEENS0_18inequality_wrapperIZN2at6native12_GLOBAL__N_124unique_dim_cuda_templateIsEESt5tupleIJNSF_6TensorESK_SK_EERKSK_lbbbEUlllE0_EEPmJS9_EEE10hipError_tPvRmT3_T4_T5_T6_T7_T9_mT8_P12ihipStream_tbDpT10_ENKUlT_T0_E_clISt17integral_constantIbLb0EES1A_EEDaS15_S16_EUlS15_E_NS1_11comp_targetILNS1_3genE9ELNS1_11target_archE1100ELNS1_3gpuE3ELNS1_3repE0EEENS1_30default_config_static_selectorELNS0_4arch9wavefront6targetE1EEEvT1_.num_agpr, 0
	.set _ZN7rocprim17ROCPRIM_400000_NS6detail17trampoline_kernelINS0_14default_configENS1_25partition_config_selectorILNS1_17partition_subalgoE9EllbEEZZNS1_14partition_implILS5_9ELb0ES3_jPlS8_PNS0_10empty_typeENS0_5tupleIJS8_S9_EEENSB_IJS8_SA_EEENS0_18inequality_wrapperIZN2at6native12_GLOBAL__N_124unique_dim_cuda_templateIsEESt5tupleIJNSF_6TensorESK_SK_EERKSK_lbbbEUlllE0_EEPmJS9_EEE10hipError_tPvRmT3_T4_T5_T6_T7_T9_mT8_P12ihipStream_tbDpT10_ENKUlT_T0_E_clISt17integral_constantIbLb0EES1A_EEDaS15_S16_EUlS15_E_NS1_11comp_targetILNS1_3genE9ELNS1_11target_archE1100ELNS1_3gpuE3ELNS1_3repE0EEENS1_30default_config_static_selectorELNS0_4arch9wavefront6targetE1EEEvT1_.numbered_sgpr, 0
	.set _ZN7rocprim17ROCPRIM_400000_NS6detail17trampoline_kernelINS0_14default_configENS1_25partition_config_selectorILNS1_17partition_subalgoE9EllbEEZZNS1_14partition_implILS5_9ELb0ES3_jPlS8_PNS0_10empty_typeENS0_5tupleIJS8_S9_EEENSB_IJS8_SA_EEENS0_18inequality_wrapperIZN2at6native12_GLOBAL__N_124unique_dim_cuda_templateIsEESt5tupleIJNSF_6TensorESK_SK_EERKSK_lbbbEUlllE0_EEPmJS9_EEE10hipError_tPvRmT3_T4_T5_T6_T7_T9_mT8_P12ihipStream_tbDpT10_ENKUlT_T0_E_clISt17integral_constantIbLb0EES1A_EEDaS15_S16_EUlS15_E_NS1_11comp_targetILNS1_3genE9ELNS1_11target_archE1100ELNS1_3gpuE3ELNS1_3repE0EEENS1_30default_config_static_selectorELNS0_4arch9wavefront6targetE1EEEvT1_.num_named_barrier, 0
	.set _ZN7rocprim17ROCPRIM_400000_NS6detail17trampoline_kernelINS0_14default_configENS1_25partition_config_selectorILNS1_17partition_subalgoE9EllbEEZZNS1_14partition_implILS5_9ELb0ES3_jPlS8_PNS0_10empty_typeENS0_5tupleIJS8_S9_EEENSB_IJS8_SA_EEENS0_18inequality_wrapperIZN2at6native12_GLOBAL__N_124unique_dim_cuda_templateIsEESt5tupleIJNSF_6TensorESK_SK_EERKSK_lbbbEUlllE0_EEPmJS9_EEE10hipError_tPvRmT3_T4_T5_T6_T7_T9_mT8_P12ihipStream_tbDpT10_ENKUlT_T0_E_clISt17integral_constantIbLb0EES1A_EEDaS15_S16_EUlS15_E_NS1_11comp_targetILNS1_3genE9ELNS1_11target_archE1100ELNS1_3gpuE3ELNS1_3repE0EEENS1_30default_config_static_selectorELNS0_4arch9wavefront6targetE1EEEvT1_.private_seg_size, 0
	.set _ZN7rocprim17ROCPRIM_400000_NS6detail17trampoline_kernelINS0_14default_configENS1_25partition_config_selectorILNS1_17partition_subalgoE9EllbEEZZNS1_14partition_implILS5_9ELb0ES3_jPlS8_PNS0_10empty_typeENS0_5tupleIJS8_S9_EEENSB_IJS8_SA_EEENS0_18inequality_wrapperIZN2at6native12_GLOBAL__N_124unique_dim_cuda_templateIsEESt5tupleIJNSF_6TensorESK_SK_EERKSK_lbbbEUlllE0_EEPmJS9_EEE10hipError_tPvRmT3_T4_T5_T6_T7_T9_mT8_P12ihipStream_tbDpT10_ENKUlT_T0_E_clISt17integral_constantIbLb0EES1A_EEDaS15_S16_EUlS15_E_NS1_11comp_targetILNS1_3genE9ELNS1_11target_archE1100ELNS1_3gpuE3ELNS1_3repE0EEENS1_30default_config_static_selectorELNS0_4arch9wavefront6targetE1EEEvT1_.uses_vcc, 0
	.set _ZN7rocprim17ROCPRIM_400000_NS6detail17trampoline_kernelINS0_14default_configENS1_25partition_config_selectorILNS1_17partition_subalgoE9EllbEEZZNS1_14partition_implILS5_9ELb0ES3_jPlS8_PNS0_10empty_typeENS0_5tupleIJS8_S9_EEENSB_IJS8_SA_EEENS0_18inequality_wrapperIZN2at6native12_GLOBAL__N_124unique_dim_cuda_templateIsEESt5tupleIJNSF_6TensorESK_SK_EERKSK_lbbbEUlllE0_EEPmJS9_EEE10hipError_tPvRmT3_T4_T5_T6_T7_T9_mT8_P12ihipStream_tbDpT10_ENKUlT_T0_E_clISt17integral_constantIbLb0EES1A_EEDaS15_S16_EUlS15_E_NS1_11comp_targetILNS1_3genE9ELNS1_11target_archE1100ELNS1_3gpuE3ELNS1_3repE0EEENS1_30default_config_static_selectorELNS0_4arch9wavefront6targetE1EEEvT1_.uses_flat_scratch, 0
	.set _ZN7rocprim17ROCPRIM_400000_NS6detail17trampoline_kernelINS0_14default_configENS1_25partition_config_selectorILNS1_17partition_subalgoE9EllbEEZZNS1_14partition_implILS5_9ELb0ES3_jPlS8_PNS0_10empty_typeENS0_5tupleIJS8_S9_EEENSB_IJS8_SA_EEENS0_18inequality_wrapperIZN2at6native12_GLOBAL__N_124unique_dim_cuda_templateIsEESt5tupleIJNSF_6TensorESK_SK_EERKSK_lbbbEUlllE0_EEPmJS9_EEE10hipError_tPvRmT3_T4_T5_T6_T7_T9_mT8_P12ihipStream_tbDpT10_ENKUlT_T0_E_clISt17integral_constantIbLb0EES1A_EEDaS15_S16_EUlS15_E_NS1_11comp_targetILNS1_3genE9ELNS1_11target_archE1100ELNS1_3gpuE3ELNS1_3repE0EEENS1_30default_config_static_selectorELNS0_4arch9wavefront6targetE1EEEvT1_.has_dyn_sized_stack, 0
	.set _ZN7rocprim17ROCPRIM_400000_NS6detail17trampoline_kernelINS0_14default_configENS1_25partition_config_selectorILNS1_17partition_subalgoE9EllbEEZZNS1_14partition_implILS5_9ELb0ES3_jPlS8_PNS0_10empty_typeENS0_5tupleIJS8_S9_EEENSB_IJS8_SA_EEENS0_18inequality_wrapperIZN2at6native12_GLOBAL__N_124unique_dim_cuda_templateIsEESt5tupleIJNSF_6TensorESK_SK_EERKSK_lbbbEUlllE0_EEPmJS9_EEE10hipError_tPvRmT3_T4_T5_T6_T7_T9_mT8_P12ihipStream_tbDpT10_ENKUlT_T0_E_clISt17integral_constantIbLb0EES1A_EEDaS15_S16_EUlS15_E_NS1_11comp_targetILNS1_3genE9ELNS1_11target_archE1100ELNS1_3gpuE3ELNS1_3repE0EEENS1_30default_config_static_selectorELNS0_4arch9wavefront6targetE1EEEvT1_.has_recursion, 0
	.set _ZN7rocprim17ROCPRIM_400000_NS6detail17trampoline_kernelINS0_14default_configENS1_25partition_config_selectorILNS1_17partition_subalgoE9EllbEEZZNS1_14partition_implILS5_9ELb0ES3_jPlS8_PNS0_10empty_typeENS0_5tupleIJS8_S9_EEENSB_IJS8_SA_EEENS0_18inequality_wrapperIZN2at6native12_GLOBAL__N_124unique_dim_cuda_templateIsEESt5tupleIJNSF_6TensorESK_SK_EERKSK_lbbbEUlllE0_EEPmJS9_EEE10hipError_tPvRmT3_T4_T5_T6_T7_T9_mT8_P12ihipStream_tbDpT10_ENKUlT_T0_E_clISt17integral_constantIbLb0EES1A_EEDaS15_S16_EUlS15_E_NS1_11comp_targetILNS1_3genE9ELNS1_11target_archE1100ELNS1_3gpuE3ELNS1_3repE0EEENS1_30default_config_static_selectorELNS0_4arch9wavefront6targetE1EEEvT1_.has_indirect_call, 0
	.section	.AMDGPU.csdata,"",@progbits
; Kernel info:
; codeLenInByte = 0
; TotalNumSgprs: 6
; NumVgprs: 0
; NumAgprs: 0
; TotalNumVgprs: 0
; ScratchSize: 0
; MemoryBound: 0
; FloatMode: 240
; IeeeMode: 1
; LDSByteSize: 0 bytes/workgroup (compile time only)
; SGPRBlocks: 0
; VGPRBlocks: 0
; NumSGPRsForWavesPerEU: 6
; NumVGPRsForWavesPerEU: 1
; AccumOffset: 4
; Occupancy: 8
; WaveLimiterHint : 0
; COMPUTE_PGM_RSRC2:SCRATCH_EN: 0
; COMPUTE_PGM_RSRC2:USER_SGPR: 2
; COMPUTE_PGM_RSRC2:TRAP_HANDLER: 0
; COMPUTE_PGM_RSRC2:TGID_X_EN: 1
; COMPUTE_PGM_RSRC2:TGID_Y_EN: 0
; COMPUTE_PGM_RSRC2:TGID_Z_EN: 0
; COMPUTE_PGM_RSRC2:TIDIG_COMP_CNT: 0
; COMPUTE_PGM_RSRC3_GFX90A:ACCUM_OFFSET: 0
; COMPUTE_PGM_RSRC3_GFX90A:TG_SPLIT: 0
	.section	.text._ZN7rocprim17ROCPRIM_400000_NS6detail17trampoline_kernelINS0_14default_configENS1_25partition_config_selectorILNS1_17partition_subalgoE9EllbEEZZNS1_14partition_implILS5_9ELb0ES3_jPlS8_PNS0_10empty_typeENS0_5tupleIJS8_S9_EEENSB_IJS8_SA_EEENS0_18inequality_wrapperIZN2at6native12_GLOBAL__N_124unique_dim_cuda_templateIsEESt5tupleIJNSF_6TensorESK_SK_EERKSK_lbbbEUlllE0_EEPmJS9_EEE10hipError_tPvRmT3_T4_T5_T6_T7_T9_mT8_P12ihipStream_tbDpT10_ENKUlT_T0_E_clISt17integral_constantIbLb0EES1A_EEDaS15_S16_EUlS15_E_NS1_11comp_targetILNS1_3genE8ELNS1_11target_archE1030ELNS1_3gpuE2ELNS1_3repE0EEENS1_30default_config_static_selectorELNS0_4arch9wavefront6targetE1EEEvT1_,"axG",@progbits,_ZN7rocprim17ROCPRIM_400000_NS6detail17trampoline_kernelINS0_14default_configENS1_25partition_config_selectorILNS1_17partition_subalgoE9EllbEEZZNS1_14partition_implILS5_9ELb0ES3_jPlS8_PNS0_10empty_typeENS0_5tupleIJS8_S9_EEENSB_IJS8_SA_EEENS0_18inequality_wrapperIZN2at6native12_GLOBAL__N_124unique_dim_cuda_templateIsEESt5tupleIJNSF_6TensorESK_SK_EERKSK_lbbbEUlllE0_EEPmJS9_EEE10hipError_tPvRmT3_T4_T5_T6_T7_T9_mT8_P12ihipStream_tbDpT10_ENKUlT_T0_E_clISt17integral_constantIbLb0EES1A_EEDaS15_S16_EUlS15_E_NS1_11comp_targetILNS1_3genE8ELNS1_11target_archE1030ELNS1_3gpuE2ELNS1_3repE0EEENS1_30default_config_static_selectorELNS0_4arch9wavefront6targetE1EEEvT1_,comdat
	.globl	_ZN7rocprim17ROCPRIM_400000_NS6detail17trampoline_kernelINS0_14default_configENS1_25partition_config_selectorILNS1_17partition_subalgoE9EllbEEZZNS1_14partition_implILS5_9ELb0ES3_jPlS8_PNS0_10empty_typeENS0_5tupleIJS8_S9_EEENSB_IJS8_SA_EEENS0_18inequality_wrapperIZN2at6native12_GLOBAL__N_124unique_dim_cuda_templateIsEESt5tupleIJNSF_6TensorESK_SK_EERKSK_lbbbEUlllE0_EEPmJS9_EEE10hipError_tPvRmT3_T4_T5_T6_T7_T9_mT8_P12ihipStream_tbDpT10_ENKUlT_T0_E_clISt17integral_constantIbLb0EES1A_EEDaS15_S16_EUlS15_E_NS1_11comp_targetILNS1_3genE8ELNS1_11target_archE1030ELNS1_3gpuE2ELNS1_3repE0EEENS1_30default_config_static_selectorELNS0_4arch9wavefront6targetE1EEEvT1_ ; -- Begin function _ZN7rocprim17ROCPRIM_400000_NS6detail17trampoline_kernelINS0_14default_configENS1_25partition_config_selectorILNS1_17partition_subalgoE9EllbEEZZNS1_14partition_implILS5_9ELb0ES3_jPlS8_PNS0_10empty_typeENS0_5tupleIJS8_S9_EEENSB_IJS8_SA_EEENS0_18inequality_wrapperIZN2at6native12_GLOBAL__N_124unique_dim_cuda_templateIsEESt5tupleIJNSF_6TensorESK_SK_EERKSK_lbbbEUlllE0_EEPmJS9_EEE10hipError_tPvRmT3_T4_T5_T6_T7_T9_mT8_P12ihipStream_tbDpT10_ENKUlT_T0_E_clISt17integral_constantIbLb0EES1A_EEDaS15_S16_EUlS15_E_NS1_11comp_targetILNS1_3genE8ELNS1_11target_archE1030ELNS1_3gpuE2ELNS1_3repE0EEENS1_30default_config_static_selectorELNS0_4arch9wavefront6targetE1EEEvT1_
	.p2align	8
	.type	_ZN7rocprim17ROCPRIM_400000_NS6detail17trampoline_kernelINS0_14default_configENS1_25partition_config_selectorILNS1_17partition_subalgoE9EllbEEZZNS1_14partition_implILS5_9ELb0ES3_jPlS8_PNS0_10empty_typeENS0_5tupleIJS8_S9_EEENSB_IJS8_SA_EEENS0_18inequality_wrapperIZN2at6native12_GLOBAL__N_124unique_dim_cuda_templateIsEESt5tupleIJNSF_6TensorESK_SK_EERKSK_lbbbEUlllE0_EEPmJS9_EEE10hipError_tPvRmT3_T4_T5_T6_T7_T9_mT8_P12ihipStream_tbDpT10_ENKUlT_T0_E_clISt17integral_constantIbLb0EES1A_EEDaS15_S16_EUlS15_E_NS1_11comp_targetILNS1_3genE8ELNS1_11target_archE1030ELNS1_3gpuE2ELNS1_3repE0EEENS1_30default_config_static_selectorELNS0_4arch9wavefront6targetE1EEEvT1_,@function
_ZN7rocprim17ROCPRIM_400000_NS6detail17trampoline_kernelINS0_14default_configENS1_25partition_config_selectorILNS1_17partition_subalgoE9EllbEEZZNS1_14partition_implILS5_9ELb0ES3_jPlS8_PNS0_10empty_typeENS0_5tupleIJS8_S9_EEENSB_IJS8_SA_EEENS0_18inequality_wrapperIZN2at6native12_GLOBAL__N_124unique_dim_cuda_templateIsEESt5tupleIJNSF_6TensorESK_SK_EERKSK_lbbbEUlllE0_EEPmJS9_EEE10hipError_tPvRmT3_T4_T5_T6_T7_T9_mT8_P12ihipStream_tbDpT10_ENKUlT_T0_E_clISt17integral_constantIbLb0EES1A_EEDaS15_S16_EUlS15_E_NS1_11comp_targetILNS1_3genE8ELNS1_11target_archE1030ELNS1_3gpuE2ELNS1_3repE0EEENS1_30default_config_static_selectorELNS0_4arch9wavefront6targetE1EEEvT1_: ; @_ZN7rocprim17ROCPRIM_400000_NS6detail17trampoline_kernelINS0_14default_configENS1_25partition_config_selectorILNS1_17partition_subalgoE9EllbEEZZNS1_14partition_implILS5_9ELb0ES3_jPlS8_PNS0_10empty_typeENS0_5tupleIJS8_S9_EEENSB_IJS8_SA_EEENS0_18inequality_wrapperIZN2at6native12_GLOBAL__N_124unique_dim_cuda_templateIsEESt5tupleIJNSF_6TensorESK_SK_EERKSK_lbbbEUlllE0_EEPmJS9_EEE10hipError_tPvRmT3_T4_T5_T6_T7_T9_mT8_P12ihipStream_tbDpT10_ENKUlT_T0_E_clISt17integral_constantIbLb0EES1A_EEDaS15_S16_EUlS15_E_NS1_11comp_targetILNS1_3genE8ELNS1_11target_archE1030ELNS1_3gpuE2ELNS1_3repE0EEENS1_30default_config_static_selectorELNS0_4arch9wavefront6targetE1EEEvT1_
; %bb.0:
	.section	.rodata,"a",@progbits
	.p2align	6, 0x0
	.amdhsa_kernel _ZN7rocprim17ROCPRIM_400000_NS6detail17trampoline_kernelINS0_14default_configENS1_25partition_config_selectorILNS1_17partition_subalgoE9EllbEEZZNS1_14partition_implILS5_9ELb0ES3_jPlS8_PNS0_10empty_typeENS0_5tupleIJS8_S9_EEENSB_IJS8_SA_EEENS0_18inequality_wrapperIZN2at6native12_GLOBAL__N_124unique_dim_cuda_templateIsEESt5tupleIJNSF_6TensorESK_SK_EERKSK_lbbbEUlllE0_EEPmJS9_EEE10hipError_tPvRmT3_T4_T5_T6_T7_T9_mT8_P12ihipStream_tbDpT10_ENKUlT_T0_E_clISt17integral_constantIbLb0EES1A_EEDaS15_S16_EUlS15_E_NS1_11comp_targetILNS1_3genE8ELNS1_11target_archE1030ELNS1_3gpuE2ELNS1_3repE0EEENS1_30default_config_static_selectorELNS0_4arch9wavefront6targetE1EEEvT1_
		.amdhsa_group_segment_fixed_size 0
		.amdhsa_private_segment_fixed_size 0
		.amdhsa_kernarg_size 120
		.amdhsa_user_sgpr_count 2
		.amdhsa_user_sgpr_dispatch_ptr 0
		.amdhsa_user_sgpr_queue_ptr 0
		.amdhsa_user_sgpr_kernarg_segment_ptr 1
		.amdhsa_user_sgpr_dispatch_id 0
		.amdhsa_user_sgpr_kernarg_preload_length 0
		.amdhsa_user_sgpr_kernarg_preload_offset 0
		.amdhsa_user_sgpr_private_segment_size 0
		.amdhsa_uses_dynamic_stack 0
		.amdhsa_enable_private_segment 0
		.amdhsa_system_sgpr_workgroup_id_x 1
		.amdhsa_system_sgpr_workgroup_id_y 0
		.amdhsa_system_sgpr_workgroup_id_z 0
		.amdhsa_system_sgpr_workgroup_info 0
		.amdhsa_system_vgpr_workitem_id 0
		.amdhsa_next_free_vgpr 1
		.amdhsa_next_free_sgpr 0
		.amdhsa_accum_offset 4
		.amdhsa_reserve_vcc 0
		.amdhsa_float_round_mode_32 0
		.amdhsa_float_round_mode_16_64 0
		.amdhsa_float_denorm_mode_32 3
		.amdhsa_float_denorm_mode_16_64 3
		.amdhsa_dx10_clamp 1
		.amdhsa_ieee_mode 1
		.amdhsa_fp16_overflow 0
		.amdhsa_tg_split 0
		.amdhsa_exception_fp_ieee_invalid_op 0
		.amdhsa_exception_fp_denorm_src 0
		.amdhsa_exception_fp_ieee_div_zero 0
		.amdhsa_exception_fp_ieee_overflow 0
		.amdhsa_exception_fp_ieee_underflow 0
		.amdhsa_exception_fp_ieee_inexact 0
		.amdhsa_exception_int_div_zero 0
	.end_amdhsa_kernel
	.section	.text._ZN7rocprim17ROCPRIM_400000_NS6detail17trampoline_kernelINS0_14default_configENS1_25partition_config_selectorILNS1_17partition_subalgoE9EllbEEZZNS1_14partition_implILS5_9ELb0ES3_jPlS8_PNS0_10empty_typeENS0_5tupleIJS8_S9_EEENSB_IJS8_SA_EEENS0_18inequality_wrapperIZN2at6native12_GLOBAL__N_124unique_dim_cuda_templateIsEESt5tupleIJNSF_6TensorESK_SK_EERKSK_lbbbEUlllE0_EEPmJS9_EEE10hipError_tPvRmT3_T4_T5_T6_T7_T9_mT8_P12ihipStream_tbDpT10_ENKUlT_T0_E_clISt17integral_constantIbLb0EES1A_EEDaS15_S16_EUlS15_E_NS1_11comp_targetILNS1_3genE8ELNS1_11target_archE1030ELNS1_3gpuE2ELNS1_3repE0EEENS1_30default_config_static_selectorELNS0_4arch9wavefront6targetE1EEEvT1_,"axG",@progbits,_ZN7rocprim17ROCPRIM_400000_NS6detail17trampoline_kernelINS0_14default_configENS1_25partition_config_selectorILNS1_17partition_subalgoE9EllbEEZZNS1_14partition_implILS5_9ELb0ES3_jPlS8_PNS0_10empty_typeENS0_5tupleIJS8_S9_EEENSB_IJS8_SA_EEENS0_18inequality_wrapperIZN2at6native12_GLOBAL__N_124unique_dim_cuda_templateIsEESt5tupleIJNSF_6TensorESK_SK_EERKSK_lbbbEUlllE0_EEPmJS9_EEE10hipError_tPvRmT3_T4_T5_T6_T7_T9_mT8_P12ihipStream_tbDpT10_ENKUlT_T0_E_clISt17integral_constantIbLb0EES1A_EEDaS15_S16_EUlS15_E_NS1_11comp_targetILNS1_3genE8ELNS1_11target_archE1030ELNS1_3gpuE2ELNS1_3repE0EEENS1_30default_config_static_selectorELNS0_4arch9wavefront6targetE1EEEvT1_,comdat
.Lfunc_end724:
	.size	_ZN7rocprim17ROCPRIM_400000_NS6detail17trampoline_kernelINS0_14default_configENS1_25partition_config_selectorILNS1_17partition_subalgoE9EllbEEZZNS1_14partition_implILS5_9ELb0ES3_jPlS8_PNS0_10empty_typeENS0_5tupleIJS8_S9_EEENSB_IJS8_SA_EEENS0_18inequality_wrapperIZN2at6native12_GLOBAL__N_124unique_dim_cuda_templateIsEESt5tupleIJNSF_6TensorESK_SK_EERKSK_lbbbEUlllE0_EEPmJS9_EEE10hipError_tPvRmT3_T4_T5_T6_T7_T9_mT8_P12ihipStream_tbDpT10_ENKUlT_T0_E_clISt17integral_constantIbLb0EES1A_EEDaS15_S16_EUlS15_E_NS1_11comp_targetILNS1_3genE8ELNS1_11target_archE1030ELNS1_3gpuE2ELNS1_3repE0EEENS1_30default_config_static_selectorELNS0_4arch9wavefront6targetE1EEEvT1_, .Lfunc_end724-_ZN7rocprim17ROCPRIM_400000_NS6detail17trampoline_kernelINS0_14default_configENS1_25partition_config_selectorILNS1_17partition_subalgoE9EllbEEZZNS1_14partition_implILS5_9ELb0ES3_jPlS8_PNS0_10empty_typeENS0_5tupleIJS8_S9_EEENSB_IJS8_SA_EEENS0_18inequality_wrapperIZN2at6native12_GLOBAL__N_124unique_dim_cuda_templateIsEESt5tupleIJNSF_6TensorESK_SK_EERKSK_lbbbEUlllE0_EEPmJS9_EEE10hipError_tPvRmT3_T4_T5_T6_T7_T9_mT8_P12ihipStream_tbDpT10_ENKUlT_T0_E_clISt17integral_constantIbLb0EES1A_EEDaS15_S16_EUlS15_E_NS1_11comp_targetILNS1_3genE8ELNS1_11target_archE1030ELNS1_3gpuE2ELNS1_3repE0EEENS1_30default_config_static_selectorELNS0_4arch9wavefront6targetE1EEEvT1_
                                        ; -- End function
	.set _ZN7rocprim17ROCPRIM_400000_NS6detail17trampoline_kernelINS0_14default_configENS1_25partition_config_selectorILNS1_17partition_subalgoE9EllbEEZZNS1_14partition_implILS5_9ELb0ES3_jPlS8_PNS0_10empty_typeENS0_5tupleIJS8_S9_EEENSB_IJS8_SA_EEENS0_18inequality_wrapperIZN2at6native12_GLOBAL__N_124unique_dim_cuda_templateIsEESt5tupleIJNSF_6TensorESK_SK_EERKSK_lbbbEUlllE0_EEPmJS9_EEE10hipError_tPvRmT3_T4_T5_T6_T7_T9_mT8_P12ihipStream_tbDpT10_ENKUlT_T0_E_clISt17integral_constantIbLb0EES1A_EEDaS15_S16_EUlS15_E_NS1_11comp_targetILNS1_3genE8ELNS1_11target_archE1030ELNS1_3gpuE2ELNS1_3repE0EEENS1_30default_config_static_selectorELNS0_4arch9wavefront6targetE1EEEvT1_.num_vgpr, 0
	.set _ZN7rocprim17ROCPRIM_400000_NS6detail17trampoline_kernelINS0_14default_configENS1_25partition_config_selectorILNS1_17partition_subalgoE9EllbEEZZNS1_14partition_implILS5_9ELb0ES3_jPlS8_PNS0_10empty_typeENS0_5tupleIJS8_S9_EEENSB_IJS8_SA_EEENS0_18inequality_wrapperIZN2at6native12_GLOBAL__N_124unique_dim_cuda_templateIsEESt5tupleIJNSF_6TensorESK_SK_EERKSK_lbbbEUlllE0_EEPmJS9_EEE10hipError_tPvRmT3_T4_T5_T6_T7_T9_mT8_P12ihipStream_tbDpT10_ENKUlT_T0_E_clISt17integral_constantIbLb0EES1A_EEDaS15_S16_EUlS15_E_NS1_11comp_targetILNS1_3genE8ELNS1_11target_archE1030ELNS1_3gpuE2ELNS1_3repE0EEENS1_30default_config_static_selectorELNS0_4arch9wavefront6targetE1EEEvT1_.num_agpr, 0
	.set _ZN7rocprim17ROCPRIM_400000_NS6detail17trampoline_kernelINS0_14default_configENS1_25partition_config_selectorILNS1_17partition_subalgoE9EllbEEZZNS1_14partition_implILS5_9ELb0ES3_jPlS8_PNS0_10empty_typeENS0_5tupleIJS8_S9_EEENSB_IJS8_SA_EEENS0_18inequality_wrapperIZN2at6native12_GLOBAL__N_124unique_dim_cuda_templateIsEESt5tupleIJNSF_6TensorESK_SK_EERKSK_lbbbEUlllE0_EEPmJS9_EEE10hipError_tPvRmT3_T4_T5_T6_T7_T9_mT8_P12ihipStream_tbDpT10_ENKUlT_T0_E_clISt17integral_constantIbLb0EES1A_EEDaS15_S16_EUlS15_E_NS1_11comp_targetILNS1_3genE8ELNS1_11target_archE1030ELNS1_3gpuE2ELNS1_3repE0EEENS1_30default_config_static_selectorELNS0_4arch9wavefront6targetE1EEEvT1_.numbered_sgpr, 0
	.set _ZN7rocprim17ROCPRIM_400000_NS6detail17trampoline_kernelINS0_14default_configENS1_25partition_config_selectorILNS1_17partition_subalgoE9EllbEEZZNS1_14partition_implILS5_9ELb0ES3_jPlS8_PNS0_10empty_typeENS0_5tupleIJS8_S9_EEENSB_IJS8_SA_EEENS0_18inequality_wrapperIZN2at6native12_GLOBAL__N_124unique_dim_cuda_templateIsEESt5tupleIJNSF_6TensorESK_SK_EERKSK_lbbbEUlllE0_EEPmJS9_EEE10hipError_tPvRmT3_T4_T5_T6_T7_T9_mT8_P12ihipStream_tbDpT10_ENKUlT_T0_E_clISt17integral_constantIbLb0EES1A_EEDaS15_S16_EUlS15_E_NS1_11comp_targetILNS1_3genE8ELNS1_11target_archE1030ELNS1_3gpuE2ELNS1_3repE0EEENS1_30default_config_static_selectorELNS0_4arch9wavefront6targetE1EEEvT1_.num_named_barrier, 0
	.set _ZN7rocprim17ROCPRIM_400000_NS6detail17trampoline_kernelINS0_14default_configENS1_25partition_config_selectorILNS1_17partition_subalgoE9EllbEEZZNS1_14partition_implILS5_9ELb0ES3_jPlS8_PNS0_10empty_typeENS0_5tupleIJS8_S9_EEENSB_IJS8_SA_EEENS0_18inequality_wrapperIZN2at6native12_GLOBAL__N_124unique_dim_cuda_templateIsEESt5tupleIJNSF_6TensorESK_SK_EERKSK_lbbbEUlllE0_EEPmJS9_EEE10hipError_tPvRmT3_T4_T5_T6_T7_T9_mT8_P12ihipStream_tbDpT10_ENKUlT_T0_E_clISt17integral_constantIbLb0EES1A_EEDaS15_S16_EUlS15_E_NS1_11comp_targetILNS1_3genE8ELNS1_11target_archE1030ELNS1_3gpuE2ELNS1_3repE0EEENS1_30default_config_static_selectorELNS0_4arch9wavefront6targetE1EEEvT1_.private_seg_size, 0
	.set _ZN7rocprim17ROCPRIM_400000_NS6detail17trampoline_kernelINS0_14default_configENS1_25partition_config_selectorILNS1_17partition_subalgoE9EllbEEZZNS1_14partition_implILS5_9ELb0ES3_jPlS8_PNS0_10empty_typeENS0_5tupleIJS8_S9_EEENSB_IJS8_SA_EEENS0_18inequality_wrapperIZN2at6native12_GLOBAL__N_124unique_dim_cuda_templateIsEESt5tupleIJNSF_6TensorESK_SK_EERKSK_lbbbEUlllE0_EEPmJS9_EEE10hipError_tPvRmT3_T4_T5_T6_T7_T9_mT8_P12ihipStream_tbDpT10_ENKUlT_T0_E_clISt17integral_constantIbLb0EES1A_EEDaS15_S16_EUlS15_E_NS1_11comp_targetILNS1_3genE8ELNS1_11target_archE1030ELNS1_3gpuE2ELNS1_3repE0EEENS1_30default_config_static_selectorELNS0_4arch9wavefront6targetE1EEEvT1_.uses_vcc, 0
	.set _ZN7rocprim17ROCPRIM_400000_NS6detail17trampoline_kernelINS0_14default_configENS1_25partition_config_selectorILNS1_17partition_subalgoE9EllbEEZZNS1_14partition_implILS5_9ELb0ES3_jPlS8_PNS0_10empty_typeENS0_5tupleIJS8_S9_EEENSB_IJS8_SA_EEENS0_18inequality_wrapperIZN2at6native12_GLOBAL__N_124unique_dim_cuda_templateIsEESt5tupleIJNSF_6TensorESK_SK_EERKSK_lbbbEUlllE0_EEPmJS9_EEE10hipError_tPvRmT3_T4_T5_T6_T7_T9_mT8_P12ihipStream_tbDpT10_ENKUlT_T0_E_clISt17integral_constantIbLb0EES1A_EEDaS15_S16_EUlS15_E_NS1_11comp_targetILNS1_3genE8ELNS1_11target_archE1030ELNS1_3gpuE2ELNS1_3repE0EEENS1_30default_config_static_selectorELNS0_4arch9wavefront6targetE1EEEvT1_.uses_flat_scratch, 0
	.set _ZN7rocprim17ROCPRIM_400000_NS6detail17trampoline_kernelINS0_14default_configENS1_25partition_config_selectorILNS1_17partition_subalgoE9EllbEEZZNS1_14partition_implILS5_9ELb0ES3_jPlS8_PNS0_10empty_typeENS0_5tupleIJS8_S9_EEENSB_IJS8_SA_EEENS0_18inequality_wrapperIZN2at6native12_GLOBAL__N_124unique_dim_cuda_templateIsEESt5tupleIJNSF_6TensorESK_SK_EERKSK_lbbbEUlllE0_EEPmJS9_EEE10hipError_tPvRmT3_T4_T5_T6_T7_T9_mT8_P12ihipStream_tbDpT10_ENKUlT_T0_E_clISt17integral_constantIbLb0EES1A_EEDaS15_S16_EUlS15_E_NS1_11comp_targetILNS1_3genE8ELNS1_11target_archE1030ELNS1_3gpuE2ELNS1_3repE0EEENS1_30default_config_static_selectorELNS0_4arch9wavefront6targetE1EEEvT1_.has_dyn_sized_stack, 0
	.set _ZN7rocprim17ROCPRIM_400000_NS6detail17trampoline_kernelINS0_14default_configENS1_25partition_config_selectorILNS1_17partition_subalgoE9EllbEEZZNS1_14partition_implILS5_9ELb0ES3_jPlS8_PNS0_10empty_typeENS0_5tupleIJS8_S9_EEENSB_IJS8_SA_EEENS0_18inequality_wrapperIZN2at6native12_GLOBAL__N_124unique_dim_cuda_templateIsEESt5tupleIJNSF_6TensorESK_SK_EERKSK_lbbbEUlllE0_EEPmJS9_EEE10hipError_tPvRmT3_T4_T5_T6_T7_T9_mT8_P12ihipStream_tbDpT10_ENKUlT_T0_E_clISt17integral_constantIbLb0EES1A_EEDaS15_S16_EUlS15_E_NS1_11comp_targetILNS1_3genE8ELNS1_11target_archE1030ELNS1_3gpuE2ELNS1_3repE0EEENS1_30default_config_static_selectorELNS0_4arch9wavefront6targetE1EEEvT1_.has_recursion, 0
	.set _ZN7rocprim17ROCPRIM_400000_NS6detail17trampoline_kernelINS0_14default_configENS1_25partition_config_selectorILNS1_17partition_subalgoE9EllbEEZZNS1_14partition_implILS5_9ELb0ES3_jPlS8_PNS0_10empty_typeENS0_5tupleIJS8_S9_EEENSB_IJS8_SA_EEENS0_18inequality_wrapperIZN2at6native12_GLOBAL__N_124unique_dim_cuda_templateIsEESt5tupleIJNSF_6TensorESK_SK_EERKSK_lbbbEUlllE0_EEPmJS9_EEE10hipError_tPvRmT3_T4_T5_T6_T7_T9_mT8_P12ihipStream_tbDpT10_ENKUlT_T0_E_clISt17integral_constantIbLb0EES1A_EEDaS15_S16_EUlS15_E_NS1_11comp_targetILNS1_3genE8ELNS1_11target_archE1030ELNS1_3gpuE2ELNS1_3repE0EEENS1_30default_config_static_selectorELNS0_4arch9wavefront6targetE1EEEvT1_.has_indirect_call, 0
	.section	.AMDGPU.csdata,"",@progbits
; Kernel info:
; codeLenInByte = 0
; TotalNumSgprs: 6
; NumVgprs: 0
; NumAgprs: 0
; TotalNumVgprs: 0
; ScratchSize: 0
; MemoryBound: 0
; FloatMode: 240
; IeeeMode: 1
; LDSByteSize: 0 bytes/workgroup (compile time only)
; SGPRBlocks: 0
; VGPRBlocks: 0
; NumSGPRsForWavesPerEU: 6
; NumVGPRsForWavesPerEU: 1
; AccumOffset: 4
; Occupancy: 8
; WaveLimiterHint : 0
; COMPUTE_PGM_RSRC2:SCRATCH_EN: 0
; COMPUTE_PGM_RSRC2:USER_SGPR: 2
; COMPUTE_PGM_RSRC2:TRAP_HANDLER: 0
; COMPUTE_PGM_RSRC2:TGID_X_EN: 1
; COMPUTE_PGM_RSRC2:TGID_Y_EN: 0
; COMPUTE_PGM_RSRC2:TGID_Z_EN: 0
; COMPUTE_PGM_RSRC2:TIDIG_COMP_CNT: 0
; COMPUTE_PGM_RSRC3_GFX90A:ACCUM_OFFSET: 0
; COMPUTE_PGM_RSRC3_GFX90A:TG_SPLIT: 0
	.section	.text._ZN7rocprim17ROCPRIM_400000_NS6detail17trampoline_kernelINS0_14default_configENS1_25partition_config_selectorILNS1_17partition_subalgoE9EllbEEZZNS1_14partition_implILS5_9ELb0ES3_jPlS8_PNS0_10empty_typeENS0_5tupleIJS8_S9_EEENSB_IJS8_SA_EEENS0_18inequality_wrapperIZN2at6native12_GLOBAL__N_124unique_dim_cuda_templateIsEESt5tupleIJNSF_6TensorESK_SK_EERKSK_lbbbEUlllE0_EEPmJS9_EEE10hipError_tPvRmT3_T4_T5_T6_T7_T9_mT8_P12ihipStream_tbDpT10_ENKUlT_T0_E_clISt17integral_constantIbLb1EES1A_EEDaS15_S16_EUlS15_E_NS1_11comp_targetILNS1_3genE0ELNS1_11target_archE4294967295ELNS1_3gpuE0ELNS1_3repE0EEENS1_30default_config_static_selectorELNS0_4arch9wavefront6targetE1EEEvT1_,"axG",@progbits,_ZN7rocprim17ROCPRIM_400000_NS6detail17trampoline_kernelINS0_14default_configENS1_25partition_config_selectorILNS1_17partition_subalgoE9EllbEEZZNS1_14partition_implILS5_9ELb0ES3_jPlS8_PNS0_10empty_typeENS0_5tupleIJS8_S9_EEENSB_IJS8_SA_EEENS0_18inequality_wrapperIZN2at6native12_GLOBAL__N_124unique_dim_cuda_templateIsEESt5tupleIJNSF_6TensorESK_SK_EERKSK_lbbbEUlllE0_EEPmJS9_EEE10hipError_tPvRmT3_T4_T5_T6_T7_T9_mT8_P12ihipStream_tbDpT10_ENKUlT_T0_E_clISt17integral_constantIbLb1EES1A_EEDaS15_S16_EUlS15_E_NS1_11comp_targetILNS1_3genE0ELNS1_11target_archE4294967295ELNS1_3gpuE0ELNS1_3repE0EEENS1_30default_config_static_selectorELNS0_4arch9wavefront6targetE1EEEvT1_,comdat
	.globl	_ZN7rocprim17ROCPRIM_400000_NS6detail17trampoline_kernelINS0_14default_configENS1_25partition_config_selectorILNS1_17partition_subalgoE9EllbEEZZNS1_14partition_implILS5_9ELb0ES3_jPlS8_PNS0_10empty_typeENS0_5tupleIJS8_S9_EEENSB_IJS8_SA_EEENS0_18inequality_wrapperIZN2at6native12_GLOBAL__N_124unique_dim_cuda_templateIsEESt5tupleIJNSF_6TensorESK_SK_EERKSK_lbbbEUlllE0_EEPmJS9_EEE10hipError_tPvRmT3_T4_T5_T6_T7_T9_mT8_P12ihipStream_tbDpT10_ENKUlT_T0_E_clISt17integral_constantIbLb1EES1A_EEDaS15_S16_EUlS15_E_NS1_11comp_targetILNS1_3genE0ELNS1_11target_archE4294967295ELNS1_3gpuE0ELNS1_3repE0EEENS1_30default_config_static_selectorELNS0_4arch9wavefront6targetE1EEEvT1_ ; -- Begin function _ZN7rocprim17ROCPRIM_400000_NS6detail17trampoline_kernelINS0_14default_configENS1_25partition_config_selectorILNS1_17partition_subalgoE9EllbEEZZNS1_14partition_implILS5_9ELb0ES3_jPlS8_PNS0_10empty_typeENS0_5tupleIJS8_S9_EEENSB_IJS8_SA_EEENS0_18inequality_wrapperIZN2at6native12_GLOBAL__N_124unique_dim_cuda_templateIsEESt5tupleIJNSF_6TensorESK_SK_EERKSK_lbbbEUlllE0_EEPmJS9_EEE10hipError_tPvRmT3_T4_T5_T6_T7_T9_mT8_P12ihipStream_tbDpT10_ENKUlT_T0_E_clISt17integral_constantIbLb1EES1A_EEDaS15_S16_EUlS15_E_NS1_11comp_targetILNS1_3genE0ELNS1_11target_archE4294967295ELNS1_3gpuE0ELNS1_3repE0EEENS1_30default_config_static_selectorELNS0_4arch9wavefront6targetE1EEEvT1_
	.p2align	8
	.type	_ZN7rocprim17ROCPRIM_400000_NS6detail17trampoline_kernelINS0_14default_configENS1_25partition_config_selectorILNS1_17partition_subalgoE9EllbEEZZNS1_14partition_implILS5_9ELb0ES3_jPlS8_PNS0_10empty_typeENS0_5tupleIJS8_S9_EEENSB_IJS8_SA_EEENS0_18inequality_wrapperIZN2at6native12_GLOBAL__N_124unique_dim_cuda_templateIsEESt5tupleIJNSF_6TensorESK_SK_EERKSK_lbbbEUlllE0_EEPmJS9_EEE10hipError_tPvRmT3_T4_T5_T6_T7_T9_mT8_P12ihipStream_tbDpT10_ENKUlT_T0_E_clISt17integral_constantIbLb1EES1A_EEDaS15_S16_EUlS15_E_NS1_11comp_targetILNS1_3genE0ELNS1_11target_archE4294967295ELNS1_3gpuE0ELNS1_3repE0EEENS1_30default_config_static_selectorELNS0_4arch9wavefront6targetE1EEEvT1_,@function
_ZN7rocprim17ROCPRIM_400000_NS6detail17trampoline_kernelINS0_14default_configENS1_25partition_config_selectorILNS1_17partition_subalgoE9EllbEEZZNS1_14partition_implILS5_9ELb0ES3_jPlS8_PNS0_10empty_typeENS0_5tupleIJS8_S9_EEENSB_IJS8_SA_EEENS0_18inequality_wrapperIZN2at6native12_GLOBAL__N_124unique_dim_cuda_templateIsEESt5tupleIJNSF_6TensorESK_SK_EERKSK_lbbbEUlllE0_EEPmJS9_EEE10hipError_tPvRmT3_T4_T5_T6_T7_T9_mT8_P12ihipStream_tbDpT10_ENKUlT_T0_E_clISt17integral_constantIbLb1EES1A_EEDaS15_S16_EUlS15_E_NS1_11comp_targetILNS1_3genE0ELNS1_11target_archE4294967295ELNS1_3gpuE0ELNS1_3repE0EEENS1_30default_config_static_selectorELNS0_4arch9wavefront6targetE1EEEvT1_: ; @_ZN7rocprim17ROCPRIM_400000_NS6detail17trampoline_kernelINS0_14default_configENS1_25partition_config_selectorILNS1_17partition_subalgoE9EllbEEZZNS1_14partition_implILS5_9ELb0ES3_jPlS8_PNS0_10empty_typeENS0_5tupleIJS8_S9_EEENSB_IJS8_SA_EEENS0_18inequality_wrapperIZN2at6native12_GLOBAL__N_124unique_dim_cuda_templateIsEESt5tupleIJNSF_6TensorESK_SK_EERKSK_lbbbEUlllE0_EEPmJS9_EEE10hipError_tPvRmT3_T4_T5_T6_T7_T9_mT8_P12ihipStream_tbDpT10_ENKUlT_T0_E_clISt17integral_constantIbLb1EES1A_EEDaS15_S16_EUlS15_E_NS1_11comp_targetILNS1_3genE0ELNS1_11target_archE4294967295ELNS1_3gpuE0ELNS1_3repE0EEENS1_30default_config_static_selectorELNS0_4arch9wavefront6targetE1EEEvT1_
; %bb.0:
	s_endpgm
	.section	.rodata,"a",@progbits
	.p2align	6, 0x0
	.amdhsa_kernel _ZN7rocprim17ROCPRIM_400000_NS6detail17trampoline_kernelINS0_14default_configENS1_25partition_config_selectorILNS1_17partition_subalgoE9EllbEEZZNS1_14partition_implILS5_9ELb0ES3_jPlS8_PNS0_10empty_typeENS0_5tupleIJS8_S9_EEENSB_IJS8_SA_EEENS0_18inequality_wrapperIZN2at6native12_GLOBAL__N_124unique_dim_cuda_templateIsEESt5tupleIJNSF_6TensorESK_SK_EERKSK_lbbbEUlllE0_EEPmJS9_EEE10hipError_tPvRmT3_T4_T5_T6_T7_T9_mT8_P12ihipStream_tbDpT10_ENKUlT_T0_E_clISt17integral_constantIbLb1EES1A_EEDaS15_S16_EUlS15_E_NS1_11comp_targetILNS1_3genE0ELNS1_11target_archE4294967295ELNS1_3gpuE0ELNS1_3repE0EEENS1_30default_config_static_selectorELNS0_4arch9wavefront6targetE1EEEvT1_
		.amdhsa_group_segment_fixed_size 0
		.amdhsa_private_segment_fixed_size 0
		.amdhsa_kernarg_size 136
		.amdhsa_user_sgpr_count 2
		.amdhsa_user_sgpr_dispatch_ptr 0
		.amdhsa_user_sgpr_queue_ptr 0
		.amdhsa_user_sgpr_kernarg_segment_ptr 1
		.amdhsa_user_sgpr_dispatch_id 0
		.amdhsa_user_sgpr_kernarg_preload_length 0
		.amdhsa_user_sgpr_kernarg_preload_offset 0
		.amdhsa_user_sgpr_private_segment_size 0
		.amdhsa_uses_dynamic_stack 0
		.amdhsa_enable_private_segment 0
		.amdhsa_system_sgpr_workgroup_id_x 1
		.amdhsa_system_sgpr_workgroup_id_y 0
		.amdhsa_system_sgpr_workgroup_id_z 0
		.amdhsa_system_sgpr_workgroup_info 0
		.amdhsa_system_vgpr_workitem_id 0
		.amdhsa_next_free_vgpr 1
		.amdhsa_next_free_sgpr 0
		.amdhsa_accum_offset 4
		.amdhsa_reserve_vcc 0
		.amdhsa_float_round_mode_32 0
		.amdhsa_float_round_mode_16_64 0
		.amdhsa_float_denorm_mode_32 3
		.amdhsa_float_denorm_mode_16_64 3
		.amdhsa_dx10_clamp 1
		.amdhsa_ieee_mode 1
		.amdhsa_fp16_overflow 0
		.amdhsa_tg_split 0
		.amdhsa_exception_fp_ieee_invalid_op 0
		.amdhsa_exception_fp_denorm_src 0
		.amdhsa_exception_fp_ieee_div_zero 0
		.amdhsa_exception_fp_ieee_overflow 0
		.amdhsa_exception_fp_ieee_underflow 0
		.amdhsa_exception_fp_ieee_inexact 0
		.amdhsa_exception_int_div_zero 0
	.end_amdhsa_kernel
	.section	.text._ZN7rocprim17ROCPRIM_400000_NS6detail17trampoline_kernelINS0_14default_configENS1_25partition_config_selectorILNS1_17partition_subalgoE9EllbEEZZNS1_14partition_implILS5_9ELb0ES3_jPlS8_PNS0_10empty_typeENS0_5tupleIJS8_S9_EEENSB_IJS8_SA_EEENS0_18inequality_wrapperIZN2at6native12_GLOBAL__N_124unique_dim_cuda_templateIsEESt5tupleIJNSF_6TensorESK_SK_EERKSK_lbbbEUlllE0_EEPmJS9_EEE10hipError_tPvRmT3_T4_T5_T6_T7_T9_mT8_P12ihipStream_tbDpT10_ENKUlT_T0_E_clISt17integral_constantIbLb1EES1A_EEDaS15_S16_EUlS15_E_NS1_11comp_targetILNS1_3genE0ELNS1_11target_archE4294967295ELNS1_3gpuE0ELNS1_3repE0EEENS1_30default_config_static_selectorELNS0_4arch9wavefront6targetE1EEEvT1_,"axG",@progbits,_ZN7rocprim17ROCPRIM_400000_NS6detail17trampoline_kernelINS0_14default_configENS1_25partition_config_selectorILNS1_17partition_subalgoE9EllbEEZZNS1_14partition_implILS5_9ELb0ES3_jPlS8_PNS0_10empty_typeENS0_5tupleIJS8_S9_EEENSB_IJS8_SA_EEENS0_18inequality_wrapperIZN2at6native12_GLOBAL__N_124unique_dim_cuda_templateIsEESt5tupleIJNSF_6TensorESK_SK_EERKSK_lbbbEUlllE0_EEPmJS9_EEE10hipError_tPvRmT3_T4_T5_T6_T7_T9_mT8_P12ihipStream_tbDpT10_ENKUlT_T0_E_clISt17integral_constantIbLb1EES1A_EEDaS15_S16_EUlS15_E_NS1_11comp_targetILNS1_3genE0ELNS1_11target_archE4294967295ELNS1_3gpuE0ELNS1_3repE0EEENS1_30default_config_static_selectorELNS0_4arch9wavefront6targetE1EEEvT1_,comdat
.Lfunc_end725:
	.size	_ZN7rocprim17ROCPRIM_400000_NS6detail17trampoline_kernelINS0_14default_configENS1_25partition_config_selectorILNS1_17partition_subalgoE9EllbEEZZNS1_14partition_implILS5_9ELb0ES3_jPlS8_PNS0_10empty_typeENS0_5tupleIJS8_S9_EEENSB_IJS8_SA_EEENS0_18inequality_wrapperIZN2at6native12_GLOBAL__N_124unique_dim_cuda_templateIsEESt5tupleIJNSF_6TensorESK_SK_EERKSK_lbbbEUlllE0_EEPmJS9_EEE10hipError_tPvRmT3_T4_T5_T6_T7_T9_mT8_P12ihipStream_tbDpT10_ENKUlT_T0_E_clISt17integral_constantIbLb1EES1A_EEDaS15_S16_EUlS15_E_NS1_11comp_targetILNS1_3genE0ELNS1_11target_archE4294967295ELNS1_3gpuE0ELNS1_3repE0EEENS1_30default_config_static_selectorELNS0_4arch9wavefront6targetE1EEEvT1_, .Lfunc_end725-_ZN7rocprim17ROCPRIM_400000_NS6detail17trampoline_kernelINS0_14default_configENS1_25partition_config_selectorILNS1_17partition_subalgoE9EllbEEZZNS1_14partition_implILS5_9ELb0ES3_jPlS8_PNS0_10empty_typeENS0_5tupleIJS8_S9_EEENSB_IJS8_SA_EEENS0_18inequality_wrapperIZN2at6native12_GLOBAL__N_124unique_dim_cuda_templateIsEESt5tupleIJNSF_6TensorESK_SK_EERKSK_lbbbEUlllE0_EEPmJS9_EEE10hipError_tPvRmT3_T4_T5_T6_T7_T9_mT8_P12ihipStream_tbDpT10_ENKUlT_T0_E_clISt17integral_constantIbLb1EES1A_EEDaS15_S16_EUlS15_E_NS1_11comp_targetILNS1_3genE0ELNS1_11target_archE4294967295ELNS1_3gpuE0ELNS1_3repE0EEENS1_30default_config_static_selectorELNS0_4arch9wavefront6targetE1EEEvT1_
                                        ; -- End function
	.set _ZN7rocprim17ROCPRIM_400000_NS6detail17trampoline_kernelINS0_14default_configENS1_25partition_config_selectorILNS1_17partition_subalgoE9EllbEEZZNS1_14partition_implILS5_9ELb0ES3_jPlS8_PNS0_10empty_typeENS0_5tupleIJS8_S9_EEENSB_IJS8_SA_EEENS0_18inequality_wrapperIZN2at6native12_GLOBAL__N_124unique_dim_cuda_templateIsEESt5tupleIJNSF_6TensorESK_SK_EERKSK_lbbbEUlllE0_EEPmJS9_EEE10hipError_tPvRmT3_T4_T5_T6_T7_T9_mT8_P12ihipStream_tbDpT10_ENKUlT_T0_E_clISt17integral_constantIbLb1EES1A_EEDaS15_S16_EUlS15_E_NS1_11comp_targetILNS1_3genE0ELNS1_11target_archE4294967295ELNS1_3gpuE0ELNS1_3repE0EEENS1_30default_config_static_selectorELNS0_4arch9wavefront6targetE1EEEvT1_.num_vgpr, 0
	.set _ZN7rocprim17ROCPRIM_400000_NS6detail17trampoline_kernelINS0_14default_configENS1_25partition_config_selectorILNS1_17partition_subalgoE9EllbEEZZNS1_14partition_implILS5_9ELb0ES3_jPlS8_PNS0_10empty_typeENS0_5tupleIJS8_S9_EEENSB_IJS8_SA_EEENS0_18inequality_wrapperIZN2at6native12_GLOBAL__N_124unique_dim_cuda_templateIsEESt5tupleIJNSF_6TensorESK_SK_EERKSK_lbbbEUlllE0_EEPmJS9_EEE10hipError_tPvRmT3_T4_T5_T6_T7_T9_mT8_P12ihipStream_tbDpT10_ENKUlT_T0_E_clISt17integral_constantIbLb1EES1A_EEDaS15_S16_EUlS15_E_NS1_11comp_targetILNS1_3genE0ELNS1_11target_archE4294967295ELNS1_3gpuE0ELNS1_3repE0EEENS1_30default_config_static_selectorELNS0_4arch9wavefront6targetE1EEEvT1_.num_agpr, 0
	.set _ZN7rocprim17ROCPRIM_400000_NS6detail17trampoline_kernelINS0_14default_configENS1_25partition_config_selectorILNS1_17partition_subalgoE9EllbEEZZNS1_14partition_implILS5_9ELb0ES3_jPlS8_PNS0_10empty_typeENS0_5tupleIJS8_S9_EEENSB_IJS8_SA_EEENS0_18inequality_wrapperIZN2at6native12_GLOBAL__N_124unique_dim_cuda_templateIsEESt5tupleIJNSF_6TensorESK_SK_EERKSK_lbbbEUlllE0_EEPmJS9_EEE10hipError_tPvRmT3_T4_T5_T6_T7_T9_mT8_P12ihipStream_tbDpT10_ENKUlT_T0_E_clISt17integral_constantIbLb1EES1A_EEDaS15_S16_EUlS15_E_NS1_11comp_targetILNS1_3genE0ELNS1_11target_archE4294967295ELNS1_3gpuE0ELNS1_3repE0EEENS1_30default_config_static_selectorELNS0_4arch9wavefront6targetE1EEEvT1_.numbered_sgpr, 0
	.set _ZN7rocprim17ROCPRIM_400000_NS6detail17trampoline_kernelINS0_14default_configENS1_25partition_config_selectorILNS1_17partition_subalgoE9EllbEEZZNS1_14partition_implILS5_9ELb0ES3_jPlS8_PNS0_10empty_typeENS0_5tupleIJS8_S9_EEENSB_IJS8_SA_EEENS0_18inequality_wrapperIZN2at6native12_GLOBAL__N_124unique_dim_cuda_templateIsEESt5tupleIJNSF_6TensorESK_SK_EERKSK_lbbbEUlllE0_EEPmJS9_EEE10hipError_tPvRmT3_T4_T5_T6_T7_T9_mT8_P12ihipStream_tbDpT10_ENKUlT_T0_E_clISt17integral_constantIbLb1EES1A_EEDaS15_S16_EUlS15_E_NS1_11comp_targetILNS1_3genE0ELNS1_11target_archE4294967295ELNS1_3gpuE0ELNS1_3repE0EEENS1_30default_config_static_selectorELNS0_4arch9wavefront6targetE1EEEvT1_.num_named_barrier, 0
	.set _ZN7rocprim17ROCPRIM_400000_NS6detail17trampoline_kernelINS0_14default_configENS1_25partition_config_selectorILNS1_17partition_subalgoE9EllbEEZZNS1_14partition_implILS5_9ELb0ES3_jPlS8_PNS0_10empty_typeENS0_5tupleIJS8_S9_EEENSB_IJS8_SA_EEENS0_18inequality_wrapperIZN2at6native12_GLOBAL__N_124unique_dim_cuda_templateIsEESt5tupleIJNSF_6TensorESK_SK_EERKSK_lbbbEUlllE0_EEPmJS9_EEE10hipError_tPvRmT3_T4_T5_T6_T7_T9_mT8_P12ihipStream_tbDpT10_ENKUlT_T0_E_clISt17integral_constantIbLb1EES1A_EEDaS15_S16_EUlS15_E_NS1_11comp_targetILNS1_3genE0ELNS1_11target_archE4294967295ELNS1_3gpuE0ELNS1_3repE0EEENS1_30default_config_static_selectorELNS0_4arch9wavefront6targetE1EEEvT1_.private_seg_size, 0
	.set _ZN7rocprim17ROCPRIM_400000_NS6detail17trampoline_kernelINS0_14default_configENS1_25partition_config_selectorILNS1_17partition_subalgoE9EllbEEZZNS1_14partition_implILS5_9ELb0ES3_jPlS8_PNS0_10empty_typeENS0_5tupleIJS8_S9_EEENSB_IJS8_SA_EEENS0_18inequality_wrapperIZN2at6native12_GLOBAL__N_124unique_dim_cuda_templateIsEESt5tupleIJNSF_6TensorESK_SK_EERKSK_lbbbEUlllE0_EEPmJS9_EEE10hipError_tPvRmT3_T4_T5_T6_T7_T9_mT8_P12ihipStream_tbDpT10_ENKUlT_T0_E_clISt17integral_constantIbLb1EES1A_EEDaS15_S16_EUlS15_E_NS1_11comp_targetILNS1_3genE0ELNS1_11target_archE4294967295ELNS1_3gpuE0ELNS1_3repE0EEENS1_30default_config_static_selectorELNS0_4arch9wavefront6targetE1EEEvT1_.uses_vcc, 0
	.set _ZN7rocprim17ROCPRIM_400000_NS6detail17trampoline_kernelINS0_14default_configENS1_25partition_config_selectorILNS1_17partition_subalgoE9EllbEEZZNS1_14partition_implILS5_9ELb0ES3_jPlS8_PNS0_10empty_typeENS0_5tupleIJS8_S9_EEENSB_IJS8_SA_EEENS0_18inequality_wrapperIZN2at6native12_GLOBAL__N_124unique_dim_cuda_templateIsEESt5tupleIJNSF_6TensorESK_SK_EERKSK_lbbbEUlllE0_EEPmJS9_EEE10hipError_tPvRmT3_T4_T5_T6_T7_T9_mT8_P12ihipStream_tbDpT10_ENKUlT_T0_E_clISt17integral_constantIbLb1EES1A_EEDaS15_S16_EUlS15_E_NS1_11comp_targetILNS1_3genE0ELNS1_11target_archE4294967295ELNS1_3gpuE0ELNS1_3repE0EEENS1_30default_config_static_selectorELNS0_4arch9wavefront6targetE1EEEvT1_.uses_flat_scratch, 0
	.set _ZN7rocprim17ROCPRIM_400000_NS6detail17trampoline_kernelINS0_14default_configENS1_25partition_config_selectorILNS1_17partition_subalgoE9EllbEEZZNS1_14partition_implILS5_9ELb0ES3_jPlS8_PNS0_10empty_typeENS0_5tupleIJS8_S9_EEENSB_IJS8_SA_EEENS0_18inequality_wrapperIZN2at6native12_GLOBAL__N_124unique_dim_cuda_templateIsEESt5tupleIJNSF_6TensorESK_SK_EERKSK_lbbbEUlllE0_EEPmJS9_EEE10hipError_tPvRmT3_T4_T5_T6_T7_T9_mT8_P12ihipStream_tbDpT10_ENKUlT_T0_E_clISt17integral_constantIbLb1EES1A_EEDaS15_S16_EUlS15_E_NS1_11comp_targetILNS1_3genE0ELNS1_11target_archE4294967295ELNS1_3gpuE0ELNS1_3repE0EEENS1_30default_config_static_selectorELNS0_4arch9wavefront6targetE1EEEvT1_.has_dyn_sized_stack, 0
	.set _ZN7rocprim17ROCPRIM_400000_NS6detail17trampoline_kernelINS0_14default_configENS1_25partition_config_selectorILNS1_17partition_subalgoE9EllbEEZZNS1_14partition_implILS5_9ELb0ES3_jPlS8_PNS0_10empty_typeENS0_5tupleIJS8_S9_EEENSB_IJS8_SA_EEENS0_18inequality_wrapperIZN2at6native12_GLOBAL__N_124unique_dim_cuda_templateIsEESt5tupleIJNSF_6TensorESK_SK_EERKSK_lbbbEUlllE0_EEPmJS9_EEE10hipError_tPvRmT3_T4_T5_T6_T7_T9_mT8_P12ihipStream_tbDpT10_ENKUlT_T0_E_clISt17integral_constantIbLb1EES1A_EEDaS15_S16_EUlS15_E_NS1_11comp_targetILNS1_3genE0ELNS1_11target_archE4294967295ELNS1_3gpuE0ELNS1_3repE0EEENS1_30default_config_static_selectorELNS0_4arch9wavefront6targetE1EEEvT1_.has_recursion, 0
	.set _ZN7rocprim17ROCPRIM_400000_NS6detail17trampoline_kernelINS0_14default_configENS1_25partition_config_selectorILNS1_17partition_subalgoE9EllbEEZZNS1_14partition_implILS5_9ELb0ES3_jPlS8_PNS0_10empty_typeENS0_5tupleIJS8_S9_EEENSB_IJS8_SA_EEENS0_18inequality_wrapperIZN2at6native12_GLOBAL__N_124unique_dim_cuda_templateIsEESt5tupleIJNSF_6TensorESK_SK_EERKSK_lbbbEUlllE0_EEPmJS9_EEE10hipError_tPvRmT3_T4_T5_T6_T7_T9_mT8_P12ihipStream_tbDpT10_ENKUlT_T0_E_clISt17integral_constantIbLb1EES1A_EEDaS15_S16_EUlS15_E_NS1_11comp_targetILNS1_3genE0ELNS1_11target_archE4294967295ELNS1_3gpuE0ELNS1_3repE0EEENS1_30default_config_static_selectorELNS0_4arch9wavefront6targetE1EEEvT1_.has_indirect_call, 0
	.section	.AMDGPU.csdata,"",@progbits
; Kernel info:
; codeLenInByte = 4
; TotalNumSgprs: 6
; NumVgprs: 0
; NumAgprs: 0
; TotalNumVgprs: 0
; ScratchSize: 0
; MemoryBound: 0
; FloatMode: 240
; IeeeMode: 1
; LDSByteSize: 0 bytes/workgroup (compile time only)
; SGPRBlocks: 0
; VGPRBlocks: 0
; NumSGPRsForWavesPerEU: 6
; NumVGPRsForWavesPerEU: 1
; AccumOffset: 4
; Occupancy: 8
; WaveLimiterHint : 0
; COMPUTE_PGM_RSRC2:SCRATCH_EN: 0
; COMPUTE_PGM_RSRC2:USER_SGPR: 2
; COMPUTE_PGM_RSRC2:TRAP_HANDLER: 0
; COMPUTE_PGM_RSRC2:TGID_X_EN: 1
; COMPUTE_PGM_RSRC2:TGID_Y_EN: 0
; COMPUTE_PGM_RSRC2:TGID_Z_EN: 0
; COMPUTE_PGM_RSRC2:TIDIG_COMP_CNT: 0
; COMPUTE_PGM_RSRC3_GFX90A:ACCUM_OFFSET: 0
; COMPUTE_PGM_RSRC3_GFX90A:TG_SPLIT: 0
	.section	.text._ZN7rocprim17ROCPRIM_400000_NS6detail17trampoline_kernelINS0_14default_configENS1_25partition_config_selectorILNS1_17partition_subalgoE9EllbEEZZNS1_14partition_implILS5_9ELb0ES3_jPlS8_PNS0_10empty_typeENS0_5tupleIJS8_S9_EEENSB_IJS8_SA_EEENS0_18inequality_wrapperIZN2at6native12_GLOBAL__N_124unique_dim_cuda_templateIsEESt5tupleIJNSF_6TensorESK_SK_EERKSK_lbbbEUlllE0_EEPmJS9_EEE10hipError_tPvRmT3_T4_T5_T6_T7_T9_mT8_P12ihipStream_tbDpT10_ENKUlT_T0_E_clISt17integral_constantIbLb1EES1A_EEDaS15_S16_EUlS15_E_NS1_11comp_targetILNS1_3genE5ELNS1_11target_archE942ELNS1_3gpuE9ELNS1_3repE0EEENS1_30default_config_static_selectorELNS0_4arch9wavefront6targetE1EEEvT1_,"axG",@progbits,_ZN7rocprim17ROCPRIM_400000_NS6detail17trampoline_kernelINS0_14default_configENS1_25partition_config_selectorILNS1_17partition_subalgoE9EllbEEZZNS1_14partition_implILS5_9ELb0ES3_jPlS8_PNS0_10empty_typeENS0_5tupleIJS8_S9_EEENSB_IJS8_SA_EEENS0_18inequality_wrapperIZN2at6native12_GLOBAL__N_124unique_dim_cuda_templateIsEESt5tupleIJNSF_6TensorESK_SK_EERKSK_lbbbEUlllE0_EEPmJS9_EEE10hipError_tPvRmT3_T4_T5_T6_T7_T9_mT8_P12ihipStream_tbDpT10_ENKUlT_T0_E_clISt17integral_constantIbLb1EES1A_EEDaS15_S16_EUlS15_E_NS1_11comp_targetILNS1_3genE5ELNS1_11target_archE942ELNS1_3gpuE9ELNS1_3repE0EEENS1_30default_config_static_selectorELNS0_4arch9wavefront6targetE1EEEvT1_,comdat
	.globl	_ZN7rocprim17ROCPRIM_400000_NS6detail17trampoline_kernelINS0_14default_configENS1_25partition_config_selectorILNS1_17partition_subalgoE9EllbEEZZNS1_14partition_implILS5_9ELb0ES3_jPlS8_PNS0_10empty_typeENS0_5tupleIJS8_S9_EEENSB_IJS8_SA_EEENS0_18inequality_wrapperIZN2at6native12_GLOBAL__N_124unique_dim_cuda_templateIsEESt5tupleIJNSF_6TensorESK_SK_EERKSK_lbbbEUlllE0_EEPmJS9_EEE10hipError_tPvRmT3_T4_T5_T6_T7_T9_mT8_P12ihipStream_tbDpT10_ENKUlT_T0_E_clISt17integral_constantIbLb1EES1A_EEDaS15_S16_EUlS15_E_NS1_11comp_targetILNS1_3genE5ELNS1_11target_archE942ELNS1_3gpuE9ELNS1_3repE0EEENS1_30default_config_static_selectorELNS0_4arch9wavefront6targetE1EEEvT1_ ; -- Begin function _ZN7rocprim17ROCPRIM_400000_NS6detail17trampoline_kernelINS0_14default_configENS1_25partition_config_selectorILNS1_17partition_subalgoE9EllbEEZZNS1_14partition_implILS5_9ELb0ES3_jPlS8_PNS0_10empty_typeENS0_5tupleIJS8_S9_EEENSB_IJS8_SA_EEENS0_18inequality_wrapperIZN2at6native12_GLOBAL__N_124unique_dim_cuda_templateIsEESt5tupleIJNSF_6TensorESK_SK_EERKSK_lbbbEUlllE0_EEPmJS9_EEE10hipError_tPvRmT3_T4_T5_T6_T7_T9_mT8_P12ihipStream_tbDpT10_ENKUlT_T0_E_clISt17integral_constantIbLb1EES1A_EEDaS15_S16_EUlS15_E_NS1_11comp_targetILNS1_3genE5ELNS1_11target_archE942ELNS1_3gpuE9ELNS1_3repE0EEENS1_30default_config_static_selectorELNS0_4arch9wavefront6targetE1EEEvT1_
	.p2align	8
	.type	_ZN7rocprim17ROCPRIM_400000_NS6detail17trampoline_kernelINS0_14default_configENS1_25partition_config_selectorILNS1_17partition_subalgoE9EllbEEZZNS1_14partition_implILS5_9ELb0ES3_jPlS8_PNS0_10empty_typeENS0_5tupleIJS8_S9_EEENSB_IJS8_SA_EEENS0_18inequality_wrapperIZN2at6native12_GLOBAL__N_124unique_dim_cuda_templateIsEESt5tupleIJNSF_6TensorESK_SK_EERKSK_lbbbEUlllE0_EEPmJS9_EEE10hipError_tPvRmT3_T4_T5_T6_T7_T9_mT8_P12ihipStream_tbDpT10_ENKUlT_T0_E_clISt17integral_constantIbLb1EES1A_EEDaS15_S16_EUlS15_E_NS1_11comp_targetILNS1_3genE5ELNS1_11target_archE942ELNS1_3gpuE9ELNS1_3repE0EEENS1_30default_config_static_selectorELNS0_4arch9wavefront6targetE1EEEvT1_,@function
_ZN7rocprim17ROCPRIM_400000_NS6detail17trampoline_kernelINS0_14default_configENS1_25partition_config_selectorILNS1_17partition_subalgoE9EllbEEZZNS1_14partition_implILS5_9ELb0ES3_jPlS8_PNS0_10empty_typeENS0_5tupleIJS8_S9_EEENSB_IJS8_SA_EEENS0_18inequality_wrapperIZN2at6native12_GLOBAL__N_124unique_dim_cuda_templateIsEESt5tupleIJNSF_6TensorESK_SK_EERKSK_lbbbEUlllE0_EEPmJS9_EEE10hipError_tPvRmT3_T4_T5_T6_T7_T9_mT8_P12ihipStream_tbDpT10_ENKUlT_T0_E_clISt17integral_constantIbLb1EES1A_EEDaS15_S16_EUlS15_E_NS1_11comp_targetILNS1_3genE5ELNS1_11target_archE942ELNS1_3gpuE9ELNS1_3repE0EEENS1_30default_config_static_selectorELNS0_4arch9wavefront6targetE1EEEvT1_: ; @_ZN7rocprim17ROCPRIM_400000_NS6detail17trampoline_kernelINS0_14default_configENS1_25partition_config_selectorILNS1_17partition_subalgoE9EllbEEZZNS1_14partition_implILS5_9ELb0ES3_jPlS8_PNS0_10empty_typeENS0_5tupleIJS8_S9_EEENSB_IJS8_SA_EEENS0_18inequality_wrapperIZN2at6native12_GLOBAL__N_124unique_dim_cuda_templateIsEESt5tupleIJNSF_6TensorESK_SK_EERKSK_lbbbEUlllE0_EEPmJS9_EEE10hipError_tPvRmT3_T4_T5_T6_T7_T9_mT8_P12ihipStream_tbDpT10_ENKUlT_T0_E_clISt17integral_constantIbLb1EES1A_EEDaS15_S16_EUlS15_E_NS1_11comp_targetILNS1_3genE5ELNS1_11target_archE942ELNS1_3gpuE9ELNS1_3repE0EEENS1_30default_config_static_selectorELNS0_4arch9wavefront6targetE1EEEvT1_
; %bb.0:
	.section	.rodata,"a",@progbits
	.p2align	6, 0x0
	.amdhsa_kernel _ZN7rocprim17ROCPRIM_400000_NS6detail17trampoline_kernelINS0_14default_configENS1_25partition_config_selectorILNS1_17partition_subalgoE9EllbEEZZNS1_14partition_implILS5_9ELb0ES3_jPlS8_PNS0_10empty_typeENS0_5tupleIJS8_S9_EEENSB_IJS8_SA_EEENS0_18inequality_wrapperIZN2at6native12_GLOBAL__N_124unique_dim_cuda_templateIsEESt5tupleIJNSF_6TensorESK_SK_EERKSK_lbbbEUlllE0_EEPmJS9_EEE10hipError_tPvRmT3_T4_T5_T6_T7_T9_mT8_P12ihipStream_tbDpT10_ENKUlT_T0_E_clISt17integral_constantIbLb1EES1A_EEDaS15_S16_EUlS15_E_NS1_11comp_targetILNS1_3genE5ELNS1_11target_archE942ELNS1_3gpuE9ELNS1_3repE0EEENS1_30default_config_static_selectorELNS0_4arch9wavefront6targetE1EEEvT1_
		.amdhsa_group_segment_fixed_size 0
		.amdhsa_private_segment_fixed_size 0
		.amdhsa_kernarg_size 136
		.amdhsa_user_sgpr_count 2
		.amdhsa_user_sgpr_dispatch_ptr 0
		.amdhsa_user_sgpr_queue_ptr 0
		.amdhsa_user_sgpr_kernarg_segment_ptr 1
		.amdhsa_user_sgpr_dispatch_id 0
		.amdhsa_user_sgpr_kernarg_preload_length 0
		.amdhsa_user_sgpr_kernarg_preload_offset 0
		.amdhsa_user_sgpr_private_segment_size 0
		.amdhsa_uses_dynamic_stack 0
		.amdhsa_enable_private_segment 0
		.amdhsa_system_sgpr_workgroup_id_x 1
		.amdhsa_system_sgpr_workgroup_id_y 0
		.amdhsa_system_sgpr_workgroup_id_z 0
		.amdhsa_system_sgpr_workgroup_info 0
		.amdhsa_system_vgpr_workitem_id 0
		.amdhsa_next_free_vgpr 1
		.amdhsa_next_free_sgpr 0
		.amdhsa_accum_offset 4
		.amdhsa_reserve_vcc 0
		.amdhsa_float_round_mode_32 0
		.amdhsa_float_round_mode_16_64 0
		.amdhsa_float_denorm_mode_32 3
		.amdhsa_float_denorm_mode_16_64 3
		.amdhsa_dx10_clamp 1
		.amdhsa_ieee_mode 1
		.amdhsa_fp16_overflow 0
		.amdhsa_tg_split 0
		.amdhsa_exception_fp_ieee_invalid_op 0
		.amdhsa_exception_fp_denorm_src 0
		.amdhsa_exception_fp_ieee_div_zero 0
		.amdhsa_exception_fp_ieee_overflow 0
		.amdhsa_exception_fp_ieee_underflow 0
		.amdhsa_exception_fp_ieee_inexact 0
		.amdhsa_exception_int_div_zero 0
	.end_amdhsa_kernel
	.section	.text._ZN7rocprim17ROCPRIM_400000_NS6detail17trampoline_kernelINS0_14default_configENS1_25partition_config_selectorILNS1_17partition_subalgoE9EllbEEZZNS1_14partition_implILS5_9ELb0ES3_jPlS8_PNS0_10empty_typeENS0_5tupleIJS8_S9_EEENSB_IJS8_SA_EEENS0_18inequality_wrapperIZN2at6native12_GLOBAL__N_124unique_dim_cuda_templateIsEESt5tupleIJNSF_6TensorESK_SK_EERKSK_lbbbEUlllE0_EEPmJS9_EEE10hipError_tPvRmT3_T4_T5_T6_T7_T9_mT8_P12ihipStream_tbDpT10_ENKUlT_T0_E_clISt17integral_constantIbLb1EES1A_EEDaS15_S16_EUlS15_E_NS1_11comp_targetILNS1_3genE5ELNS1_11target_archE942ELNS1_3gpuE9ELNS1_3repE0EEENS1_30default_config_static_selectorELNS0_4arch9wavefront6targetE1EEEvT1_,"axG",@progbits,_ZN7rocprim17ROCPRIM_400000_NS6detail17trampoline_kernelINS0_14default_configENS1_25partition_config_selectorILNS1_17partition_subalgoE9EllbEEZZNS1_14partition_implILS5_9ELb0ES3_jPlS8_PNS0_10empty_typeENS0_5tupleIJS8_S9_EEENSB_IJS8_SA_EEENS0_18inequality_wrapperIZN2at6native12_GLOBAL__N_124unique_dim_cuda_templateIsEESt5tupleIJNSF_6TensorESK_SK_EERKSK_lbbbEUlllE0_EEPmJS9_EEE10hipError_tPvRmT3_T4_T5_T6_T7_T9_mT8_P12ihipStream_tbDpT10_ENKUlT_T0_E_clISt17integral_constantIbLb1EES1A_EEDaS15_S16_EUlS15_E_NS1_11comp_targetILNS1_3genE5ELNS1_11target_archE942ELNS1_3gpuE9ELNS1_3repE0EEENS1_30default_config_static_selectorELNS0_4arch9wavefront6targetE1EEEvT1_,comdat
.Lfunc_end726:
	.size	_ZN7rocprim17ROCPRIM_400000_NS6detail17trampoline_kernelINS0_14default_configENS1_25partition_config_selectorILNS1_17partition_subalgoE9EllbEEZZNS1_14partition_implILS5_9ELb0ES3_jPlS8_PNS0_10empty_typeENS0_5tupleIJS8_S9_EEENSB_IJS8_SA_EEENS0_18inequality_wrapperIZN2at6native12_GLOBAL__N_124unique_dim_cuda_templateIsEESt5tupleIJNSF_6TensorESK_SK_EERKSK_lbbbEUlllE0_EEPmJS9_EEE10hipError_tPvRmT3_T4_T5_T6_T7_T9_mT8_P12ihipStream_tbDpT10_ENKUlT_T0_E_clISt17integral_constantIbLb1EES1A_EEDaS15_S16_EUlS15_E_NS1_11comp_targetILNS1_3genE5ELNS1_11target_archE942ELNS1_3gpuE9ELNS1_3repE0EEENS1_30default_config_static_selectorELNS0_4arch9wavefront6targetE1EEEvT1_, .Lfunc_end726-_ZN7rocprim17ROCPRIM_400000_NS6detail17trampoline_kernelINS0_14default_configENS1_25partition_config_selectorILNS1_17partition_subalgoE9EllbEEZZNS1_14partition_implILS5_9ELb0ES3_jPlS8_PNS0_10empty_typeENS0_5tupleIJS8_S9_EEENSB_IJS8_SA_EEENS0_18inequality_wrapperIZN2at6native12_GLOBAL__N_124unique_dim_cuda_templateIsEESt5tupleIJNSF_6TensorESK_SK_EERKSK_lbbbEUlllE0_EEPmJS9_EEE10hipError_tPvRmT3_T4_T5_T6_T7_T9_mT8_P12ihipStream_tbDpT10_ENKUlT_T0_E_clISt17integral_constantIbLb1EES1A_EEDaS15_S16_EUlS15_E_NS1_11comp_targetILNS1_3genE5ELNS1_11target_archE942ELNS1_3gpuE9ELNS1_3repE0EEENS1_30default_config_static_selectorELNS0_4arch9wavefront6targetE1EEEvT1_
                                        ; -- End function
	.set _ZN7rocprim17ROCPRIM_400000_NS6detail17trampoline_kernelINS0_14default_configENS1_25partition_config_selectorILNS1_17partition_subalgoE9EllbEEZZNS1_14partition_implILS5_9ELb0ES3_jPlS8_PNS0_10empty_typeENS0_5tupleIJS8_S9_EEENSB_IJS8_SA_EEENS0_18inequality_wrapperIZN2at6native12_GLOBAL__N_124unique_dim_cuda_templateIsEESt5tupleIJNSF_6TensorESK_SK_EERKSK_lbbbEUlllE0_EEPmJS9_EEE10hipError_tPvRmT3_T4_T5_T6_T7_T9_mT8_P12ihipStream_tbDpT10_ENKUlT_T0_E_clISt17integral_constantIbLb1EES1A_EEDaS15_S16_EUlS15_E_NS1_11comp_targetILNS1_3genE5ELNS1_11target_archE942ELNS1_3gpuE9ELNS1_3repE0EEENS1_30default_config_static_selectorELNS0_4arch9wavefront6targetE1EEEvT1_.num_vgpr, 0
	.set _ZN7rocprim17ROCPRIM_400000_NS6detail17trampoline_kernelINS0_14default_configENS1_25partition_config_selectorILNS1_17partition_subalgoE9EllbEEZZNS1_14partition_implILS5_9ELb0ES3_jPlS8_PNS0_10empty_typeENS0_5tupleIJS8_S9_EEENSB_IJS8_SA_EEENS0_18inequality_wrapperIZN2at6native12_GLOBAL__N_124unique_dim_cuda_templateIsEESt5tupleIJNSF_6TensorESK_SK_EERKSK_lbbbEUlllE0_EEPmJS9_EEE10hipError_tPvRmT3_T4_T5_T6_T7_T9_mT8_P12ihipStream_tbDpT10_ENKUlT_T0_E_clISt17integral_constantIbLb1EES1A_EEDaS15_S16_EUlS15_E_NS1_11comp_targetILNS1_3genE5ELNS1_11target_archE942ELNS1_3gpuE9ELNS1_3repE0EEENS1_30default_config_static_selectorELNS0_4arch9wavefront6targetE1EEEvT1_.num_agpr, 0
	.set _ZN7rocprim17ROCPRIM_400000_NS6detail17trampoline_kernelINS0_14default_configENS1_25partition_config_selectorILNS1_17partition_subalgoE9EllbEEZZNS1_14partition_implILS5_9ELb0ES3_jPlS8_PNS0_10empty_typeENS0_5tupleIJS8_S9_EEENSB_IJS8_SA_EEENS0_18inequality_wrapperIZN2at6native12_GLOBAL__N_124unique_dim_cuda_templateIsEESt5tupleIJNSF_6TensorESK_SK_EERKSK_lbbbEUlllE0_EEPmJS9_EEE10hipError_tPvRmT3_T4_T5_T6_T7_T9_mT8_P12ihipStream_tbDpT10_ENKUlT_T0_E_clISt17integral_constantIbLb1EES1A_EEDaS15_S16_EUlS15_E_NS1_11comp_targetILNS1_3genE5ELNS1_11target_archE942ELNS1_3gpuE9ELNS1_3repE0EEENS1_30default_config_static_selectorELNS0_4arch9wavefront6targetE1EEEvT1_.numbered_sgpr, 0
	.set _ZN7rocprim17ROCPRIM_400000_NS6detail17trampoline_kernelINS0_14default_configENS1_25partition_config_selectorILNS1_17partition_subalgoE9EllbEEZZNS1_14partition_implILS5_9ELb0ES3_jPlS8_PNS0_10empty_typeENS0_5tupleIJS8_S9_EEENSB_IJS8_SA_EEENS0_18inequality_wrapperIZN2at6native12_GLOBAL__N_124unique_dim_cuda_templateIsEESt5tupleIJNSF_6TensorESK_SK_EERKSK_lbbbEUlllE0_EEPmJS9_EEE10hipError_tPvRmT3_T4_T5_T6_T7_T9_mT8_P12ihipStream_tbDpT10_ENKUlT_T0_E_clISt17integral_constantIbLb1EES1A_EEDaS15_S16_EUlS15_E_NS1_11comp_targetILNS1_3genE5ELNS1_11target_archE942ELNS1_3gpuE9ELNS1_3repE0EEENS1_30default_config_static_selectorELNS0_4arch9wavefront6targetE1EEEvT1_.num_named_barrier, 0
	.set _ZN7rocprim17ROCPRIM_400000_NS6detail17trampoline_kernelINS0_14default_configENS1_25partition_config_selectorILNS1_17partition_subalgoE9EllbEEZZNS1_14partition_implILS5_9ELb0ES3_jPlS8_PNS0_10empty_typeENS0_5tupleIJS8_S9_EEENSB_IJS8_SA_EEENS0_18inequality_wrapperIZN2at6native12_GLOBAL__N_124unique_dim_cuda_templateIsEESt5tupleIJNSF_6TensorESK_SK_EERKSK_lbbbEUlllE0_EEPmJS9_EEE10hipError_tPvRmT3_T4_T5_T6_T7_T9_mT8_P12ihipStream_tbDpT10_ENKUlT_T0_E_clISt17integral_constantIbLb1EES1A_EEDaS15_S16_EUlS15_E_NS1_11comp_targetILNS1_3genE5ELNS1_11target_archE942ELNS1_3gpuE9ELNS1_3repE0EEENS1_30default_config_static_selectorELNS0_4arch9wavefront6targetE1EEEvT1_.private_seg_size, 0
	.set _ZN7rocprim17ROCPRIM_400000_NS6detail17trampoline_kernelINS0_14default_configENS1_25partition_config_selectorILNS1_17partition_subalgoE9EllbEEZZNS1_14partition_implILS5_9ELb0ES3_jPlS8_PNS0_10empty_typeENS0_5tupleIJS8_S9_EEENSB_IJS8_SA_EEENS0_18inequality_wrapperIZN2at6native12_GLOBAL__N_124unique_dim_cuda_templateIsEESt5tupleIJNSF_6TensorESK_SK_EERKSK_lbbbEUlllE0_EEPmJS9_EEE10hipError_tPvRmT3_T4_T5_T6_T7_T9_mT8_P12ihipStream_tbDpT10_ENKUlT_T0_E_clISt17integral_constantIbLb1EES1A_EEDaS15_S16_EUlS15_E_NS1_11comp_targetILNS1_3genE5ELNS1_11target_archE942ELNS1_3gpuE9ELNS1_3repE0EEENS1_30default_config_static_selectorELNS0_4arch9wavefront6targetE1EEEvT1_.uses_vcc, 0
	.set _ZN7rocprim17ROCPRIM_400000_NS6detail17trampoline_kernelINS0_14default_configENS1_25partition_config_selectorILNS1_17partition_subalgoE9EllbEEZZNS1_14partition_implILS5_9ELb0ES3_jPlS8_PNS0_10empty_typeENS0_5tupleIJS8_S9_EEENSB_IJS8_SA_EEENS0_18inequality_wrapperIZN2at6native12_GLOBAL__N_124unique_dim_cuda_templateIsEESt5tupleIJNSF_6TensorESK_SK_EERKSK_lbbbEUlllE0_EEPmJS9_EEE10hipError_tPvRmT3_T4_T5_T6_T7_T9_mT8_P12ihipStream_tbDpT10_ENKUlT_T0_E_clISt17integral_constantIbLb1EES1A_EEDaS15_S16_EUlS15_E_NS1_11comp_targetILNS1_3genE5ELNS1_11target_archE942ELNS1_3gpuE9ELNS1_3repE0EEENS1_30default_config_static_selectorELNS0_4arch9wavefront6targetE1EEEvT1_.uses_flat_scratch, 0
	.set _ZN7rocprim17ROCPRIM_400000_NS6detail17trampoline_kernelINS0_14default_configENS1_25partition_config_selectorILNS1_17partition_subalgoE9EllbEEZZNS1_14partition_implILS5_9ELb0ES3_jPlS8_PNS0_10empty_typeENS0_5tupleIJS8_S9_EEENSB_IJS8_SA_EEENS0_18inequality_wrapperIZN2at6native12_GLOBAL__N_124unique_dim_cuda_templateIsEESt5tupleIJNSF_6TensorESK_SK_EERKSK_lbbbEUlllE0_EEPmJS9_EEE10hipError_tPvRmT3_T4_T5_T6_T7_T9_mT8_P12ihipStream_tbDpT10_ENKUlT_T0_E_clISt17integral_constantIbLb1EES1A_EEDaS15_S16_EUlS15_E_NS1_11comp_targetILNS1_3genE5ELNS1_11target_archE942ELNS1_3gpuE9ELNS1_3repE0EEENS1_30default_config_static_selectorELNS0_4arch9wavefront6targetE1EEEvT1_.has_dyn_sized_stack, 0
	.set _ZN7rocprim17ROCPRIM_400000_NS6detail17trampoline_kernelINS0_14default_configENS1_25partition_config_selectorILNS1_17partition_subalgoE9EllbEEZZNS1_14partition_implILS5_9ELb0ES3_jPlS8_PNS0_10empty_typeENS0_5tupleIJS8_S9_EEENSB_IJS8_SA_EEENS0_18inequality_wrapperIZN2at6native12_GLOBAL__N_124unique_dim_cuda_templateIsEESt5tupleIJNSF_6TensorESK_SK_EERKSK_lbbbEUlllE0_EEPmJS9_EEE10hipError_tPvRmT3_T4_T5_T6_T7_T9_mT8_P12ihipStream_tbDpT10_ENKUlT_T0_E_clISt17integral_constantIbLb1EES1A_EEDaS15_S16_EUlS15_E_NS1_11comp_targetILNS1_3genE5ELNS1_11target_archE942ELNS1_3gpuE9ELNS1_3repE0EEENS1_30default_config_static_selectorELNS0_4arch9wavefront6targetE1EEEvT1_.has_recursion, 0
	.set _ZN7rocprim17ROCPRIM_400000_NS6detail17trampoline_kernelINS0_14default_configENS1_25partition_config_selectorILNS1_17partition_subalgoE9EllbEEZZNS1_14partition_implILS5_9ELb0ES3_jPlS8_PNS0_10empty_typeENS0_5tupleIJS8_S9_EEENSB_IJS8_SA_EEENS0_18inequality_wrapperIZN2at6native12_GLOBAL__N_124unique_dim_cuda_templateIsEESt5tupleIJNSF_6TensorESK_SK_EERKSK_lbbbEUlllE0_EEPmJS9_EEE10hipError_tPvRmT3_T4_T5_T6_T7_T9_mT8_P12ihipStream_tbDpT10_ENKUlT_T0_E_clISt17integral_constantIbLb1EES1A_EEDaS15_S16_EUlS15_E_NS1_11comp_targetILNS1_3genE5ELNS1_11target_archE942ELNS1_3gpuE9ELNS1_3repE0EEENS1_30default_config_static_selectorELNS0_4arch9wavefront6targetE1EEEvT1_.has_indirect_call, 0
	.section	.AMDGPU.csdata,"",@progbits
; Kernel info:
; codeLenInByte = 0
; TotalNumSgprs: 6
; NumVgprs: 0
; NumAgprs: 0
; TotalNumVgprs: 0
; ScratchSize: 0
; MemoryBound: 0
; FloatMode: 240
; IeeeMode: 1
; LDSByteSize: 0 bytes/workgroup (compile time only)
; SGPRBlocks: 0
; VGPRBlocks: 0
; NumSGPRsForWavesPerEU: 6
; NumVGPRsForWavesPerEU: 1
; AccumOffset: 4
; Occupancy: 8
; WaveLimiterHint : 0
; COMPUTE_PGM_RSRC2:SCRATCH_EN: 0
; COMPUTE_PGM_RSRC2:USER_SGPR: 2
; COMPUTE_PGM_RSRC2:TRAP_HANDLER: 0
; COMPUTE_PGM_RSRC2:TGID_X_EN: 1
; COMPUTE_PGM_RSRC2:TGID_Y_EN: 0
; COMPUTE_PGM_RSRC2:TGID_Z_EN: 0
; COMPUTE_PGM_RSRC2:TIDIG_COMP_CNT: 0
; COMPUTE_PGM_RSRC3_GFX90A:ACCUM_OFFSET: 0
; COMPUTE_PGM_RSRC3_GFX90A:TG_SPLIT: 0
	.section	.text._ZN7rocprim17ROCPRIM_400000_NS6detail17trampoline_kernelINS0_14default_configENS1_25partition_config_selectorILNS1_17partition_subalgoE9EllbEEZZNS1_14partition_implILS5_9ELb0ES3_jPlS8_PNS0_10empty_typeENS0_5tupleIJS8_S9_EEENSB_IJS8_SA_EEENS0_18inequality_wrapperIZN2at6native12_GLOBAL__N_124unique_dim_cuda_templateIsEESt5tupleIJNSF_6TensorESK_SK_EERKSK_lbbbEUlllE0_EEPmJS9_EEE10hipError_tPvRmT3_T4_T5_T6_T7_T9_mT8_P12ihipStream_tbDpT10_ENKUlT_T0_E_clISt17integral_constantIbLb1EES1A_EEDaS15_S16_EUlS15_E_NS1_11comp_targetILNS1_3genE4ELNS1_11target_archE910ELNS1_3gpuE8ELNS1_3repE0EEENS1_30default_config_static_selectorELNS0_4arch9wavefront6targetE1EEEvT1_,"axG",@progbits,_ZN7rocprim17ROCPRIM_400000_NS6detail17trampoline_kernelINS0_14default_configENS1_25partition_config_selectorILNS1_17partition_subalgoE9EllbEEZZNS1_14partition_implILS5_9ELb0ES3_jPlS8_PNS0_10empty_typeENS0_5tupleIJS8_S9_EEENSB_IJS8_SA_EEENS0_18inequality_wrapperIZN2at6native12_GLOBAL__N_124unique_dim_cuda_templateIsEESt5tupleIJNSF_6TensorESK_SK_EERKSK_lbbbEUlllE0_EEPmJS9_EEE10hipError_tPvRmT3_T4_T5_T6_T7_T9_mT8_P12ihipStream_tbDpT10_ENKUlT_T0_E_clISt17integral_constantIbLb1EES1A_EEDaS15_S16_EUlS15_E_NS1_11comp_targetILNS1_3genE4ELNS1_11target_archE910ELNS1_3gpuE8ELNS1_3repE0EEENS1_30default_config_static_selectorELNS0_4arch9wavefront6targetE1EEEvT1_,comdat
	.globl	_ZN7rocprim17ROCPRIM_400000_NS6detail17trampoline_kernelINS0_14default_configENS1_25partition_config_selectorILNS1_17partition_subalgoE9EllbEEZZNS1_14partition_implILS5_9ELb0ES3_jPlS8_PNS0_10empty_typeENS0_5tupleIJS8_S9_EEENSB_IJS8_SA_EEENS0_18inequality_wrapperIZN2at6native12_GLOBAL__N_124unique_dim_cuda_templateIsEESt5tupleIJNSF_6TensorESK_SK_EERKSK_lbbbEUlllE0_EEPmJS9_EEE10hipError_tPvRmT3_T4_T5_T6_T7_T9_mT8_P12ihipStream_tbDpT10_ENKUlT_T0_E_clISt17integral_constantIbLb1EES1A_EEDaS15_S16_EUlS15_E_NS1_11comp_targetILNS1_3genE4ELNS1_11target_archE910ELNS1_3gpuE8ELNS1_3repE0EEENS1_30default_config_static_selectorELNS0_4arch9wavefront6targetE1EEEvT1_ ; -- Begin function _ZN7rocprim17ROCPRIM_400000_NS6detail17trampoline_kernelINS0_14default_configENS1_25partition_config_selectorILNS1_17partition_subalgoE9EllbEEZZNS1_14partition_implILS5_9ELb0ES3_jPlS8_PNS0_10empty_typeENS0_5tupleIJS8_S9_EEENSB_IJS8_SA_EEENS0_18inequality_wrapperIZN2at6native12_GLOBAL__N_124unique_dim_cuda_templateIsEESt5tupleIJNSF_6TensorESK_SK_EERKSK_lbbbEUlllE0_EEPmJS9_EEE10hipError_tPvRmT3_T4_T5_T6_T7_T9_mT8_P12ihipStream_tbDpT10_ENKUlT_T0_E_clISt17integral_constantIbLb1EES1A_EEDaS15_S16_EUlS15_E_NS1_11comp_targetILNS1_3genE4ELNS1_11target_archE910ELNS1_3gpuE8ELNS1_3repE0EEENS1_30default_config_static_selectorELNS0_4arch9wavefront6targetE1EEEvT1_
	.p2align	8
	.type	_ZN7rocprim17ROCPRIM_400000_NS6detail17trampoline_kernelINS0_14default_configENS1_25partition_config_selectorILNS1_17partition_subalgoE9EllbEEZZNS1_14partition_implILS5_9ELb0ES3_jPlS8_PNS0_10empty_typeENS0_5tupleIJS8_S9_EEENSB_IJS8_SA_EEENS0_18inequality_wrapperIZN2at6native12_GLOBAL__N_124unique_dim_cuda_templateIsEESt5tupleIJNSF_6TensorESK_SK_EERKSK_lbbbEUlllE0_EEPmJS9_EEE10hipError_tPvRmT3_T4_T5_T6_T7_T9_mT8_P12ihipStream_tbDpT10_ENKUlT_T0_E_clISt17integral_constantIbLb1EES1A_EEDaS15_S16_EUlS15_E_NS1_11comp_targetILNS1_3genE4ELNS1_11target_archE910ELNS1_3gpuE8ELNS1_3repE0EEENS1_30default_config_static_selectorELNS0_4arch9wavefront6targetE1EEEvT1_,@function
_ZN7rocprim17ROCPRIM_400000_NS6detail17trampoline_kernelINS0_14default_configENS1_25partition_config_selectorILNS1_17partition_subalgoE9EllbEEZZNS1_14partition_implILS5_9ELb0ES3_jPlS8_PNS0_10empty_typeENS0_5tupleIJS8_S9_EEENSB_IJS8_SA_EEENS0_18inequality_wrapperIZN2at6native12_GLOBAL__N_124unique_dim_cuda_templateIsEESt5tupleIJNSF_6TensorESK_SK_EERKSK_lbbbEUlllE0_EEPmJS9_EEE10hipError_tPvRmT3_T4_T5_T6_T7_T9_mT8_P12ihipStream_tbDpT10_ENKUlT_T0_E_clISt17integral_constantIbLb1EES1A_EEDaS15_S16_EUlS15_E_NS1_11comp_targetILNS1_3genE4ELNS1_11target_archE910ELNS1_3gpuE8ELNS1_3repE0EEENS1_30default_config_static_selectorELNS0_4arch9wavefront6targetE1EEEvT1_: ; @_ZN7rocprim17ROCPRIM_400000_NS6detail17trampoline_kernelINS0_14default_configENS1_25partition_config_selectorILNS1_17partition_subalgoE9EllbEEZZNS1_14partition_implILS5_9ELb0ES3_jPlS8_PNS0_10empty_typeENS0_5tupleIJS8_S9_EEENSB_IJS8_SA_EEENS0_18inequality_wrapperIZN2at6native12_GLOBAL__N_124unique_dim_cuda_templateIsEESt5tupleIJNSF_6TensorESK_SK_EERKSK_lbbbEUlllE0_EEPmJS9_EEE10hipError_tPvRmT3_T4_T5_T6_T7_T9_mT8_P12ihipStream_tbDpT10_ENKUlT_T0_E_clISt17integral_constantIbLb1EES1A_EEDaS15_S16_EUlS15_E_NS1_11comp_targetILNS1_3genE4ELNS1_11target_archE910ELNS1_3gpuE8ELNS1_3repE0EEENS1_30default_config_static_selectorELNS0_4arch9wavefront6targetE1EEEvT1_
; %bb.0:
	.section	.rodata,"a",@progbits
	.p2align	6, 0x0
	.amdhsa_kernel _ZN7rocprim17ROCPRIM_400000_NS6detail17trampoline_kernelINS0_14default_configENS1_25partition_config_selectorILNS1_17partition_subalgoE9EllbEEZZNS1_14partition_implILS5_9ELb0ES3_jPlS8_PNS0_10empty_typeENS0_5tupleIJS8_S9_EEENSB_IJS8_SA_EEENS0_18inequality_wrapperIZN2at6native12_GLOBAL__N_124unique_dim_cuda_templateIsEESt5tupleIJNSF_6TensorESK_SK_EERKSK_lbbbEUlllE0_EEPmJS9_EEE10hipError_tPvRmT3_T4_T5_T6_T7_T9_mT8_P12ihipStream_tbDpT10_ENKUlT_T0_E_clISt17integral_constantIbLb1EES1A_EEDaS15_S16_EUlS15_E_NS1_11comp_targetILNS1_3genE4ELNS1_11target_archE910ELNS1_3gpuE8ELNS1_3repE0EEENS1_30default_config_static_selectorELNS0_4arch9wavefront6targetE1EEEvT1_
		.amdhsa_group_segment_fixed_size 0
		.amdhsa_private_segment_fixed_size 0
		.amdhsa_kernarg_size 136
		.amdhsa_user_sgpr_count 2
		.amdhsa_user_sgpr_dispatch_ptr 0
		.amdhsa_user_sgpr_queue_ptr 0
		.amdhsa_user_sgpr_kernarg_segment_ptr 1
		.amdhsa_user_sgpr_dispatch_id 0
		.amdhsa_user_sgpr_kernarg_preload_length 0
		.amdhsa_user_sgpr_kernarg_preload_offset 0
		.amdhsa_user_sgpr_private_segment_size 0
		.amdhsa_uses_dynamic_stack 0
		.amdhsa_enable_private_segment 0
		.amdhsa_system_sgpr_workgroup_id_x 1
		.amdhsa_system_sgpr_workgroup_id_y 0
		.amdhsa_system_sgpr_workgroup_id_z 0
		.amdhsa_system_sgpr_workgroup_info 0
		.amdhsa_system_vgpr_workitem_id 0
		.amdhsa_next_free_vgpr 1
		.amdhsa_next_free_sgpr 0
		.amdhsa_accum_offset 4
		.amdhsa_reserve_vcc 0
		.amdhsa_float_round_mode_32 0
		.amdhsa_float_round_mode_16_64 0
		.amdhsa_float_denorm_mode_32 3
		.amdhsa_float_denorm_mode_16_64 3
		.amdhsa_dx10_clamp 1
		.amdhsa_ieee_mode 1
		.amdhsa_fp16_overflow 0
		.amdhsa_tg_split 0
		.amdhsa_exception_fp_ieee_invalid_op 0
		.amdhsa_exception_fp_denorm_src 0
		.amdhsa_exception_fp_ieee_div_zero 0
		.amdhsa_exception_fp_ieee_overflow 0
		.amdhsa_exception_fp_ieee_underflow 0
		.amdhsa_exception_fp_ieee_inexact 0
		.amdhsa_exception_int_div_zero 0
	.end_amdhsa_kernel
	.section	.text._ZN7rocprim17ROCPRIM_400000_NS6detail17trampoline_kernelINS0_14default_configENS1_25partition_config_selectorILNS1_17partition_subalgoE9EllbEEZZNS1_14partition_implILS5_9ELb0ES3_jPlS8_PNS0_10empty_typeENS0_5tupleIJS8_S9_EEENSB_IJS8_SA_EEENS0_18inequality_wrapperIZN2at6native12_GLOBAL__N_124unique_dim_cuda_templateIsEESt5tupleIJNSF_6TensorESK_SK_EERKSK_lbbbEUlllE0_EEPmJS9_EEE10hipError_tPvRmT3_T4_T5_T6_T7_T9_mT8_P12ihipStream_tbDpT10_ENKUlT_T0_E_clISt17integral_constantIbLb1EES1A_EEDaS15_S16_EUlS15_E_NS1_11comp_targetILNS1_3genE4ELNS1_11target_archE910ELNS1_3gpuE8ELNS1_3repE0EEENS1_30default_config_static_selectorELNS0_4arch9wavefront6targetE1EEEvT1_,"axG",@progbits,_ZN7rocprim17ROCPRIM_400000_NS6detail17trampoline_kernelINS0_14default_configENS1_25partition_config_selectorILNS1_17partition_subalgoE9EllbEEZZNS1_14partition_implILS5_9ELb0ES3_jPlS8_PNS0_10empty_typeENS0_5tupleIJS8_S9_EEENSB_IJS8_SA_EEENS0_18inequality_wrapperIZN2at6native12_GLOBAL__N_124unique_dim_cuda_templateIsEESt5tupleIJNSF_6TensorESK_SK_EERKSK_lbbbEUlllE0_EEPmJS9_EEE10hipError_tPvRmT3_T4_T5_T6_T7_T9_mT8_P12ihipStream_tbDpT10_ENKUlT_T0_E_clISt17integral_constantIbLb1EES1A_EEDaS15_S16_EUlS15_E_NS1_11comp_targetILNS1_3genE4ELNS1_11target_archE910ELNS1_3gpuE8ELNS1_3repE0EEENS1_30default_config_static_selectorELNS0_4arch9wavefront6targetE1EEEvT1_,comdat
.Lfunc_end727:
	.size	_ZN7rocprim17ROCPRIM_400000_NS6detail17trampoline_kernelINS0_14default_configENS1_25partition_config_selectorILNS1_17partition_subalgoE9EllbEEZZNS1_14partition_implILS5_9ELb0ES3_jPlS8_PNS0_10empty_typeENS0_5tupleIJS8_S9_EEENSB_IJS8_SA_EEENS0_18inequality_wrapperIZN2at6native12_GLOBAL__N_124unique_dim_cuda_templateIsEESt5tupleIJNSF_6TensorESK_SK_EERKSK_lbbbEUlllE0_EEPmJS9_EEE10hipError_tPvRmT3_T4_T5_T6_T7_T9_mT8_P12ihipStream_tbDpT10_ENKUlT_T0_E_clISt17integral_constantIbLb1EES1A_EEDaS15_S16_EUlS15_E_NS1_11comp_targetILNS1_3genE4ELNS1_11target_archE910ELNS1_3gpuE8ELNS1_3repE0EEENS1_30default_config_static_selectorELNS0_4arch9wavefront6targetE1EEEvT1_, .Lfunc_end727-_ZN7rocprim17ROCPRIM_400000_NS6detail17trampoline_kernelINS0_14default_configENS1_25partition_config_selectorILNS1_17partition_subalgoE9EllbEEZZNS1_14partition_implILS5_9ELb0ES3_jPlS8_PNS0_10empty_typeENS0_5tupleIJS8_S9_EEENSB_IJS8_SA_EEENS0_18inequality_wrapperIZN2at6native12_GLOBAL__N_124unique_dim_cuda_templateIsEESt5tupleIJNSF_6TensorESK_SK_EERKSK_lbbbEUlllE0_EEPmJS9_EEE10hipError_tPvRmT3_T4_T5_T6_T7_T9_mT8_P12ihipStream_tbDpT10_ENKUlT_T0_E_clISt17integral_constantIbLb1EES1A_EEDaS15_S16_EUlS15_E_NS1_11comp_targetILNS1_3genE4ELNS1_11target_archE910ELNS1_3gpuE8ELNS1_3repE0EEENS1_30default_config_static_selectorELNS0_4arch9wavefront6targetE1EEEvT1_
                                        ; -- End function
	.set _ZN7rocprim17ROCPRIM_400000_NS6detail17trampoline_kernelINS0_14default_configENS1_25partition_config_selectorILNS1_17partition_subalgoE9EllbEEZZNS1_14partition_implILS5_9ELb0ES3_jPlS8_PNS0_10empty_typeENS0_5tupleIJS8_S9_EEENSB_IJS8_SA_EEENS0_18inequality_wrapperIZN2at6native12_GLOBAL__N_124unique_dim_cuda_templateIsEESt5tupleIJNSF_6TensorESK_SK_EERKSK_lbbbEUlllE0_EEPmJS9_EEE10hipError_tPvRmT3_T4_T5_T6_T7_T9_mT8_P12ihipStream_tbDpT10_ENKUlT_T0_E_clISt17integral_constantIbLb1EES1A_EEDaS15_S16_EUlS15_E_NS1_11comp_targetILNS1_3genE4ELNS1_11target_archE910ELNS1_3gpuE8ELNS1_3repE0EEENS1_30default_config_static_selectorELNS0_4arch9wavefront6targetE1EEEvT1_.num_vgpr, 0
	.set _ZN7rocprim17ROCPRIM_400000_NS6detail17trampoline_kernelINS0_14default_configENS1_25partition_config_selectorILNS1_17partition_subalgoE9EllbEEZZNS1_14partition_implILS5_9ELb0ES3_jPlS8_PNS0_10empty_typeENS0_5tupleIJS8_S9_EEENSB_IJS8_SA_EEENS0_18inequality_wrapperIZN2at6native12_GLOBAL__N_124unique_dim_cuda_templateIsEESt5tupleIJNSF_6TensorESK_SK_EERKSK_lbbbEUlllE0_EEPmJS9_EEE10hipError_tPvRmT3_T4_T5_T6_T7_T9_mT8_P12ihipStream_tbDpT10_ENKUlT_T0_E_clISt17integral_constantIbLb1EES1A_EEDaS15_S16_EUlS15_E_NS1_11comp_targetILNS1_3genE4ELNS1_11target_archE910ELNS1_3gpuE8ELNS1_3repE0EEENS1_30default_config_static_selectorELNS0_4arch9wavefront6targetE1EEEvT1_.num_agpr, 0
	.set _ZN7rocprim17ROCPRIM_400000_NS6detail17trampoline_kernelINS0_14default_configENS1_25partition_config_selectorILNS1_17partition_subalgoE9EllbEEZZNS1_14partition_implILS5_9ELb0ES3_jPlS8_PNS0_10empty_typeENS0_5tupleIJS8_S9_EEENSB_IJS8_SA_EEENS0_18inequality_wrapperIZN2at6native12_GLOBAL__N_124unique_dim_cuda_templateIsEESt5tupleIJNSF_6TensorESK_SK_EERKSK_lbbbEUlllE0_EEPmJS9_EEE10hipError_tPvRmT3_T4_T5_T6_T7_T9_mT8_P12ihipStream_tbDpT10_ENKUlT_T0_E_clISt17integral_constantIbLb1EES1A_EEDaS15_S16_EUlS15_E_NS1_11comp_targetILNS1_3genE4ELNS1_11target_archE910ELNS1_3gpuE8ELNS1_3repE0EEENS1_30default_config_static_selectorELNS0_4arch9wavefront6targetE1EEEvT1_.numbered_sgpr, 0
	.set _ZN7rocprim17ROCPRIM_400000_NS6detail17trampoline_kernelINS0_14default_configENS1_25partition_config_selectorILNS1_17partition_subalgoE9EllbEEZZNS1_14partition_implILS5_9ELb0ES3_jPlS8_PNS0_10empty_typeENS0_5tupleIJS8_S9_EEENSB_IJS8_SA_EEENS0_18inequality_wrapperIZN2at6native12_GLOBAL__N_124unique_dim_cuda_templateIsEESt5tupleIJNSF_6TensorESK_SK_EERKSK_lbbbEUlllE0_EEPmJS9_EEE10hipError_tPvRmT3_T4_T5_T6_T7_T9_mT8_P12ihipStream_tbDpT10_ENKUlT_T0_E_clISt17integral_constantIbLb1EES1A_EEDaS15_S16_EUlS15_E_NS1_11comp_targetILNS1_3genE4ELNS1_11target_archE910ELNS1_3gpuE8ELNS1_3repE0EEENS1_30default_config_static_selectorELNS0_4arch9wavefront6targetE1EEEvT1_.num_named_barrier, 0
	.set _ZN7rocprim17ROCPRIM_400000_NS6detail17trampoline_kernelINS0_14default_configENS1_25partition_config_selectorILNS1_17partition_subalgoE9EllbEEZZNS1_14partition_implILS5_9ELb0ES3_jPlS8_PNS0_10empty_typeENS0_5tupleIJS8_S9_EEENSB_IJS8_SA_EEENS0_18inequality_wrapperIZN2at6native12_GLOBAL__N_124unique_dim_cuda_templateIsEESt5tupleIJNSF_6TensorESK_SK_EERKSK_lbbbEUlllE0_EEPmJS9_EEE10hipError_tPvRmT3_T4_T5_T6_T7_T9_mT8_P12ihipStream_tbDpT10_ENKUlT_T0_E_clISt17integral_constantIbLb1EES1A_EEDaS15_S16_EUlS15_E_NS1_11comp_targetILNS1_3genE4ELNS1_11target_archE910ELNS1_3gpuE8ELNS1_3repE0EEENS1_30default_config_static_selectorELNS0_4arch9wavefront6targetE1EEEvT1_.private_seg_size, 0
	.set _ZN7rocprim17ROCPRIM_400000_NS6detail17trampoline_kernelINS0_14default_configENS1_25partition_config_selectorILNS1_17partition_subalgoE9EllbEEZZNS1_14partition_implILS5_9ELb0ES3_jPlS8_PNS0_10empty_typeENS0_5tupleIJS8_S9_EEENSB_IJS8_SA_EEENS0_18inequality_wrapperIZN2at6native12_GLOBAL__N_124unique_dim_cuda_templateIsEESt5tupleIJNSF_6TensorESK_SK_EERKSK_lbbbEUlllE0_EEPmJS9_EEE10hipError_tPvRmT3_T4_T5_T6_T7_T9_mT8_P12ihipStream_tbDpT10_ENKUlT_T0_E_clISt17integral_constantIbLb1EES1A_EEDaS15_S16_EUlS15_E_NS1_11comp_targetILNS1_3genE4ELNS1_11target_archE910ELNS1_3gpuE8ELNS1_3repE0EEENS1_30default_config_static_selectorELNS0_4arch9wavefront6targetE1EEEvT1_.uses_vcc, 0
	.set _ZN7rocprim17ROCPRIM_400000_NS6detail17trampoline_kernelINS0_14default_configENS1_25partition_config_selectorILNS1_17partition_subalgoE9EllbEEZZNS1_14partition_implILS5_9ELb0ES3_jPlS8_PNS0_10empty_typeENS0_5tupleIJS8_S9_EEENSB_IJS8_SA_EEENS0_18inequality_wrapperIZN2at6native12_GLOBAL__N_124unique_dim_cuda_templateIsEESt5tupleIJNSF_6TensorESK_SK_EERKSK_lbbbEUlllE0_EEPmJS9_EEE10hipError_tPvRmT3_T4_T5_T6_T7_T9_mT8_P12ihipStream_tbDpT10_ENKUlT_T0_E_clISt17integral_constantIbLb1EES1A_EEDaS15_S16_EUlS15_E_NS1_11comp_targetILNS1_3genE4ELNS1_11target_archE910ELNS1_3gpuE8ELNS1_3repE0EEENS1_30default_config_static_selectorELNS0_4arch9wavefront6targetE1EEEvT1_.uses_flat_scratch, 0
	.set _ZN7rocprim17ROCPRIM_400000_NS6detail17trampoline_kernelINS0_14default_configENS1_25partition_config_selectorILNS1_17partition_subalgoE9EllbEEZZNS1_14partition_implILS5_9ELb0ES3_jPlS8_PNS0_10empty_typeENS0_5tupleIJS8_S9_EEENSB_IJS8_SA_EEENS0_18inequality_wrapperIZN2at6native12_GLOBAL__N_124unique_dim_cuda_templateIsEESt5tupleIJNSF_6TensorESK_SK_EERKSK_lbbbEUlllE0_EEPmJS9_EEE10hipError_tPvRmT3_T4_T5_T6_T7_T9_mT8_P12ihipStream_tbDpT10_ENKUlT_T0_E_clISt17integral_constantIbLb1EES1A_EEDaS15_S16_EUlS15_E_NS1_11comp_targetILNS1_3genE4ELNS1_11target_archE910ELNS1_3gpuE8ELNS1_3repE0EEENS1_30default_config_static_selectorELNS0_4arch9wavefront6targetE1EEEvT1_.has_dyn_sized_stack, 0
	.set _ZN7rocprim17ROCPRIM_400000_NS6detail17trampoline_kernelINS0_14default_configENS1_25partition_config_selectorILNS1_17partition_subalgoE9EllbEEZZNS1_14partition_implILS5_9ELb0ES3_jPlS8_PNS0_10empty_typeENS0_5tupleIJS8_S9_EEENSB_IJS8_SA_EEENS0_18inequality_wrapperIZN2at6native12_GLOBAL__N_124unique_dim_cuda_templateIsEESt5tupleIJNSF_6TensorESK_SK_EERKSK_lbbbEUlllE0_EEPmJS9_EEE10hipError_tPvRmT3_T4_T5_T6_T7_T9_mT8_P12ihipStream_tbDpT10_ENKUlT_T0_E_clISt17integral_constantIbLb1EES1A_EEDaS15_S16_EUlS15_E_NS1_11comp_targetILNS1_3genE4ELNS1_11target_archE910ELNS1_3gpuE8ELNS1_3repE0EEENS1_30default_config_static_selectorELNS0_4arch9wavefront6targetE1EEEvT1_.has_recursion, 0
	.set _ZN7rocprim17ROCPRIM_400000_NS6detail17trampoline_kernelINS0_14default_configENS1_25partition_config_selectorILNS1_17partition_subalgoE9EllbEEZZNS1_14partition_implILS5_9ELb0ES3_jPlS8_PNS0_10empty_typeENS0_5tupleIJS8_S9_EEENSB_IJS8_SA_EEENS0_18inequality_wrapperIZN2at6native12_GLOBAL__N_124unique_dim_cuda_templateIsEESt5tupleIJNSF_6TensorESK_SK_EERKSK_lbbbEUlllE0_EEPmJS9_EEE10hipError_tPvRmT3_T4_T5_T6_T7_T9_mT8_P12ihipStream_tbDpT10_ENKUlT_T0_E_clISt17integral_constantIbLb1EES1A_EEDaS15_S16_EUlS15_E_NS1_11comp_targetILNS1_3genE4ELNS1_11target_archE910ELNS1_3gpuE8ELNS1_3repE0EEENS1_30default_config_static_selectorELNS0_4arch9wavefront6targetE1EEEvT1_.has_indirect_call, 0
	.section	.AMDGPU.csdata,"",@progbits
; Kernel info:
; codeLenInByte = 0
; TotalNumSgprs: 6
; NumVgprs: 0
; NumAgprs: 0
; TotalNumVgprs: 0
; ScratchSize: 0
; MemoryBound: 0
; FloatMode: 240
; IeeeMode: 1
; LDSByteSize: 0 bytes/workgroup (compile time only)
; SGPRBlocks: 0
; VGPRBlocks: 0
; NumSGPRsForWavesPerEU: 6
; NumVGPRsForWavesPerEU: 1
; AccumOffset: 4
; Occupancy: 8
; WaveLimiterHint : 0
; COMPUTE_PGM_RSRC2:SCRATCH_EN: 0
; COMPUTE_PGM_RSRC2:USER_SGPR: 2
; COMPUTE_PGM_RSRC2:TRAP_HANDLER: 0
; COMPUTE_PGM_RSRC2:TGID_X_EN: 1
; COMPUTE_PGM_RSRC2:TGID_Y_EN: 0
; COMPUTE_PGM_RSRC2:TGID_Z_EN: 0
; COMPUTE_PGM_RSRC2:TIDIG_COMP_CNT: 0
; COMPUTE_PGM_RSRC3_GFX90A:ACCUM_OFFSET: 0
; COMPUTE_PGM_RSRC3_GFX90A:TG_SPLIT: 0
	.section	.text._ZN7rocprim17ROCPRIM_400000_NS6detail17trampoline_kernelINS0_14default_configENS1_25partition_config_selectorILNS1_17partition_subalgoE9EllbEEZZNS1_14partition_implILS5_9ELb0ES3_jPlS8_PNS0_10empty_typeENS0_5tupleIJS8_S9_EEENSB_IJS8_SA_EEENS0_18inequality_wrapperIZN2at6native12_GLOBAL__N_124unique_dim_cuda_templateIsEESt5tupleIJNSF_6TensorESK_SK_EERKSK_lbbbEUlllE0_EEPmJS9_EEE10hipError_tPvRmT3_T4_T5_T6_T7_T9_mT8_P12ihipStream_tbDpT10_ENKUlT_T0_E_clISt17integral_constantIbLb1EES1A_EEDaS15_S16_EUlS15_E_NS1_11comp_targetILNS1_3genE3ELNS1_11target_archE908ELNS1_3gpuE7ELNS1_3repE0EEENS1_30default_config_static_selectorELNS0_4arch9wavefront6targetE1EEEvT1_,"axG",@progbits,_ZN7rocprim17ROCPRIM_400000_NS6detail17trampoline_kernelINS0_14default_configENS1_25partition_config_selectorILNS1_17partition_subalgoE9EllbEEZZNS1_14partition_implILS5_9ELb0ES3_jPlS8_PNS0_10empty_typeENS0_5tupleIJS8_S9_EEENSB_IJS8_SA_EEENS0_18inequality_wrapperIZN2at6native12_GLOBAL__N_124unique_dim_cuda_templateIsEESt5tupleIJNSF_6TensorESK_SK_EERKSK_lbbbEUlllE0_EEPmJS9_EEE10hipError_tPvRmT3_T4_T5_T6_T7_T9_mT8_P12ihipStream_tbDpT10_ENKUlT_T0_E_clISt17integral_constantIbLb1EES1A_EEDaS15_S16_EUlS15_E_NS1_11comp_targetILNS1_3genE3ELNS1_11target_archE908ELNS1_3gpuE7ELNS1_3repE0EEENS1_30default_config_static_selectorELNS0_4arch9wavefront6targetE1EEEvT1_,comdat
	.globl	_ZN7rocprim17ROCPRIM_400000_NS6detail17trampoline_kernelINS0_14default_configENS1_25partition_config_selectorILNS1_17partition_subalgoE9EllbEEZZNS1_14partition_implILS5_9ELb0ES3_jPlS8_PNS0_10empty_typeENS0_5tupleIJS8_S9_EEENSB_IJS8_SA_EEENS0_18inequality_wrapperIZN2at6native12_GLOBAL__N_124unique_dim_cuda_templateIsEESt5tupleIJNSF_6TensorESK_SK_EERKSK_lbbbEUlllE0_EEPmJS9_EEE10hipError_tPvRmT3_T4_T5_T6_T7_T9_mT8_P12ihipStream_tbDpT10_ENKUlT_T0_E_clISt17integral_constantIbLb1EES1A_EEDaS15_S16_EUlS15_E_NS1_11comp_targetILNS1_3genE3ELNS1_11target_archE908ELNS1_3gpuE7ELNS1_3repE0EEENS1_30default_config_static_selectorELNS0_4arch9wavefront6targetE1EEEvT1_ ; -- Begin function _ZN7rocprim17ROCPRIM_400000_NS6detail17trampoline_kernelINS0_14default_configENS1_25partition_config_selectorILNS1_17partition_subalgoE9EllbEEZZNS1_14partition_implILS5_9ELb0ES3_jPlS8_PNS0_10empty_typeENS0_5tupleIJS8_S9_EEENSB_IJS8_SA_EEENS0_18inequality_wrapperIZN2at6native12_GLOBAL__N_124unique_dim_cuda_templateIsEESt5tupleIJNSF_6TensorESK_SK_EERKSK_lbbbEUlllE0_EEPmJS9_EEE10hipError_tPvRmT3_T4_T5_T6_T7_T9_mT8_P12ihipStream_tbDpT10_ENKUlT_T0_E_clISt17integral_constantIbLb1EES1A_EEDaS15_S16_EUlS15_E_NS1_11comp_targetILNS1_3genE3ELNS1_11target_archE908ELNS1_3gpuE7ELNS1_3repE0EEENS1_30default_config_static_selectorELNS0_4arch9wavefront6targetE1EEEvT1_
	.p2align	8
	.type	_ZN7rocprim17ROCPRIM_400000_NS6detail17trampoline_kernelINS0_14default_configENS1_25partition_config_selectorILNS1_17partition_subalgoE9EllbEEZZNS1_14partition_implILS5_9ELb0ES3_jPlS8_PNS0_10empty_typeENS0_5tupleIJS8_S9_EEENSB_IJS8_SA_EEENS0_18inequality_wrapperIZN2at6native12_GLOBAL__N_124unique_dim_cuda_templateIsEESt5tupleIJNSF_6TensorESK_SK_EERKSK_lbbbEUlllE0_EEPmJS9_EEE10hipError_tPvRmT3_T4_T5_T6_T7_T9_mT8_P12ihipStream_tbDpT10_ENKUlT_T0_E_clISt17integral_constantIbLb1EES1A_EEDaS15_S16_EUlS15_E_NS1_11comp_targetILNS1_3genE3ELNS1_11target_archE908ELNS1_3gpuE7ELNS1_3repE0EEENS1_30default_config_static_selectorELNS0_4arch9wavefront6targetE1EEEvT1_,@function
_ZN7rocprim17ROCPRIM_400000_NS6detail17trampoline_kernelINS0_14default_configENS1_25partition_config_selectorILNS1_17partition_subalgoE9EllbEEZZNS1_14partition_implILS5_9ELb0ES3_jPlS8_PNS0_10empty_typeENS0_5tupleIJS8_S9_EEENSB_IJS8_SA_EEENS0_18inequality_wrapperIZN2at6native12_GLOBAL__N_124unique_dim_cuda_templateIsEESt5tupleIJNSF_6TensorESK_SK_EERKSK_lbbbEUlllE0_EEPmJS9_EEE10hipError_tPvRmT3_T4_T5_T6_T7_T9_mT8_P12ihipStream_tbDpT10_ENKUlT_T0_E_clISt17integral_constantIbLb1EES1A_EEDaS15_S16_EUlS15_E_NS1_11comp_targetILNS1_3genE3ELNS1_11target_archE908ELNS1_3gpuE7ELNS1_3repE0EEENS1_30default_config_static_selectorELNS0_4arch9wavefront6targetE1EEEvT1_: ; @_ZN7rocprim17ROCPRIM_400000_NS6detail17trampoline_kernelINS0_14default_configENS1_25partition_config_selectorILNS1_17partition_subalgoE9EllbEEZZNS1_14partition_implILS5_9ELb0ES3_jPlS8_PNS0_10empty_typeENS0_5tupleIJS8_S9_EEENSB_IJS8_SA_EEENS0_18inequality_wrapperIZN2at6native12_GLOBAL__N_124unique_dim_cuda_templateIsEESt5tupleIJNSF_6TensorESK_SK_EERKSK_lbbbEUlllE0_EEPmJS9_EEE10hipError_tPvRmT3_T4_T5_T6_T7_T9_mT8_P12ihipStream_tbDpT10_ENKUlT_T0_E_clISt17integral_constantIbLb1EES1A_EEDaS15_S16_EUlS15_E_NS1_11comp_targetILNS1_3genE3ELNS1_11target_archE908ELNS1_3gpuE7ELNS1_3repE0EEENS1_30default_config_static_selectorELNS0_4arch9wavefront6targetE1EEEvT1_
; %bb.0:
	.section	.rodata,"a",@progbits
	.p2align	6, 0x0
	.amdhsa_kernel _ZN7rocprim17ROCPRIM_400000_NS6detail17trampoline_kernelINS0_14default_configENS1_25partition_config_selectorILNS1_17partition_subalgoE9EllbEEZZNS1_14partition_implILS5_9ELb0ES3_jPlS8_PNS0_10empty_typeENS0_5tupleIJS8_S9_EEENSB_IJS8_SA_EEENS0_18inequality_wrapperIZN2at6native12_GLOBAL__N_124unique_dim_cuda_templateIsEESt5tupleIJNSF_6TensorESK_SK_EERKSK_lbbbEUlllE0_EEPmJS9_EEE10hipError_tPvRmT3_T4_T5_T6_T7_T9_mT8_P12ihipStream_tbDpT10_ENKUlT_T0_E_clISt17integral_constantIbLb1EES1A_EEDaS15_S16_EUlS15_E_NS1_11comp_targetILNS1_3genE3ELNS1_11target_archE908ELNS1_3gpuE7ELNS1_3repE0EEENS1_30default_config_static_selectorELNS0_4arch9wavefront6targetE1EEEvT1_
		.amdhsa_group_segment_fixed_size 0
		.amdhsa_private_segment_fixed_size 0
		.amdhsa_kernarg_size 136
		.amdhsa_user_sgpr_count 2
		.amdhsa_user_sgpr_dispatch_ptr 0
		.amdhsa_user_sgpr_queue_ptr 0
		.amdhsa_user_sgpr_kernarg_segment_ptr 1
		.amdhsa_user_sgpr_dispatch_id 0
		.amdhsa_user_sgpr_kernarg_preload_length 0
		.amdhsa_user_sgpr_kernarg_preload_offset 0
		.amdhsa_user_sgpr_private_segment_size 0
		.amdhsa_uses_dynamic_stack 0
		.amdhsa_enable_private_segment 0
		.amdhsa_system_sgpr_workgroup_id_x 1
		.amdhsa_system_sgpr_workgroup_id_y 0
		.amdhsa_system_sgpr_workgroup_id_z 0
		.amdhsa_system_sgpr_workgroup_info 0
		.amdhsa_system_vgpr_workitem_id 0
		.amdhsa_next_free_vgpr 1
		.amdhsa_next_free_sgpr 0
		.amdhsa_accum_offset 4
		.amdhsa_reserve_vcc 0
		.amdhsa_float_round_mode_32 0
		.amdhsa_float_round_mode_16_64 0
		.amdhsa_float_denorm_mode_32 3
		.amdhsa_float_denorm_mode_16_64 3
		.amdhsa_dx10_clamp 1
		.amdhsa_ieee_mode 1
		.amdhsa_fp16_overflow 0
		.amdhsa_tg_split 0
		.amdhsa_exception_fp_ieee_invalid_op 0
		.amdhsa_exception_fp_denorm_src 0
		.amdhsa_exception_fp_ieee_div_zero 0
		.amdhsa_exception_fp_ieee_overflow 0
		.amdhsa_exception_fp_ieee_underflow 0
		.amdhsa_exception_fp_ieee_inexact 0
		.amdhsa_exception_int_div_zero 0
	.end_amdhsa_kernel
	.section	.text._ZN7rocprim17ROCPRIM_400000_NS6detail17trampoline_kernelINS0_14default_configENS1_25partition_config_selectorILNS1_17partition_subalgoE9EllbEEZZNS1_14partition_implILS5_9ELb0ES3_jPlS8_PNS0_10empty_typeENS0_5tupleIJS8_S9_EEENSB_IJS8_SA_EEENS0_18inequality_wrapperIZN2at6native12_GLOBAL__N_124unique_dim_cuda_templateIsEESt5tupleIJNSF_6TensorESK_SK_EERKSK_lbbbEUlllE0_EEPmJS9_EEE10hipError_tPvRmT3_T4_T5_T6_T7_T9_mT8_P12ihipStream_tbDpT10_ENKUlT_T0_E_clISt17integral_constantIbLb1EES1A_EEDaS15_S16_EUlS15_E_NS1_11comp_targetILNS1_3genE3ELNS1_11target_archE908ELNS1_3gpuE7ELNS1_3repE0EEENS1_30default_config_static_selectorELNS0_4arch9wavefront6targetE1EEEvT1_,"axG",@progbits,_ZN7rocprim17ROCPRIM_400000_NS6detail17trampoline_kernelINS0_14default_configENS1_25partition_config_selectorILNS1_17partition_subalgoE9EllbEEZZNS1_14partition_implILS5_9ELb0ES3_jPlS8_PNS0_10empty_typeENS0_5tupleIJS8_S9_EEENSB_IJS8_SA_EEENS0_18inequality_wrapperIZN2at6native12_GLOBAL__N_124unique_dim_cuda_templateIsEESt5tupleIJNSF_6TensorESK_SK_EERKSK_lbbbEUlllE0_EEPmJS9_EEE10hipError_tPvRmT3_T4_T5_T6_T7_T9_mT8_P12ihipStream_tbDpT10_ENKUlT_T0_E_clISt17integral_constantIbLb1EES1A_EEDaS15_S16_EUlS15_E_NS1_11comp_targetILNS1_3genE3ELNS1_11target_archE908ELNS1_3gpuE7ELNS1_3repE0EEENS1_30default_config_static_selectorELNS0_4arch9wavefront6targetE1EEEvT1_,comdat
.Lfunc_end728:
	.size	_ZN7rocprim17ROCPRIM_400000_NS6detail17trampoline_kernelINS0_14default_configENS1_25partition_config_selectorILNS1_17partition_subalgoE9EllbEEZZNS1_14partition_implILS5_9ELb0ES3_jPlS8_PNS0_10empty_typeENS0_5tupleIJS8_S9_EEENSB_IJS8_SA_EEENS0_18inequality_wrapperIZN2at6native12_GLOBAL__N_124unique_dim_cuda_templateIsEESt5tupleIJNSF_6TensorESK_SK_EERKSK_lbbbEUlllE0_EEPmJS9_EEE10hipError_tPvRmT3_T4_T5_T6_T7_T9_mT8_P12ihipStream_tbDpT10_ENKUlT_T0_E_clISt17integral_constantIbLb1EES1A_EEDaS15_S16_EUlS15_E_NS1_11comp_targetILNS1_3genE3ELNS1_11target_archE908ELNS1_3gpuE7ELNS1_3repE0EEENS1_30default_config_static_selectorELNS0_4arch9wavefront6targetE1EEEvT1_, .Lfunc_end728-_ZN7rocprim17ROCPRIM_400000_NS6detail17trampoline_kernelINS0_14default_configENS1_25partition_config_selectorILNS1_17partition_subalgoE9EllbEEZZNS1_14partition_implILS5_9ELb0ES3_jPlS8_PNS0_10empty_typeENS0_5tupleIJS8_S9_EEENSB_IJS8_SA_EEENS0_18inequality_wrapperIZN2at6native12_GLOBAL__N_124unique_dim_cuda_templateIsEESt5tupleIJNSF_6TensorESK_SK_EERKSK_lbbbEUlllE0_EEPmJS9_EEE10hipError_tPvRmT3_T4_T5_T6_T7_T9_mT8_P12ihipStream_tbDpT10_ENKUlT_T0_E_clISt17integral_constantIbLb1EES1A_EEDaS15_S16_EUlS15_E_NS1_11comp_targetILNS1_3genE3ELNS1_11target_archE908ELNS1_3gpuE7ELNS1_3repE0EEENS1_30default_config_static_selectorELNS0_4arch9wavefront6targetE1EEEvT1_
                                        ; -- End function
	.set _ZN7rocprim17ROCPRIM_400000_NS6detail17trampoline_kernelINS0_14default_configENS1_25partition_config_selectorILNS1_17partition_subalgoE9EllbEEZZNS1_14partition_implILS5_9ELb0ES3_jPlS8_PNS0_10empty_typeENS0_5tupleIJS8_S9_EEENSB_IJS8_SA_EEENS0_18inequality_wrapperIZN2at6native12_GLOBAL__N_124unique_dim_cuda_templateIsEESt5tupleIJNSF_6TensorESK_SK_EERKSK_lbbbEUlllE0_EEPmJS9_EEE10hipError_tPvRmT3_T4_T5_T6_T7_T9_mT8_P12ihipStream_tbDpT10_ENKUlT_T0_E_clISt17integral_constantIbLb1EES1A_EEDaS15_S16_EUlS15_E_NS1_11comp_targetILNS1_3genE3ELNS1_11target_archE908ELNS1_3gpuE7ELNS1_3repE0EEENS1_30default_config_static_selectorELNS0_4arch9wavefront6targetE1EEEvT1_.num_vgpr, 0
	.set _ZN7rocprim17ROCPRIM_400000_NS6detail17trampoline_kernelINS0_14default_configENS1_25partition_config_selectorILNS1_17partition_subalgoE9EllbEEZZNS1_14partition_implILS5_9ELb0ES3_jPlS8_PNS0_10empty_typeENS0_5tupleIJS8_S9_EEENSB_IJS8_SA_EEENS0_18inequality_wrapperIZN2at6native12_GLOBAL__N_124unique_dim_cuda_templateIsEESt5tupleIJNSF_6TensorESK_SK_EERKSK_lbbbEUlllE0_EEPmJS9_EEE10hipError_tPvRmT3_T4_T5_T6_T7_T9_mT8_P12ihipStream_tbDpT10_ENKUlT_T0_E_clISt17integral_constantIbLb1EES1A_EEDaS15_S16_EUlS15_E_NS1_11comp_targetILNS1_3genE3ELNS1_11target_archE908ELNS1_3gpuE7ELNS1_3repE0EEENS1_30default_config_static_selectorELNS0_4arch9wavefront6targetE1EEEvT1_.num_agpr, 0
	.set _ZN7rocprim17ROCPRIM_400000_NS6detail17trampoline_kernelINS0_14default_configENS1_25partition_config_selectorILNS1_17partition_subalgoE9EllbEEZZNS1_14partition_implILS5_9ELb0ES3_jPlS8_PNS0_10empty_typeENS0_5tupleIJS8_S9_EEENSB_IJS8_SA_EEENS0_18inequality_wrapperIZN2at6native12_GLOBAL__N_124unique_dim_cuda_templateIsEESt5tupleIJNSF_6TensorESK_SK_EERKSK_lbbbEUlllE0_EEPmJS9_EEE10hipError_tPvRmT3_T4_T5_T6_T7_T9_mT8_P12ihipStream_tbDpT10_ENKUlT_T0_E_clISt17integral_constantIbLb1EES1A_EEDaS15_S16_EUlS15_E_NS1_11comp_targetILNS1_3genE3ELNS1_11target_archE908ELNS1_3gpuE7ELNS1_3repE0EEENS1_30default_config_static_selectorELNS0_4arch9wavefront6targetE1EEEvT1_.numbered_sgpr, 0
	.set _ZN7rocprim17ROCPRIM_400000_NS6detail17trampoline_kernelINS0_14default_configENS1_25partition_config_selectorILNS1_17partition_subalgoE9EllbEEZZNS1_14partition_implILS5_9ELb0ES3_jPlS8_PNS0_10empty_typeENS0_5tupleIJS8_S9_EEENSB_IJS8_SA_EEENS0_18inequality_wrapperIZN2at6native12_GLOBAL__N_124unique_dim_cuda_templateIsEESt5tupleIJNSF_6TensorESK_SK_EERKSK_lbbbEUlllE0_EEPmJS9_EEE10hipError_tPvRmT3_T4_T5_T6_T7_T9_mT8_P12ihipStream_tbDpT10_ENKUlT_T0_E_clISt17integral_constantIbLb1EES1A_EEDaS15_S16_EUlS15_E_NS1_11comp_targetILNS1_3genE3ELNS1_11target_archE908ELNS1_3gpuE7ELNS1_3repE0EEENS1_30default_config_static_selectorELNS0_4arch9wavefront6targetE1EEEvT1_.num_named_barrier, 0
	.set _ZN7rocprim17ROCPRIM_400000_NS6detail17trampoline_kernelINS0_14default_configENS1_25partition_config_selectorILNS1_17partition_subalgoE9EllbEEZZNS1_14partition_implILS5_9ELb0ES3_jPlS8_PNS0_10empty_typeENS0_5tupleIJS8_S9_EEENSB_IJS8_SA_EEENS0_18inequality_wrapperIZN2at6native12_GLOBAL__N_124unique_dim_cuda_templateIsEESt5tupleIJNSF_6TensorESK_SK_EERKSK_lbbbEUlllE0_EEPmJS9_EEE10hipError_tPvRmT3_T4_T5_T6_T7_T9_mT8_P12ihipStream_tbDpT10_ENKUlT_T0_E_clISt17integral_constantIbLb1EES1A_EEDaS15_S16_EUlS15_E_NS1_11comp_targetILNS1_3genE3ELNS1_11target_archE908ELNS1_3gpuE7ELNS1_3repE0EEENS1_30default_config_static_selectorELNS0_4arch9wavefront6targetE1EEEvT1_.private_seg_size, 0
	.set _ZN7rocprim17ROCPRIM_400000_NS6detail17trampoline_kernelINS0_14default_configENS1_25partition_config_selectorILNS1_17partition_subalgoE9EllbEEZZNS1_14partition_implILS5_9ELb0ES3_jPlS8_PNS0_10empty_typeENS0_5tupleIJS8_S9_EEENSB_IJS8_SA_EEENS0_18inequality_wrapperIZN2at6native12_GLOBAL__N_124unique_dim_cuda_templateIsEESt5tupleIJNSF_6TensorESK_SK_EERKSK_lbbbEUlllE0_EEPmJS9_EEE10hipError_tPvRmT3_T4_T5_T6_T7_T9_mT8_P12ihipStream_tbDpT10_ENKUlT_T0_E_clISt17integral_constantIbLb1EES1A_EEDaS15_S16_EUlS15_E_NS1_11comp_targetILNS1_3genE3ELNS1_11target_archE908ELNS1_3gpuE7ELNS1_3repE0EEENS1_30default_config_static_selectorELNS0_4arch9wavefront6targetE1EEEvT1_.uses_vcc, 0
	.set _ZN7rocprim17ROCPRIM_400000_NS6detail17trampoline_kernelINS0_14default_configENS1_25partition_config_selectorILNS1_17partition_subalgoE9EllbEEZZNS1_14partition_implILS5_9ELb0ES3_jPlS8_PNS0_10empty_typeENS0_5tupleIJS8_S9_EEENSB_IJS8_SA_EEENS0_18inequality_wrapperIZN2at6native12_GLOBAL__N_124unique_dim_cuda_templateIsEESt5tupleIJNSF_6TensorESK_SK_EERKSK_lbbbEUlllE0_EEPmJS9_EEE10hipError_tPvRmT3_T4_T5_T6_T7_T9_mT8_P12ihipStream_tbDpT10_ENKUlT_T0_E_clISt17integral_constantIbLb1EES1A_EEDaS15_S16_EUlS15_E_NS1_11comp_targetILNS1_3genE3ELNS1_11target_archE908ELNS1_3gpuE7ELNS1_3repE0EEENS1_30default_config_static_selectorELNS0_4arch9wavefront6targetE1EEEvT1_.uses_flat_scratch, 0
	.set _ZN7rocprim17ROCPRIM_400000_NS6detail17trampoline_kernelINS0_14default_configENS1_25partition_config_selectorILNS1_17partition_subalgoE9EllbEEZZNS1_14partition_implILS5_9ELb0ES3_jPlS8_PNS0_10empty_typeENS0_5tupleIJS8_S9_EEENSB_IJS8_SA_EEENS0_18inequality_wrapperIZN2at6native12_GLOBAL__N_124unique_dim_cuda_templateIsEESt5tupleIJNSF_6TensorESK_SK_EERKSK_lbbbEUlllE0_EEPmJS9_EEE10hipError_tPvRmT3_T4_T5_T6_T7_T9_mT8_P12ihipStream_tbDpT10_ENKUlT_T0_E_clISt17integral_constantIbLb1EES1A_EEDaS15_S16_EUlS15_E_NS1_11comp_targetILNS1_3genE3ELNS1_11target_archE908ELNS1_3gpuE7ELNS1_3repE0EEENS1_30default_config_static_selectorELNS0_4arch9wavefront6targetE1EEEvT1_.has_dyn_sized_stack, 0
	.set _ZN7rocprim17ROCPRIM_400000_NS6detail17trampoline_kernelINS0_14default_configENS1_25partition_config_selectorILNS1_17partition_subalgoE9EllbEEZZNS1_14partition_implILS5_9ELb0ES3_jPlS8_PNS0_10empty_typeENS0_5tupleIJS8_S9_EEENSB_IJS8_SA_EEENS0_18inequality_wrapperIZN2at6native12_GLOBAL__N_124unique_dim_cuda_templateIsEESt5tupleIJNSF_6TensorESK_SK_EERKSK_lbbbEUlllE0_EEPmJS9_EEE10hipError_tPvRmT3_T4_T5_T6_T7_T9_mT8_P12ihipStream_tbDpT10_ENKUlT_T0_E_clISt17integral_constantIbLb1EES1A_EEDaS15_S16_EUlS15_E_NS1_11comp_targetILNS1_3genE3ELNS1_11target_archE908ELNS1_3gpuE7ELNS1_3repE0EEENS1_30default_config_static_selectorELNS0_4arch9wavefront6targetE1EEEvT1_.has_recursion, 0
	.set _ZN7rocprim17ROCPRIM_400000_NS6detail17trampoline_kernelINS0_14default_configENS1_25partition_config_selectorILNS1_17partition_subalgoE9EllbEEZZNS1_14partition_implILS5_9ELb0ES3_jPlS8_PNS0_10empty_typeENS0_5tupleIJS8_S9_EEENSB_IJS8_SA_EEENS0_18inequality_wrapperIZN2at6native12_GLOBAL__N_124unique_dim_cuda_templateIsEESt5tupleIJNSF_6TensorESK_SK_EERKSK_lbbbEUlllE0_EEPmJS9_EEE10hipError_tPvRmT3_T4_T5_T6_T7_T9_mT8_P12ihipStream_tbDpT10_ENKUlT_T0_E_clISt17integral_constantIbLb1EES1A_EEDaS15_S16_EUlS15_E_NS1_11comp_targetILNS1_3genE3ELNS1_11target_archE908ELNS1_3gpuE7ELNS1_3repE0EEENS1_30default_config_static_selectorELNS0_4arch9wavefront6targetE1EEEvT1_.has_indirect_call, 0
	.section	.AMDGPU.csdata,"",@progbits
; Kernel info:
; codeLenInByte = 0
; TotalNumSgprs: 6
; NumVgprs: 0
; NumAgprs: 0
; TotalNumVgprs: 0
; ScratchSize: 0
; MemoryBound: 0
; FloatMode: 240
; IeeeMode: 1
; LDSByteSize: 0 bytes/workgroup (compile time only)
; SGPRBlocks: 0
; VGPRBlocks: 0
; NumSGPRsForWavesPerEU: 6
; NumVGPRsForWavesPerEU: 1
; AccumOffset: 4
; Occupancy: 8
; WaveLimiterHint : 0
; COMPUTE_PGM_RSRC2:SCRATCH_EN: 0
; COMPUTE_PGM_RSRC2:USER_SGPR: 2
; COMPUTE_PGM_RSRC2:TRAP_HANDLER: 0
; COMPUTE_PGM_RSRC2:TGID_X_EN: 1
; COMPUTE_PGM_RSRC2:TGID_Y_EN: 0
; COMPUTE_PGM_RSRC2:TGID_Z_EN: 0
; COMPUTE_PGM_RSRC2:TIDIG_COMP_CNT: 0
; COMPUTE_PGM_RSRC3_GFX90A:ACCUM_OFFSET: 0
; COMPUTE_PGM_RSRC3_GFX90A:TG_SPLIT: 0
	.section	.text._ZN7rocprim17ROCPRIM_400000_NS6detail17trampoline_kernelINS0_14default_configENS1_25partition_config_selectorILNS1_17partition_subalgoE9EllbEEZZNS1_14partition_implILS5_9ELb0ES3_jPlS8_PNS0_10empty_typeENS0_5tupleIJS8_S9_EEENSB_IJS8_SA_EEENS0_18inequality_wrapperIZN2at6native12_GLOBAL__N_124unique_dim_cuda_templateIsEESt5tupleIJNSF_6TensorESK_SK_EERKSK_lbbbEUlllE0_EEPmJS9_EEE10hipError_tPvRmT3_T4_T5_T6_T7_T9_mT8_P12ihipStream_tbDpT10_ENKUlT_T0_E_clISt17integral_constantIbLb1EES1A_EEDaS15_S16_EUlS15_E_NS1_11comp_targetILNS1_3genE2ELNS1_11target_archE906ELNS1_3gpuE6ELNS1_3repE0EEENS1_30default_config_static_selectorELNS0_4arch9wavefront6targetE1EEEvT1_,"axG",@progbits,_ZN7rocprim17ROCPRIM_400000_NS6detail17trampoline_kernelINS0_14default_configENS1_25partition_config_selectorILNS1_17partition_subalgoE9EllbEEZZNS1_14partition_implILS5_9ELb0ES3_jPlS8_PNS0_10empty_typeENS0_5tupleIJS8_S9_EEENSB_IJS8_SA_EEENS0_18inequality_wrapperIZN2at6native12_GLOBAL__N_124unique_dim_cuda_templateIsEESt5tupleIJNSF_6TensorESK_SK_EERKSK_lbbbEUlllE0_EEPmJS9_EEE10hipError_tPvRmT3_T4_T5_T6_T7_T9_mT8_P12ihipStream_tbDpT10_ENKUlT_T0_E_clISt17integral_constantIbLb1EES1A_EEDaS15_S16_EUlS15_E_NS1_11comp_targetILNS1_3genE2ELNS1_11target_archE906ELNS1_3gpuE6ELNS1_3repE0EEENS1_30default_config_static_selectorELNS0_4arch9wavefront6targetE1EEEvT1_,comdat
	.globl	_ZN7rocprim17ROCPRIM_400000_NS6detail17trampoline_kernelINS0_14default_configENS1_25partition_config_selectorILNS1_17partition_subalgoE9EllbEEZZNS1_14partition_implILS5_9ELb0ES3_jPlS8_PNS0_10empty_typeENS0_5tupleIJS8_S9_EEENSB_IJS8_SA_EEENS0_18inequality_wrapperIZN2at6native12_GLOBAL__N_124unique_dim_cuda_templateIsEESt5tupleIJNSF_6TensorESK_SK_EERKSK_lbbbEUlllE0_EEPmJS9_EEE10hipError_tPvRmT3_T4_T5_T6_T7_T9_mT8_P12ihipStream_tbDpT10_ENKUlT_T0_E_clISt17integral_constantIbLb1EES1A_EEDaS15_S16_EUlS15_E_NS1_11comp_targetILNS1_3genE2ELNS1_11target_archE906ELNS1_3gpuE6ELNS1_3repE0EEENS1_30default_config_static_selectorELNS0_4arch9wavefront6targetE1EEEvT1_ ; -- Begin function _ZN7rocprim17ROCPRIM_400000_NS6detail17trampoline_kernelINS0_14default_configENS1_25partition_config_selectorILNS1_17partition_subalgoE9EllbEEZZNS1_14partition_implILS5_9ELb0ES3_jPlS8_PNS0_10empty_typeENS0_5tupleIJS8_S9_EEENSB_IJS8_SA_EEENS0_18inequality_wrapperIZN2at6native12_GLOBAL__N_124unique_dim_cuda_templateIsEESt5tupleIJNSF_6TensorESK_SK_EERKSK_lbbbEUlllE0_EEPmJS9_EEE10hipError_tPvRmT3_T4_T5_T6_T7_T9_mT8_P12ihipStream_tbDpT10_ENKUlT_T0_E_clISt17integral_constantIbLb1EES1A_EEDaS15_S16_EUlS15_E_NS1_11comp_targetILNS1_3genE2ELNS1_11target_archE906ELNS1_3gpuE6ELNS1_3repE0EEENS1_30default_config_static_selectorELNS0_4arch9wavefront6targetE1EEEvT1_
	.p2align	8
	.type	_ZN7rocprim17ROCPRIM_400000_NS6detail17trampoline_kernelINS0_14default_configENS1_25partition_config_selectorILNS1_17partition_subalgoE9EllbEEZZNS1_14partition_implILS5_9ELb0ES3_jPlS8_PNS0_10empty_typeENS0_5tupleIJS8_S9_EEENSB_IJS8_SA_EEENS0_18inequality_wrapperIZN2at6native12_GLOBAL__N_124unique_dim_cuda_templateIsEESt5tupleIJNSF_6TensorESK_SK_EERKSK_lbbbEUlllE0_EEPmJS9_EEE10hipError_tPvRmT3_T4_T5_T6_T7_T9_mT8_P12ihipStream_tbDpT10_ENKUlT_T0_E_clISt17integral_constantIbLb1EES1A_EEDaS15_S16_EUlS15_E_NS1_11comp_targetILNS1_3genE2ELNS1_11target_archE906ELNS1_3gpuE6ELNS1_3repE0EEENS1_30default_config_static_selectorELNS0_4arch9wavefront6targetE1EEEvT1_,@function
_ZN7rocprim17ROCPRIM_400000_NS6detail17trampoline_kernelINS0_14default_configENS1_25partition_config_selectorILNS1_17partition_subalgoE9EllbEEZZNS1_14partition_implILS5_9ELb0ES3_jPlS8_PNS0_10empty_typeENS0_5tupleIJS8_S9_EEENSB_IJS8_SA_EEENS0_18inequality_wrapperIZN2at6native12_GLOBAL__N_124unique_dim_cuda_templateIsEESt5tupleIJNSF_6TensorESK_SK_EERKSK_lbbbEUlllE0_EEPmJS9_EEE10hipError_tPvRmT3_T4_T5_T6_T7_T9_mT8_P12ihipStream_tbDpT10_ENKUlT_T0_E_clISt17integral_constantIbLb1EES1A_EEDaS15_S16_EUlS15_E_NS1_11comp_targetILNS1_3genE2ELNS1_11target_archE906ELNS1_3gpuE6ELNS1_3repE0EEENS1_30default_config_static_selectorELNS0_4arch9wavefront6targetE1EEEvT1_: ; @_ZN7rocprim17ROCPRIM_400000_NS6detail17trampoline_kernelINS0_14default_configENS1_25partition_config_selectorILNS1_17partition_subalgoE9EllbEEZZNS1_14partition_implILS5_9ELb0ES3_jPlS8_PNS0_10empty_typeENS0_5tupleIJS8_S9_EEENSB_IJS8_SA_EEENS0_18inequality_wrapperIZN2at6native12_GLOBAL__N_124unique_dim_cuda_templateIsEESt5tupleIJNSF_6TensorESK_SK_EERKSK_lbbbEUlllE0_EEPmJS9_EEE10hipError_tPvRmT3_T4_T5_T6_T7_T9_mT8_P12ihipStream_tbDpT10_ENKUlT_T0_E_clISt17integral_constantIbLb1EES1A_EEDaS15_S16_EUlS15_E_NS1_11comp_targetILNS1_3genE2ELNS1_11target_archE906ELNS1_3gpuE6ELNS1_3repE0EEENS1_30default_config_static_selectorELNS0_4arch9wavefront6targetE1EEEvT1_
; %bb.0:
	.section	.rodata,"a",@progbits
	.p2align	6, 0x0
	.amdhsa_kernel _ZN7rocprim17ROCPRIM_400000_NS6detail17trampoline_kernelINS0_14default_configENS1_25partition_config_selectorILNS1_17partition_subalgoE9EllbEEZZNS1_14partition_implILS5_9ELb0ES3_jPlS8_PNS0_10empty_typeENS0_5tupleIJS8_S9_EEENSB_IJS8_SA_EEENS0_18inequality_wrapperIZN2at6native12_GLOBAL__N_124unique_dim_cuda_templateIsEESt5tupleIJNSF_6TensorESK_SK_EERKSK_lbbbEUlllE0_EEPmJS9_EEE10hipError_tPvRmT3_T4_T5_T6_T7_T9_mT8_P12ihipStream_tbDpT10_ENKUlT_T0_E_clISt17integral_constantIbLb1EES1A_EEDaS15_S16_EUlS15_E_NS1_11comp_targetILNS1_3genE2ELNS1_11target_archE906ELNS1_3gpuE6ELNS1_3repE0EEENS1_30default_config_static_selectorELNS0_4arch9wavefront6targetE1EEEvT1_
		.amdhsa_group_segment_fixed_size 0
		.amdhsa_private_segment_fixed_size 0
		.amdhsa_kernarg_size 136
		.amdhsa_user_sgpr_count 2
		.amdhsa_user_sgpr_dispatch_ptr 0
		.amdhsa_user_sgpr_queue_ptr 0
		.amdhsa_user_sgpr_kernarg_segment_ptr 1
		.amdhsa_user_sgpr_dispatch_id 0
		.amdhsa_user_sgpr_kernarg_preload_length 0
		.amdhsa_user_sgpr_kernarg_preload_offset 0
		.amdhsa_user_sgpr_private_segment_size 0
		.amdhsa_uses_dynamic_stack 0
		.amdhsa_enable_private_segment 0
		.amdhsa_system_sgpr_workgroup_id_x 1
		.amdhsa_system_sgpr_workgroup_id_y 0
		.amdhsa_system_sgpr_workgroup_id_z 0
		.amdhsa_system_sgpr_workgroup_info 0
		.amdhsa_system_vgpr_workitem_id 0
		.amdhsa_next_free_vgpr 1
		.amdhsa_next_free_sgpr 0
		.amdhsa_accum_offset 4
		.amdhsa_reserve_vcc 0
		.amdhsa_float_round_mode_32 0
		.amdhsa_float_round_mode_16_64 0
		.amdhsa_float_denorm_mode_32 3
		.amdhsa_float_denorm_mode_16_64 3
		.amdhsa_dx10_clamp 1
		.amdhsa_ieee_mode 1
		.amdhsa_fp16_overflow 0
		.amdhsa_tg_split 0
		.amdhsa_exception_fp_ieee_invalid_op 0
		.amdhsa_exception_fp_denorm_src 0
		.amdhsa_exception_fp_ieee_div_zero 0
		.amdhsa_exception_fp_ieee_overflow 0
		.amdhsa_exception_fp_ieee_underflow 0
		.amdhsa_exception_fp_ieee_inexact 0
		.amdhsa_exception_int_div_zero 0
	.end_amdhsa_kernel
	.section	.text._ZN7rocprim17ROCPRIM_400000_NS6detail17trampoline_kernelINS0_14default_configENS1_25partition_config_selectorILNS1_17partition_subalgoE9EllbEEZZNS1_14partition_implILS5_9ELb0ES3_jPlS8_PNS0_10empty_typeENS0_5tupleIJS8_S9_EEENSB_IJS8_SA_EEENS0_18inequality_wrapperIZN2at6native12_GLOBAL__N_124unique_dim_cuda_templateIsEESt5tupleIJNSF_6TensorESK_SK_EERKSK_lbbbEUlllE0_EEPmJS9_EEE10hipError_tPvRmT3_T4_T5_T6_T7_T9_mT8_P12ihipStream_tbDpT10_ENKUlT_T0_E_clISt17integral_constantIbLb1EES1A_EEDaS15_S16_EUlS15_E_NS1_11comp_targetILNS1_3genE2ELNS1_11target_archE906ELNS1_3gpuE6ELNS1_3repE0EEENS1_30default_config_static_selectorELNS0_4arch9wavefront6targetE1EEEvT1_,"axG",@progbits,_ZN7rocprim17ROCPRIM_400000_NS6detail17trampoline_kernelINS0_14default_configENS1_25partition_config_selectorILNS1_17partition_subalgoE9EllbEEZZNS1_14partition_implILS5_9ELb0ES3_jPlS8_PNS0_10empty_typeENS0_5tupleIJS8_S9_EEENSB_IJS8_SA_EEENS0_18inequality_wrapperIZN2at6native12_GLOBAL__N_124unique_dim_cuda_templateIsEESt5tupleIJNSF_6TensorESK_SK_EERKSK_lbbbEUlllE0_EEPmJS9_EEE10hipError_tPvRmT3_T4_T5_T6_T7_T9_mT8_P12ihipStream_tbDpT10_ENKUlT_T0_E_clISt17integral_constantIbLb1EES1A_EEDaS15_S16_EUlS15_E_NS1_11comp_targetILNS1_3genE2ELNS1_11target_archE906ELNS1_3gpuE6ELNS1_3repE0EEENS1_30default_config_static_selectorELNS0_4arch9wavefront6targetE1EEEvT1_,comdat
.Lfunc_end729:
	.size	_ZN7rocprim17ROCPRIM_400000_NS6detail17trampoline_kernelINS0_14default_configENS1_25partition_config_selectorILNS1_17partition_subalgoE9EllbEEZZNS1_14partition_implILS5_9ELb0ES3_jPlS8_PNS0_10empty_typeENS0_5tupleIJS8_S9_EEENSB_IJS8_SA_EEENS0_18inequality_wrapperIZN2at6native12_GLOBAL__N_124unique_dim_cuda_templateIsEESt5tupleIJNSF_6TensorESK_SK_EERKSK_lbbbEUlllE0_EEPmJS9_EEE10hipError_tPvRmT3_T4_T5_T6_T7_T9_mT8_P12ihipStream_tbDpT10_ENKUlT_T0_E_clISt17integral_constantIbLb1EES1A_EEDaS15_S16_EUlS15_E_NS1_11comp_targetILNS1_3genE2ELNS1_11target_archE906ELNS1_3gpuE6ELNS1_3repE0EEENS1_30default_config_static_selectorELNS0_4arch9wavefront6targetE1EEEvT1_, .Lfunc_end729-_ZN7rocprim17ROCPRIM_400000_NS6detail17trampoline_kernelINS0_14default_configENS1_25partition_config_selectorILNS1_17partition_subalgoE9EllbEEZZNS1_14partition_implILS5_9ELb0ES3_jPlS8_PNS0_10empty_typeENS0_5tupleIJS8_S9_EEENSB_IJS8_SA_EEENS0_18inequality_wrapperIZN2at6native12_GLOBAL__N_124unique_dim_cuda_templateIsEESt5tupleIJNSF_6TensorESK_SK_EERKSK_lbbbEUlllE0_EEPmJS9_EEE10hipError_tPvRmT3_T4_T5_T6_T7_T9_mT8_P12ihipStream_tbDpT10_ENKUlT_T0_E_clISt17integral_constantIbLb1EES1A_EEDaS15_S16_EUlS15_E_NS1_11comp_targetILNS1_3genE2ELNS1_11target_archE906ELNS1_3gpuE6ELNS1_3repE0EEENS1_30default_config_static_selectorELNS0_4arch9wavefront6targetE1EEEvT1_
                                        ; -- End function
	.set _ZN7rocprim17ROCPRIM_400000_NS6detail17trampoline_kernelINS0_14default_configENS1_25partition_config_selectorILNS1_17partition_subalgoE9EllbEEZZNS1_14partition_implILS5_9ELb0ES3_jPlS8_PNS0_10empty_typeENS0_5tupleIJS8_S9_EEENSB_IJS8_SA_EEENS0_18inequality_wrapperIZN2at6native12_GLOBAL__N_124unique_dim_cuda_templateIsEESt5tupleIJNSF_6TensorESK_SK_EERKSK_lbbbEUlllE0_EEPmJS9_EEE10hipError_tPvRmT3_T4_T5_T6_T7_T9_mT8_P12ihipStream_tbDpT10_ENKUlT_T0_E_clISt17integral_constantIbLb1EES1A_EEDaS15_S16_EUlS15_E_NS1_11comp_targetILNS1_3genE2ELNS1_11target_archE906ELNS1_3gpuE6ELNS1_3repE0EEENS1_30default_config_static_selectorELNS0_4arch9wavefront6targetE1EEEvT1_.num_vgpr, 0
	.set _ZN7rocprim17ROCPRIM_400000_NS6detail17trampoline_kernelINS0_14default_configENS1_25partition_config_selectorILNS1_17partition_subalgoE9EllbEEZZNS1_14partition_implILS5_9ELb0ES3_jPlS8_PNS0_10empty_typeENS0_5tupleIJS8_S9_EEENSB_IJS8_SA_EEENS0_18inequality_wrapperIZN2at6native12_GLOBAL__N_124unique_dim_cuda_templateIsEESt5tupleIJNSF_6TensorESK_SK_EERKSK_lbbbEUlllE0_EEPmJS9_EEE10hipError_tPvRmT3_T4_T5_T6_T7_T9_mT8_P12ihipStream_tbDpT10_ENKUlT_T0_E_clISt17integral_constantIbLb1EES1A_EEDaS15_S16_EUlS15_E_NS1_11comp_targetILNS1_3genE2ELNS1_11target_archE906ELNS1_3gpuE6ELNS1_3repE0EEENS1_30default_config_static_selectorELNS0_4arch9wavefront6targetE1EEEvT1_.num_agpr, 0
	.set _ZN7rocprim17ROCPRIM_400000_NS6detail17trampoline_kernelINS0_14default_configENS1_25partition_config_selectorILNS1_17partition_subalgoE9EllbEEZZNS1_14partition_implILS5_9ELb0ES3_jPlS8_PNS0_10empty_typeENS0_5tupleIJS8_S9_EEENSB_IJS8_SA_EEENS0_18inequality_wrapperIZN2at6native12_GLOBAL__N_124unique_dim_cuda_templateIsEESt5tupleIJNSF_6TensorESK_SK_EERKSK_lbbbEUlllE0_EEPmJS9_EEE10hipError_tPvRmT3_T4_T5_T6_T7_T9_mT8_P12ihipStream_tbDpT10_ENKUlT_T0_E_clISt17integral_constantIbLb1EES1A_EEDaS15_S16_EUlS15_E_NS1_11comp_targetILNS1_3genE2ELNS1_11target_archE906ELNS1_3gpuE6ELNS1_3repE0EEENS1_30default_config_static_selectorELNS0_4arch9wavefront6targetE1EEEvT1_.numbered_sgpr, 0
	.set _ZN7rocprim17ROCPRIM_400000_NS6detail17trampoline_kernelINS0_14default_configENS1_25partition_config_selectorILNS1_17partition_subalgoE9EllbEEZZNS1_14partition_implILS5_9ELb0ES3_jPlS8_PNS0_10empty_typeENS0_5tupleIJS8_S9_EEENSB_IJS8_SA_EEENS0_18inequality_wrapperIZN2at6native12_GLOBAL__N_124unique_dim_cuda_templateIsEESt5tupleIJNSF_6TensorESK_SK_EERKSK_lbbbEUlllE0_EEPmJS9_EEE10hipError_tPvRmT3_T4_T5_T6_T7_T9_mT8_P12ihipStream_tbDpT10_ENKUlT_T0_E_clISt17integral_constantIbLb1EES1A_EEDaS15_S16_EUlS15_E_NS1_11comp_targetILNS1_3genE2ELNS1_11target_archE906ELNS1_3gpuE6ELNS1_3repE0EEENS1_30default_config_static_selectorELNS0_4arch9wavefront6targetE1EEEvT1_.num_named_barrier, 0
	.set _ZN7rocprim17ROCPRIM_400000_NS6detail17trampoline_kernelINS0_14default_configENS1_25partition_config_selectorILNS1_17partition_subalgoE9EllbEEZZNS1_14partition_implILS5_9ELb0ES3_jPlS8_PNS0_10empty_typeENS0_5tupleIJS8_S9_EEENSB_IJS8_SA_EEENS0_18inequality_wrapperIZN2at6native12_GLOBAL__N_124unique_dim_cuda_templateIsEESt5tupleIJNSF_6TensorESK_SK_EERKSK_lbbbEUlllE0_EEPmJS9_EEE10hipError_tPvRmT3_T4_T5_T6_T7_T9_mT8_P12ihipStream_tbDpT10_ENKUlT_T0_E_clISt17integral_constantIbLb1EES1A_EEDaS15_S16_EUlS15_E_NS1_11comp_targetILNS1_3genE2ELNS1_11target_archE906ELNS1_3gpuE6ELNS1_3repE0EEENS1_30default_config_static_selectorELNS0_4arch9wavefront6targetE1EEEvT1_.private_seg_size, 0
	.set _ZN7rocprim17ROCPRIM_400000_NS6detail17trampoline_kernelINS0_14default_configENS1_25partition_config_selectorILNS1_17partition_subalgoE9EllbEEZZNS1_14partition_implILS5_9ELb0ES3_jPlS8_PNS0_10empty_typeENS0_5tupleIJS8_S9_EEENSB_IJS8_SA_EEENS0_18inequality_wrapperIZN2at6native12_GLOBAL__N_124unique_dim_cuda_templateIsEESt5tupleIJNSF_6TensorESK_SK_EERKSK_lbbbEUlllE0_EEPmJS9_EEE10hipError_tPvRmT3_T4_T5_T6_T7_T9_mT8_P12ihipStream_tbDpT10_ENKUlT_T0_E_clISt17integral_constantIbLb1EES1A_EEDaS15_S16_EUlS15_E_NS1_11comp_targetILNS1_3genE2ELNS1_11target_archE906ELNS1_3gpuE6ELNS1_3repE0EEENS1_30default_config_static_selectorELNS0_4arch9wavefront6targetE1EEEvT1_.uses_vcc, 0
	.set _ZN7rocprim17ROCPRIM_400000_NS6detail17trampoline_kernelINS0_14default_configENS1_25partition_config_selectorILNS1_17partition_subalgoE9EllbEEZZNS1_14partition_implILS5_9ELb0ES3_jPlS8_PNS0_10empty_typeENS0_5tupleIJS8_S9_EEENSB_IJS8_SA_EEENS0_18inequality_wrapperIZN2at6native12_GLOBAL__N_124unique_dim_cuda_templateIsEESt5tupleIJNSF_6TensorESK_SK_EERKSK_lbbbEUlllE0_EEPmJS9_EEE10hipError_tPvRmT3_T4_T5_T6_T7_T9_mT8_P12ihipStream_tbDpT10_ENKUlT_T0_E_clISt17integral_constantIbLb1EES1A_EEDaS15_S16_EUlS15_E_NS1_11comp_targetILNS1_3genE2ELNS1_11target_archE906ELNS1_3gpuE6ELNS1_3repE0EEENS1_30default_config_static_selectorELNS0_4arch9wavefront6targetE1EEEvT1_.uses_flat_scratch, 0
	.set _ZN7rocprim17ROCPRIM_400000_NS6detail17trampoline_kernelINS0_14default_configENS1_25partition_config_selectorILNS1_17partition_subalgoE9EllbEEZZNS1_14partition_implILS5_9ELb0ES3_jPlS8_PNS0_10empty_typeENS0_5tupleIJS8_S9_EEENSB_IJS8_SA_EEENS0_18inequality_wrapperIZN2at6native12_GLOBAL__N_124unique_dim_cuda_templateIsEESt5tupleIJNSF_6TensorESK_SK_EERKSK_lbbbEUlllE0_EEPmJS9_EEE10hipError_tPvRmT3_T4_T5_T6_T7_T9_mT8_P12ihipStream_tbDpT10_ENKUlT_T0_E_clISt17integral_constantIbLb1EES1A_EEDaS15_S16_EUlS15_E_NS1_11comp_targetILNS1_3genE2ELNS1_11target_archE906ELNS1_3gpuE6ELNS1_3repE0EEENS1_30default_config_static_selectorELNS0_4arch9wavefront6targetE1EEEvT1_.has_dyn_sized_stack, 0
	.set _ZN7rocprim17ROCPRIM_400000_NS6detail17trampoline_kernelINS0_14default_configENS1_25partition_config_selectorILNS1_17partition_subalgoE9EllbEEZZNS1_14partition_implILS5_9ELb0ES3_jPlS8_PNS0_10empty_typeENS0_5tupleIJS8_S9_EEENSB_IJS8_SA_EEENS0_18inequality_wrapperIZN2at6native12_GLOBAL__N_124unique_dim_cuda_templateIsEESt5tupleIJNSF_6TensorESK_SK_EERKSK_lbbbEUlllE0_EEPmJS9_EEE10hipError_tPvRmT3_T4_T5_T6_T7_T9_mT8_P12ihipStream_tbDpT10_ENKUlT_T0_E_clISt17integral_constantIbLb1EES1A_EEDaS15_S16_EUlS15_E_NS1_11comp_targetILNS1_3genE2ELNS1_11target_archE906ELNS1_3gpuE6ELNS1_3repE0EEENS1_30default_config_static_selectorELNS0_4arch9wavefront6targetE1EEEvT1_.has_recursion, 0
	.set _ZN7rocprim17ROCPRIM_400000_NS6detail17trampoline_kernelINS0_14default_configENS1_25partition_config_selectorILNS1_17partition_subalgoE9EllbEEZZNS1_14partition_implILS5_9ELb0ES3_jPlS8_PNS0_10empty_typeENS0_5tupleIJS8_S9_EEENSB_IJS8_SA_EEENS0_18inequality_wrapperIZN2at6native12_GLOBAL__N_124unique_dim_cuda_templateIsEESt5tupleIJNSF_6TensorESK_SK_EERKSK_lbbbEUlllE0_EEPmJS9_EEE10hipError_tPvRmT3_T4_T5_T6_T7_T9_mT8_P12ihipStream_tbDpT10_ENKUlT_T0_E_clISt17integral_constantIbLb1EES1A_EEDaS15_S16_EUlS15_E_NS1_11comp_targetILNS1_3genE2ELNS1_11target_archE906ELNS1_3gpuE6ELNS1_3repE0EEENS1_30default_config_static_selectorELNS0_4arch9wavefront6targetE1EEEvT1_.has_indirect_call, 0
	.section	.AMDGPU.csdata,"",@progbits
; Kernel info:
; codeLenInByte = 0
; TotalNumSgprs: 6
; NumVgprs: 0
; NumAgprs: 0
; TotalNumVgprs: 0
; ScratchSize: 0
; MemoryBound: 0
; FloatMode: 240
; IeeeMode: 1
; LDSByteSize: 0 bytes/workgroup (compile time only)
; SGPRBlocks: 0
; VGPRBlocks: 0
; NumSGPRsForWavesPerEU: 6
; NumVGPRsForWavesPerEU: 1
; AccumOffset: 4
; Occupancy: 8
; WaveLimiterHint : 0
; COMPUTE_PGM_RSRC2:SCRATCH_EN: 0
; COMPUTE_PGM_RSRC2:USER_SGPR: 2
; COMPUTE_PGM_RSRC2:TRAP_HANDLER: 0
; COMPUTE_PGM_RSRC2:TGID_X_EN: 1
; COMPUTE_PGM_RSRC2:TGID_Y_EN: 0
; COMPUTE_PGM_RSRC2:TGID_Z_EN: 0
; COMPUTE_PGM_RSRC2:TIDIG_COMP_CNT: 0
; COMPUTE_PGM_RSRC3_GFX90A:ACCUM_OFFSET: 0
; COMPUTE_PGM_RSRC3_GFX90A:TG_SPLIT: 0
	.section	.text._ZN7rocprim17ROCPRIM_400000_NS6detail17trampoline_kernelINS0_14default_configENS1_25partition_config_selectorILNS1_17partition_subalgoE9EllbEEZZNS1_14partition_implILS5_9ELb0ES3_jPlS8_PNS0_10empty_typeENS0_5tupleIJS8_S9_EEENSB_IJS8_SA_EEENS0_18inequality_wrapperIZN2at6native12_GLOBAL__N_124unique_dim_cuda_templateIsEESt5tupleIJNSF_6TensorESK_SK_EERKSK_lbbbEUlllE0_EEPmJS9_EEE10hipError_tPvRmT3_T4_T5_T6_T7_T9_mT8_P12ihipStream_tbDpT10_ENKUlT_T0_E_clISt17integral_constantIbLb1EES1A_EEDaS15_S16_EUlS15_E_NS1_11comp_targetILNS1_3genE10ELNS1_11target_archE1200ELNS1_3gpuE4ELNS1_3repE0EEENS1_30default_config_static_selectorELNS0_4arch9wavefront6targetE1EEEvT1_,"axG",@progbits,_ZN7rocprim17ROCPRIM_400000_NS6detail17trampoline_kernelINS0_14default_configENS1_25partition_config_selectorILNS1_17partition_subalgoE9EllbEEZZNS1_14partition_implILS5_9ELb0ES3_jPlS8_PNS0_10empty_typeENS0_5tupleIJS8_S9_EEENSB_IJS8_SA_EEENS0_18inequality_wrapperIZN2at6native12_GLOBAL__N_124unique_dim_cuda_templateIsEESt5tupleIJNSF_6TensorESK_SK_EERKSK_lbbbEUlllE0_EEPmJS9_EEE10hipError_tPvRmT3_T4_T5_T6_T7_T9_mT8_P12ihipStream_tbDpT10_ENKUlT_T0_E_clISt17integral_constantIbLb1EES1A_EEDaS15_S16_EUlS15_E_NS1_11comp_targetILNS1_3genE10ELNS1_11target_archE1200ELNS1_3gpuE4ELNS1_3repE0EEENS1_30default_config_static_selectorELNS0_4arch9wavefront6targetE1EEEvT1_,comdat
	.globl	_ZN7rocprim17ROCPRIM_400000_NS6detail17trampoline_kernelINS0_14default_configENS1_25partition_config_selectorILNS1_17partition_subalgoE9EllbEEZZNS1_14partition_implILS5_9ELb0ES3_jPlS8_PNS0_10empty_typeENS0_5tupleIJS8_S9_EEENSB_IJS8_SA_EEENS0_18inequality_wrapperIZN2at6native12_GLOBAL__N_124unique_dim_cuda_templateIsEESt5tupleIJNSF_6TensorESK_SK_EERKSK_lbbbEUlllE0_EEPmJS9_EEE10hipError_tPvRmT3_T4_T5_T6_T7_T9_mT8_P12ihipStream_tbDpT10_ENKUlT_T0_E_clISt17integral_constantIbLb1EES1A_EEDaS15_S16_EUlS15_E_NS1_11comp_targetILNS1_3genE10ELNS1_11target_archE1200ELNS1_3gpuE4ELNS1_3repE0EEENS1_30default_config_static_selectorELNS0_4arch9wavefront6targetE1EEEvT1_ ; -- Begin function _ZN7rocprim17ROCPRIM_400000_NS6detail17trampoline_kernelINS0_14default_configENS1_25partition_config_selectorILNS1_17partition_subalgoE9EllbEEZZNS1_14partition_implILS5_9ELb0ES3_jPlS8_PNS0_10empty_typeENS0_5tupleIJS8_S9_EEENSB_IJS8_SA_EEENS0_18inequality_wrapperIZN2at6native12_GLOBAL__N_124unique_dim_cuda_templateIsEESt5tupleIJNSF_6TensorESK_SK_EERKSK_lbbbEUlllE0_EEPmJS9_EEE10hipError_tPvRmT3_T4_T5_T6_T7_T9_mT8_P12ihipStream_tbDpT10_ENKUlT_T0_E_clISt17integral_constantIbLb1EES1A_EEDaS15_S16_EUlS15_E_NS1_11comp_targetILNS1_3genE10ELNS1_11target_archE1200ELNS1_3gpuE4ELNS1_3repE0EEENS1_30default_config_static_selectorELNS0_4arch9wavefront6targetE1EEEvT1_
	.p2align	8
	.type	_ZN7rocprim17ROCPRIM_400000_NS6detail17trampoline_kernelINS0_14default_configENS1_25partition_config_selectorILNS1_17partition_subalgoE9EllbEEZZNS1_14partition_implILS5_9ELb0ES3_jPlS8_PNS0_10empty_typeENS0_5tupleIJS8_S9_EEENSB_IJS8_SA_EEENS0_18inequality_wrapperIZN2at6native12_GLOBAL__N_124unique_dim_cuda_templateIsEESt5tupleIJNSF_6TensorESK_SK_EERKSK_lbbbEUlllE0_EEPmJS9_EEE10hipError_tPvRmT3_T4_T5_T6_T7_T9_mT8_P12ihipStream_tbDpT10_ENKUlT_T0_E_clISt17integral_constantIbLb1EES1A_EEDaS15_S16_EUlS15_E_NS1_11comp_targetILNS1_3genE10ELNS1_11target_archE1200ELNS1_3gpuE4ELNS1_3repE0EEENS1_30default_config_static_selectorELNS0_4arch9wavefront6targetE1EEEvT1_,@function
_ZN7rocprim17ROCPRIM_400000_NS6detail17trampoline_kernelINS0_14default_configENS1_25partition_config_selectorILNS1_17partition_subalgoE9EllbEEZZNS1_14partition_implILS5_9ELb0ES3_jPlS8_PNS0_10empty_typeENS0_5tupleIJS8_S9_EEENSB_IJS8_SA_EEENS0_18inequality_wrapperIZN2at6native12_GLOBAL__N_124unique_dim_cuda_templateIsEESt5tupleIJNSF_6TensorESK_SK_EERKSK_lbbbEUlllE0_EEPmJS9_EEE10hipError_tPvRmT3_T4_T5_T6_T7_T9_mT8_P12ihipStream_tbDpT10_ENKUlT_T0_E_clISt17integral_constantIbLb1EES1A_EEDaS15_S16_EUlS15_E_NS1_11comp_targetILNS1_3genE10ELNS1_11target_archE1200ELNS1_3gpuE4ELNS1_3repE0EEENS1_30default_config_static_selectorELNS0_4arch9wavefront6targetE1EEEvT1_: ; @_ZN7rocprim17ROCPRIM_400000_NS6detail17trampoline_kernelINS0_14default_configENS1_25partition_config_selectorILNS1_17partition_subalgoE9EllbEEZZNS1_14partition_implILS5_9ELb0ES3_jPlS8_PNS0_10empty_typeENS0_5tupleIJS8_S9_EEENSB_IJS8_SA_EEENS0_18inequality_wrapperIZN2at6native12_GLOBAL__N_124unique_dim_cuda_templateIsEESt5tupleIJNSF_6TensorESK_SK_EERKSK_lbbbEUlllE0_EEPmJS9_EEE10hipError_tPvRmT3_T4_T5_T6_T7_T9_mT8_P12ihipStream_tbDpT10_ENKUlT_T0_E_clISt17integral_constantIbLb1EES1A_EEDaS15_S16_EUlS15_E_NS1_11comp_targetILNS1_3genE10ELNS1_11target_archE1200ELNS1_3gpuE4ELNS1_3repE0EEENS1_30default_config_static_selectorELNS0_4arch9wavefront6targetE1EEEvT1_
; %bb.0:
	.section	.rodata,"a",@progbits
	.p2align	6, 0x0
	.amdhsa_kernel _ZN7rocprim17ROCPRIM_400000_NS6detail17trampoline_kernelINS0_14default_configENS1_25partition_config_selectorILNS1_17partition_subalgoE9EllbEEZZNS1_14partition_implILS5_9ELb0ES3_jPlS8_PNS0_10empty_typeENS0_5tupleIJS8_S9_EEENSB_IJS8_SA_EEENS0_18inequality_wrapperIZN2at6native12_GLOBAL__N_124unique_dim_cuda_templateIsEESt5tupleIJNSF_6TensorESK_SK_EERKSK_lbbbEUlllE0_EEPmJS9_EEE10hipError_tPvRmT3_T4_T5_T6_T7_T9_mT8_P12ihipStream_tbDpT10_ENKUlT_T0_E_clISt17integral_constantIbLb1EES1A_EEDaS15_S16_EUlS15_E_NS1_11comp_targetILNS1_3genE10ELNS1_11target_archE1200ELNS1_3gpuE4ELNS1_3repE0EEENS1_30default_config_static_selectorELNS0_4arch9wavefront6targetE1EEEvT1_
		.amdhsa_group_segment_fixed_size 0
		.amdhsa_private_segment_fixed_size 0
		.amdhsa_kernarg_size 136
		.amdhsa_user_sgpr_count 2
		.amdhsa_user_sgpr_dispatch_ptr 0
		.amdhsa_user_sgpr_queue_ptr 0
		.amdhsa_user_sgpr_kernarg_segment_ptr 1
		.amdhsa_user_sgpr_dispatch_id 0
		.amdhsa_user_sgpr_kernarg_preload_length 0
		.amdhsa_user_sgpr_kernarg_preload_offset 0
		.amdhsa_user_sgpr_private_segment_size 0
		.amdhsa_uses_dynamic_stack 0
		.amdhsa_enable_private_segment 0
		.amdhsa_system_sgpr_workgroup_id_x 1
		.amdhsa_system_sgpr_workgroup_id_y 0
		.amdhsa_system_sgpr_workgroup_id_z 0
		.amdhsa_system_sgpr_workgroup_info 0
		.amdhsa_system_vgpr_workitem_id 0
		.amdhsa_next_free_vgpr 1
		.amdhsa_next_free_sgpr 0
		.amdhsa_accum_offset 4
		.amdhsa_reserve_vcc 0
		.amdhsa_float_round_mode_32 0
		.amdhsa_float_round_mode_16_64 0
		.amdhsa_float_denorm_mode_32 3
		.amdhsa_float_denorm_mode_16_64 3
		.amdhsa_dx10_clamp 1
		.amdhsa_ieee_mode 1
		.amdhsa_fp16_overflow 0
		.amdhsa_tg_split 0
		.amdhsa_exception_fp_ieee_invalid_op 0
		.amdhsa_exception_fp_denorm_src 0
		.amdhsa_exception_fp_ieee_div_zero 0
		.amdhsa_exception_fp_ieee_overflow 0
		.amdhsa_exception_fp_ieee_underflow 0
		.amdhsa_exception_fp_ieee_inexact 0
		.amdhsa_exception_int_div_zero 0
	.end_amdhsa_kernel
	.section	.text._ZN7rocprim17ROCPRIM_400000_NS6detail17trampoline_kernelINS0_14default_configENS1_25partition_config_selectorILNS1_17partition_subalgoE9EllbEEZZNS1_14partition_implILS5_9ELb0ES3_jPlS8_PNS0_10empty_typeENS0_5tupleIJS8_S9_EEENSB_IJS8_SA_EEENS0_18inequality_wrapperIZN2at6native12_GLOBAL__N_124unique_dim_cuda_templateIsEESt5tupleIJNSF_6TensorESK_SK_EERKSK_lbbbEUlllE0_EEPmJS9_EEE10hipError_tPvRmT3_T4_T5_T6_T7_T9_mT8_P12ihipStream_tbDpT10_ENKUlT_T0_E_clISt17integral_constantIbLb1EES1A_EEDaS15_S16_EUlS15_E_NS1_11comp_targetILNS1_3genE10ELNS1_11target_archE1200ELNS1_3gpuE4ELNS1_3repE0EEENS1_30default_config_static_selectorELNS0_4arch9wavefront6targetE1EEEvT1_,"axG",@progbits,_ZN7rocprim17ROCPRIM_400000_NS6detail17trampoline_kernelINS0_14default_configENS1_25partition_config_selectorILNS1_17partition_subalgoE9EllbEEZZNS1_14partition_implILS5_9ELb0ES3_jPlS8_PNS0_10empty_typeENS0_5tupleIJS8_S9_EEENSB_IJS8_SA_EEENS0_18inequality_wrapperIZN2at6native12_GLOBAL__N_124unique_dim_cuda_templateIsEESt5tupleIJNSF_6TensorESK_SK_EERKSK_lbbbEUlllE0_EEPmJS9_EEE10hipError_tPvRmT3_T4_T5_T6_T7_T9_mT8_P12ihipStream_tbDpT10_ENKUlT_T0_E_clISt17integral_constantIbLb1EES1A_EEDaS15_S16_EUlS15_E_NS1_11comp_targetILNS1_3genE10ELNS1_11target_archE1200ELNS1_3gpuE4ELNS1_3repE0EEENS1_30default_config_static_selectorELNS0_4arch9wavefront6targetE1EEEvT1_,comdat
.Lfunc_end730:
	.size	_ZN7rocprim17ROCPRIM_400000_NS6detail17trampoline_kernelINS0_14default_configENS1_25partition_config_selectorILNS1_17partition_subalgoE9EllbEEZZNS1_14partition_implILS5_9ELb0ES3_jPlS8_PNS0_10empty_typeENS0_5tupleIJS8_S9_EEENSB_IJS8_SA_EEENS0_18inequality_wrapperIZN2at6native12_GLOBAL__N_124unique_dim_cuda_templateIsEESt5tupleIJNSF_6TensorESK_SK_EERKSK_lbbbEUlllE0_EEPmJS9_EEE10hipError_tPvRmT3_T4_T5_T6_T7_T9_mT8_P12ihipStream_tbDpT10_ENKUlT_T0_E_clISt17integral_constantIbLb1EES1A_EEDaS15_S16_EUlS15_E_NS1_11comp_targetILNS1_3genE10ELNS1_11target_archE1200ELNS1_3gpuE4ELNS1_3repE0EEENS1_30default_config_static_selectorELNS0_4arch9wavefront6targetE1EEEvT1_, .Lfunc_end730-_ZN7rocprim17ROCPRIM_400000_NS6detail17trampoline_kernelINS0_14default_configENS1_25partition_config_selectorILNS1_17partition_subalgoE9EllbEEZZNS1_14partition_implILS5_9ELb0ES3_jPlS8_PNS0_10empty_typeENS0_5tupleIJS8_S9_EEENSB_IJS8_SA_EEENS0_18inequality_wrapperIZN2at6native12_GLOBAL__N_124unique_dim_cuda_templateIsEESt5tupleIJNSF_6TensorESK_SK_EERKSK_lbbbEUlllE0_EEPmJS9_EEE10hipError_tPvRmT3_T4_T5_T6_T7_T9_mT8_P12ihipStream_tbDpT10_ENKUlT_T0_E_clISt17integral_constantIbLb1EES1A_EEDaS15_S16_EUlS15_E_NS1_11comp_targetILNS1_3genE10ELNS1_11target_archE1200ELNS1_3gpuE4ELNS1_3repE0EEENS1_30default_config_static_selectorELNS0_4arch9wavefront6targetE1EEEvT1_
                                        ; -- End function
	.set _ZN7rocprim17ROCPRIM_400000_NS6detail17trampoline_kernelINS0_14default_configENS1_25partition_config_selectorILNS1_17partition_subalgoE9EllbEEZZNS1_14partition_implILS5_9ELb0ES3_jPlS8_PNS0_10empty_typeENS0_5tupleIJS8_S9_EEENSB_IJS8_SA_EEENS0_18inequality_wrapperIZN2at6native12_GLOBAL__N_124unique_dim_cuda_templateIsEESt5tupleIJNSF_6TensorESK_SK_EERKSK_lbbbEUlllE0_EEPmJS9_EEE10hipError_tPvRmT3_T4_T5_T6_T7_T9_mT8_P12ihipStream_tbDpT10_ENKUlT_T0_E_clISt17integral_constantIbLb1EES1A_EEDaS15_S16_EUlS15_E_NS1_11comp_targetILNS1_3genE10ELNS1_11target_archE1200ELNS1_3gpuE4ELNS1_3repE0EEENS1_30default_config_static_selectorELNS0_4arch9wavefront6targetE1EEEvT1_.num_vgpr, 0
	.set _ZN7rocprim17ROCPRIM_400000_NS6detail17trampoline_kernelINS0_14default_configENS1_25partition_config_selectorILNS1_17partition_subalgoE9EllbEEZZNS1_14partition_implILS5_9ELb0ES3_jPlS8_PNS0_10empty_typeENS0_5tupleIJS8_S9_EEENSB_IJS8_SA_EEENS0_18inequality_wrapperIZN2at6native12_GLOBAL__N_124unique_dim_cuda_templateIsEESt5tupleIJNSF_6TensorESK_SK_EERKSK_lbbbEUlllE0_EEPmJS9_EEE10hipError_tPvRmT3_T4_T5_T6_T7_T9_mT8_P12ihipStream_tbDpT10_ENKUlT_T0_E_clISt17integral_constantIbLb1EES1A_EEDaS15_S16_EUlS15_E_NS1_11comp_targetILNS1_3genE10ELNS1_11target_archE1200ELNS1_3gpuE4ELNS1_3repE0EEENS1_30default_config_static_selectorELNS0_4arch9wavefront6targetE1EEEvT1_.num_agpr, 0
	.set _ZN7rocprim17ROCPRIM_400000_NS6detail17trampoline_kernelINS0_14default_configENS1_25partition_config_selectorILNS1_17partition_subalgoE9EllbEEZZNS1_14partition_implILS5_9ELb0ES3_jPlS8_PNS0_10empty_typeENS0_5tupleIJS8_S9_EEENSB_IJS8_SA_EEENS0_18inequality_wrapperIZN2at6native12_GLOBAL__N_124unique_dim_cuda_templateIsEESt5tupleIJNSF_6TensorESK_SK_EERKSK_lbbbEUlllE0_EEPmJS9_EEE10hipError_tPvRmT3_T4_T5_T6_T7_T9_mT8_P12ihipStream_tbDpT10_ENKUlT_T0_E_clISt17integral_constantIbLb1EES1A_EEDaS15_S16_EUlS15_E_NS1_11comp_targetILNS1_3genE10ELNS1_11target_archE1200ELNS1_3gpuE4ELNS1_3repE0EEENS1_30default_config_static_selectorELNS0_4arch9wavefront6targetE1EEEvT1_.numbered_sgpr, 0
	.set _ZN7rocprim17ROCPRIM_400000_NS6detail17trampoline_kernelINS0_14default_configENS1_25partition_config_selectorILNS1_17partition_subalgoE9EllbEEZZNS1_14partition_implILS5_9ELb0ES3_jPlS8_PNS0_10empty_typeENS0_5tupleIJS8_S9_EEENSB_IJS8_SA_EEENS0_18inequality_wrapperIZN2at6native12_GLOBAL__N_124unique_dim_cuda_templateIsEESt5tupleIJNSF_6TensorESK_SK_EERKSK_lbbbEUlllE0_EEPmJS9_EEE10hipError_tPvRmT3_T4_T5_T6_T7_T9_mT8_P12ihipStream_tbDpT10_ENKUlT_T0_E_clISt17integral_constantIbLb1EES1A_EEDaS15_S16_EUlS15_E_NS1_11comp_targetILNS1_3genE10ELNS1_11target_archE1200ELNS1_3gpuE4ELNS1_3repE0EEENS1_30default_config_static_selectorELNS0_4arch9wavefront6targetE1EEEvT1_.num_named_barrier, 0
	.set _ZN7rocprim17ROCPRIM_400000_NS6detail17trampoline_kernelINS0_14default_configENS1_25partition_config_selectorILNS1_17partition_subalgoE9EllbEEZZNS1_14partition_implILS5_9ELb0ES3_jPlS8_PNS0_10empty_typeENS0_5tupleIJS8_S9_EEENSB_IJS8_SA_EEENS0_18inequality_wrapperIZN2at6native12_GLOBAL__N_124unique_dim_cuda_templateIsEESt5tupleIJNSF_6TensorESK_SK_EERKSK_lbbbEUlllE0_EEPmJS9_EEE10hipError_tPvRmT3_T4_T5_T6_T7_T9_mT8_P12ihipStream_tbDpT10_ENKUlT_T0_E_clISt17integral_constantIbLb1EES1A_EEDaS15_S16_EUlS15_E_NS1_11comp_targetILNS1_3genE10ELNS1_11target_archE1200ELNS1_3gpuE4ELNS1_3repE0EEENS1_30default_config_static_selectorELNS0_4arch9wavefront6targetE1EEEvT1_.private_seg_size, 0
	.set _ZN7rocprim17ROCPRIM_400000_NS6detail17trampoline_kernelINS0_14default_configENS1_25partition_config_selectorILNS1_17partition_subalgoE9EllbEEZZNS1_14partition_implILS5_9ELb0ES3_jPlS8_PNS0_10empty_typeENS0_5tupleIJS8_S9_EEENSB_IJS8_SA_EEENS0_18inequality_wrapperIZN2at6native12_GLOBAL__N_124unique_dim_cuda_templateIsEESt5tupleIJNSF_6TensorESK_SK_EERKSK_lbbbEUlllE0_EEPmJS9_EEE10hipError_tPvRmT3_T4_T5_T6_T7_T9_mT8_P12ihipStream_tbDpT10_ENKUlT_T0_E_clISt17integral_constantIbLb1EES1A_EEDaS15_S16_EUlS15_E_NS1_11comp_targetILNS1_3genE10ELNS1_11target_archE1200ELNS1_3gpuE4ELNS1_3repE0EEENS1_30default_config_static_selectorELNS0_4arch9wavefront6targetE1EEEvT1_.uses_vcc, 0
	.set _ZN7rocprim17ROCPRIM_400000_NS6detail17trampoline_kernelINS0_14default_configENS1_25partition_config_selectorILNS1_17partition_subalgoE9EllbEEZZNS1_14partition_implILS5_9ELb0ES3_jPlS8_PNS0_10empty_typeENS0_5tupleIJS8_S9_EEENSB_IJS8_SA_EEENS0_18inequality_wrapperIZN2at6native12_GLOBAL__N_124unique_dim_cuda_templateIsEESt5tupleIJNSF_6TensorESK_SK_EERKSK_lbbbEUlllE0_EEPmJS9_EEE10hipError_tPvRmT3_T4_T5_T6_T7_T9_mT8_P12ihipStream_tbDpT10_ENKUlT_T0_E_clISt17integral_constantIbLb1EES1A_EEDaS15_S16_EUlS15_E_NS1_11comp_targetILNS1_3genE10ELNS1_11target_archE1200ELNS1_3gpuE4ELNS1_3repE0EEENS1_30default_config_static_selectorELNS0_4arch9wavefront6targetE1EEEvT1_.uses_flat_scratch, 0
	.set _ZN7rocprim17ROCPRIM_400000_NS6detail17trampoline_kernelINS0_14default_configENS1_25partition_config_selectorILNS1_17partition_subalgoE9EllbEEZZNS1_14partition_implILS5_9ELb0ES3_jPlS8_PNS0_10empty_typeENS0_5tupleIJS8_S9_EEENSB_IJS8_SA_EEENS0_18inequality_wrapperIZN2at6native12_GLOBAL__N_124unique_dim_cuda_templateIsEESt5tupleIJNSF_6TensorESK_SK_EERKSK_lbbbEUlllE0_EEPmJS9_EEE10hipError_tPvRmT3_T4_T5_T6_T7_T9_mT8_P12ihipStream_tbDpT10_ENKUlT_T0_E_clISt17integral_constantIbLb1EES1A_EEDaS15_S16_EUlS15_E_NS1_11comp_targetILNS1_3genE10ELNS1_11target_archE1200ELNS1_3gpuE4ELNS1_3repE0EEENS1_30default_config_static_selectorELNS0_4arch9wavefront6targetE1EEEvT1_.has_dyn_sized_stack, 0
	.set _ZN7rocprim17ROCPRIM_400000_NS6detail17trampoline_kernelINS0_14default_configENS1_25partition_config_selectorILNS1_17partition_subalgoE9EllbEEZZNS1_14partition_implILS5_9ELb0ES3_jPlS8_PNS0_10empty_typeENS0_5tupleIJS8_S9_EEENSB_IJS8_SA_EEENS0_18inequality_wrapperIZN2at6native12_GLOBAL__N_124unique_dim_cuda_templateIsEESt5tupleIJNSF_6TensorESK_SK_EERKSK_lbbbEUlllE0_EEPmJS9_EEE10hipError_tPvRmT3_T4_T5_T6_T7_T9_mT8_P12ihipStream_tbDpT10_ENKUlT_T0_E_clISt17integral_constantIbLb1EES1A_EEDaS15_S16_EUlS15_E_NS1_11comp_targetILNS1_3genE10ELNS1_11target_archE1200ELNS1_3gpuE4ELNS1_3repE0EEENS1_30default_config_static_selectorELNS0_4arch9wavefront6targetE1EEEvT1_.has_recursion, 0
	.set _ZN7rocprim17ROCPRIM_400000_NS6detail17trampoline_kernelINS0_14default_configENS1_25partition_config_selectorILNS1_17partition_subalgoE9EllbEEZZNS1_14partition_implILS5_9ELb0ES3_jPlS8_PNS0_10empty_typeENS0_5tupleIJS8_S9_EEENSB_IJS8_SA_EEENS0_18inequality_wrapperIZN2at6native12_GLOBAL__N_124unique_dim_cuda_templateIsEESt5tupleIJNSF_6TensorESK_SK_EERKSK_lbbbEUlllE0_EEPmJS9_EEE10hipError_tPvRmT3_T4_T5_T6_T7_T9_mT8_P12ihipStream_tbDpT10_ENKUlT_T0_E_clISt17integral_constantIbLb1EES1A_EEDaS15_S16_EUlS15_E_NS1_11comp_targetILNS1_3genE10ELNS1_11target_archE1200ELNS1_3gpuE4ELNS1_3repE0EEENS1_30default_config_static_selectorELNS0_4arch9wavefront6targetE1EEEvT1_.has_indirect_call, 0
	.section	.AMDGPU.csdata,"",@progbits
; Kernel info:
; codeLenInByte = 0
; TotalNumSgprs: 6
; NumVgprs: 0
; NumAgprs: 0
; TotalNumVgprs: 0
; ScratchSize: 0
; MemoryBound: 0
; FloatMode: 240
; IeeeMode: 1
; LDSByteSize: 0 bytes/workgroup (compile time only)
; SGPRBlocks: 0
; VGPRBlocks: 0
; NumSGPRsForWavesPerEU: 6
; NumVGPRsForWavesPerEU: 1
; AccumOffset: 4
; Occupancy: 8
; WaveLimiterHint : 0
; COMPUTE_PGM_RSRC2:SCRATCH_EN: 0
; COMPUTE_PGM_RSRC2:USER_SGPR: 2
; COMPUTE_PGM_RSRC2:TRAP_HANDLER: 0
; COMPUTE_PGM_RSRC2:TGID_X_EN: 1
; COMPUTE_PGM_RSRC2:TGID_Y_EN: 0
; COMPUTE_PGM_RSRC2:TGID_Z_EN: 0
; COMPUTE_PGM_RSRC2:TIDIG_COMP_CNT: 0
; COMPUTE_PGM_RSRC3_GFX90A:ACCUM_OFFSET: 0
; COMPUTE_PGM_RSRC3_GFX90A:TG_SPLIT: 0
	.section	.text._ZN7rocprim17ROCPRIM_400000_NS6detail17trampoline_kernelINS0_14default_configENS1_25partition_config_selectorILNS1_17partition_subalgoE9EllbEEZZNS1_14partition_implILS5_9ELb0ES3_jPlS8_PNS0_10empty_typeENS0_5tupleIJS8_S9_EEENSB_IJS8_SA_EEENS0_18inequality_wrapperIZN2at6native12_GLOBAL__N_124unique_dim_cuda_templateIsEESt5tupleIJNSF_6TensorESK_SK_EERKSK_lbbbEUlllE0_EEPmJS9_EEE10hipError_tPvRmT3_T4_T5_T6_T7_T9_mT8_P12ihipStream_tbDpT10_ENKUlT_T0_E_clISt17integral_constantIbLb1EES1A_EEDaS15_S16_EUlS15_E_NS1_11comp_targetILNS1_3genE9ELNS1_11target_archE1100ELNS1_3gpuE3ELNS1_3repE0EEENS1_30default_config_static_selectorELNS0_4arch9wavefront6targetE1EEEvT1_,"axG",@progbits,_ZN7rocprim17ROCPRIM_400000_NS6detail17trampoline_kernelINS0_14default_configENS1_25partition_config_selectorILNS1_17partition_subalgoE9EllbEEZZNS1_14partition_implILS5_9ELb0ES3_jPlS8_PNS0_10empty_typeENS0_5tupleIJS8_S9_EEENSB_IJS8_SA_EEENS0_18inequality_wrapperIZN2at6native12_GLOBAL__N_124unique_dim_cuda_templateIsEESt5tupleIJNSF_6TensorESK_SK_EERKSK_lbbbEUlllE0_EEPmJS9_EEE10hipError_tPvRmT3_T4_T5_T6_T7_T9_mT8_P12ihipStream_tbDpT10_ENKUlT_T0_E_clISt17integral_constantIbLb1EES1A_EEDaS15_S16_EUlS15_E_NS1_11comp_targetILNS1_3genE9ELNS1_11target_archE1100ELNS1_3gpuE3ELNS1_3repE0EEENS1_30default_config_static_selectorELNS0_4arch9wavefront6targetE1EEEvT1_,comdat
	.globl	_ZN7rocprim17ROCPRIM_400000_NS6detail17trampoline_kernelINS0_14default_configENS1_25partition_config_selectorILNS1_17partition_subalgoE9EllbEEZZNS1_14partition_implILS5_9ELb0ES3_jPlS8_PNS0_10empty_typeENS0_5tupleIJS8_S9_EEENSB_IJS8_SA_EEENS0_18inequality_wrapperIZN2at6native12_GLOBAL__N_124unique_dim_cuda_templateIsEESt5tupleIJNSF_6TensorESK_SK_EERKSK_lbbbEUlllE0_EEPmJS9_EEE10hipError_tPvRmT3_T4_T5_T6_T7_T9_mT8_P12ihipStream_tbDpT10_ENKUlT_T0_E_clISt17integral_constantIbLb1EES1A_EEDaS15_S16_EUlS15_E_NS1_11comp_targetILNS1_3genE9ELNS1_11target_archE1100ELNS1_3gpuE3ELNS1_3repE0EEENS1_30default_config_static_selectorELNS0_4arch9wavefront6targetE1EEEvT1_ ; -- Begin function _ZN7rocprim17ROCPRIM_400000_NS6detail17trampoline_kernelINS0_14default_configENS1_25partition_config_selectorILNS1_17partition_subalgoE9EllbEEZZNS1_14partition_implILS5_9ELb0ES3_jPlS8_PNS0_10empty_typeENS0_5tupleIJS8_S9_EEENSB_IJS8_SA_EEENS0_18inequality_wrapperIZN2at6native12_GLOBAL__N_124unique_dim_cuda_templateIsEESt5tupleIJNSF_6TensorESK_SK_EERKSK_lbbbEUlllE0_EEPmJS9_EEE10hipError_tPvRmT3_T4_T5_T6_T7_T9_mT8_P12ihipStream_tbDpT10_ENKUlT_T0_E_clISt17integral_constantIbLb1EES1A_EEDaS15_S16_EUlS15_E_NS1_11comp_targetILNS1_3genE9ELNS1_11target_archE1100ELNS1_3gpuE3ELNS1_3repE0EEENS1_30default_config_static_selectorELNS0_4arch9wavefront6targetE1EEEvT1_
	.p2align	8
	.type	_ZN7rocprim17ROCPRIM_400000_NS6detail17trampoline_kernelINS0_14default_configENS1_25partition_config_selectorILNS1_17partition_subalgoE9EllbEEZZNS1_14partition_implILS5_9ELb0ES3_jPlS8_PNS0_10empty_typeENS0_5tupleIJS8_S9_EEENSB_IJS8_SA_EEENS0_18inequality_wrapperIZN2at6native12_GLOBAL__N_124unique_dim_cuda_templateIsEESt5tupleIJNSF_6TensorESK_SK_EERKSK_lbbbEUlllE0_EEPmJS9_EEE10hipError_tPvRmT3_T4_T5_T6_T7_T9_mT8_P12ihipStream_tbDpT10_ENKUlT_T0_E_clISt17integral_constantIbLb1EES1A_EEDaS15_S16_EUlS15_E_NS1_11comp_targetILNS1_3genE9ELNS1_11target_archE1100ELNS1_3gpuE3ELNS1_3repE0EEENS1_30default_config_static_selectorELNS0_4arch9wavefront6targetE1EEEvT1_,@function
_ZN7rocprim17ROCPRIM_400000_NS6detail17trampoline_kernelINS0_14default_configENS1_25partition_config_selectorILNS1_17partition_subalgoE9EllbEEZZNS1_14partition_implILS5_9ELb0ES3_jPlS8_PNS0_10empty_typeENS0_5tupleIJS8_S9_EEENSB_IJS8_SA_EEENS0_18inequality_wrapperIZN2at6native12_GLOBAL__N_124unique_dim_cuda_templateIsEESt5tupleIJNSF_6TensorESK_SK_EERKSK_lbbbEUlllE0_EEPmJS9_EEE10hipError_tPvRmT3_T4_T5_T6_T7_T9_mT8_P12ihipStream_tbDpT10_ENKUlT_T0_E_clISt17integral_constantIbLb1EES1A_EEDaS15_S16_EUlS15_E_NS1_11comp_targetILNS1_3genE9ELNS1_11target_archE1100ELNS1_3gpuE3ELNS1_3repE0EEENS1_30default_config_static_selectorELNS0_4arch9wavefront6targetE1EEEvT1_: ; @_ZN7rocprim17ROCPRIM_400000_NS6detail17trampoline_kernelINS0_14default_configENS1_25partition_config_selectorILNS1_17partition_subalgoE9EllbEEZZNS1_14partition_implILS5_9ELb0ES3_jPlS8_PNS0_10empty_typeENS0_5tupleIJS8_S9_EEENSB_IJS8_SA_EEENS0_18inequality_wrapperIZN2at6native12_GLOBAL__N_124unique_dim_cuda_templateIsEESt5tupleIJNSF_6TensorESK_SK_EERKSK_lbbbEUlllE0_EEPmJS9_EEE10hipError_tPvRmT3_T4_T5_T6_T7_T9_mT8_P12ihipStream_tbDpT10_ENKUlT_T0_E_clISt17integral_constantIbLb1EES1A_EEDaS15_S16_EUlS15_E_NS1_11comp_targetILNS1_3genE9ELNS1_11target_archE1100ELNS1_3gpuE3ELNS1_3repE0EEENS1_30default_config_static_selectorELNS0_4arch9wavefront6targetE1EEEvT1_
; %bb.0:
	.section	.rodata,"a",@progbits
	.p2align	6, 0x0
	.amdhsa_kernel _ZN7rocprim17ROCPRIM_400000_NS6detail17trampoline_kernelINS0_14default_configENS1_25partition_config_selectorILNS1_17partition_subalgoE9EllbEEZZNS1_14partition_implILS5_9ELb0ES3_jPlS8_PNS0_10empty_typeENS0_5tupleIJS8_S9_EEENSB_IJS8_SA_EEENS0_18inequality_wrapperIZN2at6native12_GLOBAL__N_124unique_dim_cuda_templateIsEESt5tupleIJNSF_6TensorESK_SK_EERKSK_lbbbEUlllE0_EEPmJS9_EEE10hipError_tPvRmT3_T4_T5_T6_T7_T9_mT8_P12ihipStream_tbDpT10_ENKUlT_T0_E_clISt17integral_constantIbLb1EES1A_EEDaS15_S16_EUlS15_E_NS1_11comp_targetILNS1_3genE9ELNS1_11target_archE1100ELNS1_3gpuE3ELNS1_3repE0EEENS1_30default_config_static_selectorELNS0_4arch9wavefront6targetE1EEEvT1_
		.amdhsa_group_segment_fixed_size 0
		.amdhsa_private_segment_fixed_size 0
		.amdhsa_kernarg_size 136
		.amdhsa_user_sgpr_count 2
		.amdhsa_user_sgpr_dispatch_ptr 0
		.amdhsa_user_sgpr_queue_ptr 0
		.amdhsa_user_sgpr_kernarg_segment_ptr 1
		.amdhsa_user_sgpr_dispatch_id 0
		.amdhsa_user_sgpr_kernarg_preload_length 0
		.amdhsa_user_sgpr_kernarg_preload_offset 0
		.amdhsa_user_sgpr_private_segment_size 0
		.amdhsa_uses_dynamic_stack 0
		.amdhsa_enable_private_segment 0
		.amdhsa_system_sgpr_workgroup_id_x 1
		.amdhsa_system_sgpr_workgroup_id_y 0
		.amdhsa_system_sgpr_workgroup_id_z 0
		.amdhsa_system_sgpr_workgroup_info 0
		.amdhsa_system_vgpr_workitem_id 0
		.amdhsa_next_free_vgpr 1
		.amdhsa_next_free_sgpr 0
		.amdhsa_accum_offset 4
		.amdhsa_reserve_vcc 0
		.amdhsa_float_round_mode_32 0
		.amdhsa_float_round_mode_16_64 0
		.amdhsa_float_denorm_mode_32 3
		.amdhsa_float_denorm_mode_16_64 3
		.amdhsa_dx10_clamp 1
		.amdhsa_ieee_mode 1
		.amdhsa_fp16_overflow 0
		.amdhsa_tg_split 0
		.amdhsa_exception_fp_ieee_invalid_op 0
		.amdhsa_exception_fp_denorm_src 0
		.amdhsa_exception_fp_ieee_div_zero 0
		.amdhsa_exception_fp_ieee_overflow 0
		.amdhsa_exception_fp_ieee_underflow 0
		.amdhsa_exception_fp_ieee_inexact 0
		.amdhsa_exception_int_div_zero 0
	.end_amdhsa_kernel
	.section	.text._ZN7rocprim17ROCPRIM_400000_NS6detail17trampoline_kernelINS0_14default_configENS1_25partition_config_selectorILNS1_17partition_subalgoE9EllbEEZZNS1_14partition_implILS5_9ELb0ES3_jPlS8_PNS0_10empty_typeENS0_5tupleIJS8_S9_EEENSB_IJS8_SA_EEENS0_18inequality_wrapperIZN2at6native12_GLOBAL__N_124unique_dim_cuda_templateIsEESt5tupleIJNSF_6TensorESK_SK_EERKSK_lbbbEUlllE0_EEPmJS9_EEE10hipError_tPvRmT3_T4_T5_T6_T7_T9_mT8_P12ihipStream_tbDpT10_ENKUlT_T0_E_clISt17integral_constantIbLb1EES1A_EEDaS15_S16_EUlS15_E_NS1_11comp_targetILNS1_3genE9ELNS1_11target_archE1100ELNS1_3gpuE3ELNS1_3repE0EEENS1_30default_config_static_selectorELNS0_4arch9wavefront6targetE1EEEvT1_,"axG",@progbits,_ZN7rocprim17ROCPRIM_400000_NS6detail17trampoline_kernelINS0_14default_configENS1_25partition_config_selectorILNS1_17partition_subalgoE9EllbEEZZNS1_14partition_implILS5_9ELb0ES3_jPlS8_PNS0_10empty_typeENS0_5tupleIJS8_S9_EEENSB_IJS8_SA_EEENS0_18inequality_wrapperIZN2at6native12_GLOBAL__N_124unique_dim_cuda_templateIsEESt5tupleIJNSF_6TensorESK_SK_EERKSK_lbbbEUlllE0_EEPmJS9_EEE10hipError_tPvRmT3_T4_T5_T6_T7_T9_mT8_P12ihipStream_tbDpT10_ENKUlT_T0_E_clISt17integral_constantIbLb1EES1A_EEDaS15_S16_EUlS15_E_NS1_11comp_targetILNS1_3genE9ELNS1_11target_archE1100ELNS1_3gpuE3ELNS1_3repE0EEENS1_30default_config_static_selectorELNS0_4arch9wavefront6targetE1EEEvT1_,comdat
.Lfunc_end731:
	.size	_ZN7rocprim17ROCPRIM_400000_NS6detail17trampoline_kernelINS0_14default_configENS1_25partition_config_selectorILNS1_17partition_subalgoE9EllbEEZZNS1_14partition_implILS5_9ELb0ES3_jPlS8_PNS0_10empty_typeENS0_5tupleIJS8_S9_EEENSB_IJS8_SA_EEENS0_18inequality_wrapperIZN2at6native12_GLOBAL__N_124unique_dim_cuda_templateIsEESt5tupleIJNSF_6TensorESK_SK_EERKSK_lbbbEUlllE0_EEPmJS9_EEE10hipError_tPvRmT3_T4_T5_T6_T7_T9_mT8_P12ihipStream_tbDpT10_ENKUlT_T0_E_clISt17integral_constantIbLb1EES1A_EEDaS15_S16_EUlS15_E_NS1_11comp_targetILNS1_3genE9ELNS1_11target_archE1100ELNS1_3gpuE3ELNS1_3repE0EEENS1_30default_config_static_selectorELNS0_4arch9wavefront6targetE1EEEvT1_, .Lfunc_end731-_ZN7rocprim17ROCPRIM_400000_NS6detail17trampoline_kernelINS0_14default_configENS1_25partition_config_selectorILNS1_17partition_subalgoE9EllbEEZZNS1_14partition_implILS5_9ELb0ES3_jPlS8_PNS0_10empty_typeENS0_5tupleIJS8_S9_EEENSB_IJS8_SA_EEENS0_18inequality_wrapperIZN2at6native12_GLOBAL__N_124unique_dim_cuda_templateIsEESt5tupleIJNSF_6TensorESK_SK_EERKSK_lbbbEUlllE0_EEPmJS9_EEE10hipError_tPvRmT3_T4_T5_T6_T7_T9_mT8_P12ihipStream_tbDpT10_ENKUlT_T0_E_clISt17integral_constantIbLb1EES1A_EEDaS15_S16_EUlS15_E_NS1_11comp_targetILNS1_3genE9ELNS1_11target_archE1100ELNS1_3gpuE3ELNS1_3repE0EEENS1_30default_config_static_selectorELNS0_4arch9wavefront6targetE1EEEvT1_
                                        ; -- End function
	.set _ZN7rocprim17ROCPRIM_400000_NS6detail17trampoline_kernelINS0_14default_configENS1_25partition_config_selectorILNS1_17partition_subalgoE9EllbEEZZNS1_14partition_implILS5_9ELb0ES3_jPlS8_PNS0_10empty_typeENS0_5tupleIJS8_S9_EEENSB_IJS8_SA_EEENS0_18inequality_wrapperIZN2at6native12_GLOBAL__N_124unique_dim_cuda_templateIsEESt5tupleIJNSF_6TensorESK_SK_EERKSK_lbbbEUlllE0_EEPmJS9_EEE10hipError_tPvRmT3_T4_T5_T6_T7_T9_mT8_P12ihipStream_tbDpT10_ENKUlT_T0_E_clISt17integral_constantIbLb1EES1A_EEDaS15_S16_EUlS15_E_NS1_11comp_targetILNS1_3genE9ELNS1_11target_archE1100ELNS1_3gpuE3ELNS1_3repE0EEENS1_30default_config_static_selectorELNS0_4arch9wavefront6targetE1EEEvT1_.num_vgpr, 0
	.set _ZN7rocprim17ROCPRIM_400000_NS6detail17trampoline_kernelINS0_14default_configENS1_25partition_config_selectorILNS1_17partition_subalgoE9EllbEEZZNS1_14partition_implILS5_9ELb0ES3_jPlS8_PNS0_10empty_typeENS0_5tupleIJS8_S9_EEENSB_IJS8_SA_EEENS0_18inequality_wrapperIZN2at6native12_GLOBAL__N_124unique_dim_cuda_templateIsEESt5tupleIJNSF_6TensorESK_SK_EERKSK_lbbbEUlllE0_EEPmJS9_EEE10hipError_tPvRmT3_T4_T5_T6_T7_T9_mT8_P12ihipStream_tbDpT10_ENKUlT_T0_E_clISt17integral_constantIbLb1EES1A_EEDaS15_S16_EUlS15_E_NS1_11comp_targetILNS1_3genE9ELNS1_11target_archE1100ELNS1_3gpuE3ELNS1_3repE0EEENS1_30default_config_static_selectorELNS0_4arch9wavefront6targetE1EEEvT1_.num_agpr, 0
	.set _ZN7rocprim17ROCPRIM_400000_NS6detail17trampoline_kernelINS0_14default_configENS1_25partition_config_selectorILNS1_17partition_subalgoE9EllbEEZZNS1_14partition_implILS5_9ELb0ES3_jPlS8_PNS0_10empty_typeENS0_5tupleIJS8_S9_EEENSB_IJS8_SA_EEENS0_18inequality_wrapperIZN2at6native12_GLOBAL__N_124unique_dim_cuda_templateIsEESt5tupleIJNSF_6TensorESK_SK_EERKSK_lbbbEUlllE0_EEPmJS9_EEE10hipError_tPvRmT3_T4_T5_T6_T7_T9_mT8_P12ihipStream_tbDpT10_ENKUlT_T0_E_clISt17integral_constantIbLb1EES1A_EEDaS15_S16_EUlS15_E_NS1_11comp_targetILNS1_3genE9ELNS1_11target_archE1100ELNS1_3gpuE3ELNS1_3repE0EEENS1_30default_config_static_selectorELNS0_4arch9wavefront6targetE1EEEvT1_.numbered_sgpr, 0
	.set _ZN7rocprim17ROCPRIM_400000_NS6detail17trampoline_kernelINS0_14default_configENS1_25partition_config_selectorILNS1_17partition_subalgoE9EllbEEZZNS1_14partition_implILS5_9ELb0ES3_jPlS8_PNS0_10empty_typeENS0_5tupleIJS8_S9_EEENSB_IJS8_SA_EEENS0_18inequality_wrapperIZN2at6native12_GLOBAL__N_124unique_dim_cuda_templateIsEESt5tupleIJNSF_6TensorESK_SK_EERKSK_lbbbEUlllE0_EEPmJS9_EEE10hipError_tPvRmT3_T4_T5_T6_T7_T9_mT8_P12ihipStream_tbDpT10_ENKUlT_T0_E_clISt17integral_constantIbLb1EES1A_EEDaS15_S16_EUlS15_E_NS1_11comp_targetILNS1_3genE9ELNS1_11target_archE1100ELNS1_3gpuE3ELNS1_3repE0EEENS1_30default_config_static_selectorELNS0_4arch9wavefront6targetE1EEEvT1_.num_named_barrier, 0
	.set _ZN7rocprim17ROCPRIM_400000_NS6detail17trampoline_kernelINS0_14default_configENS1_25partition_config_selectorILNS1_17partition_subalgoE9EllbEEZZNS1_14partition_implILS5_9ELb0ES3_jPlS8_PNS0_10empty_typeENS0_5tupleIJS8_S9_EEENSB_IJS8_SA_EEENS0_18inequality_wrapperIZN2at6native12_GLOBAL__N_124unique_dim_cuda_templateIsEESt5tupleIJNSF_6TensorESK_SK_EERKSK_lbbbEUlllE0_EEPmJS9_EEE10hipError_tPvRmT3_T4_T5_T6_T7_T9_mT8_P12ihipStream_tbDpT10_ENKUlT_T0_E_clISt17integral_constantIbLb1EES1A_EEDaS15_S16_EUlS15_E_NS1_11comp_targetILNS1_3genE9ELNS1_11target_archE1100ELNS1_3gpuE3ELNS1_3repE0EEENS1_30default_config_static_selectorELNS0_4arch9wavefront6targetE1EEEvT1_.private_seg_size, 0
	.set _ZN7rocprim17ROCPRIM_400000_NS6detail17trampoline_kernelINS0_14default_configENS1_25partition_config_selectorILNS1_17partition_subalgoE9EllbEEZZNS1_14partition_implILS5_9ELb0ES3_jPlS8_PNS0_10empty_typeENS0_5tupleIJS8_S9_EEENSB_IJS8_SA_EEENS0_18inequality_wrapperIZN2at6native12_GLOBAL__N_124unique_dim_cuda_templateIsEESt5tupleIJNSF_6TensorESK_SK_EERKSK_lbbbEUlllE0_EEPmJS9_EEE10hipError_tPvRmT3_T4_T5_T6_T7_T9_mT8_P12ihipStream_tbDpT10_ENKUlT_T0_E_clISt17integral_constantIbLb1EES1A_EEDaS15_S16_EUlS15_E_NS1_11comp_targetILNS1_3genE9ELNS1_11target_archE1100ELNS1_3gpuE3ELNS1_3repE0EEENS1_30default_config_static_selectorELNS0_4arch9wavefront6targetE1EEEvT1_.uses_vcc, 0
	.set _ZN7rocprim17ROCPRIM_400000_NS6detail17trampoline_kernelINS0_14default_configENS1_25partition_config_selectorILNS1_17partition_subalgoE9EllbEEZZNS1_14partition_implILS5_9ELb0ES3_jPlS8_PNS0_10empty_typeENS0_5tupleIJS8_S9_EEENSB_IJS8_SA_EEENS0_18inequality_wrapperIZN2at6native12_GLOBAL__N_124unique_dim_cuda_templateIsEESt5tupleIJNSF_6TensorESK_SK_EERKSK_lbbbEUlllE0_EEPmJS9_EEE10hipError_tPvRmT3_T4_T5_T6_T7_T9_mT8_P12ihipStream_tbDpT10_ENKUlT_T0_E_clISt17integral_constantIbLb1EES1A_EEDaS15_S16_EUlS15_E_NS1_11comp_targetILNS1_3genE9ELNS1_11target_archE1100ELNS1_3gpuE3ELNS1_3repE0EEENS1_30default_config_static_selectorELNS0_4arch9wavefront6targetE1EEEvT1_.uses_flat_scratch, 0
	.set _ZN7rocprim17ROCPRIM_400000_NS6detail17trampoline_kernelINS0_14default_configENS1_25partition_config_selectorILNS1_17partition_subalgoE9EllbEEZZNS1_14partition_implILS5_9ELb0ES3_jPlS8_PNS0_10empty_typeENS0_5tupleIJS8_S9_EEENSB_IJS8_SA_EEENS0_18inequality_wrapperIZN2at6native12_GLOBAL__N_124unique_dim_cuda_templateIsEESt5tupleIJNSF_6TensorESK_SK_EERKSK_lbbbEUlllE0_EEPmJS9_EEE10hipError_tPvRmT3_T4_T5_T6_T7_T9_mT8_P12ihipStream_tbDpT10_ENKUlT_T0_E_clISt17integral_constantIbLb1EES1A_EEDaS15_S16_EUlS15_E_NS1_11comp_targetILNS1_3genE9ELNS1_11target_archE1100ELNS1_3gpuE3ELNS1_3repE0EEENS1_30default_config_static_selectorELNS0_4arch9wavefront6targetE1EEEvT1_.has_dyn_sized_stack, 0
	.set _ZN7rocprim17ROCPRIM_400000_NS6detail17trampoline_kernelINS0_14default_configENS1_25partition_config_selectorILNS1_17partition_subalgoE9EllbEEZZNS1_14partition_implILS5_9ELb0ES3_jPlS8_PNS0_10empty_typeENS0_5tupleIJS8_S9_EEENSB_IJS8_SA_EEENS0_18inequality_wrapperIZN2at6native12_GLOBAL__N_124unique_dim_cuda_templateIsEESt5tupleIJNSF_6TensorESK_SK_EERKSK_lbbbEUlllE0_EEPmJS9_EEE10hipError_tPvRmT3_T4_T5_T6_T7_T9_mT8_P12ihipStream_tbDpT10_ENKUlT_T0_E_clISt17integral_constantIbLb1EES1A_EEDaS15_S16_EUlS15_E_NS1_11comp_targetILNS1_3genE9ELNS1_11target_archE1100ELNS1_3gpuE3ELNS1_3repE0EEENS1_30default_config_static_selectorELNS0_4arch9wavefront6targetE1EEEvT1_.has_recursion, 0
	.set _ZN7rocprim17ROCPRIM_400000_NS6detail17trampoline_kernelINS0_14default_configENS1_25partition_config_selectorILNS1_17partition_subalgoE9EllbEEZZNS1_14partition_implILS5_9ELb0ES3_jPlS8_PNS0_10empty_typeENS0_5tupleIJS8_S9_EEENSB_IJS8_SA_EEENS0_18inequality_wrapperIZN2at6native12_GLOBAL__N_124unique_dim_cuda_templateIsEESt5tupleIJNSF_6TensorESK_SK_EERKSK_lbbbEUlllE0_EEPmJS9_EEE10hipError_tPvRmT3_T4_T5_T6_T7_T9_mT8_P12ihipStream_tbDpT10_ENKUlT_T0_E_clISt17integral_constantIbLb1EES1A_EEDaS15_S16_EUlS15_E_NS1_11comp_targetILNS1_3genE9ELNS1_11target_archE1100ELNS1_3gpuE3ELNS1_3repE0EEENS1_30default_config_static_selectorELNS0_4arch9wavefront6targetE1EEEvT1_.has_indirect_call, 0
	.section	.AMDGPU.csdata,"",@progbits
; Kernel info:
; codeLenInByte = 0
; TotalNumSgprs: 6
; NumVgprs: 0
; NumAgprs: 0
; TotalNumVgprs: 0
; ScratchSize: 0
; MemoryBound: 0
; FloatMode: 240
; IeeeMode: 1
; LDSByteSize: 0 bytes/workgroup (compile time only)
; SGPRBlocks: 0
; VGPRBlocks: 0
; NumSGPRsForWavesPerEU: 6
; NumVGPRsForWavesPerEU: 1
; AccumOffset: 4
; Occupancy: 8
; WaveLimiterHint : 0
; COMPUTE_PGM_RSRC2:SCRATCH_EN: 0
; COMPUTE_PGM_RSRC2:USER_SGPR: 2
; COMPUTE_PGM_RSRC2:TRAP_HANDLER: 0
; COMPUTE_PGM_RSRC2:TGID_X_EN: 1
; COMPUTE_PGM_RSRC2:TGID_Y_EN: 0
; COMPUTE_PGM_RSRC2:TGID_Z_EN: 0
; COMPUTE_PGM_RSRC2:TIDIG_COMP_CNT: 0
; COMPUTE_PGM_RSRC3_GFX90A:ACCUM_OFFSET: 0
; COMPUTE_PGM_RSRC3_GFX90A:TG_SPLIT: 0
	.section	.text._ZN7rocprim17ROCPRIM_400000_NS6detail17trampoline_kernelINS0_14default_configENS1_25partition_config_selectorILNS1_17partition_subalgoE9EllbEEZZNS1_14partition_implILS5_9ELb0ES3_jPlS8_PNS0_10empty_typeENS0_5tupleIJS8_S9_EEENSB_IJS8_SA_EEENS0_18inequality_wrapperIZN2at6native12_GLOBAL__N_124unique_dim_cuda_templateIsEESt5tupleIJNSF_6TensorESK_SK_EERKSK_lbbbEUlllE0_EEPmJS9_EEE10hipError_tPvRmT3_T4_T5_T6_T7_T9_mT8_P12ihipStream_tbDpT10_ENKUlT_T0_E_clISt17integral_constantIbLb1EES1A_EEDaS15_S16_EUlS15_E_NS1_11comp_targetILNS1_3genE8ELNS1_11target_archE1030ELNS1_3gpuE2ELNS1_3repE0EEENS1_30default_config_static_selectorELNS0_4arch9wavefront6targetE1EEEvT1_,"axG",@progbits,_ZN7rocprim17ROCPRIM_400000_NS6detail17trampoline_kernelINS0_14default_configENS1_25partition_config_selectorILNS1_17partition_subalgoE9EllbEEZZNS1_14partition_implILS5_9ELb0ES3_jPlS8_PNS0_10empty_typeENS0_5tupleIJS8_S9_EEENSB_IJS8_SA_EEENS0_18inequality_wrapperIZN2at6native12_GLOBAL__N_124unique_dim_cuda_templateIsEESt5tupleIJNSF_6TensorESK_SK_EERKSK_lbbbEUlllE0_EEPmJS9_EEE10hipError_tPvRmT3_T4_T5_T6_T7_T9_mT8_P12ihipStream_tbDpT10_ENKUlT_T0_E_clISt17integral_constantIbLb1EES1A_EEDaS15_S16_EUlS15_E_NS1_11comp_targetILNS1_3genE8ELNS1_11target_archE1030ELNS1_3gpuE2ELNS1_3repE0EEENS1_30default_config_static_selectorELNS0_4arch9wavefront6targetE1EEEvT1_,comdat
	.globl	_ZN7rocprim17ROCPRIM_400000_NS6detail17trampoline_kernelINS0_14default_configENS1_25partition_config_selectorILNS1_17partition_subalgoE9EllbEEZZNS1_14partition_implILS5_9ELb0ES3_jPlS8_PNS0_10empty_typeENS0_5tupleIJS8_S9_EEENSB_IJS8_SA_EEENS0_18inequality_wrapperIZN2at6native12_GLOBAL__N_124unique_dim_cuda_templateIsEESt5tupleIJNSF_6TensorESK_SK_EERKSK_lbbbEUlllE0_EEPmJS9_EEE10hipError_tPvRmT3_T4_T5_T6_T7_T9_mT8_P12ihipStream_tbDpT10_ENKUlT_T0_E_clISt17integral_constantIbLb1EES1A_EEDaS15_S16_EUlS15_E_NS1_11comp_targetILNS1_3genE8ELNS1_11target_archE1030ELNS1_3gpuE2ELNS1_3repE0EEENS1_30default_config_static_selectorELNS0_4arch9wavefront6targetE1EEEvT1_ ; -- Begin function _ZN7rocprim17ROCPRIM_400000_NS6detail17trampoline_kernelINS0_14default_configENS1_25partition_config_selectorILNS1_17partition_subalgoE9EllbEEZZNS1_14partition_implILS5_9ELb0ES3_jPlS8_PNS0_10empty_typeENS0_5tupleIJS8_S9_EEENSB_IJS8_SA_EEENS0_18inequality_wrapperIZN2at6native12_GLOBAL__N_124unique_dim_cuda_templateIsEESt5tupleIJNSF_6TensorESK_SK_EERKSK_lbbbEUlllE0_EEPmJS9_EEE10hipError_tPvRmT3_T4_T5_T6_T7_T9_mT8_P12ihipStream_tbDpT10_ENKUlT_T0_E_clISt17integral_constantIbLb1EES1A_EEDaS15_S16_EUlS15_E_NS1_11comp_targetILNS1_3genE8ELNS1_11target_archE1030ELNS1_3gpuE2ELNS1_3repE0EEENS1_30default_config_static_selectorELNS0_4arch9wavefront6targetE1EEEvT1_
	.p2align	8
	.type	_ZN7rocprim17ROCPRIM_400000_NS6detail17trampoline_kernelINS0_14default_configENS1_25partition_config_selectorILNS1_17partition_subalgoE9EllbEEZZNS1_14partition_implILS5_9ELb0ES3_jPlS8_PNS0_10empty_typeENS0_5tupleIJS8_S9_EEENSB_IJS8_SA_EEENS0_18inequality_wrapperIZN2at6native12_GLOBAL__N_124unique_dim_cuda_templateIsEESt5tupleIJNSF_6TensorESK_SK_EERKSK_lbbbEUlllE0_EEPmJS9_EEE10hipError_tPvRmT3_T4_T5_T6_T7_T9_mT8_P12ihipStream_tbDpT10_ENKUlT_T0_E_clISt17integral_constantIbLb1EES1A_EEDaS15_S16_EUlS15_E_NS1_11comp_targetILNS1_3genE8ELNS1_11target_archE1030ELNS1_3gpuE2ELNS1_3repE0EEENS1_30default_config_static_selectorELNS0_4arch9wavefront6targetE1EEEvT1_,@function
_ZN7rocprim17ROCPRIM_400000_NS6detail17trampoline_kernelINS0_14default_configENS1_25partition_config_selectorILNS1_17partition_subalgoE9EllbEEZZNS1_14partition_implILS5_9ELb0ES3_jPlS8_PNS0_10empty_typeENS0_5tupleIJS8_S9_EEENSB_IJS8_SA_EEENS0_18inequality_wrapperIZN2at6native12_GLOBAL__N_124unique_dim_cuda_templateIsEESt5tupleIJNSF_6TensorESK_SK_EERKSK_lbbbEUlllE0_EEPmJS9_EEE10hipError_tPvRmT3_T4_T5_T6_T7_T9_mT8_P12ihipStream_tbDpT10_ENKUlT_T0_E_clISt17integral_constantIbLb1EES1A_EEDaS15_S16_EUlS15_E_NS1_11comp_targetILNS1_3genE8ELNS1_11target_archE1030ELNS1_3gpuE2ELNS1_3repE0EEENS1_30default_config_static_selectorELNS0_4arch9wavefront6targetE1EEEvT1_: ; @_ZN7rocprim17ROCPRIM_400000_NS6detail17trampoline_kernelINS0_14default_configENS1_25partition_config_selectorILNS1_17partition_subalgoE9EllbEEZZNS1_14partition_implILS5_9ELb0ES3_jPlS8_PNS0_10empty_typeENS0_5tupleIJS8_S9_EEENSB_IJS8_SA_EEENS0_18inequality_wrapperIZN2at6native12_GLOBAL__N_124unique_dim_cuda_templateIsEESt5tupleIJNSF_6TensorESK_SK_EERKSK_lbbbEUlllE0_EEPmJS9_EEE10hipError_tPvRmT3_T4_T5_T6_T7_T9_mT8_P12ihipStream_tbDpT10_ENKUlT_T0_E_clISt17integral_constantIbLb1EES1A_EEDaS15_S16_EUlS15_E_NS1_11comp_targetILNS1_3genE8ELNS1_11target_archE1030ELNS1_3gpuE2ELNS1_3repE0EEENS1_30default_config_static_selectorELNS0_4arch9wavefront6targetE1EEEvT1_
; %bb.0:
	.section	.rodata,"a",@progbits
	.p2align	6, 0x0
	.amdhsa_kernel _ZN7rocprim17ROCPRIM_400000_NS6detail17trampoline_kernelINS0_14default_configENS1_25partition_config_selectorILNS1_17partition_subalgoE9EllbEEZZNS1_14partition_implILS5_9ELb0ES3_jPlS8_PNS0_10empty_typeENS0_5tupleIJS8_S9_EEENSB_IJS8_SA_EEENS0_18inequality_wrapperIZN2at6native12_GLOBAL__N_124unique_dim_cuda_templateIsEESt5tupleIJNSF_6TensorESK_SK_EERKSK_lbbbEUlllE0_EEPmJS9_EEE10hipError_tPvRmT3_T4_T5_T6_T7_T9_mT8_P12ihipStream_tbDpT10_ENKUlT_T0_E_clISt17integral_constantIbLb1EES1A_EEDaS15_S16_EUlS15_E_NS1_11comp_targetILNS1_3genE8ELNS1_11target_archE1030ELNS1_3gpuE2ELNS1_3repE0EEENS1_30default_config_static_selectorELNS0_4arch9wavefront6targetE1EEEvT1_
		.amdhsa_group_segment_fixed_size 0
		.amdhsa_private_segment_fixed_size 0
		.amdhsa_kernarg_size 136
		.amdhsa_user_sgpr_count 2
		.amdhsa_user_sgpr_dispatch_ptr 0
		.amdhsa_user_sgpr_queue_ptr 0
		.amdhsa_user_sgpr_kernarg_segment_ptr 1
		.amdhsa_user_sgpr_dispatch_id 0
		.amdhsa_user_sgpr_kernarg_preload_length 0
		.amdhsa_user_sgpr_kernarg_preload_offset 0
		.amdhsa_user_sgpr_private_segment_size 0
		.amdhsa_uses_dynamic_stack 0
		.amdhsa_enable_private_segment 0
		.amdhsa_system_sgpr_workgroup_id_x 1
		.amdhsa_system_sgpr_workgroup_id_y 0
		.amdhsa_system_sgpr_workgroup_id_z 0
		.amdhsa_system_sgpr_workgroup_info 0
		.amdhsa_system_vgpr_workitem_id 0
		.amdhsa_next_free_vgpr 1
		.amdhsa_next_free_sgpr 0
		.amdhsa_accum_offset 4
		.amdhsa_reserve_vcc 0
		.amdhsa_float_round_mode_32 0
		.amdhsa_float_round_mode_16_64 0
		.amdhsa_float_denorm_mode_32 3
		.amdhsa_float_denorm_mode_16_64 3
		.amdhsa_dx10_clamp 1
		.amdhsa_ieee_mode 1
		.amdhsa_fp16_overflow 0
		.amdhsa_tg_split 0
		.amdhsa_exception_fp_ieee_invalid_op 0
		.amdhsa_exception_fp_denorm_src 0
		.amdhsa_exception_fp_ieee_div_zero 0
		.amdhsa_exception_fp_ieee_overflow 0
		.amdhsa_exception_fp_ieee_underflow 0
		.amdhsa_exception_fp_ieee_inexact 0
		.amdhsa_exception_int_div_zero 0
	.end_amdhsa_kernel
	.section	.text._ZN7rocprim17ROCPRIM_400000_NS6detail17trampoline_kernelINS0_14default_configENS1_25partition_config_selectorILNS1_17partition_subalgoE9EllbEEZZNS1_14partition_implILS5_9ELb0ES3_jPlS8_PNS0_10empty_typeENS0_5tupleIJS8_S9_EEENSB_IJS8_SA_EEENS0_18inequality_wrapperIZN2at6native12_GLOBAL__N_124unique_dim_cuda_templateIsEESt5tupleIJNSF_6TensorESK_SK_EERKSK_lbbbEUlllE0_EEPmJS9_EEE10hipError_tPvRmT3_T4_T5_T6_T7_T9_mT8_P12ihipStream_tbDpT10_ENKUlT_T0_E_clISt17integral_constantIbLb1EES1A_EEDaS15_S16_EUlS15_E_NS1_11comp_targetILNS1_3genE8ELNS1_11target_archE1030ELNS1_3gpuE2ELNS1_3repE0EEENS1_30default_config_static_selectorELNS0_4arch9wavefront6targetE1EEEvT1_,"axG",@progbits,_ZN7rocprim17ROCPRIM_400000_NS6detail17trampoline_kernelINS0_14default_configENS1_25partition_config_selectorILNS1_17partition_subalgoE9EllbEEZZNS1_14partition_implILS5_9ELb0ES3_jPlS8_PNS0_10empty_typeENS0_5tupleIJS8_S9_EEENSB_IJS8_SA_EEENS0_18inequality_wrapperIZN2at6native12_GLOBAL__N_124unique_dim_cuda_templateIsEESt5tupleIJNSF_6TensorESK_SK_EERKSK_lbbbEUlllE0_EEPmJS9_EEE10hipError_tPvRmT3_T4_T5_T6_T7_T9_mT8_P12ihipStream_tbDpT10_ENKUlT_T0_E_clISt17integral_constantIbLb1EES1A_EEDaS15_S16_EUlS15_E_NS1_11comp_targetILNS1_3genE8ELNS1_11target_archE1030ELNS1_3gpuE2ELNS1_3repE0EEENS1_30default_config_static_selectorELNS0_4arch9wavefront6targetE1EEEvT1_,comdat
.Lfunc_end732:
	.size	_ZN7rocprim17ROCPRIM_400000_NS6detail17trampoline_kernelINS0_14default_configENS1_25partition_config_selectorILNS1_17partition_subalgoE9EllbEEZZNS1_14partition_implILS5_9ELb0ES3_jPlS8_PNS0_10empty_typeENS0_5tupleIJS8_S9_EEENSB_IJS8_SA_EEENS0_18inequality_wrapperIZN2at6native12_GLOBAL__N_124unique_dim_cuda_templateIsEESt5tupleIJNSF_6TensorESK_SK_EERKSK_lbbbEUlllE0_EEPmJS9_EEE10hipError_tPvRmT3_T4_T5_T6_T7_T9_mT8_P12ihipStream_tbDpT10_ENKUlT_T0_E_clISt17integral_constantIbLb1EES1A_EEDaS15_S16_EUlS15_E_NS1_11comp_targetILNS1_3genE8ELNS1_11target_archE1030ELNS1_3gpuE2ELNS1_3repE0EEENS1_30default_config_static_selectorELNS0_4arch9wavefront6targetE1EEEvT1_, .Lfunc_end732-_ZN7rocprim17ROCPRIM_400000_NS6detail17trampoline_kernelINS0_14default_configENS1_25partition_config_selectorILNS1_17partition_subalgoE9EllbEEZZNS1_14partition_implILS5_9ELb0ES3_jPlS8_PNS0_10empty_typeENS0_5tupleIJS8_S9_EEENSB_IJS8_SA_EEENS0_18inequality_wrapperIZN2at6native12_GLOBAL__N_124unique_dim_cuda_templateIsEESt5tupleIJNSF_6TensorESK_SK_EERKSK_lbbbEUlllE0_EEPmJS9_EEE10hipError_tPvRmT3_T4_T5_T6_T7_T9_mT8_P12ihipStream_tbDpT10_ENKUlT_T0_E_clISt17integral_constantIbLb1EES1A_EEDaS15_S16_EUlS15_E_NS1_11comp_targetILNS1_3genE8ELNS1_11target_archE1030ELNS1_3gpuE2ELNS1_3repE0EEENS1_30default_config_static_selectorELNS0_4arch9wavefront6targetE1EEEvT1_
                                        ; -- End function
	.set _ZN7rocprim17ROCPRIM_400000_NS6detail17trampoline_kernelINS0_14default_configENS1_25partition_config_selectorILNS1_17partition_subalgoE9EllbEEZZNS1_14partition_implILS5_9ELb0ES3_jPlS8_PNS0_10empty_typeENS0_5tupleIJS8_S9_EEENSB_IJS8_SA_EEENS0_18inequality_wrapperIZN2at6native12_GLOBAL__N_124unique_dim_cuda_templateIsEESt5tupleIJNSF_6TensorESK_SK_EERKSK_lbbbEUlllE0_EEPmJS9_EEE10hipError_tPvRmT3_T4_T5_T6_T7_T9_mT8_P12ihipStream_tbDpT10_ENKUlT_T0_E_clISt17integral_constantIbLb1EES1A_EEDaS15_S16_EUlS15_E_NS1_11comp_targetILNS1_3genE8ELNS1_11target_archE1030ELNS1_3gpuE2ELNS1_3repE0EEENS1_30default_config_static_selectorELNS0_4arch9wavefront6targetE1EEEvT1_.num_vgpr, 0
	.set _ZN7rocprim17ROCPRIM_400000_NS6detail17trampoline_kernelINS0_14default_configENS1_25partition_config_selectorILNS1_17partition_subalgoE9EllbEEZZNS1_14partition_implILS5_9ELb0ES3_jPlS8_PNS0_10empty_typeENS0_5tupleIJS8_S9_EEENSB_IJS8_SA_EEENS0_18inequality_wrapperIZN2at6native12_GLOBAL__N_124unique_dim_cuda_templateIsEESt5tupleIJNSF_6TensorESK_SK_EERKSK_lbbbEUlllE0_EEPmJS9_EEE10hipError_tPvRmT3_T4_T5_T6_T7_T9_mT8_P12ihipStream_tbDpT10_ENKUlT_T0_E_clISt17integral_constantIbLb1EES1A_EEDaS15_S16_EUlS15_E_NS1_11comp_targetILNS1_3genE8ELNS1_11target_archE1030ELNS1_3gpuE2ELNS1_3repE0EEENS1_30default_config_static_selectorELNS0_4arch9wavefront6targetE1EEEvT1_.num_agpr, 0
	.set _ZN7rocprim17ROCPRIM_400000_NS6detail17trampoline_kernelINS0_14default_configENS1_25partition_config_selectorILNS1_17partition_subalgoE9EllbEEZZNS1_14partition_implILS5_9ELb0ES3_jPlS8_PNS0_10empty_typeENS0_5tupleIJS8_S9_EEENSB_IJS8_SA_EEENS0_18inequality_wrapperIZN2at6native12_GLOBAL__N_124unique_dim_cuda_templateIsEESt5tupleIJNSF_6TensorESK_SK_EERKSK_lbbbEUlllE0_EEPmJS9_EEE10hipError_tPvRmT3_T4_T5_T6_T7_T9_mT8_P12ihipStream_tbDpT10_ENKUlT_T0_E_clISt17integral_constantIbLb1EES1A_EEDaS15_S16_EUlS15_E_NS1_11comp_targetILNS1_3genE8ELNS1_11target_archE1030ELNS1_3gpuE2ELNS1_3repE0EEENS1_30default_config_static_selectorELNS0_4arch9wavefront6targetE1EEEvT1_.numbered_sgpr, 0
	.set _ZN7rocprim17ROCPRIM_400000_NS6detail17trampoline_kernelINS0_14default_configENS1_25partition_config_selectorILNS1_17partition_subalgoE9EllbEEZZNS1_14partition_implILS5_9ELb0ES3_jPlS8_PNS0_10empty_typeENS0_5tupleIJS8_S9_EEENSB_IJS8_SA_EEENS0_18inequality_wrapperIZN2at6native12_GLOBAL__N_124unique_dim_cuda_templateIsEESt5tupleIJNSF_6TensorESK_SK_EERKSK_lbbbEUlllE0_EEPmJS9_EEE10hipError_tPvRmT3_T4_T5_T6_T7_T9_mT8_P12ihipStream_tbDpT10_ENKUlT_T0_E_clISt17integral_constantIbLb1EES1A_EEDaS15_S16_EUlS15_E_NS1_11comp_targetILNS1_3genE8ELNS1_11target_archE1030ELNS1_3gpuE2ELNS1_3repE0EEENS1_30default_config_static_selectorELNS0_4arch9wavefront6targetE1EEEvT1_.num_named_barrier, 0
	.set _ZN7rocprim17ROCPRIM_400000_NS6detail17trampoline_kernelINS0_14default_configENS1_25partition_config_selectorILNS1_17partition_subalgoE9EllbEEZZNS1_14partition_implILS5_9ELb0ES3_jPlS8_PNS0_10empty_typeENS0_5tupleIJS8_S9_EEENSB_IJS8_SA_EEENS0_18inequality_wrapperIZN2at6native12_GLOBAL__N_124unique_dim_cuda_templateIsEESt5tupleIJNSF_6TensorESK_SK_EERKSK_lbbbEUlllE0_EEPmJS9_EEE10hipError_tPvRmT3_T4_T5_T6_T7_T9_mT8_P12ihipStream_tbDpT10_ENKUlT_T0_E_clISt17integral_constantIbLb1EES1A_EEDaS15_S16_EUlS15_E_NS1_11comp_targetILNS1_3genE8ELNS1_11target_archE1030ELNS1_3gpuE2ELNS1_3repE0EEENS1_30default_config_static_selectorELNS0_4arch9wavefront6targetE1EEEvT1_.private_seg_size, 0
	.set _ZN7rocprim17ROCPRIM_400000_NS6detail17trampoline_kernelINS0_14default_configENS1_25partition_config_selectorILNS1_17partition_subalgoE9EllbEEZZNS1_14partition_implILS5_9ELb0ES3_jPlS8_PNS0_10empty_typeENS0_5tupleIJS8_S9_EEENSB_IJS8_SA_EEENS0_18inequality_wrapperIZN2at6native12_GLOBAL__N_124unique_dim_cuda_templateIsEESt5tupleIJNSF_6TensorESK_SK_EERKSK_lbbbEUlllE0_EEPmJS9_EEE10hipError_tPvRmT3_T4_T5_T6_T7_T9_mT8_P12ihipStream_tbDpT10_ENKUlT_T0_E_clISt17integral_constantIbLb1EES1A_EEDaS15_S16_EUlS15_E_NS1_11comp_targetILNS1_3genE8ELNS1_11target_archE1030ELNS1_3gpuE2ELNS1_3repE0EEENS1_30default_config_static_selectorELNS0_4arch9wavefront6targetE1EEEvT1_.uses_vcc, 0
	.set _ZN7rocprim17ROCPRIM_400000_NS6detail17trampoline_kernelINS0_14default_configENS1_25partition_config_selectorILNS1_17partition_subalgoE9EllbEEZZNS1_14partition_implILS5_9ELb0ES3_jPlS8_PNS0_10empty_typeENS0_5tupleIJS8_S9_EEENSB_IJS8_SA_EEENS0_18inequality_wrapperIZN2at6native12_GLOBAL__N_124unique_dim_cuda_templateIsEESt5tupleIJNSF_6TensorESK_SK_EERKSK_lbbbEUlllE0_EEPmJS9_EEE10hipError_tPvRmT3_T4_T5_T6_T7_T9_mT8_P12ihipStream_tbDpT10_ENKUlT_T0_E_clISt17integral_constantIbLb1EES1A_EEDaS15_S16_EUlS15_E_NS1_11comp_targetILNS1_3genE8ELNS1_11target_archE1030ELNS1_3gpuE2ELNS1_3repE0EEENS1_30default_config_static_selectorELNS0_4arch9wavefront6targetE1EEEvT1_.uses_flat_scratch, 0
	.set _ZN7rocprim17ROCPRIM_400000_NS6detail17trampoline_kernelINS0_14default_configENS1_25partition_config_selectorILNS1_17partition_subalgoE9EllbEEZZNS1_14partition_implILS5_9ELb0ES3_jPlS8_PNS0_10empty_typeENS0_5tupleIJS8_S9_EEENSB_IJS8_SA_EEENS0_18inequality_wrapperIZN2at6native12_GLOBAL__N_124unique_dim_cuda_templateIsEESt5tupleIJNSF_6TensorESK_SK_EERKSK_lbbbEUlllE0_EEPmJS9_EEE10hipError_tPvRmT3_T4_T5_T6_T7_T9_mT8_P12ihipStream_tbDpT10_ENKUlT_T0_E_clISt17integral_constantIbLb1EES1A_EEDaS15_S16_EUlS15_E_NS1_11comp_targetILNS1_3genE8ELNS1_11target_archE1030ELNS1_3gpuE2ELNS1_3repE0EEENS1_30default_config_static_selectorELNS0_4arch9wavefront6targetE1EEEvT1_.has_dyn_sized_stack, 0
	.set _ZN7rocprim17ROCPRIM_400000_NS6detail17trampoline_kernelINS0_14default_configENS1_25partition_config_selectorILNS1_17partition_subalgoE9EllbEEZZNS1_14partition_implILS5_9ELb0ES3_jPlS8_PNS0_10empty_typeENS0_5tupleIJS8_S9_EEENSB_IJS8_SA_EEENS0_18inequality_wrapperIZN2at6native12_GLOBAL__N_124unique_dim_cuda_templateIsEESt5tupleIJNSF_6TensorESK_SK_EERKSK_lbbbEUlllE0_EEPmJS9_EEE10hipError_tPvRmT3_T4_T5_T6_T7_T9_mT8_P12ihipStream_tbDpT10_ENKUlT_T0_E_clISt17integral_constantIbLb1EES1A_EEDaS15_S16_EUlS15_E_NS1_11comp_targetILNS1_3genE8ELNS1_11target_archE1030ELNS1_3gpuE2ELNS1_3repE0EEENS1_30default_config_static_selectorELNS0_4arch9wavefront6targetE1EEEvT1_.has_recursion, 0
	.set _ZN7rocprim17ROCPRIM_400000_NS6detail17trampoline_kernelINS0_14default_configENS1_25partition_config_selectorILNS1_17partition_subalgoE9EllbEEZZNS1_14partition_implILS5_9ELb0ES3_jPlS8_PNS0_10empty_typeENS0_5tupleIJS8_S9_EEENSB_IJS8_SA_EEENS0_18inequality_wrapperIZN2at6native12_GLOBAL__N_124unique_dim_cuda_templateIsEESt5tupleIJNSF_6TensorESK_SK_EERKSK_lbbbEUlllE0_EEPmJS9_EEE10hipError_tPvRmT3_T4_T5_T6_T7_T9_mT8_P12ihipStream_tbDpT10_ENKUlT_T0_E_clISt17integral_constantIbLb1EES1A_EEDaS15_S16_EUlS15_E_NS1_11comp_targetILNS1_3genE8ELNS1_11target_archE1030ELNS1_3gpuE2ELNS1_3repE0EEENS1_30default_config_static_selectorELNS0_4arch9wavefront6targetE1EEEvT1_.has_indirect_call, 0
	.section	.AMDGPU.csdata,"",@progbits
; Kernel info:
; codeLenInByte = 0
; TotalNumSgprs: 6
; NumVgprs: 0
; NumAgprs: 0
; TotalNumVgprs: 0
; ScratchSize: 0
; MemoryBound: 0
; FloatMode: 240
; IeeeMode: 1
; LDSByteSize: 0 bytes/workgroup (compile time only)
; SGPRBlocks: 0
; VGPRBlocks: 0
; NumSGPRsForWavesPerEU: 6
; NumVGPRsForWavesPerEU: 1
; AccumOffset: 4
; Occupancy: 8
; WaveLimiterHint : 0
; COMPUTE_PGM_RSRC2:SCRATCH_EN: 0
; COMPUTE_PGM_RSRC2:USER_SGPR: 2
; COMPUTE_PGM_RSRC2:TRAP_HANDLER: 0
; COMPUTE_PGM_RSRC2:TGID_X_EN: 1
; COMPUTE_PGM_RSRC2:TGID_Y_EN: 0
; COMPUTE_PGM_RSRC2:TGID_Z_EN: 0
; COMPUTE_PGM_RSRC2:TIDIG_COMP_CNT: 0
; COMPUTE_PGM_RSRC3_GFX90A:ACCUM_OFFSET: 0
; COMPUTE_PGM_RSRC3_GFX90A:TG_SPLIT: 0
	.section	.text._ZN7rocprim17ROCPRIM_400000_NS6detail17trampoline_kernelINS0_14default_configENS1_25partition_config_selectorILNS1_17partition_subalgoE9EllbEEZZNS1_14partition_implILS5_9ELb0ES3_jPlS8_PNS0_10empty_typeENS0_5tupleIJS8_S9_EEENSB_IJS8_SA_EEENS0_18inequality_wrapperIZN2at6native12_GLOBAL__N_124unique_dim_cuda_templateIsEESt5tupleIJNSF_6TensorESK_SK_EERKSK_lbbbEUlllE0_EEPmJS9_EEE10hipError_tPvRmT3_T4_T5_T6_T7_T9_mT8_P12ihipStream_tbDpT10_ENKUlT_T0_E_clISt17integral_constantIbLb1EES19_IbLb0EEEEDaS15_S16_EUlS15_E_NS1_11comp_targetILNS1_3genE0ELNS1_11target_archE4294967295ELNS1_3gpuE0ELNS1_3repE0EEENS1_30default_config_static_selectorELNS0_4arch9wavefront6targetE1EEEvT1_,"axG",@progbits,_ZN7rocprim17ROCPRIM_400000_NS6detail17trampoline_kernelINS0_14default_configENS1_25partition_config_selectorILNS1_17partition_subalgoE9EllbEEZZNS1_14partition_implILS5_9ELb0ES3_jPlS8_PNS0_10empty_typeENS0_5tupleIJS8_S9_EEENSB_IJS8_SA_EEENS0_18inequality_wrapperIZN2at6native12_GLOBAL__N_124unique_dim_cuda_templateIsEESt5tupleIJNSF_6TensorESK_SK_EERKSK_lbbbEUlllE0_EEPmJS9_EEE10hipError_tPvRmT3_T4_T5_T6_T7_T9_mT8_P12ihipStream_tbDpT10_ENKUlT_T0_E_clISt17integral_constantIbLb1EES19_IbLb0EEEEDaS15_S16_EUlS15_E_NS1_11comp_targetILNS1_3genE0ELNS1_11target_archE4294967295ELNS1_3gpuE0ELNS1_3repE0EEENS1_30default_config_static_selectorELNS0_4arch9wavefront6targetE1EEEvT1_,comdat
	.globl	_ZN7rocprim17ROCPRIM_400000_NS6detail17trampoline_kernelINS0_14default_configENS1_25partition_config_selectorILNS1_17partition_subalgoE9EllbEEZZNS1_14partition_implILS5_9ELb0ES3_jPlS8_PNS0_10empty_typeENS0_5tupleIJS8_S9_EEENSB_IJS8_SA_EEENS0_18inequality_wrapperIZN2at6native12_GLOBAL__N_124unique_dim_cuda_templateIsEESt5tupleIJNSF_6TensorESK_SK_EERKSK_lbbbEUlllE0_EEPmJS9_EEE10hipError_tPvRmT3_T4_T5_T6_T7_T9_mT8_P12ihipStream_tbDpT10_ENKUlT_T0_E_clISt17integral_constantIbLb1EES19_IbLb0EEEEDaS15_S16_EUlS15_E_NS1_11comp_targetILNS1_3genE0ELNS1_11target_archE4294967295ELNS1_3gpuE0ELNS1_3repE0EEENS1_30default_config_static_selectorELNS0_4arch9wavefront6targetE1EEEvT1_ ; -- Begin function _ZN7rocprim17ROCPRIM_400000_NS6detail17trampoline_kernelINS0_14default_configENS1_25partition_config_selectorILNS1_17partition_subalgoE9EllbEEZZNS1_14partition_implILS5_9ELb0ES3_jPlS8_PNS0_10empty_typeENS0_5tupleIJS8_S9_EEENSB_IJS8_SA_EEENS0_18inequality_wrapperIZN2at6native12_GLOBAL__N_124unique_dim_cuda_templateIsEESt5tupleIJNSF_6TensorESK_SK_EERKSK_lbbbEUlllE0_EEPmJS9_EEE10hipError_tPvRmT3_T4_T5_T6_T7_T9_mT8_P12ihipStream_tbDpT10_ENKUlT_T0_E_clISt17integral_constantIbLb1EES19_IbLb0EEEEDaS15_S16_EUlS15_E_NS1_11comp_targetILNS1_3genE0ELNS1_11target_archE4294967295ELNS1_3gpuE0ELNS1_3repE0EEENS1_30default_config_static_selectorELNS0_4arch9wavefront6targetE1EEEvT1_
	.p2align	8
	.type	_ZN7rocprim17ROCPRIM_400000_NS6detail17trampoline_kernelINS0_14default_configENS1_25partition_config_selectorILNS1_17partition_subalgoE9EllbEEZZNS1_14partition_implILS5_9ELb0ES3_jPlS8_PNS0_10empty_typeENS0_5tupleIJS8_S9_EEENSB_IJS8_SA_EEENS0_18inequality_wrapperIZN2at6native12_GLOBAL__N_124unique_dim_cuda_templateIsEESt5tupleIJNSF_6TensorESK_SK_EERKSK_lbbbEUlllE0_EEPmJS9_EEE10hipError_tPvRmT3_T4_T5_T6_T7_T9_mT8_P12ihipStream_tbDpT10_ENKUlT_T0_E_clISt17integral_constantIbLb1EES19_IbLb0EEEEDaS15_S16_EUlS15_E_NS1_11comp_targetILNS1_3genE0ELNS1_11target_archE4294967295ELNS1_3gpuE0ELNS1_3repE0EEENS1_30default_config_static_selectorELNS0_4arch9wavefront6targetE1EEEvT1_,@function
_ZN7rocprim17ROCPRIM_400000_NS6detail17trampoline_kernelINS0_14default_configENS1_25partition_config_selectorILNS1_17partition_subalgoE9EllbEEZZNS1_14partition_implILS5_9ELb0ES3_jPlS8_PNS0_10empty_typeENS0_5tupleIJS8_S9_EEENSB_IJS8_SA_EEENS0_18inequality_wrapperIZN2at6native12_GLOBAL__N_124unique_dim_cuda_templateIsEESt5tupleIJNSF_6TensorESK_SK_EERKSK_lbbbEUlllE0_EEPmJS9_EEE10hipError_tPvRmT3_T4_T5_T6_T7_T9_mT8_P12ihipStream_tbDpT10_ENKUlT_T0_E_clISt17integral_constantIbLb1EES19_IbLb0EEEEDaS15_S16_EUlS15_E_NS1_11comp_targetILNS1_3genE0ELNS1_11target_archE4294967295ELNS1_3gpuE0ELNS1_3repE0EEENS1_30default_config_static_selectorELNS0_4arch9wavefront6targetE1EEEvT1_: ; @_ZN7rocprim17ROCPRIM_400000_NS6detail17trampoline_kernelINS0_14default_configENS1_25partition_config_selectorILNS1_17partition_subalgoE9EllbEEZZNS1_14partition_implILS5_9ELb0ES3_jPlS8_PNS0_10empty_typeENS0_5tupleIJS8_S9_EEENSB_IJS8_SA_EEENS0_18inequality_wrapperIZN2at6native12_GLOBAL__N_124unique_dim_cuda_templateIsEESt5tupleIJNSF_6TensorESK_SK_EERKSK_lbbbEUlllE0_EEPmJS9_EEE10hipError_tPvRmT3_T4_T5_T6_T7_T9_mT8_P12ihipStream_tbDpT10_ENKUlT_T0_E_clISt17integral_constantIbLb1EES19_IbLb0EEEEDaS15_S16_EUlS15_E_NS1_11comp_targetILNS1_3genE0ELNS1_11target_archE4294967295ELNS1_3gpuE0ELNS1_3repE0EEENS1_30default_config_static_selectorELNS0_4arch9wavefront6targetE1EEEvT1_
; %bb.0:
	s_endpgm
	.section	.rodata,"a",@progbits
	.p2align	6, 0x0
	.amdhsa_kernel _ZN7rocprim17ROCPRIM_400000_NS6detail17trampoline_kernelINS0_14default_configENS1_25partition_config_selectorILNS1_17partition_subalgoE9EllbEEZZNS1_14partition_implILS5_9ELb0ES3_jPlS8_PNS0_10empty_typeENS0_5tupleIJS8_S9_EEENSB_IJS8_SA_EEENS0_18inequality_wrapperIZN2at6native12_GLOBAL__N_124unique_dim_cuda_templateIsEESt5tupleIJNSF_6TensorESK_SK_EERKSK_lbbbEUlllE0_EEPmJS9_EEE10hipError_tPvRmT3_T4_T5_T6_T7_T9_mT8_P12ihipStream_tbDpT10_ENKUlT_T0_E_clISt17integral_constantIbLb1EES19_IbLb0EEEEDaS15_S16_EUlS15_E_NS1_11comp_targetILNS1_3genE0ELNS1_11target_archE4294967295ELNS1_3gpuE0ELNS1_3repE0EEENS1_30default_config_static_selectorELNS0_4arch9wavefront6targetE1EEEvT1_
		.amdhsa_group_segment_fixed_size 0
		.amdhsa_private_segment_fixed_size 0
		.amdhsa_kernarg_size 120
		.amdhsa_user_sgpr_count 2
		.amdhsa_user_sgpr_dispatch_ptr 0
		.amdhsa_user_sgpr_queue_ptr 0
		.amdhsa_user_sgpr_kernarg_segment_ptr 1
		.amdhsa_user_sgpr_dispatch_id 0
		.amdhsa_user_sgpr_kernarg_preload_length 0
		.amdhsa_user_sgpr_kernarg_preload_offset 0
		.amdhsa_user_sgpr_private_segment_size 0
		.amdhsa_uses_dynamic_stack 0
		.amdhsa_enable_private_segment 0
		.amdhsa_system_sgpr_workgroup_id_x 1
		.amdhsa_system_sgpr_workgroup_id_y 0
		.amdhsa_system_sgpr_workgroup_id_z 0
		.amdhsa_system_sgpr_workgroup_info 0
		.amdhsa_system_vgpr_workitem_id 0
		.amdhsa_next_free_vgpr 1
		.amdhsa_next_free_sgpr 0
		.amdhsa_accum_offset 4
		.amdhsa_reserve_vcc 0
		.amdhsa_float_round_mode_32 0
		.amdhsa_float_round_mode_16_64 0
		.amdhsa_float_denorm_mode_32 3
		.amdhsa_float_denorm_mode_16_64 3
		.amdhsa_dx10_clamp 1
		.amdhsa_ieee_mode 1
		.amdhsa_fp16_overflow 0
		.amdhsa_tg_split 0
		.amdhsa_exception_fp_ieee_invalid_op 0
		.amdhsa_exception_fp_denorm_src 0
		.amdhsa_exception_fp_ieee_div_zero 0
		.amdhsa_exception_fp_ieee_overflow 0
		.amdhsa_exception_fp_ieee_underflow 0
		.amdhsa_exception_fp_ieee_inexact 0
		.amdhsa_exception_int_div_zero 0
	.end_amdhsa_kernel
	.section	.text._ZN7rocprim17ROCPRIM_400000_NS6detail17trampoline_kernelINS0_14default_configENS1_25partition_config_selectorILNS1_17partition_subalgoE9EllbEEZZNS1_14partition_implILS5_9ELb0ES3_jPlS8_PNS0_10empty_typeENS0_5tupleIJS8_S9_EEENSB_IJS8_SA_EEENS0_18inequality_wrapperIZN2at6native12_GLOBAL__N_124unique_dim_cuda_templateIsEESt5tupleIJNSF_6TensorESK_SK_EERKSK_lbbbEUlllE0_EEPmJS9_EEE10hipError_tPvRmT3_T4_T5_T6_T7_T9_mT8_P12ihipStream_tbDpT10_ENKUlT_T0_E_clISt17integral_constantIbLb1EES19_IbLb0EEEEDaS15_S16_EUlS15_E_NS1_11comp_targetILNS1_3genE0ELNS1_11target_archE4294967295ELNS1_3gpuE0ELNS1_3repE0EEENS1_30default_config_static_selectorELNS0_4arch9wavefront6targetE1EEEvT1_,"axG",@progbits,_ZN7rocprim17ROCPRIM_400000_NS6detail17trampoline_kernelINS0_14default_configENS1_25partition_config_selectorILNS1_17partition_subalgoE9EllbEEZZNS1_14partition_implILS5_9ELb0ES3_jPlS8_PNS0_10empty_typeENS0_5tupleIJS8_S9_EEENSB_IJS8_SA_EEENS0_18inequality_wrapperIZN2at6native12_GLOBAL__N_124unique_dim_cuda_templateIsEESt5tupleIJNSF_6TensorESK_SK_EERKSK_lbbbEUlllE0_EEPmJS9_EEE10hipError_tPvRmT3_T4_T5_T6_T7_T9_mT8_P12ihipStream_tbDpT10_ENKUlT_T0_E_clISt17integral_constantIbLb1EES19_IbLb0EEEEDaS15_S16_EUlS15_E_NS1_11comp_targetILNS1_3genE0ELNS1_11target_archE4294967295ELNS1_3gpuE0ELNS1_3repE0EEENS1_30default_config_static_selectorELNS0_4arch9wavefront6targetE1EEEvT1_,comdat
.Lfunc_end733:
	.size	_ZN7rocprim17ROCPRIM_400000_NS6detail17trampoline_kernelINS0_14default_configENS1_25partition_config_selectorILNS1_17partition_subalgoE9EllbEEZZNS1_14partition_implILS5_9ELb0ES3_jPlS8_PNS0_10empty_typeENS0_5tupleIJS8_S9_EEENSB_IJS8_SA_EEENS0_18inequality_wrapperIZN2at6native12_GLOBAL__N_124unique_dim_cuda_templateIsEESt5tupleIJNSF_6TensorESK_SK_EERKSK_lbbbEUlllE0_EEPmJS9_EEE10hipError_tPvRmT3_T4_T5_T6_T7_T9_mT8_P12ihipStream_tbDpT10_ENKUlT_T0_E_clISt17integral_constantIbLb1EES19_IbLb0EEEEDaS15_S16_EUlS15_E_NS1_11comp_targetILNS1_3genE0ELNS1_11target_archE4294967295ELNS1_3gpuE0ELNS1_3repE0EEENS1_30default_config_static_selectorELNS0_4arch9wavefront6targetE1EEEvT1_, .Lfunc_end733-_ZN7rocprim17ROCPRIM_400000_NS6detail17trampoline_kernelINS0_14default_configENS1_25partition_config_selectorILNS1_17partition_subalgoE9EllbEEZZNS1_14partition_implILS5_9ELb0ES3_jPlS8_PNS0_10empty_typeENS0_5tupleIJS8_S9_EEENSB_IJS8_SA_EEENS0_18inequality_wrapperIZN2at6native12_GLOBAL__N_124unique_dim_cuda_templateIsEESt5tupleIJNSF_6TensorESK_SK_EERKSK_lbbbEUlllE0_EEPmJS9_EEE10hipError_tPvRmT3_T4_T5_T6_T7_T9_mT8_P12ihipStream_tbDpT10_ENKUlT_T0_E_clISt17integral_constantIbLb1EES19_IbLb0EEEEDaS15_S16_EUlS15_E_NS1_11comp_targetILNS1_3genE0ELNS1_11target_archE4294967295ELNS1_3gpuE0ELNS1_3repE0EEENS1_30default_config_static_selectorELNS0_4arch9wavefront6targetE1EEEvT1_
                                        ; -- End function
	.set _ZN7rocprim17ROCPRIM_400000_NS6detail17trampoline_kernelINS0_14default_configENS1_25partition_config_selectorILNS1_17partition_subalgoE9EllbEEZZNS1_14partition_implILS5_9ELb0ES3_jPlS8_PNS0_10empty_typeENS0_5tupleIJS8_S9_EEENSB_IJS8_SA_EEENS0_18inequality_wrapperIZN2at6native12_GLOBAL__N_124unique_dim_cuda_templateIsEESt5tupleIJNSF_6TensorESK_SK_EERKSK_lbbbEUlllE0_EEPmJS9_EEE10hipError_tPvRmT3_T4_T5_T6_T7_T9_mT8_P12ihipStream_tbDpT10_ENKUlT_T0_E_clISt17integral_constantIbLb1EES19_IbLb0EEEEDaS15_S16_EUlS15_E_NS1_11comp_targetILNS1_3genE0ELNS1_11target_archE4294967295ELNS1_3gpuE0ELNS1_3repE0EEENS1_30default_config_static_selectorELNS0_4arch9wavefront6targetE1EEEvT1_.num_vgpr, 0
	.set _ZN7rocprim17ROCPRIM_400000_NS6detail17trampoline_kernelINS0_14default_configENS1_25partition_config_selectorILNS1_17partition_subalgoE9EllbEEZZNS1_14partition_implILS5_9ELb0ES3_jPlS8_PNS0_10empty_typeENS0_5tupleIJS8_S9_EEENSB_IJS8_SA_EEENS0_18inequality_wrapperIZN2at6native12_GLOBAL__N_124unique_dim_cuda_templateIsEESt5tupleIJNSF_6TensorESK_SK_EERKSK_lbbbEUlllE0_EEPmJS9_EEE10hipError_tPvRmT3_T4_T5_T6_T7_T9_mT8_P12ihipStream_tbDpT10_ENKUlT_T0_E_clISt17integral_constantIbLb1EES19_IbLb0EEEEDaS15_S16_EUlS15_E_NS1_11comp_targetILNS1_3genE0ELNS1_11target_archE4294967295ELNS1_3gpuE0ELNS1_3repE0EEENS1_30default_config_static_selectorELNS0_4arch9wavefront6targetE1EEEvT1_.num_agpr, 0
	.set _ZN7rocprim17ROCPRIM_400000_NS6detail17trampoline_kernelINS0_14default_configENS1_25partition_config_selectorILNS1_17partition_subalgoE9EllbEEZZNS1_14partition_implILS5_9ELb0ES3_jPlS8_PNS0_10empty_typeENS0_5tupleIJS8_S9_EEENSB_IJS8_SA_EEENS0_18inequality_wrapperIZN2at6native12_GLOBAL__N_124unique_dim_cuda_templateIsEESt5tupleIJNSF_6TensorESK_SK_EERKSK_lbbbEUlllE0_EEPmJS9_EEE10hipError_tPvRmT3_T4_T5_T6_T7_T9_mT8_P12ihipStream_tbDpT10_ENKUlT_T0_E_clISt17integral_constantIbLb1EES19_IbLb0EEEEDaS15_S16_EUlS15_E_NS1_11comp_targetILNS1_3genE0ELNS1_11target_archE4294967295ELNS1_3gpuE0ELNS1_3repE0EEENS1_30default_config_static_selectorELNS0_4arch9wavefront6targetE1EEEvT1_.numbered_sgpr, 0
	.set _ZN7rocprim17ROCPRIM_400000_NS6detail17trampoline_kernelINS0_14default_configENS1_25partition_config_selectorILNS1_17partition_subalgoE9EllbEEZZNS1_14partition_implILS5_9ELb0ES3_jPlS8_PNS0_10empty_typeENS0_5tupleIJS8_S9_EEENSB_IJS8_SA_EEENS0_18inequality_wrapperIZN2at6native12_GLOBAL__N_124unique_dim_cuda_templateIsEESt5tupleIJNSF_6TensorESK_SK_EERKSK_lbbbEUlllE0_EEPmJS9_EEE10hipError_tPvRmT3_T4_T5_T6_T7_T9_mT8_P12ihipStream_tbDpT10_ENKUlT_T0_E_clISt17integral_constantIbLb1EES19_IbLb0EEEEDaS15_S16_EUlS15_E_NS1_11comp_targetILNS1_3genE0ELNS1_11target_archE4294967295ELNS1_3gpuE0ELNS1_3repE0EEENS1_30default_config_static_selectorELNS0_4arch9wavefront6targetE1EEEvT1_.num_named_barrier, 0
	.set _ZN7rocprim17ROCPRIM_400000_NS6detail17trampoline_kernelINS0_14default_configENS1_25partition_config_selectorILNS1_17partition_subalgoE9EllbEEZZNS1_14partition_implILS5_9ELb0ES3_jPlS8_PNS0_10empty_typeENS0_5tupleIJS8_S9_EEENSB_IJS8_SA_EEENS0_18inequality_wrapperIZN2at6native12_GLOBAL__N_124unique_dim_cuda_templateIsEESt5tupleIJNSF_6TensorESK_SK_EERKSK_lbbbEUlllE0_EEPmJS9_EEE10hipError_tPvRmT3_T4_T5_T6_T7_T9_mT8_P12ihipStream_tbDpT10_ENKUlT_T0_E_clISt17integral_constantIbLb1EES19_IbLb0EEEEDaS15_S16_EUlS15_E_NS1_11comp_targetILNS1_3genE0ELNS1_11target_archE4294967295ELNS1_3gpuE0ELNS1_3repE0EEENS1_30default_config_static_selectorELNS0_4arch9wavefront6targetE1EEEvT1_.private_seg_size, 0
	.set _ZN7rocprim17ROCPRIM_400000_NS6detail17trampoline_kernelINS0_14default_configENS1_25partition_config_selectorILNS1_17partition_subalgoE9EllbEEZZNS1_14partition_implILS5_9ELb0ES3_jPlS8_PNS0_10empty_typeENS0_5tupleIJS8_S9_EEENSB_IJS8_SA_EEENS0_18inequality_wrapperIZN2at6native12_GLOBAL__N_124unique_dim_cuda_templateIsEESt5tupleIJNSF_6TensorESK_SK_EERKSK_lbbbEUlllE0_EEPmJS9_EEE10hipError_tPvRmT3_T4_T5_T6_T7_T9_mT8_P12ihipStream_tbDpT10_ENKUlT_T0_E_clISt17integral_constantIbLb1EES19_IbLb0EEEEDaS15_S16_EUlS15_E_NS1_11comp_targetILNS1_3genE0ELNS1_11target_archE4294967295ELNS1_3gpuE0ELNS1_3repE0EEENS1_30default_config_static_selectorELNS0_4arch9wavefront6targetE1EEEvT1_.uses_vcc, 0
	.set _ZN7rocprim17ROCPRIM_400000_NS6detail17trampoline_kernelINS0_14default_configENS1_25partition_config_selectorILNS1_17partition_subalgoE9EllbEEZZNS1_14partition_implILS5_9ELb0ES3_jPlS8_PNS0_10empty_typeENS0_5tupleIJS8_S9_EEENSB_IJS8_SA_EEENS0_18inequality_wrapperIZN2at6native12_GLOBAL__N_124unique_dim_cuda_templateIsEESt5tupleIJNSF_6TensorESK_SK_EERKSK_lbbbEUlllE0_EEPmJS9_EEE10hipError_tPvRmT3_T4_T5_T6_T7_T9_mT8_P12ihipStream_tbDpT10_ENKUlT_T0_E_clISt17integral_constantIbLb1EES19_IbLb0EEEEDaS15_S16_EUlS15_E_NS1_11comp_targetILNS1_3genE0ELNS1_11target_archE4294967295ELNS1_3gpuE0ELNS1_3repE0EEENS1_30default_config_static_selectorELNS0_4arch9wavefront6targetE1EEEvT1_.uses_flat_scratch, 0
	.set _ZN7rocprim17ROCPRIM_400000_NS6detail17trampoline_kernelINS0_14default_configENS1_25partition_config_selectorILNS1_17partition_subalgoE9EllbEEZZNS1_14partition_implILS5_9ELb0ES3_jPlS8_PNS0_10empty_typeENS0_5tupleIJS8_S9_EEENSB_IJS8_SA_EEENS0_18inequality_wrapperIZN2at6native12_GLOBAL__N_124unique_dim_cuda_templateIsEESt5tupleIJNSF_6TensorESK_SK_EERKSK_lbbbEUlllE0_EEPmJS9_EEE10hipError_tPvRmT3_T4_T5_T6_T7_T9_mT8_P12ihipStream_tbDpT10_ENKUlT_T0_E_clISt17integral_constantIbLb1EES19_IbLb0EEEEDaS15_S16_EUlS15_E_NS1_11comp_targetILNS1_3genE0ELNS1_11target_archE4294967295ELNS1_3gpuE0ELNS1_3repE0EEENS1_30default_config_static_selectorELNS0_4arch9wavefront6targetE1EEEvT1_.has_dyn_sized_stack, 0
	.set _ZN7rocprim17ROCPRIM_400000_NS6detail17trampoline_kernelINS0_14default_configENS1_25partition_config_selectorILNS1_17partition_subalgoE9EllbEEZZNS1_14partition_implILS5_9ELb0ES3_jPlS8_PNS0_10empty_typeENS0_5tupleIJS8_S9_EEENSB_IJS8_SA_EEENS0_18inequality_wrapperIZN2at6native12_GLOBAL__N_124unique_dim_cuda_templateIsEESt5tupleIJNSF_6TensorESK_SK_EERKSK_lbbbEUlllE0_EEPmJS9_EEE10hipError_tPvRmT3_T4_T5_T6_T7_T9_mT8_P12ihipStream_tbDpT10_ENKUlT_T0_E_clISt17integral_constantIbLb1EES19_IbLb0EEEEDaS15_S16_EUlS15_E_NS1_11comp_targetILNS1_3genE0ELNS1_11target_archE4294967295ELNS1_3gpuE0ELNS1_3repE0EEENS1_30default_config_static_selectorELNS0_4arch9wavefront6targetE1EEEvT1_.has_recursion, 0
	.set _ZN7rocprim17ROCPRIM_400000_NS6detail17trampoline_kernelINS0_14default_configENS1_25partition_config_selectorILNS1_17partition_subalgoE9EllbEEZZNS1_14partition_implILS5_9ELb0ES3_jPlS8_PNS0_10empty_typeENS0_5tupleIJS8_S9_EEENSB_IJS8_SA_EEENS0_18inequality_wrapperIZN2at6native12_GLOBAL__N_124unique_dim_cuda_templateIsEESt5tupleIJNSF_6TensorESK_SK_EERKSK_lbbbEUlllE0_EEPmJS9_EEE10hipError_tPvRmT3_T4_T5_T6_T7_T9_mT8_P12ihipStream_tbDpT10_ENKUlT_T0_E_clISt17integral_constantIbLb1EES19_IbLb0EEEEDaS15_S16_EUlS15_E_NS1_11comp_targetILNS1_3genE0ELNS1_11target_archE4294967295ELNS1_3gpuE0ELNS1_3repE0EEENS1_30default_config_static_selectorELNS0_4arch9wavefront6targetE1EEEvT1_.has_indirect_call, 0
	.section	.AMDGPU.csdata,"",@progbits
; Kernel info:
; codeLenInByte = 4
; TotalNumSgprs: 6
; NumVgprs: 0
; NumAgprs: 0
; TotalNumVgprs: 0
; ScratchSize: 0
; MemoryBound: 0
; FloatMode: 240
; IeeeMode: 1
; LDSByteSize: 0 bytes/workgroup (compile time only)
; SGPRBlocks: 0
; VGPRBlocks: 0
; NumSGPRsForWavesPerEU: 6
; NumVGPRsForWavesPerEU: 1
; AccumOffset: 4
; Occupancy: 8
; WaveLimiterHint : 0
; COMPUTE_PGM_RSRC2:SCRATCH_EN: 0
; COMPUTE_PGM_RSRC2:USER_SGPR: 2
; COMPUTE_PGM_RSRC2:TRAP_HANDLER: 0
; COMPUTE_PGM_RSRC2:TGID_X_EN: 1
; COMPUTE_PGM_RSRC2:TGID_Y_EN: 0
; COMPUTE_PGM_RSRC2:TGID_Z_EN: 0
; COMPUTE_PGM_RSRC2:TIDIG_COMP_CNT: 0
; COMPUTE_PGM_RSRC3_GFX90A:ACCUM_OFFSET: 0
; COMPUTE_PGM_RSRC3_GFX90A:TG_SPLIT: 0
	.section	.text._ZN7rocprim17ROCPRIM_400000_NS6detail17trampoline_kernelINS0_14default_configENS1_25partition_config_selectorILNS1_17partition_subalgoE9EllbEEZZNS1_14partition_implILS5_9ELb0ES3_jPlS8_PNS0_10empty_typeENS0_5tupleIJS8_S9_EEENSB_IJS8_SA_EEENS0_18inequality_wrapperIZN2at6native12_GLOBAL__N_124unique_dim_cuda_templateIsEESt5tupleIJNSF_6TensorESK_SK_EERKSK_lbbbEUlllE0_EEPmJS9_EEE10hipError_tPvRmT3_T4_T5_T6_T7_T9_mT8_P12ihipStream_tbDpT10_ENKUlT_T0_E_clISt17integral_constantIbLb1EES19_IbLb0EEEEDaS15_S16_EUlS15_E_NS1_11comp_targetILNS1_3genE5ELNS1_11target_archE942ELNS1_3gpuE9ELNS1_3repE0EEENS1_30default_config_static_selectorELNS0_4arch9wavefront6targetE1EEEvT1_,"axG",@progbits,_ZN7rocprim17ROCPRIM_400000_NS6detail17trampoline_kernelINS0_14default_configENS1_25partition_config_selectorILNS1_17partition_subalgoE9EllbEEZZNS1_14partition_implILS5_9ELb0ES3_jPlS8_PNS0_10empty_typeENS0_5tupleIJS8_S9_EEENSB_IJS8_SA_EEENS0_18inequality_wrapperIZN2at6native12_GLOBAL__N_124unique_dim_cuda_templateIsEESt5tupleIJNSF_6TensorESK_SK_EERKSK_lbbbEUlllE0_EEPmJS9_EEE10hipError_tPvRmT3_T4_T5_T6_T7_T9_mT8_P12ihipStream_tbDpT10_ENKUlT_T0_E_clISt17integral_constantIbLb1EES19_IbLb0EEEEDaS15_S16_EUlS15_E_NS1_11comp_targetILNS1_3genE5ELNS1_11target_archE942ELNS1_3gpuE9ELNS1_3repE0EEENS1_30default_config_static_selectorELNS0_4arch9wavefront6targetE1EEEvT1_,comdat
	.globl	_ZN7rocprim17ROCPRIM_400000_NS6detail17trampoline_kernelINS0_14default_configENS1_25partition_config_selectorILNS1_17partition_subalgoE9EllbEEZZNS1_14partition_implILS5_9ELb0ES3_jPlS8_PNS0_10empty_typeENS0_5tupleIJS8_S9_EEENSB_IJS8_SA_EEENS0_18inequality_wrapperIZN2at6native12_GLOBAL__N_124unique_dim_cuda_templateIsEESt5tupleIJNSF_6TensorESK_SK_EERKSK_lbbbEUlllE0_EEPmJS9_EEE10hipError_tPvRmT3_T4_T5_T6_T7_T9_mT8_P12ihipStream_tbDpT10_ENKUlT_T0_E_clISt17integral_constantIbLb1EES19_IbLb0EEEEDaS15_S16_EUlS15_E_NS1_11comp_targetILNS1_3genE5ELNS1_11target_archE942ELNS1_3gpuE9ELNS1_3repE0EEENS1_30default_config_static_selectorELNS0_4arch9wavefront6targetE1EEEvT1_ ; -- Begin function _ZN7rocprim17ROCPRIM_400000_NS6detail17trampoline_kernelINS0_14default_configENS1_25partition_config_selectorILNS1_17partition_subalgoE9EllbEEZZNS1_14partition_implILS5_9ELb0ES3_jPlS8_PNS0_10empty_typeENS0_5tupleIJS8_S9_EEENSB_IJS8_SA_EEENS0_18inequality_wrapperIZN2at6native12_GLOBAL__N_124unique_dim_cuda_templateIsEESt5tupleIJNSF_6TensorESK_SK_EERKSK_lbbbEUlllE0_EEPmJS9_EEE10hipError_tPvRmT3_T4_T5_T6_T7_T9_mT8_P12ihipStream_tbDpT10_ENKUlT_T0_E_clISt17integral_constantIbLb1EES19_IbLb0EEEEDaS15_S16_EUlS15_E_NS1_11comp_targetILNS1_3genE5ELNS1_11target_archE942ELNS1_3gpuE9ELNS1_3repE0EEENS1_30default_config_static_selectorELNS0_4arch9wavefront6targetE1EEEvT1_
	.p2align	8
	.type	_ZN7rocprim17ROCPRIM_400000_NS6detail17trampoline_kernelINS0_14default_configENS1_25partition_config_selectorILNS1_17partition_subalgoE9EllbEEZZNS1_14partition_implILS5_9ELb0ES3_jPlS8_PNS0_10empty_typeENS0_5tupleIJS8_S9_EEENSB_IJS8_SA_EEENS0_18inequality_wrapperIZN2at6native12_GLOBAL__N_124unique_dim_cuda_templateIsEESt5tupleIJNSF_6TensorESK_SK_EERKSK_lbbbEUlllE0_EEPmJS9_EEE10hipError_tPvRmT3_T4_T5_T6_T7_T9_mT8_P12ihipStream_tbDpT10_ENKUlT_T0_E_clISt17integral_constantIbLb1EES19_IbLb0EEEEDaS15_S16_EUlS15_E_NS1_11comp_targetILNS1_3genE5ELNS1_11target_archE942ELNS1_3gpuE9ELNS1_3repE0EEENS1_30default_config_static_selectorELNS0_4arch9wavefront6targetE1EEEvT1_,@function
_ZN7rocprim17ROCPRIM_400000_NS6detail17trampoline_kernelINS0_14default_configENS1_25partition_config_selectorILNS1_17partition_subalgoE9EllbEEZZNS1_14partition_implILS5_9ELb0ES3_jPlS8_PNS0_10empty_typeENS0_5tupleIJS8_S9_EEENSB_IJS8_SA_EEENS0_18inequality_wrapperIZN2at6native12_GLOBAL__N_124unique_dim_cuda_templateIsEESt5tupleIJNSF_6TensorESK_SK_EERKSK_lbbbEUlllE0_EEPmJS9_EEE10hipError_tPvRmT3_T4_T5_T6_T7_T9_mT8_P12ihipStream_tbDpT10_ENKUlT_T0_E_clISt17integral_constantIbLb1EES19_IbLb0EEEEDaS15_S16_EUlS15_E_NS1_11comp_targetILNS1_3genE5ELNS1_11target_archE942ELNS1_3gpuE9ELNS1_3repE0EEENS1_30default_config_static_selectorELNS0_4arch9wavefront6targetE1EEEvT1_: ; @_ZN7rocprim17ROCPRIM_400000_NS6detail17trampoline_kernelINS0_14default_configENS1_25partition_config_selectorILNS1_17partition_subalgoE9EllbEEZZNS1_14partition_implILS5_9ELb0ES3_jPlS8_PNS0_10empty_typeENS0_5tupleIJS8_S9_EEENSB_IJS8_SA_EEENS0_18inequality_wrapperIZN2at6native12_GLOBAL__N_124unique_dim_cuda_templateIsEESt5tupleIJNSF_6TensorESK_SK_EERKSK_lbbbEUlllE0_EEPmJS9_EEE10hipError_tPvRmT3_T4_T5_T6_T7_T9_mT8_P12ihipStream_tbDpT10_ENKUlT_T0_E_clISt17integral_constantIbLb1EES19_IbLb0EEEEDaS15_S16_EUlS15_E_NS1_11comp_targetILNS1_3genE5ELNS1_11target_archE942ELNS1_3gpuE9ELNS1_3repE0EEENS1_30default_config_static_selectorELNS0_4arch9wavefront6targetE1EEEvT1_
; %bb.0:
	.section	.rodata,"a",@progbits
	.p2align	6, 0x0
	.amdhsa_kernel _ZN7rocprim17ROCPRIM_400000_NS6detail17trampoline_kernelINS0_14default_configENS1_25partition_config_selectorILNS1_17partition_subalgoE9EllbEEZZNS1_14partition_implILS5_9ELb0ES3_jPlS8_PNS0_10empty_typeENS0_5tupleIJS8_S9_EEENSB_IJS8_SA_EEENS0_18inequality_wrapperIZN2at6native12_GLOBAL__N_124unique_dim_cuda_templateIsEESt5tupleIJNSF_6TensorESK_SK_EERKSK_lbbbEUlllE0_EEPmJS9_EEE10hipError_tPvRmT3_T4_T5_T6_T7_T9_mT8_P12ihipStream_tbDpT10_ENKUlT_T0_E_clISt17integral_constantIbLb1EES19_IbLb0EEEEDaS15_S16_EUlS15_E_NS1_11comp_targetILNS1_3genE5ELNS1_11target_archE942ELNS1_3gpuE9ELNS1_3repE0EEENS1_30default_config_static_selectorELNS0_4arch9wavefront6targetE1EEEvT1_
		.amdhsa_group_segment_fixed_size 0
		.amdhsa_private_segment_fixed_size 0
		.amdhsa_kernarg_size 120
		.amdhsa_user_sgpr_count 2
		.amdhsa_user_sgpr_dispatch_ptr 0
		.amdhsa_user_sgpr_queue_ptr 0
		.amdhsa_user_sgpr_kernarg_segment_ptr 1
		.amdhsa_user_sgpr_dispatch_id 0
		.amdhsa_user_sgpr_kernarg_preload_length 0
		.amdhsa_user_sgpr_kernarg_preload_offset 0
		.amdhsa_user_sgpr_private_segment_size 0
		.amdhsa_uses_dynamic_stack 0
		.amdhsa_enable_private_segment 0
		.amdhsa_system_sgpr_workgroup_id_x 1
		.amdhsa_system_sgpr_workgroup_id_y 0
		.amdhsa_system_sgpr_workgroup_id_z 0
		.amdhsa_system_sgpr_workgroup_info 0
		.amdhsa_system_vgpr_workitem_id 0
		.amdhsa_next_free_vgpr 1
		.amdhsa_next_free_sgpr 0
		.amdhsa_accum_offset 4
		.amdhsa_reserve_vcc 0
		.amdhsa_float_round_mode_32 0
		.amdhsa_float_round_mode_16_64 0
		.amdhsa_float_denorm_mode_32 3
		.amdhsa_float_denorm_mode_16_64 3
		.amdhsa_dx10_clamp 1
		.amdhsa_ieee_mode 1
		.amdhsa_fp16_overflow 0
		.amdhsa_tg_split 0
		.amdhsa_exception_fp_ieee_invalid_op 0
		.amdhsa_exception_fp_denorm_src 0
		.amdhsa_exception_fp_ieee_div_zero 0
		.amdhsa_exception_fp_ieee_overflow 0
		.amdhsa_exception_fp_ieee_underflow 0
		.amdhsa_exception_fp_ieee_inexact 0
		.amdhsa_exception_int_div_zero 0
	.end_amdhsa_kernel
	.section	.text._ZN7rocprim17ROCPRIM_400000_NS6detail17trampoline_kernelINS0_14default_configENS1_25partition_config_selectorILNS1_17partition_subalgoE9EllbEEZZNS1_14partition_implILS5_9ELb0ES3_jPlS8_PNS0_10empty_typeENS0_5tupleIJS8_S9_EEENSB_IJS8_SA_EEENS0_18inequality_wrapperIZN2at6native12_GLOBAL__N_124unique_dim_cuda_templateIsEESt5tupleIJNSF_6TensorESK_SK_EERKSK_lbbbEUlllE0_EEPmJS9_EEE10hipError_tPvRmT3_T4_T5_T6_T7_T9_mT8_P12ihipStream_tbDpT10_ENKUlT_T0_E_clISt17integral_constantIbLb1EES19_IbLb0EEEEDaS15_S16_EUlS15_E_NS1_11comp_targetILNS1_3genE5ELNS1_11target_archE942ELNS1_3gpuE9ELNS1_3repE0EEENS1_30default_config_static_selectorELNS0_4arch9wavefront6targetE1EEEvT1_,"axG",@progbits,_ZN7rocprim17ROCPRIM_400000_NS6detail17trampoline_kernelINS0_14default_configENS1_25partition_config_selectorILNS1_17partition_subalgoE9EllbEEZZNS1_14partition_implILS5_9ELb0ES3_jPlS8_PNS0_10empty_typeENS0_5tupleIJS8_S9_EEENSB_IJS8_SA_EEENS0_18inequality_wrapperIZN2at6native12_GLOBAL__N_124unique_dim_cuda_templateIsEESt5tupleIJNSF_6TensorESK_SK_EERKSK_lbbbEUlllE0_EEPmJS9_EEE10hipError_tPvRmT3_T4_T5_T6_T7_T9_mT8_P12ihipStream_tbDpT10_ENKUlT_T0_E_clISt17integral_constantIbLb1EES19_IbLb0EEEEDaS15_S16_EUlS15_E_NS1_11comp_targetILNS1_3genE5ELNS1_11target_archE942ELNS1_3gpuE9ELNS1_3repE0EEENS1_30default_config_static_selectorELNS0_4arch9wavefront6targetE1EEEvT1_,comdat
.Lfunc_end734:
	.size	_ZN7rocprim17ROCPRIM_400000_NS6detail17trampoline_kernelINS0_14default_configENS1_25partition_config_selectorILNS1_17partition_subalgoE9EllbEEZZNS1_14partition_implILS5_9ELb0ES3_jPlS8_PNS0_10empty_typeENS0_5tupleIJS8_S9_EEENSB_IJS8_SA_EEENS0_18inequality_wrapperIZN2at6native12_GLOBAL__N_124unique_dim_cuda_templateIsEESt5tupleIJNSF_6TensorESK_SK_EERKSK_lbbbEUlllE0_EEPmJS9_EEE10hipError_tPvRmT3_T4_T5_T6_T7_T9_mT8_P12ihipStream_tbDpT10_ENKUlT_T0_E_clISt17integral_constantIbLb1EES19_IbLb0EEEEDaS15_S16_EUlS15_E_NS1_11comp_targetILNS1_3genE5ELNS1_11target_archE942ELNS1_3gpuE9ELNS1_3repE0EEENS1_30default_config_static_selectorELNS0_4arch9wavefront6targetE1EEEvT1_, .Lfunc_end734-_ZN7rocprim17ROCPRIM_400000_NS6detail17trampoline_kernelINS0_14default_configENS1_25partition_config_selectorILNS1_17partition_subalgoE9EllbEEZZNS1_14partition_implILS5_9ELb0ES3_jPlS8_PNS0_10empty_typeENS0_5tupleIJS8_S9_EEENSB_IJS8_SA_EEENS0_18inequality_wrapperIZN2at6native12_GLOBAL__N_124unique_dim_cuda_templateIsEESt5tupleIJNSF_6TensorESK_SK_EERKSK_lbbbEUlllE0_EEPmJS9_EEE10hipError_tPvRmT3_T4_T5_T6_T7_T9_mT8_P12ihipStream_tbDpT10_ENKUlT_T0_E_clISt17integral_constantIbLb1EES19_IbLb0EEEEDaS15_S16_EUlS15_E_NS1_11comp_targetILNS1_3genE5ELNS1_11target_archE942ELNS1_3gpuE9ELNS1_3repE0EEENS1_30default_config_static_selectorELNS0_4arch9wavefront6targetE1EEEvT1_
                                        ; -- End function
	.set _ZN7rocprim17ROCPRIM_400000_NS6detail17trampoline_kernelINS0_14default_configENS1_25partition_config_selectorILNS1_17partition_subalgoE9EllbEEZZNS1_14partition_implILS5_9ELb0ES3_jPlS8_PNS0_10empty_typeENS0_5tupleIJS8_S9_EEENSB_IJS8_SA_EEENS0_18inequality_wrapperIZN2at6native12_GLOBAL__N_124unique_dim_cuda_templateIsEESt5tupleIJNSF_6TensorESK_SK_EERKSK_lbbbEUlllE0_EEPmJS9_EEE10hipError_tPvRmT3_T4_T5_T6_T7_T9_mT8_P12ihipStream_tbDpT10_ENKUlT_T0_E_clISt17integral_constantIbLb1EES19_IbLb0EEEEDaS15_S16_EUlS15_E_NS1_11comp_targetILNS1_3genE5ELNS1_11target_archE942ELNS1_3gpuE9ELNS1_3repE0EEENS1_30default_config_static_selectorELNS0_4arch9wavefront6targetE1EEEvT1_.num_vgpr, 0
	.set _ZN7rocprim17ROCPRIM_400000_NS6detail17trampoline_kernelINS0_14default_configENS1_25partition_config_selectorILNS1_17partition_subalgoE9EllbEEZZNS1_14partition_implILS5_9ELb0ES3_jPlS8_PNS0_10empty_typeENS0_5tupleIJS8_S9_EEENSB_IJS8_SA_EEENS0_18inequality_wrapperIZN2at6native12_GLOBAL__N_124unique_dim_cuda_templateIsEESt5tupleIJNSF_6TensorESK_SK_EERKSK_lbbbEUlllE0_EEPmJS9_EEE10hipError_tPvRmT3_T4_T5_T6_T7_T9_mT8_P12ihipStream_tbDpT10_ENKUlT_T0_E_clISt17integral_constantIbLb1EES19_IbLb0EEEEDaS15_S16_EUlS15_E_NS1_11comp_targetILNS1_3genE5ELNS1_11target_archE942ELNS1_3gpuE9ELNS1_3repE0EEENS1_30default_config_static_selectorELNS0_4arch9wavefront6targetE1EEEvT1_.num_agpr, 0
	.set _ZN7rocprim17ROCPRIM_400000_NS6detail17trampoline_kernelINS0_14default_configENS1_25partition_config_selectorILNS1_17partition_subalgoE9EllbEEZZNS1_14partition_implILS5_9ELb0ES3_jPlS8_PNS0_10empty_typeENS0_5tupleIJS8_S9_EEENSB_IJS8_SA_EEENS0_18inequality_wrapperIZN2at6native12_GLOBAL__N_124unique_dim_cuda_templateIsEESt5tupleIJNSF_6TensorESK_SK_EERKSK_lbbbEUlllE0_EEPmJS9_EEE10hipError_tPvRmT3_T4_T5_T6_T7_T9_mT8_P12ihipStream_tbDpT10_ENKUlT_T0_E_clISt17integral_constantIbLb1EES19_IbLb0EEEEDaS15_S16_EUlS15_E_NS1_11comp_targetILNS1_3genE5ELNS1_11target_archE942ELNS1_3gpuE9ELNS1_3repE0EEENS1_30default_config_static_selectorELNS0_4arch9wavefront6targetE1EEEvT1_.numbered_sgpr, 0
	.set _ZN7rocprim17ROCPRIM_400000_NS6detail17trampoline_kernelINS0_14default_configENS1_25partition_config_selectorILNS1_17partition_subalgoE9EllbEEZZNS1_14partition_implILS5_9ELb0ES3_jPlS8_PNS0_10empty_typeENS0_5tupleIJS8_S9_EEENSB_IJS8_SA_EEENS0_18inequality_wrapperIZN2at6native12_GLOBAL__N_124unique_dim_cuda_templateIsEESt5tupleIJNSF_6TensorESK_SK_EERKSK_lbbbEUlllE0_EEPmJS9_EEE10hipError_tPvRmT3_T4_T5_T6_T7_T9_mT8_P12ihipStream_tbDpT10_ENKUlT_T0_E_clISt17integral_constantIbLb1EES19_IbLb0EEEEDaS15_S16_EUlS15_E_NS1_11comp_targetILNS1_3genE5ELNS1_11target_archE942ELNS1_3gpuE9ELNS1_3repE0EEENS1_30default_config_static_selectorELNS0_4arch9wavefront6targetE1EEEvT1_.num_named_barrier, 0
	.set _ZN7rocprim17ROCPRIM_400000_NS6detail17trampoline_kernelINS0_14default_configENS1_25partition_config_selectorILNS1_17partition_subalgoE9EllbEEZZNS1_14partition_implILS5_9ELb0ES3_jPlS8_PNS0_10empty_typeENS0_5tupleIJS8_S9_EEENSB_IJS8_SA_EEENS0_18inequality_wrapperIZN2at6native12_GLOBAL__N_124unique_dim_cuda_templateIsEESt5tupleIJNSF_6TensorESK_SK_EERKSK_lbbbEUlllE0_EEPmJS9_EEE10hipError_tPvRmT3_T4_T5_T6_T7_T9_mT8_P12ihipStream_tbDpT10_ENKUlT_T0_E_clISt17integral_constantIbLb1EES19_IbLb0EEEEDaS15_S16_EUlS15_E_NS1_11comp_targetILNS1_3genE5ELNS1_11target_archE942ELNS1_3gpuE9ELNS1_3repE0EEENS1_30default_config_static_selectorELNS0_4arch9wavefront6targetE1EEEvT1_.private_seg_size, 0
	.set _ZN7rocprim17ROCPRIM_400000_NS6detail17trampoline_kernelINS0_14default_configENS1_25partition_config_selectorILNS1_17partition_subalgoE9EllbEEZZNS1_14partition_implILS5_9ELb0ES3_jPlS8_PNS0_10empty_typeENS0_5tupleIJS8_S9_EEENSB_IJS8_SA_EEENS0_18inequality_wrapperIZN2at6native12_GLOBAL__N_124unique_dim_cuda_templateIsEESt5tupleIJNSF_6TensorESK_SK_EERKSK_lbbbEUlllE0_EEPmJS9_EEE10hipError_tPvRmT3_T4_T5_T6_T7_T9_mT8_P12ihipStream_tbDpT10_ENKUlT_T0_E_clISt17integral_constantIbLb1EES19_IbLb0EEEEDaS15_S16_EUlS15_E_NS1_11comp_targetILNS1_3genE5ELNS1_11target_archE942ELNS1_3gpuE9ELNS1_3repE0EEENS1_30default_config_static_selectorELNS0_4arch9wavefront6targetE1EEEvT1_.uses_vcc, 0
	.set _ZN7rocprim17ROCPRIM_400000_NS6detail17trampoline_kernelINS0_14default_configENS1_25partition_config_selectorILNS1_17partition_subalgoE9EllbEEZZNS1_14partition_implILS5_9ELb0ES3_jPlS8_PNS0_10empty_typeENS0_5tupleIJS8_S9_EEENSB_IJS8_SA_EEENS0_18inequality_wrapperIZN2at6native12_GLOBAL__N_124unique_dim_cuda_templateIsEESt5tupleIJNSF_6TensorESK_SK_EERKSK_lbbbEUlllE0_EEPmJS9_EEE10hipError_tPvRmT3_T4_T5_T6_T7_T9_mT8_P12ihipStream_tbDpT10_ENKUlT_T0_E_clISt17integral_constantIbLb1EES19_IbLb0EEEEDaS15_S16_EUlS15_E_NS1_11comp_targetILNS1_3genE5ELNS1_11target_archE942ELNS1_3gpuE9ELNS1_3repE0EEENS1_30default_config_static_selectorELNS0_4arch9wavefront6targetE1EEEvT1_.uses_flat_scratch, 0
	.set _ZN7rocprim17ROCPRIM_400000_NS6detail17trampoline_kernelINS0_14default_configENS1_25partition_config_selectorILNS1_17partition_subalgoE9EllbEEZZNS1_14partition_implILS5_9ELb0ES3_jPlS8_PNS0_10empty_typeENS0_5tupleIJS8_S9_EEENSB_IJS8_SA_EEENS0_18inequality_wrapperIZN2at6native12_GLOBAL__N_124unique_dim_cuda_templateIsEESt5tupleIJNSF_6TensorESK_SK_EERKSK_lbbbEUlllE0_EEPmJS9_EEE10hipError_tPvRmT3_T4_T5_T6_T7_T9_mT8_P12ihipStream_tbDpT10_ENKUlT_T0_E_clISt17integral_constantIbLb1EES19_IbLb0EEEEDaS15_S16_EUlS15_E_NS1_11comp_targetILNS1_3genE5ELNS1_11target_archE942ELNS1_3gpuE9ELNS1_3repE0EEENS1_30default_config_static_selectorELNS0_4arch9wavefront6targetE1EEEvT1_.has_dyn_sized_stack, 0
	.set _ZN7rocprim17ROCPRIM_400000_NS6detail17trampoline_kernelINS0_14default_configENS1_25partition_config_selectorILNS1_17partition_subalgoE9EllbEEZZNS1_14partition_implILS5_9ELb0ES3_jPlS8_PNS0_10empty_typeENS0_5tupleIJS8_S9_EEENSB_IJS8_SA_EEENS0_18inequality_wrapperIZN2at6native12_GLOBAL__N_124unique_dim_cuda_templateIsEESt5tupleIJNSF_6TensorESK_SK_EERKSK_lbbbEUlllE0_EEPmJS9_EEE10hipError_tPvRmT3_T4_T5_T6_T7_T9_mT8_P12ihipStream_tbDpT10_ENKUlT_T0_E_clISt17integral_constantIbLb1EES19_IbLb0EEEEDaS15_S16_EUlS15_E_NS1_11comp_targetILNS1_3genE5ELNS1_11target_archE942ELNS1_3gpuE9ELNS1_3repE0EEENS1_30default_config_static_selectorELNS0_4arch9wavefront6targetE1EEEvT1_.has_recursion, 0
	.set _ZN7rocprim17ROCPRIM_400000_NS6detail17trampoline_kernelINS0_14default_configENS1_25partition_config_selectorILNS1_17partition_subalgoE9EllbEEZZNS1_14partition_implILS5_9ELb0ES3_jPlS8_PNS0_10empty_typeENS0_5tupleIJS8_S9_EEENSB_IJS8_SA_EEENS0_18inequality_wrapperIZN2at6native12_GLOBAL__N_124unique_dim_cuda_templateIsEESt5tupleIJNSF_6TensorESK_SK_EERKSK_lbbbEUlllE0_EEPmJS9_EEE10hipError_tPvRmT3_T4_T5_T6_T7_T9_mT8_P12ihipStream_tbDpT10_ENKUlT_T0_E_clISt17integral_constantIbLb1EES19_IbLb0EEEEDaS15_S16_EUlS15_E_NS1_11comp_targetILNS1_3genE5ELNS1_11target_archE942ELNS1_3gpuE9ELNS1_3repE0EEENS1_30default_config_static_selectorELNS0_4arch9wavefront6targetE1EEEvT1_.has_indirect_call, 0
	.section	.AMDGPU.csdata,"",@progbits
; Kernel info:
; codeLenInByte = 0
; TotalNumSgprs: 6
; NumVgprs: 0
; NumAgprs: 0
; TotalNumVgprs: 0
; ScratchSize: 0
; MemoryBound: 0
; FloatMode: 240
; IeeeMode: 1
; LDSByteSize: 0 bytes/workgroup (compile time only)
; SGPRBlocks: 0
; VGPRBlocks: 0
; NumSGPRsForWavesPerEU: 6
; NumVGPRsForWavesPerEU: 1
; AccumOffset: 4
; Occupancy: 8
; WaveLimiterHint : 0
; COMPUTE_PGM_RSRC2:SCRATCH_EN: 0
; COMPUTE_PGM_RSRC2:USER_SGPR: 2
; COMPUTE_PGM_RSRC2:TRAP_HANDLER: 0
; COMPUTE_PGM_RSRC2:TGID_X_EN: 1
; COMPUTE_PGM_RSRC2:TGID_Y_EN: 0
; COMPUTE_PGM_RSRC2:TGID_Z_EN: 0
; COMPUTE_PGM_RSRC2:TIDIG_COMP_CNT: 0
; COMPUTE_PGM_RSRC3_GFX90A:ACCUM_OFFSET: 0
; COMPUTE_PGM_RSRC3_GFX90A:TG_SPLIT: 0
	.section	.text._ZN7rocprim17ROCPRIM_400000_NS6detail17trampoline_kernelINS0_14default_configENS1_25partition_config_selectorILNS1_17partition_subalgoE9EllbEEZZNS1_14partition_implILS5_9ELb0ES3_jPlS8_PNS0_10empty_typeENS0_5tupleIJS8_S9_EEENSB_IJS8_SA_EEENS0_18inequality_wrapperIZN2at6native12_GLOBAL__N_124unique_dim_cuda_templateIsEESt5tupleIJNSF_6TensorESK_SK_EERKSK_lbbbEUlllE0_EEPmJS9_EEE10hipError_tPvRmT3_T4_T5_T6_T7_T9_mT8_P12ihipStream_tbDpT10_ENKUlT_T0_E_clISt17integral_constantIbLb1EES19_IbLb0EEEEDaS15_S16_EUlS15_E_NS1_11comp_targetILNS1_3genE4ELNS1_11target_archE910ELNS1_3gpuE8ELNS1_3repE0EEENS1_30default_config_static_selectorELNS0_4arch9wavefront6targetE1EEEvT1_,"axG",@progbits,_ZN7rocprim17ROCPRIM_400000_NS6detail17trampoline_kernelINS0_14default_configENS1_25partition_config_selectorILNS1_17partition_subalgoE9EllbEEZZNS1_14partition_implILS5_9ELb0ES3_jPlS8_PNS0_10empty_typeENS0_5tupleIJS8_S9_EEENSB_IJS8_SA_EEENS0_18inequality_wrapperIZN2at6native12_GLOBAL__N_124unique_dim_cuda_templateIsEESt5tupleIJNSF_6TensorESK_SK_EERKSK_lbbbEUlllE0_EEPmJS9_EEE10hipError_tPvRmT3_T4_T5_T6_T7_T9_mT8_P12ihipStream_tbDpT10_ENKUlT_T0_E_clISt17integral_constantIbLb1EES19_IbLb0EEEEDaS15_S16_EUlS15_E_NS1_11comp_targetILNS1_3genE4ELNS1_11target_archE910ELNS1_3gpuE8ELNS1_3repE0EEENS1_30default_config_static_selectorELNS0_4arch9wavefront6targetE1EEEvT1_,comdat
	.globl	_ZN7rocprim17ROCPRIM_400000_NS6detail17trampoline_kernelINS0_14default_configENS1_25partition_config_selectorILNS1_17partition_subalgoE9EllbEEZZNS1_14partition_implILS5_9ELb0ES3_jPlS8_PNS0_10empty_typeENS0_5tupleIJS8_S9_EEENSB_IJS8_SA_EEENS0_18inequality_wrapperIZN2at6native12_GLOBAL__N_124unique_dim_cuda_templateIsEESt5tupleIJNSF_6TensorESK_SK_EERKSK_lbbbEUlllE0_EEPmJS9_EEE10hipError_tPvRmT3_T4_T5_T6_T7_T9_mT8_P12ihipStream_tbDpT10_ENKUlT_T0_E_clISt17integral_constantIbLb1EES19_IbLb0EEEEDaS15_S16_EUlS15_E_NS1_11comp_targetILNS1_3genE4ELNS1_11target_archE910ELNS1_3gpuE8ELNS1_3repE0EEENS1_30default_config_static_selectorELNS0_4arch9wavefront6targetE1EEEvT1_ ; -- Begin function _ZN7rocprim17ROCPRIM_400000_NS6detail17trampoline_kernelINS0_14default_configENS1_25partition_config_selectorILNS1_17partition_subalgoE9EllbEEZZNS1_14partition_implILS5_9ELb0ES3_jPlS8_PNS0_10empty_typeENS0_5tupleIJS8_S9_EEENSB_IJS8_SA_EEENS0_18inequality_wrapperIZN2at6native12_GLOBAL__N_124unique_dim_cuda_templateIsEESt5tupleIJNSF_6TensorESK_SK_EERKSK_lbbbEUlllE0_EEPmJS9_EEE10hipError_tPvRmT3_T4_T5_T6_T7_T9_mT8_P12ihipStream_tbDpT10_ENKUlT_T0_E_clISt17integral_constantIbLb1EES19_IbLb0EEEEDaS15_S16_EUlS15_E_NS1_11comp_targetILNS1_3genE4ELNS1_11target_archE910ELNS1_3gpuE8ELNS1_3repE0EEENS1_30default_config_static_selectorELNS0_4arch9wavefront6targetE1EEEvT1_
	.p2align	8
	.type	_ZN7rocprim17ROCPRIM_400000_NS6detail17trampoline_kernelINS0_14default_configENS1_25partition_config_selectorILNS1_17partition_subalgoE9EllbEEZZNS1_14partition_implILS5_9ELb0ES3_jPlS8_PNS0_10empty_typeENS0_5tupleIJS8_S9_EEENSB_IJS8_SA_EEENS0_18inequality_wrapperIZN2at6native12_GLOBAL__N_124unique_dim_cuda_templateIsEESt5tupleIJNSF_6TensorESK_SK_EERKSK_lbbbEUlllE0_EEPmJS9_EEE10hipError_tPvRmT3_T4_T5_T6_T7_T9_mT8_P12ihipStream_tbDpT10_ENKUlT_T0_E_clISt17integral_constantIbLb1EES19_IbLb0EEEEDaS15_S16_EUlS15_E_NS1_11comp_targetILNS1_3genE4ELNS1_11target_archE910ELNS1_3gpuE8ELNS1_3repE0EEENS1_30default_config_static_selectorELNS0_4arch9wavefront6targetE1EEEvT1_,@function
_ZN7rocprim17ROCPRIM_400000_NS6detail17trampoline_kernelINS0_14default_configENS1_25partition_config_selectorILNS1_17partition_subalgoE9EllbEEZZNS1_14partition_implILS5_9ELb0ES3_jPlS8_PNS0_10empty_typeENS0_5tupleIJS8_S9_EEENSB_IJS8_SA_EEENS0_18inequality_wrapperIZN2at6native12_GLOBAL__N_124unique_dim_cuda_templateIsEESt5tupleIJNSF_6TensorESK_SK_EERKSK_lbbbEUlllE0_EEPmJS9_EEE10hipError_tPvRmT3_T4_T5_T6_T7_T9_mT8_P12ihipStream_tbDpT10_ENKUlT_T0_E_clISt17integral_constantIbLb1EES19_IbLb0EEEEDaS15_S16_EUlS15_E_NS1_11comp_targetILNS1_3genE4ELNS1_11target_archE910ELNS1_3gpuE8ELNS1_3repE0EEENS1_30default_config_static_selectorELNS0_4arch9wavefront6targetE1EEEvT1_: ; @_ZN7rocprim17ROCPRIM_400000_NS6detail17trampoline_kernelINS0_14default_configENS1_25partition_config_selectorILNS1_17partition_subalgoE9EllbEEZZNS1_14partition_implILS5_9ELb0ES3_jPlS8_PNS0_10empty_typeENS0_5tupleIJS8_S9_EEENSB_IJS8_SA_EEENS0_18inequality_wrapperIZN2at6native12_GLOBAL__N_124unique_dim_cuda_templateIsEESt5tupleIJNSF_6TensorESK_SK_EERKSK_lbbbEUlllE0_EEPmJS9_EEE10hipError_tPvRmT3_T4_T5_T6_T7_T9_mT8_P12ihipStream_tbDpT10_ENKUlT_T0_E_clISt17integral_constantIbLb1EES19_IbLb0EEEEDaS15_S16_EUlS15_E_NS1_11comp_targetILNS1_3genE4ELNS1_11target_archE910ELNS1_3gpuE8ELNS1_3repE0EEENS1_30default_config_static_selectorELNS0_4arch9wavefront6targetE1EEEvT1_
; %bb.0:
	.section	.rodata,"a",@progbits
	.p2align	6, 0x0
	.amdhsa_kernel _ZN7rocprim17ROCPRIM_400000_NS6detail17trampoline_kernelINS0_14default_configENS1_25partition_config_selectorILNS1_17partition_subalgoE9EllbEEZZNS1_14partition_implILS5_9ELb0ES3_jPlS8_PNS0_10empty_typeENS0_5tupleIJS8_S9_EEENSB_IJS8_SA_EEENS0_18inequality_wrapperIZN2at6native12_GLOBAL__N_124unique_dim_cuda_templateIsEESt5tupleIJNSF_6TensorESK_SK_EERKSK_lbbbEUlllE0_EEPmJS9_EEE10hipError_tPvRmT3_T4_T5_T6_T7_T9_mT8_P12ihipStream_tbDpT10_ENKUlT_T0_E_clISt17integral_constantIbLb1EES19_IbLb0EEEEDaS15_S16_EUlS15_E_NS1_11comp_targetILNS1_3genE4ELNS1_11target_archE910ELNS1_3gpuE8ELNS1_3repE0EEENS1_30default_config_static_selectorELNS0_4arch9wavefront6targetE1EEEvT1_
		.amdhsa_group_segment_fixed_size 0
		.amdhsa_private_segment_fixed_size 0
		.amdhsa_kernarg_size 120
		.amdhsa_user_sgpr_count 2
		.amdhsa_user_sgpr_dispatch_ptr 0
		.amdhsa_user_sgpr_queue_ptr 0
		.amdhsa_user_sgpr_kernarg_segment_ptr 1
		.amdhsa_user_sgpr_dispatch_id 0
		.amdhsa_user_sgpr_kernarg_preload_length 0
		.amdhsa_user_sgpr_kernarg_preload_offset 0
		.amdhsa_user_sgpr_private_segment_size 0
		.amdhsa_uses_dynamic_stack 0
		.amdhsa_enable_private_segment 0
		.amdhsa_system_sgpr_workgroup_id_x 1
		.amdhsa_system_sgpr_workgroup_id_y 0
		.amdhsa_system_sgpr_workgroup_id_z 0
		.amdhsa_system_sgpr_workgroup_info 0
		.amdhsa_system_vgpr_workitem_id 0
		.amdhsa_next_free_vgpr 1
		.amdhsa_next_free_sgpr 0
		.amdhsa_accum_offset 4
		.amdhsa_reserve_vcc 0
		.amdhsa_float_round_mode_32 0
		.amdhsa_float_round_mode_16_64 0
		.amdhsa_float_denorm_mode_32 3
		.amdhsa_float_denorm_mode_16_64 3
		.amdhsa_dx10_clamp 1
		.amdhsa_ieee_mode 1
		.amdhsa_fp16_overflow 0
		.amdhsa_tg_split 0
		.amdhsa_exception_fp_ieee_invalid_op 0
		.amdhsa_exception_fp_denorm_src 0
		.amdhsa_exception_fp_ieee_div_zero 0
		.amdhsa_exception_fp_ieee_overflow 0
		.amdhsa_exception_fp_ieee_underflow 0
		.amdhsa_exception_fp_ieee_inexact 0
		.amdhsa_exception_int_div_zero 0
	.end_amdhsa_kernel
	.section	.text._ZN7rocprim17ROCPRIM_400000_NS6detail17trampoline_kernelINS0_14default_configENS1_25partition_config_selectorILNS1_17partition_subalgoE9EllbEEZZNS1_14partition_implILS5_9ELb0ES3_jPlS8_PNS0_10empty_typeENS0_5tupleIJS8_S9_EEENSB_IJS8_SA_EEENS0_18inequality_wrapperIZN2at6native12_GLOBAL__N_124unique_dim_cuda_templateIsEESt5tupleIJNSF_6TensorESK_SK_EERKSK_lbbbEUlllE0_EEPmJS9_EEE10hipError_tPvRmT3_T4_T5_T6_T7_T9_mT8_P12ihipStream_tbDpT10_ENKUlT_T0_E_clISt17integral_constantIbLb1EES19_IbLb0EEEEDaS15_S16_EUlS15_E_NS1_11comp_targetILNS1_3genE4ELNS1_11target_archE910ELNS1_3gpuE8ELNS1_3repE0EEENS1_30default_config_static_selectorELNS0_4arch9wavefront6targetE1EEEvT1_,"axG",@progbits,_ZN7rocprim17ROCPRIM_400000_NS6detail17trampoline_kernelINS0_14default_configENS1_25partition_config_selectorILNS1_17partition_subalgoE9EllbEEZZNS1_14partition_implILS5_9ELb0ES3_jPlS8_PNS0_10empty_typeENS0_5tupleIJS8_S9_EEENSB_IJS8_SA_EEENS0_18inequality_wrapperIZN2at6native12_GLOBAL__N_124unique_dim_cuda_templateIsEESt5tupleIJNSF_6TensorESK_SK_EERKSK_lbbbEUlllE0_EEPmJS9_EEE10hipError_tPvRmT3_T4_T5_T6_T7_T9_mT8_P12ihipStream_tbDpT10_ENKUlT_T0_E_clISt17integral_constantIbLb1EES19_IbLb0EEEEDaS15_S16_EUlS15_E_NS1_11comp_targetILNS1_3genE4ELNS1_11target_archE910ELNS1_3gpuE8ELNS1_3repE0EEENS1_30default_config_static_selectorELNS0_4arch9wavefront6targetE1EEEvT1_,comdat
.Lfunc_end735:
	.size	_ZN7rocprim17ROCPRIM_400000_NS6detail17trampoline_kernelINS0_14default_configENS1_25partition_config_selectorILNS1_17partition_subalgoE9EllbEEZZNS1_14partition_implILS5_9ELb0ES3_jPlS8_PNS0_10empty_typeENS0_5tupleIJS8_S9_EEENSB_IJS8_SA_EEENS0_18inequality_wrapperIZN2at6native12_GLOBAL__N_124unique_dim_cuda_templateIsEESt5tupleIJNSF_6TensorESK_SK_EERKSK_lbbbEUlllE0_EEPmJS9_EEE10hipError_tPvRmT3_T4_T5_T6_T7_T9_mT8_P12ihipStream_tbDpT10_ENKUlT_T0_E_clISt17integral_constantIbLb1EES19_IbLb0EEEEDaS15_S16_EUlS15_E_NS1_11comp_targetILNS1_3genE4ELNS1_11target_archE910ELNS1_3gpuE8ELNS1_3repE0EEENS1_30default_config_static_selectorELNS0_4arch9wavefront6targetE1EEEvT1_, .Lfunc_end735-_ZN7rocprim17ROCPRIM_400000_NS6detail17trampoline_kernelINS0_14default_configENS1_25partition_config_selectorILNS1_17partition_subalgoE9EllbEEZZNS1_14partition_implILS5_9ELb0ES3_jPlS8_PNS0_10empty_typeENS0_5tupleIJS8_S9_EEENSB_IJS8_SA_EEENS0_18inequality_wrapperIZN2at6native12_GLOBAL__N_124unique_dim_cuda_templateIsEESt5tupleIJNSF_6TensorESK_SK_EERKSK_lbbbEUlllE0_EEPmJS9_EEE10hipError_tPvRmT3_T4_T5_T6_T7_T9_mT8_P12ihipStream_tbDpT10_ENKUlT_T0_E_clISt17integral_constantIbLb1EES19_IbLb0EEEEDaS15_S16_EUlS15_E_NS1_11comp_targetILNS1_3genE4ELNS1_11target_archE910ELNS1_3gpuE8ELNS1_3repE0EEENS1_30default_config_static_selectorELNS0_4arch9wavefront6targetE1EEEvT1_
                                        ; -- End function
	.set _ZN7rocprim17ROCPRIM_400000_NS6detail17trampoline_kernelINS0_14default_configENS1_25partition_config_selectorILNS1_17partition_subalgoE9EllbEEZZNS1_14partition_implILS5_9ELb0ES3_jPlS8_PNS0_10empty_typeENS0_5tupleIJS8_S9_EEENSB_IJS8_SA_EEENS0_18inequality_wrapperIZN2at6native12_GLOBAL__N_124unique_dim_cuda_templateIsEESt5tupleIJNSF_6TensorESK_SK_EERKSK_lbbbEUlllE0_EEPmJS9_EEE10hipError_tPvRmT3_T4_T5_T6_T7_T9_mT8_P12ihipStream_tbDpT10_ENKUlT_T0_E_clISt17integral_constantIbLb1EES19_IbLb0EEEEDaS15_S16_EUlS15_E_NS1_11comp_targetILNS1_3genE4ELNS1_11target_archE910ELNS1_3gpuE8ELNS1_3repE0EEENS1_30default_config_static_selectorELNS0_4arch9wavefront6targetE1EEEvT1_.num_vgpr, 0
	.set _ZN7rocprim17ROCPRIM_400000_NS6detail17trampoline_kernelINS0_14default_configENS1_25partition_config_selectorILNS1_17partition_subalgoE9EllbEEZZNS1_14partition_implILS5_9ELb0ES3_jPlS8_PNS0_10empty_typeENS0_5tupleIJS8_S9_EEENSB_IJS8_SA_EEENS0_18inequality_wrapperIZN2at6native12_GLOBAL__N_124unique_dim_cuda_templateIsEESt5tupleIJNSF_6TensorESK_SK_EERKSK_lbbbEUlllE0_EEPmJS9_EEE10hipError_tPvRmT3_T4_T5_T6_T7_T9_mT8_P12ihipStream_tbDpT10_ENKUlT_T0_E_clISt17integral_constantIbLb1EES19_IbLb0EEEEDaS15_S16_EUlS15_E_NS1_11comp_targetILNS1_3genE4ELNS1_11target_archE910ELNS1_3gpuE8ELNS1_3repE0EEENS1_30default_config_static_selectorELNS0_4arch9wavefront6targetE1EEEvT1_.num_agpr, 0
	.set _ZN7rocprim17ROCPRIM_400000_NS6detail17trampoline_kernelINS0_14default_configENS1_25partition_config_selectorILNS1_17partition_subalgoE9EllbEEZZNS1_14partition_implILS5_9ELb0ES3_jPlS8_PNS0_10empty_typeENS0_5tupleIJS8_S9_EEENSB_IJS8_SA_EEENS0_18inequality_wrapperIZN2at6native12_GLOBAL__N_124unique_dim_cuda_templateIsEESt5tupleIJNSF_6TensorESK_SK_EERKSK_lbbbEUlllE0_EEPmJS9_EEE10hipError_tPvRmT3_T4_T5_T6_T7_T9_mT8_P12ihipStream_tbDpT10_ENKUlT_T0_E_clISt17integral_constantIbLb1EES19_IbLb0EEEEDaS15_S16_EUlS15_E_NS1_11comp_targetILNS1_3genE4ELNS1_11target_archE910ELNS1_3gpuE8ELNS1_3repE0EEENS1_30default_config_static_selectorELNS0_4arch9wavefront6targetE1EEEvT1_.numbered_sgpr, 0
	.set _ZN7rocprim17ROCPRIM_400000_NS6detail17trampoline_kernelINS0_14default_configENS1_25partition_config_selectorILNS1_17partition_subalgoE9EllbEEZZNS1_14partition_implILS5_9ELb0ES3_jPlS8_PNS0_10empty_typeENS0_5tupleIJS8_S9_EEENSB_IJS8_SA_EEENS0_18inequality_wrapperIZN2at6native12_GLOBAL__N_124unique_dim_cuda_templateIsEESt5tupleIJNSF_6TensorESK_SK_EERKSK_lbbbEUlllE0_EEPmJS9_EEE10hipError_tPvRmT3_T4_T5_T6_T7_T9_mT8_P12ihipStream_tbDpT10_ENKUlT_T0_E_clISt17integral_constantIbLb1EES19_IbLb0EEEEDaS15_S16_EUlS15_E_NS1_11comp_targetILNS1_3genE4ELNS1_11target_archE910ELNS1_3gpuE8ELNS1_3repE0EEENS1_30default_config_static_selectorELNS0_4arch9wavefront6targetE1EEEvT1_.num_named_barrier, 0
	.set _ZN7rocprim17ROCPRIM_400000_NS6detail17trampoline_kernelINS0_14default_configENS1_25partition_config_selectorILNS1_17partition_subalgoE9EllbEEZZNS1_14partition_implILS5_9ELb0ES3_jPlS8_PNS0_10empty_typeENS0_5tupleIJS8_S9_EEENSB_IJS8_SA_EEENS0_18inequality_wrapperIZN2at6native12_GLOBAL__N_124unique_dim_cuda_templateIsEESt5tupleIJNSF_6TensorESK_SK_EERKSK_lbbbEUlllE0_EEPmJS9_EEE10hipError_tPvRmT3_T4_T5_T6_T7_T9_mT8_P12ihipStream_tbDpT10_ENKUlT_T0_E_clISt17integral_constantIbLb1EES19_IbLb0EEEEDaS15_S16_EUlS15_E_NS1_11comp_targetILNS1_3genE4ELNS1_11target_archE910ELNS1_3gpuE8ELNS1_3repE0EEENS1_30default_config_static_selectorELNS0_4arch9wavefront6targetE1EEEvT1_.private_seg_size, 0
	.set _ZN7rocprim17ROCPRIM_400000_NS6detail17trampoline_kernelINS0_14default_configENS1_25partition_config_selectorILNS1_17partition_subalgoE9EllbEEZZNS1_14partition_implILS5_9ELb0ES3_jPlS8_PNS0_10empty_typeENS0_5tupleIJS8_S9_EEENSB_IJS8_SA_EEENS0_18inequality_wrapperIZN2at6native12_GLOBAL__N_124unique_dim_cuda_templateIsEESt5tupleIJNSF_6TensorESK_SK_EERKSK_lbbbEUlllE0_EEPmJS9_EEE10hipError_tPvRmT3_T4_T5_T6_T7_T9_mT8_P12ihipStream_tbDpT10_ENKUlT_T0_E_clISt17integral_constantIbLb1EES19_IbLb0EEEEDaS15_S16_EUlS15_E_NS1_11comp_targetILNS1_3genE4ELNS1_11target_archE910ELNS1_3gpuE8ELNS1_3repE0EEENS1_30default_config_static_selectorELNS0_4arch9wavefront6targetE1EEEvT1_.uses_vcc, 0
	.set _ZN7rocprim17ROCPRIM_400000_NS6detail17trampoline_kernelINS0_14default_configENS1_25partition_config_selectorILNS1_17partition_subalgoE9EllbEEZZNS1_14partition_implILS5_9ELb0ES3_jPlS8_PNS0_10empty_typeENS0_5tupleIJS8_S9_EEENSB_IJS8_SA_EEENS0_18inequality_wrapperIZN2at6native12_GLOBAL__N_124unique_dim_cuda_templateIsEESt5tupleIJNSF_6TensorESK_SK_EERKSK_lbbbEUlllE0_EEPmJS9_EEE10hipError_tPvRmT3_T4_T5_T6_T7_T9_mT8_P12ihipStream_tbDpT10_ENKUlT_T0_E_clISt17integral_constantIbLb1EES19_IbLb0EEEEDaS15_S16_EUlS15_E_NS1_11comp_targetILNS1_3genE4ELNS1_11target_archE910ELNS1_3gpuE8ELNS1_3repE0EEENS1_30default_config_static_selectorELNS0_4arch9wavefront6targetE1EEEvT1_.uses_flat_scratch, 0
	.set _ZN7rocprim17ROCPRIM_400000_NS6detail17trampoline_kernelINS0_14default_configENS1_25partition_config_selectorILNS1_17partition_subalgoE9EllbEEZZNS1_14partition_implILS5_9ELb0ES3_jPlS8_PNS0_10empty_typeENS0_5tupleIJS8_S9_EEENSB_IJS8_SA_EEENS0_18inequality_wrapperIZN2at6native12_GLOBAL__N_124unique_dim_cuda_templateIsEESt5tupleIJNSF_6TensorESK_SK_EERKSK_lbbbEUlllE0_EEPmJS9_EEE10hipError_tPvRmT3_T4_T5_T6_T7_T9_mT8_P12ihipStream_tbDpT10_ENKUlT_T0_E_clISt17integral_constantIbLb1EES19_IbLb0EEEEDaS15_S16_EUlS15_E_NS1_11comp_targetILNS1_3genE4ELNS1_11target_archE910ELNS1_3gpuE8ELNS1_3repE0EEENS1_30default_config_static_selectorELNS0_4arch9wavefront6targetE1EEEvT1_.has_dyn_sized_stack, 0
	.set _ZN7rocprim17ROCPRIM_400000_NS6detail17trampoline_kernelINS0_14default_configENS1_25partition_config_selectorILNS1_17partition_subalgoE9EllbEEZZNS1_14partition_implILS5_9ELb0ES3_jPlS8_PNS0_10empty_typeENS0_5tupleIJS8_S9_EEENSB_IJS8_SA_EEENS0_18inequality_wrapperIZN2at6native12_GLOBAL__N_124unique_dim_cuda_templateIsEESt5tupleIJNSF_6TensorESK_SK_EERKSK_lbbbEUlllE0_EEPmJS9_EEE10hipError_tPvRmT3_T4_T5_T6_T7_T9_mT8_P12ihipStream_tbDpT10_ENKUlT_T0_E_clISt17integral_constantIbLb1EES19_IbLb0EEEEDaS15_S16_EUlS15_E_NS1_11comp_targetILNS1_3genE4ELNS1_11target_archE910ELNS1_3gpuE8ELNS1_3repE0EEENS1_30default_config_static_selectorELNS0_4arch9wavefront6targetE1EEEvT1_.has_recursion, 0
	.set _ZN7rocprim17ROCPRIM_400000_NS6detail17trampoline_kernelINS0_14default_configENS1_25partition_config_selectorILNS1_17partition_subalgoE9EllbEEZZNS1_14partition_implILS5_9ELb0ES3_jPlS8_PNS0_10empty_typeENS0_5tupleIJS8_S9_EEENSB_IJS8_SA_EEENS0_18inequality_wrapperIZN2at6native12_GLOBAL__N_124unique_dim_cuda_templateIsEESt5tupleIJNSF_6TensorESK_SK_EERKSK_lbbbEUlllE0_EEPmJS9_EEE10hipError_tPvRmT3_T4_T5_T6_T7_T9_mT8_P12ihipStream_tbDpT10_ENKUlT_T0_E_clISt17integral_constantIbLb1EES19_IbLb0EEEEDaS15_S16_EUlS15_E_NS1_11comp_targetILNS1_3genE4ELNS1_11target_archE910ELNS1_3gpuE8ELNS1_3repE0EEENS1_30default_config_static_selectorELNS0_4arch9wavefront6targetE1EEEvT1_.has_indirect_call, 0
	.section	.AMDGPU.csdata,"",@progbits
; Kernel info:
; codeLenInByte = 0
; TotalNumSgprs: 6
; NumVgprs: 0
; NumAgprs: 0
; TotalNumVgprs: 0
; ScratchSize: 0
; MemoryBound: 0
; FloatMode: 240
; IeeeMode: 1
; LDSByteSize: 0 bytes/workgroup (compile time only)
; SGPRBlocks: 0
; VGPRBlocks: 0
; NumSGPRsForWavesPerEU: 6
; NumVGPRsForWavesPerEU: 1
; AccumOffset: 4
; Occupancy: 8
; WaveLimiterHint : 0
; COMPUTE_PGM_RSRC2:SCRATCH_EN: 0
; COMPUTE_PGM_RSRC2:USER_SGPR: 2
; COMPUTE_PGM_RSRC2:TRAP_HANDLER: 0
; COMPUTE_PGM_RSRC2:TGID_X_EN: 1
; COMPUTE_PGM_RSRC2:TGID_Y_EN: 0
; COMPUTE_PGM_RSRC2:TGID_Z_EN: 0
; COMPUTE_PGM_RSRC2:TIDIG_COMP_CNT: 0
; COMPUTE_PGM_RSRC3_GFX90A:ACCUM_OFFSET: 0
; COMPUTE_PGM_RSRC3_GFX90A:TG_SPLIT: 0
	.section	.text._ZN7rocprim17ROCPRIM_400000_NS6detail17trampoline_kernelINS0_14default_configENS1_25partition_config_selectorILNS1_17partition_subalgoE9EllbEEZZNS1_14partition_implILS5_9ELb0ES3_jPlS8_PNS0_10empty_typeENS0_5tupleIJS8_S9_EEENSB_IJS8_SA_EEENS0_18inequality_wrapperIZN2at6native12_GLOBAL__N_124unique_dim_cuda_templateIsEESt5tupleIJNSF_6TensorESK_SK_EERKSK_lbbbEUlllE0_EEPmJS9_EEE10hipError_tPvRmT3_T4_T5_T6_T7_T9_mT8_P12ihipStream_tbDpT10_ENKUlT_T0_E_clISt17integral_constantIbLb1EES19_IbLb0EEEEDaS15_S16_EUlS15_E_NS1_11comp_targetILNS1_3genE3ELNS1_11target_archE908ELNS1_3gpuE7ELNS1_3repE0EEENS1_30default_config_static_selectorELNS0_4arch9wavefront6targetE1EEEvT1_,"axG",@progbits,_ZN7rocprim17ROCPRIM_400000_NS6detail17trampoline_kernelINS0_14default_configENS1_25partition_config_selectorILNS1_17partition_subalgoE9EllbEEZZNS1_14partition_implILS5_9ELb0ES3_jPlS8_PNS0_10empty_typeENS0_5tupleIJS8_S9_EEENSB_IJS8_SA_EEENS0_18inequality_wrapperIZN2at6native12_GLOBAL__N_124unique_dim_cuda_templateIsEESt5tupleIJNSF_6TensorESK_SK_EERKSK_lbbbEUlllE0_EEPmJS9_EEE10hipError_tPvRmT3_T4_T5_T6_T7_T9_mT8_P12ihipStream_tbDpT10_ENKUlT_T0_E_clISt17integral_constantIbLb1EES19_IbLb0EEEEDaS15_S16_EUlS15_E_NS1_11comp_targetILNS1_3genE3ELNS1_11target_archE908ELNS1_3gpuE7ELNS1_3repE0EEENS1_30default_config_static_selectorELNS0_4arch9wavefront6targetE1EEEvT1_,comdat
	.globl	_ZN7rocprim17ROCPRIM_400000_NS6detail17trampoline_kernelINS0_14default_configENS1_25partition_config_selectorILNS1_17partition_subalgoE9EllbEEZZNS1_14partition_implILS5_9ELb0ES3_jPlS8_PNS0_10empty_typeENS0_5tupleIJS8_S9_EEENSB_IJS8_SA_EEENS0_18inequality_wrapperIZN2at6native12_GLOBAL__N_124unique_dim_cuda_templateIsEESt5tupleIJNSF_6TensorESK_SK_EERKSK_lbbbEUlllE0_EEPmJS9_EEE10hipError_tPvRmT3_T4_T5_T6_T7_T9_mT8_P12ihipStream_tbDpT10_ENKUlT_T0_E_clISt17integral_constantIbLb1EES19_IbLb0EEEEDaS15_S16_EUlS15_E_NS1_11comp_targetILNS1_3genE3ELNS1_11target_archE908ELNS1_3gpuE7ELNS1_3repE0EEENS1_30default_config_static_selectorELNS0_4arch9wavefront6targetE1EEEvT1_ ; -- Begin function _ZN7rocprim17ROCPRIM_400000_NS6detail17trampoline_kernelINS0_14default_configENS1_25partition_config_selectorILNS1_17partition_subalgoE9EllbEEZZNS1_14partition_implILS5_9ELb0ES3_jPlS8_PNS0_10empty_typeENS0_5tupleIJS8_S9_EEENSB_IJS8_SA_EEENS0_18inequality_wrapperIZN2at6native12_GLOBAL__N_124unique_dim_cuda_templateIsEESt5tupleIJNSF_6TensorESK_SK_EERKSK_lbbbEUlllE0_EEPmJS9_EEE10hipError_tPvRmT3_T4_T5_T6_T7_T9_mT8_P12ihipStream_tbDpT10_ENKUlT_T0_E_clISt17integral_constantIbLb1EES19_IbLb0EEEEDaS15_S16_EUlS15_E_NS1_11comp_targetILNS1_3genE3ELNS1_11target_archE908ELNS1_3gpuE7ELNS1_3repE0EEENS1_30default_config_static_selectorELNS0_4arch9wavefront6targetE1EEEvT1_
	.p2align	8
	.type	_ZN7rocprim17ROCPRIM_400000_NS6detail17trampoline_kernelINS0_14default_configENS1_25partition_config_selectorILNS1_17partition_subalgoE9EllbEEZZNS1_14partition_implILS5_9ELb0ES3_jPlS8_PNS0_10empty_typeENS0_5tupleIJS8_S9_EEENSB_IJS8_SA_EEENS0_18inequality_wrapperIZN2at6native12_GLOBAL__N_124unique_dim_cuda_templateIsEESt5tupleIJNSF_6TensorESK_SK_EERKSK_lbbbEUlllE0_EEPmJS9_EEE10hipError_tPvRmT3_T4_T5_T6_T7_T9_mT8_P12ihipStream_tbDpT10_ENKUlT_T0_E_clISt17integral_constantIbLb1EES19_IbLb0EEEEDaS15_S16_EUlS15_E_NS1_11comp_targetILNS1_3genE3ELNS1_11target_archE908ELNS1_3gpuE7ELNS1_3repE0EEENS1_30default_config_static_selectorELNS0_4arch9wavefront6targetE1EEEvT1_,@function
_ZN7rocprim17ROCPRIM_400000_NS6detail17trampoline_kernelINS0_14default_configENS1_25partition_config_selectorILNS1_17partition_subalgoE9EllbEEZZNS1_14partition_implILS5_9ELb0ES3_jPlS8_PNS0_10empty_typeENS0_5tupleIJS8_S9_EEENSB_IJS8_SA_EEENS0_18inequality_wrapperIZN2at6native12_GLOBAL__N_124unique_dim_cuda_templateIsEESt5tupleIJNSF_6TensorESK_SK_EERKSK_lbbbEUlllE0_EEPmJS9_EEE10hipError_tPvRmT3_T4_T5_T6_T7_T9_mT8_P12ihipStream_tbDpT10_ENKUlT_T0_E_clISt17integral_constantIbLb1EES19_IbLb0EEEEDaS15_S16_EUlS15_E_NS1_11comp_targetILNS1_3genE3ELNS1_11target_archE908ELNS1_3gpuE7ELNS1_3repE0EEENS1_30default_config_static_selectorELNS0_4arch9wavefront6targetE1EEEvT1_: ; @_ZN7rocprim17ROCPRIM_400000_NS6detail17trampoline_kernelINS0_14default_configENS1_25partition_config_selectorILNS1_17partition_subalgoE9EllbEEZZNS1_14partition_implILS5_9ELb0ES3_jPlS8_PNS0_10empty_typeENS0_5tupleIJS8_S9_EEENSB_IJS8_SA_EEENS0_18inequality_wrapperIZN2at6native12_GLOBAL__N_124unique_dim_cuda_templateIsEESt5tupleIJNSF_6TensorESK_SK_EERKSK_lbbbEUlllE0_EEPmJS9_EEE10hipError_tPvRmT3_T4_T5_T6_T7_T9_mT8_P12ihipStream_tbDpT10_ENKUlT_T0_E_clISt17integral_constantIbLb1EES19_IbLb0EEEEDaS15_S16_EUlS15_E_NS1_11comp_targetILNS1_3genE3ELNS1_11target_archE908ELNS1_3gpuE7ELNS1_3repE0EEENS1_30default_config_static_selectorELNS0_4arch9wavefront6targetE1EEEvT1_
; %bb.0:
	.section	.rodata,"a",@progbits
	.p2align	6, 0x0
	.amdhsa_kernel _ZN7rocprim17ROCPRIM_400000_NS6detail17trampoline_kernelINS0_14default_configENS1_25partition_config_selectorILNS1_17partition_subalgoE9EllbEEZZNS1_14partition_implILS5_9ELb0ES3_jPlS8_PNS0_10empty_typeENS0_5tupleIJS8_S9_EEENSB_IJS8_SA_EEENS0_18inequality_wrapperIZN2at6native12_GLOBAL__N_124unique_dim_cuda_templateIsEESt5tupleIJNSF_6TensorESK_SK_EERKSK_lbbbEUlllE0_EEPmJS9_EEE10hipError_tPvRmT3_T4_T5_T6_T7_T9_mT8_P12ihipStream_tbDpT10_ENKUlT_T0_E_clISt17integral_constantIbLb1EES19_IbLb0EEEEDaS15_S16_EUlS15_E_NS1_11comp_targetILNS1_3genE3ELNS1_11target_archE908ELNS1_3gpuE7ELNS1_3repE0EEENS1_30default_config_static_selectorELNS0_4arch9wavefront6targetE1EEEvT1_
		.amdhsa_group_segment_fixed_size 0
		.amdhsa_private_segment_fixed_size 0
		.amdhsa_kernarg_size 120
		.amdhsa_user_sgpr_count 2
		.amdhsa_user_sgpr_dispatch_ptr 0
		.amdhsa_user_sgpr_queue_ptr 0
		.amdhsa_user_sgpr_kernarg_segment_ptr 1
		.amdhsa_user_sgpr_dispatch_id 0
		.amdhsa_user_sgpr_kernarg_preload_length 0
		.amdhsa_user_sgpr_kernarg_preload_offset 0
		.amdhsa_user_sgpr_private_segment_size 0
		.amdhsa_uses_dynamic_stack 0
		.amdhsa_enable_private_segment 0
		.amdhsa_system_sgpr_workgroup_id_x 1
		.amdhsa_system_sgpr_workgroup_id_y 0
		.amdhsa_system_sgpr_workgroup_id_z 0
		.amdhsa_system_sgpr_workgroup_info 0
		.amdhsa_system_vgpr_workitem_id 0
		.amdhsa_next_free_vgpr 1
		.amdhsa_next_free_sgpr 0
		.amdhsa_accum_offset 4
		.amdhsa_reserve_vcc 0
		.amdhsa_float_round_mode_32 0
		.amdhsa_float_round_mode_16_64 0
		.amdhsa_float_denorm_mode_32 3
		.amdhsa_float_denorm_mode_16_64 3
		.amdhsa_dx10_clamp 1
		.amdhsa_ieee_mode 1
		.amdhsa_fp16_overflow 0
		.amdhsa_tg_split 0
		.amdhsa_exception_fp_ieee_invalid_op 0
		.amdhsa_exception_fp_denorm_src 0
		.amdhsa_exception_fp_ieee_div_zero 0
		.amdhsa_exception_fp_ieee_overflow 0
		.amdhsa_exception_fp_ieee_underflow 0
		.amdhsa_exception_fp_ieee_inexact 0
		.amdhsa_exception_int_div_zero 0
	.end_amdhsa_kernel
	.section	.text._ZN7rocprim17ROCPRIM_400000_NS6detail17trampoline_kernelINS0_14default_configENS1_25partition_config_selectorILNS1_17partition_subalgoE9EllbEEZZNS1_14partition_implILS5_9ELb0ES3_jPlS8_PNS0_10empty_typeENS0_5tupleIJS8_S9_EEENSB_IJS8_SA_EEENS0_18inequality_wrapperIZN2at6native12_GLOBAL__N_124unique_dim_cuda_templateIsEESt5tupleIJNSF_6TensorESK_SK_EERKSK_lbbbEUlllE0_EEPmJS9_EEE10hipError_tPvRmT3_T4_T5_T6_T7_T9_mT8_P12ihipStream_tbDpT10_ENKUlT_T0_E_clISt17integral_constantIbLb1EES19_IbLb0EEEEDaS15_S16_EUlS15_E_NS1_11comp_targetILNS1_3genE3ELNS1_11target_archE908ELNS1_3gpuE7ELNS1_3repE0EEENS1_30default_config_static_selectorELNS0_4arch9wavefront6targetE1EEEvT1_,"axG",@progbits,_ZN7rocprim17ROCPRIM_400000_NS6detail17trampoline_kernelINS0_14default_configENS1_25partition_config_selectorILNS1_17partition_subalgoE9EllbEEZZNS1_14partition_implILS5_9ELb0ES3_jPlS8_PNS0_10empty_typeENS0_5tupleIJS8_S9_EEENSB_IJS8_SA_EEENS0_18inequality_wrapperIZN2at6native12_GLOBAL__N_124unique_dim_cuda_templateIsEESt5tupleIJNSF_6TensorESK_SK_EERKSK_lbbbEUlllE0_EEPmJS9_EEE10hipError_tPvRmT3_T4_T5_T6_T7_T9_mT8_P12ihipStream_tbDpT10_ENKUlT_T0_E_clISt17integral_constantIbLb1EES19_IbLb0EEEEDaS15_S16_EUlS15_E_NS1_11comp_targetILNS1_3genE3ELNS1_11target_archE908ELNS1_3gpuE7ELNS1_3repE0EEENS1_30default_config_static_selectorELNS0_4arch9wavefront6targetE1EEEvT1_,comdat
.Lfunc_end736:
	.size	_ZN7rocprim17ROCPRIM_400000_NS6detail17trampoline_kernelINS0_14default_configENS1_25partition_config_selectorILNS1_17partition_subalgoE9EllbEEZZNS1_14partition_implILS5_9ELb0ES3_jPlS8_PNS0_10empty_typeENS0_5tupleIJS8_S9_EEENSB_IJS8_SA_EEENS0_18inequality_wrapperIZN2at6native12_GLOBAL__N_124unique_dim_cuda_templateIsEESt5tupleIJNSF_6TensorESK_SK_EERKSK_lbbbEUlllE0_EEPmJS9_EEE10hipError_tPvRmT3_T4_T5_T6_T7_T9_mT8_P12ihipStream_tbDpT10_ENKUlT_T0_E_clISt17integral_constantIbLb1EES19_IbLb0EEEEDaS15_S16_EUlS15_E_NS1_11comp_targetILNS1_3genE3ELNS1_11target_archE908ELNS1_3gpuE7ELNS1_3repE0EEENS1_30default_config_static_selectorELNS0_4arch9wavefront6targetE1EEEvT1_, .Lfunc_end736-_ZN7rocprim17ROCPRIM_400000_NS6detail17trampoline_kernelINS0_14default_configENS1_25partition_config_selectorILNS1_17partition_subalgoE9EllbEEZZNS1_14partition_implILS5_9ELb0ES3_jPlS8_PNS0_10empty_typeENS0_5tupleIJS8_S9_EEENSB_IJS8_SA_EEENS0_18inequality_wrapperIZN2at6native12_GLOBAL__N_124unique_dim_cuda_templateIsEESt5tupleIJNSF_6TensorESK_SK_EERKSK_lbbbEUlllE0_EEPmJS9_EEE10hipError_tPvRmT3_T4_T5_T6_T7_T9_mT8_P12ihipStream_tbDpT10_ENKUlT_T0_E_clISt17integral_constantIbLb1EES19_IbLb0EEEEDaS15_S16_EUlS15_E_NS1_11comp_targetILNS1_3genE3ELNS1_11target_archE908ELNS1_3gpuE7ELNS1_3repE0EEENS1_30default_config_static_selectorELNS0_4arch9wavefront6targetE1EEEvT1_
                                        ; -- End function
	.set _ZN7rocprim17ROCPRIM_400000_NS6detail17trampoline_kernelINS0_14default_configENS1_25partition_config_selectorILNS1_17partition_subalgoE9EllbEEZZNS1_14partition_implILS5_9ELb0ES3_jPlS8_PNS0_10empty_typeENS0_5tupleIJS8_S9_EEENSB_IJS8_SA_EEENS0_18inequality_wrapperIZN2at6native12_GLOBAL__N_124unique_dim_cuda_templateIsEESt5tupleIJNSF_6TensorESK_SK_EERKSK_lbbbEUlllE0_EEPmJS9_EEE10hipError_tPvRmT3_T4_T5_T6_T7_T9_mT8_P12ihipStream_tbDpT10_ENKUlT_T0_E_clISt17integral_constantIbLb1EES19_IbLb0EEEEDaS15_S16_EUlS15_E_NS1_11comp_targetILNS1_3genE3ELNS1_11target_archE908ELNS1_3gpuE7ELNS1_3repE0EEENS1_30default_config_static_selectorELNS0_4arch9wavefront6targetE1EEEvT1_.num_vgpr, 0
	.set _ZN7rocprim17ROCPRIM_400000_NS6detail17trampoline_kernelINS0_14default_configENS1_25partition_config_selectorILNS1_17partition_subalgoE9EllbEEZZNS1_14partition_implILS5_9ELb0ES3_jPlS8_PNS0_10empty_typeENS0_5tupleIJS8_S9_EEENSB_IJS8_SA_EEENS0_18inequality_wrapperIZN2at6native12_GLOBAL__N_124unique_dim_cuda_templateIsEESt5tupleIJNSF_6TensorESK_SK_EERKSK_lbbbEUlllE0_EEPmJS9_EEE10hipError_tPvRmT3_T4_T5_T6_T7_T9_mT8_P12ihipStream_tbDpT10_ENKUlT_T0_E_clISt17integral_constantIbLb1EES19_IbLb0EEEEDaS15_S16_EUlS15_E_NS1_11comp_targetILNS1_3genE3ELNS1_11target_archE908ELNS1_3gpuE7ELNS1_3repE0EEENS1_30default_config_static_selectorELNS0_4arch9wavefront6targetE1EEEvT1_.num_agpr, 0
	.set _ZN7rocprim17ROCPRIM_400000_NS6detail17trampoline_kernelINS0_14default_configENS1_25partition_config_selectorILNS1_17partition_subalgoE9EllbEEZZNS1_14partition_implILS5_9ELb0ES3_jPlS8_PNS0_10empty_typeENS0_5tupleIJS8_S9_EEENSB_IJS8_SA_EEENS0_18inequality_wrapperIZN2at6native12_GLOBAL__N_124unique_dim_cuda_templateIsEESt5tupleIJNSF_6TensorESK_SK_EERKSK_lbbbEUlllE0_EEPmJS9_EEE10hipError_tPvRmT3_T4_T5_T6_T7_T9_mT8_P12ihipStream_tbDpT10_ENKUlT_T0_E_clISt17integral_constantIbLb1EES19_IbLb0EEEEDaS15_S16_EUlS15_E_NS1_11comp_targetILNS1_3genE3ELNS1_11target_archE908ELNS1_3gpuE7ELNS1_3repE0EEENS1_30default_config_static_selectorELNS0_4arch9wavefront6targetE1EEEvT1_.numbered_sgpr, 0
	.set _ZN7rocprim17ROCPRIM_400000_NS6detail17trampoline_kernelINS0_14default_configENS1_25partition_config_selectorILNS1_17partition_subalgoE9EllbEEZZNS1_14partition_implILS5_9ELb0ES3_jPlS8_PNS0_10empty_typeENS0_5tupleIJS8_S9_EEENSB_IJS8_SA_EEENS0_18inequality_wrapperIZN2at6native12_GLOBAL__N_124unique_dim_cuda_templateIsEESt5tupleIJNSF_6TensorESK_SK_EERKSK_lbbbEUlllE0_EEPmJS9_EEE10hipError_tPvRmT3_T4_T5_T6_T7_T9_mT8_P12ihipStream_tbDpT10_ENKUlT_T0_E_clISt17integral_constantIbLb1EES19_IbLb0EEEEDaS15_S16_EUlS15_E_NS1_11comp_targetILNS1_3genE3ELNS1_11target_archE908ELNS1_3gpuE7ELNS1_3repE0EEENS1_30default_config_static_selectorELNS0_4arch9wavefront6targetE1EEEvT1_.num_named_barrier, 0
	.set _ZN7rocprim17ROCPRIM_400000_NS6detail17trampoline_kernelINS0_14default_configENS1_25partition_config_selectorILNS1_17partition_subalgoE9EllbEEZZNS1_14partition_implILS5_9ELb0ES3_jPlS8_PNS0_10empty_typeENS0_5tupleIJS8_S9_EEENSB_IJS8_SA_EEENS0_18inequality_wrapperIZN2at6native12_GLOBAL__N_124unique_dim_cuda_templateIsEESt5tupleIJNSF_6TensorESK_SK_EERKSK_lbbbEUlllE0_EEPmJS9_EEE10hipError_tPvRmT3_T4_T5_T6_T7_T9_mT8_P12ihipStream_tbDpT10_ENKUlT_T0_E_clISt17integral_constantIbLb1EES19_IbLb0EEEEDaS15_S16_EUlS15_E_NS1_11comp_targetILNS1_3genE3ELNS1_11target_archE908ELNS1_3gpuE7ELNS1_3repE0EEENS1_30default_config_static_selectorELNS0_4arch9wavefront6targetE1EEEvT1_.private_seg_size, 0
	.set _ZN7rocprim17ROCPRIM_400000_NS6detail17trampoline_kernelINS0_14default_configENS1_25partition_config_selectorILNS1_17partition_subalgoE9EllbEEZZNS1_14partition_implILS5_9ELb0ES3_jPlS8_PNS0_10empty_typeENS0_5tupleIJS8_S9_EEENSB_IJS8_SA_EEENS0_18inequality_wrapperIZN2at6native12_GLOBAL__N_124unique_dim_cuda_templateIsEESt5tupleIJNSF_6TensorESK_SK_EERKSK_lbbbEUlllE0_EEPmJS9_EEE10hipError_tPvRmT3_T4_T5_T6_T7_T9_mT8_P12ihipStream_tbDpT10_ENKUlT_T0_E_clISt17integral_constantIbLb1EES19_IbLb0EEEEDaS15_S16_EUlS15_E_NS1_11comp_targetILNS1_3genE3ELNS1_11target_archE908ELNS1_3gpuE7ELNS1_3repE0EEENS1_30default_config_static_selectorELNS0_4arch9wavefront6targetE1EEEvT1_.uses_vcc, 0
	.set _ZN7rocprim17ROCPRIM_400000_NS6detail17trampoline_kernelINS0_14default_configENS1_25partition_config_selectorILNS1_17partition_subalgoE9EllbEEZZNS1_14partition_implILS5_9ELb0ES3_jPlS8_PNS0_10empty_typeENS0_5tupleIJS8_S9_EEENSB_IJS8_SA_EEENS0_18inequality_wrapperIZN2at6native12_GLOBAL__N_124unique_dim_cuda_templateIsEESt5tupleIJNSF_6TensorESK_SK_EERKSK_lbbbEUlllE0_EEPmJS9_EEE10hipError_tPvRmT3_T4_T5_T6_T7_T9_mT8_P12ihipStream_tbDpT10_ENKUlT_T0_E_clISt17integral_constantIbLb1EES19_IbLb0EEEEDaS15_S16_EUlS15_E_NS1_11comp_targetILNS1_3genE3ELNS1_11target_archE908ELNS1_3gpuE7ELNS1_3repE0EEENS1_30default_config_static_selectorELNS0_4arch9wavefront6targetE1EEEvT1_.uses_flat_scratch, 0
	.set _ZN7rocprim17ROCPRIM_400000_NS6detail17trampoline_kernelINS0_14default_configENS1_25partition_config_selectorILNS1_17partition_subalgoE9EllbEEZZNS1_14partition_implILS5_9ELb0ES3_jPlS8_PNS0_10empty_typeENS0_5tupleIJS8_S9_EEENSB_IJS8_SA_EEENS0_18inequality_wrapperIZN2at6native12_GLOBAL__N_124unique_dim_cuda_templateIsEESt5tupleIJNSF_6TensorESK_SK_EERKSK_lbbbEUlllE0_EEPmJS9_EEE10hipError_tPvRmT3_T4_T5_T6_T7_T9_mT8_P12ihipStream_tbDpT10_ENKUlT_T0_E_clISt17integral_constantIbLb1EES19_IbLb0EEEEDaS15_S16_EUlS15_E_NS1_11comp_targetILNS1_3genE3ELNS1_11target_archE908ELNS1_3gpuE7ELNS1_3repE0EEENS1_30default_config_static_selectorELNS0_4arch9wavefront6targetE1EEEvT1_.has_dyn_sized_stack, 0
	.set _ZN7rocprim17ROCPRIM_400000_NS6detail17trampoline_kernelINS0_14default_configENS1_25partition_config_selectorILNS1_17partition_subalgoE9EllbEEZZNS1_14partition_implILS5_9ELb0ES3_jPlS8_PNS0_10empty_typeENS0_5tupleIJS8_S9_EEENSB_IJS8_SA_EEENS0_18inequality_wrapperIZN2at6native12_GLOBAL__N_124unique_dim_cuda_templateIsEESt5tupleIJNSF_6TensorESK_SK_EERKSK_lbbbEUlllE0_EEPmJS9_EEE10hipError_tPvRmT3_T4_T5_T6_T7_T9_mT8_P12ihipStream_tbDpT10_ENKUlT_T0_E_clISt17integral_constantIbLb1EES19_IbLb0EEEEDaS15_S16_EUlS15_E_NS1_11comp_targetILNS1_3genE3ELNS1_11target_archE908ELNS1_3gpuE7ELNS1_3repE0EEENS1_30default_config_static_selectorELNS0_4arch9wavefront6targetE1EEEvT1_.has_recursion, 0
	.set _ZN7rocprim17ROCPRIM_400000_NS6detail17trampoline_kernelINS0_14default_configENS1_25partition_config_selectorILNS1_17partition_subalgoE9EllbEEZZNS1_14partition_implILS5_9ELb0ES3_jPlS8_PNS0_10empty_typeENS0_5tupleIJS8_S9_EEENSB_IJS8_SA_EEENS0_18inequality_wrapperIZN2at6native12_GLOBAL__N_124unique_dim_cuda_templateIsEESt5tupleIJNSF_6TensorESK_SK_EERKSK_lbbbEUlllE0_EEPmJS9_EEE10hipError_tPvRmT3_T4_T5_T6_T7_T9_mT8_P12ihipStream_tbDpT10_ENKUlT_T0_E_clISt17integral_constantIbLb1EES19_IbLb0EEEEDaS15_S16_EUlS15_E_NS1_11comp_targetILNS1_3genE3ELNS1_11target_archE908ELNS1_3gpuE7ELNS1_3repE0EEENS1_30default_config_static_selectorELNS0_4arch9wavefront6targetE1EEEvT1_.has_indirect_call, 0
	.section	.AMDGPU.csdata,"",@progbits
; Kernel info:
; codeLenInByte = 0
; TotalNumSgprs: 6
; NumVgprs: 0
; NumAgprs: 0
; TotalNumVgprs: 0
; ScratchSize: 0
; MemoryBound: 0
; FloatMode: 240
; IeeeMode: 1
; LDSByteSize: 0 bytes/workgroup (compile time only)
; SGPRBlocks: 0
; VGPRBlocks: 0
; NumSGPRsForWavesPerEU: 6
; NumVGPRsForWavesPerEU: 1
; AccumOffset: 4
; Occupancy: 8
; WaveLimiterHint : 0
; COMPUTE_PGM_RSRC2:SCRATCH_EN: 0
; COMPUTE_PGM_RSRC2:USER_SGPR: 2
; COMPUTE_PGM_RSRC2:TRAP_HANDLER: 0
; COMPUTE_PGM_RSRC2:TGID_X_EN: 1
; COMPUTE_PGM_RSRC2:TGID_Y_EN: 0
; COMPUTE_PGM_RSRC2:TGID_Z_EN: 0
; COMPUTE_PGM_RSRC2:TIDIG_COMP_CNT: 0
; COMPUTE_PGM_RSRC3_GFX90A:ACCUM_OFFSET: 0
; COMPUTE_PGM_RSRC3_GFX90A:TG_SPLIT: 0
	.section	.text._ZN7rocprim17ROCPRIM_400000_NS6detail17trampoline_kernelINS0_14default_configENS1_25partition_config_selectorILNS1_17partition_subalgoE9EllbEEZZNS1_14partition_implILS5_9ELb0ES3_jPlS8_PNS0_10empty_typeENS0_5tupleIJS8_S9_EEENSB_IJS8_SA_EEENS0_18inequality_wrapperIZN2at6native12_GLOBAL__N_124unique_dim_cuda_templateIsEESt5tupleIJNSF_6TensorESK_SK_EERKSK_lbbbEUlllE0_EEPmJS9_EEE10hipError_tPvRmT3_T4_T5_T6_T7_T9_mT8_P12ihipStream_tbDpT10_ENKUlT_T0_E_clISt17integral_constantIbLb1EES19_IbLb0EEEEDaS15_S16_EUlS15_E_NS1_11comp_targetILNS1_3genE2ELNS1_11target_archE906ELNS1_3gpuE6ELNS1_3repE0EEENS1_30default_config_static_selectorELNS0_4arch9wavefront6targetE1EEEvT1_,"axG",@progbits,_ZN7rocprim17ROCPRIM_400000_NS6detail17trampoline_kernelINS0_14default_configENS1_25partition_config_selectorILNS1_17partition_subalgoE9EllbEEZZNS1_14partition_implILS5_9ELb0ES3_jPlS8_PNS0_10empty_typeENS0_5tupleIJS8_S9_EEENSB_IJS8_SA_EEENS0_18inequality_wrapperIZN2at6native12_GLOBAL__N_124unique_dim_cuda_templateIsEESt5tupleIJNSF_6TensorESK_SK_EERKSK_lbbbEUlllE0_EEPmJS9_EEE10hipError_tPvRmT3_T4_T5_T6_T7_T9_mT8_P12ihipStream_tbDpT10_ENKUlT_T0_E_clISt17integral_constantIbLb1EES19_IbLb0EEEEDaS15_S16_EUlS15_E_NS1_11comp_targetILNS1_3genE2ELNS1_11target_archE906ELNS1_3gpuE6ELNS1_3repE0EEENS1_30default_config_static_selectorELNS0_4arch9wavefront6targetE1EEEvT1_,comdat
	.globl	_ZN7rocprim17ROCPRIM_400000_NS6detail17trampoline_kernelINS0_14default_configENS1_25partition_config_selectorILNS1_17partition_subalgoE9EllbEEZZNS1_14partition_implILS5_9ELb0ES3_jPlS8_PNS0_10empty_typeENS0_5tupleIJS8_S9_EEENSB_IJS8_SA_EEENS0_18inequality_wrapperIZN2at6native12_GLOBAL__N_124unique_dim_cuda_templateIsEESt5tupleIJNSF_6TensorESK_SK_EERKSK_lbbbEUlllE0_EEPmJS9_EEE10hipError_tPvRmT3_T4_T5_T6_T7_T9_mT8_P12ihipStream_tbDpT10_ENKUlT_T0_E_clISt17integral_constantIbLb1EES19_IbLb0EEEEDaS15_S16_EUlS15_E_NS1_11comp_targetILNS1_3genE2ELNS1_11target_archE906ELNS1_3gpuE6ELNS1_3repE0EEENS1_30default_config_static_selectorELNS0_4arch9wavefront6targetE1EEEvT1_ ; -- Begin function _ZN7rocprim17ROCPRIM_400000_NS6detail17trampoline_kernelINS0_14default_configENS1_25partition_config_selectorILNS1_17partition_subalgoE9EllbEEZZNS1_14partition_implILS5_9ELb0ES3_jPlS8_PNS0_10empty_typeENS0_5tupleIJS8_S9_EEENSB_IJS8_SA_EEENS0_18inequality_wrapperIZN2at6native12_GLOBAL__N_124unique_dim_cuda_templateIsEESt5tupleIJNSF_6TensorESK_SK_EERKSK_lbbbEUlllE0_EEPmJS9_EEE10hipError_tPvRmT3_T4_T5_T6_T7_T9_mT8_P12ihipStream_tbDpT10_ENKUlT_T0_E_clISt17integral_constantIbLb1EES19_IbLb0EEEEDaS15_S16_EUlS15_E_NS1_11comp_targetILNS1_3genE2ELNS1_11target_archE906ELNS1_3gpuE6ELNS1_3repE0EEENS1_30default_config_static_selectorELNS0_4arch9wavefront6targetE1EEEvT1_
	.p2align	8
	.type	_ZN7rocprim17ROCPRIM_400000_NS6detail17trampoline_kernelINS0_14default_configENS1_25partition_config_selectorILNS1_17partition_subalgoE9EllbEEZZNS1_14partition_implILS5_9ELb0ES3_jPlS8_PNS0_10empty_typeENS0_5tupleIJS8_S9_EEENSB_IJS8_SA_EEENS0_18inequality_wrapperIZN2at6native12_GLOBAL__N_124unique_dim_cuda_templateIsEESt5tupleIJNSF_6TensorESK_SK_EERKSK_lbbbEUlllE0_EEPmJS9_EEE10hipError_tPvRmT3_T4_T5_T6_T7_T9_mT8_P12ihipStream_tbDpT10_ENKUlT_T0_E_clISt17integral_constantIbLb1EES19_IbLb0EEEEDaS15_S16_EUlS15_E_NS1_11comp_targetILNS1_3genE2ELNS1_11target_archE906ELNS1_3gpuE6ELNS1_3repE0EEENS1_30default_config_static_selectorELNS0_4arch9wavefront6targetE1EEEvT1_,@function
_ZN7rocprim17ROCPRIM_400000_NS6detail17trampoline_kernelINS0_14default_configENS1_25partition_config_selectorILNS1_17partition_subalgoE9EllbEEZZNS1_14partition_implILS5_9ELb0ES3_jPlS8_PNS0_10empty_typeENS0_5tupleIJS8_S9_EEENSB_IJS8_SA_EEENS0_18inequality_wrapperIZN2at6native12_GLOBAL__N_124unique_dim_cuda_templateIsEESt5tupleIJNSF_6TensorESK_SK_EERKSK_lbbbEUlllE0_EEPmJS9_EEE10hipError_tPvRmT3_T4_T5_T6_T7_T9_mT8_P12ihipStream_tbDpT10_ENKUlT_T0_E_clISt17integral_constantIbLb1EES19_IbLb0EEEEDaS15_S16_EUlS15_E_NS1_11comp_targetILNS1_3genE2ELNS1_11target_archE906ELNS1_3gpuE6ELNS1_3repE0EEENS1_30default_config_static_selectorELNS0_4arch9wavefront6targetE1EEEvT1_: ; @_ZN7rocprim17ROCPRIM_400000_NS6detail17trampoline_kernelINS0_14default_configENS1_25partition_config_selectorILNS1_17partition_subalgoE9EllbEEZZNS1_14partition_implILS5_9ELb0ES3_jPlS8_PNS0_10empty_typeENS0_5tupleIJS8_S9_EEENSB_IJS8_SA_EEENS0_18inequality_wrapperIZN2at6native12_GLOBAL__N_124unique_dim_cuda_templateIsEESt5tupleIJNSF_6TensorESK_SK_EERKSK_lbbbEUlllE0_EEPmJS9_EEE10hipError_tPvRmT3_T4_T5_T6_T7_T9_mT8_P12ihipStream_tbDpT10_ENKUlT_T0_E_clISt17integral_constantIbLb1EES19_IbLb0EEEEDaS15_S16_EUlS15_E_NS1_11comp_targetILNS1_3genE2ELNS1_11target_archE906ELNS1_3gpuE6ELNS1_3repE0EEENS1_30default_config_static_selectorELNS0_4arch9wavefront6targetE1EEEvT1_
; %bb.0:
	.section	.rodata,"a",@progbits
	.p2align	6, 0x0
	.amdhsa_kernel _ZN7rocprim17ROCPRIM_400000_NS6detail17trampoline_kernelINS0_14default_configENS1_25partition_config_selectorILNS1_17partition_subalgoE9EllbEEZZNS1_14partition_implILS5_9ELb0ES3_jPlS8_PNS0_10empty_typeENS0_5tupleIJS8_S9_EEENSB_IJS8_SA_EEENS0_18inequality_wrapperIZN2at6native12_GLOBAL__N_124unique_dim_cuda_templateIsEESt5tupleIJNSF_6TensorESK_SK_EERKSK_lbbbEUlllE0_EEPmJS9_EEE10hipError_tPvRmT3_T4_T5_T6_T7_T9_mT8_P12ihipStream_tbDpT10_ENKUlT_T0_E_clISt17integral_constantIbLb1EES19_IbLb0EEEEDaS15_S16_EUlS15_E_NS1_11comp_targetILNS1_3genE2ELNS1_11target_archE906ELNS1_3gpuE6ELNS1_3repE0EEENS1_30default_config_static_selectorELNS0_4arch9wavefront6targetE1EEEvT1_
		.amdhsa_group_segment_fixed_size 0
		.amdhsa_private_segment_fixed_size 0
		.amdhsa_kernarg_size 120
		.amdhsa_user_sgpr_count 2
		.amdhsa_user_sgpr_dispatch_ptr 0
		.amdhsa_user_sgpr_queue_ptr 0
		.amdhsa_user_sgpr_kernarg_segment_ptr 1
		.amdhsa_user_sgpr_dispatch_id 0
		.amdhsa_user_sgpr_kernarg_preload_length 0
		.amdhsa_user_sgpr_kernarg_preload_offset 0
		.amdhsa_user_sgpr_private_segment_size 0
		.amdhsa_uses_dynamic_stack 0
		.amdhsa_enable_private_segment 0
		.amdhsa_system_sgpr_workgroup_id_x 1
		.amdhsa_system_sgpr_workgroup_id_y 0
		.amdhsa_system_sgpr_workgroup_id_z 0
		.amdhsa_system_sgpr_workgroup_info 0
		.amdhsa_system_vgpr_workitem_id 0
		.amdhsa_next_free_vgpr 1
		.amdhsa_next_free_sgpr 0
		.amdhsa_accum_offset 4
		.amdhsa_reserve_vcc 0
		.amdhsa_float_round_mode_32 0
		.amdhsa_float_round_mode_16_64 0
		.amdhsa_float_denorm_mode_32 3
		.amdhsa_float_denorm_mode_16_64 3
		.amdhsa_dx10_clamp 1
		.amdhsa_ieee_mode 1
		.amdhsa_fp16_overflow 0
		.amdhsa_tg_split 0
		.amdhsa_exception_fp_ieee_invalid_op 0
		.amdhsa_exception_fp_denorm_src 0
		.amdhsa_exception_fp_ieee_div_zero 0
		.amdhsa_exception_fp_ieee_overflow 0
		.amdhsa_exception_fp_ieee_underflow 0
		.amdhsa_exception_fp_ieee_inexact 0
		.amdhsa_exception_int_div_zero 0
	.end_amdhsa_kernel
	.section	.text._ZN7rocprim17ROCPRIM_400000_NS6detail17trampoline_kernelINS0_14default_configENS1_25partition_config_selectorILNS1_17partition_subalgoE9EllbEEZZNS1_14partition_implILS5_9ELb0ES3_jPlS8_PNS0_10empty_typeENS0_5tupleIJS8_S9_EEENSB_IJS8_SA_EEENS0_18inequality_wrapperIZN2at6native12_GLOBAL__N_124unique_dim_cuda_templateIsEESt5tupleIJNSF_6TensorESK_SK_EERKSK_lbbbEUlllE0_EEPmJS9_EEE10hipError_tPvRmT3_T4_T5_T6_T7_T9_mT8_P12ihipStream_tbDpT10_ENKUlT_T0_E_clISt17integral_constantIbLb1EES19_IbLb0EEEEDaS15_S16_EUlS15_E_NS1_11comp_targetILNS1_3genE2ELNS1_11target_archE906ELNS1_3gpuE6ELNS1_3repE0EEENS1_30default_config_static_selectorELNS0_4arch9wavefront6targetE1EEEvT1_,"axG",@progbits,_ZN7rocprim17ROCPRIM_400000_NS6detail17trampoline_kernelINS0_14default_configENS1_25partition_config_selectorILNS1_17partition_subalgoE9EllbEEZZNS1_14partition_implILS5_9ELb0ES3_jPlS8_PNS0_10empty_typeENS0_5tupleIJS8_S9_EEENSB_IJS8_SA_EEENS0_18inequality_wrapperIZN2at6native12_GLOBAL__N_124unique_dim_cuda_templateIsEESt5tupleIJNSF_6TensorESK_SK_EERKSK_lbbbEUlllE0_EEPmJS9_EEE10hipError_tPvRmT3_T4_T5_T6_T7_T9_mT8_P12ihipStream_tbDpT10_ENKUlT_T0_E_clISt17integral_constantIbLb1EES19_IbLb0EEEEDaS15_S16_EUlS15_E_NS1_11comp_targetILNS1_3genE2ELNS1_11target_archE906ELNS1_3gpuE6ELNS1_3repE0EEENS1_30default_config_static_selectorELNS0_4arch9wavefront6targetE1EEEvT1_,comdat
.Lfunc_end737:
	.size	_ZN7rocprim17ROCPRIM_400000_NS6detail17trampoline_kernelINS0_14default_configENS1_25partition_config_selectorILNS1_17partition_subalgoE9EllbEEZZNS1_14partition_implILS5_9ELb0ES3_jPlS8_PNS0_10empty_typeENS0_5tupleIJS8_S9_EEENSB_IJS8_SA_EEENS0_18inequality_wrapperIZN2at6native12_GLOBAL__N_124unique_dim_cuda_templateIsEESt5tupleIJNSF_6TensorESK_SK_EERKSK_lbbbEUlllE0_EEPmJS9_EEE10hipError_tPvRmT3_T4_T5_T6_T7_T9_mT8_P12ihipStream_tbDpT10_ENKUlT_T0_E_clISt17integral_constantIbLb1EES19_IbLb0EEEEDaS15_S16_EUlS15_E_NS1_11comp_targetILNS1_3genE2ELNS1_11target_archE906ELNS1_3gpuE6ELNS1_3repE0EEENS1_30default_config_static_selectorELNS0_4arch9wavefront6targetE1EEEvT1_, .Lfunc_end737-_ZN7rocprim17ROCPRIM_400000_NS6detail17trampoline_kernelINS0_14default_configENS1_25partition_config_selectorILNS1_17partition_subalgoE9EllbEEZZNS1_14partition_implILS5_9ELb0ES3_jPlS8_PNS0_10empty_typeENS0_5tupleIJS8_S9_EEENSB_IJS8_SA_EEENS0_18inequality_wrapperIZN2at6native12_GLOBAL__N_124unique_dim_cuda_templateIsEESt5tupleIJNSF_6TensorESK_SK_EERKSK_lbbbEUlllE0_EEPmJS9_EEE10hipError_tPvRmT3_T4_T5_T6_T7_T9_mT8_P12ihipStream_tbDpT10_ENKUlT_T0_E_clISt17integral_constantIbLb1EES19_IbLb0EEEEDaS15_S16_EUlS15_E_NS1_11comp_targetILNS1_3genE2ELNS1_11target_archE906ELNS1_3gpuE6ELNS1_3repE0EEENS1_30default_config_static_selectorELNS0_4arch9wavefront6targetE1EEEvT1_
                                        ; -- End function
	.set _ZN7rocprim17ROCPRIM_400000_NS6detail17trampoline_kernelINS0_14default_configENS1_25partition_config_selectorILNS1_17partition_subalgoE9EllbEEZZNS1_14partition_implILS5_9ELb0ES3_jPlS8_PNS0_10empty_typeENS0_5tupleIJS8_S9_EEENSB_IJS8_SA_EEENS0_18inequality_wrapperIZN2at6native12_GLOBAL__N_124unique_dim_cuda_templateIsEESt5tupleIJNSF_6TensorESK_SK_EERKSK_lbbbEUlllE0_EEPmJS9_EEE10hipError_tPvRmT3_T4_T5_T6_T7_T9_mT8_P12ihipStream_tbDpT10_ENKUlT_T0_E_clISt17integral_constantIbLb1EES19_IbLb0EEEEDaS15_S16_EUlS15_E_NS1_11comp_targetILNS1_3genE2ELNS1_11target_archE906ELNS1_3gpuE6ELNS1_3repE0EEENS1_30default_config_static_selectorELNS0_4arch9wavefront6targetE1EEEvT1_.num_vgpr, 0
	.set _ZN7rocprim17ROCPRIM_400000_NS6detail17trampoline_kernelINS0_14default_configENS1_25partition_config_selectorILNS1_17partition_subalgoE9EllbEEZZNS1_14partition_implILS5_9ELb0ES3_jPlS8_PNS0_10empty_typeENS0_5tupleIJS8_S9_EEENSB_IJS8_SA_EEENS0_18inequality_wrapperIZN2at6native12_GLOBAL__N_124unique_dim_cuda_templateIsEESt5tupleIJNSF_6TensorESK_SK_EERKSK_lbbbEUlllE0_EEPmJS9_EEE10hipError_tPvRmT3_T4_T5_T6_T7_T9_mT8_P12ihipStream_tbDpT10_ENKUlT_T0_E_clISt17integral_constantIbLb1EES19_IbLb0EEEEDaS15_S16_EUlS15_E_NS1_11comp_targetILNS1_3genE2ELNS1_11target_archE906ELNS1_3gpuE6ELNS1_3repE0EEENS1_30default_config_static_selectorELNS0_4arch9wavefront6targetE1EEEvT1_.num_agpr, 0
	.set _ZN7rocprim17ROCPRIM_400000_NS6detail17trampoline_kernelINS0_14default_configENS1_25partition_config_selectorILNS1_17partition_subalgoE9EllbEEZZNS1_14partition_implILS5_9ELb0ES3_jPlS8_PNS0_10empty_typeENS0_5tupleIJS8_S9_EEENSB_IJS8_SA_EEENS0_18inequality_wrapperIZN2at6native12_GLOBAL__N_124unique_dim_cuda_templateIsEESt5tupleIJNSF_6TensorESK_SK_EERKSK_lbbbEUlllE0_EEPmJS9_EEE10hipError_tPvRmT3_T4_T5_T6_T7_T9_mT8_P12ihipStream_tbDpT10_ENKUlT_T0_E_clISt17integral_constantIbLb1EES19_IbLb0EEEEDaS15_S16_EUlS15_E_NS1_11comp_targetILNS1_3genE2ELNS1_11target_archE906ELNS1_3gpuE6ELNS1_3repE0EEENS1_30default_config_static_selectorELNS0_4arch9wavefront6targetE1EEEvT1_.numbered_sgpr, 0
	.set _ZN7rocprim17ROCPRIM_400000_NS6detail17trampoline_kernelINS0_14default_configENS1_25partition_config_selectorILNS1_17partition_subalgoE9EllbEEZZNS1_14partition_implILS5_9ELb0ES3_jPlS8_PNS0_10empty_typeENS0_5tupleIJS8_S9_EEENSB_IJS8_SA_EEENS0_18inequality_wrapperIZN2at6native12_GLOBAL__N_124unique_dim_cuda_templateIsEESt5tupleIJNSF_6TensorESK_SK_EERKSK_lbbbEUlllE0_EEPmJS9_EEE10hipError_tPvRmT3_T4_T5_T6_T7_T9_mT8_P12ihipStream_tbDpT10_ENKUlT_T0_E_clISt17integral_constantIbLb1EES19_IbLb0EEEEDaS15_S16_EUlS15_E_NS1_11comp_targetILNS1_3genE2ELNS1_11target_archE906ELNS1_3gpuE6ELNS1_3repE0EEENS1_30default_config_static_selectorELNS0_4arch9wavefront6targetE1EEEvT1_.num_named_barrier, 0
	.set _ZN7rocprim17ROCPRIM_400000_NS6detail17trampoline_kernelINS0_14default_configENS1_25partition_config_selectorILNS1_17partition_subalgoE9EllbEEZZNS1_14partition_implILS5_9ELb0ES3_jPlS8_PNS0_10empty_typeENS0_5tupleIJS8_S9_EEENSB_IJS8_SA_EEENS0_18inequality_wrapperIZN2at6native12_GLOBAL__N_124unique_dim_cuda_templateIsEESt5tupleIJNSF_6TensorESK_SK_EERKSK_lbbbEUlllE0_EEPmJS9_EEE10hipError_tPvRmT3_T4_T5_T6_T7_T9_mT8_P12ihipStream_tbDpT10_ENKUlT_T0_E_clISt17integral_constantIbLb1EES19_IbLb0EEEEDaS15_S16_EUlS15_E_NS1_11comp_targetILNS1_3genE2ELNS1_11target_archE906ELNS1_3gpuE6ELNS1_3repE0EEENS1_30default_config_static_selectorELNS0_4arch9wavefront6targetE1EEEvT1_.private_seg_size, 0
	.set _ZN7rocprim17ROCPRIM_400000_NS6detail17trampoline_kernelINS0_14default_configENS1_25partition_config_selectorILNS1_17partition_subalgoE9EllbEEZZNS1_14partition_implILS5_9ELb0ES3_jPlS8_PNS0_10empty_typeENS0_5tupleIJS8_S9_EEENSB_IJS8_SA_EEENS0_18inequality_wrapperIZN2at6native12_GLOBAL__N_124unique_dim_cuda_templateIsEESt5tupleIJNSF_6TensorESK_SK_EERKSK_lbbbEUlllE0_EEPmJS9_EEE10hipError_tPvRmT3_T4_T5_T6_T7_T9_mT8_P12ihipStream_tbDpT10_ENKUlT_T0_E_clISt17integral_constantIbLb1EES19_IbLb0EEEEDaS15_S16_EUlS15_E_NS1_11comp_targetILNS1_3genE2ELNS1_11target_archE906ELNS1_3gpuE6ELNS1_3repE0EEENS1_30default_config_static_selectorELNS0_4arch9wavefront6targetE1EEEvT1_.uses_vcc, 0
	.set _ZN7rocprim17ROCPRIM_400000_NS6detail17trampoline_kernelINS0_14default_configENS1_25partition_config_selectorILNS1_17partition_subalgoE9EllbEEZZNS1_14partition_implILS5_9ELb0ES3_jPlS8_PNS0_10empty_typeENS0_5tupleIJS8_S9_EEENSB_IJS8_SA_EEENS0_18inequality_wrapperIZN2at6native12_GLOBAL__N_124unique_dim_cuda_templateIsEESt5tupleIJNSF_6TensorESK_SK_EERKSK_lbbbEUlllE0_EEPmJS9_EEE10hipError_tPvRmT3_T4_T5_T6_T7_T9_mT8_P12ihipStream_tbDpT10_ENKUlT_T0_E_clISt17integral_constantIbLb1EES19_IbLb0EEEEDaS15_S16_EUlS15_E_NS1_11comp_targetILNS1_3genE2ELNS1_11target_archE906ELNS1_3gpuE6ELNS1_3repE0EEENS1_30default_config_static_selectorELNS0_4arch9wavefront6targetE1EEEvT1_.uses_flat_scratch, 0
	.set _ZN7rocprim17ROCPRIM_400000_NS6detail17trampoline_kernelINS0_14default_configENS1_25partition_config_selectorILNS1_17partition_subalgoE9EllbEEZZNS1_14partition_implILS5_9ELb0ES3_jPlS8_PNS0_10empty_typeENS0_5tupleIJS8_S9_EEENSB_IJS8_SA_EEENS0_18inequality_wrapperIZN2at6native12_GLOBAL__N_124unique_dim_cuda_templateIsEESt5tupleIJNSF_6TensorESK_SK_EERKSK_lbbbEUlllE0_EEPmJS9_EEE10hipError_tPvRmT3_T4_T5_T6_T7_T9_mT8_P12ihipStream_tbDpT10_ENKUlT_T0_E_clISt17integral_constantIbLb1EES19_IbLb0EEEEDaS15_S16_EUlS15_E_NS1_11comp_targetILNS1_3genE2ELNS1_11target_archE906ELNS1_3gpuE6ELNS1_3repE0EEENS1_30default_config_static_selectorELNS0_4arch9wavefront6targetE1EEEvT1_.has_dyn_sized_stack, 0
	.set _ZN7rocprim17ROCPRIM_400000_NS6detail17trampoline_kernelINS0_14default_configENS1_25partition_config_selectorILNS1_17partition_subalgoE9EllbEEZZNS1_14partition_implILS5_9ELb0ES3_jPlS8_PNS0_10empty_typeENS0_5tupleIJS8_S9_EEENSB_IJS8_SA_EEENS0_18inequality_wrapperIZN2at6native12_GLOBAL__N_124unique_dim_cuda_templateIsEESt5tupleIJNSF_6TensorESK_SK_EERKSK_lbbbEUlllE0_EEPmJS9_EEE10hipError_tPvRmT3_T4_T5_T6_T7_T9_mT8_P12ihipStream_tbDpT10_ENKUlT_T0_E_clISt17integral_constantIbLb1EES19_IbLb0EEEEDaS15_S16_EUlS15_E_NS1_11comp_targetILNS1_3genE2ELNS1_11target_archE906ELNS1_3gpuE6ELNS1_3repE0EEENS1_30default_config_static_selectorELNS0_4arch9wavefront6targetE1EEEvT1_.has_recursion, 0
	.set _ZN7rocprim17ROCPRIM_400000_NS6detail17trampoline_kernelINS0_14default_configENS1_25partition_config_selectorILNS1_17partition_subalgoE9EllbEEZZNS1_14partition_implILS5_9ELb0ES3_jPlS8_PNS0_10empty_typeENS0_5tupleIJS8_S9_EEENSB_IJS8_SA_EEENS0_18inequality_wrapperIZN2at6native12_GLOBAL__N_124unique_dim_cuda_templateIsEESt5tupleIJNSF_6TensorESK_SK_EERKSK_lbbbEUlllE0_EEPmJS9_EEE10hipError_tPvRmT3_T4_T5_T6_T7_T9_mT8_P12ihipStream_tbDpT10_ENKUlT_T0_E_clISt17integral_constantIbLb1EES19_IbLb0EEEEDaS15_S16_EUlS15_E_NS1_11comp_targetILNS1_3genE2ELNS1_11target_archE906ELNS1_3gpuE6ELNS1_3repE0EEENS1_30default_config_static_selectorELNS0_4arch9wavefront6targetE1EEEvT1_.has_indirect_call, 0
	.section	.AMDGPU.csdata,"",@progbits
; Kernel info:
; codeLenInByte = 0
; TotalNumSgprs: 6
; NumVgprs: 0
; NumAgprs: 0
; TotalNumVgprs: 0
; ScratchSize: 0
; MemoryBound: 0
; FloatMode: 240
; IeeeMode: 1
; LDSByteSize: 0 bytes/workgroup (compile time only)
; SGPRBlocks: 0
; VGPRBlocks: 0
; NumSGPRsForWavesPerEU: 6
; NumVGPRsForWavesPerEU: 1
; AccumOffset: 4
; Occupancy: 8
; WaveLimiterHint : 0
; COMPUTE_PGM_RSRC2:SCRATCH_EN: 0
; COMPUTE_PGM_RSRC2:USER_SGPR: 2
; COMPUTE_PGM_RSRC2:TRAP_HANDLER: 0
; COMPUTE_PGM_RSRC2:TGID_X_EN: 1
; COMPUTE_PGM_RSRC2:TGID_Y_EN: 0
; COMPUTE_PGM_RSRC2:TGID_Z_EN: 0
; COMPUTE_PGM_RSRC2:TIDIG_COMP_CNT: 0
; COMPUTE_PGM_RSRC3_GFX90A:ACCUM_OFFSET: 0
; COMPUTE_PGM_RSRC3_GFX90A:TG_SPLIT: 0
	.section	.text._ZN7rocprim17ROCPRIM_400000_NS6detail17trampoline_kernelINS0_14default_configENS1_25partition_config_selectorILNS1_17partition_subalgoE9EllbEEZZNS1_14partition_implILS5_9ELb0ES3_jPlS8_PNS0_10empty_typeENS0_5tupleIJS8_S9_EEENSB_IJS8_SA_EEENS0_18inequality_wrapperIZN2at6native12_GLOBAL__N_124unique_dim_cuda_templateIsEESt5tupleIJNSF_6TensorESK_SK_EERKSK_lbbbEUlllE0_EEPmJS9_EEE10hipError_tPvRmT3_T4_T5_T6_T7_T9_mT8_P12ihipStream_tbDpT10_ENKUlT_T0_E_clISt17integral_constantIbLb1EES19_IbLb0EEEEDaS15_S16_EUlS15_E_NS1_11comp_targetILNS1_3genE10ELNS1_11target_archE1200ELNS1_3gpuE4ELNS1_3repE0EEENS1_30default_config_static_selectorELNS0_4arch9wavefront6targetE1EEEvT1_,"axG",@progbits,_ZN7rocprim17ROCPRIM_400000_NS6detail17trampoline_kernelINS0_14default_configENS1_25partition_config_selectorILNS1_17partition_subalgoE9EllbEEZZNS1_14partition_implILS5_9ELb0ES3_jPlS8_PNS0_10empty_typeENS0_5tupleIJS8_S9_EEENSB_IJS8_SA_EEENS0_18inequality_wrapperIZN2at6native12_GLOBAL__N_124unique_dim_cuda_templateIsEESt5tupleIJNSF_6TensorESK_SK_EERKSK_lbbbEUlllE0_EEPmJS9_EEE10hipError_tPvRmT3_T4_T5_T6_T7_T9_mT8_P12ihipStream_tbDpT10_ENKUlT_T0_E_clISt17integral_constantIbLb1EES19_IbLb0EEEEDaS15_S16_EUlS15_E_NS1_11comp_targetILNS1_3genE10ELNS1_11target_archE1200ELNS1_3gpuE4ELNS1_3repE0EEENS1_30default_config_static_selectorELNS0_4arch9wavefront6targetE1EEEvT1_,comdat
	.globl	_ZN7rocprim17ROCPRIM_400000_NS6detail17trampoline_kernelINS0_14default_configENS1_25partition_config_selectorILNS1_17partition_subalgoE9EllbEEZZNS1_14partition_implILS5_9ELb0ES3_jPlS8_PNS0_10empty_typeENS0_5tupleIJS8_S9_EEENSB_IJS8_SA_EEENS0_18inequality_wrapperIZN2at6native12_GLOBAL__N_124unique_dim_cuda_templateIsEESt5tupleIJNSF_6TensorESK_SK_EERKSK_lbbbEUlllE0_EEPmJS9_EEE10hipError_tPvRmT3_T4_T5_T6_T7_T9_mT8_P12ihipStream_tbDpT10_ENKUlT_T0_E_clISt17integral_constantIbLb1EES19_IbLb0EEEEDaS15_S16_EUlS15_E_NS1_11comp_targetILNS1_3genE10ELNS1_11target_archE1200ELNS1_3gpuE4ELNS1_3repE0EEENS1_30default_config_static_selectorELNS0_4arch9wavefront6targetE1EEEvT1_ ; -- Begin function _ZN7rocprim17ROCPRIM_400000_NS6detail17trampoline_kernelINS0_14default_configENS1_25partition_config_selectorILNS1_17partition_subalgoE9EllbEEZZNS1_14partition_implILS5_9ELb0ES3_jPlS8_PNS0_10empty_typeENS0_5tupleIJS8_S9_EEENSB_IJS8_SA_EEENS0_18inequality_wrapperIZN2at6native12_GLOBAL__N_124unique_dim_cuda_templateIsEESt5tupleIJNSF_6TensorESK_SK_EERKSK_lbbbEUlllE0_EEPmJS9_EEE10hipError_tPvRmT3_T4_T5_T6_T7_T9_mT8_P12ihipStream_tbDpT10_ENKUlT_T0_E_clISt17integral_constantIbLb1EES19_IbLb0EEEEDaS15_S16_EUlS15_E_NS1_11comp_targetILNS1_3genE10ELNS1_11target_archE1200ELNS1_3gpuE4ELNS1_3repE0EEENS1_30default_config_static_selectorELNS0_4arch9wavefront6targetE1EEEvT1_
	.p2align	8
	.type	_ZN7rocprim17ROCPRIM_400000_NS6detail17trampoline_kernelINS0_14default_configENS1_25partition_config_selectorILNS1_17partition_subalgoE9EllbEEZZNS1_14partition_implILS5_9ELb0ES3_jPlS8_PNS0_10empty_typeENS0_5tupleIJS8_S9_EEENSB_IJS8_SA_EEENS0_18inequality_wrapperIZN2at6native12_GLOBAL__N_124unique_dim_cuda_templateIsEESt5tupleIJNSF_6TensorESK_SK_EERKSK_lbbbEUlllE0_EEPmJS9_EEE10hipError_tPvRmT3_T4_T5_T6_T7_T9_mT8_P12ihipStream_tbDpT10_ENKUlT_T0_E_clISt17integral_constantIbLb1EES19_IbLb0EEEEDaS15_S16_EUlS15_E_NS1_11comp_targetILNS1_3genE10ELNS1_11target_archE1200ELNS1_3gpuE4ELNS1_3repE0EEENS1_30default_config_static_selectorELNS0_4arch9wavefront6targetE1EEEvT1_,@function
_ZN7rocprim17ROCPRIM_400000_NS6detail17trampoline_kernelINS0_14default_configENS1_25partition_config_selectorILNS1_17partition_subalgoE9EllbEEZZNS1_14partition_implILS5_9ELb0ES3_jPlS8_PNS0_10empty_typeENS0_5tupleIJS8_S9_EEENSB_IJS8_SA_EEENS0_18inequality_wrapperIZN2at6native12_GLOBAL__N_124unique_dim_cuda_templateIsEESt5tupleIJNSF_6TensorESK_SK_EERKSK_lbbbEUlllE0_EEPmJS9_EEE10hipError_tPvRmT3_T4_T5_T6_T7_T9_mT8_P12ihipStream_tbDpT10_ENKUlT_T0_E_clISt17integral_constantIbLb1EES19_IbLb0EEEEDaS15_S16_EUlS15_E_NS1_11comp_targetILNS1_3genE10ELNS1_11target_archE1200ELNS1_3gpuE4ELNS1_3repE0EEENS1_30default_config_static_selectorELNS0_4arch9wavefront6targetE1EEEvT1_: ; @_ZN7rocprim17ROCPRIM_400000_NS6detail17trampoline_kernelINS0_14default_configENS1_25partition_config_selectorILNS1_17partition_subalgoE9EllbEEZZNS1_14partition_implILS5_9ELb0ES3_jPlS8_PNS0_10empty_typeENS0_5tupleIJS8_S9_EEENSB_IJS8_SA_EEENS0_18inequality_wrapperIZN2at6native12_GLOBAL__N_124unique_dim_cuda_templateIsEESt5tupleIJNSF_6TensorESK_SK_EERKSK_lbbbEUlllE0_EEPmJS9_EEE10hipError_tPvRmT3_T4_T5_T6_T7_T9_mT8_P12ihipStream_tbDpT10_ENKUlT_T0_E_clISt17integral_constantIbLb1EES19_IbLb0EEEEDaS15_S16_EUlS15_E_NS1_11comp_targetILNS1_3genE10ELNS1_11target_archE1200ELNS1_3gpuE4ELNS1_3repE0EEENS1_30default_config_static_selectorELNS0_4arch9wavefront6targetE1EEEvT1_
; %bb.0:
	.section	.rodata,"a",@progbits
	.p2align	6, 0x0
	.amdhsa_kernel _ZN7rocprim17ROCPRIM_400000_NS6detail17trampoline_kernelINS0_14default_configENS1_25partition_config_selectorILNS1_17partition_subalgoE9EllbEEZZNS1_14partition_implILS5_9ELb0ES3_jPlS8_PNS0_10empty_typeENS0_5tupleIJS8_S9_EEENSB_IJS8_SA_EEENS0_18inequality_wrapperIZN2at6native12_GLOBAL__N_124unique_dim_cuda_templateIsEESt5tupleIJNSF_6TensorESK_SK_EERKSK_lbbbEUlllE0_EEPmJS9_EEE10hipError_tPvRmT3_T4_T5_T6_T7_T9_mT8_P12ihipStream_tbDpT10_ENKUlT_T0_E_clISt17integral_constantIbLb1EES19_IbLb0EEEEDaS15_S16_EUlS15_E_NS1_11comp_targetILNS1_3genE10ELNS1_11target_archE1200ELNS1_3gpuE4ELNS1_3repE0EEENS1_30default_config_static_selectorELNS0_4arch9wavefront6targetE1EEEvT1_
		.amdhsa_group_segment_fixed_size 0
		.amdhsa_private_segment_fixed_size 0
		.amdhsa_kernarg_size 120
		.amdhsa_user_sgpr_count 2
		.amdhsa_user_sgpr_dispatch_ptr 0
		.amdhsa_user_sgpr_queue_ptr 0
		.amdhsa_user_sgpr_kernarg_segment_ptr 1
		.amdhsa_user_sgpr_dispatch_id 0
		.amdhsa_user_sgpr_kernarg_preload_length 0
		.amdhsa_user_sgpr_kernarg_preload_offset 0
		.amdhsa_user_sgpr_private_segment_size 0
		.amdhsa_uses_dynamic_stack 0
		.amdhsa_enable_private_segment 0
		.amdhsa_system_sgpr_workgroup_id_x 1
		.amdhsa_system_sgpr_workgroup_id_y 0
		.amdhsa_system_sgpr_workgroup_id_z 0
		.amdhsa_system_sgpr_workgroup_info 0
		.amdhsa_system_vgpr_workitem_id 0
		.amdhsa_next_free_vgpr 1
		.amdhsa_next_free_sgpr 0
		.amdhsa_accum_offset 4
		.amdhsa_reserve_vcc 0
		.amdhsa_float_round_mode_32 0
		.amdhsa_float_round_mode_16_64 0
		.amdhsa_float_denorm_mode_32 3
		.amdhsa_float_denorm_mode_16_64 3
		.amdhsa_dx10_clamp 1
		.amdhsa_ieee_mode 1
		.amdhsa_fp16_overflow 0
		.amdhsa_tg_split 0
		.amdhsa_exception_fp_ieee_invalid_op 0
		.amdhsa_exception_fp_denorm_src 0
		.amdhsa_exception_fp_ieee_div_zero 0
		.amdhsa_exception_fp_ieee_overflow 0
		.amdhsa_exception_fp_ieee_underflow 0
		.amdhsa_exception_fp_ieee_inexact 0
		.amdhsa_exception_int_div_zero 0
	.end_amdhsa_kernel
	.section	.text._ZN7rocprim17ROCPRIM_400000_NS6detail17trampoline_kernelINS0_14default_configENS1_25partition_config_selectorILNS1_17partition_subalgoE9EllbEEZZNS1_14partition_implILS5_9ELb0ES3_jPlS8_PNS0_10empty_typeENS0_5tupleIJS8_S9_EEENSB_IJS8_SA_EEENS0_18inequality_wrapperIZN2at6native12_GLOBAL__N_124unique_dim_cuda_templateIsEESt5tupleIJNSF_6TensorESK_SK_EERKSK_lbbbEUlllE0_EEPmJS9_EEE10hipError_tPvRmT3_T4_T5_T6_T7_T9_mT8_P12ihipStream_tbDpT10_ENKUlT_T0_E_clISt17integral_constantIbLb1EES19_IbLb0EEEEDaS15_S16_EUlS15_E_NS1_11comp_targetILNS1_3genE10ELNS1_11target_archE1200ELNS1_3gpuE4ELNS1_3repE0EEENS1_30default_config_static_selectorELNS0_4arch9wavefront6targetE1EEEvT1_,"axG",@progbits,_ZN7rocprim17ROCPRIM_400000_NS6detail17trampoline_kernelINS0_14default_configENS1_25partition_config_selectorILNS1_17partition_subalgoE9EllbEEZZNS1_14partition_implILS5_9ELb0ES3_jPlS8_PNS0_10empty_typeENS0_5tupleIJS8_S9_EEENSB_IJS8_SA_EEENS0_18inequality_wrapperIZN2at6native12_GLOBAL__N_124unique_dim_cuda_templateIsEESt5tupleIJNSF_6TensorESK_SK_EERKSK_lbbbEUlllE0_EEPmJS9_EEE10hipError_tPvRmT3_T4_T5_T6_T7_T9_mT8_P12ihipStream_tbDpT10_ENKUlT_T0_E_clISt17integral_constantIbLb1EES19_IbLb0EEEEDaS15_S16_EUlS15_E_NS1_11comp_targetILNS1_3genE10ELNS1_11target_archE1200ELNS1_3gpuE4ELNS1_3repE0EEENS1_30default_config_static_selectorELNS0_4arch9wavefront6targetE1EEEvT1_,comdat
.Lfunc_end738:
	.size	_ZN7rocprim17ROCPRIM_400000_NS6detail17trampoline_kernelINS0_14default_configENS1_25partition_config_selectorILNS1_17partition_subalgoE9EllbEEZZNS1_14partition_implILS5_9ELb0ES3_jPlS8_PNS0_10empty_typeENS0_5tupleIJS8_S9_EEENSB_IJS8_SA_EEENS0_18inequality_wrapperIZN2at6native12_GLOBAL__N_124unique_dim_cuda_templateIsEESt5tupleIJNSF_6TensorESK_SK_EERKSK_lbbbEUlllE0_EEPmJS9_EEE10hipError_tPvRmT3_T4_T5_T6_T7_T9_mT8_P12ihipStream_tbDpT10_ENKUlT_T0_E_clISt17integral_constantIbLb1EES19_IbLb0EEEEDaS15_S16_EUlS15_E_NS1_11comp_targetILNS1_3genE10ELNS1_11target_archE1200ELNS1_3gpuE4ELNS1_3repE0EEENS1_30default_config_static_selectorELNS0_4arch9wavefront6targetE1EEEvT1_, .Lfunc_end738-_ZN7rocprim17ROCPRIM_400000_NS6detail17trampoline_kernelINS0_14default_configENS1_25partition_config_selectorILNS1_17partition_subalgoE9EllbEEZZNS1_14partition_implILS5_9ELb0ES3_jPlS8_PNS0_10empty_typeENS0_5tupleIJS8_S9_EEENSB_IJS8_SA_EEENS0_18inequality_wrapperIZN2at6native12_GLOBAL__N_124unique_dim_cuda_templateIsEESt5tupleIJNSF_6TensorESK_SK_EERKSK_lbbbEUlllE0_EEPmJS9_EEE10hipError_tPvRmT3_T4_T5_T6_T7_T9_mT8_P12ihipStream_tbDpT10_ENKUlT_T0_E_clISt17integral_constantIbLb1EES19_IbLb0EEEEDaS15_S16_EUlS15_E_NS1_11comp_targetILNS1_3genE10ELNS1_11target_archE1200ELNS1_3gpuE4ELNS1_3repE0EEENS1_30default_config_static_selectorELNS0_4arch9wavefront6targetE1EEEvT1_
                                        ; -- End function
	.set _ZN7rocprim17ROCPRIM_400000_NS6detail17trampoline_kernelINS0_14default_configENS1_25partition_config_selectorILNS1_17partition_subalgoE9EllbEEZZNS1_14partition_implILS5_9ELb0ES3_jPlS8_PNS0_10empty_typeENS0_5tupleIJS8_S9_EEENSB_IJS8_SA_EEENS0_18inequality_wrapperIZN2at6native12_GLOBAL__N_124unique_dim_cuda_templateIsEESt5tupleIJNSF_6TensorESK_SK_EERKSK_lbbbEUlllE0_EEPmJS9_EEE10hipError_tPvRmT3_T4_T5_T6_T7_T9_mT8_P12ihipStream_tbDpT10_ENKUlT_T0_E_clISt17integral_constantIbLb1EES19_IbLb0EEEEDaS15_S16_EUlS15_E_NS1_11comp_targetILNS1_3genE10ELNS1_11target_archE1200ELNS1_3gpuE4ELNS1_3repE0EEENS1_30default_config_static_selectorELNS0_4arch9wavefront6targetE1EEEvT1_.num_vgpr, 0
	.set _ZN7rocprim17ROCPRIM_400000_NS6detail17trampoline_kernelINS0_14default_configENS1_25partition_config_selectorILNS1_17partition_subalgoE9EllbEEZZNS1_14partition_implILS5_9ELb0ES3_jPlS8_PNS0_10empty_typeENS0_5tupleIJS8_S9_EEENSB_IJS8_SA_EEENS0_18inequality_wrapperIZN2at6native12_GLOBAL__N_124unique_dim_cuda_templateIsEESt5tupleIJNSF_6TensorESK_SK_EERKSK_lbbbEUlllE0_EEPmJS9_EEE10hipError_tPvRmT3_T4_T5_T6_T7_T9_mT8_P12ihipStream_tbDpT10_ENKUlT_T0_E_clISt17integral_constantIbLb1EES19_IbLb0EEEEDaS15_S16_EUlS15_E_NS1_11comp_targetILNS1_3genE10ELNS1_11target_archE1200ELNS1_3gpuE4ELNS1_3repE0EEENS1_30default_config_static_selectorELNS0_4arch9wavefront6targetE1EEEvT1_.num_agpr, 0
	.set _ZN7rocprim17ROCPRIM_400000_NS6detail17trampoline_kernelINS0_14default_configENS1_25partition_config_selectorILNS1_17partition_subalgoE9EllbEEZZNS1_14partition_implILS5_9ELb0ES3_jPlS8_PNS0_10empty_typeENS0_5tupleIJS8_S9_EEENSB_IJS8_SA_EEENS0_18inequality_wrapperIZN2at6native12_GLOBAL__N_124unique_dim_cuda_templateIsEESt5tupleIJNSF_6TensorESK_SK_EERKSK_lbbbEUlllE0_EEPmJS9_EEE10hipError_tPvRmT3_T4_T5_T6_T7_T9_mT8_P12ihipStream_tbDpT10_ENKUlT_T0_E_clISt17integral_constantIbLb1EES19_IbLb0EEEEDaS15_S16_EUlS15_E_NS1_11comp_targetILNS1_3genE10ELNS1_11target_archE1200ELNS1_3gpuE4ELNS1_3repE0EEENS1_30default_config_static_selectorELNS0_4arch9wavefront6targetE1EEEvT1_.numbered_sgpr, 0
	.set _ZN7rocprim17ROCPRIM_400000_NS6detail17trampoline_kernelINS0_14default_configENS1_25partition_config_selectorILNS1_17partition_subalgoE9EllbEEZZNS1_14partition_implILS5_9ELb0ES3_jPlS8_PNS0_10empty_typeENS0_5tupleIJS8_S9_EEENSB_IJS8_SA_EEENS0_18inequality_wrapperIZN2at6native12_GLOBAL__N_124unique_dim_cuda_templateIsEESt5tupleIJNSF_6TensorESK_SK_EERKSK_lbbbEUlllE0_EEPmJS9_EEE10hipError_tPvRmT3_T4_T5_T6_T7_T9_mT8_P12ihipStream_tbDpT10_ENKUlT_T0_E_clISt17integral_constantIbLb1EES19_IbLb0EEEEDaS15_S16_EUlS15_E_NS1_11comp_targetILNS1_3genE10ELNS1_11target_archE1200ELNS1_3gpuE4ELNS1_3repE0EEENS1_30default_config_static_selectorELNS0_4arch9wavefront6targetE1EEEvT1_.num_named_barrier, 0
	.set _ZN7rocprim17ROCPRIM_400000_NS6detail17trampoline_kernelINS0_14default_configENS1_25partition_config_selectorILNS1_17partition_subalgoE9EllbEEZZNS1_14partition_implILS5_9ELb0ES3_jPlS8_PNS0_10empty_typeENS0_5tupleIJS8_S9_EEENSB_IJS8_SA_EEENS0_18inequality_wrapperIZN2at6native12_GLOBAL__N_124unique_dim_cuda_templateIsEESt5tupleIJNSF_6TensorESK_SK_EERKSK_lbbbEUlllE0_EEPmJS9_EEE10hipError_tPvRmT3_T4_T5_T6_T7_T9_mT8_P12ihipStream_tbDpT10_ENKUlT_T0_E_clISt17integral_constantIbLb1EES19_IbLb0EEEEDaS15_S16_EUlS15_E_NS1_11comp_targetILNS1_3genE10ELNS1_11target_archE1200ELNS1_3gpuE4ELNS1_3repE0EEENS1_30default_config_static_selectorELNS0_4arch9wavefront6targetE1EEEvT1_.private_seg_size, 0
	.set _ZN7rocprim17ROCPRIM_400000_NS6detail17trampoline_kernelINS0_14default_configENS1_25partition_config_selectorILNS1_17partition_subalgoE9EllbEEZZNS1_14partition_implILS5_9ELb0ES3_jPlS8_PNS0_10empty_typeENS0_5tupleIJS8_S9_EEENSB_IJS8_SA_EEENS0_18inequality_wrapperIZN2at6native12_GLOBAL__N_124unique_dim_cuda_templateIsEESt5tupleIJNSF_6TensorESK_SK_EERKSK_lbbbEUlllE0_EEPmJS9_EEE10hipError_tPvRmT3_T4_T5_T6_T7_T9_mT8_P12ihipStream_tbDpT10_ENKUlT_T0_E_clISt17integral_constantIbLb1EES19_IbLb0EEEEDaS15_S16_EUlS15_E_NS1_11comp_targetILNS1_3genE10ELNS1_11target_archE1200ELNS1_3gpuE4ELNS1_3repE0EEENS1_30default_config_static_selectorELNS0_4arch9wavefront6targetE1EEEvT1_.uses_vcc, 0
	.set _ZN7rocprim17ROCPRIM_400000_NS6detail17trampoline_kernelINS0_14default_configENS1_25partition_config_selectorILNS1_17partition_subalgoE9EllbEEZZNS1_14partition_implILS5_9ELb0ES3_jPlS8_PNS0_10empty_typeENS0_5tupleIJS8_S9_EEENSB_IJS8_SA_EEENS0_18inequality_wrapperIZN2at6native12_GLOBAL__N_124unique_dim_cuda_templateIsEESt5tupleIJNSF_6TensorESK_SK_EERKSK_lbbbEUlllE0_EEPmJS9_EEE10hipError_tPvRmT3_T4_T5_T6_T7_T9_mT8_P12ihipStream_tbDpT10_ENKUlT_T0_E_clISt17integral_constantIbLb1EES19_IbLb0EEEEDaS15_S16_EUlS15_E_NS1_11comp_targetILNS1_3genE10ELNS1_11target_archE1200ELNS1_3gpuE4ELNS1_3repE0EEENS1_30default_config_static_selectorELNS0_4arch9wavefront6targetE1EEEvT1_.uses_flat_scratch, 0
	.set _ZN7rocprim17ROCPRIM_400000_NS6detail17trampoline_kernelINS0_14default_configENS1_25partition_config_selectorILNS1_17partition_subalgoE9EllbEEZZNS1_14partition_implILS5_9ELb0ES3_jPlS8_PNS0_10empty_typeENS0_5tupleIJS8_S9_EEENSB_IJS8_SA_EEENS0_18inequality_wrapperIZN2at6native12_GLOBAL__N_124unique_dim_cuda_templateIsEESt5tupleIJNSF_6TensorESK_SK_EERKSK_lbbbEUlllE0_EEPmJS9_EEE10hipError_tPvRmT3_T4_T5_T6_T7_T9_mT8_P12ihipStream_tbDpT10_ENKUlT_T0_E_clISt17integral_constantIbLb1EES19_IbLb0EEEEDaS15_S16_EUlS15_E_NS1_11comp_targetILNS1_3genE10ELNS1_11target_archE1200ELNS1_3gpuE4ELNS1_3repE0EEENS1_30default_config_static_selectorELNS0_4arch9wavefront6targetE1EEEvT1_.has_dyn_sized_stack, 0
	.set _ZN7rocprim17ROCPRIM_400000_NS6detail17trampoline_kernelINS0_14default_configENS1_25partition_config_selectorILNS1_17partition_subalgoE9EllbEEZZNS1_14partition_implILS5_9ELb0ES3_jPlS8_PNS0_10empty_typeENS0_5tupleIJS8_S9_EEENSB_IJS8_SA_EEENS0_18inequality_wrapperIZN2at6native12_GLOBAL__N_124unique_dim_cuda_templateIsEESt5tupleIJNSF_6TensorESK_SK_EERKSK_lbbbEUlllE0_EEPmJS9_EEE10hipError_tPvRmT3_T4_T5_T6_T7_T9_mT8_P12ihipStream_tbDpT10_ENKUlT_T0_E_clISt17integral_constantIbLb1EES19_IbLb0EEEEDaS15_S16_EUlS15_E_NS1_11comp_targetILNS1_3genE10ELNS1_11target_archE1200ELNS1_3gpuE4ELNS1_3repE0EEENS1_30default_config_static_selectorELNS0_4arch9wavefront6targetE1EEEvT1_.has_recursion, 0
	.set _ZN7rocprim17ROCPRIM_400000_NS6detail17trampoline_kernelINS0_14default_configENS1_25partition_config_selectorILNS1_17partition_subalgoE9EllbEEZZNS1_14partition_implILS5_9ELb0ES3_jPlS8_PNS0_10empty_typeENS0_5tupleIJS8_S9_EEENSB_IJS8_SA_EEENS0_18inequality_wrapperIZN2at6native12_GLOBAL__N_124unique_dim_cuda_templateIsEESt5tupleIJNSF_6TensorESK_SK_EERKSK_lbbbEUlllE0_EEPmJS9_EEE10hipError_tPvRmT3_T4_T5_T6_T7_T9_mT8_P12ihipStream_tbDpT10_ENKUlT_T0_E_clISt17integral_constantIbLb1EES19_IbLb0EEEEDaS15_S16_EUlS15_E_NS1_11comp_targetILNS1_3genE10ELNS1_11target_archE1200ELNS1_3gpuE4ELNS1_3repE0EEENS1_30default_config_static_selectorELNS0_4arch9wavefront6targetE1EEEvT1_.has_indirect_call, 0
	.section	.AMDGPU.csdata,"",@progbits
; Kernel info:
; codeLenInByte = 0
; TotalNumSgprs: 6
; NumVgprs: 0
; NumAgprs: 0
; TotalNumVgprs: 0
; ScratchSize: 0
; MemoryBound: 0
; FloatMode: 240
; IeeeMode: 1
; LDSByteSize: 0 bytes/workgroup (compile time only)
; SGPRBlocks: 0
; VGPRBlocks: 0
; NumSGPRsForWavesPerEU: 6
; NumVGPRsForWavesPerEU: 1
; AccumOffset: 4
; Occupancy: 8
; WaveLimiterHint : 0
; COMPUTE_PGM_RSRC2:SCRATCH_EN: 0
; COMPUTE_PGM_RSRC2:USER_SGPR: 2
; COMPUTE_PGM_RSRC2:TRAP_HANDLER: 0
; COMPUTE_PGM_RSRC2:TGID_X_EN: 1
; COMPUTE_PGM_RSRC2:TGID_Y_EN: 0
; COMPUTE_PGM_RSRC2:TGID_Z_EN: 0
; COMPUTE_PGM_RSRC2:TIDIG_COMP_CNT: 0
; COMPUTE_PGM_RSRC3_GFX90A:ACCUM_OFFSET: 0
; COMPUTE_PGM_RSRC3_GFX90A:TG_SPLIT: 0
	.section	.text._ZN7rocprim17ROCPRIM_400000_NS6detail17trampoline_kernelINS0_14default_configENS1_25partition_config_selectorILNS1_17partition_subalgoE9EllbEEZZNS1_14partition_implILS5_9ELb0ES3_jPlS8_PNS0_10empty_typeENS0_5tupleIJS8_S9_EEENSB_IJS8_SA_EEENS0_18inequality_wrapperIZN2at6native12_GLOBAL__N_124unique_dim_cuda_templateIsEESt5tupleIJNSF_6TensorESK_SK_EERKSK_lbbbEUlllE0_EEPmJS9_EEE10hipError_tPvRmT3_T4_T5_T6_T7_T9_mT8_P12ihipStream_tbDpT10_ENKUlT_T0_E_clISt17integral_constantIbLb1EES19_IbLb0EEEEDaS15_S16_EUlS15_E_NS1_11comp_targetILNS1_3genE9ELNS1_11target_archE1100ELNS1_3gpuE3ELNS1_3repE0EEENS1_30default_config_static_selectorELNS0_4arch9wavefront6targetE1EEEvT1_,"axG",@progbits,_ZN7rocprim17ROCPRIM_400000_NS6detail17trampoline_kernelINS0_14default_configENS1_25partition_config_selectorILNS1_17partition_subalgoE9EllbEEZZNS1_14partition_implILS5_9ELb0ES3_jPlS8_PNS0_10empty_typeENS0_5tupleIJS8_S9_EEENSB_IJS8_SA_EEENS0_18inequality_wrapperIZN2at6native12_GLOBAL__N_124unique_dim_cuda_templateIsEESt5tupleIJNSF_6TensorESK_SK_EERKSK_lbbbEUlllE0_EEPmJS9_EEE10hipError_tPvRmT3_T4_T5_T6_T7_T9_mT8_P12ihipStream_tbDpT10_ENKUlT_T0_E_clISt17integral_constantIbLb1EES19_IbLb0EEEEDaS15_S16_EUlS15_E_NS1_11comp_targetILNS1_3genE9ELNS1_11target_archE1100ELNS1_3gpuE3ELNS1_3repE0EEENS1_30default_config_static_selectorELNS0_4arch9wavefront6targetE1EEEvT1_,comdat
	.globl	_ZN7rocprim17ROCPRIM_400000_NS6detail17trampoline_kernelINS0_14default_configENS1_25partition_config_selectorILNS1_17partition_subalgoE9EllbEEZZNS1_14partition_implILS5_9ELb0ES3_jPlS8_PNS0_10empty_typeENS0_5tupleIJS8_S9_EEENSB_IJS8_SA_EEENS0_18inequality_wrapperIZN2at6native12_GLOBAL__N_124unique_dim_cuda_templateIsEESt5tupleIJNSF_6TensorESK_SK_EERKSK_lbbbEUlllE0_EEPmJS9_EEE10hipError_tPvRmT3_T4_T5_T6_T7_T9_mT8_P12ihipStream_tbDpT10_ENKUlT_T0_E_clISt17integral_constantIbLb1EES19_IbLb0EEEEDaS15_S16_EUlS15_E_NS1_11comp_targetILNS1_3genE9ELNS1_11target_archE1100ELNS1_3gpuE3ELNS1_3repE0EEENS1_30default_config_static_selectorELNS0_4arch9wavefront6targetE1EEEvT1_ ; -- Begin function _ZN7rocprim17ROCPRIM_400000_NS6detail17trampoline_kernelINS0_14default_configENS1_25partition_config_selectorILNS1_17partition_subalgoE9EllbEEZZNS1_14partition_implILS5_9ELb0ES3_jPlS8_PNS0_10empty_typeENS0_5tupleIJS8_S9_EEENSB_IJS8_SA_EEENS0_18inequality_wrapperIZN2at6native12_GLOBAL__N_124unique_dim_cuda_templateIsEESt5tupleIJNSF_6TensorESK_SK_EERKSK_lbbbEUlllE0_EEPmJS9_EEE10hipError_tPvRmT3_T4_T5_T6_T7_T9_mT8_P12ihipStream_tbDpT10_ENKUlT_T0_E_clISt17integral_constantIbLb1EES19_IbLb0EEEEDaS15_S16_EUlS15_E_NS1_11comp_targetILNS1_3genE9ELNS1_11target_archE1100ELNS1_3gpuE3ELNS1_3repE0EEENS1_30default_config_static_selectorELNS0_4arch9wavefront6targetE1EEEvT1_
	.p2align	8
	.type	_ZN7rocprim17ROCPRIM_400000_NS6detail17trampoline_kernelINS0_14default_configENS1_25partition_config_selectorILNS1_17partition_subalgoE9EllbEEZZNS1_14partition_implILS5_9ELb0ES3_jPlS8_PNS0_10empty_typeENS0_5tupleIJS8_S9_EEENSB_IJS8_SA_EEENS0_18inequality_wrapperIZN2at6native12_GLOBAL__N_124unique_dim_cuda_templateIsEESt5tupleIJNSF_6TensorESK_SK_EERKSK_lbbbEUlllE0_EEPmJS9_EEE10hipError_tPvRmT3_T4_T5_T6_T7_T9_mT8_P12ihipStream_tbDpT10_ENKUlT_T0_E_clISt17integral_constantIbLb1EES19_IbLb0EEEEDaS15_S16_EUlS15_E_NS1_11comp_targetILNS1_3genE9ELNS1_11target_archE1100ELNS1_3gpuE3ELNS1_3repE0EEENS1_30default_config_static_selectorELNS0_4arch9wavefront6targetE1EEEvT1_,@function
_ZN7rocprim17ROCPRIM_400000_NS6detail17trampoline_kernelINS0_14default_configENS1_25partition_config_selectorILNS1_17partition_subalgoE9EllbEEZZNS1_14partition_implILS5_9ELb0ES3_jPlS8_PNS0_10empty_typeENS0_5tupleIJS8_S9_EEENSB_IJS8_SA_EEENS0_18inequality_wrapperIZN2at6native12_GLOBAL__N_124unique_dim_cuda_templateIsEESt5tupleIJNSF_6TensorESK_SK_EERKSK_lbbbEUlllE0_EEPmJS9_EEE10hipError_tPvRmT3_T4_T5_T6_T7_T9_mT8_P12ihipStream_tbDpT10_ENKUlT_T0_E_clISt17integral_constantIbLb1EES19_IbLb0EEEEDaS15_S16_EUlS15_E_NS1_11comp_targetILNS1_3genE9ELNS1_11target_archE1100ELNS1_3gpuE3ELNS1_3repE0EEENS1_30default_config_static_selectorELNS0_4arch9wavefront6targetE1EEEvT1_: ; @_ZN7rocprim17ROCPRIM_400000_NS6detail17trampoline_kernelINS0_14default_configENS1_25partition_config_selectorILNS1_17partition_subalgoE9EllbEEZZNS1_14partition_implILS5_9ELb0ES3_jPlS8_PNS0_10empty_typeENS0_5tupleIJS8_S9_EEENSB_IJS8_SA_EEENS0_18inequality_wrapperIZN2at6native12_GLOBAL__N_124unique_dim_cuda_templateIsEESt5tupleIJNSF_6TensorESK_SK_EERKSK_lbbbEUlllE0_EEPmJS9_EEE10hipError_tPvRmT3_T4_T5_T6_T7_T9_mT8_P12ihipStream_tbDpT10_ENKUlT_T0_E_clISt17integral_constantIbLb1EES19_IbLb0EEEEDaS15_S16_EUlS15_E_NS1_11comp_targetILNS1_3genE9ELNS1_11target_archE1100ELNS1_3gpuE3ELNS1_3repE0EEENS1_30default_config_static_selectorELNS0_4arch9wavefront6targetE1EEEvT1_
; %bb.0:
	.section	.rodata,"a",@progbits
	.p2align	6, 0x0
	.amdhsa_kernel _ZN7rocprim17ROCPRIM_400000_NS6detail17trampoline_kernelINS0_14default_configENS1_25partition_config_selectorILNS1_17partition_subalgoE9EllbEEZZNS1_14partition_implILS5_9ELb0ES3_jPlS8_PNS0_10empty_typeENS0_5tupleIJS8_S9_EEENSB_IJS8_SA_EEENS0_18inequality_wrapperIZN2at6native12_GLOBAL__N_124unique_dim_cuda_templateIsEESt5tupleIJNSF_6TensorESK_SK_EERKSK_lbbbEUlllE0_EEPmJS9_EEE10hipError_tPvRmT3_T4_T5_T6_T7_T9_mT8_P12ihipStream_tbDpT10_ENKUlT_T0_E_clISt17integral_constantIbLb1EES19_IbLb0EEEEDaS15_S16_EUlS15_E_NS1_11comp_targetILNS1_3genE9ELNS1_11target_archE1100ELNS1_3gpuE3ELNS1_3repE0EEENS1_30default_config_static_selectorELNS0_4arch9wavefront6targetE1EEEvT1_
		.amdhsa_group_segment_fixed_size 0
		.amdhsa_private_segment_fixed_size 0
		.amdhsa_kernarg_size 120
		.amdhsa_user_sgpr_count 2
		.amdhsa_user_sgpr_dispatch_ptr 0
		.amdhsa_user_sgpr_queue_ptr 0
		.amdhsa_user_sgpr_kernarg_segment_ptr 1
		.amdhsa_user_sgpr_dispatch_id 0
		.amdhsa_user_sgpr_kernarg_preload_length 0
		.amdhsa_user_sgpr_kernarg_preload_offset 0
		.amdhsa_user_sgpr_private_segment_size 0
		.amdhsa_uses_dynamic_stack 0
		.amdhsa_enable_private_segment 0
		.amdhsa_system_sgpr_workgroup_id_x 1
		.amdhsa_system_sgpr_workgroup_id_y 0
		.amdhsa_system_sgpr_workgroup_id_z 0
		.amdhsa_system_sgpr_workgroup_info 0
		.amdhsa_system_vgpr_workitem_id 0
		.amdhsa_next_free_vgpr 1
		.amdhsa_next_free_sgpr 0
		.amdhsa_accum_offset 4
		.amdhsa_reserve_vcc 0
		.amdhsa_float_round_mode_32 0
		.amdhsa_float_round_mode_16_64 0
		.amdhsa_float_denorm_mode_32 3
		.amdhsa_float_denorm_mode_16_64 3
		.amdhsa_dx10_clamp 1
		.amdhsa_ieee_mode 1
		.amdhsa_fp16_overflow 0
		.amdhsa_tg_split 0
		.amdhsa_exception_fp_ieee_invalid_op 0
		.amdhsa_exception_fp_denorm_src 0
		.amdhsa_exception_fp_ieee_div_zero 0
		.amdhsa_exception_fp_ieee_overflow 0
		.amdhsa_exception_fp_ieee_underflow 0
		.amdhsa_exception_fp_ieee_inexact 0
		.amdhsa_exception_int_div_zero 0
	.end_amdhsa_kernel
	.section	.text._ZN7rocprim17ROCPRIM_400000_NS6detail17trampoline_kernelINS0_14default_configENS1_25partition_config_selectorILNS1_17partition_subalgoE9EllbEEZZNS1_14partition_implILS5_9ELb0ES3_jPlS8_PNS0_10empty_typeENS0_5tupleIJS8_S9_EEENSB_IJS8_SA_EEENS0_18inequality_wrapperIZN2at6native12_GLOBAL__N_124unique_dim_cuda_templateIsEESt5tupleIJNSF_6TensorESK_SK_EERKSK_lbbbEUlllE0_EEPmJS9_EEE10hipError_tPvRmT3_T4_T5_T6_T7_T9_mT8_P12ihipStream_tbDpT10_ENKUlT_T0_E_clISt17integral_constantIbLb1EES19_IbLb0EEEEDaS15_S16_EUlS15_E_NS1_11comp_targetILNS1_3genE9ELNS1_11target_archE1100ELNS1_3gpuE3ELNS1_3repE0EEENS1_30default_config_static_selectorELNS0_4arch9wavefront6targetE1EEEvT1_,"axG",@progbits,_ZN7rocprim17ROCPRIM_400000_NS6detail17trampoline_kernelINS0_14default_configENS1_25partition_config_selectorILNS1_17partition_subalgoE9EllbEEZZNS1_14partition_implILS5_9ELb0ES3_jPlS8_PNS0_10empty_typeENS0_5tupleIJS8_S9_EEENSB_IJS8_SA_EEENS0_18inequality_wrapperIZN2at6native12_GLOBAL__N_124unique_dim_cuda_templateIsEESt5tupleIJNSF_6TensorESK_SK_EERKSK_lbbbEUlllE0_EEPmJS9_EEE10hipError_tPvRmT3_T4_T5_T6_T7_T9_mT8_P12ihipStream_tbDpT10_ENKUlT_T0_E_clISt17integral_constantIbLb1EES19_IbLb0EEEEDaS15_S16_EUlS15_E_NS1_11comp_targetILNS1_3genE9ELNS1_11target_archE1100ELNS1_3gpuE3ELNS1_3repE0EEENS1_30default_config_static_selectorELNS0_4arch9wavefront6targetE1EEEvT1_,comdat
.Lfunc_end739:
	.size	_ZN7rocprim17ROCPRIM_400000_NS6detail17trampoline_kernelINS0_14default_configENS1_25partition_config_selectorILNS1_17partition_subalgoE9EllbEEZZNS1_14partition_implILS5_9ELb0ES3_jPlS8_PNS0_10empty_typeENS0_5tupleIJS8_S9_EEENSB_IJS8_SA_EEENS0_18inequality_wrapperIZN2at6native12_GLOBAL__N_124unique_dim_cuda_templateIsEESt5tupleIJNSF_6TensorESK_SK_EERKSK_lbbbEUlllE0_EEPmJS9_EEE10hipError_tPvRmT3_T4_T5_T6_T7_T9_mT8_P12ihipStream_tbDpT10_ENKUlT_T0_E_clISt17integral_constantIbLb1EES19_IbLb0EEEEDaS15_S16_EUlS15_E_NS1_11comp_targetILNS1_3genE9ELNS1_11target_archE1100ELNS1_3gpuE3ELNS1_3repE0EEENS1_30default_config_static_selectorELNS0_4arch9wavefront6targetE1EEEvT1_, .Lfunc_end739-_ZN7rocprim17ROCPRIM_400000_NS6detail17trampoline_kernelINS0_14default_configENS1_25partition_config_selectorILNS1_17partition_subalgoE9EllbEEZZNS1_14partition_implILS5_9ELb0ES3_jPlS8_PNS0_10empty_typeENS0_5tupleIJS8_S9_EEENSB_IJS8_SA_EEENS0_18inequality_wrapperIZN2at6native12_GLOBAL__N_124unique_dim_cuda_templateIsEESt5tupleIJNSF_6TensorESK_SK_EERKSK_lbbbEUlllE0_EEPmJS9_EEE10hipError_tPvRmT3_T4_T5_T6_T7_T9_mT8_P12ihipStream_tbDpT10_ENKUlT_T0_E_clISt17integral_constantIbLb1EES19_IbLb0EEEEDaS15_S16_EUlS15_E_NS1_11comp_targetILNS1_3genE9ELNS1_11target_archE1100ELNS1_3gpuE3ELNS1_3repE0EEENS1_30default_config_static_selectorELNS0_4arch9wavefront6targetE1EEEvT1_
                                        ; -- End function
	.set _ZN7rocprim17ROCPRIM_400000_NS6detail17trampoline_kernelINS0_14default_configENS1_25partition_config_selectorILNS1_17partition_subalgoE9EllbEEZZNS1_14partition_implILS5_9ELb0ES3_jPlS8_PNS0_10empty_typeENS0_5tupleIJS8_S9_EEENSB_IJS8_SA_EEENS0_18inequality_wrapperIZN2at6native12_GLOBAL__N_124unique_dim_cuda_templateIsEESt5tupleIJNSF_6TensorESK_SK_EERKSK_lbbbEUlllE0_EEPmJS9_EEE10hipError_tPvRmT3_T4_T5_T6_T7_T9_mT8_P12ihipStream_tbDpT10_ENKUlT_T0_E_clISt17integral_constantIbLb1EES19_IbLb0EEEEDaS15_S16_EUlS15_E_NS1_11comp_targetILNS1_3genE9ELNS1_11target_archE1100ELNS1_3gpuE3ELNS1_3repE0EEENS1_30default_config_static_selectorELNS0_4arch9wavefront6targetE1EEEvT1_.num_vgpr, 0
	.set _ZN7rocprim17ROCPRIM_400000_NS6detail17trampoline_kernelINS0_14default_configENS1_25partition_config_selectorILNS1_17partition_subalgoE9EllbEEZZNS1_14partition_implILS5_9ELb0ES3_jPlS8_PNS0_10empty_typeENS0_5tupleIJS8_S9_EEENSB_IJS8_SA_EEENS0_18inequality_wrapperIZN2at6native12_GLOBAL__N_124unique_dim_cuda_templateIsEESt5tupleIJNSF_6TensorESK_SK_EERKSK_lbbbEUlllE0_EEPmJS9_EEE10hipError_tPvRmT3_T4_T5_T6_T7_T9_mT8_P12ihipStream_tbDpT10_ENKUlT_T0_E_clISt17integral_constantIbLb1EES19_IbLb0EEEEDaS15_S16_EUlS15_E_NS1_11comp_targetILNS1_3genE9ELNS1_11target_archE1100ELNS1_3gpuE3ELNS1_3repE0EEENS1_30default_config_static_selectorELNS0_4arch9wavefront6targetE1EEEvT1_.num_agpr, 0
	.set _ZN7rocprim17ROCPRIM_400000_NS6detail17trampoline_kernelINS0_14default_configENS1_25partition_config_selectorILNS1_17partition_subalgoE9EllbEEZZNS1_14partition_implILS5_9ELb0ES3_jPlS8_PNS0_10empty_typeENS0_5tupleIJS8_S9_EEENSB_IJS8_SA_EEENS0_18inequality_wrapperIZN2at6native12_GLOBAL__N_124unique_dim_cuda_templateIsEESt5tupleIJNSF_6TensorESK_SK_EERKSK_lbbbEUlllE0_EEPmJS9_EEE10hipError_tPvRmT3_T4_T5_T6_T7_T9_mT8_P12ihipStream_tbDpT10_ENKUlT_T0_E_clISt17integral_constantIbLb1EES19_IbLb0EEEEDaS15_S16_EUlS15_E_NS1_11comp_targetILNS1_3genE9ELNS1_11target_archE1100ELNS1_3gpuE3ELNS1_3repE0EEENS1_30default_config_static_selectorELNS0_4arch9wavefront6targetE1EEEvT1_.numbered_sgpr, 0
	.set _ZN7rocprim17ROCPRIM_400000_NS6detail17trampoline_kernelINS0_14default_configENS1_25partition_config_selectorILNS1_17partition_subalgoE9EllbEEZZNS1_14partition_implILS5_9ELb0ES3_jPlS8_PNS0_10empty_typeENS0_5tupleIJS8_S9_EEENSB_IJS8_SA_EEENS0_18inequality_wrapperIZN2at6native12_GLOBAL__N_124unique_dim_cuda_templateIsEESt5tupleIJNSF_6TensorESK_SK_EERKSK_lbbbEUlllE0_EEPmJS9_EEE10hipError_tPvRmT3_T4_T5_T6_T7_T9_mT8_P12ihipStream_tbDpT10_ENKUlT_T0_E_clISt17integral_constantIbLb1EES19_IbLb0EEEEDaS15_S16_EUlS15_E_NS1_11comp_targetILNS1_3genE9ELNS1_11target_archE1100ELNS1_3gpuE3ELNS1_3repE0EEENS1_30default_config_static_selectorELNS0_4arch9wavefront6targetE1EEEvT1_.num_named_barrier, 0
	.set _ZN7rocprim17ROCPRIM_400000_NS6detail17trampoline_kernelINS0_14default_configENS1_25partition_config_selectorILNS1_17partition_subalgoE9EllbEEZZNS1_14partition_implILS5_9ELb0ES3_jPlS8_PNS0_10empty_typeENS0_5tupleIJS8_S9_EEENSB_IJS8_SA_EEENS0_18inequality_wrapperIZN2at6native12_GLOBAL__N_124unique_dim_cuda_templateIsEESt5tupleIJNSF_6TensorESK_SK_EERKSK_lbbbEUlllE0_EEPmJS9_EEE10hipError_tPvRmT3_T4_T5_T6_T7_T9_mT8_P12ihipStream_tbDpT10_ENKUlT_T0_E_clISt17integral_constantIbLb1EES19_IbLb0EEEEDaS15_S16_EUlS15_E_NS1_11comp_targetILNS1_3genE9ELNS1_11target_archE1100ELNS1_3gpuE3ELNS1_3repE0EEENS1_30default_config_static_selectorELNS0_4arch9wavefront6targetE1EEEvT1_.private_seg_size, 0
	.set _ZN7rocprim17ROCPRIM_400000_NS6detail17trampoline_kernelINS0_14default_configENS1_25partition_config_selectorILNS1_17partition_subalgoE9EllbEEZZNS1_14partition_implILS5_9ELb0ES3_jPlS8_PNS0_10empty_typeENS0_5tupleIJS8_S9_EEENSB_IJS8_SA_EEENS0_18inequality_wrapperIZN2at6native12_GLOBAL__N_124unique_dim_cuda_templateIsEESt5tupleIJNSF_6TensorESK_SK_EERKSK_lbbbEUlllE0_EEPmJS9_EEE10hipError_tPvRmT3_T4_T5_T6_T7_T9_mT8_P12ihipStream_tbDpT10_ENKUlT_T0_E_clISt17integral_constantIbLb1EES19_IbLb0EEEEDaS15_S16_EUlS15_E_NS1_11comp_targetILNS1_3genE9ELNS1_11target_archE1100ELNS1_3gpuE3ELNS1_3repE0EEENS1_30default_config_static_selectorELNS0_4arch9wavefront6targetE1EEEvT1_.uses_vcc, 0
	.set _ZN7rocprim17ROCPRIM_400000_NS6detail17trampoline_kernelINS0_14default_configENS1_25partition_config_selectorILNS1_17partition_subalgoE9EllbEEZZNS1_14partition_implILS5_9ELb0ES3_jPlS8_PNS0_10empty_typeENS0_5tupleIJS8_S9_EEENSB_IJS8_SA_EEENS0_18inequality_wrapperIZN2at6native12_GLOBAL__N_124unique_dim_cuda_templateIsEESt5tupleIJNSF_6TensorESK_SK_EERKSK_lbbbEUlllE0_EEPmJS9_EEE10hipError_tPvRmT3_T4_T5_T6_T7_T9_mT8_P12ihipStream_tbDpT10_ENKUlT_T0_E_clISt17integral_constantIbLb1EES19_IbLb0EEEEDaS15_S16_EUlS15_E_NS1_11comp_targetILNS1_3genE9ELNS1_11target_archE1100ELNS1_3gpuE3ELNS1_3repE0EEENS1_30default_config_static_selectorELNS0_4arch9wavefront6targetE1EEEvT1_.uses_flat_scratch, 0
	.set _ZN7rocprim17ROCPRIM_400000_NS6detail17trampoline_kernelINS0_14default_configENS1_25partition_config_selectorILNS1_17partition_subalgoE9EllbEEZZNS1_14partition_implILS5_9ELb0ES3_jPlS8_PNS0_10empty_typeENS0_5tupleIJS8_S9_EEENSB_IJS8_SA_EEENS0_18inequality_wrapperIZN2at6native12_GLOBAL__N_124unique_dim_cuda_templateIsEESt5tupleIJNSF_6TensorESK_SK_EERKSK_lbbbEUlllE0_EEPmJS9_EEE10hipError_tPvRmT3_T4_T5_T6_T7_T9_mT8_P12ihipStream_tbDpT10_ENKUlT_T0_E_clISt17integral_constantIbLb1EES19_IbLb0EEEEDaS15_S16_EUlS15_E_NS1_11comp_targetILNS1_3genE9ELNS1_11target_archE1100ELNS1_3gpuE3ELNS1_3repE0EEENS1_30default_config_static_selectorELNS0_4arch9wavefront6targetE1EEEvT1_.has_dyn_sized_stack, 0
	.set _ZN7rocprim17ROCPRIM_400000_NS6detail17trampoline_kernelINS0_14default_configENS1_25partition_config_selectorILNS1_17partition_subalgoE9EllbEEZZNS1_14partition_implILS5_9ELb0ES3_jPlS8_PNS0_10empty_typeENS0_5tupleIJS8_S9_EEENSB_IJS8_SA_EEENS0_18inequality_wrapperIZN2at6native12_GLOBAL__N_124unique_dim_cuda_templateIsEESt5tupleIJNSF_6TensorESK_SK_EERKSK_lbbbEUlllE0_EEPmJS9_EEE10hipError_tPvRmT3_T4_T5_T6_T7_T9_mT8_P12ihipStream_tbDpT10_ENKUlT_T0_E_clISt17integral_constantIbLb1EES19_IbLb0EEEEDaS15_S16_EUlS15_E_NS1_11comp_targetILNS1_3genE9ELNS1_11target_archE1100ELNS1_3gpuE3ELNS1_3repE0EEENS1_30default_config_static_selectorELNS0_4arch9wavefront6targetE1EEEvT1_.has_recursion, 0
	.set _ZN7rocprim17ROCPRIM_400000_NS6detail17trampoline_kernelINS0_14default_configENS1_25partition_config_selectorILNS1_17partition_subalgoE9EllbEEZZNS1_14partition_implILS5_9ELb0ES3_jPlS8_PNS0_10empty_typeENS0_5tupleIJS8_S9_EEENSB_IJS8_SA_EEENS0_18inequality_wrapperIZN2at6native12_GLOBAL__N_124unique_dim_cuda_templateIsEESt5tupleIJNSF_6TensorESK_SK_EERKSK_lbbbEUlllE0_EEPmJS9_EEE10hipError_tPvRmT3_T4_T5_T6_T7_T9_mT8_P12ihipStream_tbDpT10_ENKUlT_T0_E_clISt17integral_constantIbLb1EES19_IbLb0EEEEDaS15_S16_EUlS15_E_NS1_11comp_targetILNS1_3genE9ELNS1_11target_archE1100ELNS1_3gpuE3ELNS1_3repE0EEENS1_30default_config_static_selectorELNS0_4arch9wavefront6targetE1EEEvT1_.has_indirect_call, 0
	.section	.AMDGPU.csdata,"",@progbits
; Kernel info:
; codeLenInByte = 0
; TotalNumSgprs: 6
; NumVgprs: 0
; NumAgprs: 0
; TotalNumVgprs: 0
; ScratchSize: 0
; MemoryBound: 0
; FloatMode: 240
; IeeeMode: 1
; LDSByteSize: 0 bytes/workgroup (compile time only)
; SGPRBlocks: 0
; VGPRBlocks: 0
; NumSGPRsForWavesPerEU: 6
; NumVGPRsForWavesPerEU: 1
; AccumOffset: 4
; Occupancy: 8
; WaveLimiterHint : 0
; COMPUTE_PGM_RSRC2:SCRATCH_EN: 0
; COMPUTE_PGM_RSRC2:USER_SGPR: 2
; COMPUTE_PGM_RSRC2:TRAP_HANDLER: 0
; COMPUTE_PGM_RSRC2:TGID_X_EN: 1
; COMPUTE_PGM_RSRC2:TGID_Y_EN: 0
; COMPUTE_PGM_RSRC2:TGID_Z_EN: 0
; COMPUTE_PGM_RSRC2:TIDIG_COMP_CNT: 0
; COMPUTE_PGM_RSRC3_GFX90A:ACCUM_OFFSET: 0
; COMPUTE_PGM_RSRC3_GFX90A:TG_SPLIT: 0
	.section	.text._ZN7rocprim17ROCPRIM_400000_NS6detail17trampoline_kernelINS0_14default_configENS1_25partition_config_selectorILNS1_17partition_subalgoE9EllbEEZZNS1_14partition_implILS5_9ELb0ES3_jPlS8_PNS0_10empty_typeENS0_5tupleIJS8_S9_EEENSB_IJS8_SA_EEENS0_18inequality_wrapperIZN2at6native12_GLOBAL__N_124unique_dim_cuda_templateIsEESt5tupleIJNSF_6TensorESK_SK_EERKSK_lbbbEUlllE0_EEPmJS9_EEE10hipError_tPvRmT3_T4_T5_T6_T7_T9_mT8_P12ihipStream_tbDpT10_ENKUlT_T0_E_clISt17integral_constantIbLb1EES19_IbLb0EEEEDaS15_S16_EUlS15_E_NS1_11comp_targetILNS1_3genE8ELNS1_11target_archE1030ELNS1_3gpuE2ELNS1_3repE0EEENS1_30default_config_static_selectorELNS0_4arch9wavefront6targetE1EEEvT1_,"axG",@progbits,_ZN7rocprim17ROCPRIM_400000_NS6detail17trampoline_kernelINS0_14default_configENS1_25partition_config_selectorILNS1_17partition_subalgoE9EllbEEZZNS1_14partition_implILS5_9ELb0ES3_jPlS8_PNS0_10empty_typeENS0_5tupleIJS8_S9_EEENSB_IJS8_SA_EEENS0_18inequality_wrapperIZN2at6native12_GLOBAL__N_124unique_dim_cuda_templateIsEESt5tupleIJNSF_6TensorESK_SK_EERKSK_lbbbEUlllE0_EEPmJS9_EEE10hipError_tPvRmT3_T4_T5_T6_T7_T9_mT8_P12ihipStream_tbDpT10_ENKUlT_T0_E_clISt17integral_constantIbLb1EES19_IbLb0EEEEDaS15_S16_EUlS15_E_NS1_11comp_targetILNS1_3genE8ELNS1_11target_archE1030ELNS1_3gpuE2ELNS1_3repE0EEENS1_30default_config_static_selectorELNS0_4arch9wavefront6targetE1EEEvT1_,comdat
	.globl	_ZN7rocprim17ROCPRIM_400000_NS6detail17trampoline_kernelINS0_14default_configENS1_25partition_config_selectorILNS1_17partition_subalgoE9EllbEEZZNS1_14partition_implILS5_9ELb0ES3_jPlS8_PNS0_10empty_typeENS0_5tupleIJS8_S9_EEENSB_IJS8_SA_EEENS0_18inequality_wrapperIZN2at6native12_GLOBAL__N_124unique_dim_cuda_templateIsEESt5tupleIJNSF_6TensorESK_SK_EERKSK_lbbbEUlllE0_EEPmJS9_EEE10hipError_tPvRmT3_T4_T5_T6_T7_T9_mT8_P12ihipStream_tbDpT10_ENKUlT_T0_E_clISt17integral_constantIbLb1EES19_IbLb0EEEEDaS15_S16_EUlS15_E_NS1_11comp_targetILNS1_3genE8ELNS1_11target_archE1030ELNS1_3gpuE2ELNS1_3repE0EEENS1_30default_config_static_selectorELNS0_4arch9wavefront6targetE1EEEvT1_ ; -- Begin function _ZN7rocprim17ROCPRIM_400000_NS6detail17trampoline_kernelINS0_14default_configENS1_25partition_config_selectorILNS1_17partition_subalgoE9EllbEEZZNS1_14partition_implILS5_9ELb0ES3_jPlS8_PNS0_10empty_typeENS0_5tupleIJS8_S9_EEENSB_IJS8_SA_EEENS0_18inequality_wrapperIZN2at6native12_GLOBAL__N_124unique_dim_cuda_templateIsEESt5tupleIJNSF_6TensorESK_SK_EERKSK_lbbbEUlllE0_EEPmJS9_EEE10hipError_tPvRmT3_T4_T5_T6_T7_T9_mT8_P12ihipStream_tbDpT10_ENKUlT_T0_E_clISt17integral_constantIbLb1EES19_IbLb0EEEEDaS15_S16_EUlS15_E_NS1_11comp_targetILNS1_3genE8ELNS1_11target_archE1030ELNS1_3gpuE2ELNS1_3repE0EEENS1_30default_config_static_selectorELNS0_4arch9wavefront6targetE1EEEvT1_
	.p2align	8
	.type	_ZN7rocprim17ROCPRIM_400000_NS6detail17trampoline_kernelINS0_14default_configENS1_25partition_config_selectorILNS1_17partition_subalgoE9EllbEEZZNS1_14partition_implILS5_9ELb0ES3_jPlS8_PNS0_10empty_typeENS0_5tupleIJS8_S9_EEENSB_IJS8_SA_EEENS0_18inequality_wrapperIZN2at6native12_GLOBAL__N_124unique_dim_cuda_templateIsEESt5tupleIJNSF_6TensorESK_SK_EERKSK_lbbbEUlllE0_EEPmJS9_EEE10hipError_tPvRmT3_T4_T5_T6_T7_T9_mT8_P12ihipStream_tbDpT10_ENKUlT_T0_E_clISt17integral_constantIbLb1EES19_IbLb0EEEEDaS15_S16_EUlS15_E_NS1_11comp_targetILNS1_3genE8ELNS1_11target_archE1030ELNS1_3gpuE2ELNS1_3repE0EEENS1_30default_config_static_selectorELNS0_4arch9wavefront6targetE1EEEvT1_,@function
_ZN7rocprim17ROCPRIM_400000_NS6detail17trampoline_kernelINS0_14default_configENS1_25partition_config_selectorILNS1_17partition_subalgoE9EllbEEZZNS1_14partition_implILS5_9ELb0ES3_jPlS8_PNS0_10empty_typeENS0_5tupleIJS8_S9_EEENSB_IJS8_SA_EEENS0_18inequality_wrapperIZN2at6native12_GLOBAL__N_124unique_dim_cuda_templateIsEESt5tupleIJNSF_6TensorESK_SK_EERKSK_lbbbEUlllE0_EEPmJS9_EEE10hipError_tPvRmT3_T4_T5_T6_T7_T9_mT8_P12ihipStream_tbDpT10_ENKUlT_T0_E_clISt17integral_constantIbLb1EES19_IbLb0EEEEDaS15_S16_EUlS15_E_NS1_11comp_targetILNS1_3genE8ELNS1_11target_archE1030ELNS1_3gpuE2ELNS1_3repE0EEENS1_30default_config_static_selectorELNS0_4arch9wavefront6targetE1EEEvT1_: ; @_ZN7rocprim17ROCPRIM_400000_NS6detail17trampoline_kernelINS0_14default_configENS1_25partition_config_selectorILNS1_17partition_subalgoE9EllbEEZZNS1_14partition_implILS5_9ELb0ES3_jPlS8_PNS0_10empty_typeENS0_5tupleIJS8_S9_EEENSB_IJS8_SA_EEENS0_18inequality_wrapperIZN2at6native12_GLOBAL__N_124unique_dim_cuda_templateIsEESt5tupleIJNSF_6TensorESK_SK_EERKSK_lbbbEUlllE0_EEPmJS9_EEE10hipError_tPvRmT3_T4_T5_T6_T7_T9_mT8_P12ihipStream_tbDpT10_ENKUlT_T0_E_clISt17integral_constantIbLb1EES19_IbLb0EEEEDaS15_S16_EUlS15_E_NS1_11comp_targetILNS1_3genE8ELNS1_11target_archE1030ELNS1_3gpuE2ELNS1_3repE0EEENS1_30default_config_static_selectorELNS0_4arch9wavefront6targetE1EEEvT1_
; %bb.0:
	.section	.rodata,"a",@progbits
	.p2align	6, 0x0
	.amdhsa_kernel _ZN7rocprim17ROCPRIM_400000_NS6detail17trampoline_kernelINS0_14default_configENS1_25partition_config_selectorILNS1_17partition_subalgoE9EllbEEZZNS1_14partition_implILS5_9ELb0ES3_jPlS8_PNS0_10empty_typeENS0_5tupleIJS8_S9_EEENSB_IJS8_SA_EEENS0_18inequality_wrapperIZN2at6native12_GLOBAL__N_124unique_dim_cuda_templateIsEESt5tupleIJNSF_6TensorESK_SK_EERKSK_lbbbEUlllE0_EEPmJS9_EEE10hipError_tPvRmT3_T4_T5_T6_T7_T9_mT8_P12ihipStream_tbDpT10_ENKUlT_T0_E_clISt17integral_constantIbLb1EES19_IbLb0EEEEDaS15_S16_EUlS15_E_NS1_11comp_targetILNS1_3genE8ELNS1_11target_archE1030ELNS1_3gpuE2ELNS1_3repE0EEENS1_30default_config_static_selectorELNS0_4arch9wavefront6targetE1EEEvT1_
		.amdhsa_group_segment_fixed_size 0
		.amdhsa_private_segment_fixed_size 0
		.amdhsa_kernarg_size 120
		.amdhsa_user_sgpr_count 2
		.amdhsa_user_sgpr_dispatch_ptr 0
		.amdhsa_user_sgpr_queue_ptr 0
		.amdhsa_user_sgpr_kernarg_segment_ptr 1
		.amdhsa_user_sgpr_dispatch_id 0
		.amdhsa_user_sgpr_kernarg_preload_length 0
		.amdhsa_user_sgpr_kernarg_preload_offset 0
		.amdhsa_user_sgpr_private_segment_size 0
		.amdhsa_uses_dynamic_stack 0
		.amdhsa_enable_private_segment 0
		.amdhsa_system_sgpr_workgroup_id_x 1
		.amdhsa_system_sgpr_workgroup_id_y 0
		.amdhsa_system_sgpr_workgroup_id_z 0
		.amdhsa_system_sgpr_workgroup_info 0
		.amdhsa_system_vgpr_workitem_id 0
		.amdhsa_next_free_vgpr 1
		.amdhsa_next_free_sgpr 0
		.amdhsa_accum_offset 4
		.amdhsa_reserve_vcc 0
		.amdhsa_float_round_mode_32 0
		.amdhsa_float_round_mode_16_64 0
		.amdhsa_float_denorm_mode_32 3
		.amdhsa_float_denorm_mode_16_64 3
		.amdhsa_dx10_clamp 1
		.amdhsa_ieee_mode 1
		.amdhsa_fp16_overflow 0
		.amdhsa_tg_split 0
		.amdhsa_exception_fp_ieee_invalid_op 0
		.amdhsa_exception_fp_denorm_src 0
		.amdhsa_exception_fp_ieee_div_zero 0
		.amdhsa_exception_fp_ieee_overflow 0
		.amdhsa_exception_fp_ieee_underflow 0
		.amdhsa_exception_fp_ieee_inexact 0
		.amdhsa_exception_int_div_zero 0
	.end_amdhsa_kernel
	.section	.text._ZN7rocprim17ROCPRIM_400000_NS6detail17trampoline_kernelINS0_14default_configENS1_25partition_config_selectorILNS1_17partition_subalgoE9EllbEEZZNS1_14partition_implILS5_9ELb0ES3_jPlS8_PNS0_10empty_typeENS0_5tupleIJS8_S9_EEENSB_IJS8_SA_EEENS0_18inequality_wrapperIZN2at6native12_GLOBAL__N_124unique_dim_cuda_templateIsEESt5tupleIJNSF_6TensorESK_SK_EERKSK_lbbbEUlllE0_EEPmJS9_EEE10hipError_tPvRmT3_T4_T5_T6_T7_T9_mT8_P12ihipStream_tbDpT10_ENKUlT_T0_E_clISt17integral_constantIbLb1EES19_IbLb0EEEEDaS15_S16_EUlS15_E_NS1_11comp_targetILNS1_3genE8ELNS1_11target_archE1030ELNS1_3gpuE2ELNS1_3repE0EEENS1_30default_config_static_selectorELNS0_4arch9wavefront6targetE1EEEvT1_,"axG",@progbits,_ZN7rocprim17ROCPRIM_400000_NS6detail17trampoline_kernelINS0_14default_configENS1_25partition_config_selectorILNS1_17partition_subalgoE9EllbEEZZNS1_14partition_implILS5_9ELb0ES3_jPlS8_PNS0_10empty_typeENS0_5tupleIJS8_S9_EEENSB_IJS8_SA_EEENS0_18inequality_wrapperIZN2at6native12_GLOBAL__N_124unique_dim_cuda_templateIsEESt5tupleIJNSF_6TensorESK_SK_EERKSK_lbbbEUlllE0_EEPmJS9_EEE10hipError_tPvRmT3_T4_T5_T6_T7_T9_mT8_P12ihipStream_tbDpT10_ENKUlT_T0_E_clISt17integral_constantIbLb1EES19_IbLb0EEEEDaS15_S16_EUlS15_E_NS1_11comp_targetILNS1_3genE8ELNS1_11target_archE1030ELNS1_3gpuE2ELNS1_3repE0EEENS1_30default_config_static_selectorELNS0_4arch9wavefront6targetE1EEEvT1_,comdat
.Lfunc_end740:
	.size	_ZN7rocprim17ROCPRIM_400000_NS6detail17trampoline_kernelINS0_14default_configENS1_25partition_config_selectorILNS1_17partition_subalgoE9EllbEEZZNS1_14partition_implILS5_9ELb0ES3_jPlS8_PNS0_10empty_typeENS0_5tupleIJS8_S9_EEENSB_IJS8_SA_EEENS0_18inequality_wrapperIZN2at6native12_GLOBAL__N_124unique_dim_cuda_templateIsEESt5tupleIJNSF_6TensorESK_SK_EERKSK_lbbbEUlllE0_EEPmJS9_EEE10hipError_tPvRmT3_T4_T5_T6_T7_T9_mT8_P12ihipStream_tbDpT10_ENKUlT_T0_E_clISt17integral_constantIbLb1EES19_IbLb0EEEEDaS15_S16_EUlS15_E_NS1_11comp_targetILNS1_3genE8ELNS1_11target_archE1030ELNS1_3gpuE2ELNS1_3repE0EEENS1_30default_config_static_selectorELNS0_4arch9wavefront6targetE1EEEvT1_, .Lfunc_end740-_ZN7rocprim17ROCPRIM_400000_NS6detail17trampoline_kernelINS0_14default_configENS1_25partition_config_selectorILNS1_17partition_subalgoE9EllbEEZZNS1_14partition_implILS5_9ELb0ES3_jPlS8_PNS0_10empty_typeENS0_5tupleIJS8_S9_EEENSB_IJS8_SA_EEENS0_18inequality_wrapperIZN2at6native12_GLOBAL__N_124unique_dim_cuda_templateIsEESt5tupleIJNSF_6TensorESK_SK_EERKSK_lbbbEUlllE0_EEPmJS9_EEE10hipError_tPvRmT3_T4_T5_T6_T7_T9_mT8_P12ihipStream_tbDpT10_ENKUlT_T0_E_clISt17integral_constantIbLb1EES19_IbLb0EEEEDaS15_S16_EUlS15_E_NS1_11comp_targetILNS1_3genE8ELNS1_11target_archE1030ELNS1_3gpuE2ELNS1_3repE0EEENS1_30default_config_static_selectorELNS0_4arch9wavefront6targetE1EEEvT1_
                                        ; -- End function
	.set _ZN7rocprim17ROCPRIM_400000_NS6detail17trampoline_kernelINS0_14default_configENS1_25partition_config_selectorILNS1_17partition_subalgoE9EllbEEZZNS1_14partition_implILS5_9ELb0ES3_jPlS8_PNS0_10empty_typeENS0_5tupleIJS8_S9_EEENSB_IJS8_SA_EEENS0_18inequality_wrapperIZN2at6native12_GLOBAL__N_124unique_dim_cuda_templateIsEESt5tupleIJNSF_6TensorESK_SK_EERKSK_lbbbEUlllE0_EEPmJS9_EEE10hipError_tPvRmT3_T4_T5_T6_T7_T9_mT8_P12ihipStream_tbDpT10_ENKUlT_T0_E_clISt17integral_constantIbLb1EES19_IbLb0EEEEDaS15_S16_EUlS15_E_NS1_11comp_targetILNS1_3genE8ELNS1_11target_archE1030ELNS1_3gpuE2ELNS1_3repE0EEENS1_30default_config_static_selectorELNS0_4arch9wavefront6targetE1EEEvT1_.num_vgpr, 0
	.set _ZN7rocprim17ROCPRIM_400000_NS6detail17trampoline_kernelINS0_14default_configENS1_25partition_config_selectorILNS1_17partition_subalgoE9EllbEEZZNS1_14partition_implILS5_9ELb0ES3_jPlS8_PNS0_10empty_typeENS0_5tupleIJS8_S9_EEENSB_IJS8_SA_EEENS0_18inequality_wrapperIZN2at6native12_GLOBAL__N_124unique_dim_cuda_templateIsEESt5tupleIJNSF_6TensorESK_SK_EERKSK_lbbbEUlllE0_EEPmJS9_EEE10hipError_tPvRmT3_T4_T5_T6_T7_T9_mT8_P12ihipStream_tbDpT10_ENKUlT_T0_E_clISt17integral_constantIbLb1EES19_IbLb0EEEEDaS15_S16_EUlS15_E_NS1_11comp_targetILNS1_3genE8ELNS1_11target_archE1030ELNS1_3gpuE2ELNS1_3repE0EEENS1_30default_config_static_selectorELNS0_4arch9wavefront6targetE1EEEvT1_.num_agpr, 0
	.set _ZN7rocprim17ROCPRIM_400000_NS6detail17trampoline_kernelINS0_14default_configENS1_25partition_config_selectorILNS1_17partition_subalgoE9EllbEEZZNS1_14partition_implILS5_9ELb0ES3_jPlS8_PNS0_10empty_typeENS0_5tupleIJS8_S9_EEENSB_IJS8_SA_EEENS0_18inequality_wrapperIZN2at6native12_GLOBAL__N_124unique_dim_cuda_templateIsEESt5tupleIJNSF_6TensorESK_SK_EERKSK_lbbbEUlllE0_EEPmJS9_EEE10hipError_tPvRmT3_T4_T5_T6_T7_T9_mT8_P12ihipStream_tbDpT10_ENKUlT_T0_E_clISt17integral_constantIbLb1EES19_IbLb0EEEEDaS15_S16_EUlS15_E_NS1_11comp_targetILNS1_3genE8ELNS1_11target_archE1030ELNS1_3gpuE2ELNS1_3repE0EEENS1_30default_config_static_selectorELNS0_4arch9wavefront6targetE1EEEvT1_.numbered_sgpr, 0
	.set _ZN7rocprim17ROCPRIM_400000_NS6detail17trampoline_kernelINS0_14default_configENS1_25partition_config_selectorILNS1_17partition_subalgoE9EllbEEZZNS1_14partition_implILS5_9ELb0ES3_jPlS8_PNS0_10empty_typeENS0_5tupleIJS8_S9_EEENSB_IJS8_SA_EEENS0_18inequality_wrapperIZN2at6native12_GLOBAL__N_124unique_dim_cuda_templateIsEESt5tupleIJNSF_6TensorESK_SK_EERKSK_lbbbEUlllE0_EEPmJS9_EEE10hipError_tPvRmT3_T4_T5_T6_T7_T9_mT8_P12ihipStream_tbDpT10_ENKUlT_T0_E_clISt17integral_constantIbLb1EES19_IbLb0EEEEDaS15_S16_EUlS15_E_NS1_11comp_targetILNS1_3genE8ELNS1_11target_archE1030ELNS1_3gpuE2ELNS1_3repE0EEENS1_30default_config_static_selectorELNS0_4arch9wavefront6targetE1EEEvT1_.num_named_barrier, 0
	.set _ZN7rocprim17ROCPRIM_400000_NS6detail17trampoline_kernelINS0_14default_configENS1_25partition_config_selectorILNS1_17partition_subalgoE9EllbEEZZNS1_14partition_implILS5_9ELb0ES3_jPlS8_PNS0_10empty_typeENS0_5tupleIJS8_S9_EEENSB_IJS8_SA_EEENS0_18inequality_wrapperIZN2at6native12_GLOBAL__N_124unique_dim_cuda_templateIsEESt5tupleIJNSF_6TensorESK_SK_EERKSK_lbbbEUlllE0_EEPmJS9_EEE10hipError_tPvRmT3_T4_T5_T6_T7_T9_mT8_P12ihipStream_tbDpT10_ENKUlT_T0_E_clISt17integral_constantIbLb1EES19_IbLb0EEEEDaS15_S16_EUlS15_E_NS1_11comp_targetILNS1_3genE8ELNS1_11target_archE1030ELNS1_3gpuE2ELNS1_3repE0EEENS1_30default_config_static_selectorELNS0_4arch9wavefront6targetE1EEEvT1_.private_seg_size, 0
	.set _ZN7rocprim17ROCPRIM_400000_NS6detail17trampoline_kernelINS0_14default_configENS1_25partition_config_selectorILNS1_17partition_subalgoE9EllbEEZZNS1_14partition_implILS5_9ELb0ES3_jPlS8_PNS0_10empty_typeENS0_5tupleIJS8_S9_EEENSB_IJS8_SA_EEENS0_18inequality_wrapperIZN2at6native12_GLOBAL__N_124unique_dim_cuda_templateIsEESt5tupleIJNSF_6TensorESK_SK_EERKSK_lbbbEUlllE0_EEPmJS9_EEE10hipError_tPvRmT3_T4_T5_T6_T7_T9_mT8_P12ihipStream_tbDpT10_ENKUlT_T0_E_clISt17integral_constantIbLb1EES19_IbLb0EEEEDaS15_S16_EUlS15_E_NS1_11comp_targetILNS1_3genE8ELNS1_11target_archE1030ELNS1_3gpuE2ELNS1_3repE0EEENS1_30default_config_static_selectorELNS0_4arch9wavefront6targetE1EEEvT1_.uses_vcc, 0
	.set _ZN7rocprim17ROCPRIM_400000_NS6detail17trampoline_kernelINS0_14default_configENS1_25partition_config_selectorILNS1_17partition_subalgoE9EllbEEZZNS1_14partition_implILS5_9ELb0ES3_jPlS8_PNS0_10empty_typeENS0_5tupleIJS8_S9_EEENSB_IJS8_SA_EEENS0_18inequality_wrapperIZN2at6native12_GLOBAL__N_124unique_dim_cuda_templateIsEESt5tupleIJNSF_6TensorESK_SK_EERKSK_lbbbEUlllE0_EEPmJS9_EEE10hipError_tPvRmT3_T4_T5_T6_T7_T9_mT8_P12ihipStream_tbDpT10_ENKUlT_T0_E_clISt17integral_constantIbLb1EES19_IbLb0EEEEDaS15_S16_EUlS15_E_NS1_11comp_targetILNS1_3genE8ELNS1_11target_archE1030ELNS1_3gpuE2ELNS1_3repE0EEENS1_30default_config_static_selectorELNS0_4arch9wavefront6targetE1EEEvT1_.uses_flat_scratch, 0
	.set _ZN7rocprim17ROCPRIM_400000_NS6detail17trampoline_kernelINS0_14default_configENS1_25partition_config_selectorILNS1_17partition_subalgoE9EllbEEZZNS1_14partition_implILS5_9ELb0ES3_jPlS8_PNS0_10empty_typeENS0_5tupleIJS8_S9_EEENSB_IJS8_SA_EEENS0_18inequality_wrapperIZN2at6native12_GLOBAL__N_124unique_dim_cuda_templateIsEESt5tupleIJNSF_6TensorESK_SK_EERKSK_lbbbEUlllE0_EEPmJS9_EEE10hipError_tPvRmT3_T4_T5_T6_T7_T9_mT8_P12ihipStream_tbDpT10_ENKUlT_T0_E_clISt17integral_constantIbLb1EES19_IbLb0EEEEDaS15_S16_EUlS15_E_NS1_11comp_targetILNS1_3genE8ELNS1_11target_archE1030ELNS1_3gpuE2ELNS1_3repE0EEENS1_30default_config_static_selectorELNS0_4arch9wavefront6targetE1EEEvT1_.has_dyn_sized_stack, 0
	.set _ZN7rocprim17ROCPRIM_400000_NS6detail17trampoline_kernelINS0_14default_configENS1_25partition_config_selectorILNS1_17partition_subalgoE9EllbEEZZNS1_14partition_implILS5_9ELb0ES3_jPlS8_PNS0_10empty_typeENS0_5tupleIJS8_S9_EEENSB_IJS8_SA_EEENS0_18inequality_wrapperIZN2at6native12_GLOBAL__N_124unique_dim_cuda_templateIsEESt5tupleIJNSF_6TensorESK_SK_EERKSK_lbbbEUlllE0_EEPmJS9_EEE10hipError_tPvRmT3_T4_T5_T6_T7_T9_mT8_P12ihipStream_tbDpT10_ENKUlT_T0_E_clISt17integral_constantIbLb1EES19_IbLb0EEEEDaS15_S16_EUlS15_E_NS1_11comp_targetILNS1_3genE8ELNS1_11target_archE1030ELNS1_3gpuE2ELNS1_3repE0EEENS1_30default_config_static_selectorELNS0_4arch9wavefront6targetE1EEEvT1_.has_recursion, 0
	.set _ZN7rocprim17ROCPRIM_400000_NS6detail17trampoline_kernelINS0_14default_configENS1_25partition_config_selectorILNS1_17partition_subalgoE9EllbEEZZNS1_14partition_implILS5_9ELb0ES3_jPlS8_PNS0_10empty_typeENS0_5tupleIJS8_S9_EEENSB_IJS8_SA_EEENS0_18inequality_wrapperIZN2at6native12_GLOBAL__N_124unique_dim_cuda_templateIsEESt5tupleIJNSF_6TensorESK_SK_EERKSK_lbbbEUlllE0_EEPmJS9_EEE10hipError_tPvRmT3_T4_T5_T6_T7_T9_mT8_P12ihipStream_tbDpT10_ENKUlT_T0_E_clISt17integral_constantIbLb1EES19_IbLb0EEEEDaS15_S16_EUlS15_E_NS1_11comp_targetILNS1_3genE8ELNS1_11target_archE1030ELNS1_3gpuE2ELNS1_3repE0EEENS1_30default_config_static_selectorELNS0_4arch9wavefront6targetE1EEEvT1_.has_indirect_call, 0
	.section	.AMDGPU.csdata,"",@progbits
; Kernel info:
; codeLenInByte = 0
; TotalNumSgprs: 6
; NumVgprs: 0
; NumAgprs: 0
; TotalNumVgprs: 0
; ScratchSize: 0
; MemoryBound: 0
; FloatMode: 240
; IeeeMode: 1
; LDSByteSize: 0 bytes/workgroup (compile time only)
; SGPRBlocks: 0
; VGPRBlocks: 0
; NumSGPRsForWavesPerEU: 6
; NumVGPRsForWavesPerEU: 1
; AccumOffset: 4
; Occupancy: 8
; WaveLimiterHint : 0
; COMPUTE_PGM_RSRC2:SCRATCH_EN: 0
; COMPUTE_PGM_RSRC2:USER_SGPR: 2
; COMPUTE_PGM_RSRC2:TRAP_HANDLER: 0
; COMPUTE_PGM_RSRC2:TGID_X_EN: 1
; COMPUTE_PGM_RSRC2:TGID_Y_EN: 0
; COMPUTE_PGM_RSRC2:TGID_Z_EN: 0
; COMPUTE_PGM_RSRC2:TIDIG_COMP_CNT: 0
; COMPUTE_PGM_RSRC3_GFX90A:ACCUM_OFFSET: 0
; COMPUTE_PGM_RSRC3_GFX90A:TG_SPLIT: 0
	.section	.text._ZN7rocprim17ROCPRIM_400000_NS6detail17trampoline_kernelINS0_14default_configENS1_25partition_config_selectorILNS1_17partition_subalgoE9EllbEEZZNS1_14partition_implILS5_9ELb0ES3_jPlS8_PNS0_10empty_typeENS0_5tupleIJS8_S9_EEENSB_IJS8_SA_EEENS0_18inequality_wrapperIZN2at6native12_GLOBAL__N_124unique_dim_cuda_templateIsEESt5tupleIJNSF_6TensorESK_SK_EERKSK_lbbbEUlllE0_EEPmJS9_EEE10hipError_tPvRmT3_T4_T5_T6_T7_T9_mT8_P12ihipStream_tbDpT10_ENKUlT_T0_E_clISt17integral_constantIbLb0EES19_IbLb1EEEEDaS15_S16_EUlS15_E_NS1_11comp_targetILNS1_3genE0ELNS1_11target_archE4294967295ELNS1_3gpuE0ELNS1_3repE0EEENS1_30default_config_static_selectorELNS0_4arch9wavefront6targetE1EEEvT1_,"axG",@progbits,_ZN7rocprim17ROCPRIM_400000_NS6detail17trampoline_kernelINS0_14default_configENS1_25partition_config_selectorILNS1_17partition_subalgoE9EllbEEZZNS1_14partition_implILS5_9ELb0ES3_jPlS8_PNS0_10empty_typeENS0_5tupleIJS8_S9_EEENSB_IJS8_SA_EEENS0_18inequality_wrapperIZN2at6native12_GLOBAL__N_124unique_dim_cuda_templateIsEESt5tupleIJNSF_6TensorESK_SK_EERKSK_lbbbEUlllE0_EEPmJS9_EEE10hipError_tPvRmT3_T4_T5_T6_T7_T9_mT8_P12ihipStream_tbDpT10_ENKUlT_T0_E_clISt17integral_constantIbLb0EES19_IbLb1EEEEDaS15_S16_EUlS15_E_NS1_11comp_targetILNS1_3genE0ELNS1_11target_archE4294967295ELNS1_3gpuE0ELNS1_3repE0EEENS1_30default_config_static_selectorELNS0_4arch9wavefront6targetE1EEEvT1_,comdat
	.globl	_ZN7rocprim17ROCPRIM_400000_NS6detail17trampoline_kernelINS0_14default_configENS1_25partition_config_selectorILNS1_17partition_subalgoE9EllbEEZZNS1_14partition_implILS5_9ELb0ES3_jPlS8_PNS0_10empty_typeENS0_5tupleIJS8_S9_EEENSB_IJS8_SA_EEENS0_18inequality_wrapperIZN2at6native12_GLOBAL__N_124unique_dim_cuda_templateIsEESt5tupleIJNSF_6TensorESK_SK_EERKSK_lbbbEUlllE0_EEPmJS9_EEE10hipError_tPvRmT3_T4_T5_T6_T7_T9_mT8_P12ihipStream_tbDpT10_ENKUlT_T0_E_clISt17integral_constantIbLb0EES19_IbLb1EEEEDaS15_S16_EUlS15_E_NS1_11comp_targetILNS1_3genE0ELNS1_11target_archE4294967295ELNS1_3gpuE0ELNS1_3repE0EEENS1_30default_config_static_selectorELNS0_4arch9wavefront6targetE1EEEvT1_ ; -- Begin function _ZN7rocprim17ROCPRIM_400000_NS6detail17trampoline_kernelINS0_14default_configENS1_25partition_config_selectorILNS1_17partition_subalgoE9EllbEEZZNS1_14partition_implILS5_9ELb0ES3_jPlS8_PNS0_10empty_typeENS0_5tupleIJS8_S9_EEENSB_IJS8_SA_EEENS0_18inequality_wrapperIZN2at6native12_GLOBAL__N_124unique_dim_cuda_templateIsEESt5tupleIJNSF_6TensorESK_SK_EERKSK_lbbbEUlllE0_EEPmJS9_EEE10hipError_tPvRmT3_T4_T5_T6_T7_T9_mT8_P12ihipStream_tbDpT10_ENKUlT_T0_E_clISt17integral_constantIbLb0EES19_IbLb1EEEEDaS15_S16_EUlS15_E_NS1_11comp_targetILNS1_3genE0ELNS1_11target_archE4294967295ELNS1_3gpuE0ELNS1_3repE0EEENS1_30default_config_static_selectorELNS0_4arch9wavefront6targetE1EEEvT1_
	.p2align	8
	.type	_ZN7rocprim17ROCPRIM_400000_NS6detail17trampoline_kernelINS0_14default_configENS1_25partition_config_selectorILNS1_17partition_subalgoE9EllbEEZZNS1_14partition_implILS5_9ELb0ES3_jPlS8_PNS0_10empty_typeENS0_5tupleIJS8_S9_EEENSB_IJS8_SA_EEENS0_18inequality_wrapperIZN2at6native12_GLOBAL__N_124unique_dim_cuda_templateIsEESt5tupleIJNSF_6TensorESK_SK_EERKSK_lbbbEUlllE0_EEPmJS9_EEE10hipError_tPvRmT3_T4_T5_T6_T7_T9_mT8_P12ihipStream_tbDpT10_ENKUlT_T0_E_clISt17integral_constantIbLb0EES19_IbLb1EEEEDaS15_S16_EUlS15_E_NS1_11comp_targetILNS1_3genE0ELNS1_11target_archE4294967295ELNS1_3gpuE0ELNS1_3repE0EEENS1_30default_config_static_selectorELNS0_4arch9wavefront6targetE1EEEvT1_,@function
_ZN7rocprim17ROCPRIM_400000_NS6detail17trampoline_kernelINS0_14default_configENS1_25partition_config_selectorILNS1_17partition_subalgoE9EllbEEZZNS1_14partition_implILS5_9ELb0ES3_jPlS8_PNS0_10empty_typeENS0_5tupleIJS8_S9_EEENSB_IJS8_SA_EEENS0_18inequality_wrapperIZN2at6native12_GLOBAL__N_124unique_dim_cuda_templateIsEESt5tupleIJNSF_6TensorESK_SK_EERKSK_lbbbEUlllE0_EEPmJS9_EEE10hipError_tPvRmT3_T4_T5_T6_T7_T9_mT8_P12ihipStream_tbDpT10_ENKUlT_T0_E_clISt17integral_constantIbLb0EES19_IbLb1EEEEDaS15_S16_EUlS15_E_NS1_11comp_targetILNS1_3genE0ELNS1_11target_archE4294967295ELNS1_3gpuE0ELNS1_3repE0EEENS1_30default_config_static_selectorELNS0_4arch9wavefront6targetE1EEEvT1_: ; @_ZN7rocprim17ROCPRIM_400000_NS6detail17trampoline_kernelINS0_14default_configENS1_25partition_config_selectorILNS1_17partition_subalgoE9EllbEEZZNS1_14partition_implILS5_9ELb0ES3_jPlS8_PNS0_10empty_typeENS0_5tupleIJS8_S9_EEENSB_IJS8_SA_EEENS0_18inequality_wrapperIZN2at6native12_GLOBAL__N_124unique_dim_cuda_templateIsEESt5tupleIJNSF_6TensorESK_SK_EERKSK_lbbbEUlllE0_EEPmJS9_EEE10hipError_tPvRmT3_T4_T5_T6_T7_T9_mT8_P12ihipStream_tbDpT10_ENKUlT_T0_E_clISt17integral_constantIbLb0EES19_IbLb1EEEEDaS15_S16_EUlS15_E_NS1_11comp_targetILNS1_3genE0ELNS1_11target_archE4294967295ELNS1_3gpuE0ELNS1_3repE0EEENS1_30default_config_static_selectorELNS0_4arch9wavefront6targetE1EEEvT1_
; %bb.0:
	s_load_dwordx4 s[4:7], s[0:1], 0x8
	s_load_dwordx2 s[10:11], s[0:1], 0x18
	s_load_dwordx8 s[20:27], s[0:1], 0x40
	s_load_dwordx4 s[36:39], s[0:1], 0x60
	v_cmp_ne_u32_e64 s[2:3], 0, v0
	v_cmp_eq_u32_e64 s[18:19], 0, v0
	s_and_saveexec_b64 s[8:9], s[18:19]
	s_cbranch_execz .LBB741_4
; %bb.1:
	s_mov_b64 s[14:15], exec
	v_mbcnt_lo_u32_b32 v1, s14, 0
	v_mbcnt_hi_u32_b32 v1, s15, v1
	v_cmp_eq_u32_e32 vcc, 0, v1
                                        ; implicit-def: $vgpr2
	s_and_saveexec_b64 s[12:13], vcc
	s_cbranch_execz .LBB741_3
; %bb.2:
	s_load_dwordx2 s[16:17], s[0:1], 0x78
	s_bcnt1_i32_b64 s14, s[14:15]
	v_mov_b32_e32 v2, 0
	v_mov_b32_e32 v3, s14
	s_waitcnt lgkmcnt(0)
	global_atomic_add v2, v2, v3, s[16:17] sc0
.LBB741_3:
	s_or_b64 exec, exec, s[12:13]
	s_waitcnt vmcnt(0)
	v_readfirstlane_b32 s12, v2
	v_mov_b32_e32 v2, 0
	s_nop 0
	v_add_u32_e32 v1, s12, v1
	ds_write_b32 v2, v1
.LBB741_4:
	s_or_b64 exec, exec, s[8:9]
	v_mov_b32_e32 v3, 0
	s_load_dwordx4 s[28:31], s[0:1], 0x28
	s_load_dword s8, s[0:1], 0x70
	s_waitcnt lgkmcnt(0)
	s_barrier
	ds_read_b32 v1, v3
	s_waitcnt lgkmcnt(0)
	s_barrier
	global_load_dwordx2 v[4:5], v3, s[22:23]
	s_lshl_b64 s[12:13], s[6:7], 3
	s_mul_i32 s14, s8, 0x280
	s_add_u32 s16, s4, s12
	s_addc_u32 s17, s5, s13
	s_add_i32 s4, s14, s6
	s_sub_i32 s48, s24, s4
	s_add_i32 s15, s8, -1
	s_addk_i32 s48, 0x280
	s_add_u32 s4, s6, s14
	v_readfirstlane_b32 s33, v1
	s_addc_u32 s5, s7, 0
	v_mov_b64_e32 v[6:7], s[4:5]
	s_cmp_eq_u32 s33, s15
	s_mov_b32 s9, 0
	s_mul_i32 s8, s33, 0x280
	v_cmp_le_u64_e32 vcc, s[24:25], v[6:7]
	s_cselect_b64 s[24:25], -1, 0
	s_lshl_b64 s[14:15], s[8:9], 3
	s_and_b64 s[8:9], vcc, s[24:25]
	s_xor_b64 s[34:35], s[8:9], -1
	s_add_u32 s4, s16, s14
	s_mov_b64 s[0:1], -1
	v_lshlrev_b32_e32 v32, 3, v0
	s_addc_u32 s5, s17, s15
	s_and_b64 vcc, exec, s[34:35]
	s_waitcnt vmcnt(0)
	v_readfirstlane_b32 s22, v4
	v_readfirstlane_b32 s23, v5
	s_cbranch_vccz .LBB741_6
; %bb.5:
	v_lshlrev_b32_e32 v2, 3, v0
	v_lshl_add_u64 v[4:5], s[4:5], 0, v[2:3]
	v_add_co_u32_e32 v4, vcc, 0x1000, v4
	global_load_dwordx2 v[6:7], v2, s[4:5] offset:3072
	s_nop 0
	v_addc_co_u32_e32 v5, vcc, 0, v5, vcc
	global_load_dwordx2 v[8:9], v2, s[4:5]
	global_load_dwordx2 v[10:11], v2, s[4:5] offset:1024
	global_load_dwordx2 v[12:13], v2, s[4:5] offset:2048
	global_load_dwordx2 v[14:15], v[4:5], off
	s_mov_b64 s[0:1], 0
	s_waitcnt vmcnt(2)
	ds_write2st64_b64 v2, v[8:9], v[10:11] offset1:2
	s_waitcnt vmcnt(1)
	ds_write2st64_b64 v2, v[12:13], v[6:7] offset0:4 offset1:6
	s_waitcnt vmcnt(0)
	ds_write_b64 v2, v[14:15] offset:4096
	s_waitcnt lgkmcnt(0)
	s_barrier
.LBB741_6:
	s_andn2_b64 vcc, exec, s[0:1]
	v_cmp_gt_u32_e64 s[0:1], s48, v0
	s_cbranch_vccnz .LBB741_18
; %bb.7:
	v_mov_b32_e32 v2, 0
	v_mov_b32_e32 v3, v2
	;; [unrolled: 1-line block ×10, first 2 shown]
	s_and_saveexec_b64 s[16:17], s[0:1]
	s_cbranch_execz .LBB741_9
; %bb.8:
	v_lshlrev_b32_e32 v1, 3, v0
	global_load_dwordx2 v[4:5], v1, s[4:5]
	v_mov_b32_e32 v6, v2
	v_mov_b32_e32 v7, v2
	;; [unrolled: 1-line block ×8, first 2 shown]
	s_waitcnt vmcnt(0)
	v_mov_b64_e32 v[2:3], v[4:5]
	v_mov_b64_e32 v[4:5], v[6:7]
	;; [unrolled: 1-line block ×8, first 2 shown]
.LBB741_9:
	s_or_b64 exec, exec, s[16:17]
	v_or_b32_e32 v1, 0x80, v0
	v_cmp_gt_u32_e32 vcc, s48, v1
	s_and_saveexec_b64 s[0:1], vcc
	s_cbranch_execz .LBB741_11
; %bb.10:
	v_lshlrev_b32_e32 v1, 3, v0
	global_load_dwordx2 v[4:5], v1, s[4:5] offset:1024
.LBB741_11:
	s_or_b64 exec, exec, s[0:1]
	v_or_b32_e32 v1, 0x100, v0
	v_cmp_gt_u32_e32 vcc, s48, v1
	s_and_saveexec_b64 s[0:1], vcc
	s_cbranch_execz .LBB741_13
; %bb.12:
	v_lshlrev_b32_e32 v1, 3, v0
	global_load_dwordx2 v[6:7], v1, s[4:5] offset:2048
.LBB741_13:
	;; [unrolled: 9-line block ×3, first 2 shown]
	s_or_b64 exec, exec, s[0:1]
	v_or_b32_e32 v1, 0x200, v0
	v_cmp_gt_u32_e32 vcc, s48, v1
	s_and_saveexec_b64 s[0:1], vcc
	s_cbranch_execz .LBB741_17
; %bb.16:
	v_lshlrev_b32_e32 v1, 3, v1
	global_load_dwordx2 v[10:11], v1, s[4:5]
.LBB741_17:
	s_or_b64 exec, exec, s[0:1]
	v_lshlrev_b32_e32 v1, 3, v0
	s_waitcnt vmcnt(0)
	ds_write2st64_b64 v1, v[2:3], v[4:5] offset1:2
	ds_write2st64_b64 v1, v[6:7], v[8:9] offset0:4 offset1:6
	ds_write_b64 v1, v[10:11] offset:4096
	s_waitcnt lgkmcnt(0)
	s_barrier
.LBB741_18:
	v_mul_u32_u24_e32 v1, 5, v0
	v_lshlrev_b32_e32 v22, 3, v1
	ds_read2_b64 v[6:9], v22 offset1:1
	ds_read2_b64 v[2:5], v22 offset0:2 offset1:3
	ds_read_b64 v[12:13], v22 offset:32
	s_add_u32 s0, s10, s12
	s_addc_u32 s1, s11, s13
	s_add_u32 s0, s0, s14
	s_addc_u32 s1, s1, s15
	s_mov_b64 s[10:11], -1
	s_and_b64 vcc, exec, s[34:35]
	s_waitcnt lgkmcnt(0)
	s_barrier
	s_cbranch_vccz .LBB741_20
; %bb.19:
	v_lshlrev_b32_e32 v10, 3, v0
	v_mov_b32_e32 v11, 0
	v_lshl_add_u64 v[14:15], s[0:1], 0, v[10:11]
	v_add_co_u32_e32 v14, vcc, 0x1000, v14
	global_load_dwordx2 v[16:17], v10, s[0:1] offset:3072
	s_nop 0
	v_addc_co_u32_e32 v15, vcc, 0, v15, vcc
	global_load_dwordx2 v[18:19], v10, s[0:1]
	global_load_dwordx2 v[20:21], v10, s[0:1] offset:1024
	global_load_dwordx2 v[24:25], v10, s[0:1] offset:2048
	global_load_dwordx2 v[26:27], v[14:15], off
	s_mov_b64 s[10:11], 0
	s_waitcnt vmcnt(2)
	ds_write2st64_b64 v10, v[18:19], v[20:21] offset1:2
	s_waitcnt vmcnt(1)
	ds_write2st64_b64 v10, v[24:25], v[16:17] offset0:4 offset1:6
	s_waitcnt vmcnt(0)
	ds_write_b64 v10, v[26:27] offset:4096
	s_waitcnt lgkmcnt(0)
	s_barrier
.LBB741_20:
	s_andn2_b64 vcc, exec, s[10:11]
	s_cbranch_vccnz .LBB741_32
; %bb.21:
	v_cmp_gt_u32_e32 vcc, s48, v0
                                        ; implicit-def: $vgpr10_vgpr11
	s_and_saveexec_b64 s[10:11], vcc
	s_cbranch_execz .LBB741_23
; %bb.22:
	v_lshlrev_b32_e32 v10, 3, v0
	global_load_dwordx2 v[10:11], v10, s[0:1]
.LBB741_23:
	s_or_b64 exec, exec, s[10:11]
	v_or_b32_e32 v14, 0x80, v0
	v_cmp_gt_u32_e32 vcc, s48, v14
                                        ; implicit-def: $vgpr14_vgpr15
	s_and_saveexec_b64 s[10:11], vcc
	s_cbranch_execz .LBB741_25
; %bb.24:
	v_lshlrev_b32_e32 v14, 3, v0
	global_load_dwordx2 v[14:15], v14, s[0:1] offset:1024
.LBB741_25:
	s_or_b64 exec, exec, s[10:11]
	v_or_b32_e32 v16, 0x100, v0
	v_cmp_gt_u32_e32 vcc, s48, v16
                                        ; implicit-def: $vgpr16_vgpr17
	s_and_saveexec_b64 s[10:11], vcc
	s_cbranch_execz .LBB741_27
; %bb.26:
	v_lshlrev_b32_e32 v16, 3, v0
	global_load_dwordx2 v[16:17], v16, s[0:1] offset:2048
.LBB741_27:
	s_or_b64 exec, exec, s[10:11]
	v_or_b32_e32 v18, 0x180, v0
	v_cmp_gt_u32_e32 vcc, s48, v18
                                        ; implicit-def: $vgpr18_vgpr19
	s_and_saveexec_b64 s[10:11], vcc
	s_cbranch_execz .LBB741_29
; %bb.28:
	v_lshlrev_b32_e32 v18, 3, v0
	global_load_dwordx2 v[18:19], v18, s[0:1] offset:3072
.LBB741_29:
	s_or_b64 exec, exec, s[10:11]
	v_or_b32_e32 v20, 0x200, v0
	v_cmp_gt_u32_e32 vcc, s48, v20
                                        ; implicit-def: $vgpr24_vgpr25
	s_and_saveexec_b64 s[10:11], vcc
	s_cbranch_execz .LBB741_31
; %bb.30:
	v_lshlrev_b32_e32 v20, 3, v20
	global_load_dwordx2 v[24:25], v20, s[0:1]
.LBB741_31:
	s_or_b64 exec, exec, s[10:11]
	v_lshlrev_b32_e32 v20, 5, v0
	v_sub_u32_e32 v20, v22, v20
	s_waitcnt vmcnt(0)
	ds_write2st64_b64 v20, v[10:11], v[14:15] offset1:2
	ds_write2st64_b64 v20, v[16:17], v[18:19] offset0:4 offset1:6
	ds_write_b64 v20, v[24:25] offset:4096
	s_waitcnt lgkmcnt(0)
	s_barrier
.LBB741_32:
	ds_read_b64 v[10:11], v22 offset:32
	ds_read2_b64 v[52:55], v22 offset0:2 offset1:3
	ds_read2_b64 v[56:59], v22 offset1:1
	s_cmp_lg_u32 s33, 0
	s_cselect_b64 s[16:17], -1, 0
	s_cmp_lg_u64 s[6:7], 0
	s_cselect_b64 s[0:1], -1, 0
	s_or_b64 s[0:1], s[0:1], s[16:17]
	s_mov_b64 s[10:11], 0
	s_and_b64 vcc, exec, s[0:1]
	v_cmp_gt_i64_e64 s[6:7], s[26:27], 0
	s_waitcnt lgkmcnt(0)
	s_barrier
	s_cbranch_vccz .LBB741_51
; %bb.33:
	v_mov_b32_e32 v18, 0
	global_load_dwordx2 v[14:15], v18, s[4:5] offset:-8
	v_cndmask_b32_e64 v16, 0, 1, s[6:7]
	v_lshlrev_b32_e32 v23, 3, v0
	s_mov_b64 s[0:1], 0
	s_and_b64 vcc, exec, s[34:35]
	v_cmp_ne_u32_e64 s[4:5], 1, v16
	ds_write_b64 v23, v[12:13]
	s_cbranch_vccz .LBB741_53
; %bb.34:
	s_and_b64 vcc, exec, s[4:5]
	v_mov_b32_e32 v33, 0
	s_cbranch_vccnz .LBB741_44
; %bb.35:
	v_mul_lo_u32 v18, v5, s26
	v_mul_lo_u32 v19, v4, s27
	v_mad_u64_u32 v[16:17], s[0:1], v4, s26, 0
	v_add3_u32 v17, v17, v19, v18
	v_mul_lo_u32 v20, v13, s26
	v_mul_lo_u32 v21, v12, s27
	v_mad_u64_u32 v[18:19], s[0:1], v12, s26, 0
	s_add_u32 s10, s26, -1
	v_lshl_add_u64 v[16:17], v[16:17], 1, s[36:37]
	v_add3_u32 v19, v19, v21, v20
	s_addc_u32 s11, s27, -1
	v_lshl_add_u64 v[18:19], v[18:19], 1, s[36:37]
	s_mov_b64 s[12:13], 0
	s_mov_b64 s[14:15], s[10:11]
	v_mov_b64_e32 v[20:21], v[16:17]
                                        ; implicit-def: $sgpr6_sgpr7
.LBB741_36:                             ; =>This Inner Loop Header: Depth=1
	global_load_ushort v24, v[20:21], off
	global_load_ushort v25, v[18:19], off
	s_add_u32 s0, s14, -1
	s_addc_u32 s1, s15, -1
	s_cmp_eq_u64 s[14:15], 0
	s_mov_b64 s[14:15], s[0:1]
	s_cselect_b64 s[40:41], -1, 0
	v_lshl_add_u64 v[20:21], v[20:21], 0, 2
	v_lshl_add_u64 v[18:19], v[18:19], 0, 2
	s_waitcnt vmcnt(0)
	v_cmp_ne_u16_e64 s[0:1], v24, v25
	s_or_b64 s[0:1], s[0:1], s[40:41]
	s_and_b64 s[0:1], exec, s[0:1]
	v_cmp_eq_u16_e32 vcc, v24, v25
	s_or_b64 s[12:13], s[0:1], s[12:13]
	s_andn2_b64 s[0:1], s[6:7], exec
	s_and_b64 s[6:7], vcc, exec
	s_or_b64 s[6:7], s[0:1], s[6:7]
	s_andn2_b64 exec, exec, s[12:13]
	s_cbranch_execnz .LBB741_36
; %bb.37:
	s_or_b64 exec, exec, s[12:13]
	v_mul_lo_u32 v20, v3, s26
	v_mul_lo_u32 v21, v2, s27
	v_mad_u64_u32 v[18:19], s[0:1], v2, s26, 0
	v_add3_u32 v19, v19, v21, v20
	v_lshl_add_u64 v[18:19], v[18:19], 1, s[36:37]
	s_mov_b64 s[14:15], 0
	s_mov_b64 s[40:41], s[10:11]
	v_mov_b64_e32 v[20:21], v[18:19]
                                        ; implicit-def: $sgpr12_sgpr13
.LBB741_38:                             ; =>This Inner Loop Header: Depth=1
	global_load_ushort v24, v[20:21], off
	global_load_ushort v25, v[16:17], off
	s_add_u32 s0, s40, -1
	s_addc_u32 s1, s41, -1
	s_cmp_eq_u64 s[40:41], 0
	s_mov_b64 s[40:41], s[0:1]
	s_cselect_b64 s[42:43], -1, 0
	v_lshl_add_u64 v[20:21], v[20:21], 0, 2
	v_lshl_add_u64 v[16:17], v[16:17], 0, 2
	s_waitcnt vmcnt(0)
	v_cmp_ne_u16_e64 s[0:1], v24, v25
	s_or_b64 s[0:1], s[0:1], s[42:43]
	s_and_b64 s[0:1], exec, s[0:1]
	v_cmp_eq_u16_e32 vcc, v24, v25
	s_or_b64 s[14:15], s[0:1], s[14:15]
	s_andn2_b64 s[0:1], s[12:13], exec
	s_and_b64 s[12:13], vcc, exec
	s_or_b64 s[12:13], s[0:1], s[12:13]
	s_andn2_b64 exec, exec, s[14:15]
	s_cbranch_execnz .LBB741_38
; %bb.39:
	s_or_b64 exec, exec, s[14:15]
	v_mul_lo_u32 v20, v9, s26
	v_mul_lo_u32 v21, v8, s27
	v_mad_u64_u32 v[16:17], s[0:1], v8, s26, 0
	v_add3_u32 v17, v17, v21, v20
	v_lshl_add_u64 v[16:17], v[16:17], 1, s[36:37]
	s_mov_b64 s[40:41], 0
	s_mov_b64 s[42:43], s[10:11]
	v_mov_b64_e32 v[20:21], v[16:17]
                                        ; implicit-def: $sgpr14_sgpr15
.LBB741_40:                             ; =>This Inner Loop Header: Depth=1
	global_load_ushort v24, v[20:21], off
	global_load_ushort v25, v[18:19], off
	s_add_u32 s0, s42, -1
	s_addc_u32 s1, s43, -1
	s_cmp_eq_u64 s[42:43], 0
	s_mov_b64 s[42:43], s[0:1]
	s_cselect_b64 s[44:45], -1, 0
	v_lshl_add_u64 v[20:21], v[20:21], 0, 2
	v_lshl_add_u64 v[18:19], v[18:19], 0, 2
	s_waitcnt vmcnt(0)
	v_cmp_ne_u16_e64 s[0:1], v24, v25
	s_or_b64 s[0:1], s[0:1], s[44:45]
	s_and_b64 s[0:1], exec, s[0:1]
	v_cmp_eq_u16_e32 vcc, v24, v25
	s_or_b64 s[40:41], s[0:1], s[40:41]
	s_andn2_b64 s[0:1], s[14:15], exec
	s_and_b64 s[14:15], vcc, exec
	s_or_b64 s[14:15], s[0:1], s[14:15]
	s_andn2_b64 exec, exec, s[40:41]
	s_cbranch_execnz .LBB741_40
; %bb.41:
	s_or_b64 exec, exec, s[40:41]
	v_mul_lo_u32 v20, v7, s26
	v_mul_lo_u32 v21, v6, s27
	v_mad_u64_u32 v[18:19], s[0:1], v6, s26, 0
	v_add3_u32 v19, v19, v21, v20
	v_lshl_add_u64 v[18:19], v[18:19], 1, s[36:37]
	s_mov_b64 s[42:43], 0
                                        ; implicit-def: $sgpr40_sgpr41
.LBB741_42:                             ; =>This Inner Loop Header: Depth=1
	global_load_ushort v20, v[18:19], off
	global_load_ushort v21, v[16:17], off
	s_add_u32 s0, s10, -1
	s_addc_u32 s1, s11, -1
	s_cmp_eq_u64 s[10:11], 0
	s_mov_b64 s[10:11], s[0:1]
	s_cselect_b64 s[44:45], -1, 0
	v_lshl_add_u64 v[18:19], v[18:19], 0, 2
	v_lshl_add_u64 v[16:17], v[16:17], 0, 2
	s_waitcnt vmcnt(0)
	v_cmp_ne_u16_e64 s[0:1], v20, v21
	s_or_b64 s[0:1], s[0:1], s[44:45]
	s_and_b64 s[0:1], exec, s[0:1]
	v_cmp_eq_u16_e32 vcc, v20, v21
	s_or_b64 s[42:43], s[0:1], s[42:43]
	s_andn2_b64 s[0:1], s[40:41], exec
	s_and_b64 s[40:41], vcc, exec
	s_or_b64 s[40:41], s[0:1], s[40:41]
	s_andn2_b64 exec, exec, s[42:43]
	s_cbranch_execnz .LBB741_42
; %bb.43:
	s_or_b64 exec, exec, s[42:43]
	s_xor_b64 s[0:1], s[6:7], -1
	v_cndmask_b32_e64 v33, 0, 1, s[0:1]
	s_xor_b64 s[0:1], s[12:13], -1
	v_cndmask_b32_e64 v16, 0, 1, s[0:1]
	v_lshlrev_b16_e32 v16, 8, v16
	v_mov_b32_e32 v17, 8
	s_xor_b64 s[6:7], s[14:15], -1
	v_lshrrev_b32_sdwa v16, v17, v16 dst_sel:BYTE_1 dst_unused:UNUSED_PAD src0_sel:DWORD src1_sel:DWORD
	v_cndmask_b32_e64 v17, 0, 1, s[6:7]
	s_xor_b64 s[0:1], s[40:41], -1
	v_or_b32_sdwa v18, v17, v16 dst_sel:WORD_1 dst_unused:UNUSED_PAD src0_sel:DWORD src1_sel:DWORD
.LBB741_44:
	s_waitcnt vmcnt(0)
	v_mov_b64_e32 v[16:17], v[14:15]
	s_waitcnt lgkmcnt(0)
	s_barrier
	s_and_saveexec_b64 s[6:7], s[2:3]
; %bb.45:
	v_add_u32_e32 v16, -8, v23
	ds_read_b64 v[16:17], v16
; %bb.46:
	s_or_b64 exec, exec, s[6:7]
	v_cndmask_b32_e64 v19, 0, 1, s[0:1]
	v_lshrrev_b32_e32 v20, 16, v18
	s_mov_b32 s0, 0xc0c0304
	v_perm_b32 v20, v20, v18, s0
	v_lshlrev_b16_e32 v19, 8, v19
	s_movk_i32 s0, 0xff
	v_bitop3_b16 v18, v18, v19, s0 bitop3:0xec
	v_and_b32_e32 v21, 0xffff, v18
	s_mov_b64 s[6:7], 0
	s_and_b64 vcc, exec, s[4:5]
	s_mov_b64 s[0:1], 0
	s_cbranch_vccnz .LBB741_50
; %bb.47:
	s_waitcnt lgkmcnt(0)
	v_mul_lo_u32 v18, v17, s26
	v_mul_lo_u32 v19, v16, s27
	v_mad_u64_u32 v[16:17], s[0:1], v16, s26, 0
	v_add3_u32 v17, v17, v19, v18
	v_mul_lo_u32 v24, v7, s26
	v_mul_lo_u32 v25, v6, s27
	v_mad_u64_u32 v[18:19], s[0:1], v6, s26, 0
	v_add3_u32 v19, v19, v25, v24
	s_add_u32 s14, s26, -1
	v_lshl_add_u64 v[16:17], v[16:17], 1, s[36:37]
	v_lshl_add_u64 v[18:19], v[18:19], 1, s[36:37]
	s_addc_u32 s15, s27, -1
	s_mov_b64 s[10:11], 0
                                        ; implicit-def: $sgpr12_sgpr13
.LBB741_48:                             ; =>This Inner Loop Header: Depth=1
	global_load_ushort v24, v[16:17], off
	global_load_ushort v25, v[18:19], off
	s_add_u32 s0, s14, -1
	s_addc_u32 s1, s15, -1
	s_cmp_eq_u64 s[14:15], 0
	s_mov_b64 s[14:15], s[0:1]
	s_cselect_b64 s[40:41], -1, 0
	v_lshl_add_u64 v[16:17], v[16:17], 0, 2
	v_lshl_add_u64 v[18:19], v[18:19], 0, 2
	s_waitcnt vmcnt(0)
	v_cmp_ne_u16_e64 s[0:1], v24, v25
	s_or_b64 s[0:1], s[0:1], s[40:41]
	s_and_b64 s[0:1], exec, s[0:1]
	v_cmp_eq_u16_e32 vcc, v24, v25
	s_or_b64 s[10:11], s[0:1], s[10:11]
	s_andn2_b64 s[0:1], s[12:13], exec
	s_and_b64 s[12:13], vcc, exec
	s_or_b64 s[12:13], s[0:1], s[12:13]
	s_andn2_b64 exec, exec, s[10:11]
	s_cbranch_execnz .LBB741_48
; %bb.49:
	s_or_b64 exec, exec, s[10:11]
	s_xor_b64 s[0:1], s[12:13], -1
.LBB741_50:
	s_waitcnt lgkmcnt(0)
	v_lshl_or_b32 v17, v20, 16, v21
	s_and_b64 vcc, exec, s[6:7]
	s_cbranch_vccnz .LBB741_54
	s_branch .LBB741_87
.LBB741_51:
                                        ; implicit-def: $sgpr0_sgpr1
                                        ; implicit-def: $vgpr33
                                        ; implicit-def: $vgpr17
	s_branch .LBB741_88
.LBB741_52:
                                        ; implicit-def: $vgpr16
                                        ; implicit-def: $vgpr35
                                        ; implicit-def: $vgpr34
                                        ; implicit-def: $vgpr14
	s_branch .LBB741_141
.LBB741_53:
                                        ; implicit-def: $sgpr0_sgpr1
                                        ; implicit-def: $vgpr33
                                        ; implicit-def: $vgpr17
	s_cbranch_execz .LBB741_87
.LBB741_54:
	v_add_u32_e32 v16, 4, v1
	v_cmp_gt_u32_e32 vcc, s48, v16
	s_mov_b64 s[10:11], 0
	s_mov_b64 s[6:7], 0
	s_and_saveexec_b64 s[12:13], vcc
	s_cbranch_execz .LBB741_60
; %bb.55:
	s_and_b64 vcc, exec, s[4:5]
	s_mov_b64 s[0:1], 0
	s_cbranch_vccnz .LBB741_59
; %bb.56:
	v_mul_lo_u32 v18, v5, s26
	v_mul_lo_u32 v19, v4, s27
	v_mad_u64_u32 v[16:17], s[0:1], v4, s26, 0
	v_add3_u32 v17, v17, v19, v18
	v_mul_lo_u32 v20, v13, s26
	v_mul_lo_u32 v21, v12, s27
	v_mad_u64_u32 v[18:19], s[0:1], v12, s26, 0
	v_add3_u32 v19, v19, v21, v20
	s_add_u32 s40, s26, -1
	v_lshl_add_u64 v[16:17], v[16:17], 1, s[36:37]
	v_lshl_add_u64 v[18:19], v[18:19], 1, s[36:37]
	s_addc_u32 s41, s27, -1
                                        ; implicit-def: $sgpr14_sgpr15
.LBB741_57:                             ; =>This Inner Loop Header: Depth=1
	global_load_ushort v20, v[16:17], off
	global_load_ushort v21, v[18:19], off
	s_add_u32 s0, s40, -1
	s_addc_u32 s1, s41, -1
	s_cmp_eq_u64 s[40:41], 0
	s_mov_b64 s[40:41], s[0:1]
	s_cselect_b64 s[42:43], -1, 0
	v_lshl_add_u64 v[16:17], v[16:17], 0, 2
	v_lshl_add_u64 v[18:19], v[18:19], 0, 2
	s_waitcnt vmcnt(0)
	v_cmp_ne_u16_e64 s[0:1], v20, v21
	s_or_b64 s[0:1], s[0:1], s[42:43]
	s_and_b64 s[0:1], exec, s[0:1]
	v_cmp_eq_u16_e32 vcc, v20, v21
	s_or_b64 s[6:7], s[0:1], s[6:7]
	s_andn2_b64 s[0:1], s[14:15], exec
	s_and_b64 s[14:15], vcc, exec
	s_or_b64 s[14:15], s[0:1], s[14:15]
	s_andn2_b64 exec, exec, s[6:7]
	s_cbranch_execnz .LBB741_57
; %bb.58:
	s_or_b64 exec, exec, s[6:7]
	s_xor_b64 s[0:1], s[14:15], -1
.LBB741_59:
	s_and_b64 s[6:7], s[0:1], exec
.LBB741_60:
	s_or_b64 exec, exec, s[12:13]
	v_add_u32_e32 v16, 3, v1
	v_cmp_gt_u32_e32 vcc, s48, v16
	s_and_saveexec_b64 s[12:13], vcc
	s_cbranch_execz .LBB741_66
; %bb.61:
	s_and_b64 vcc, exec, s[4:5]
	s_mov_b64 s[0:1], 0
	s_cbranch_vccnz .LBB741_65
; %bb.62:
	v_mul_lo_u32 v18, v3, s26
	v_mul_lo_u32 v19, v2, s27
	v_mad_u64_u32 v[16:17], s[0:1], v2, s26, 0
	v_add3_u32 v17, v17, v19, v18
	v_mul_lo_u32 v20, v5, s26
	v_mul_lo_u32 v21, v4, s27
	v_mad_u64_u32 v[18:19], s[0:1], v4, s26, 0
	v_add3_u32 v19, v19, v21, v20
	s_add_u32 s40, s26, -1
	v_lshl_add_u64 v[16:17], v[16:17], 1, s[36:37]
	v_lshl_add_u64 v[18:19], v[18:19], 1, s[36:37]
	s_addc_u32 s41, s27, -1
	s_mov_b64 s[10:11], 0
                                        ; implicit-def: $sgpr14_sgpr15
.LBB741_63:                             ; =>This Inner Loop Header: Depth=1
	global_load_ushort v20, v[16:17], off
	global_load_ushort v21, v[18:19], off
	s_add_u32 s0, s40, -1
	s_addc_u32 s1, s41, -1
	s_cmp_eq_u64 s[40:41], 0
	s_mov_b64 s[40:41], s[0:1]
	s_cselect_b64 s[42:43], -1, 0
	v_lshl_add_u64 v[16:17], v[16:17], 0, 2
	v_lshl_add_u64 v[18:19], v[18:19], 0, 2
	s_waitcnt vmcnt(0)
	v_cmp_ne_u16_e64 s[0:1], v20, v21
	s_or_b64 s[0:1], s[0:1], s[42:43]
	s_and_b64 s[0:1], exec, s[0:1]
	v_cmp_eq_u16_e32 vcc, v20, v21
	s_or_b64 s[10:11], s[0:1], s[10:11]
	s_andn2_b64 s[0:1], s[14:15], exec
	s_and_b64 s[14:15], vcc, exec
	s_or_b64 s[14:15], s[0:1], s[14:15]
	s_andn2_b64 exec, exec, s[10:11]
	s_cbranch_execnz .LBB741_63
; %bb.64:
	s_or_b64 exec, exec, s[10:11]
	s_xor_b64 s[0:1], s[14:15], -1
.LBB741_65:
	s_and_b64 s[10:11], s[0:1], exec
.LBB741_66:
	s_or_b64 exec, exec, s[12:13]
	v_add_u32_e32 v16, 2, v1
	v_cmp_gt_u32_e32 vcc, s48, v16
	s_mov_b64 s[12:13], 0
	s_mov_b64 s[14:15], 0
	s_and_saveexec_b64 s[40:41], vcc
	s_cbranch_execz .LBB741_72
; %bb.67:
	s_and_b64 vcc, exec, s[4:5]
	s_mov_b64 s[0:1], 0
	s_cbranch_vccnz .LBB741_71
; %bb.68:
	v_mul_lo_u32 v18, v9, s26
	v_mul_lo_u32 v19, v8, s27
	v_mad_u64_u32 v[16:17], s[0:1], v8, s26, 0
	v_add3_u32 v17, v17, v19, v18
	v_mul_lo_u32 v20, v3, s26
	v_mul_lo_u32 v21, v2, s27
	v_mad_u64_u32 v[18:19], s[0:1], v2, s26, 0
	v_add3_u32 v19, v19, v21, v20
	s_add_u32 s44, s26, -1
	v_lshl_add_u64 v[16:17], v[16:17], 1, s[36:37]
	v_lshl_add_u64 v[18:19], v[18:19], 1, s[36:37]
	s_addc_u32 s45, s27, -1
                                        ; implicit-def: $sgpr42_sgpr43
.LBB741_69:                             ; =>This Inner Loop Header: Depth=1
	global_load_ushort v20, v[16:17], off
	global_load_ushort v21, v[18:19], off
	s_add_u32 s0, s44, -1
	s_addc_u32 s1, s45, -1
	s_cmp_eq_u64 s[44:45], 0
	s_mov_b64 s[44:45], s[0:1]
	s_cselect_b64 s[46:47], -1, 0
	v_lshl_add_u64 v[16:17], v[16:17], 0, 2
	v_lshl_add_u64 v[18:19], v[18:19], 0, 2
	s_waitcnt vmcnt(0)
	v_cmp_ne_u16_e64 s[0:1], v20, v21
	s_or_b64 s[0:1], s[0:1], s[46:47]
	s_and_b64 s[0:1], exec, s[0:1]
	v_cmp_eq_u16_e32 vcc, v20, v21
	s_or_b64 s[14:15], s[0:1], s[14:15]
	s_andn2_b64 s[0:1], s[42:43], exec
	s_and_b64 s[42:43], vcc, exec
	s_or_b64 s[42:43], s[0:1], s[42:43]
	s_andn2_b64 exec, exec, s[14:15]
	s_cbranch_execnz .LBB741_69
; %bb.70:
	s_or_b64 exec, exec, s[14:15]
	s_xor_b64 s[0:1], s[42:43], -1
.LBB741_71:
	s_and_b64 s[14:15], s[0:1], exec
.LBB741_72:
	s_or_b64 exec, exec, s[40:41]
	v_add_u32_e32 v16, 1, v1
	v_cmp_gt_u32_e32 vcc, s48, v16
	s_and_saveexec_b64 s[40:41], vcc
	s_cbranch_execz .LBB741_78
; %bb.73:
	s_and_b64 vcc, exec, s[4:5]
	s_mov_b64 s[0:1], 0
	s_cbranch_vccnz .LBB741_77
; %bb.74:
	v_mul_lo_u32 v18, v7, s26
	v_mul_lo_u32 v19, v6, s27
	v_mad_u64_u32 v[16:17], s[0:1], v6, s26, 0
	v_add3_u32 v17, v17, v19, v18
	v_mul_lo_u32 v20, v9, s26
	v_mul_lo_u32 v21, v8, s27
	v_mad_u64_u32 v[18:19], s[0:1], v8, s26, 0
	v_add3_u32 v19, v19, v21, v20
	s_add_u32 s44, s26, -1
	v_lshl_add_u64 v[16:17], v[16:17], 1, s[36:37]
	v_lshl_add_u64 v[18:19], v[18:19], 1, s[36:37]
	s_addc_u32 s45, s27, -1
	s_mov_b64 s[12:13], 0
                                        ; implicit-def: $sgpr42_sgpr43
.LBB741_75:                             ; =>This Inner Loop Header: Depth=1
	global_load_ushort v20, v[16:17], off
	global_load_ushort v21, v[18:19], off
	s_add_u32 s0, s44, -1
	s_addc_u32 s1, s45, -1
	s_cmp_eq_u64 s[44:45], 0
	s_mov_b64 s[44:45], s[0:1]
	s_cselect_b64 s[46:47], -1, 0
	v_lshl_add_u64 v[16:17], v[16:17], 0, 2
	v_lshl_add_u64 v[18:19], v[18:19], 0, 2
	s_waitcnt vmcnt(0)
	v_cmp_ne_u16_e64 s[0:1], v20, v21
	s_or_b64 s[0:1], s[0:1], s[46:47]
	s_and_b64 s[0:1], exec, s[0:1]
	v_cmp_eq_u16_e32 vcc, v20, v21
	s_or_b64 s[12:13], s[0:1], s[12:13]
	s_andn2_b64 s[0:1], s[42:43], exec
	s_and_b64 s[42:43], vcc, exec
	s_or_b64 s[42:43], s[0:1], s[42:43]
	s_andn2_b64 exec, exec, s[12:13]
	s_cbranch_execnz .LBB741_75
; %bb.76:
	s_or_b64 exec, exec, s[12:13]
	s_xor_b64 s[0:1], s[42:43], -1
.LBB741_77:
	s_and_b64 s[12:13], s[0:1], exec
.LBB741_78:
	s_or_b64 exec, exec, s[40:41]
	s_waitcnt lgkmcnt(0)
	s_barrier
	s_and_saveexec_b64 s[0:1], s[2:3]
	s_cbranch_execz .LBB741_80
; %bb.79:
	s_waitcnt vmcnt(0)
	v_add_u32_e32 v14, -8, v23
	ds_read_b64 v[14:15], v14
.LBB741_80:
	s_or_b64 exec, exec, s[0:1]
	v_cndmask_b32_e64 v17, 0, 1, s[10:11]
	v_cndmask_b32_e64 v16, 0, 1, s[14:15]
	;; [unrolled: 1-line block ×3, first 2 shown]
	v_lshlrev_b16_e32 v17, 8, v17
	v_cmp_gt_u32_e32 vcc, s48, v1
	v_lshlrev_b16_e32 v18, 8, v18
	v_or_b32_sdwa v19, v16, v17 dst_sel:WORD_1 dst_unused:UNUSED_PAD src0_sel:DWORD src1_sel:DWORD
	s_mov_b64 s[0:1], 0
	s_and_saveexec_b64 s[10:11], vcc
	s_cbranch_execz .LBB741_86
; %bb.81:
	s_and_b64 vcc, exec, s[4:5]
	s_cbranch_vccnz .LBB741_85
; %bb.82:
	s_waitcnt vmcnt(0) lgkmcnt(0)
	v_mul_lo_u32 v16, v15, s26
	v_mul_lo_u32 v17, v14, s27
	v_mad_u64_u32 v[14:15], s[0:1], v14, s26, 0
	v_add3_u32 v15, v15, v17, v16
	v_mul_lo_u32 v20, v7, s26
	v_mul_lo_u32 v21, v6, s27
	v_mad_u64_u32 v[16:17], s[0:1], v6, s26, 0
	v_add3_u32 v17, v17, v21, v20
	s_add_u32 s14, s26, -1
	v_lshl_add_u64 v[14:15], v[14:15], 1, s[36:37]
	v_lshl_add_u64 v[16:17], v[16:17], 1, s[36:37]
	s_addc_u32 s15, s27, -1
	s_mov_b64 s[4:5], 0
                                        ; implicit-def: $sgpr12_sgpr13
.LBB741_83:                             ; =>This Inner Loop Header: Depth=1
	global_load_ushort v20, v[14:15], off
	global_load_ushort v21, v[16:17], off
	s_add_u32 s0, s14, -1
	s_addc_u32 s1, s15, -1
	s_cmp_eq_u64 s[14:15], 0
	s_mov_b64 s[14:15], s[0:1]
	s_cselect_b64 s[40:41], -1, 0
	v_lshl_add_u64 v[14:15], v[14:15], 0, 2
	v_lshl_add_u64 v[16:17], v[16:17], 0, 2
	s_waitcnt vmcnt(0)
	v_cmp_ne_u16_e64 s[0:1], v20, v21
	s_or_b64 s[0:1], s[0:1], s[40:41]
	s_and_b64 s[0:1], exec, s[0:1]
	v_cmp_eq_u16_e32 vcc, v20, v21
	s_or_b64 s[4:5], s[0:1], s[4:5]
	s_andn2_b64 s[0:1], s[12:13], exec
	s_and_b64 s[12:13], vcc, exec
	s_or_b64 s[12:13], s[0:1], s[12:13]
	s_andn2_b64 exec, exec, s[4:5]
	s_cbranch_execnz .LBB741_83
; %bb.84:
	s_or_b64 exec, exec, s[4:5]
	s_xor_b64 s[0:1], s[12:13], -1
.LBB741_85:
	s_and_b64 s[0:1], s[0:1], exec
.LBB741_86:
	s_or_b64 exec, exec, s[10:11]
	v_cndmask_b32_e64 v33, 0, 1, s[6:7]
	v_or_b32_e32 v17, v18, v19
.LBB741_87:
	s_mov_b64 s[10:11], -1
	s_cbranch_execnz .LBB741_52
.LBB741_88:
	s_waitcnt vmcnt(0) lgkmcnt(0)
	v_lshlrev_b32_e32 v14, 5, v0
	v_sub_u32_e32 v22, v22, v14
	s_mov_b64 s[0:1], 0
	v_cmp_gt_i64_e64 s[6:7], s[26:27], 0
	s_and_b64 vcc, exec, s[34:35]
	ds_write_b64 v22, v[12:13]
	s_cbranch_vccz .LBB741_99
; %bb.89:
	v_cndmask_b32_e64 v14, 0, 1, s[6:7]
	v_cmp_ne_u32_e64 s[4:5], 1, v14
	s_andn2_b64 vcc, exec, s[6:7]
	s_cbranch_vccnz .LBB741_100
; %bb.90:
	v_mul_lo_u32 v16, v5, s26
	v_mul_lo_u32 v17, v4, s27
	v_mad_u64_u32 v[14:15], s[0:1], v4, s26, 0
	v_add3_u32 v15, v15, v17, v16
	v_mul_lo_u32 v18, v13, s26
	v_mul_lo_u32 v19, v12, s27
	v_mad_u64_u32 v[16:17], s[0:1], v12, s26, 0
	s_add_u32 s14, s26, -1
	v_lshl_add_u64 v[14:15], v[14:15], 1, s[36:37]
	v_add3_u32 v17, v17, v19, v18
	s_addc_u32 s15, s27, -1
	v_lshl_add_u64 v[16:17], v[16:17], 1, s[36:37]
	s_mov_b64 s[40:41], 0
	s_mov_b64 s[42:43], s[14:15]
	v_mov_b64_e32 v[18:19], v[14:15]
                                        ; implicit-def: $sgpr12_sgpr13
.LBB741_91:                             ; =>This Inner Loop Header: Depth=1
	global_load_ushort v20, v[18:19], off
	global_load_ushort v21, v[16:17], off
	s_add_u32 s0, s42, -1
	s_addc_u32 s1, s43, -1
	s_cmp_eq_u64 s[42:43], 0
	s_mov_b64 s[42:43], s[0:1]
	s_cselect_b64 s[44:45], -1, 0
	v_lshl_add_u64 v[18:19], v[18:19], 0, 2
	v_lshl_add_u64 v[16:17], v[16:17], 0, 2
	s_waitcnt vmcnt(0)
	v_cmp_ne_u16_e64 s[0:1], v20, v21
	s_or_b64 s[0:1], s[0:1], s[44:45]
	s_and_b64 s[0:1], exec, s[0:1]
	v_cmp_eq_u16_e32 vcc, v20, v21
	s_or_b64 s[40:41], s[0:1], s[40:41]
	s_andn2_b64 s[0:1], s[12:13], exec
	s_and_b64 s[12:13], vcc, exec
	s_or_b64 s[12:13], s[0:1], s[12:13]
	s_andn2_b64 exec, exec, s[40:41]
	s_cbranch_execnz .LBB741_91
; %bb.92:
	s_or_b64 exec, exec, s[40:41]
	v_mul_lo_u32 v18, v3, s26
	v_mul_lo_u32 v19, v2, s27
	v_mad_u64_u32 v[16:17], s[0:1], v2, s26, 0
	v_add3_u32 v17, v17, v19, v18
	v_lshl_add_u64 v[16:17], v[16:17], 1, s[36:37]
	s_mov_b64 s[42:43], 0
	s_mov_b64 s[44:45], s[14:15]
	v_mov_b64_e32 v[18:19], v[16:17]
                                        ; implicit-def: $sgpr40_sgpr41
.LBB741_93:                             ; =>This Inner Loop Header: Depth=1
	global_load_ushort v20, v[18:19], off
	global_load_ushort v21, v[14:15], off
	s_add_u32 s0, s44, -1
	s_addc_u32 s1, s45, -1
	s_cmp_eq_u64 s[44:45], 0
	s_mov_b64 s[44:45], s[0:1]
	s_cselect_b64 s[46:47], -1, 0
	v_lshl_add_u64 v[18:19], v[18:19], 0, 2
	v_lshl_add_u64 v[14:15], v[14:15], 0, 2
	s_waitcnt vmcnt(0)
	v_cmp_ne_u16_e64 s[0:1], v20, v21
	s_or_b64 s[0:1], s[0:1], s[46:47]
	s_and_b64 s[0:1], exec, s[0:1]
	v_cmp_eq_u16_e32 vcc, v20, v21
	s_or_b64 s[42:43], s[0:1], s[42:43]
	s_andn2_b64 s[0:1], s[40:41], exec
	s_and_b64 s[40:41], vcc, exec
	s_or_b64 s[40:41], s[0:1], s[40:41]
	s_andn2_b64 exec, exec, s[42:43]
	s_cbranch_execnz .LBB741_93
; %bb.94:
	s_or_b64 exec, exec, s[42:43]
	v_mul_lo_u32 v18, v9, s26
	v_mul_lo_u32 v19, v8, s27
	v_mad_u64_u32 v[14:15], s[0:1], v8, s26, 0
	v_add3_u32 v15, v15, v19, v18
	v_lshl_add_u64 v[14:15], v[14:15], 1, s[36:37]
	s_mov_b64 s[44:45], 0
	s_mov_b64 s[46:47], s[14:15]
	v_mov_b64_e32 v[18:19], v[14:15]
                                        ; implicit-def: $sgpr42_sgpr43
.LBB741_95:                             ; =>This Inner Loop Header: Depth=1
	global_load_ushort v20, v[18:19], off
	global_load_ushort v21, v[16:17], off
	s_add_u32 s0, s46, -1
	s_addc_u32 s1, s47, -1
	s_cmp_eq_u64 s[46:47], 0
	s_mov_b64 s[46:47], s[0:1]
	s_cselect_b64 s[50:51], -1, 0
	v_lshl_add_u64 v[18:19], v[18:19], 0, 2
	v_lshl_add_u64 v[16:17], v[16:17], 0, 2
	s_waitcnt vmcnt(0)
	v_cmp_ne_u16_e64 s[0:1], v20, v21
	s_or_b64 s[0:1], s[0:1], s[50:51]
	s_and_b64 s[0:1], exec, s[0:1]
	v_cmp_eq_u16_e32 vcc, v20, v21
	s_or_b64 s[44:45], s[0:1], s[44:45]
	s_andn2_b64 s[0:1], s[42:43], exec
	s_and_b64 s[42:43], vcc, exec
	s_or_b64 s[42:43], s[0:1], s[42:43]
	s_andn2_b64 exec, exec, s[44:45]
	s_cbranch_execnz .LBB741_95
; %bb.96:
	s_or_b64 exec, exec, s[44:45]
	v_mul_lo_u32 v18, v7, s26
	v_mul_lo_u32 v19, v6, s27
	v_mad_u64_u32 v[16:17], s[0:1], v6, s26, 0
	v_add3_u32 v17, v17, v19, v18
	v_lshl_add_u64 v[16:17], v[16:17], 1, s[36:37]
	s_mov_b64 s[46:47], 0
                                        ; implicit-def: $sgpr44_sgpr45
.LBB741_97:                             ; =>This Inner Loop Header: Depth=1
	global_load_ushort v18, v[16:17], off
	global_load_ushort v19, v[14:15], off
	s_add_u32 s0, s14, -1
	s_addc_u32 s1, s15, -1
	s_cmp_eq_u64 s[14:15], 0
	s_mov_b64 s[14:15], s[0:1]
	s_cselect_b64 s[50:51], -1, 0
	v_lshl_add_u64 v[16:17], v[16:17], 0, 2
	v_lshl_add_u64 v[14:15], v[14:15], 0, 2
	s_waitcnt vmcnt(0)
	v_cmp_ne_u16_e64 s[0:1], v18, v19
	s_or_b64 s[0:1], s[0:1], s[50:51]
	s_and_b64 s[0:1], exec, s[0:1]
	v_cmp_eq_u16_e32 vcc, v18, v19
	s_or_b64 s[46:47], s[0:1], s[46:47]
	s_andn2_b64 s[0:1], s[44:45], exec
	s_and_b64 s[44:45], vcc, exec
	s_or_b64 s[44:45], s[0:1], s[44:45]
	s_andn2_b64 exec, exec, s[46:47]
	s_cbranch_execnz .LBB741_97
; %bb.98:
	s_or_b64 exec, exec, s[46:47]
	s_xor_b64 s[0:1], s[12:13], -1
	v_cndmask_b32_e64 v33, 0, 1, s[0:1]
	s_xor_b64 s[0:1], s[40:41], -1
	v_cndmask_b32_e64 v14, 0, 1, s[0:1]
	v_lshlrev_b16_e32 v14, 8, v14
	v_mov_b32_e32 v15, 8
	s_xor_b64 s[12:13], s[42:43], -1
	v_lshrrev_b32_sdwa v14, v15, v14 dst_sel:BYTE_1 dst_unused:UNUSED_PAD src0_sel:DWORD src1_sel:DWORD
	v_cndmask_b32_e64 v15, 0, 1, s[12:13]
	s_xor_b64 s[0:1], s[44:45], -1
	v_or_b32_sdwa v14, v15, v14 dst_sel:WORD_1 dst_unused:UNUSED_PAD src0_sel:DWORD src1_sel:DWORD
	s_branch .LBB741_101
.LBB741_99:
                                        ; implicit-def: $sgpr0_sgpr1
                                        ; implicit-def: $vgpr33
                                        ; implicit-def: $vgpr17
                                        ; implicit-def: $vgpr16
                                        ; implicit-def: $vgpr35
                                        ; implicit-def: $vgpr34
                                        ; implicit-def: $vgpr14
	s_cbranch_execnz .LBB741_108
	s_branch .LBB741_141
.LBB741_100:
	v_mov_b32_e32 v14, 0
	v_mov_b32_e32 v33, 0
.LBB741_101:
	v_lshrrev_b32_e32 v34, 16, v14
	v_lshrrev_b32_e32 v14, 24, v14
	v_cndmask_b32_e64 v35, 0, 1, s[0:1]
	v_mov_b32_e32 v16, 1
	s_waitcnt lgkmcnt(0)
	s_barrier
                                        ; implicit-def: $sgpr0_sgpr1
                                        ; implicit-def: $vgpr17
	s_and_saveexec_b64 s[12:13], s[2:3]
	s_xor_b64 s[12:13], exec, s[12:13]
	s_cbranch_execz .LBB741_107
; %bb.102:
	v_lshlrev_b16_e32 v15, 8, v14
	s_movk_i32 s0, 0xff
	v_bitop3_b16 v15, v34, v15, s0 bitop3:0xec
	v_lshlrev_b16_e32 v17, 8, v35
	v_lshlrev_b32_e32 v15, 16, v15
	v_or_b32_e32 v17, 1, v17
	v_or_b32_sdwa v15, v17, v15 dst_sel:DWORD dst_unused:UNUSED_PAD src0_sel:WORD_0 src1_sel:DWORD
	s_mov_b32 s42, 0x3020104
	s_and_b64 vcc, exec, s[4:5]
	s_mov_b64 s[0:1], 0
	s_cbranch_vccnz .LBB741_106
; %bb.103:
	v_add_u32_e32 v17, -8, v22
	ds_read_b64 v[18:19], v17
	v_mul_lo_u32 v17, v7, s26
	v_mul_lo_u32 v23, v6, s27
	s_add_u32 s40, s26, -1
	s_addc_u32 s41, s27, -1
	s_waitcnt lgkmcnt(0)
	v_mul_lo_u32 v20, v19, s26
	v_mul_lo_u32 v21, v18, s27
	v_mad_u64_u32 v[18:19], s[0:1], v18, s26, 0
	v_add3_u32 v19, v19, v21, v20
	v_mad_u64_u32 v[20:21], s[0:1], v6, s26, 0
	v_add3_u32 v21, v21, v23, v17
	v_lshl_add_u64 v[18:19], v[18:19], 1, s[36:37]
	v_lshl_add_u64 v[20:21], v[20:21], 1, s[36:37]
	s_mov_b64 s[4:5], 0
                                        ; implicit-def: $sgpr14_sgpr15
.LBB741_104:                            ; =>This Inner Loop Header: Depth=1
	global_load_ushort v17, v[18:19], off
	global_load_ushort v23, v[20:21], off
	s_add_u32 s0, s40, -1
	s_addc_u32 s1, s41, -1
	s_cmp_eq_u64 s[40:41], 0
	s_mov_b64 s[40:41], s[0:1]
	s_cselect_b64 s[44:45], -1, 0
	v_lshl_add_u64 v[18:19], v[18:19], 0, 2
	v_lshl_add_u64 v[20:21], v[20:21], 0, 2
	s_waitcnt vmcnt(0)
	v_cmp_ne_u16_e64 s[0:1], v17, v23
	s_or_b64 s[0:1], s[0:1], s[44:45]
	s_and_b64 s[0:1], exec, s[0:1]
	v_cmp_eq_u16_e32 vcc, v17, v23
	s_or_b64 s[4:5], s[0:1], s[4:5]
	s_andn2_b64 s[0:1], s[14:15], exec
	s_and_b64 s[14:15], vcc, exec
	s_or_b64 s[14:15], s[0:1], s[14:15]
	s_andn2_b64 exec, exec, s[4:5]
	s_cbranch_execnz .LBB741_104
; %bb.105:
	s_or_b64 exec, exec, s[4:5]
	s_xor_b64 s[0:1], s[14:15], -1
.LBB741_106:
	v_perm_b32 v17, v15, v15, s42
	s_or_b64 s[10:11], s[10:11], exec
.LBB741_107:
	s_or_b64 exec, exec, s[12:13]
	s_branch .LBB741_141
.LBB741_108:
	v_add_u32_e32 v14, 4, v1
	v_cmp_gt_u32_e32 vcc, s48, v14
	s_mov_b64 s[4:5], 0
	s_mov_b64 s[12:13], 0
	s_and_saveexec_b64 s[14:15], vcc
	s_cbranch_execz .LBB741_114
; %bb.109:
	s_andn2_b64 vcc, exec, s[6:7]
	s_mov_b64 s[0:1], 0
	s_cbranch_vccnz .LBB741_113
; %bb.110:
	v_mul_lo_u32 v16, v5, s26
	v_mul_lo_u32 v17, v4, s27
	v_mad_u64_u32 v[14:15], s[0:1], v4, s26, 0
	v_add3_u32 v15, v15, v17, v16
	v_mul_lo_u32 v18, v13, s26
	v_mul_lo_u32 v19, v12, s27
	v_mad_u64_u32 v[16:17], s[0:1], v12, s26, 0
	v_add3_u32 v17, v17, v19, v18
	s_add_u32 s42, s26, -1
	v_lshl_add_u64 v[14:15], v[14:15], 1, s[36:37]
	v_lshl_add_u64 v[16:17], v[16:17], 1, s[36:37]
	s_addc_u32 s43, s27, -1
                                        ; implicit-def: $sgpr40_sgpr41
.LBB741_111:                            ; =>This Inner Loop Header: Depth=1
	global_load_ushort v18, v[14:15], off
	global_load_ushort v19, v[16:17], off
	s_add_u32 s0, s42, -1
	s_addc_u32 s1, s43, -1
	s_cmp_eq_u64 s[42:43], 0
	s_mov_b64 s[42:43], s[0:1]
	s_cselect_b64 s[44:45], -1, 0
	v_lshl_add_u64 v[14:15], v[14:15], 0, 2
	v_lshl_add_u64 v[16:17], v[16:17], 0, 2
	s_waitcnt vmcnt(0)
	v_cmp_ne_u16_e64 s[0:1], v18, v19
	s_or_b64 s[0:1], s[0:1], s[44:45]
	s_and_b64 s[0:1], exec, s[0:1]
	v_cmp_eq_u16_e32 vcc, v18, v19
	s_or_b64 s[12:13], s[0:1], s[12:13]
	s_andn2_b64 s[0:1], s[40:41], exec
	s_and_b64 s[40:41], vcc, exec
	s_or_b64 s[40:41], s[0:1], s[40:41]
	s_andn2_b64 exec, exec, s[12:13]
	s_cbranch_execnz .LBB741_111
; %bb.112:
	s_or_b64 exec, exec, s[12:13]
	s_xor_b64 s[0:1], s[40:41], -1
.LBB741_113:
	s_and_b64 s[12:13], s[0:1], exec
.LBB741_114:
	s_or_b64 exec, exec, s[14:15]
	v_add_u32_e32 v14, 3, v1
	v_cmp_gt_u32_e32 vcc, s48, v14
	s_and_saveexec_b64 s[14:15], vcc
	s_cbranch_execz .LBB741_120
; %bb.115:
	s_andn2_b64 vcc, exec, s[6:7]
	s_mov_b64 s[0:1], 0
	s_cbranch_vccnz .LBB741_119
; %bb.116:
	v_mul_lo_u32 v16, v3, s26
	v_mul_lo_u32 v17, v2, s27
	v_mad_u64_u32 v[14:15], s[0:1], v2, s26, 0
	v_add3_u32 v15, v15, v17, v16
	v_mul_lo_u32 v18, v5, s26
	v_mul_lo_u32 v19, v4, s27
	v_mad_u64_u32 v[16:17], s[0:1], v4, s26, 0
	v_add3_u32 v17, v17, v19, v18
	s_add_u32 s42, s26, -1
	v_lshl_add_u64 v[14:15], v[14:15], 1, s[36:37]
	v_lshl_add_u64 v[16:17], v[16:17], 1, s[36:37]
	s_addc_u32 s43, s27, -1
	s_mov_b64 s[4:5], 0
                                        ; implicit-def: $sgpr40_sgpr41
.LBB741_117:                            ; =>This Inner Loop Header: Depth=1
	global_load_ushort v18, v[14:15], off
	global_load_ushort v19, v[16:17], off
	s_add_u32 s0, s42, -1
	s_addc_u32 s1, s43, -1
	s_cmp_eq_u64 s[42:43], 0
	s_mov_b64 s[42:43], s[0:1]
	s_cselect_b64 s[44:45], -1, 0
	v_lshl_add_u64 v[14:15], v[14:15], 0, 2
	v_lshl_add_u64 v[16:17], v[16:17], 0, 2
	s_waitcnt vmcnt(0)
	v_cmp_ne_u16_e64 s[0:1], v18, v19
	s_or_b64 s[0:1], s[0:1], s[44:45]
	s_and_b64 s[0:1], exec, s[0:1]
	v_cmp_eq_u16_e32 vcc, v18, v19
	s_or_b64 s[4:5], s[0:1], s[4:5]
	s_andn2_b64 s[0:1], s[40:41], exec
	s_and_b64 s[40:41], vcc, exec
	s_or_b64 s[40:41], s[0:1], s[40:41]
	s_andn2_b64 exec, exec, s[4:5]
	s_cbranch_execnz .LBB741_117
; %bb.118:
	s_or_b64 exec, exec, s[4:5]
	s_xor_b64 s[0:1], s[40:41], -1
.LBB741_119:
	s_and_b64 s[4:5], s[0:1], exec
.LBB741_120:
	s_or_b64 exec, exec, s[14:15]
	v_add_u32_e32 v14, 2, v1
	v_cmp_gt_u32_e32 vcc, s48, v14
	s_mov_b64 s[14:15], 0
	s_mov_b64 s[40:41], 0
	s_and_saveexec_b64 s[42:43], vcc
	s_cbranch_execz .LBB741_126
; %bb.121:
	s_andn2_b64 vcc, exec, s[6:7]
	s_mov_b64 s[0:1], 0
	s_cbranch_vccnz .LBB741_125
; %bb.122:
	v_mul_lo_u32 v16, v9, s26
	v_mul_lo_u32 v17, v8, s27
	v_mad_u64_u32 v[14:15], s[0:1], v8, s26, 0
	v_add3_u32 v15, v15, v17, v16
	v_mul_lo_u32 v18, v3, s26
	v_mul_lo_u32 v19, v2, s27
	v_mad_u64_u32 v[16:17], s[0:1], v2, s26, 0
	v_add3_u32 v17, v17, v19, v18
	s_add_u32 s46, s26, -1
	v_lshl_add_u64 v[14:15], v[14:15], 1, s[36:37]
	v_lshl_add_u64 v[16:17], v[16:17], 1, s[36:37]
	s_addc_u32 s47, s27, -1
                                        ; implicit-def: $sgpr44_sgpr45
.LBB741_123:                            ; =>This Inner Loop Header: Depth=1
	global_load_ushort v18, v[14:15], off
	global_load_ushort v19, v[16:17], off
	s_add_u32 s0, s46, -1
	s_addc_u32 s1, s47, -1
	s_cmp_eq_u64 s[46:47], 0
	s_mov_b64 s[46:47], s[0:1]
	s_cselect_b64 s[50:51], -1, 0
	v_lshl_add_u64 v[14:15], v[14:15], 0, 2
	v_lshl_add_u64 v[16:17], v[16:17], 0, 2
	s_waitcnt vmcnt(0)
	v_cmp_ne_u16_e64 s[0:1], v18, v19
	s_or_b64 s[0:1], s[0:1], s[50:51]
	s_and_b64 s[0:1], exec, s[0:1]
	v_cmp_eq_u16_e32 vcc, v18, v19
	s_or_b64 s[40:41], s[0:1], s[40:41]
	s_andn2_b64 s[0:1], s[44:45], exec
	s_and_b64 s[44:45], vcc, exec
	s_or_b64 s[44:45], s[0:1], s[44:45]
	s_andn2_b64 exec, exec, s[40:41]
	s_cbranch_execnz .LBB741_123
; %bb.124:
	s_or_b64 exec, exec, s[40:41]
	s_xor_b64 s[0:1], s[44:45], -1
.LBB741_125:
	s_and_b64 s[40:41], s[0:1], exec
.LBB741_126:
	s_or_b64 exec, exec, s[42:43]
	v_add_u32_e32 v14, 1, v1
	v_cmp_gt_u32_e32 vcc, s48, v14
	s_and_saveexec_b64 s[42:43], vcc
	s_cbranch_execz .LBB741_132
; %bb.127:
	s_andn2_b64 vcc, exec, s[6:7]
	s_mov_b64 s[0:1], 0
	s_cbranch_vccnz .LBB741_131
; %bb.128:
	v_mul_lo_u32 v16, v7, s26
	v_mul_lo_u32 v17, v6, s27
	v_mad_u64_u32 v[14:15], s[0:1], v6, s26, 0
	v_add3_u32 v15, v15, v17, v16
	v_mul_lo_u32 v18, v9, s26
	v_mul_lo_u32 v19, v8, s27
	v_mad_u64_u32 v[16:17], s[0:1], v8, s26, 0
	v_add3_u32 v17, v17, v19, v18
	s_add_u32 s46, s26, -1
	v_lshl_add_u64 v[14:15], v[14:15], 1, s[36:37]
	v_lshl_add_u64 v[16:17], v[16:17], 1, s[36:37]
	s_addc_u32 s47, s27, -1
	s_mov_b64 s[14:15], 0
                                        ; implicit-def: $sgpr44_sgpr45
.LBB741_129:                            ; =>This Inner Loop Header: Depth=1
	global_load_ushort v18, v[14:15], off
	global_load_ushort v19, v[16:17], off
	s_add_u32 s0, s46, -1
	s_addc_u32 s1, s47, -1
	s_cmp_eq_u64 s[46:47], 0
	s_mov_b64 s[46:47], s[0:1]
	s_cselect_b64 s[50:51], -1, 0
	v_lshl_add_u64 v[14:15], v[14:15], 0, 2
	v_lshl_add_u64 v[16:17], v[16:17], 0, 2
	s_waitcnt vmcnt(0)
	v_cmp_ne_u16_e64 s[0:1], v18, v19
	s_or_b64 s[0:1], s[0:1], s[50:51]
	s_and_b64 s[0:1], exec, s[0:1]
	v_cmp_eq_u16_e32 vcc, v18, v19
	s_or_b64 s[14:15], s[0:1], s[14:15]
	s_andn2_b64 s[0:1], s[44:45], exec
	s_and_b64 s[44:45], vcc, exec
	s_or_b64 s[44:45], s[0:1], s[44:45]
	s_andn2_b64 exec, exec, s[14:15]
	s_cbranch_execnz .LBB741_129
; %bb.130:
	s_or_b64 exec, exec, s[14:15]
	s_xor_b64 s[0:1], s[44:45], -1
.LBB741_131:
	s_and_b64 s[14:15], s[0:1], exec
.LBB741_132:
	s_or_b64 exec, exec, s[42:43]
	v_cndmask_b32_e64 v33, 0, 1, s[12:13]
	v_cndmask_b32_e64 v34, 0, 1, s[40:41]
	;; [unrolled: 1-line block ×4, first 2 shown]
	v_mov_b32_e32 v16, 1
	s_waitcnt lgkmcnt(0)
	s_barrier
                                        ; implicit-def: $sgpr0_sgpr1
                                        ; implicit-def: $vgpr17
	s_and_saveexec_b64 s[4:5], s[2:3]
	s_cbranch_execz .LBB741_140
; %bb.133:
	v_lshlrev_b16_e32 v15, 8, v35
	v_lshlrev_b16_e32 v17, 8, v14
	v_or_b32_e32 v15, 1, v15
	v_or_b32_sdwa v17, v34, v17 dst_sel:WORD_1 dst_unused:UNUSED_PAD src0_sel:DWORD src1_sel:DWORD
	v_cmp_gt_u32_e32 vcc, s48, v1
	v_or_b32_sdwa v15, v15, v17 dst_sel:DWORD dst_unused:UNUSED_PAD src0_sel:WORD_0 src1_sel:DWORD
	s_mov_b32 s40, 0x3020104
	s_mov_b64 s[0:1], 0
	s_and_saveexec_b64 s[2:3], vcc
	s_cbranch_execz .LBB741_139
; %bb.134:
	s_andn2_b64 vcc, exec, s[6:7]
	s_cbranch_vccnz .LBB741_138
; %bb.135:
	v_add_u32_e32 v17, -8, v22
	ds_read_b64 v[18:19], v17
	v_mul_lo_u32 v17, v7, s26
	v_mul_lo_u32 v22, v6, s27
	s_add_u32 s14, s26, -1
	s_addc_u32 s15, s27, -1
	s_waitcnt lgkmcnt(0)
	v_mul_lo_u32 v20, v19, s26
	v_mul_lo_u32 v21, v18, s27
	v_mad_u64_u32 v[18:19], s[0:1], v18, s26, 0
	v_add3_u32 v19, v19, v21, v20
	v_mad_u64_u32 v[20:21], s[0:1], v6, s26, 0
	v_add3_u32 v21, v21, v22, v17
	v_lshl_add_u64 v[18:19], v[18:19], 1, s[36:37]
	v_lshl_add_u64 v[20:21], v[20:21], 1, s[36:37]
	s_mov_b64 s[6:7], 0
                                        ; implicit-def: $sgpr12_sgpr13
.LBB741_136:                            ; =>This Inner Loop Header: Depth=1
	global_load_ushort v17, v[18:19], off
	global_load_ushort v22, v[20:21], off
	s_add_u32 s0, s14, -1
	s_addc_u32 s1, s15, -1
	s_cmp_eq_u64 s[14:15], 0
	s_mov_b64 s[14:15], s[0:1]
	s_cselect_b64 s[26:27], -1, 0
	v_lshl_add_u64 v[18:19], v[18:19], 0, 2
	v_lshl_add_u64 v[20:21], v[20:21], 0, 2
	s_waitcnt vmcnt(0)
	v_cmp_ne_u16_e64 s[0:1], v17, v22
	s_or_b64 s[0:1], s[0:1], s[26:27]
	s_and_b64 s[0:1], exec, s[0:1]
	v_cmp_eq_u16_e32 vcc, v17, v22
	s_or_b64 s[6:7], s[0:1], s[6:7]
	s_andn2_b64 s[0:1], s[12:13], exec
	s_and_b64 s[12:13], vcc, exec
	s_or_b64 s[12:13], s[0:1], s[12:13]
	s_andn2_b64 exec, exec, s[6:7]
	s_cbranch_execnz .LBB741_136
; %bb.137:
	s_or_b64 exec, exec, s[6:7]
	s_xor_b64 s[0:1], s[12:13], -1
.LBB741_138:
	s_and_b64 s[0:1], s[0:1], exec
.LBB741_139:
	s_or_b64 exec, exec, s[2:3]
	v_perm_b32 v17, v15, v15, s40
	s_or_b64 s[10:11], s[10:11], exec
.LBB741_140:
	s_or_b64 exec, exec, s[4:5]
.LBB741_141:
	s_and_saveexec_b64 s[2:3], s[10:11]
	s_cbranch_execz .LBB741_143
; %bb.142:
	s_waitcnt vmcnt(0) lgkmcnt(0)
	v_lshrrev_b32_e32 v14, 24, v17
	v_lshrrev_b32_e32 v34, 16, v17
	;; [unrolled: 1-line block ×3, first 2 shown]
	v_cndmask_b32_e64 v16, 0, 1, s[0:1]
.LBB741_143:
	s_or_b64 exec, exec, s[2:3]
	s_andn2_b64 vcc, exec, s[8:9]
	s_cbranch_vccnz .LBB741_147
; %bb.144:
	s_mov_b32 s0, 0xc0c0004
	s_waitcnt vmcnt(0) lgkmcnt(0)
	v_perm_b32 v14, v34, v14, s0
	v_perm_b32 v15, v16, v35, s0
	v_lshlrev_b32_e32 v14, 16, v14
	v_or_b32_e32 v15, v15, v14
	v_cmp_gt_u32_e32 vcc, s48, v1
	v_add_u32_e32 v16, 1, v1
	s_mov_b32 s0, 0x40c0100
	v_cndmask_b32_e32 v14, v14, v15, vcc
	v_and_b32_e32 v14, 0xffff00ff, v14
	v_cmp_gt_u32_e32 vcc, s48, v16
	v_add_u32_e32 v16, 2, v1
	v_and_b32_e32 v33, 0xff, v33
	v_cndmask_b32_e32 v14, v14, v15, vcc
	v_lshrrev_b32_e32 v18, 24, v14
	v_perm_b32 v14, v18, v14, s0
	v_cmp_gt_u32_e32 vcc, s48, v16
	v_add_u32_e32 v16, 3, v1
	v_and_b32_e32 v17, 0xffff, v33
	v_cndmask_b32_e32 v14, v14, v15, vcc
	v_and_b32_e32 v14, 0xffffff, v14
	v_cmp_gt_u32_e32 vcc, s48, v16
	v_add_u32_e32 v1, 4, v1
	s_nop 0
	v_cndmask_b32_e32 v16, v14, v15, vcc
	v_lshrrev_b32_e32 v34, 16, v16
	v_lshrrev_b32_e32 v35, 8, v16
	v_lshrrev_b64 v[14:15], 24, v[16:17]
	v_cmp_le_u32_e32 vcc, s48, v1
	s_and_saveexec_b64 s[0:1], vcc
; %bb.145:
	v_mov_b32_e32 v33, 0
; %bb.146:
	s_or_b64 exec, exec, s[0:1]
.LBB741_147:
	v_and_b32_e32 v1, 0xff, v16
	s_waitcnt vmcnt(0) lgkmcnt(0)
	v_and_b32_e32 v15, 0xff, v35
	v_and_b32_e32 v17, 0xff, v34
	;; [unrolled: 1-line block ×4, first 2 shown]
	v_add3_u32 v19, v15, v1, v17
	v_add3_u32 v37, v19, v29, v18
	v_mbcnt_lo_u32_b32 v18, -1, 0
	v_mbcnt_hi_u32_b32 v31, -1, v18
	v_and_b32_e32 v18, 15, v31
	v_cmp_eq_u32_e64 s[14:15], 0, v18
	v_cmp_lt_u32_e64 s[12:13], 1, v18
	v_cmp_lt_u32_e64 s[10:11], 3, v18
	;; [unrolled: 1-line block ×3, first 2 shown]
	v_and_b32_e32 v18, 16, v31
	v_cmp_eq_u32_e64 s[6:7], 0, v18
	v_or_b32_e32 v18, 63, v0
	v_cmp_lt_u32_e64 s[2:3], 31, v31
	v_lshrrev_b32_e32 v36, 6, v0
	v_cmp_eq_u32_e64 s[4:5], v0, v18
	s_and_b64 vcc, exec, s[16:17]
	s_barrier
	s_cbranch_vccz .LBB741_169
; %bb.148:
	v_mov_b32_dpp v18, v37 row_shr:1 row_mask:0xf bank_mask:0xf
	v_cndmask_b32_e64 v18, v18, 0, s[14:15]
	v_add_u32_e32 v18, v18, v37
	s_nop 1
	v_mov_b32_dpp v19, v18 row_shr:2 row_mask:0xf bank_mask:0xf
	v_cndmask_b32_e64 v19, 0, v19, s[12:13]
	v_add_u32_e32 v18, v18, v19
	s_nop 1
	;; [unrolled: 4-line block ×4, first 2 shown]
	v_mov_b32_dpp v19, v18 row_bcast:15 row_mask:0xf bank_mask:0xf
	v_cndmask_b32_e64 v19, v19, 0, s[6:7]
	v_add_u32_e32 v18, v18, v19
	s_nop 1
	v_mov_b32_dpp v19, v18 row_bcast:31 row_mask:0xf bank_mask:0xf
	v_cndmask_b32_e64 v19, 0, v19, s[2:3]
	v_add_u32_e32 v18, v18, v19
	s_and_saveexec_b64 s[0:1], s[4:5]
; %bb.149:
	v_lshlrev_b32_e32 v19, 2, v36
	ds_write_b32 v19, v18
; %bb.150:
	s_or_b64 exec, exec, s[0:1]
	v_cmp_gt_u32_e32 vcc, 2, v0
	s_waitcnt lgkmcnt(0)
	s_barrier
	s_and_saveexec_b64 s[0:1], vcc
	s_cbranch_execz .LBB741_152
; %bb.151:
	v_lshlrev_b32_e32 v19, 2, v0
	ds_read_b32 v20, v19
	v_bfe_i32 v21, v31, 0, 1
	s_waitcnt lgkmcnt(0)
	v_mov_b32_dpp v22, v20 row_shr:1 row_mask:0xf bank_mask:0xf
	v_and_b32_e32 v21, v21, v22
	v_add_u32_e32 v20, v21, v20
	ds_write_b32 v19, v20
.LBB741_152:
	s_or_b64 exec, exec, s[0:1]
	v_cmp_gt_u32_e32 vcc, 64, v0
	v_cmp_lt_u32_e64 s[0:1], 63, v0
	s_waitcnt lgkmcnt(0)
	s_barrier
                                        ; implicit-def: $vgpr28
	s_and_saveexec_b64 s[16:17], s[0:1]
	s_cbranch_execz .LBB741_154
; %bb.153:
	v_lshl_add_u32 v19, v36, 2, -4
	ds_read_b32 v28, v19
	s_waitcnt lgkmcnt(0)
	v_add_u32_e32 v18, v28, v18
.LBB741_154:
	s_or_b64 exec, exec, s[16:17]
	v_subrev_co_u32_e64 v19, s[16:17], 1, v31
	v_and_b32_e32 v20, 64, v31
	v_cmp_lt_i32_e64 s[0:1], v19, v20
	s_nop 1
	v_cndmask_b32_e64 v19, v19, v31, s[0:1]
	v_lshlrev_b32_e32 v19, 2, v19
	ds_bpermute_b32 v30, v19, v18
	s_and_saveexec_b64 s[0:1], vcc
	s_cbranch_execz .LBB741_174
; %bb.155:
	v_mov_b32_e32 v25, 0
	ds_read_b32 v18, v25 offset:4
	s_and_saveexec_b64 s[26:27], s[16:17]
	s_cbranch_execz .LBB741_157
; %bb.156:
	s_add_i32 s36, s33, 64
	s_mov_b32 s37, 0
	s_lshl_b64 s[36:37], s[36:37], 3
	s_add_u32 s36, s38, s36
	v_mov_b32_e32 v19, 1
	s_addc_u32 s37, s39, s37
	s_waitcnt lgkmcnt(0)
	global_store_dwordx2 v25, v[18:19], s[36:37] sc1
.LBB741_157:
	s_or_b64 exec, exec, s[26:27]
	v_xad_u32 v20, v31, -1, s33
	v_add_u32_e32 v24, 64, v20
	v_lshl_add_u64 v[26:27], v[24:25], 3, s[38:39]
	global_load_dwordx2 v[22:23], v[26:27], off sc1
	s_waitcnt vmcnt(0)
	v_cmp_eq_u16_sdwa s[36:37], v23, v25 src0_sel:BYTE_0 src1_sel:DWORD
	s_and_saveexec_b64 s[26:27], s[36:37]
	s_cbranch_execz .LBB741_161
; %bb.158:
	s_mov_b64 s[36:37], 0
	v_mov_b32_e32 v19, 0
.LBB741_159:                            ; =>This Inner Loop Header: Depth=1
	global_load_dwordx2 v[22:23], v[26:27], off sc1
	s_waitcnt vmcnt(0)
	v_cmp_ne_u16_sdwa s[40:41], v23, v19 src0_sel:BYTE_0 src1_sel:DWORD
	s_or_b64 s[36:37], s[40:41], s[36:37]
	s_andn2_b64 exec, exec, s[36:37]
	s_cbranch_execnz .LBB741_159
; %bb.160:
	s_or_b64 exec, exec, s[36:37]
.LBB741_161:
	s_or_b64 exec, exec, s[26:27]
	v_and_b32_e32 v39, 63, v31
	v_mov_b32_e32 v38, 2
	v_cmp_ne_u32_e32 vcc, 63, v39
	v_cmp_eq_u16_sdwa s[26:27], v23, v38 src0_sel:BYTE_0 src1_sel:DWORD
	v_lshlrev_b64 v[24:25], v31, -1
	v_addc_co_u32_e32 v26, vcc, 0, v31, vcc
	v_and_b32_e32 v19, s27, v25
	v_lshlrev_b32_e32 v40, 2, v26
	v_or_b32_e32 v19, 0x80000000, v19
	ds_bpermute_b32 v26, v40, v22
	v_and_b32_e32 v21, s26, v24
	v_ffbl_b32_e32 v19, v19
	v_add_u32_e32 v19, 32, v19
	v_ffbl_b32_e32 v21, v21
	v_min_u32_e32 v19, v21, v19
	v_cmp_lt_u32_e32 vcc, v39, v19
	v_add_u32_e32 v42, 2, v39
	v_add_u32_e32 v44, 4, v39
	s_waitcnt lgkmcnt(0)
	v_cndmask_b32_e32 v21, 0, v26, vcc
	v_cmp_gt_u32_e32 vcc, 62, v39
	v_add_u32_e32 v21, v21, v22
	v_add_u32_e32 v46, 8, v39
	v_cndmask_b32_e64 v22, 0, 2, vcc
	v_add_lshl_u32 v41, v22, v31, 2
	ds_bpermute_b32 v22, v41, v21
	v_cmp_le_u32_e32 vcc, v42, v19
	v_add_u32_e32 v48, 16, v39
	v_add_u32_e32 v50, 32, v39
	s_waitcnt lgkmcnt(0)
	v_cndmask_b32_e32 v22, 0, v22, vcc
	v_cmp_gt_u32_e32 vcc, 60, v39
	v_add_u32_e32 v21, v21, v22
	s_nop 0
	v_cndmask_b32_e64 v22, 0, 4, vcc
	v_add_lshl_u32 v43, v22, v31, 2
	ds_bpermute_b32 v22, v43, v21
	v_cmp_le_u32_e32 vcc, v44, v19
	s_waitcnt lgkmcnt(0)
	s_nop 0
	v_cndmask_b32_e32 v22, 0, v22, vcc
	v_cmp_gt_u32_e32 vcc, 56, v39
	v_add_u32_e32 v21, v21, v22
	s_nop 0
	v_cndmask_b32_e64 v22, 0, 8, vcc
	v_add_lshl_u32 v45, v22, v31, 2
	ds_bpermute_b32 v22, v45, v21
	v_cmp_le_u32_e32 vcc, v46, v19
	s_waitcnt lgkmcnt(0)
	s_nop 0
	;; [unrolled: 10-line block ×3, first 2 shown]
	v_cndmask_b32_e32 v22, 0, v22, vcc
	v_add_u32_e32 v21, v21, v22
	v_mov_b32_e32 v22, 0x80
	v_lshl_or_b32 v49, v31, 2, v22
	ds_bpermute_b32 v22, v49, v21
	v_cmp_le_u32_e32 vcc, v50, v19
	s_waitcnt lgkmcnt(0)
	s_nop 0
	v_cndmask_b32_e32 v19, 0, v22, vcc
	v_add_u32_e32 v22, v21, v19
	v_mov_b32_e32 v21, 0
	s_branch .LBB741_164
.LBB741_162:                            ;   in Loop: Header=BB741_164 Depth=1
	s_or_b64 exec, exec, s[26:27]
	v_cmp_eq_u16_sdwa s[26:27], v23, v38 src0_sel:BYTE_0 src1_sel:DWORD
	ds_bpermute_b32 v51, v40, v22
	v_subrev_u32_e32 v20, 64, v20
	v_and_b32_e32 v26, s27, v25
	v_or_b32_e32 v26, 0x80000000, v26
	v_and_b32_e32 v27, s26, v24
	v_ffbl_b32_e32 v26, v26
	v_add_u32_e32 v26, 32, v26
	v_ffbl_b32_e32 v27, v27
	v_min_u32_e32 v26, v27, v26
	v_cmp_lt_u32_e32 vcc, v39, v26
	s_mov_b64 s[26:27], 0
	s_waitcnt lgkmcnt(0)
	v_cndmask_b32_e32 v27, 0, v51, vcc
	v_add_u32_e32 v22, v27, v22
	ds_bpermute_b32 v27, v41, v22
	v_cmp_le_u32_e32 vcc, v42, v26
	s_waitcnt lgkmcnt(0)
	s_nop 0
	v_cndmask_b32_e32 v27, 0, v27, vcc
	v_add_u32_e32 v22, v22, v27
	ds_bpermute_b32 v27, v43, v22
	v_cmp_le_u32_e32 vcc, v44, v26
	s_waitcnt lgkmcnt(0)
	s_nop 0
	;; [unrolled: 6-line block ×5, first 2 shown]
	v_cndmask_b32_e32 v26, 0, v27, vcc
	v_add3_u32 v22, v26, v19, v22
.LBB741_163:                            ;   in Loop: Header=BB741_164 Depth=1
	s_and_b64 vcc, exec, s[26:27]
	s_cbranch_vccnz .LBB741_170
.LBB741_164:                            ; =>This Loop Header: Depth=1
                                        ;     Child Loop BB741_167 Depth 2
	v_cmp_ne_u16_sdwa s[26:27], v23, v38 src0_sel:BYTE_0 src1_sel:DWORD
	v_mov_b32_e32 v19, v22
	s_cmp_lg_u64 s[26:27], exec
	s_mov_b64 s[26:27], -1
                                        ; implicit-def: $vgpr22
                                        ; implicit-def: $vgpr23
	s_cbranch_scc1 .LBB741_163
; %bb.165:                              ;   in Loop: Header=BB741_164 Depth=1
	v_lshl_add_u64 v[26:27], v[20:21], 3, s[38:39]
	global_load_dwordx2 v[22:23], v[26:27], off sc1
	s_waitcnt vmcnt(0)
	v_cmp_eq_u16_sdwa s[36:37], v23, v21 src0_sel:BYTE_0 src1_sel:DWORD
	s_and_saveexec_b64 s[26:27], s[36:37]
	s_cbranch_execz .LBB741_162
; %bb.166:                              ;   in Loop: Header=BB741_164 Depth=1
	s_mov_b64 s[36:37], 0
.LBB741_167:                            ;   Parent Loop BB741_164 Depth=1
                                        ; =>  This Inner Loop Header: Depth=2
	global_load_dwordx2 v[22:23], v[26:27], off sc1
	s_waitcnt vmcnt(0)
	v_cmp_ne_u16_sdwa s[40:41], v23, v21 src0_sel:BYTE_0 src1_sel:DWORD
	s_or_b64 s[36:37], s[40:41], s[36:37]
	s_andn2_b64 exec, exec, s[36:37]
	s_cbranch_execnz .LBB741_167
; %bb.168:                              ;   in Loop: Header=BB741_164 Depth=1
	s_or_b64 exec, exec, s[36:37]
	s_branch .LBB741_162
.LBB741_169:
                                        ; implicit-def: $vgpr22
                                        ; implicit-def: $vgpr24
                                        ; implicit-def: $vgpr26
                                        ; implicit-def: $vgpr28
                                        ; implicit-def: $vgpr30
                                        ; implicit-def: $vgpr20
                                        ; implicit-def: $vgpr18
	s_cbranch_execnz .LBB741_175
	s_branch .LBB741_184
.LBB741_170:
	s_and_saveexec_b64 s[26:27], s[16:17]
	s_cbranch_execz .LBB741_172
; %bb.171:
	s_add_i32 s36, s33, 64
	s_mov_b32 s37, 0
	s_lshl_b64 s[36:37], s[36:37], 3
	s_add_u32 s36, s38, s36
	v_add_u32_e32 v20, v19, v18
	v_mov_b32_e32 v21, 2
	s_addc_u32 s37, s39, s37
	v_mov_b32_e32 v22, 0
	global_store_dwordx2 v22, v[20:21], s[36:37] sc1
	ds_write_b64 v22, v[18:19] offset:5120
.LBB741_172:
	s_or_b64 exec, exec, s[26:27]
	s_and_b64 exec, exec, s[18:19]
; %bb.173:
	v_mov_b32_e32 v18, 0
	ds_write_b32 v18, v19 offset:4
.LBB741_174:
	s_or_b64 exec, exec, s[0:1]
	v_mov_b32_e32 v18, 0
	s_waitcnt lgkmcnt(0)
	s_barrier
	ds_read_b32 v19, v18 offset:4
	v_cndmask_b32_e64 v20, v30, v28, s[16:17]
	v_cndmask_b32_e64 v20, v20, 0, s[18:19]
	s_waitcnt lgkmcnt(0)
	s_barrier
	v_add_u32_e32 v30, v19, v20
	ds_read_b64 v[18:19], v18 offset:5120
	v_add_u32_e32 v28, v30, v1
	v_add_u32_e32 v26, v28, v15
	;; [unrolled: 1-line block ×4, first 2 shown]
	s_waitcnt lgkmcnt(0)
	v_mov_b32_e32 v20, v19
	s_branch .LBB741_184
.LBB741_175:
	v_mov_b32_dpp v18, v37 row_shr:1 row_mask:0xf bank_mask:0xf
	v_cndmask_b32_e64 v18, v18, 0, s[14:15]
	v_add_u32_e32 v18, v18, v37
	s_nop 1
	v_mov_b32_dpp v19, v18 row_shr:2 row_mask:0xf bank_mask:0xf
	v_cndmask_b32_e64 v19, 0, v19, s[12:13]
	v_add_u32_e32 v18, v18, v19
	s_nop 1
	;; [unrolled: 4-line block ×4, first 2 shown]
	v_mov_b32_dpp v19, v18 row_bcast:15 row_mask:0xf bank_mask:0xf
	v_cndmask_b32_e64 v19, v19, 0, s[6:7]
	v_add_u32_e32 v18, v18, v19
	s_nop 1
	v_mov_b32_dpp v19, v18 row_bcast:31 row_mask:0xf bank_mask:0xf
	v_cndmask_b32_e64 v19, 0, v19, s[2:3]
	v_add_u32_e32 v18, v18, v19
	s_and_saveexec_b64 s[0:1], s[4:5]
; %bb.176:
	v_lshlrev_b32_e32 v19, 2, v36
	ds_write_b32 v19, v18
; %bb.177:
	s_or_b64 exec, exec, s[0:1]
	v_cmp_gt_u32_e32 vcc, 2, v0
	s_waitcnt lgkmcnt(0)
	s_barrier
	s_and_saveexec_b64 s[0:1], vcc
	s_cbranch_execz .LBB741_179
; %bb.178:
	v_lshlrev_b32_e32 v19, 2, v0
	ds_read_b32 v20, v19
	v_bfe_i32 v21, v31, 0, 1
	s_waitcnt lgkmcnt(0)
	v_mov_b32_dpp v22, v20 row_shr:1 row_mask:0xf bank_mask:0xf
	v_and_b32_e32 v21, v21, v22
	v_add_u32_e32 v20, v21, v20
	ds_write_b32 v19, v20
.LBB741_179:
	s_or_b64 exec, exec, s[0:1]
	v_cmp_lt_u32_e32 vcc, 63, v0
	v_mov_b32_e32 v19, 0
	v_mov_b32_e32 v20, 0
	s_waitcnt lgkmcnt(0)
	s_barrier
	s_and_saveexec_b64 s[0:1], vcc
; %bb.180:
	v_lshl_add_u32 v20, v36, 2, -4
	ds_read_b32 v20, v20
; %bb.181:
	s_or_b64 exec, exec, s[0:1]
	v_subrev_co_u32_e32 v21, vcc, 1, v31
	v_and_b32_e32 v22, 64, v31
	v_cmp_lt_i32_e64 s[0:1], v21, v22
	s_waitcnt lgkmcnt(0)
	v_add_u32_e32 v18, v20, v18
	v_cndmask_b32_e64 v21, v21, v31, s[0:1]
	v_lshlrev_b32_e32 v21, 2, v21
	ds_bpermute_b32 v21, v21, v18
	ds_read_b32 v18, v19 offset:4
	s_and_saveexec_b64 s[0:1], s[18:19]
	s_cbranch_execz .LBB741_183
; %bb.182:
	v_mov_b32_e32 v22, 0
	v_mov_b32_e32 v19, 2
	s_waitcnt lgkmcnt(0)
	global_store_dwordx2 v22, v[18:19], s[38:39] offset:512 sc1
.LBB741_183:
	s_or_b64 exec, exec, s[0:1]
	s_waitcnt lgkmcnt(1)
	v_cndmask_b32_e32 v19, v21, v20, vcc
	v_cndmask_b32_e64 v30, v19, 0, s[18:19]
	v_add_u32_e32 v28, v30, v1
	v_add_u32_e32 v26, v28, v15
	v_add_u32_e32 v24, v26, v17
	v_add_u32_e32 v22, v24, v29
	s_waitcnt lgkmcnt(0)
	s_barrier
	v_mov_b32_e32 v20, 0
.LBB741_184:
	s_movk_i32 s0, 0x81
	v_cmp_gt_u32_e64 s[2:3], s0, v18
	v_add_u32_e32 v15, v20, v18
	v_and_b32_e32 v1, 1, v16
	s_mov_b64 s[6:7], -1
	s_and_b64 vcc, exec, s[2:3]
	v_cmp_lt_u32_e64 s[0:1], v30, v15
	v_cmp_eq_u32_e64 s[4:5], 1, v1
	s_cbranch_vccz .LBB741_196
; %bb.185:
	s_or_b64 s[0:1], s[34:35], s[0:1]
	s_and_b64 s[4:5], s[0:1], s[4:5]
	s_and_saveexec_b64 s[0:1], s[4:5]
	s_cbranch_execz .LBB741_187
; %bb.186:
	s_lshl_b64 s[4:5], s[22:23], 3
	s_add_u32 s4, s28, s4
	s_addc_u32 s5, s29, s5
	v_mov_b32_e32 v31, 0
	v_lshl_add_u64 v[16:17], v[30:31], 3, s[4:5]
	global_store_dwordx2 v[16:17], v[6:7], off
.LBB741_187:
	s_or_b64 exec, exec, s[0:1]
	v_cmp_lt_u32_e32 vcc, v28, v15
	v_and_b32_e32 v16, 1, v35
	s_or_b64 s[0:1], s[34:35], vcc
	v_cmp_eq_u32_e32 vcc, 1, v16
	s_and_b64 s[4:5], s[0:1], vcc
	s_and_saveexec_b64 s[0:1], s[4:5]
	s_cbranch_execz .LBB741_189
; %bb.188:
	s_lshl_b64 s[4:5], s[22:23], 3
	s_add_u32 s4, s28, s4
	s_addc_u32 s5, s29, s5
	v_mov_b32_e32 v29, 0
	v_lshl_add_u64 v[16:17], v[28:29], 3, s[4:5]
	global_store_dwordx2 v[16:17], v[8:9], off
.LBB741_189:
	s_or_b64 exec, exec, s[0:1]
	v_cmp_lt_u32_e32 vcc, v26, v15
	v_and_b32_e32 v16, 1, v34
	s_or_b64 s[0:1], s[34:35], vcc
	v_cmp_eq_u32_e32 vcc, 1, v16
	s_and_b64 s[4:5], s[0:1], vcc
	;; [unrolled: 16-line block ×4, first 2 shown]
	s_and_saveexec_b64 s[0:1], s[4:5]
	s_cbranch_execz .LBB741_195
; %bb.194:
	s_lshl_b64 s[4:5], s[22:23], 3
	s_add_u32 s4, s28, s4
	s_addc_u32 s5, s29, s5
	v_mov_b32_e32 v23, 0
	v_lshl_add_u64 v[16:17], v[22:23], 3, s[4:5]
	global_store_dwordx2 v[16:17], v[12:13], off
.LBB741_195:
	s_or_b64 exec, exec, s[0:1]
	s_mov_b64 s[6:7], 0
.LBB741_196:
	s_and_b64 vcc, exec, s[6:7]
	s_cbranch_vccz .LBB741_210
; %bb.197:
	v_cmp_eq_u32_e32 vcc, 1, v1
	s_and_saveexec_b64 s[0:1], vcc
; %bb.198:
	v_sub_u32_e32 v16, v30, v20
	v_lshlrev_b32_e32 v16, 3, v16
	ds_write_b64 v16, v[6:7]
; %bb.199:
	s_or_b64 exec, exec, s[0:1]
	v_and_b32_e32 v6, 1, v35
	v_cmp_eq_u32_e32 vcc, 1, v6
	s_and_saveexec_b64 s[0:1], vcc
; %bb.200:
	v_sub_u32_e32 v6, v28, v20
	v_lshlrev_b32_e32 v6, 3, v6
	ds_write_b64 v6, v[8:9]
; %bb.201:
	s_or_b64 exec, exec, s[0:1]
	v_and_b32_e32 v6, 1, v34
	;; [unrolled: 9-line block ×4, first 2 shown]
	v_cmp_eq_u32_e32 vcc, 1, v2
	s_and_saveexec_b64 s[0:1], vcc
; %bb.206:
	v_sub_u32_e32 v2, v22, v20
	v_lshlrev_b32_e32 v2, 3, v2
	ds_write_b64 v2, v[12:13]
; %bb.207:
	s_or_b64 exec, exec, s[0:1]
	v_mov_b32_e32 v3, 0
	v_mov_b32_e32 v21, v3
	v_lshlrev_b64 v[4:5], 3, v[20:21]
	v_lshl_add_u64 v[4:5], s[28:29], 0, v[4:5]
	s_lshl_b64 s[0:1], s[22:23], 3
	v_lshl_add_u64 v[4:5], v[4:5], 0, s[0:1]
	v_lshlrev_b32_e32 v6, 3, v0
	s_mov_b64 s[0:1], 0
	v_mov_b32_e32 v2, v0
	s_waitcnt lgkmcnt(0)
	s_barrier
.LBB741_208:                            ; =>This Inner Loop Header: Depth=1
	ds_read_b64 v[8:9], v6
	v_lshl_add_u64 v[12:13], v[2:3], 3, v[4:5]
	v_add_u32_e32 v2, 0x80, v2
	v_cmp_ge_u32_e32 vcc, v2, v18
	v_add_u32_e32 v6, 0x400, v6
	s_or_b64 s[0:1], vcc, s[0:1]
	s_waitcnt lgkmcnt(0)
	global_store_dwordx2 v[12:13], v[8:9], off
	s_andn2_b64 exec, exec, s[0:1]
	s_cbranch_execnz .LBB741_208
; %bb.209:
	s_or_b64 exec, exec, s[0:1]
.LBB741_210:
	s_mov_b64 s[0:1], -1
	s_and_b64 vcc, exec, s[2:3]
	s_barrier
	s_cbranch_vccnz .LBB741_214
; %bb.211:
	s_and_b64 vcc, exec, s[0:1]
	s_cbranch_vccnz .LBB741_225
.LBB741_212:
	s_and_b64 s[0:1], s[18:19], s[24:25]
	s_and_saveexec_b64 s[2:3], s[0:1]
	s_cbranch_execnz .LBB741_238
.LBB741_213:
	s_endpgm
.LBB741_214:
	v_cmp_lt_u32_e32 vcc, v30, v15
	s_or_b64 s[0:1], s[34:35], vcc
	v_cmp_eq_u32_e32 vcc, 1, v1
	s_and_b64 s[2:3], s[0:1], vcc
	s_and_saveexec_b64 s[0:1], s[2:3]
	s_cbranch_execz .LBB741_216
; %bb.215:
	s_lshl_b64 s[2:3], s[22:23], 3
	s_add_u32 s2, s30, s2
	s_addc_u32 s3, s31, s3
	v_mov_b32_e32 v31, 0
	v_lshl_add_u64 v[2:3], v[30:31], 3, s[2:3]
	global_store_dwordx2 v[2:3], v[56:57], off
.LBB741_216:
	s_or_b64 exec, exec, s[0:1]
	v_cmp_lt_u32_e32 vcc, v28, v15
	v_and_b32_e32 v2, 1, v35
	s_or_b64 s[0:1], s[34:35], vcc
	v_cmp_eq_u32_e32 vcc, 1, v2
	s_and_b64 s[2:3], s[0:1], vcc
	s_and_saveexec_b64 s[0:1], s[2:3]
	s_cbranch_execz .LBB741_218
; %bb.217:
	s_lshl_b64 s[2:3], s[22:23], 3
	s_add_u32 s2, s30, s2
	s_addc_u32 s3, s31, s3
	v_mov_b32_e32 v29, 0
	v_lshl_add_u64 v[2:3], v[28:29], 3, s[2:3]
	global_store_dwordx2 v[2:3], v[58:59], off
.LBB741_218:
	s_or_b64 exec, exec, s[0:1]
	v_cmp_lt_u32_e32 vcc, v26, v15
	v_and_b32_e32 v2, 1, v34
	;; [unrolled: 16-line block ×4, first 2 shown]
	s_or_b64 s[0:1], s[34:35], vcc
	v_cmp_eq_u32_e32 vcc, 1, v2
	s_and_b64 s[2:3], s[0:1], vcc
	s_and_saveexec_b64 s[0:1], s[2:3]
	s_cbranch_execz .LBB741_224
; %bb.223:
	s_lshl_b64 s[2:3], s[22:23], 3
	s_add_u32 s2, s30, s2
	s_addc_u32 s3, s31, s3
	v_mov_b32_e32 v23, 0
	v_lshl_add_u64 v[2:3], v[22:23], 3, s[2:3]
	global_store_dwordx2 v[2:3], v[10:11], off
.LBB741_224:
	s_or_b64 exec, exec, s[0:1]
	s_branch .LBB741_212
.LBB741_225:
	v_cmp_eq_u32_e32 vcc, 1, v1
	s_and_saveexec_b64 s[0:1], vcc
; %bb.226:
	v_sub_u32_e32 v1, v30, v20
	v_lshlrev_b32_e32 v1, 3, v1
	ds_write_b64 v1, v[56:57]
; %bb.227:
	s_or_b64 exec, exec, s[0:1]
	v_and_b32_e32 v1, 1, v35
	v_cmp_eq_u32_e32 vcc, 1, v1
	s_and_saveexec_b64 s[0:1], vcc
; %bb.228:
	v_sub_u32_e32 v1, v28, v20
	v_lshlrev_b32_e32 v1, 3, v1
	ds_write_b64 v1, v[58:59]
; %bb.229:
	s_or_b64 exec, exec, s[0:1]
	v_and_b32_e32 v1, 1, v34
	;; [unrolled: 9-line block ×4, first 2 shown]
	v_cmp_eq_u32_e32 vcc, 1, v1
	s_and_saveexec_b64 s[0:1], vcc
; %bb.234:
	v_sub_u32_e32 v1, v22, v20
	v_lshlrev_b32_e32 v1, 3, v1
	ds_write_b64 v1, v[10:11]
; %bb.235:
	s_or_b64 exec, exec, s[0:1]
	v_mov_b32_e32 v1, 0
	v_mov_b32_e32 v21, v1
	v_lshlrev_b64 v[2:3], 3, v[20:21]
	v_lshl_add_u64 v[2:3], s[30:31], 0, v[2:3]
	s_lshl_b64 s[0:1], s[22:23], 3
	v_lshl_add_u64 v[2:3], v[2:3], 0, s[0:1]
	s_mov_b64 s[0:1], 0
	s_waitcnt lgkmcnt(0)
	s_barrier
.LBB741_236:                            ; =>This Inner Loop Header: Depth=1
	ds_read_b64 v[4:5], v32
	v_lshl_add_u64 v[6:7], v[0:1], 3, v[2:3]
	v_add_u32_e32 v0, 0x80, v0
	v_cmp_ge_u32_e32 vcc, v0, v18
	v_add_u32_e32 v32, 0x400, v32
	s_or_b64 s[0:1], vcc, s[0:1]
	s_waitcnt lgkmcnt(0)
	global_store_dwordx2 v[6:7], v[4:5], off
	s_andn2_b64 exec, exec, s[0:1]
	s_cbranch_execnz .LBB741_236
; %bb.237:
	s_or_b64 exec, exec, s[0:1]
	s_and_b64 s[0:1], s[18:19], s[24:25]
	s_and_saveexec_b64 s[2:3], s[0:1]
	s_cbranch_execz .LBB741_213
.LBB741_238:
	v_mov_b32_e32 v19, 0
	v_lshl_add_u64 v[0:1], s[22:23], 0, v[18:19]
	v_mov_b32_e32 v21, v19
	v_lshl_add_u64 v[0:1], v[0:1], 0, v[20:21]
	global_store_dwordx2 v19, v[0:1], s[20:21]
	s_endpgm
	.section	.rodata,"a",@progbits
	.p2align	6, 0x0
	.amdhsa_kernel _ZN7rocprim17ROCPRIM_400000_NS6detail17trampoline_kernelINS0_14default_configENS1_25partition_config_selectorILNS1_17partition_subalgoE9EllbEEZZNS1_14partition_implILS5_9ELb0ES3_jPlS8_PNS0_10empty_typeENS0_5tupleIJS8_S9_EEENSB_IJS8_SA_EEENS0_18inequality_wrapperIZN2at6native12_GLOBAL__N_124unique_dim_cuda_templateIsEESt5tupleIJNSF_6TensorESK_SK_EERKSK_lbbbEUlllE0_EEPmJS9_EEE10hipError_tPvRmT3_T4_T5_T6_T7_T9_mT8_P12ihipStream_tbDpT10_ENKUlT_T0_E_clISt17integral_constantIbLb0EES19_IbLb1EEEEDaS15_S16_EUlS15_E_NS1_11comp_targetILNS1_3genE0ELNS1_11target_archE4294967295ELNS1_3gpuE0ELNS1_3repE0EEENS1_30default_config_static_selectorELNS0_4arch9wavefront6targetE1EEEvT1_
		.amdhsa_group_segment_fixed_size 5128
		.amdhsa_private_segment_fixed_size 0
		.amdhsa_kernarg_size 136
		.amdhsa_user_sgpr_count 2
		.amdhsa_user_sgpr_dispatch_ptr 0
		.amdhsa_user_sgpr_queue_ptr 0
		.amdhsa_user_sgpr_kernarg_segment_ptr 1
		.amdhsa_user_sgpr_dispatch_id 0
		.amdhsa_user_sgpr_kernarg_preload_length 0
		.amdhsa_user_sgpr_kernarg_preload_offset 0
		.amdhsa_user_sgpr_private_segment_size 0
		.amdhsa_uses_dynamic_stack 0
		.amdhsa_enable_private_segment 0
		.amdhsa_system_sgpr_workgroup_id_x 1
		.amdhsa_system_sgpr_workgroup_id_y 0
		.amdhsa_system_sgpr_workgroup_id_z 0
		.amdhsa_system_sgpr_workgroup_info 0
		.amdhsa_system_vgpr_workitem_id 0
		.amdhsa_next_free_vgpr 60
		.amdhsa_next_free_sgpr 52
		.amdhsa_accum_offset 60
		.amdhsa_reserve_vcc 1
		.amdhsa_float_round_mode_32 0
		.amdhsa_float_round_mode_16_64 0
		.amdhsa_float_denorm_mode_32 3
		.amdhsa_float_denorm_mode_16_64 3
		.amdhsa_dx10_clamp 1
		.amdhsa_ieee_mode 1
		.amdhsa_fp16_overflow 0
		.amdhsa_tg_split 0
		.amdhsa_exception_fp_ieee_invalid_op 0
		.amdhsa_exception_fp_denorm_src 0
		.amdhsa_exception_fp_ieee_div_zero 0
		.amdhsa_exception_fp_ieee_overflow 0
		.amdhsa_exception_fp_ieee_underflow 0
		.amdhsa_exception_fp_ieee_inexact 0
		.amdhsa_exception_int_div_zero 0
	.end_amdhsa_kernel
	.section	.text._ZN7rocprim17ROCPRIM_400000_NS6detail17trampoline_kernelINS0_14default_configENS1_25partition_config_selectorILNS1_17partition_subalgoE9EllbEEZZNS1_14partition_implILS5_9ELb0ES3_jPlS8_PNS0_10empty_typeENS0_5tupleIJS8_S9_EEENSB_IJS8_SA_EEENS0_18inequality_wrapperIZN2at6native12_GLOBAL__N_124unique_dim_cuda_templateIsEESt5tupleIJNSF_6TensorESK_SK_EERKSK_lbbbEUlllE0_EEPmJS9_EEE10hipError_tPvRmT3_T4_T5_T6_T7_T9_mT8_P12ihipStream_tbDpT10_ENKUlT_T0_E_clISt17integral_constantIbLb0EES19_IbLb1EEEEDaS15_S16_EUlS15_E_NS1_11comp_targetILNS1_3genE0ELNS1_11target_archE4294967295ELNS1_3gpuE0ELNS1_3repE0EEENS1_30default_config_static_selectorELNS0_4arch9wavefront6targetE1EEEvT1_,"axG",@progbits,_ZN7rocprim17ROCPRIM_400000_NS6detail17trampoline_kernelINS0_14default_configENS1_25partition_config_selectorILNS1_17partition_subalgoE9EllbEEZZNS1_14partition_implILS5_9ELb0ES3_jPlS8_PNS0_10empty_typeENS0_5tupleIJS8_S9_EEENSB_IJS8_SA_EEENS0_18inequality_wrapperIZN2at6native12_GLOBAL__N_124unique_dim_cuda_templateIsEESt5tupleIJNSF_6TensorESK_SK_EERKSK_lbbbEUlllE0_EEPmJS9_EEE10hipError_tPvRmT3_T4_T5_T6_T7_T9_mT8_P12ihipStream_tbDpT10_ENKUlT_T0_E_clISt17integral_constantIbLb0EES19_IbLb1EEEEDaS15_S16_EUlS15_E_NS1_11comp_targetILNS1_3genE0ELNS1_11target_archE4294967295ELNS1_3gpuE0ELNS1_3repE0EEENS1_30default_config_static_selectorELNS0_4arch9wavefront6targetE1EEEvT1_,comdat
.Lfunc_end741:
	.size	_ZN7rocprim17ROCPRIM_400000_NS6detail17trampoline_kernelINS0_14default_configENS1_25partition_config_selectorILNS1_17partition_subalgoE9EllbEEZZNS1_14partition_implILS5_9ELb0ES3_jPlS8_PNS0_10empty_typeENS0_5tupleIJS8_S9_EEENSB_IJS8_SA_EEENS0_18inequality_wrapperIZN2at6native12_GLOBAL__N_124unique_dim_cuda_templateIsEESt5tupleIJNSF_6TensorESK_SK_EERKSK_lbbbEUlllE0_EEPmJS9_EEE10hipError_tPvRmT3_T4_T5_T6_T7_T9_mT8_P12ihipStream_tbDpT10_ENKUlT_T0_E_clISt17integral_constantIbLb0EES19_IbLb1EEEEDaS15_S16_EUlS15_E_NS1_11comp_targetILNS1_3genE0ELNS1_11target_archE4294967295ELNS1_3gpuE0ELNS1_3repE0EEENS1_30default_config_static_selectorELNS0_4arch9wavefront6targetE1EEEvT1_, .Lfunc_end741-_ZN7rocprim17ROCPRIM_400000_NS6detail17trampoline_kernelINS0_14default_configENS1_25partition_config_selectorILNS1_17partition_subalgoE9EllbEEZZNS1_14partition_implILS5_9ELb0ES3_jPlS8_PNS0_10empty_typeENS0_5tupleIJS8_S9_EEENSB_IJS8_SA_EEENS0_18inequality_wrapperIZN2at6native12_GLOBAL__N_124unique_dim_cuda_templateIsEESt5tupleIJNSF_6TensorESK_SK_EERKSK_lbbbEUlllE0_EEPmJS9_EEE10hipError_tPvRmT3_T4_T5_T6_T7_T9_mT8_P12ihipStream_tbDpT10_ENKUlT_T0_E_clISt17integral_constantIbLb0EES19_IbLb1EEEEDaS15_S16_EUlS15_E_NS1_11comp_targetILNS1_3genE0ELNS1_11target_archE4294967295ELNS1_3gpuE0ELNS1_3repE0EEENS1_30default_config_static_selectorELNS0_4arch9wavefront6targetE1EEEvT1_
                                        ; -- End function
	.set _ZN7rocprim17ROCPRIM_400000_NS6detail17trampoline_kernelINS0_14default_configENS1_25partition_config_selectorILNS1_17partition_subalgoE9EllbEEZZNS1_14partition_implILS5_9ELb0ES3_jPlS8_PNS0_10empty_typeENS0_5tupleIJS8_S9_EEENSB_IJS8_SA_EEENS0_18inequality_wrapperIZN2at6native12_GLOBAL__N_124unique_dim_cuda_templateIsEESt5tupleIJNSF_6TensorESK_SK_EERKSK_lbbbEUlllE0_EEPmJS9_EEE10hipError_tPvRmT3_T4_T5_T6_T7_T9_mT8_P12ihipStream_tbDpT10_ENKUlT_T0_E_clISt17integral_constantIbLb0EES19_IbLb1EEEEDaS15_S16_EUlS15_E_NS1_11comp_targetILNS1_3genE0ELNS1_11target_archE4294967295ELNS1_3gpuE0ELNS1_3repE0EEENS1_30default_config_static_selectorELNS0_4arch9wavefront6targetE1EEEvT1_.num_vgpr, 60
	.set _ZN7rocprim17ROCPRIM_400000_NS6detail17trampoline_kernelINS0_14default_configENS1_25partition_config_selectorILNS1_17partition_subalgoE9EllbEEZZNS1_14partition_implILS5_9ELb0ES3_jPlS8_PNS0_10empty_typeENS0_5tupleIJS8_S9_EEENSB_IJS8_SA_EEENS0_18inequality_wrapperIZN2at6native12_GLOBAL__N_124unique_dim_cuda_templateIsEESt5tupleIJNSF_6TensorESK_SK_EERKSK_lbbbEUlllE0_EEPmJS9_EEE10hipError_tPvRmT3_T4_T5_T6_T7_T9_mT8_P12ihipStream_tbDpT10_ENKUlT_T0_E_clISt17integral_constantIbLb0EES19_IbLb1EEEEDaS15_S16_EUlS15_E_NS1_11comp_targetILNS1_3genE0ELNS1_11target_archE4294967295ELNS1_3gpuE0ELNS1_3repE0EEENS1_30default_config_static_selectorELNS0_4arch9wavefront6targetE1EEEvT1_.num_agpr, 0
	.set _ZN7rocprim17ROCPRIM_400000_NS6detail17trampoline_kernelINS0_14default_configENS1_25partition_config_selectorILNS1_17partition_subalgoE9EllbEEZZNS1_14partition_implILS5_9ELb0ES3_jPlS8_PNS0_10empty_typeENS0_5tupleIJS8_S9_EEENSB_IJS8_SA_EEENS0_18inequality_wrapperIZN2at6native12_GLOBAL__N_124unique_dim_cuda_templateIsEESt5tupleIJNSF_6TensorESK_SK_EERKSK_lbbbEUlllE0_EEPmJS9_EEE10hipError_tPvRmT3_T4_T5_T6_T7_T9_mT8_P12ihipStream_tbDpT10_ENKUlT_T0_E_clISt17integral_constantIbLb0EES19_IbLb1EEEEDaS15_S16_EUlS15_E_NS1_11comp_targetILNS1_3genE0ELNS1_11target_archE4294967295ELNS1_3gpuE0ELNS1_3repE0EEENS1_30default_config_static_selectorELNS0_4arch9wavefront6targetE1EEEvT1_.numbered_sgpr, 52
	.set _ZN7rocprim17ROCPRIM_400000_NS6detail17trampoline_kernelINS0_14default_configENS1_25partition_config_selectorILNS1_17partition_subalgoE9EllbEEZZNS1_14partition_implILS5_9ELb0ES3_jPlS8_PNS0_10empty_typeENS0_5tupleIJS8_S9_EEENSB_IJS8_SA_EEENS0_18inequality_wrapperIZN2at6native12_GLOBAL__N_124unique_dim_cuda_templateIsEESt5tupleIJNSF_6TensorESK_SK_EERKSK_lbbbEUlllE0_EEPmJS9_EEE10hipError_tPvRmT3_T4_T5_T6_T7_T9_mT8_P12ihipStream_tbDpT10_ENKUlT_T0_E_clISt17integral_constantIbLb0EES19_IbLb1EEEEDaS15_S16_EUlS15_E_NS1_11comp_targetILNS1_3genE0ELNS1_11target_archE4294967295ELNS1_3gpuE0ELNS1_3repE0EEENS1_30default_config_static_selectorELNS0_4arch9wavefront6targetE1EEEvT1_.num_named_barrier, 0
	.set _ZN7rocprim17ROCPRIM_400000_NS6detail17trampoline_kernelINS0_14default_configENS1_25partition_config_selectorILNS1_17partition_subalgoE9EllbEEZZNS1_14partition_implILS5_9ELb0ES3_jPlS8_PNS0_10empty_typeENS0_5tupleIJS8_S9_EEENSB_IJS8_SA_EEENS0_18inequality_wrapperIZN2at6native12_GLOBAL__N_124unique_dim_cuda_templateIsEESt5tupleIJNSF_6TensorESK_SK_EERKSK_lbbbEUlllE0_EEPmJS9_EEE10hipError_tPvRmT3_T4_T5_T6_T7_T9_mT8_P12ihipStream_tbDpT10_ENKUlT_T0_E_clISt17integral_constantIbLb0EES19_IbLb1EEEEDaS15_S16_EUlS15_E_NS1_11comp_targetILNS1_3genE0ELNS1_11target_archE4294967295ELNS1_3gpuE0ELNS1_3repE0EEENS1_30default_config_static_selectorELNS0_4arch9wavefront6targetE1EEEvT1_.private_seg_size, 0
	.set _ZN7rocprim17ROCPRIM_400000_NS6detail17trampoline_kernelINS0_14default_configENS1_25partition_config_selectorILNS1_17partition_subalgoE9EllbEEZZNS1_14partition_implILS5_9ELb0ES3_jPlS8_PNS0_10empty_typeENS0_5tupleIJS8_S9_EEENSB_IJS8_SA_EEENS0_18inequality_wrapperIZN2at6native12_GLOBAL__N_124unique_dim_cuda_templateIsEESt5tupleIJNSF_6TensorESK_SK_EERKSK_lbbbEUlllE0_EEPmJS9_EEE10hipError_tPvRmT3_T4_T5_T6_T7_T9_mT8_P12ihipStream_tbDpT10_ENKUlT_T0_E_clISt17integral_constantIbLb0EES19_IbLb1EEEEDaS15_S16_EUlS15_E_NS1_11comp_targetILNS1_3genE0ELNS1_11target_archE4294967295ELNS1_3gpuE0ELNS1_3repE0EEENS1_30default_config_static_selectorELNS0_4arch9wavefront6targetE1EEEvT1_.uses_vcc, 1
	.set _ZN7rocprim17ROCPRIM_400000_NS6detail17trampoline_kernelINS0_14default_configENS1_25partition_config_selectorILNS1_17partition_subalgoE9EllbEEZZNS1_14partition_implILS5_9ELb0ES3_jPlS8_PNS0_10empty_typeENS0_5tupleIJS8_S9_EEENSB_IJS8_SA_EEENS0_18inequality_wrapperIZN2at6native12_GLOBAL__N_124unique_dim_cuda_templateIsEESt5tupleIJNSF_6TensorESK_SK_EERKSK_lbbbEUlllE0_EEPmJS9_EEE10hipError_tPvRmT3_T4_T5_T6_T7_T9_mT8_P12ihipStream_tbDpT10_ENKUlT_T0_E_clISt17integral_constantIbLb0EES19_IbLb1EEEEDaS15_S16_EUlS15_E_NS1_11comp_targetILNS1_3genE0ELNS1_11target_archE4294967295ELNS1_3gpuE0ELNS1_3repE0EEENS1_30default_config_static_selectorELNS0_4arch9wavefront6targetE1EEEvT1_.uses_flat_scratch, 0
	.set _ZN7rocprim17ROCPRIM_400000_NS6detail17trampoline_kernelINS0_14default_configENS1_25partition_config_selectorILNS1_17partition_subalgoE9EllbEEZZNS1_14partition_implILS5_9ELb0ES3_jPlS8_PNS0_10empty_typeENS0_5tupleIJS8_S9_EEENSB_IJS8_SA_EEENS0_18inequality_wrapperIZN2at6native12_GLOBAL__N_124unique_dim_cuda_templateIsEESt5tupleIJNSF_6TensorESK_SK_EERKSK_lbbbEUlllE0_EEPmJS9_EEE10hipError_tPvRmT3_T4_T5_T6_T7_T9_mT8_P12ihipStream_tbDpT10_ENKUlT_T0_E_clISt17integral_constantIbLb0EES19_IbLb1EEEEDaS15_S16_EUlS15_E_NS1_11comp_targetILNS1_3genE0ELNS1_11target_archE4294967295ELNS1_3gpuE0ELNS1_3repE0EEENS1_30default_config_static_selectorELNS0_4arch9wavefront6targetE1EEEvT1_.has_dyn_sized_stack, 0
	.set _ZN7rocprim17ROCPRIM_400000_NS6detail17trampoline_kernelINS0_14default_configENS1_25partition_config_selectorILNS1_17partition_subalgoE9EllbEEZZNS1_14partition_implILS5_9ELb0ES3_jPlS8_PNS0_10empty_typeENS0_5tupleIJS8_S9_EEENSB_IJS8_SA_EEENS0_18inequality_wrapperIZN2at6native12_GLOBAL__N_124unique_dim_cuda_templateIsEESt5tupleIJNSF_6TensorESK_SK_EERKSK_lbbbEUlllE0_EEPmJS9_EEE10hipError_tPvRmT3_T4_T5_T6_T7_T9_mT8_P12ihipStream_tbDpT10_ENKUlT_T0_E_clISt17integral_constantIbLb0EES19_IbLb1EEEEDaS15_S16_EUlS15_E_NS1_11comp_targetILNS1_3genE0ELNS1_11target_archE4294967295ELNS1_3gpuE0ELNS1_3repE0EEENS1_30default_config_static_selectorELNS0_4arch9wavefront6targetE1EEEvT1_.has_recursion, 0
	.set _ZN7rocprim17ROCPRIM_400000_NS6detail17trampoline_kernelINS0_14default_configENS1_25partition_config_selectorILNS1_17partition_subalgoE9EllbEEZZNS1_14partition_implILS5_9ELb0ES3_jPlS8_PNS0_10empty_typeENS0_5tupleIJS8_S9_EEENSB_IJS8_SA_EEENS0_18inequality_wrapperIZN2at6native12_GLOBAL__N_124unique_dim_cuda_templateIsEESt5tupleIJNSF_6TensorESK_SK_EERKSK_lbbbEUlllE0_EEPmJS9_EEE10hipError_tPvRmT3_T4_T5_T6_T7_T9_mT8_P12ihipStream_tbDpT10_ENKUlT_T0_E_clISt17integral_constantIbLb0EES19_IbLb1EEEEDaS15_S16_EUlS15_E_NS1_11comp_targetILNS1_3genE0ELNS1_11target_archE4294967295ELNS1_3gpuE0ELNS1_3repE0EEENS1_30default_config_static_selectorELNS0_4arch9wavefront6targetE1EEEvT1_.has_indirect_call, 0
	.section	.AMDGPU.csdata,"",@progbits
; Kernel info:
; codeLenInByte = 9596
; TotalNumSgprs: 58
; NumVgprs: 60
; NumAgprs: 0
; TotalNumVgprs: 60
; ScratchSize: 0
; MemoryBound: 0
; FloatMode: 240
; IeeeMode: 1
; LDSByteSize: 5128 bytes/workgroup (compile time only)
; SGPRBlocks: 7
; VGPRBlocks: 7
; NumSGPRsForWavesPerEU: 58
; NumVGPRsForWavesPerEU: 60
; AccumOffset: 60
; Occupancy: 8
; WaveLimiterHint : 1
; COMPUTE_PGM_RSRC2:SCRATCH_EN: 0
; COMPUTE_PGM_RSRC2:USER_SGPR: 2
; COMPUTE_PGM_RSRC2:TRAP_HANDLER: 0
; COMPUTE_PGM_RSRC2:TGID_X_EN: 1
; COMPUTE_PGM_RSRC2:TGID_Y_EN: 0
; COMPUTE_PGM_RSRC2:TGID_Z_EN: 0
; COMPUTE_PGM_RSRC2:TIDIG_COMP_CNT: 0
; COMPUTE_PGM_RSRC3_GFX90A:ACCUM_OFFSET: 14
; COMPUTE_PGM_RSRC3_GFX90A:TG_SPLIT: 0
	.section	.text._ZN7rocprim17ROCPRIM_400000_NS6detail17trampoline_kernelINS0_14default_configENS1_25partition_config_selectorILNS1_17partition_subalgoE9EllbEEZZNS1_14partition_implILS5_9ELb0ES3_jPlS8_PNS0_10empty_typeENS0_5tupleIJS8_S9_EEENSB_IJS8_SA_EEENS0_18inequality_wrapperIZN2at6native12_GLOBAL__N_124unique_dim_cuda_templateIsEESt5tupleIJNSF_6TensorESK_SK_EERKSK_lbbbEUlllE0_EEPmJS9_EEE10hipError_tPvRmT3_T4_T5_T6_T7_T9_mT8_P12ihipStream_tbDpT10_ENKUlT_T0_E_clISt17integral_constantIbLb0EES19_IbLb1EEEEDaS15_S16_EUlS15_E_NS1_11comp_targetILNS1_3genE5ELNS1_11target_archE942ELNS1_3gpuE9ELNS1_3repE0EEENS1_30default_config_static_selectorELNS0_4arch9wavefront6targetE1EEEvT1_,"axG",@progbits,_ZN7rocprim17ROCPRIM_400000_NS6detail17trampoline_kernelINS0_14default_configENS1_25partition_config_selectorILNS1_17partition_subalgoE9EllbEEZZNS1_14partition_implILS5_9ELb0ES3_jPlS8_PNS0_10empty_typeENS0_5tupleIJS8_S9_EEENSB_IJS8_SA_EEENS0_18inequality_wrapperIZN2at6native12_GLOBAL__N_124unique_dim_cuda_templateIsEESt5tupleIJNSF_6TensorESK_SK_EERKSK_lbbbEUlllE0_EEPmJS9_EEE10hipError_tPvRmT3_T4_T5_T6_T7_T9_mT8_P12ihipStream_tbDpT10_ENKUlT_T0_E_clISt17integral_constantIbLb0EES19_IbLb1EEEEDaS15_S16_EUlS15_E_NS1_11comp_targetILNS1_3genE5ELNS1_11target_archE942ELNS1_3gpuE9ELNS1_3repE0EEENS1_30default_config_static_selectorELNS0_4arch9wavefront6targetE1EEEvT1_,comdat
	.globl	_ZN7rocprim17ROCPRIM_400000_NS6detail17trampoline_kernelINS0_14default_configENS1_25partition_config_selectorILNS1_17partition_subalgoE9EllbEEZZNS1_14partition_implILS5_9ELb0ES3_jPlS8_PNS0_10empty_typeENS0_5tupleIJS8_S9_EEENSB_IJS8_SA_EEENS0_18inequality_wrapperIZN2at6native12_GLOBAL__N_124unique_dim_cuda_templateIsEESt5tupleIJNSF_6TensorESK_SK_EERKSK_lbbbEUlllE0_EEPmJS9_EEE10hipError_tPvRmT3_T4_T5_T6_T7_T9_mT8_P12ihipStream_tbDpT10_ENKUlT_T0_E_clISt17integral_constantIbLb0EES19_IbLb1EEEEDaS15_S16_EUlS15_E_NS1_11comp_targetILNS1_3genE5ELNS1_11target_archE942ELNS1_3gpuE9ELNS1_3repE0EEENS1_30default_config_static_selectorELNS0_4arch9wavefront6targetE1EEEvT1_ ; -- Begin function _ZN7rocprim17ROCPRIM_400000_NS6detail17trampoline_kernelINS0_14default_configENS1_25partition_config_selectorILNS1_17partition_subalgoE9EllbEEZZNS1_14partition_implILS5_9ELb0ES3_jPlS8_PNS0_10empty_typeENS0_5tupleIJS8_S9_EEENSB_IJS8_SA_EEENS0_18inequality_wrapperIZN2at6native12_GLOBAL__N_124unique_dim_cuda_templateIsEESt5tupleIJNSF_6TensorESK_SK_EERKSK_lbbbEUlllE0_EEPmJS9_EEE10hipError_tPvRmT3_T4_T5_T6_T7_T9_mT8_P12ihipStream_tbDpT10_ENKUlT_T0_E_clISt17integral_constantIbLb0EES19_IbLb1EEEEDaS15_S16_EUlS15_E_NS1_11comp_targetILNS1_3genE5ELNS1_11target_archE942ELNS1_3gpuE9ELNS1_3repE0EEENS1_30default_config_static_selectorELNS0_4arch9wavefront6targetE1EEEvT1_
	.p2align	8
	.type	_ZN7rocprim17ROCPRIM_400000_NS6detail17trampoline_kernelINS0_14default_configENS1_25partition_config_selectorILNS1_17partition_subalgoE9EllbEEZZNS1_14partition_implILS5_9ELb0ES3_jPlS8_PNS0_10empty_typeENS0_5tupleIJS8_S9_EEENSB_IJS8_SA_EEENS0_18inequality_wrapperIZN2at6native12_GLOBAL__N_124unique_dim_cuda_templateIsEESt5tupleIJNSF_6TensorESK_SK_EERKSK_lbbbEUlllE0_EEPmJS9_EEE10hipError_tPvRmT3_T4_T5_T6_T7_T9_mT8_P12ihipStream_tbDpT10_ENKUlT_T0_E_clISt17integral_constantIbLb0EES19_IbLb1EEEEDaS15_S16_EUlS15_E_NS1_11comp_targetILNS1_3genE5ELNS1_11target_archE942ELNS1_3gpuE9ELNS1_3repE0EEENS1_30default_config_static_selectorELNS0_4arch9wavefront6targetE1EEEvT1_,@function
_ZN7rocprim17ROCPRIM_400000_NS6detail17trampoline_kernelINS0_14default_configENS1_25partition_config_selectorILNS1_17partition_subalgoE9EllbEEZZNS1_14partition_implILS5_9ELb0ES3_jPlS8_PNS0_10empty_typeENS0_5tupleIJS8_S9_EEENSB_IJS8_SA_EEENS0_18inequality_wrapperIZN2at6native12_GLOBAL__N_124unique_dim_cuda_templateIsEESt5tupleIJNSF_6TensorESK_SK_EERKSK_lbbbEUlllE0_EEPmJS9_EEE10hipError_tPvRmT3_T4_T5_T6_T7_T9_mT8_P12ihipStream_tbDpT10_ENKUlT_T0_E_clISt17integral_constantIbLb0EES19_IbLb1EEEEDaS15_S16_EUlS15_E_NS1_11comp_targetILNS1_3genE5ELNS1_11target_archE942ELNS1_3gpuE9ELNS1_3repE0EEENS1_30default_config_static_selectorELNS0_4arch9wavefront6targetE1EEEvT1_: ; @_ZN7rocprim17ROCPRIM_400000_NS6detail17trampoline_kernelINS0_14default_configENS1_25partition_config_selectorILNS1_17partition_subalgoE9EllbEEZZNS1_14partition_implILS5_9ELb0ES3_jPlS8_PNS0_10empty_typeENS0_5tupleIJS8_S9_EEENSB_IJS8_SA_EEENS0_18inequality_wrapperIZN2at6native12_GLOBAL__N_124unique_dim_cuda_templateIsEESt5tupleIJNSF_6TensorESK_SK_EERKSK_lbbbEUlllE0_EEPmJS9_EEE10hipError_tPvRmT3_T4_T5_T6_T7_T9_mT8_P12ihipStream_tbDpT10_ENKUlT_T0_E_clISt17integral_constantIbLb0EES19_IbLb1EEEEDaS15_S16_EUlS15_E_NS1_11comp_targetILNS1_3genE5ELNS1_11target_archE942ELNS1_3gpuE9ELNS1_3repE0EEENS1_30default_config_static_selectorELNS0_4arch9wavefront6targetE1EEEvT1_
; %bb.0:
	.section	.rodata,"a",@progbits
	.p2align	6, 0x0
	.amdhsa_kernel _ZN7rocprim17ROCPRIM_400000_NS6detail17trampoline_kernelINS0_14default_configENS1_25partition_config_selectorILNS1_17partition_subalgoE9EllbEEZZNS1_14partition_implILS5_9ELb0ES3_jPlS8_PNS0_10empty_typeENS0_5tupleIJS8_S9_EEENSB_IJS8_SA_EEENS0_18inequality_wrapperIZN2at6native12_GLOBAL__N_124unique_dim_cuda_templateIsEESt5tupleIJNSF_6TensorESK_SK_EERKSK_lbbbEUlllE0_EEPmJS9_EEE10hipError_tPvRmT3_T4_T5_T6_T7_T9_mT8_P12ihipStream_tbDpT10_ENKUlT_T0_E_clISt17integral_constantIbLb0EES19_IbLb1EEEEDaS15_S16_EUlS15_E_NS1_11comp_targetILNS1_3genE5ELNS1_11target_archE942ELNS1_3gpuE9ELNS1_3repE0EEENS1_30default_config_static_selectorELNS0_4arch9wavefront6targetE1EEEvT1_
		.amdhsa_group_segment_fixed_size 0
		.amdhsa_private_segment_fixed_size 0
		.amdhsa_kernarg_size 136
		.amdhsa_user_sgpr_count 2
		.amdhsa_user_sgpr_dispatch_ptr 0
		.amdhsa_user_sgpr_queue_ptr 0
		.amdhsa_user_sgpr_kernarg_segment_ptr 1
		.amdhsa_user_sgpr_dispatch_id 0
		.amdhsa_user_sgpr_kernarg_preload_length 0
		.amdhsa_user_sgpr_kernarg_preload_offset 0
		.amdhsa_user_sgpr_private_segment_size 0
		.amdhsa_uses_dynamic_stack 0
		.amdhsa_enable_private_segment 0
		.amdhsa_system_sgpr_workgroup_id_x 1
		.amdhsa_system_sgpr_workgroup_id_y 0
		.amdhsa_system_sgpr_workgroup_id_z 0
		.amdhsa_system_sgpr_workgroup_info 0
		.amdhsa_system_vgpr_workitem_id 0
		.amdhsa_next_free_vgpr 1
		.amdhsa_next_free_sgpr 0
		.amdhsa_accum_offset 4
		.amdhsa_reserve_vcc 0
		.amdhsa_float_round_mode_32 0
		.amdhsa_float_round_mode_16_64 0
		.amdhsa_float_denorm_mode_32 3
		.amdhsa_float_denorm_mode_16_64 3
		.amdhsa_dx10_clamp 1
		.amdhsa_ieee_mode 1
		.amdhsa_fp16_overflow 0
		.amdhsa_tg_split 0
		.amdhsa_exception_fp_ieee_invalid_op 0
		.amdhsa_exception_fp_denorm_src 0
		.amdhsa_exception_fp_ieee_div_zero 0
		.amdhsa_exception_fp_ieee_overflow 0
		.amdhsa_exception_fp_ieee_underflow 0
		.amdhsa_exception_fp_ieee_inexact 0
		.amdhsa_exception_int_div_zero 0
	.end_amdhsa_kernel
	.section	.text._ZN7rocprim17ROCPRIM_400000_NS6detail17trampoline_kernelINS0_14default_configENS1_25partition_config_selectorILNS1_17partition_subalgoE9EllbEEZZNS1_14partition_implILS5_9ELb0ES3_jPlS8_PNS0_10empty_typeENS0_5tupleIJS8_S9_EEENSB_IJS8_SA_EEENS0_18inequality_wrapperIZN2at6native12_GLOBAL__N_124unique_dim_cuda_templateIsEESt5tupleIJNSF_6TensorESK_SK_EERKSK_lbbbEUlllE0_EEPmJS9_EEE10hipError_tPvRmT3_T4_T5_T6_T7_T9_mT8_P12ihipStream_tbDpT10_ENKUlT_T0_E_clISt17integral_constantIbLb0EES19_IbLb1EEEEDaS15_S16_EUlS15_E_NS1_11comp_targetILNS1_3genE5ELNS1_11target_archE942ELNS1_3gpuE9ELNS1_3repE0EEENS1_30default_config_static_selectorELNS0_4arch9wavefront6targetE1EEEvT1_,"axG",@progbits,_ZN7rocprim17ROCPRIM_400000_NS6detail17trampoline_kernelINS0_14default_configENS1_25partition_config_selectorILNS1_17partition_subalgoE9EllbEEZZNS1_14partition_implILS5_9ELb0ES3_jPlS8_PNS0_10empty_typeENS0_5tupleIJS8_S9_EEENSB_IJS8_SA_EEENS0_18inequality_wrapperIZN2at6native12_GLOBAL__N_124unique_dim_cuda_templateIsEESt5tupleIJNSF_6TensorESK_SK_EERKSK_lbbbEUlllE0_EEPmJS9_EEE10hipError_tPvRmT3_T4_T5_T6_T7_T9_mT8_P12ihipStream_tbDpT10_ENKUlT_T0_E_clISt17integral_constantIbLb0EES19_IbLb1EEEEDaS15_S16_EUlS15_E_NS1_11comp_targetILNS1_3genE5ELNS1_11target_archE942ELNS1_3gpuE9ELNS1_3repE0EEENS1_30default_config_static_selectorELNS0_4arch9wavefront6targetE1EEEvT1_,comdat
.Lfunc_end742:
	.size	_ZN7rocprim17ROCPRIM_400000_NS6detail17trampoline_kernelINS0_14default_configENS1_25partition_config_selectorILNS1_17partition_subalgoE9EllbEEZZNS1_14partition_implILS5_9ELb0ES3_jPlS8_PNS0_10empty_typeENS0_5tupleIJS8_S9_EEENSB_IJS8_SA_EEENS0_18inequality_wrapperIZN2at6native12_GLOBAL__N_124unique_dim_cuda_templateIsEESt5tupleIJNSF_6TensorESK_SK_EERKSK_lbbbEUlllE0_EEPmJS9_EEE10hipError_tPvRmT3_T4_T5_T6_T7_T9_mT8_P12ihipStream_tbDpT10_ENKUlT_T0_E_clISt17integral_constantIbLb0EES19_IbLb1EEEEDaS15_S16_EUlS15_E_NS1_11comp_targetILNS1_3genE5ELNS1_11target_archE942ELNS1_3gpuE9ELNS1_3repE0EEENS1_30default_config_static_selectorELNS0_4arch9wavefront6targetE1EEEvT1_, .Lfunc_end742-_ZN7rocprim17ROCPRIM_400000_NS6detail17trampoline_kernelINS0_14default_configENS1_25partition_config_selectorILNS1_17partition_subalgoE9EllbEEZZNS1_14partition_implILS5_9ELb0ES3_jPlS8_PNS0_10empty_typeENS0_5tupleIJS8_S9_EEENSB_IJS8_SA_EEENS0_18inequality_wrapperIZN2at6native12_GLOBAL__N_124unique_dim_cuda_templateIsEESt5tupleIJNSF_6TensorESK_SK_EERKSK_lbbbEUlllE0_EEPmJS9_EEE10hipError_tPvRmT3_T4_T5_T6_T7_T9_mT8_P12ihipStream_tbDpT10_ENKUlT_T0_E_clISt17integral_constantIbLb0EES19_IbLb1EEEEDaS15_S16_EUlS15_E_NS1_11comp_targetILNS1_3genE5ELNS1_11target_archE942ELNS1_3gpuE9ELNS1_3repE0EEENS1_30default_config_static_selectorELNS0_4arch9wavefront6targetE1EEEvT1_
                                        ; -- End function
	.set _ZN7rocprim17ROCPRIM_400000_NS6detail17trampoline_kernelINS0_14default_configENS1_25partition_config_selectorILNS1_17partition_subalgoE9EllbEEZZNS1_14partition_implILS5_9ELb0ES3_jPlS8_PNS0_10empty_typeENS0_5tupleIJS8_S9_EEENSB_IJS8_SA_EEENS0_18inequality_wrapperIZN2at6native12_GLOBAL__N_124unique_dim_cuda_templateIsEESt5tupleIJNSF_6TensorESK_SK_EERKSK_lbbbEUlllE0_EEPmJS9_EEE10hipError_tPvRmT3_T4_T5_T6_T7_T9_mT8_P12ihipStream_tbDpT10_ENKUlT_T0_E_clISt17integral_constantIbLb0EES19_IbLb1EEEEDaS15_S16_EUlS15_E_NS1_11comp_targetILNS1_3genE5ELNS1_11target_archE942ELNS1_3gpuE9ELNS1_3repE0EEENS1_30default_config_static_selectorELNS0_4arch9wavefront6targetE1EEEvT1_.num_vgpr, 0
	.set _ZN7rocprim17ROCPRIM_400000_NS6detail17trampoline_kernelINS0_14default_configENS1_25partition_config_selectorILNS1_17partition_subalgoE9EllbEEZZNS1_14partition_implILS5_9ELb0ES3_jPlS8_PNS0_10empty_typeENS0_5tupleIJS8_S9_EEENSB_IJS8_SA_EEENS0_18inequality_wrapperIZN2at6native12_GLOBAL__N_124unique_dim_cuda_templateIsEESt5tupleIJNSF_6TensorESK_SK_EERKSK_lbbbEUlllE0_EEPmJS9_EEE10hipError_tPvRmT3_T4_T5_T6_T7_T9_mT8_P12ihipStream_tbDpT10_ENKUlT_T0_E_clISt17integral_constantIbLb0EES19_IbLb1EEEEDaS15_S16_EUlS15_E_NS1_11comp_targetILNS1_3genE5ELNS1_11target_archE942ELNS1_3gpuE9ELNS1_3repE0EEENS1_30default_config_static_selectorELNS0_4arch9wavefront6targetE1EEEvT1_.num_agpr, 0
	.set _ZN7rocprim17ROCPRIM_400000_NS6detail17trampoline_kernelINS0_14default_configENS1_25partition_config_selectorILNS1_17partition_subalgoE9EllbEEZZNS1_14partition_implILS5_9ELb0ES3_jPlS8_PNS0_10empty_typeENS0_5tupleIJS8_S9_EEENSB_IJS8_SA_EEENS0_18inequality_wrapperIZN2at6native12_GLOBAL__N_124unique_dim_cuda_templateIsEESt5tupleIJNSF_6TensorESK_SK_EERKSK_lbbbEUlllE0_EEPmJS9_EEE10hipError_tPvRmT3_T4_T5_T6_T7_T9_mT8_P12ihipStream_tbDpT10_ENKUlT_T0_E_clISt17integral_constantIbLb0EES19_IbLb1EEEEDaS15_S16_EUlS15_E_NS1_11comp_targetILNS1_3genE5ELNS1_11target_archE942ELNS1_3gpuE9ELNS1_3repE0EEENS1_30default_config_static_selectorELNS0_4arch9wavefront6targetE1EEEvT1_.numbered_sgpr, 0
	.set _ZN7rocprim17ROCPRIM_400000_NS6detail17trampoline_kernelINS0_14default_configENS1_25partition_config_selectorILNS1_17partition_subalgoE9EllbEEZZNS1_14partition_implILS5_9ELb0ES3_jPlS8_PNS0_10empty_typeENS0_5tupleIJS8_S9_EEENSB_IJS8_SA_EEENS0_18inequality_wrapperIZN2at6native12_GLOBAL__N_124unique_dim_cuda_templateIsEESt5tupleIJNSF_6TensorESK_SK_EERKSK_lbbbEUlllE0_EEPmJS9_EEE10hipError_tPvRmT3_T4_T5_T6_T7_T9_mT8_P12ihipStream_tbDpT10_ENKUlT_T0_E_clISt17integral_constantIbLb0EES19_IbLb1EEEEDaS15_S16_EUlS15_E_NS1_11comp_targetILNS1_3genE5ELNS1_11target_archE942ELNS1_3gpuE9ELNS1_3repE0EEENS1_30default_config_static_selectorELNS0_4arch9wavefront6targetE1EEEvT1_.num_named_barrier, 0
	.set _ZN7rocprim17ROCPRIM_400000_NS6detail17trampoline_kernelINS0_14default_configENS1_25partition_config_selectorILNS1_17partition_subalgoE9EllbEEZZNS1_14partition_implILS5_9ELb0ES3_jPlS8_PNS0_10empty_typeENS0_5tupleIJS8_S9_EEENSB_IJS8_SA_EEENS0_18inequality_wrapperIZN2at6native12_GLOBAL__N_124unique_dim_cuda_templateIsEESt5tupleIJNSF_6TensorESK_SK_EERKSK_lbbbEUlllE0_EEPmJS9_EEE10hipError_tPvRmT3_T4_T5_T6_T7_T9_mT8_P12ihipStream_tbDpT10_ENKUlT_T0_E_clISt17integral_constantIbLb0EES19_IbLb1EEEEDaS15_S16_EUlS15_E_NS1_11comp_targetILNS1_3genE5ELNS1_11target_archE942ELNS1_3gpuE9ELNS1_3repE0EEENS1_30default_config_static_selectorELNS0_4arch9wavefront6targetE1EEEvT1_.private_seg_size, 0
	.set _ZN7rocprim17ROCPRIM_400000_NS6detail17trampoline_kernelINS0_14default_configENS1_25partition_config_selectorILNS1_17partition_subalgoE9EllbEEZZNS1_14partition_implILS5_9ELb0ES3_jPlS8_PNS0_10empty_typeENS0_5tupleIJS8_S9_EEENSB_IJS8_SA_EEENS0_18inequality_wrapperIZN2at6native12_GLOBAL__N_124unique_dim_cuda_templateIsEESt5tupleIJNSF_6TensorESK_SK_EERKSK_lbbbEUlllE0_EEPmJS9_EEE10hipError_tPvRmT3_T4_T5_T6_T7_T9_mT8_P12ihipStream_tbDpT10_ENKUlT_T0_E_clISt17integral_constantIbLb0EES19_IbLb1EEEEDaS15_S16_EUlS15_E_NS1_11comp_targetILNS1_3genE5ELNS1_11target_archE942ELNS1_3gpuE9ELNS1_3repE0EEENS1_30default_config_static_selectorELNS0_4arch9wavefront6targetE1EEEvT1_.uses_vcc, 0
	.set _ZN7rocprim17ROCPRIM_400000_NS6detail17trampoline_kernelINS0_14default_configENS1_25partition_config_selectorILNS1_17partition_subalgoE9EllbEEZZNS1_14partition_implILS5_9ELb0ES3_jPlS8_PNS0_10empty_typeENS0_5tupleIJS8_S9_EEENSB_IJS8_SA_EEENS0_18inequality_wrapperIZN2at6native12_GLOBAL__N_124unique_dim_cuda_templateIsEESt5tupleIJNSF_6TensorESK_SK_EERKSK_lbbbEUlllE0_EEPmJS9_EEE10hipError_tPvRmT3_T4_T5_T6_T7_T9_mT8_P12ihipStream_tbDpT10_ENKUlT_T0_E_clISt17integral_constantIbLb0EES19_IbLb1EEEEDaS15_S16_EUlS15_E_NS1_11comp_targetILNS1_3genE5ELNS1_11target_archE942ELNS1_3gpuE9ELNS1_3repE0EEENS1_30default_config_static_selectorELNS0_4arch9wavefront6targetE1EEEvT1_.uses_flat_scratch, 0
	.set _ZN7rocprim17ROCPRIM_400000_NS6detail17trampoline_kernelINS0_14default_configENS1_25partition_config_selectorILNS1_17partition_subalgoE9EllbEEZZNS1_14partition_implILS5_9ELb0ES3_jPlS8_PNS0_10empty_typeENS0_5tupleIJS8_S9_EEENSB_IJS8_SA_EEENS0_18inequality_wrapperIZN2at6native12_GLOBAL__N_124unique_dim_cuda_templateIsEESt5tupleIJNSF_6TensorESK_SK_EERKSK_lbbbEUlllE0_EEPmJS9_EEE10hipError_tPvRmT3_T4_T5_T6_T7_T9_mT8_P12ihipStream_tbDpT10_ENKUlT_T0_E_clISt17integral_constantIbLb0EES19_IbLb1EEEEDaS15_S16_EUlS15_E_NS1_11comp_targetILNS1_3genE5ELNS1_11target_archE942ELNS1_3gpuE9ELNS1_3repE0EEENS1_30default_config_static_selectorELNS0_4arch9wavefront6targetE1EEEvT1_.has_dyn_sized_stack, 0
	.set _ZN7rocprim17ROCPRIM_400000_NS6detail17trampoline_kernelINS0_14default_configENS1_25partition_config_selectorILNS1_17partition_subalgoE9EllbEEZZNS1_14partition_implILS5_9ELb0ES3_jPlS8_PNS0_10empty_typeENS0_5tupleIJS8_S9_EEENSB_IJS8_SA_EEENS0_18inequality_wrapperIZN2at6native12_GLOBAL__N_124unique_dim_cuda_templateIsEESt5tupleIJNSF_6TensorESK_SK_EERKSK_lbbbEUlllE0_EEPmJS9_EEE10hipError_tPvRmT3_T4_T5_T6_T7_T9_mT8_P12ihipStream_tbDpT10_ENKUlT_T0_E_clISt17integral_constantIbLb0EES19_IbLb1EEEEDaS15_S16_EUlS15_E_NS1_11comp_targetILNS1_3genE5ELNS1_11target_archE942ELNS1_3gpuE9ELNS1_3repE0EEENS1_30default_config_static_selectorELNS0_4arch9wavefront6targetE1EEEvT1_.has_recursion, 0
	.set _ZN7rocprim17ROCPRIM_400000_NS6detail17trampoline_kernelINS0_14default_configENS1_25partition_config_selectorILNS1_17partition_subalgoE9EllbEEZZNS1_14partition_implILS5_9ELb0ES3_jPlS8_PNS0_10empty_typeENS0_5tupleIJS8_S9_EEENSB_IJS8_SA_EEENS0_18inequality_wrapperIZN2at6native12_GLOBAL__N_124unique_dim_cuda_templateIsEESt5tupleIJNSF_6TensorESK_SK_EERKSK_lbbbEUlllE0_EEPmJS9_EEE10hipError_tPvRmT3_T4_T5_T6_T7_T9_mT8_P12ihipStream_tbDpT10_ENKUlT_T0_E_clISt17integral_constantIbLb0EES19_IbLb1EEEEDaS15_S16_EUlS15_E_NS1_11comp_targetILNS1_3genE5ELNS1_11target_archE942ELNS1_3gpuE9ELNS1_3repE0EEENS1_30default_config_static_selectorELNS0_4arch9wavefront6targetE1EEEvT1_.has_indirect_call, 0
	.section	.AMDGPU.csdata,"",@progbits
; Kernel info:
; codeLenInByte = 0
; TotalNumSgprs: 6
; NumVgprs: 0
; NumAgprs: 0
; TotalNumVgprs: 0
; ScratchSize: 0
; MemoryBound: 0
; FloatMode: 240
; IeeeMode: 1
; LDSByteSize: 0 bytes/workgroup (compile time only)
; SGPRBlocks: 0
; VGPRBlocks: 0
; NumSGPRsForWavesPerEU: 6
; NumVGPRsForWavesPerEU: 1
; AccumOffset: 4
; Occupancy: 8
; WaveLimiterHint : 0
; COMPUTE_PGM_RSRC2:SCRATCH_EN: 0
; COMPUTE_PGM_RSRC2:USER_SGPR: 2
; COMPUTE_PGM_RSRC2:TRAP_HANDLER: 0
; COMPUTE_PGM_RSRC2:TGID_X_EN: 1
; COMPUTE_PGM_RSRC2:TGID_Y_EN: 0
; COMPUTE_PGM_RSRC2:TGID_Z_EN: 0
; COMPUTE_PGM_RSRC2:TIDIG_COMP_CNT: 0
; COMPUTE_PGM_RSRC3_GFX90A:ACCUM_OFFSET: 0
; COMPUTE_PGM_RSRC3_GFX90A:TG_SPLIT: 0
	.section	.text._ZN7rocprim17ROCPRIM_400000_NS6detail17trampoline_kernelINS0_14default_configENS1_25partition_config_selectorILNS1_17partition_subalgoE9EllbEEZZNS1_14partition_implILS5_9ELb0ES3_jPlS8_PNS0_10empty_typeENS0_5tupleIJS8_S9_EEENSB_IJS8_SA_EEENS0_18inequality_wrapperIZN2at6native12_GLOBAL__N_124unique_dim_cuda_templateIsEESt5tupleIJNSF_6TensorESK_SK_EERKSK_lbbbEUlllE0_EEPmJS9_EEE10hipError_tPvRmT3_T4_T5_T6_T7_T9_mT8_P12ihipStream_tbDpT10_ENKUlT_T0_E_clISt17integral_constantIbLb0EES19_IbLb1EEEEDaS15_S16_EUlS15_E_NS1_11comp_targetILNS1_3genE4ELNS1_11target_archE910ELNS1_3gpuE8ELNS1_3repE0EEENS1_30default_config_static_selectorELNS0_4arch9wavefront6targetE1EEEvT1_,"axG",@progbits,_ZN7rocprim17ROCPRIM_400000_NS6detail17trampoline_kernelINS0_14default_configENS1_25partition_config_selectorILNS1_17partition_subalgoE9EllbEEZZNS1_14partition_implILS5_9ELb0ES3_jPlS8_PNS0_10empty_typeENS0_5tupleIJS8_S9_EEENSB_IJS8_SA_EEENS0_18inequality_wrapperIZN2at6native12_GLOBAL__N_124unique_dim_cuda_templateIsEESt5tupleIJNSF_6TensorESK_SK_EERKSK_lbbbEUlllE0_EEPmJS9_EEE10hipError_tPvRmT3_T4_T5_T6_T7_T9_mT8_P12ihipStream_tbDpT10_ENKUlT_T0_E_clISt17integral_constantIbLb0EES19_IbLb1EEEEDaS15_S16_EUlS15_E_NS1_11comp_targetILNS1_3genE4ELNS1_11target_archE910ELNS1_3gpuE8ELNS1_3repE0EEENS1_30default_config_static_selectorELNS0_4arch9wavefront6targetE1EEEvT1_,comdat
	.globl	_ZN7rocprim17ROCPRIM_400000_NS6detail17trampoline_kernelINS0_14default_configENS1_25partition_config_selectorILNS1_17partition_subalgoE9EllbEEZZNS1_14partition_implILS5_9ELb0ES3_jPlS8_PNS0_10empty_typeENS0_5tupleIJS8_S9_EEENSB_IJS8_SA_EEENS0_18inequality_wrapperIZN2at6native12_GLOBAL__N_124unique_dim_cuda_templateIsEESt5tupleIJNSF_6TensorESK_SK_EERKSK_lbbbEUlllE0_EEPmJS9_EEE10hipError_tPvRmT3_T4_T5_T6_T7_T9_mT8_P12ihipStream_tbDpT10_ENKUlT_T0_E_clISt17integral_constantIbLb0EES19_IbLb1EEEEDaS15_S16_EUlS15_E_NS1_11comp_targetILNS1_3genE4ELNS1_11target_archE910ELNS1_3gpuE8ELNS1_3repE0EEENS1_30default_config_static_selectorELNS0_4arch9wavefront6targetE1EEEvT1_ ; -- Begin function _ZN7rocprim17ROCPRIM_400000_NS6detail17trampoline_kernelINS0_14default_configENS1_25partition_config_selectorILNS1_17partition_subalgoE9EllbEEZZNS1_14partition_implILS5_9ELb0ES3_jPlS8_PNS0_10empty_typeENS0_5tupleIJS8_S9_EEENSB_IJS8_SA_EEENS0_18inequality_wrapperIZN2at6native12_GLOBAL__N_124unique_dim_cuda_templateIsEESt5tupleIJNSF_6TensorESK_SK_EERKSK_lbbbEUlllE0_EEPmJS9_EEE10hipError_tPvRmT3_T4_T5_T6_T7_T9_mT8_P12ihipStream_tbDpT10_ENKUlT_T0_E_clISt17integral_constantIbLb0EES19_IbLb1EEEEDaS15_S16_EUlS15_E_NS1_11comp_targetILNS1_3genE4ELNS1_11target_archE910ELNS1_3gpuE8ELNS1_3repE0EEENS1_30default_config_static_selectorELNS0_4arch9wavefront6targetE1EEEvT1_
	.p2align	8
	.type	_ZN7rocprim17ROCPRIM_400000_NS6detail17trampoline_kernelINS0_14default_configENS1_25partition_config_selectorILNS1_17partition_subalgoE9EllbEEZZNS1_14partition_implILS5_9ELb0ES3_jPlS8_PNS0_10empty_typeENS0_5tupleIJS8_S9_EEENSB_IJS8_SA_EEENS0_18inequality_wrapperIZN2at6native12_GLOBAL__N_124unique_dim_cuda_templateIsEESt5tupleIJNSF_6TensorESK_SK_EERKSK_lbbbEUlllE0_EEPmJS9_EEE10hipError_tPvRmT3_T4_T5_T6_T7_T9_mT8_P12ihipStream_tbDpT10_ENKUlT_T0_E_clISt17integral_constantIbLb0EES19_IbLb1EEEEDaS15_S16_EUlS15_E_NS1_11comp_targetILNS1_3genE4ELNS1_11target_archE910ELNS1_3gpuE8ELNS1_3repE0EEENS1_30default_config_static_selectorELNS0_4arch9wavefront6targetE1EEEvT1_,@function
_ZN7rocprim17ROCPRIM_400000_NS6detail17trampoline_kernelINS0_14default_configENS1_25partition_config_selectorILNS1_17partition_subalgoE9EllbEEZZNS1_14partition_implILS5_9ELb0ES3_jPlS8_PNS0_10empty_typeENS0_5tupleIJS8_S9_EEENSB_IJS8_SA_EEENS0_18inequality_wrapperIZN2at6native12_GLOBAL__N_124unique_dim_cuda_templateIsEESt5tupleIJNSF_6TensorESK_SK_EERKSK_lbbbEUlllE0_EEPmJS9_EEE10hipError_tPvRmT3_T4_T5_T6_T7_T9_mT8_P12ihipStream_tbDpT10_ENKUlT_T0_E_clISt17integral_constantIbLb0EES19_IbLb1EEEEDaS15_S16_EUlS15_E_NS1_11comp_targetILNS1_3genE4ELNS1_11target_archE910ELNS1_3gpuE8ELNS1_3repE0EEENS1_30default_config_static_selectorELNS0_4arch9wavefront6targetE1EEEvT1_: ; @_ZN7rocprim17ROCPRIM_400000_NS6detail17trampoline_kernelINS0_14default_configENS1_25partition_config_selectorILNS1_17partition_subalgoE9EllbEEZZNS1_14partition_implILS5_9ELb0ES3_jPlS8_PNS0_10empty_typeENS0_5tupleIJS8_S9_EEENSB_IJS8_SA_EEENS0_18inequality_wrapperIZN2at6native12_GLOBAL__N_124unique_dim_cuda_templateIsEESt5tupleIJNSF_6TensorESK_SK_EERKSK_lbbbEUlllE0_EEPmJS9_EEE10hipError_tPvRmT3_T4_T5_T6_T7_T9_mT8_P12ihipStream_tbDpT10_ENKUlT_T0_E_clISt17integral_constantIbLb0EES19_IbLb1EEEEDaS15_S16_EUlS15_E_NS1_11comp_targetILNS1_3genE4ELNS1_11target_archE910ELNS1_3gpuE8ELNS1_3repE0EEENS1_30default_config_static_selectorELNS0_4arch9wavefront6targetE1EEEvT1_
; %bb.0:
	.section	.rodata,"a",@progbits
	.p2align	6, 0x0
	.amdhsa_kernel _ZN7rocprim17ROCPRIM_400000_NS6detail17trampoline_kernelINS0_14default_configENS1_25partition_config_selectorILNS1_17partition_subalgoE9EllbEEZZNS1_14partition_implILS5_9ELb0ES3_jPlS8_PNS0_10empty_typeENS0_5tupleIJS8_S9_EEENSB_IJS8_SA_EEENS0_18inequality_wrapperIZN2at6native12_GLOBAL__N_124unique_dim_cuda_templateIsEESt5tupleIJNSF_6TensorESK_SK_EERKSK_lbbbEUlllE0_EEPmJS9_EEE10hipError_tPvRmT3_T4_T5_T6_T7_T9_mT8_P12ihipStream_tbDpT10_ENKUlT_T0_E_clISt17integral_constantIbLb0EES19_IbLb1EEEEDaS15_S16_EUlS15_E_NS1_11comp_targetILNS1_3genE4ELNS1_11target_archE910ELNS1_3gpuE8ELNS1_3repE0EEENS1_30default_config_static_selectorELNS0_4arch9wavefront6targetE1EEEvT1_
		.amdhsa_group_segment_fixed_size 0
		.amdhsa_private_segment_fixed_size 0
		.amdhsa_kernarg_size 136
		.amdhsa_user_sgpr_count 2
		.amdhsa_user_sgpr_dispatch_ptr 0
		.amdhsa_user_sgpr_queue_ptr 0
		.amdhsa_user_sgpr_kernarg_segment_ptr 1
		.amdhsa_user_sgpr_dispatch_id 0
		.amdhsa_user_sgpr_kernarg_preload_length 0
		.amdhsa_user_sgpr_kernarg_preload_offset 0
		.amdhsa_user_sgpr_private_segment_size 0
		.amdhsa_uses_dynamic_stack 0
		.amdhsa_enable_private_segment 0
		.amdhsa_system_sgpr_workgroup_id_x 1
		.amdhsa_system_sgpr_workgroup_id_y 0
		.amdhsa_system_sgpr_workgroup_id_z 0
		.amdhsa_system_sgpr_workgroup_info 0
		.amdhsa_system_vgpr_workitem_id 0
		.amdhsa_next_free_vgpr 1
		.amdhsa_next_free_sgpr 0
		.amdhsa_accum_offset 4
		.amdhsa_reserve_vcc 0
		.amdhsa_float_round_mode_32 0
		.amdhsa_float_round_mode_16_64 0
		.amdhsa_float_denorm_mode_32 3
		.amdhsa_float_denorm_mode_16_64 3
		.amdhsa_dx10_clamp 1
		.amdhsa_ieee_mode 1
		.amdhsa_fp16_overflow 0
		.amdhsa_tg_split 0
		.amdhsa_exception_fp_ieee_invalid_op 0
		.amdhsa_exception_fp_denorm_src 0
		.amdhsa_exception_fp_ieee_div_zero 0
		.amdhsa_exception_fp_ieee_overflow 0
		.amdhsa_exception_fp_ieee_underflow 0
		.amdhsa_exception_fp_ieee_inexact 0
		.amdhsa_exception_int_div_zero 0
	.end_amdhsa_kernel
	.section	.text._ZN7rocprim17ROCPRIM_400000_NS6detail17trampoline_kernelINS0_14default_configENS1_25partition_config_selectorILNS1_17partition_subalgoE9EllbEEZZNS1_14partition_implILS5_9ELb0ES3_jPlS8_PNS0_10empty_typeENS0_5tupleIJS8_S9_EEENSB_IJS8_SA_EEENS0_18inequality_wrapperIZN2at6native12_GLOBAL__N_124unique_dim_cuda_templateIsEESt5tupleIJNSF_6TensorESK_SK_EERKSK_lbbbEUlllE0_EEPmJS9_EEE10hipError_tPvRmT3_T4_T5_T6_T7_T9_mT8_P12ihipStream_tbDpT10_ENKUlT_T0_E_clISt17integral_constantIbLb0EES19_IbLb1EEEEDaS15_S16_EUlS15_E_NS1_11comp_targetILNS1_3genE4ELNS1_11target_archE910ELNS1_3gpuE8ELNS1_3repE0EEENS1_30default_config_static_selectorELNS0_4arch9wavefront6targetE1EEEvT1_,"axG",@progbits,_ZN7rocprim17ROCPRIM_400000_NS6detail17trampoline_kernelINS0_14default_configENS1_25partition_config_selectorILNS1_17partition_subalgoE9EllbEEZZNS1_14partition_implILS5_9ELb0ES3_jPlS8_PNS0_10empty_typeENS0_5tupleIJS8_S9_EEENSB_IJS8_SA_EEENS0_18inequality_wrapperIZN2at6native12_GLOBAL__N_124unique_dim_cuda_templateIsEESt5tupleIJNSF_6TensorESK_SK_EERKSK_lbbbEUlllE0_EEPmJS9_EEE10hipError_tPvRmT3_T4_T5_T6_T7_T9_mT8_P12ihipStream_tbDpT10_ENKUlT_T0_E_clISt17integral_constantIbLb0EES19_IbLb1EEEEDaS15_S16_EUlS15_E_NS1_11comp_targetILNS1_3genE4ELNS1_11target_archE910ELNS1_3gpuE8ELNS1_3repE0EEENS1_30default_config_static_selectorELNS0_4arch9wavefront6targetE1EEEvT1_,comdat
.Lfunc_end743:
	.size	_ZN7rocprim17ROCPRIM_400000_NS6detail17trampoline_kernelINS0_14default_configENS1_25partition_config_selectorILNS1_17partition_subalgoE9EllbEEZZNS1_14partition_implILS5_9ELb0ES3_jPlS8_PNS0_10empty_typeENS0_5tupleIJS8_S9_EEENSB_IJS8_SA_EEENS0_18inequality_wrapperIZN2at6native12_GLOBAL__N_124unique_dim_cuda_templateIsEESt5tupleIJNSF_6TensorESK_SK_EERKSK_lbbbEUlllE0_EEPmJS9_EEE10hipError_tPvRmT3_T4_T5_T6_T7_T9_mT8_P12ihipStream_tbDpT10_ENKUlT_T0_E_clISt17integral_constantIbLb0EES19_IbLb1EEEEDaS15_S16_EUlS15_E_NS1_11comp_targetILNS1_3genE4ELNS1_11target_archE910ELNS1_3gpuE8ELNS1_3repE0EEENS1_30default_config_static_selectorELNS0_4arch9wavefront6targetE1EEEvT1_, .Lfunc_end743-_ZN7rocprim17ROCPRIM_400000_NS6detail17trampoline_kernelINS0_14default_configENS1_25partition_config_selectorILNS1_17partition_subalgoE9EllbEEZZNS1_14partition_implILS5_9ELb0ES3_jPlS8_PNS0_10empty_typeENS0_5tupleIJS8_S9_EEENSB_IJS8_SA_EEENS0_18inequality_wrapperIZN2at6native12_GLOBAL__N_124unique_dim_cuda_templateIsEESt5tupleIJNSF_6TensorESK_SK_EERKSK_lbbbEUlllE0_EEPmJS9_EEE10hipError_tPvRmT3_T4_T5_T6_T7_T9_mT8_P12ihipStream_tbDpT10_ENKUlT_T0_E_clISt17integral_constantIbLb0EES19_IbLb1EEEEDaS15_S16_EUlS15_E_NS1_11comp_targetILNS1_3genE4ELNS1_11target_archE910ELNS1_3gpuE8ELNS1_3repE0EEENS1_30default_config_static_selectorELNS0_4arch9wavefront6targetE1EEEvT1_
                                        ; -- End function
	.set _ZN7rocprim17ROCPRIM_400000_NS6detail17trampoline_kernelINS0_14default_configENS1_25partition_config_selectorILNS1_17partition_subalgoE9EllbEEZZNS1_14partition_implILS5_9ELb0ES3_jPlS8_PNS0_10empty_typeENS0_5tupleIJS8_S9_EEENSB_IJS8_SA_EEENS0_18inequality_wrapperIZN2at6native12_GLOBAL__N_124unique_dim_cuda_templateIsEESt5tupleIJNSF_6TensorESK_SK_EERKSK_lbbbEUlllE0_EEPmJS9_EEE10hipError_tPvRmT3_T4_T5_T6_T7_T9_mT8_P12ihipStream_tbDpT10_ENKUlT_T0_E_clISt17integral_constantIbLb0EES19_IbLb1EEEEDaS15_S16_EUlS15_E_NS1_11comp_targetILNS1_3genE4ELNS1_11target_archE910ELNS1_3gpuE8ELNS1_3repE0EEENS1_30default_config_static_selectorELNS0_4arch9wavefront6targetE1EEEvT1_.num_vgpr, 0
	.set _ZN7rocprim17ROCPRIM_400000_NS6detail17trampoline_kernelINS0_14default_configENS1_25partition_config_selectorILNS1_17partition_subalgoE9EllbEEZZNS1_14partition_implILS5_9ELb0ES3_jPlS8_PNS0_10empty_typeENS0_5tupleIJS8_S9_EEENSB_IJS8_SA_EEENS0_18inequality_wrapperIZN2at6native12_GLOBAL__N_124unique_dim_cuda_templateIsEESt5tupleIJNSF_6TensorESK_SK_EERKSK_lbbbEUlllE0_EEPmJS9_EEE10hipError_tPvRmT3_T4_T5_T6_T7_T9_mT8_P12ihipStream_tbDpT10_ENKUlT_T0_E_clISt17integral_constantIbLb0EES19_IbLb1EEEEDaS15_S16_EUlS15_E_NS1_11comp_targetILNS1_3genE4ELNS1_11target_archE910ELNS1_3gpuE8ELNS1_3repE0EEENS1_30default_config_static_selectorELNS0_4arch9wavefront6targetE1EEEvT1_.num_agpr, 0
	.set _ZN7rocprim17ROCPRIM_400000_NS6detail17trampoline_kernelINS0_14default_configENS1_25partition_config_selectorILNS1_17partition_subalgoE9EllbEEZZNS1_14partition_implILS5_9ELb0ES3_jPlS8_PNS0_10empty_typeENS0_5tupleIJS8_S9_EEENSB_IJS8_SA_EEENS0_18inequality_wrapperIZN2at6native12_GLOBAL__N_124unique_dim_cuda_templateIsEESt5tupleIJNSF_6TensorESK_SK_EERKSK_lbbbEUlllE0_EEPmJS9_EEE10hipError_tPvRmT3_T4_T5_T6_T7_T9_mT8_P12ihipStream_tbDpT10_ENKUlT_T0_E_clISt17integral_constantIbLb0EES19_IbLb1EEEEDaS15_S16_EUlS15_E_NS1_11comp_targetILNS1_3genE4ELNS1_11target_archE910ELNS1_3gpuE8ELNS1_3repE0EEENS1_30default_config_static_selectorELNS0_4arch9wavefront6targetE1EEEvT1_.numbered_sgpr, 0
	.set _ZN7rocprim17ROCPRIM_400000_NS6detail17trampoline_kernelINS0_14default_configENS1_25partition_config_selectorILNS1_17partition_subalgoE9EllbEEZZNS1_14partition_implILS5_9ELb0ES3_jPlS8_PNS0_10empty_typeENS0_5tupleIJS8_S9_EEENSB_IJS8_SA_EEENS0_18inequality_wrapperIZN2at6native12_GLOBAL__N_124unique_dim_cuda_templateIsEESt5tupleIJNSF_6TensorESK_SK_EERKSK_lbbbEUlllE0_EEPmJS9_EEE10hipError_tPvRmT3_T4_T5_T6_T7_T9_mT8_P12ihipStream_tbDpT10_ENKUlT_T0_E_clISt17integral_constantIbLb0EES19_IbLb1EEEEDaS15_S16_EUlS15_E_NS1_11comp_targetILNS1_3genE4ELNS1_11target_archE910ELNS1_3gpuE8ELNS1_3repE0EEENS1_30default_config_static_selectorELNS0_4arch9wavefront6targetE1EEEvT1_.num_named_barrier, 0
	.set _ZN7rocprim17ROCPRIM_400000_NS6detail17trampoline_kernelINS0_14default_configENS1_25partition_config_selectorILNS1_17partition_subalgoE9EllbEEZZNS1_14partition_implILS5_9ELb0ES3_jPlS8_PNS0_10empty_typeENS0_5tupleIJS8_S9_EEENSB_IJS8_SA_EEENS0_18inequality_wrapperIZN2at6native12_GLOBAL__N_124unique_dim_cuda_templateIsEESt5tupleIJNSF_6TensorESK_SK_EERKSK_lbbbEUlllE0_EEPmJS9_EEE10hipError_tPvRmT3_T4_T5_T6_T7_T9_mT8_P12ihipStream_tbDpT10_ENKUlT_T0_E_clISt17integral_constantIbLb0EES19_IbLb1EEEEDaS15_S16_EUlS15_E_NS1_11comp_targetILNS1_3genE4ELNS1_11target_archE910ELNS1_3gpuE8ELNS1_3repE0EEENS1_30default_config_static_selectorELNS0_4arch9wavefront6targetE1EEEvT1_.private_seg_size, 0
	.set _ZN7rocprim17ROCPRIM_400000_NS6detail17trampoline_kernelINS0_14default_configENS1_25partition_config_selectorILNS1_17partition_subalgoE9EllbEEZZNS1_14partition_implILS5_9ELb0ES3_jPlS8_PNS0_10empty_typeENS0_5tupleIJS8_S9_EEENSB_IJS8_SA_EEENS0_18inequality_wrapperIZN2at6native12_GLOBAL__N_124unique_dim_cuda_templateIsEESt5tupleIJNSF_6TensorESK_SK_EERKSK_lbbbEUlllE0_EEPmJS9_EEE10hipError_tPvRmT3_T4_T5_T6_T7_T9_mT8_P12ihipStream_tbDpT10_ENKUlT_T0_E_clISt17integral_constantIbLb0EES19_IbLb1EEEEDaS15_S16_EUlS15_E_NS1_11comp_targetILNS1_3genE4ELNS1_11target_archE910ELNS1_3gpuE8ELNS1_3repE0EEENS1_30default_config_static_selectorELNS0_4arch9wavefront6targetE1EEEvT1_.uses_vcc, 0
	.set _ZN7rocprim17ROCPRIM_400000_NS6detail17trampoline_kernelINS0_14default_configENS1_25partition_config_selectorILNS1_17partition_subalgoE9EllbEEZZNS1_14partition_implILS5_9ELb0ES3_jPlS8_PNS0_10empty_typeENS0_5tupleIJS8_S9_EEENSB_IJS8_SA_EEENS0_18inequality_wrapperIZN2at6native12_GLOBAL__N_124unique_dim_cuda_templateIsEESt5tupleIJNSF_6TensorESK_SK_EERKSK_lbbbEUlllE0_EEPmJS9_EEE10hipError_tPvRmT3_T4_T5_T6_T7_T9_mT8_P12ihipStream_tbDpT10_ENKUlT_T0_E_clISt17integral_constantIbLb0EES19_IbLb1EEEEDaS15_S16_EUlS15_E_NS1_11comp_targetILNS1_3genE4ELNS1_11target_archE910ELNS1_3gpuE8ELNS1_3repE0EEENS1_30default_config_static_selectorELNS0_4arch9wavefront6targetE1EEEvT1_.uses_flat_scratch, 0
	.set _ZN7rocprim17ROCPRIM_400000_NS6detail17trampoline_kernelINS0_14default_configENS1_25partition_config_selectorILNS1_17partition_subalgoE9EllbEEZZNS1_14partition_implILS5_9ELb0ES3_jPlS8_PNS0_10empty_typeENS0_5tupleIJS8_S9_EEENSB_IJS8_SA_EEENS0_18inequality_wrapperIZN2at6native12_GLOBAL__N_124unique_dim_cuda_templateIsEESt5tupleIJNSF_6TensorESK_SK_EERKSK_lbbbEUlllE0_EEPmJS9_EEE10hipError_tPvRmT3_T4_T5_T6_T7_T9_mT8_P12ihipStream_tbDpT10_ENKUlT_T0_E_clISt17integral_constantIbLb0EES19_IbLb1EEEEDaS15_S16_EUlS15_E_NS1_11comp_targetILNS1_3genE4ELNS1_11target_archE910ELNS1_3gpuE8ELNS1_3repE0EEENS1_30default_config_static_selectorELNS0_4arch9wavefront6targetE1EEEvT1_.has_dyn_sized_stack, 0
	.set _ZN7rocprim17ROCPRIM_400000_NS6detail17trampoline_kernelINS0_14default_configENS1_25partition_config_selectorILNS1_17partition_subalgoE9EllbEEZZNS1_14partition_implILS5_9ELb0ES3_jPlS8_PNS0_10empty_typeENS0_5tupleIJS8_S9_EEENSB_IJS8_SA_EEENS0_18inequality_wrapperIZN2at6native12_GLOBAL__N_124unique_dim_cuda_templateIsEESt5tupleIJNSF_6TensorESK_SK_EERKSK_lbbbEUlllE0_EEPmJS9_EEE10hipError_tPvRmT3_T4_T5_T6_T7_T9_mT8_P12ihipStream_tbDpT10_ENKUlT_T0_E_clISt17integral_constantIbLb0EES19_IbLb1EEEEDaS15_S16_EUlS15_E_NS1_11comp_targetILNS1_3genE4ELNS1_11target_archE910ELNS1_3gpuE8ELNS1_3repE0EEENS1_30default_config_static_selectorELNS0_4arch9wavefront6targetE1EEEvT1_.has_recursion, 0
	.set _ZN7rocprim17ROCPRIM_400000_NS6detail17trampoline_kernelINS0_14default_configENS1_25partition_config_selectorILNS1_17partition_subalgoE9EllbEEZZNS1_14partition_implILS5_9ELb0ES3_jPlS8_PNS0_10empty_typeENS0_5tupleIJS8_S9_EEENSB_IJS8_SA_EEENS0_18inequality_wrapperIZN2at6native12_GLOBAL__N_124unique_dim_cuda_templateIsEESt5tupleIJNSF_6TensorESK_SK_EERKSK_lbbbEUlllE0_EEPmJS9_EEE10hipError_tPvRmT3_T4_T5_T6_T7_T9_mT8_P12ihipStream_tbDpT10_ENKUlT_T0_E_clISt17integral_constantIbLb0EES19_IbLb1EEEEDaS15_S16_EUlS15_E_NS1_11comp_targetILNS1_3genE4ELNS1_11target_archE910ELNS1_3gpuE8ELNS1_3repE0EEENS1_30default_config_static_selectorELNS0_4arch9wavefront6targetE1EEEvT1_.has_indirect_call, 0
	.section	.AMDGPU.csdata,"",@progbits
; Kernel info:
; codeLenInByte = 0
; TotalNumSgprs: 6
; NumVgprs: 0
; NumAgprs: 0
; TotalNumVgprs: 0
; ScratchSize: 0
; MemoryBound: 0
; FloatMode: 240
; IeeeMode: 1
; LDSByteSize: 0 bytes/workgroup (compile time only)
; SGPRBlocks: 0
; VGPRBlocks: 0
; NumSGPRsForWavesPerEU: 6
; NumVGPRsForWavesPerEU: 1
; AccumOffset: 4
; Occupancy: 8
; WaveLimiterHint : 0
; COMPUTE_PGM_RSRC2:SCRATCH_EN: 0
; COMPUTE_PGM_RSRC2:USER_SGPR: 2
; COMPUTE_PGM_RSRC2:TRAP_HANDLER: 0
; COMPUTE_PGM_RSRC2:TGID_X_EN: 1
; COMPUTE_PGM_RSRC2:TGID_Y_EN: 0
; COMPUTE_PGM_RSRC2:TGID_Z_EN: 0
; COMPUTE_PGM_RSRC2:TIDIG_COMP_CNT: 0
; COMPUTE_PGM_RSRC3_GFX90A:ACCUM_OFFSET: 0
; COMPUTE_PGM_RSRC3_GFX90A:TG_SPLIT: 0
	.section	.text._ZN7rocprim17ROCPRIM_400000_NS6detail17trampoline_kernelINS0_14default_configENS1_25partition_config_selectorILNS1_17partition_subalgoE9EllbEEZZNS1_14partition_implILS5_9ELb0ES3_jPlS8_PNS0_10empty_typeENS0_5tupleIJS8_S9_EEENSB_IJS8_SA_EEENS0_18inequality_wrapperIZN2at6native12_GLOBAL__N_124unique_dim_cuda_templateIsEESt5tupleIJNSF_6TensorESK_SK_EERKSK_lbbbEUlllE0_EEPmJS9_EEE10hipError_tPvRmT3_T4_T5_T6_T7_T9_mT8_P12ihipStream_tbDpT10_ENKUlT_T0_E_clISt17integral_constantIbLb0EES19_IbLb1EEEEDaS15_S16_EUlS15_E_NS1_11comp_targetILNS1_3genE3ELNS1_11target_archE908ELNS1_3gpuE7ELNS1_3repE0EEENS1_30default_config_static_selectorELNS0_4arch9wavefront6targetE1EEEvT1_,"axG",@progbits,_ZN7rocprim17ROCPRIM_400000_NS6detail17trampoline_kernelINS0_14default_configENS1_25partition_config_selectorILNS1_17partition_subalgoE9EllbEEZZNS1_14partition_implILS5_9ELb0ES3_jPlS8_PNS0_10empty_typeENS0_5tupleIJS8_S9_EEENSB_IJS8_SA_EEENS0_18inequality_wrapperIZN2at6native12_GLOBAL__N_124unique_dim_cuda_templateIsEESt5tupleIJNSF_6TensorESK_SK_EERKSK_lbbbEUlllE0_EEPmJS9_EEE10hipError_tPvRmT3_T4_T5_T6_T7_T9_mT8_P12ihipStream_tbDpT10_ENKUlT_T0_E_clISt17integral_constantIbLb0EES19_IbLb1EEEEDaS15_S16_EUlS15_E_NS1_11comp_targetILNS1_3genE3ELNS1_11target_archE908ELNS1_3gpuE7ELNS1_3repE0EEENS1_30default_config_static_selectorELNS0_4arch9wavefront6targetE1EEEvT1_,comdat
	.globl	_ZN7rocprim17ROCPRIM_400000_NS6detail17trampoline_kernelINS0_14default_configENS1_25partition_config_selectorILNS1_17partition_subalgoE9EllbEEZZNS1_14partition_implILS5_9ELb0ES3_jPlS8_PNS0_10empty_typeENS0_5tupleIJS8_S9_EEENSB_IJS8_SA_EEENS0_18inequality_wrapperIZN2at6native12_GLOBAL__N_124unique_dim_cuda_templateIsEESt5tupleIJNSF_6TensorESK_SK_EERKSK_lbbbEUlllE0_EEPmJS9_EEE10hipError_tPvRmT3_T4_T5_T6_T7_T9_mT8_P12ihipStream_tbDpT10_ENKUlT_T0_E_clISt17integral_constantIbLb0EES19_IbLb1EEEEDaS15_S16_EUlS15_E_NS1_11comp_targetILNS1_3genE3ELNS1_11target_archE908ELNS1_3gpuE7ELNS1_3repE0EEENS1_30default_config_static_selectorELNS0_4arch9wavefront6targetE1EEEvT1_ ; -- Begin function _ZN7rocprim17ROCPRIM_400000_NS6detail17trampoline_kernelINS0_14default_configENS1_25partition_config_selectorILNS1_17partition_subalgoE9EllbEEZZNS1_14partition_implILS5_9ELb0ES3_jPlS8_PNS0_10empty_typeENS0_5tupleIJS8_S9_EEENSB_IJS8_SA_EEENS0_18inequality_wrapperIZN2at6native12_GLOBAL__N_124unique_dim_cuda_templateIsEESt5tupleIJNSF_6TensorESK_SK_EERKSK_lbbbEUlllE0_EEPmJS9_EEE10hipError_tPvRmT3_T4_T5_T6_T7_T9_mT8_P12ihipStream_tbDpT10_ENKUlT_T0_E_clISt17integral_constantIbLb0EES19_IbLb1EEEEDaS15_S16_EUlS15_E_NS1_11comp_targetILNS1_3genE3ELNS1_11target_archE908ELNS1_3gpuE7ELNS1_3repE0EEENS1_30default_config_static_selectorELNS0_4arch9wavefront6targetE1EEEvT1_
	.p2align	8
	.type	_ZN7rocprim17ROCPRIM_400000_NS6detail17trampoline_kernelINS0_14default_configENS1_25partition_config_selectorILNS1_17partition_subalgoE9EllbEEZZNS1_14partition_implILS5_9ELb0ES3_jPlS8_PNS0_10empty_typeENS0_5tupleIJS8_S9_EEENSB_IJS8_SA_EEENS0_18inequality_wrapperIZN2at6native12_GLOBAL__N_124unique_dim_cuda_templateIsEESt5tupleIJNSF_6TensorESK_SK_EERKSK_lbbbEUlllE0_EEPmJS9_EEE10hipError_tPvRmT3_T4_T5_T6_T7_T9_mT8_P12ihipStream_tbDpT10_ENKUlT_T0_E_clISt17integral_constantIbLb0EES19_IbLb1EEEEDaS15_S16_EUlS15_E_NS1_11comp_targetILNS1_3genE3ELNS1_11target_archE908ELNS1_3gpuE7ELNS1_3repE0EEENS1_30default_config_static_selectorELNS0_4arch9wavefront6targetE1EEEvT1_,@function
_ZN7rocprim17ROCPRIM_400000_NS6detail17trampoline_kernelINS0_14default_configENS1_25partition_config_selectorILNS1_17partition_subalgoE9EllbEEZZNS1_14partition_implILS5_9ELb0ES3_jPlS8_PNS0_10empty_typeENS0_5tupleIJS8_S9_EEENSB_IJS8_SA_EEENS0_18inequality_wrapperIZN2at6native12_GLOBAL__N_124unique_dim_cuda_templateIsEESt5tupleIJNSF_6TensorESK_SK_EERKSK_lbbbEUlllE0_EEPmJS9_EEE10hipError_tPvRmT3_T4_T5_T6_T7_T9_mT8_P12ihipStream_tbDpT10_ENKUlT_T0_E_clISt17integral_constantIbLb0EES19_IbLb1EEEEDaS15_S16_EUlS15_E_NS1_11comp_targetILNS1_3genE3ELNS1_11target_archE908ELNS1_3gpuE7ELNS1_3repE0EEENS1_30default_config_static_selectorELNS0_4arch9wavefront6targetE1EEEvT1_: ; @_ZN7rocprim17ROCPRIM_400000_NS6detail17trampoline_kernelINS0_14default_configENS1_25partition_config_selectorILNS1_17partition_subalgoE9EllbEEZZNS1_14partition_implILS5_9ELb0ES3_jPlS8_PNS0_10empty_typeENS0_5tupleIJS8_S9_EEENSB_IJS8_SA_EEENS0_18inequality_wrapperIZN2at6native12_GLOBAL__N_124unique_dim_cuda_templateIsEESt5tupleIJNSF_6TensorESK_SK_EERKSK_lbbbEUlllE0_EEPmJS9_EEE10hipError_tPvRmT3_T4_T5_T6_T7_T9_mT8_P12ihipStream_tbDpT10_ENKUlT_T0_E_clISt17integral_constantIbLb0EES19_IbLb1EEEEDaS15_S16_EUlS15_E_NS1_11comp_targetILNS1_3genE3ELNS1_11target_archE908ELNS1_3gpuE7ELNS1_3repE0EEENS1_30default_config_static_selectorELNS0_4arch9wavefront6targetE1EEEvT1_
; %bb.0:
	.section	.rodata,"a",@progbits
	.p2align	6, 0x0
	.amdhsa_kernel _ZN7rocprim17ROCPRIM_400000_NS6detail17trampoline_kernelINS0_14default_configENS1_25partition_config_selectorILNS1_17partition_subalgoE9EllbEEZZNS1_14partition_implILS5_9ELb0ES3_jPlS8_PNS0_10empty_typeENS0_5tupleIJS8_S9_EEENSB_IJS8_SA_EEENS0_18inequality_wrapperIZN2at6native12_GLOBAL__N_124unique_dim_cuda_templateIsEESt5tupleIJNSF_6TensorESK_SK_EERKSK_lbbbEUlllE0_EEPmJS9_EEE10hipError_tPvRmT3_T4_T5_T6_T7_T9_mT8_P12ihipStream_tbDpT10_ENKUlT_T0_E_clISt17integral_constantIbLb0EES19_IbLb1EEEEDaS15_S16_EUlS15_E_NS1_11comp_targetILNS1_3genE3ELNS1_11target_archE908ELNS1_3gpuE7ELNS1_3repE0EEENS1_30default_config_static_selectorELNS0_4arch9wavefront6targetE1EEEvT1_
		.amdhsa_group_segment_fixed_size 0
		.amdhsa_private_segment_fixed_size 0
		.amdhsa_kernarg_size 136
		.amdhsa_user_sgpr_count 2
		.amdhsa_user_sgpr_dispatch_ptr 0
		.amdhsa_user_sgpr_queue_ptr 0
		.amdhsa_user_sgpr_kernarg_segment_ptr 1
		.amdhsa_user_sgpr_dispatch_id 0
		.amdhsa_user_sgpr_kernarg_preload_length 0
		.amdhsa_user_sgpr_kernarg_preload_offset 0
		.amdhsa_user_sgpr_private_segment_size 0
		.amdhsa_uses_dynamic_stack 0
		.amdhsa_enable_private_segment 0
		.amdhsa_system_sgpr_workgroup_id_x 1
		.amdhsa_system_sgpr_workgroup_id_y 0
		.amdhsa_system_sgpr_workgroup_id_z 0
		.amdhsa_system_sgpr_workgroup_info 0
		.amdhsa_system_vgpr_workitem_id 0
		.amdhsa_next_free_vgpr 1
		.amdhsa_next_free_sgpr 0
		.amdhsa_accum_offset 4
		.amdhsa_reserve_vcc 0
		.amdhsa_float_round_mode_32 0
		.amdhsa_float_round_mode_16_64 0
		.amdhsa_float_denorm_mode_32 3
		.amdhsa_float_denorm_mode_16_64 3
		.amdhsa_dx10_clamp 1
		.amdhsa_ieee_mode 1
		.amdhsa_fp16_overflow 0
		.amdhsa_tg_split 0
		.amdhsa_exception_fp_ieee_invalid_op 0
		.amdhsa_exception_fp_denorm_src 0
		.amdhsa_exception_fp_ieee_div_zero 0
		.amdhsa_exception_fp_ieee_overflow 0
		.amdhsa_exception_fp_ieee_underflow 0
		.amdhsa_exception_fp_ieee_inexact 0
		.amdhsa_exception_int_div_zero 0
	.end_amdhsa_kernel
	.section	.text._ZN7rocprim17ROCPRIM_400000_NS6detail17trampoline_kernelINS0_14default_configENS1_25partition_config_selectorILNS1_17partition_subalgoE9EllbEEZZNS1_14partition_implILS5_9ELb0ES3_jPlS8_PNS0_10empty_typeENS0_5tupleIJS8_S9_EEENSB_IJS8_SA_EEENS0_18inequality_wrapperIZN2at6native12_GLOBAL__N_124unique_dim_cuda_templateIsEESt5tupleIJNSF_6TensorESK_SK_EERKSK_lbbbEUlllE0_EEPmJS9_EEE10hipError_tPvRmT3_T4_T5_T6_T7_T9_mT8_P12ihipStream_tbDpT10_ENKUlT_T0_E_clISt17integral_constantIbLb0EES19_IbLb1EEEEDaS15_S16_EUlS15_E_NS1_11comp_targetILNS1_3genE3ELNS1_11target_archE908ELNS1_3gpuE7ELNS1_3repE0EEENS1_30default_config_static_selectorELNS0_4arch9wavefront6targetE1EEEvT1_,"axG",@progbits,_ZN7rocprim17ROCPRIM_400000_NS6detail17trampoline_kernelINS0_14default_configENS1_25partition_config_selectorILNS1_17partition_subalgoE9EllbEEZZNS1_14partition_implILS5_9ELb0ES3_jPlS8_PNS0_10empty_typeENS0_5tupleIJS8_S9_EEENSB_IJS8_SA_EEENS0_18inequality_wrapperIZN2at6native12_GLOBAL__N_124unique_dim_cuda_templateIsEESt5tupleIJNSF_6TensorESK_SK_EERKSK_lbbbEUlllE0_EEPmJS9_EEE10hipError_tPvRmT3_T4_T5_T6_T7_T9_mT8_P12ihipStream_tbDpT10_ENKUlT_T0_E_clISt17integral_constantIbLb0EES19_IbLb1EEEEDaS15_S16_EUlS15_E_NS1_11comp_targetILNS1_3genE3ELNS1_11target_archE908ELNS1_3gpuE7ELNS1_3repE0EEENS1_30default_config_static_selectorELNS0_4arch9wavefront6targetE1EEEvT1_,comdat
.Lfunc_end744:
	.size	_ZN7rocprim17ROCPRIM_400000_NS6detail17trampoline_kernelINS0_14default_configENS1_25partition_config_selectorILNS1_17partition_subalgoE9EllbEEZZNS1_14partition_implILS5_9ELb0ES3_jPlS8_PNS0_10empty_typeENS0_5tupleIJS8_S9_EEENSB_IJS8_SA_EEENS0_18inequality_wrapperIZN2at6native12_GLOBAL__N_124unique_dim_cuda_templateIsEESt5tupleIJNSF_6TensorESK_SK_EERKSK_lbbbEUlllE0_EEPmJS9_EEE10hipError_tPvRmT3_T4_T5_T6_T7_T9_mT8_P12ihipStream_tbDpT10_ENKUlT_T0_E_clISt17integral_constantIbLb0EES19_IbLb1EEEEDaS15_S16_EUlS15_E_NS1_11comp_targetILNS1_3genE3ELNS1_11target_archE908ELNS1_3gpuE7ELNS1_3repE0EEENS1_30default_config_static_selectorELNS0_4arch9wavefront6targetE1EEEvT1_, .Lfunc_end744-_ZN7rocprim17ROCPRIM_400000_NS6detail17trampoline_kernelINS0_14default_configENS1_25partition_config_selectorILNS1_17partition_subalgoE9EllbEEZZNS1_14partition_implILS5_9ELb0ES3_jPlS8_PNS0_10empty_typeENS0_5tupleIJS8_S9_EEENSB_IJS8_SA_EEENS0_18inequality_wrapperIZN2at6native12_GLOBAL__N_124unique_dim_cuda_templateIsEESt5tupleIJNSF_6TensorESK_SK_EERKSK_lbbbEUlllE0_EEPmJS9_EEE10hipError_tPvRmT3_T4_T5_T6_T7_T9_mT8_P12ihipStream_tbDpT10_ENKUlT_T0_E_clISt17integral_constantIbLb0EES19_IbLb1EEEEDaS15_S16_EUlS15_E_NS1_11comp_targetILNS1_3genE3ELNS1_11target_archE908ELNS1_3gpuE7ELNS1_3repE0EEENS1_30default_config_static_selectorELNS0_4arch9wavefront6targetE1EEEvT1_
                                        ; -- End function
	.set _ZN7rocprim17ROCPRIM_400000_NS6detail17trampoline_kernelINS0_14default_configENS1_25partition_config_selectorILNS1_17partition_subalgoE9EllbEEZZNS1_14partition_implILS5_9ELb0ES3_jPlS8_PNS0_10empty_typeENS0_5tupleIJS8_S9_EEENSB_IJS8_SA_EEENS0_18inequality_wrapperIZN2at6native12_GLOBAL__N_124unique_dim_cuda_templateIsEESt5tupleIJNSF_6TensorESK_SK_EERKSK_lbbbEUlllE0_EEPmJS9_EEE10hipError_tPvRmT3_T4_T5_T6_T7_T9_mT8_P12ihipStream_tbDpT10_ENKUlT_T0_E_clISt17integral_constantIbLb0EES19_IbLb1EEEEDaS15_S16_EUlS15_E_NS1_11comp_targetILNS1_3genE3ELNS1_11target_archE908ELNS1_3gpuE7ELNS1_3repE0EEENS1_30default_config_static_selectorELNS0_4arch9wavefront6targetE1EEEvT1_.num_vgpr, 0
	.set _ZN7rocprim17ROCPRIM_400000_NS6detail17trampoline_kernelINS0_14default_configENS1_25partition_config_selectorILNS1_17partition_subalgoE9EllbEEZZNS1_14partition_implILS5_9ELb0ES3_jPlS8_PNS0_10empty_typeENS0_5tupleIJS8_S9_EEENSB_IJS8_SA_EEENS0_18inequality_wrapperIZN2at6native12_GLOBAL__N_124unique_dim_cuda_templateIsEESt5tupleIJNSF_6TensorESK_SK_EERKSK_lbbbEUlllE0_EEPmJS9_EEE10hipError_tPvRmT3_T4_T5_T6_T7_T9_mT8_P12ihipStream_tbDpT10_ENKUlT_T0_E_clISt17integral_constantIbLb0EES19_IbLb1EEEEDaS15_S16_EUlS15_E_NS1_11comp_targetILNS1_3genE3ELNS1_11target_archE908ELNS1_3gpuE7ELNS1_3repE0EEENS1_30default_config_static_selectorELNS0_4arch9wavefront6targetE1EEEvT1_.num_agpr, 0
	.set _ZN7rocprim17ROCPRIM_400000_NS6detail17trampoline_kernelINS0_14default_configENS1_25partition_config_selectorILNS1_17partition_subalgoE9EllbEEZZNS1_14partition_implILS5_9ELb0ES3_jPlS8_PNS0_10empty_typeENS0_5tupleIJS8_S9_EEENSB_IJS8_SA_EEENS0_18inequality_wrapperIZN2at6native12_GLOBAL__N_124unique_dim_cuda_templateIsEESt5tupleIJNSF_6TensorESK_SK_EERKSK_lbbbEUlllE0_EEPmJS9_EEE10hipError_tPvRmT3_T4_T5_T6_T7_T9_mT8_P12ihipStream_tbDpT10_ENKUlT_T0_E_clISt17integral_constantIbLb0EES19_IbLb1EEEEDaS15_S16_EUlS15_E_NS1_11comp_targetILNS1_3genE3ELNS1_11target_archE908ELNS1_3gpuE7ELNS1_3repE0EEENS1_30default_config_static_selectorELNS0_4arch9wavefront6targetE1EEEvT1_.numbered_sgpr, 0
	.set _ZN7rocprim17ROCPRIM_400000_NS6detail17trampoline_kernelINS0_14default_configENS1_25partition_config_selectorILNS1_17partition_subalgoE9EllbEEZZNS1_14partition_implILS5_9ELb0ES3_jPlS8_PNS0_10empty_typeENS0_5tupleIJS8_S9_EEENSB_IJS8_SA_EEENS0_18inequality_wrapperIZN2at6native12_GLOBAL__N_124unique_dim_cuda_templateIsEESt5tupleIJNSF_6TensorESK_SK_EERKSK_lbbbEUlllE0_EEPmJS9_EEE10hipError_tPvRmT3_T4_T5_T6_T7_T9_mT8_P12ihipStream_tbDpT10_ENKUlT_T0_E_clISt17integral_constantIbLb0EES19_IbLb1EEEEDaS15_S16_EUlS15_E_NS1_11comp_targetILNS1_3genE3ELNS1_11target_archE908ELNS1_3gpuE7ELNS1_3repE0EEENS1_30default_config_static_selectorELNS0_4arch9wavefront6targetE1EEEvT1_.num_named_barrier, 0
	.set _ZN7rocprim17ROCPRIM_400000_NS6detail17trampoline_kernelINS0_14default_configENS1_25partition_config_selectorILNS1_17partition_subalgoE9EllbEEZZNS1_14partition_implILS5_9ELb0ES3_jPlS8_PNS0_10empty_typeENS0_5tupleIJS8_S9_EEENSB_IJS8_SA_EEENS0_18inequality_wrapperIZN2at6native12_GLOBAL__N_124unique_dim_cuda_templateIsEESt5tupleIJNSF_6TensorESK_SK_EERKSK_lbbbEUlllE0_EEPmJS9_EEE10hipError_tPvRmT3_T4_T5_T6_T7_T9_mT8_P12ihipStream_tbDpT10_ENKUlT_T0_E_clISt17integral_constantIbLb0EES19_IbLb1EEEEDaS15_S16_EUlS15_E_NS1_11comp_targetILNS1_3genE3ELNS1_11target_archE908ELNS1_3gpuE7ELNS1_3repE0EEENS1_30default_config_static_selectorELNS0_4arch9wavefront6targetE1EEEvT1_.private_seg_size, 0
	.set _ZN7rocprim17ROCPRIM_400000_NS6detail17trampoline_kernelINS0_14default_configENS1_25partition_config_selectorILNS1_17partition_subalgoE9EllbEEZZNS1_14partition_implILS5_9ELb0ES3_jPlS8_PNS0_10empty_typeENS0_5tupleIJS8_S9_EEENSB_IJS8_SA_EEENS0_18inequality_wrapperIZN2at6native12_GLOBAL__N_124unique_dim_cuda_templateIsEESt5tupleIJNSF_6TensorESK_SK_EERKSK_lbbbEUlllE0_EEPmJS9_EEE10hipError_tPvRmT3_T4_T5_T6_T7_T9_mT8_P12ihipStream_tbDpT10_ENKUlT_T0_E_clISt17integral_constantIbLb0EES19_IbLb1EEEEDaS15_S16_EUlS15_E_NS1_11comp_targetILNS1_3genE3ELNS1_11target_archE908ELNS1_3gpuE7ELNS1_3repE0EEENS1_30default_config_static_selectorELNS0_4arch9wavefront6targetE1EEEvT1_.uses_vcc, 0
	.set _ZN7rocprim17ROCPRIM_400000_NS6detail17trampoline_kernelINS0_14default_configENS1_25partition_config_selectorILNS1_17partition_subalgoE9EllbEEZZNS1_14partition_implILS5_9ELb0ES3_jPlS8_PNS0_10empty_typeENS0_5tupleIJS8_S9_EEENSB_IJS8_SA_EEENS0_18inequality_wrapperIZN2at6native12_GLOBAL__N_124unique_dim_cuda_templateIsEESt5tupleIJNSF_6TensorESK_SK_EERKSK_lbbbEUlllE0_EEPmJS9_EEE10hipError_tPvRmT3_T4_T5_T6_T7_T9_mT8_P12ihipStream_tbDpT10_ENKUlT_T0_E_clISt17integral_constantIbLb0EES19_IbLb1EEEEDaS15_S16_EUlS15_E_NS1_11comp_targetILNS1_3genE3ELNS1_11target_archE908ELNS1_3gpuE7ELNS1_3repE0EEENS1_30default_config_static_selectorELNS0_4arch9wavefront6targetE1EEEvT1_.uses_flat_scratch, 0
	.set _ZN7rocprim17ROCPRIM_400000_NS6detail17trampoline_kernelINS0_14default_configENS1_25partition_config_selectorILNS1_17partition_subalgoE9EllbEEZZNS1_14partition_implILS5_9ELb0ES3_jPlS8_PNS0_10empty_typeENS0_5tupleIJS8_S9_EEENSB_IJS8_SA_EEENS0_18inequality_wrapperIZN2at6native12_GLOBAL__N_124unique_dim_cuda_templateIsEESt5tupleIJNSF_6TensorESK_SK_EERKSK_lbbbEUlllE0_EEPmJS9_EEE10hipError_tPvRmT3_T4_T5_T6_T7_T9_mT8_P12ihipStream_tbDpT10_ENKUlT_T0_E_clISt17integral_constantIbLb0EES19_IbLb1EEEEDaS15_S16_EUlS15_E_NS1_11comp_targetILNS1_3genE3ELNS1_11target_archE908ELNS1_3gpuE7ELNS1_3repE0EEENS1_30default_config_static_selectorELNS0_4arch9wavefront6targetE1EEEvT1_.has_dyn_sized_stack, 0
	.set _ZN7rocprim17ROCPRIM_400000_NS6detail17trampoline_kernelINS0_14default_configENS1_25partition_config_selectorILNS1_17partition_subalgoE9EllbEEZZNS1_14partition_implILS5_9ELb0ES3_jPlS8_PNS0_10empty_typeENS0_5tupleIJS8_S9_EEENSB_IJS8_SA_EEENS0_18inequality_wrapperIZN2at6native12_GLOBAL__N_124unique_dim_cuda_templateIsEESt5tupleIJNSF_6TensorESK_SK_EERKSK_lbbbEUlllE0_EEPmJS9_EEE10hipError_tPvRmT3_T4_T5_T6_T7_T9_mT8_P12ihipStream_tbDpT10_ENKUlT_T0_E_clISt17integral_constantIbLb0EES19_IbLb1EEEEDaS15_S16_EUlS15_E_NS1_11comp_targetILNS1_3genE3ELNS1_11target_archE908ELNS1_3gpuE7ELNS1_3repE0EEENS1_30default_config_static_selectorELNS0_4arch9wavefront6targetE1EEEvT1_.has_recursion, 0
	.set _ZN7rocprim17ROCPRIM_400000_NS6detail17trampoline_kernelINS0_14default_configENS1_25partition_config_selectorILNS1_17partition_subalgoE9EllbEEZZNS1_14partition_implILS5_9ELb0ES3_jPlS8_PNS0_10empty_typeENS0_5tupleIJS8_S9_EEENSB_IJS8_SA_EEENS0_18inequality_wrapperIZN2at6native12_GLOBAL__N_124unique_dim_cuda_templateIsEESt5tupleIJNSF_6TensorESK_SK_EERKSK_lbbbEUlllE0_EEPmJS9_EEE10hipError_tPvRmT3_T4_T5_T6_T7_T9_mT8_P12ihipStream_tbDpT10_ENKUlT_T0_E_clISt17integral_constantIbLb0EES19_IbLb1EEEEDaS15_S16_EUlS15_E_NS1_11comp_targetILNS1_3genE3ELNS1_11target_archE908ELNS1_3gpuE7ELNS1_3repE0EEENS1_30default_config_static_selectorELNS0_4arch9wavefront6targetE1EEEvT1_.has_indirect_call, 0
	.section	.AMDGPU.csdata,"",@progbits
; Kernel info:
; codeLenInByte = 0
; TotalNumSgprs: 6
; NumVgprs: 0
; NumAgprs: 0
; TotalNumVgprs: 0
; ScratchSize: 0
; MemoryBound: 0
; FloatMode: 240
; IeeeMode: 1
; LDSByteSize: 0 bytes/workgroup (compile time only)
; SGPRBlocks: 0
; VGPRBlocks: 0
; NumSGPRsForWavesPerEU: 6
; NumVGPRsForWavesPerEU: 1
; AccumOffset: 4
; Occupancy: 8
; WaveLimiterHint : 0
; COMPUTE_PGM_RSRC2:SCRATCH_EN: 0
; COMPUTE_PGM_RSRC2:USER_SGPR: 2
; COMPUTE_PGM_RSRC2:TRAP_HANDLER: 0
; COMPUTE_PGM_RSRC2:TGID_X_EN: 1
; COMPUTE_PGM_RSRC2:TGID_Y_EN: 0
; COMPUTE_PGM_RSRC2:TGID_Z_EN: 0
; COMPUTE_PGM_RSRC2:TIDIG_COMP_CNT: 0
; COMPUTE_PGM_RSRC3_GFX90A:ACCUM_OFFSET: 0
; COMPUTE_PGM_RSRC3_GFX90A:TG_SPLIT: 0
	.section	.text._ZN7rocprim17ROCPRIM_400000_NS6detail17trampoline_kernelINS0_14default_configENS1_25partition_config_selectorILNS1_17partition_subalgoE9EllbEEZZNS1_14partition_implILS5_9ELb0ES3_jPlS8_PNS0_10empty_typeENS0_5tupleIJS8_S9_EEENSB_IJS8_SA_EEENS0_18inequality_wrapperIZN2at6native12_GLOBAL__N_124unique_dim_cuda_templateIsEESt5tupleIJNSF_6TensorESK_SK_EERKSK_lbbbEUlllE0_EEPmJS9_EEE10hipError_tPvRmT3_T4_T5_T6_T7_T9_mT8_P12ihipStream_tbDpT10_ENKUlT_T0_E_clISt17integral_constantIbLb0EES19_IbLb1EEEEDaS15_S16_EUlS15_E_NS1_11comp_targetILNS1_3genE2ELNS1_11target_archE906ELNS1_3gpuE6ELNS1_3repE0EEENS1_30default_config_static_selectorELNS0_4arch9wavefront6targetE1EEEvT1_,"axG",@progbits,_ZN7rocprim17ROCPRIM_400000_NS6detail17trampoline_kernelINS0_14default_configENS1_25partition_config_selectorILNS1_17partition_subalgoE9EllbEEZZNS1_14partition_implILS5_9ELb0ES3_jPlS8_PNS0_10empty_typeENS0_5tupleIJS8_S9_EEENSB_IJS8_SA_EEENS0_18inequality_wrapperIZN2at6native12_GLOBAL__N_124unique_dim_cuda_templateIsEESt5tupleIJNSF_6TensorESK_SK_EERKSK_lbbbEUlllE0_EEPmJS9_EEE10hipError_tPvRmT3_T4_T5_T6_T7_T9_mT8_P12ihipStream_tbDpT10_ENKUlT_T0_E_clISt17integral_constantIbLb0EES19_IbLb1EEEEDaS15_S16_EUlS15_E_NS1_11comp_targetILNS1_3genE2ELNS1_11target_archE906ELNS1_3gpuE6ELNS1_3repE0EEENS1_30default_config_static_selectorELNS0_4arch9wavefront6targetE1EEEvT1_,comdat
	.globl	_ZN7rocprim17ROCPRIM_400000_NS6detail17trampoline_kernelINS0_14default_configENS1_25partition_config_selectorILNS1_17partition_subalgoE9EllbEEZZNS1_14partition_implILS5_9ELb0ES3_jPlS8_PNS0_10empty_typeENS0_5tupleIJS8_S9_EEENSB_IJS8_SA_EEENS0_18inequality_wrapperIZN2at6native12_GLOBAL__N_124unique_dim_cuda_templateIsEESt5tupleIJNSF_6TensorESK_SK_EERKSK_lbbbEUlllE0_EEPmJS9_EEE10hipError_tPvRmT3_T4_T5_T6_T7_T9_mT8_P12ihipStream_tbDpT10_ENKUlT_T0_E_clISt17integral_constantIbLb0EES19_IbLb1EEEEDaS15_S16_EUlS15_E_NS1_11comp_targetILNS1_3genE2ELNS1_11target_archE906ELNS1_3gpuE6ELNS1_3repE0EEENS1_30default_config_static_selectorELNS0_4arch9wavefront6targetE1EEEvT1_ ; -- Begin function _ZN7rocprim17ROCPRIM_400000_NS6detail17trampoline_kernelINS0_14default_configENS1_25partition_config_selectorILNS1_17partition_subalgoE9EllbEEZZNS1_14partition_implILS5_9ELb0ES3_jPlS8_PNS0_10empty_typeENS0_5tupleIJS8_S9_EEENSB_IJS8_SA_EEENS0_18inequality_wrapperIZN2at6native12_GLOBAL__N_124unique_dim_cuda_templateIsEESt5tupleIJNSF_6TensorESK_SK_EERKSK_lbbbEUlllE0_EEPmJS9_EEE10hipError_tPvRmT3_T4_T5_T6_T7_T9_mT8_P12ihipStream_tbDpT10_ENKUlT_T0_E_clISt17integral_constantIbLb0EES19_IbLb1EEEEDaS15_S16_EUlS15_E_NS1_11comp_targetILNS1_3genE2ELNS1_11target_archE906ELNS1_3gpuE6ELNS1_3repE0EEENS1_30default_config_static_selectorELNS0_4arch9wavefront6targetE1EEEvT1_
	.p2align	8
	.type	_ZN7rocprim17ROCPRIM_400000_NS6detail17trampoline_kernelINS0_14default_configENS1_25partition_config_selectorILNS1_17partition_subalgoE9EllbEEZZNS1_14partition_implILS5_9ELb0ES3_jPlS8_PNS0_10empty_typeENS0_5tupleIJS8_S9_EEENSB_IJS8_SA_EEENS0_18inequality_wrapperIZN2at6native12_GLOBAL__N_124unique_dim_cuda_templateIsEESt5tupleIJNSF_6TensorESK_SK_EERKSK_lbbbEUlllE0_EEPmJS9_EEE10hipError_tPvRmT3_T4_T5_T6_T7_T9_mT8_P12ihipStream_tbDpT10_ENKUlT_T0_E_clISt17integral_constantIbLb0EES19_IbLb1EEEEDaS15_S16_EUlS15_E_NS1_11comp_targetILNS1_3genE2ELNS1_11target_archE906ELNS1_3gpuE6ELNS1_3repE0EEENS1_30default_config_static_selectorELNS0_4arch9wavefront6targetE1EEEvT1_,@function
_ZN7rocprim17ROCPRIM_400000_NS6detail17trampoline_kernelINS0_14default_configENS1_25partition_config_selectorILNS1_17partition_subalgoE9EllbEEZZNS1_14partition_implILS5_9ELb0ES3_jPlS8_PNS0_10empty_typeENS0_5tupleIJS8_S9_EEENSB_IJS8_SA_EEENS0_18inequality_wrapperIZN2at6native12_GLOBAL__N_124unique_dim_cuda_templateIsEESt5tupleIJNSF_6TensorESK_SK_EERKSK_lbbbEUlllE0_EEPmJS9_EEE10hipError_tPvRmT3_T4_T5_T6_T7_T9_mT8_P12ihipStream_tbDpT10_ENKUlT_T0_E_clISt17integral_constantIbLb0EES19_IbLb1EEEEDaS15_S16_EUlS15_E_NS1_11comp_targetILNS1_3genE2ELNS1_11target_archE906ELNS1_3gpuE6ELNS1_3repE0EEENS1_30default_config_static_selectorELNS0_4arch9wavefront6targetE1EEEvT1_: ; @_ZN7rocprim17ROCPRIM_400000_NS6detail17trampoline_kernelINS0_14default_configENS1_25partition_config_selectorILNS1_17partition_subalgoE9EllbEEZZNS1_14partition_implILS5_9ELb0ES3_jPlS8_PNS0_10empty_typeENS0_5tupleIJS8_S9_EEENSB_IJS8_SA_EEENS0_18inequality_wrapperIZN2at6native12_GLOBAL__N_124unique_dim_cuda_templateIsEESt5tupleIJNSF_6TensorESK_SK_EERKSK_lbbbEUlllE0_EEPmJS9_EEE10hipError_tPvRmT3_T4_T5_T6_T7_T9_mT8_P12ihipStream_tbDpT10_ENKUlT_T0_E_clISt17integral_constantIbLb0EES19_IbLb1EEEEDaS15_S16_EUlS15_E_NS1_11comp_targetILNS1_3genE2ELNS1_11target_archE906ELNS1_3gpuE6ELNS1_3repE0EEENS1_30default_config_static_selectorELNS0_4arch9wavefront6targetE1EEEvT1_
; %bb.0:
	.section	.rodata,"a",@progbits
	.p2align	6, 0x0
	.amdhsa_kernel _ZN7rocprim17ROCPRIM_400000_NS6detail17trampoline_kernelINS0_14default_configENS1_25partition_config_selectorILNS1_17partition_subalgoE9EllbEEZZNS1_14partition_implILS5_9ELb0ES3_jPlS8_PNS0_10empty_typeENS0_5tupleIJS8_S9_EEENSB_IJS8_SA_EEENS0_18inequality_wrapperIZN2at6native12_GLOBAL__N_124unique_dim_cuda_templateIsEESt5tupleIJNSF_6TensorESK_SK_EERKSK_lbbbEUlllE0_EEPmJS9_EEE10hipError_tPvRmT3_T4_T5_T6_T7_T9_mT8_P12ihipStream_tbDpT10_ENKUlT_T0_E_clISt17integral_constantIbLb0EES19_IbLb1EEEEDaS15_S16_EUlS15_E_NS1_11comp_targetILNS1_3genE2ELNS1_11target_archE906ELNS1_3gpuE6ELNS1_3repE0EEENS1_30default_config_static_selectorELNS0_4arch9wavefront6targetE1EEEvT1_
		.amdhsa_group_segment_fixed_size 0
		.amdhsa_private_segment_fixed_size 0
		.amdhsa_kernarg_size 136
		.amdhsa_user_sgpr_count 2
		.amdhsa_user_sgpr_dispatch_ptr 0
		.amdhsa_user_sgpr_queue_ptr 0
		.amdhsa_user_sgpr_kernarg_segment_ptr 1
		.amdhsa_user_sgpr_dispatch_id 0
		.amdhsa_user_sgpr_kernarg_preload_length 0
		.amdhsa_user_sgpr_kernarg_preload_offset 0
		.amdhsa_user_sgpr_private_segment_size 0
		.amdhsa_uses_dynamic_stack 0
		.amdhsa_enable_private_segment 0
		.amdhsa_system_sgpr_workgroup_id_x 1
		.amdhsa_system_sgpr_workgroup_id_y 0
		.amdhsa_system_sgpr_workgroup_id_z 0
		.amdhsa_system_sgpr_workgroup_info 0
		.amdhsa_system_vgpr_workitem_id 0
		.amdhsa_next_free_vgpr 1
		.amdhsa_next_free_sgpr 0
		.amdhsa_accum_offset 4
		.amdhsa_reserve_vcc 0
		.amdhsa_float_round_mode_32 0
		.amdhsa_float_round_mode_16_64 0
		.amdhsa_float_denorm_mode_32 3
		.amdhsa_float_denorm_mode_16_64 3
		.amdhsa_dx10_clamp 1
		.amdhsa_ieee_mode 1
		.amdhsa_fp16_overflow 0
		.amdhsa_tg_split 0
		.amdhsa_exception_fp_ieee_invalid_op 0
		.amdhsa_exception_fp_denorm_src 0
		.amdhsa_exception_fp_ieee_div_zero 0
		.amdhsa_exception_fp_ieee_overflow 0
		.amdhsa_exception_fp_ieee_underflow 0
		.amdhsa_exception_fp_ieee_inexact 0
		.amdhsa_exception_int_div_zero 0
	.end_amdhsa_kernel
	.section	.text._ZN7rocprim17ROCPRIM_400000_NS6detail17trampoline_kernelINS0_14default_configENS1_25partition_config_selectorILNS1_17partition_subalgoE9EllbEEZZNS1_14partition_implILS5_9ELb0ES3_jPlS8_PNS0_10empty_typeENS0_5tupleIJS8_S9_EEENSB_IJS8_SA_EEENS0_18inequality_wrapperIZN2at6native12_GLOBAL__N_124unique_dim_cuda_templateIsEESt5tupleIJNSF_6TensorESK_SK_EERKSK_lbbbEUlllE0_EEPmJS9_EEE10hipError_tPvRmT3_T4_T5_T6_T7_T9_mT8_P12ihipStream_tbDpT10_ENKUlT_T0_E_clISt17integral_constantIbLb0EES19_IbLb1EEEEDaS15_S16_EUlS15_E_NS1_11comp_targetILNS1_3genE2ELNS1_11target_archE906ELNS1_3gpuE6ELNS1_3repE0EEENS1_30default_config_static_selectorELNS0_4arch9wavefront6targetE1EEEvT1_,"axG",@progbits,_ZN7rocprim17ROCPRIM_400000_NS6detail17trampoline_kernelINS0_14default_configENS1_25partition_config_selectorILNS1_17partition_subalgoE9EllbEEZZNS1_14partition_implILS5_9ELb0ES3_jPlS8_PNS0_10empty_typeENS0_5tupleIJS8_S9_EEENSB_IJS8_SA_EEENS0_18inequality_wrapperIZN2at6native12_GLOBAL__N_124unique_dim_cuda_templateIsEESt5tupleIJNSF_6TensorESK_SK_EERKSK_lbbbEUlllE0_EEPmJS9_EEE10hipError_tPvRmT3_T4_T5_T6_T7_T9_mT8_P12ihipStream_tbDpT10_ENKUlT_T0_E_clISt17integral_constantIbLb0EES19_IbLb1EEEEDaS15_S16_EUlS15_E_NS1_11comp_targetILNS1_3genE2ELNS1_11target_archE906ELNS1_3gpuE6ELNS1_3repE0EEENS1_30default_config_static_selectorELNS0_4arch9wavefront6targetE1EEEvT1_,comdat
.Lfunc_end745:
	.size	_ZN7rocprim17ROCPRIM_400000_NS6detail17trampoline_kernelINS0_14default_configENS1_25partition_config_selectorILNS1_17partition_subalgoE9EllbEEZZNS1_14partition_implILS5_9ELb0ES3_jPlS8_PNS0_10empty_typeENS0_5tupleIJS8_S9_EEENSB_IJS8_SA_EEENS0_18inequality_wrapperIZN2at6native12_GLOBAL__N_124unique_dim_cuda_templateIsEESt5tupleIJNSF_6TensorESK_SK_EERKSK_lbbbEUlllE0_EEPmJS9_EEE10hipError_tPvRmT3_T4_T5_T6_T7_T9_mT8_P12ihipStream_tbDpT10_ENKUlT_T0_E_clISt17integral_constantIbLb0EES19_IbLb1EEEEDaS15_S16_EUlS15_E_NS1_11comp_targetILNS1_3genE2ELNS1_11target_archE906ELNS1_3gpuE6ELNS1_3repE0EEENS1_30default_config_static_selectorELNS0_4arch9wavefront6targetE1EEEvT1_, .Lfunc_end745-_ZN7rocprim17ROCPRIM_400000_NS6detail17trampoline_kernelINS0_14default_configENS1_25partition_config_selectorILNS1_17partition_subalgoE9EllbEEZZNS1_14partition_implILS5_9ELb0ES3_jPlS8_PNS0_10empty_typeENS0_5tupleIJS8_S9_EEENSB_IJS8_SA_EEENS0_18inequality_wrapperIZN2at6native12_GLOBAL__N_124unique_dim_cuda_templateIsEESt5tupleIJNSF_6TensorESK_SK_EERKSK_lbbbEUlllE0_EEPmJS9_EEE10hipError_tPvRmT3_T4_T5_T6_T7_T9_mT8_P12ihipStream_tbDpT10_ENKUlT_T0_E_clISt17integral_constantIbLb0EES19_IbLb1EEEEDaS15_S16_EUlS15_E_NS1_11comp_targetILNS1_3genE2ELNS1_11target_archE906ELNS1_3gpuE6ELNS1_3repE0EEENS1_30default_config_static_selectorELNS0_4arch9wavefront6targetE1EEEvT1_
                                        ; -- End function
	.set _ZN7rocprim17ROCPRIM_400000_NS6detail17trampoline_kernelINS0_14default_configENS1_25partition_config_selectorILNS1_17partition_subalgoE9EllbEEZZNS1_14partition_implILS5_9ELb0ES3_jPlS8_PNS0_10empty_typeENS0_5tupleIJS8_S9_EEENSB_IJS8_SA_EEENS0_18inequality_wrapperIZN2at6native12_GLOBAL__N_124unique_dim_cuda_templateIsEESt5tupleIJNSF_6TensorESK_SK_EERKSK_lbbbEUlllE0_EEPmJS9_EEE10hipError_tPvRmT3_T4_T5_T6_T7_T9_mT8_P12ihipStream_tbDpT10_ENKUlT_T0_E_clISt17integral_constantIbLb0EES19_IbLb1EEEEDaS15_S16_EUlS15_E_NS1_11comp_targetILNS1_3genE2ELNS1_11target_archE906ELNS1_3gpuE6ELNS1_3repE0EEENS1_30default_config_static_selectorELNS0_4arch9wavefront6targetE1EEEvT1_.num_vgpr, 0
	.set _ZN7rocprim17ROCPRIM_400000_NS6detail17trampoline_kernelINS0_14default_configENS1_25partition_config_selectorILNS1_17partition_subalgoE9EllbEEZZNS1_14partition_implILS5_9ELb0ES3_jPlS8_PNS0_10empty_typeENS0_5tupleIJS8_S9_EEENSB_IJS8_SA_EEENS0_18inequality_wrapperIZN2at6native12_GLOBAL__N_124unique_dim_cuda_templateIsEESt5tupleIJNSF_6TensorESK_SK_EERKSK_lbbbEUlllE0_EEPmJS9_EEE10hipError_tPvRmT3_T4_T5_T6_T7_T9_mT8_P12ihipStream_tbDpT10_ENKUlT_T0_E_clISt17integral_constantIbLb0EES19_IbLb1EEEEDaS15_S16_EUlS15_E_NS1_11comp_targetILNS1_3genE2ELNS1_11target_archE906ELNS1_3gpuE6ELNS1_3repE0EEENS1_30default_config_static_selectorELNS0_4arch9wavefront6targetE1EEEvT1_.num_agpr, 0
	.set _ZN7rocprim17ROCPRIM_400000_NS6detail17trampoline_kernelINS0_14default_configENS1_25partition_config_selectorILNS1_17partition_subalgoE9EllbEEZZNS1_14partition_implILS5_9ELb0ES3_jPlS8_PNS0_10empty_typeENS0_5tupleIJS8_S9_EEENSB_IJS8_SA_EEENS0_18inequality_wrapperIZN2at6native12_GLOBAL__N_124unique_dim_cuda_templateIsEESt5tupleIJNSF_6TensorESK_SK_EERKSK_lbbbEUlllE0_EEPmJS9_EEE10hipError_tPvRmT3_T4_T5_T6_T7_T9_mT8_P12ihipStream_tbDpT10_ENKUlT_T0_E_clISt17integral_constantIbLb0EES19_IbLb1EEEEDaS15_S16_EUlS15_E_NS1_11comp_targetILNS1_3genE2ELNS1_11target_archE906ELNS1_3gpuE6ELNS1_3repE0EEENS1_30default_config_static_selectorELNS0_4arch9wavefront6targetE1EEEvT1_.numbered_sgpr, 0
	.set _ZN7rocprim17ROCPRIM_400000_NS6detail17trampoline_kernelINS0_14default_configENS1_25partition_config_selectorILNS1_17partition_subalgoE9EllbEEZZNS1_14partition_implILS5_9ELb0ES3_jPlS8_PNS0_10empty_typeENS0_5tupleIJS8_S9_EEENSB_IJS8_SA_EEENS0_18inequality_wrapperIZN2at6native12_GLOBAL__N_124unique_dim_cuda_templateIsEESt5tupleIJNSF_6TensorESK_SK_EERKSK_lbbbEUlllE0_EEPmJS9_EEE10hipError_tPvRmT3_T4_T5_T6_T7_T9_mT8_P12ihipStream_tbDpT10_ENKUlT_T0_E_clISt17integral_constantIbLb0EES19_IbLb1EEEEDaS15_S16_EUlS15_E_NS1_11comp_targetILNS1_3genE2ELNS1_11target_archE906ELNS1_3gpuE6ELNS1_3repE0EEENS1_30default_config_static_selectorELNS0_4arch9wavefront6targetE1EEEvT1_.num_named_barrier, 0
	.set _ZN7rocprim17ROCPRIM_400000_NS6detail17trampoline_kernelINS0_14default_configENS1_25partition_config_selectorILNS1_17partition_subalgoE9EllbEEZZNS1_14partition_implILS5_9ELb0ES3_jPlS8_PNS0_10empty_typeENS0_5tupleIJS8_S9_EEENSB_IJS8_SA_EEENS0_18inequality_wrapperIZN2at6native12_GLOBAL__N_124unique_dim_cuda_templateIsEESt5tupleIJNSF_6TensorESK_SK_EERKSK_lbbbEUlllE0_EEPmJS9_EEE10hipError_tPvRmT3_T4_T5_T6_T7_T9_mT8_P12ihipStream_tbDpT10_ENKUlT_T0_E_clISt17integral_constantIbLb0EES19_IbLb1EEEEDaS15_S16_EUlS15_E_NS1_11comp_targetILNS1_3genE2ELNS1_11target_archE906ELNS1_3gpuE6ELNS1_3repE0EEENS1_30default_config_static_selectorELNS0_4arch9wavefront6targetE1EEEvT1_.private_seg_size, 0
	.set _ZN7rocprim17ROCPRIM_400000_NS6detail17trampoline_kernelINS0_14default_configENS1_25partition_config_selectorILNS1_17partition_subalgoE9EllbEEZZNS1_14partition_implILS5_9ELb0ES3_jPlS8_PNS0_10empty_typeENS0_5tupleIJS8_S9_EEENSB_IJS8_SA_EEENS0_18inequality_wrapperIZN2at6native12_GLOBAL__N_124unique_dim_cuda_templateIsEESt5tupleIJNSF_6TensorESK_SK_EERKSK_lbbbEUlllE0_EEPmJS9_EEE10hipError_tPvRmT3_T4_T5_T6_T7_T9_mT8_P12ihipStream_tbDpT10_ENKUlT_T0_E_clISt17integral_constantIbLb0EES19_IbLb1EEEEDaS15_S16_EUlS15_E_NS1_11comp_targetILNS1_3genE2ELNS1_11target_archE906ELNS1_3gpuE6ELNS1_3repE0EEENS1_30default_config_static_selectorELNS0_4arch9wavefront6targetE1EEEvT1_.uses_vcc, 0
	.set _ZN7rocprim17ROCPRIM_400000_NS6detail17trampoline_kernelINS0_14default_configENS1_25partition_config_selectorILNS1_17partition_subalgoE9EllbEEZZNS1_14partition_implILS5_9ELb0ES3_jPlS8_PNS0_10empty_typeENS0_5tupleIJS8_S9_EEENSB_IJS8_SA_EEENS0_18inequality_wrapperIZN2at6native12_GLOBAL__N_124unique_dim_cuda_templateIsEESt5tupleIJNSF_6TensorESK_SK_EERKSK_lbbbEUlllE0_EEPmJS9_EEE10hipError_tPvRmT3_T4_T5_T6_T7_T9_mT8_P12ihipStream_tbDpT10_ENKUlT_T0_E_clISt17integral_constantIbLb0EES19_IbLb1EEEEDaS15_S16_EUlS15_E_NS1_11comp_targetILNS1_3genE2ELNS1_11target_archE906ELNS1_3gpuE6ELNS1_3repE0EEENS1_30default_config_static_selectorELNS0_4arch9wavefront6targetE1EEEvT1_.uses_flat_scratch, 0
	.set _ZN7rocprim17ROCPRIM_400000_NS6detail17trampoline_kernelINS0_14default_configENS1_25partition_config_selectorILNS1_17partition_subalgoE9EllbEEZZNS1_14partition_implILS5_9ELb0ES3_jPlS8_PNS0_10empty_typeENS0_5tupleIJS8_S9_EEENSB_IJS8_SA_EEENS0_18inequality_wrapperIZN2at6native12_GLOBAL__N_124unique_dim_cuda_templateIsEESt5tupleIJNSF_6TensorESK_SK_EERKSK_lbbbEUlllE0_EEPmJS9_EEE10hipError_tPvRmT3_T4_T5_T6_T7_T9_mT8_P12ihipStream_tbDpT10_ENKUlT_T0_E_clISt17integral_constantIbLb0EES19_IbLb1EEEEDaS15_S16_EUlS15_E_NS1_11comp_targetILNS1_3genE2ELNS1_11target_archE906ELNS1_3gpuE6ELNS1_3repE0EEENS1_30default_config_static_selectorELNS0_4arch9wavefront6targetE1EEEvT1_.has_dyn_sized_stack, 0
	.set _ZN7rocprim17ROCPRIM_400000_NS6detail17trampoline_kernelINS0_14default_configENS1_25partition_config_selectorILNS1_17partition_subalgoE9EllbEEZZNS1_14partition_implILS5_9ELb0ES3_jPlS8_PNS0_10empty_typeENS0_5tupleIJS8_S9_EEENSB_IJS8_SA_EEENS0_18inequality_wrapperIZN2at6native12_GLOBAL__N_124unique_dim_cuda_templateIsEESt5tupleIJNSF_6TensorESK_SK_EERKSK_lbbbEUlllE0_EEPmJS9_EEE10hipError_tPvRmT3_T4_T5_T6_T7_T9_mT8_P12ihipStream_tbDpT10_ENKUlT_T0_E_clISt17integral_constantIbLb0EES19_IbLb1EEEEDaS15_S16_EUlS15_E_NS1_11comp_targetILNS1_3genE2ELNS1_11target_archE906ELNS1_3gpuE6ELNS1_3repE0EEENS1_30default_config_static_selectorELNS0_4arch9wavefront6targetE1EEEvT1_.has_recursion, 0
	.set _ZN7rocprim17ROCPRIM_400000_NS6detail17trampoline_kernelINS0_14default_configENS1_25partition_config_selectorILNS1_17partition_subalgoE9EllbEEZZNS1_14partition_implILS5_9ELb0ES3_jPlS8_PNS0_10empty_typeENS0_5tupleIJS8_S9_EEENSB_IJS8_SA_EEENS0_18inequality_wrapperIZN2at6native12_GLOBAL__N_124unique_dim_cuda_templateIsEESt5tupleIJNSF_6TensorESK_SK_EERKSK_lbbbEUlllE0_EEPmJS9_EEE10hipError_tPvRmT3_T4_T5_T6_T7_T9_mT8_P12ihipStream_tbDpT10_ENKUlT_T0_E_clISt17integral_constantIbLb0EES19_IbLb1EEEEDaS15_S16_EUlS15_E_NS1_11comp_targetILNS1_3genE2ELNS1_11target_archE906ELNS1_3gpuE6ELNS1_3repE0EEENS1_30default_config_static_selectorELNS0_4arch9wavefront6targetE1EEEvT1_.has_indirect_call, 0
	.section	.AMDGPU.csdata,"",@progbits
; Kernel info:
; codeLenInByte = 0
; TotalNumSgprs: 6
; NumVgprs: 0
; NumAgprs: 0
; TotalNumVgprs: 0
; ScratchSize: 0
; MemoryBound: 0
; FloatMode: 240
; IeeeMode: 1
; LDSByteSize: 0 bytes/workgroup (compile time only)
; SGPRBlocks: 0
; VGPRBlocks: 0
; NumSGPRsForWavesPerEU: 6
; NumVGPRsForWavesPerEU: 1
; AccumOffset: 4
; Occupancy: 8
; WaveLimiterHint : 0
; COMPUTE_PGM_RSRC2:SCRATCH_EN: 0
; COMPUTE_PGM_RSRC2:USER_SGPR: 2
; COMPUTE_PGM_RSRC2:TRAP_HANDLER: 0
; COMPUTE_PGM_RSRC2:TGID_X_EN: 1
; COMPUTE_PGM_RSRC2:TGID_Y_EN: 0
; COMPUTE_PGM_RSRC2:TGID_Z_EN: 0
; COMPUTE_PGM_RSRC2:TIDIG_COMP_CNT: 0
; COMPUTE_PGM_RSRC3_GFX90A:ACCUM_OFFSET: 0
; COMPUTE_PGM_RSRC3_GFX90A:TG_SPLIT: 0
	.section	.text._ZN7rocprim17ROCPRIM_400000_NS6detail17trampoline_kernelINS0_14default_configENS1_25partition_config_selectorILNS1_17partition_subalgoE9EllbEEZZNS1_14partition_implILS5_9ELb0ES3_jPlS8_PNS0_10empty_typeENS0_5tupleIJS8_S9_EEENSB_IJS8_SA_EEENS0_18inequality_wrapperIZN2at6native12_GLOBAL__N_124unique_dim_cuda_templateIsEESt5tupleIJNSF_6TensorESK_SK_EERKSK_lbbbEUlllE0_EEPmJS9_EEE10hipError_tPvRmT3_T4_T5_T6_T7_T9_mT8_P12ihipStream_tbDpT10_ENKUlT_T0_E_clISt17integral_constantIbLb0EES19_IbLb1EEEEDaS15_S16_EUlS15_E_NS1_11comp_targetILNS1_3genE10ELNS1_11target_archE1200ELNS1_3gpuE4ELNS1_3repE0EEENS1_30default_config_static_selectorELNS0_4arch9wavefront6targetE1EEEvT1_,"axG",@progbits,_ZN7rocprim17ROCPRIM_400000_NS6detail17trampoline_kernelINS0_14default_configENS1_25partition_config_selectorILNS1_17partition_subalgoE9EllbEEZZNS1_14partition_implILS5_9ELb0ES3_jPlS8_PNS0_10empty_typeENS0_5tupleIJS8_S9_EEENSB_IJS8_SA_EEENS0_18inequality_wrapperIZN2at6native12_GLOBAL__N_124unique_dim_cuda_templateIsEESt5tupleIJNSF_6TensorESK_SK_EERKSK_lbbbEUlllE0_EEPmJS9_EEE10hipError_tPvRmT3_T4_T5_T6_T7_T9_mT8_P12ihipStream_tbDpT10_ENKUlT_T0_E_clISt17integral_constantIbLb0EES19_IbLb1EEEEDaS15_S16_EUlS15_E_NS1_11comp_targetILNS1_3genE10ELNS1_11target_archE1200ELNS1_3gpuE4ELNS1_3repE0EEENS1_30default_config_static_selectorELNS0_4arch9wavefront6targetE1EEEvT1_,comdat
	.globl	_ZN7rocprim17ROCPRIM_400000_NS6detail17trampoline_kernelINS0_14default_configENS1_25partition_config_selectorILNS1_17partition_subalgoE9EllbEEZZNS1_14partition_implILS5_9ELb0ES3_jPlS8_PNS0_10empty_typeENS0_5tupleIJS8_S9_EEENSB_IJS8_SA_EEENS0_18inequality_wrapperIZN2at6native12_GLOBAL__N_124unique_dim_cuda_templateIsEESt5tupleIJNSF_6TensorESK_SK_EERKSK_lbbbEUlllE0_EEPmJS9_EEE10hipError_tPvRmT3_T4_T5_T6_T7_T9_mT8_P12ihipStream_tbDpT10_ENKUlT_T0_E_clISt17integral_constantIbLb0EES19_IbLb1EEEEDaS15_S16_EUlS15_E_NS1_11comp_targetILNS1_3genE10ELNS1_11target_archE1200ELNS1_3gpuE4ELNS1_3repE0EEENS1_30default_config_static_selectorELNS0_4arch9wavefront6targetE1EEEvT1_ ; -- Begin function _ZN7rocprim17ROCPRIM_400000_NS6detail17trampoline_kernelINS0_14default_configENS1_25partition_config_selectorILNS1_17partition_subalgoE9EllbEEZZNS1_14partition_implILS5_9ELb0ES3_jPlS8_PNS0_10empty_typeENS0_5tupleIJS8_S9_EEENSB_IJS8_SA_EEENS0_18inequality_wrapperIZN2at6native12_GLOBAL__N_124unique_dim_cuda_templateIsEESt5tupleIJNSF_6TensorESK_SK_EERKSK_lbbbEUlllE0_EEPmJS9_EEE10hipError_tPvRmT3_T4_T5_T6_T7_T9_mT8_P12ihipStream_tbDpT10_ENKUlT_T0_E_clISt17integral_constantIbLb0EES19_IbLb1EEEEDaS15_S16_EUlS15_E_NS1_11comp_targetILNS1_3genE10ELNS1_11target_archE1200ELNS1_3gpuE4ELNS1_3repE0EEENS1_30default_config_static_selectorELNS0_4arch9wavefront6targetE1EEEvT1_
	.p2align	8
	.type	_ZN7rocprim17ROCPRIM_400000_NS6detail17trampoline_kernelINS0_14default_configENS1_25partition_config_selectorILNS1_17partition_subalgoE9EllbEEZZNS1_14partition_implILS5_9ELb0ES3_jPlS8_PNS0_10empty_typeENS0_5tupleIJS8_S9_EEENSB_IJS8_SA_EEENS0_18inequality_wrapperIZN2at6native12_GLOBAL__N_124unique_dim_cuda_templateIsEESt5tupleIJNSF_6TensorESK_SK_EERKSK_lbbbEUlllE0_EEPmJS9_EEE10hipError_tPvRmT3_T4_T5_T6_T7_T9_mT8_P12ihipStream_tbDpT10_ENKUlT_T0_E_clISt17integral_constantIbLb0EES19_IbLb1EEEEDaS15_S16_EUlS15_E_NS1_11comp_targetILNS1_3genE10ELNS1_11target_archE1200ELNS1_3gpuE4ELNS1_3repE0EEENS1_30default_config_static_selectorELNS0_4arch9wavefront6targetE1EEEvT1_,@function
_ZN7rocprim17ROCPRIM_400000_NS6detail17trampoline_kernelINS0_14default_configENS1_25partition_config_selectorILNS1_17partition_subalgoE9EllbEEZZNS1_14partition_implILS5_9ELb0ES3_jPlS8_PNS0_10empty_typeENS0_5tupleIJS8_S9_EEENSB_IJS8_SA_EEENS0_18inequality_wrapperIZN2at6native12_GLOBAL__N_124unique_dim_cuda_templateIsEESt5tupleIJNSF_6TensorESK_SK_EERKSK_lbbbEUlllE0_EEPmJS9_EEE10hipError_tPvRmT3_T4_T5_T6_T7_T9_mT8_P12ihipStream_tbDpT10_ENKUlT_T0_E_clISt17integral_constantIbLb0EES19_IbLb1EEEEDaS15_S16_EUlS15_E_NS1_11comp_targetILNS1_3genE10ELNS1_11target_archE1200ELNS1_3gpuE4ELNS1_3repE0EEENS1_30default_config_static_selectorELNS0_4arch9wavefront6targetE1EEEvT1_: ; @_ZN7rocprim17ROCPRIM_400000_NS6detail17trampoline_kernelINS0_14default_configENS1_25partition_config_selectorILNS1_17partition_subalgoE9EllbEEZZNS1_14partition_implILS5_9ELb0ES3_jPlS8_PNS0_10empty_typeENS0_5tupleIJS8_S9_EEENSB_IJS8_SA_EEENS0_18inequality_wrapperIZN2at6native12_GLOBAL__N_124unique_dim_cuda_templateIsEESt5tupleIJNSF_6TensorESK_SK_EERKSK_lbbbEUlllE0_EEPmJS9_EEE10hipError_tPvRmT3_T4_T5_T6_T7_T9_mT8_P12ihipStream_tbDpT10_ENKUlT_T0_E_clISt17integral_constantIbLb0EES19_IbLb1EEEEDaS15_S16_EUlS15_E_NS1_11comp_targetILNS1_3genE10ELNS1_11target_archE1200ELNS1_3gpuE4ELNS1_3repE0EEENS1_30default_config_static_selectorELNS0_4arch9wavefront6targetE1EEEvT1_
; %bb.0:
	.section	.rodata,"a",@progbits
	.p2align	6, 0x0
	.amdhsa_kernel _ZN7rocprim17ROCPRIM_400000_NS6detail17trampoline_kernelINS0_14default_configENS1_25partition_config_selectorILNS1_17partition_subalgoE9EllbEEZZNS1_14partition_implILS5_9ELb0ES3_jPlS8_PNS0_10empty_typeENS0_5tupleIJS8_S9_EEENSB_IJS8_SA_EEENS0_18inequality_wrapperIZN2at6native12_GLOBAL__N_124unique_dim_cuda_templateIsEESt5tupleIJNSF_6TensorESK_SK_EERKSK_lbbbEUlllE0_EEPmJS9_EEE10hipError_tPvRmT3_T4_T5_T6_T7_T9_mT8_P12ihipStream_tbDpT10_ENKUlT_T0_E_clISt17integral_constantIbLb0EES19_IbLb1EEEEDaS15_S16_EUlS15_E_NS1_11comp_targetILNS1_3genE10ELNS1_11target_archE1200ELNS1_3gpuE4ELNS1_3repE0EEENS1_30default_config_static_selectorELNS0_4arch9wavefront6targetE1EEEvT1_
		.amdhsa_group_segment_fixed_size 0
		.amdhsa_private_segment_fixed_size 0
		.amdhsa_kernarg_size 136
		.amdhsa_user_sgpr_count 2
		.amdhsa_user_sgpr_dispatch_ptr 0
		.amdhsa_user_sgpr_queue_ptr 0
		.amdhsa_user_sgpr_kernarg_segment_ptr 1
		.amdhsa_user_sgpr_dispatch_id 0
		.amdhsa_user_sgpr_kernarg_preload_length 0
		.amdhsa_user_sgpr_kernarg_preload_offset 0
		.amdhsa_user_sgpr_private_segment_size 0
		.amdhsa_uses_dynamic_stack 0
		.amdhsa_enable_private_segment 0
		.amdhsa_system_sgpr_workgroup_id_x 1
		.amdhsa_system_sgpr_workgroup_id_y 0
		.amdhsa_system_sgpr_workgroup_id_z 0
		.amdhsa_system_sgpr_workgroup_info 0
		.amdhsa_system_vgpr_workitem_id 0
		.amdhsa_next_free_vgpr 1
		.amdhsa_next_free_sgpr 0
		.amdhsa_accum_offset 4
		.amdhsa_reserve_vcc 0
		.amdhsa_float_round_mode_32 0
		.amdhsa_float_round_mode_16_64 0
		.amdhsa_float_denorm_mode_32 3
		.amdhsa_float_denorm_mode_16_64 3
		.amdhsa_dx10_clamp 1
		.amdhsa_ieee_mode 1
		.amdhsa_fp16_overflow 0
		.amdhsa_tg_split 0
		.amdhsa_exception_fp_ieee_invalid_op 0
		.amdhsa_exception_fp_denorm_src 0
		.amdhsa_exception_fp_ieee_div_zero 0
		.amdhsa_exception_fp_ieee_overflow 0
		.amdhsa_exception_fp_ieee_underflow 0
		.amdhsa_exception_fp_ieee_inexact 0
		.amdhsa_exception_int_div_zero 0
	.end_amdhsa_kernel
	.section	.text._ZN7rocprim17ROCPRIM_400000_NS6detail17trampoline_kernelINS0_14default_configENS1_25partition_config_selectorILNS1_17partition_subalgoE9EllbEEZZNS1_14partition_implILS5_9ELb0ES3_jPlS8_PNS0_10empty_typeENS0_5tupleIJS8_S9_EEENSB_IJS8_SA_EEENS0_18inequality_wrapperIZN2at6native12_GLOBAL__N_124unique_dim_cuda_templateIsEESt5tupleIJNSF_6TensorESK_SK_EERKSK_lbbbEUlllE0_EEPmJS9_EEE10hipError_tPvRmT3_T4_T5_T6_T7_T9_mT8_P12ihipStream_tbDpT10_ENKUlT_T0_E_clISt17integral_constantIbLb0EES19_IbLb1EEEEDaS15_S16_EUlS15_E_NS1_11comp_targetILNS1_3genE10ELNS1_11target_archE1200ELNS1_3gpuE4ELNS1_3repE0EEENS1_30default_config_static_selectorELNS0_4arch9wavefront6targetE1EEEvT1_,"axG",@progbits,_ZN7rocprim17ROCPRIM_400000_NS6detail17trampoline_kernelINS0_14default_configENS1_25partition_config_selectorILNS1_17partition_subalgoE9EllbEEZZNS1_14partition_implILS5_9ELb0ES3_jPlS8_PNS0_10empty_typeENS0_5tupleIJS8_S9_EEENSB_IJS8_SA_EEENS0_18inequality_wrapperIZN2at6native12_GLOBAL__N_124unique_dim_cuda_templateIsEESt5tupleIJNSF_6TensorESK_SK_EERKSK_lbbbEUlllE0_EEPmJS9_EEE10hipError_tPvRmT3_T4_T5_T6_T7_T9_mT8_P12ihipStream_tbDpT10_ENKUlT_T0_E_clISt17integral_constantIbLb0EES19_IbLb1EEEEDaS15_S16_EUlS15_E_NS1_11comp_targetILNS1_3genE10ELNS1_11target_archE1200ELNS1_3gpuE4ELNS1_3repE0EEENS1_30default_config_static_selectorELNS0_4arch9wavefront6targetE1EEEvT1_,comdat
.Lfunc_end746:
	.size	_ZN7rocprim17ROCPRIM_400000_NS6detail17trampoline_kernelINS0_14default_configENS1_25partition_config_selectorILNS1_17partition_subalgoE9EllbEEZZNS1_14partition_implILS5_9ELb0ES3_jPlS8_PNS0_10empty_typeENS0_5tupleIJS8_S9_EEENSB_IJS8_SA_EEENS0_18inequality_wrapperIZN2at6native12_GLOBAL__N_124unique_dim_cuda_templateIsEESt5tupleIJNSF_6TensorESK_SK_EERKSK_lbbbEUlllE0_EEPmJS9_EEE10hipError_tPvRmT3_T4_T5_T6_T7_T9_mT8_P12ihipStream_tbDpT10_ENKUlT_T0_E_clISt17integral_constantIbLb0EES19_IbLb1EEEEDaS15_S16_EUlS15_E_NS1_11comp_targetILNS1_3genE10ELNS1_11target_archE1200ELNS1_3gpuE4ELNS1_3repE0EEENS1_30default_config_static_selectorELNS0_4arch9wavefront6targetE1EEEvT1_, .Lfunc_end746-_ZN7rocprim17ROCPRIM_400000_NS6detail17trampoline_kernelINS0_14default_configENS1_25partition_config_selectorILNS1_17partition_subalgoE9EllbEEZZNS1_14partition_implILS5_9ELb0ES3_jPlS8_PNS0_10empty_typeENS0_5tupleIJS8_S9_EEENSB_IJS8_SA_EEENS0_18inequality_wrapperIZN2at6native12_GLOBAL__N_124unique_dim_cuda_templateIsEESt5tupleIJNSF_6TensorESK_SK_EERKSK_lbbbEUlllE0_EEPmJS9_EEE10hipError_tPvRmT3_T4_T5_T6_T7_T9_mT8_P12ihipStream_tbDpT10_ENKUlT_T0_E_clISt17integral_constantIbLb0EES19_IbLb1EEEEDaS15_S16_EUlS15_E_NS1_11comp_targetILNS1_3genE10ELNS1_11target_archE1200ELNS1_3gpuE4ELNS1_3repE0EEENS1_30default_config_static_selectorELNS0_4arch9wavefront6targetE1EEEvT1_
                                        ; -- End function
	.set _ZN7rocprim17ROCPRIM_400000_NS6detail17trampoline_kernelINS0_14default_configENS1_25partition_config_selectorILNS1_17partition_subalgoE9EllbEEZZNS1_14partition_implILS5_9ELb0ES3_jPlS8_PNS0_10empty_typeENS0_5tupleIJS8_S9_EEENSB_IJS8_SA_EEENS0_18inequality_wrapperIZN2at6native12_GLOBAL__N_124unique_dim_cuda_templateIsEESt5tupleIJNSF_6TensorESK_SK_EERKSK_lbbbEUlllE0_EEPmJS9_EEE10hipError_tPvRmT3_T4_T5_T6_T7_T9_mT8_P12ihipStream_tbDpT10_ENKUlT_T0_E_clISt17integral_constantIbLb0EES19_IbLb1EEEEDaS15_S16_EUlS15_E_NS1_11comp_targetILNS1_3genE10ELNS1_11target_archE1200ELNS1_3gpuE4ELNS1_3repE0EEENS1_30default_config_static_selectorELNS0_4arch9wavefront6targetE1EEEvT1_.num_vgpr, 0
	.set _ZN7rocprim17ROCPRIM_400000_NS6detail17trampoline_kernelINS0_14default_configENS1_25partition_config_selectorILNS1_17partition_subalgoE9EllbEEZZNS1_14partition_implILS5_9ELb0ES3_jPlS8_PNS0_10empty_typeENS0_5tupleIJS8_S9_EEENSB_IJS8_SA_EEENS0_18inequality_wrapperIZN2at6native12_GLOBAL__N_124unique_dim_cuda_templateIsEESt5tupleIJNSF_6TensorESK_SK_EERKSK_lbbbEUlllE0_EEPmJS9_EEE10hipError_tPvRmT3_T4_T5_T6_T7_T9_mT8_P12ihipStream_tbDpT10_ENKUlT_T0_E_clISt17integral_constantIbLb0EES19_IbLb1EEEEDaS15_S16_EUlS15_E_NS1_11comp_targetILNS1_3genE10ELNS1_11target_archE1200ELNS1_3gpuE4ELNS1_3repE0EEENS1_30default_config_static_selectorELNS0_4arch9wavefront6targetE1EEEvT1_.num_agpr, 0
	.set _ZN7rocprim17ROCPRIM_400000_NS6detail17trampoline_kernelINS0_14default_configENS1_25partition_config_selectorILNS1_17partition_subalgoE9EllbEEZZNS1_14partition_implILS5_9ELb0ES3_jPlS8_PNS0_10empty_typeENS0_5tupleIJS8_S9_EEENSB_IJS8_SA_EEENS0_18inequality_wrapperIZN2at6native12_GLOBAL__N_124unique_dim_cuda_templateIsEESt5tupleIJNSF_6TensorESK_SK_EERKSK_lbbbEUlllE0_EEPmJS9_EEE10hipError_tPvRmT3_T4_T5_T6_T7_T9_mT8_P12ihipStream_tbDpT10_ENKUlT_T0_E_clISt17integral_constantIbLb0EES19_IbLb1EEEEDaS15_S16_EUlS15_E_NS1_11comp_targetILNS1_3genE10ELNS1_11target_archE1200ELNS1_3gpuE4ELNS1_3repE0EEENS1_30default_config_static_selectorELNS0_4arch9wavefront6targetE1EEEvT1_.numbered_sgpr, 0
	.set _ZN7rocprim17ROCPRIM_400000_NS6detail17trampoline_kernelINS0_14default_configENS1_25partition_config_selectorILNS1_17partition_subalgoE9EllbEEZZNS1_14partition_implILS5_9ELb0ES3_jPlS8_PNS0_10empty_typeENS0_5tupleIJS8_S9_EEENSB_IJS8_SA_EEENS0_18inequality_wrapperIZN2at6native12_GLOBAL__N_124unique_dim_cuda_templateIsEESt5tupleIJNSF_6TensorESK_SK_EERKSK_lbbbEUlllE0_EEPmJS9_EEE10hipError_tPvRmT3_T4_T5_T6_T7_T9_mT8_P12ihipStream_tbDpT10_ENKUlT_T0_E_clISt17integral_constantIbLb0EES19_IbLb1EEEEDaS15_S16_EUlS15_E_NS1_11comp_targetILNS1_3genE10ELNS1_11target_archE1200ELNS1_3gpuE4ELNS1_3repE0EEENS1_30default_config_static_selectorELNS0_4arch9wavefront6targetE1EEEvT1_.num_named_barrier, 0
	.set _ZN7rocprim17ROCPRIM_400000_NS6detail17trampoline_kernelINS0_14default_configENS1_25partition_config_selectorILNS1_17partition_subalgoE9EllbEEZZNS1_14partition_implILS5_9ELb0ES3_jPlS8_PNS0_10empty_typeENS0_5tupleIJS8_S9_EEENSB_IJS8_SA_EEENS0_18inequality_wrapperIZN2at6native12_GLOBAL__N_124unique_dim_cuda_templateIsEESt5tupleIJNSF_6TensorESK_SK_EERKSK_lbbbEUlllE0_EEPmJS9_EEE10hipError_tPvRmT3_T4_T5_T6_T7_T9_mT8_P12ihipStream_tbDpT10_ENKUlT_T0_E_clISt17integral_constantIbLb0EES19_IbLb1EEEEDaS15_S16_EUlS15_E_NS1_11comp_targetILNS1_3genE10ELNS1_11target_archE1200ELNS1_3gpuE4ELNS1_3repE0EEENS1_30default_config_static_selectorELNS0_4arch9wavefront6targetE1EEEvT1_.private_seg_size, 0
	.set _ZN7rocprim17ROCPRIM_400000_NS6detail17trampoline_kernelINS0_14default_configENS1_25partition_config_selectorILNS1_17partition_subalgoE9EllbEEZZNS1_14partition_implILS5_9ELb0ES3_jPlS8_PNS0_10empty_typeENS0_5tupleIJS8_S9_EEENSB_IJS8_SA_EEENS0_18inequality_wrapperIZN2at6native12_GLOBAL__N_124unique_dim_cuda_templateIsEESt5tupleIJNSF_6TensorESK_SK_EERKSK_lbbbEUlllE0_EEPmJS9_EEE10hipError_tPvRmT3_T4_T5_T6_T7_T9_mT8_P12ihipStream_tbDpT10_ENKUlT_T0_E_clISt17integral_constantIbLb0EES19_IbLb1EEEEDaS15_S16_EUlS15_E_NS1_11comp_targetILNS1_3genE10ELNS1_11target_archE1200ELNS1_3gpuE4ELNS1_3repE0EEENS1_30default_config_static_selectorELNS0_4arch9wavefront6targetE1EEEvT1_.uses_vcc, 0
	.set _ZN7rocprim17ROCPRIM_400000_NS6detail17trampoline_kernelINS0_14default_configENS1_25partition_config_selectorILNS1_17partition_subalgoE9EllbEEZZNS1_14partition_implILS5_9ELb0ES3_jPlS8_PNS0_10empty_typeENS0_5tupleIJS8_S9_EEENSB_IJS8_SA_EEENS0_18inequality_wrapperIZN2at6native12_GLOBAL__N_124unique_dim_cuda_templateIsEESt5tupleIJNSF_6TensorESK_SK_EERKSK_lbbbEUlllE0_EEPmJS9_EEE10hipError_tPvRmT3_T4_T5_T6_T7_T9_mT8_P12ihipStream_tbDpT10_ENKUlT_T0_E_clISt17integral_constantIbLb0EES19_IbLb1EEEEDaS15_S16_EUlS15_E_NS1_11comp_targetILNS1_3genE10ELNS1_11target_archE1200ELNS1_3gpuE4ELNS1_3repE0EEENS1_30default_config_static_selectorELNS0_4arch9wavefront6targetE1EEEvT1_.uses_flat_scratch, 0
	.set _ZN7rocprim17ROCPRIM_400000_NS6detail17trampoline_kernelINS0_14default_configENS1_25partition_config_selectorILNS1_17partition_subalgoE9EllbEEZZNS1_14partition_implILS5_9ELb0ES3_jPlS8_PNS0_10empty_typeENS0_5tupleIJS8_S9_EEENSB_IJS8_SA_EEENS0_18inequality_wrapperIZN2at6native12_GLOBAL__N_124unique_dim_cuda_templateIsEESt5tupleIJNSF_6TensorESK_SK_EERKSK_lbbbEUlllE0_EEPmJS9_EEE10hipError_tPvRmT3_T4_T5_T6_T7_T9_mT8_P12ihipStream_tbDpT10_ENKUlT_T0_E_clISt17integral_constantIbLb0EES19_IbLb1EEEEDaS15_S16_EUlS15_E_NS1_11comp_targetILNS1_3genE10ELNS1_11target_archE1200ELNS1_3gpuE4ELNS1_3repE0EEENS1_30default_config_static_selectorELNS0_4arch9wavefront6targetE1EEEvT1_.has_dyn_sized_stack, 0
	.set _ZN7rocprim17ROCPRIM_400000_NS6detail17trampoline_kernelINS0_14default_configENS1_25partition_config_selectorILNS1_17partition_subalgoE9EllbEEZZNS1_14partition_implILS5_9ELb0ES3_jPlS8_PNS0_10empty_typeENS0_5tupleIJS8_S9_EEENSB_IJS8_SA_EEENS0_18inequality_wrapperIZN2at6native12_GLOBAL__N_124unique_dim_cuda_templateIsEESt5tupleIJNSF_6TensorESK_SK_EERKSK_lbbbEUlllE0_EEPmJS9_EEE10hipError_tPvRmT3_T4_T5_T6_T7_T9_mT8_P12ihipStream_tbDpT10_ENKUlT_T0_E_clISt17integral_constantIbLb0EES19_IbLb1EEEEDaS15_S16_EUlS15_E_NS1_11comp_targetILNS1_3genE10ELNS1_11target_archE1200ELNS1_3gpuE4ELNS1_3repE0EEENS1_30default_config_static_selectorELNS0_4arch9wavefront6targetE1EEEvT1_.has_recursion, 0
	.set _ZN7rocprim17ROCPRIM_400000_NS6detail17trampoline_kernelINS0_14default_configENS1_25partition_config_selectorILNS1_17partition_subalgoE9EllbEEZZNS1_14partition_implILS5_9ELb0ES3_jPlS8_PNS0_10empty_typeENS0_5tupleIJS8_S9_EEENSB_IJS8_SA_EEENS0_18inequality_wrapperIZN2at6native12_GLOBAL__N_124unique_dim_cuda_templateIsEESt5tupleIJNSF_6TensorESK_SK_EERKSK_lbbbEUlllE0_EEPmJS9_EEE10hipError_tPvRmT3_T4_T5_T6_T7_T9_mT8_P12ihipStream_tbDpT10_ENKUlT_T0_E_clISt17integral_constantIbLb0EES19_IbLb1EEEEDaS15_S16_EUlS15_E_NS1_11comp_targetILNS1_3genE10ELNS1_11target_archE1200ELNS1_3gpuE4ELNS1_3repE0EEENS1_30default_config_static_selectorELNS0_4arch9wavefront6targetE1EEEvT1_.has_indirect_call, 0
	.section	.AMDGPU.csdata,"",@progbits
; Kernel info:
; codeLenInByte = 0
; TotalNumSgprs: 6
; NumVgprs: 0
; NumAgprs: 0
; TotalNumVgprs: 0
; ScratchSize: 0
; MemoryBound: 0
; FloatMode: 240
; IeeeMode: 1
; LDSByteSize: 0 bytes/workgroup (compile time only)
; SGPRBlocks: 0
; VGPRBlocks: 0
; NumSGPRsForWavesPerEU: 6
; NumVGPRsForWavesPerEU: 1
; AccumOffset: 4
; Occupancy: 8
; WaveLimiterHint : 0
; COMPUTE_PGM_RSRC2:SCRATCH_EN: 0
; COMPUTE_PGM_RSRC2:USER_SGPR: 2
; COMPUTE_PGM_RSRC2:TRAP_HANDLER: 0
; COMPUTE_PGM_RSRC2:TGID_X_EN: 1
; COMPUTE_PGM_RSRC2:TGID_Y_EN: 0
; COMPUTE_PGM_RSRC2:TGID_Z_EN: 0
; COMPUTE_PGM_RSRC2:TIDIG_COMP_CNT: 0
; COMPUTE_PGM_RSRC3_GFX90A:ACCUM_OFFSET: 0
; COMPUTE_PGM_RSRC3_GFX90A:TG_SPLIT: 0
	.section	.text._ZN7rocprim17ROCPRIM_400000_NS6detail17trampoline_kernelINS0_14default_configENS1_25partition_config_selectorILNS1_17partition_subalgoE9EllbEEZZNS1_14partition_implILS5_9ELb0ES3_jPlS8_PNS0_10empty_typeENS0_5tupleIJS8_S9_EEENSB_IJS8_SA_EEENS0_18inequality_wrapperIZN2at6native12_GLOBAL__N_124unique_dim_cuda_templateIsEESt5tupleIJNSF_6TensorESK_SK_EERKSK_lbbbEUlllE0_EEPmJS9_EEE10hipError_tPvRmT3_T4_T5_T6_T7_T9_mT8_P12ihipStream_tbDpT10_ENKUlT_T0_E_clISt17integral_constantIbLb0EES19_IbLb1EEEEDaS15_S16_EUlS15_E_NS1_11comp_targetILNS1_3genE9ELNS1_11target_archE1100ELNS1_3gpuE3ELNS1_3repE0EEENS1_30default_config_static_selectorELNS0_4arch9wavefront6targetE1EEEvT1_,"axG",@progbits,_ZN7rocprim17ROCPRIM_400000_NS6detail17trampoline_kernelINS0_14default_configENS1_25partition_config_selectorILNS1_17partition_subalgoE9EllbEEZZNS1_14partition_implILS5_9ELb0ES3_jPlS8_PNS0_10empty_typeENS0_5tupleIJS8_S9_EEENSB_IJS8_SA_EEENS0_18inequality_wrapperIZN2at6native12_GLOBAL__N_124unique_dim_cuda_templateIsEESt5tupleIJNSF_6TensorESK_SK_EERKSK_lbbbEUlllE0_EEPmJS9_EEE10hipError_tPvRmT3_T4_T5_T6_T7_T9_mT8_P12ihipStream_tbDpT10_ENKUlT_T0_E_clISt17integral_constantIbLb0EES19_IbLb1EEEEDaS15_S16_EUlS15_E_NS1_11comp_targetILNS1_3genE9ELNS1_11target_archE1100ELNS1_3gpuE3ELNS1_3repE0EEENS1_30default_config_static_selectorELNS0_4arch9wavefront6targetE1EEEvT1_,comdat
	.globl	_ZN7rocprim17ROCPRIM_400000_NS6detail17trampoline_kernelINS0_14default_configENS1_25partition_config_selectorILNS1_17partition_subalgoE9EllbEEZZNS1_14partition_implILS5_9ELb0ES3_jPlS8_PNS0_10empty_typeENS0_5tupleIJS8_S9_EEENSB_IJS8_SA_EEENS0_18inequality_wrapperIZN2at6native12_GLOBAL__N_124unique_dim_cuda_templateIsEESt5tupleIJNSF_6TensorESK_SK_EERKSK_lbbbEUlllE0_EEPmJS9_EEE10hipError_tPvRmT3_T4_T5_T6_T7_T9_mT8_P12ihipStream_tbDpT10_ENKUlT_T0_E_clISt17integral_constantIbLb0EES19_IbLb1EEEEDaS15_S16_EUlS15_E_NS1_11comp_targetILNS1_3genE9ELNS1_11target_archE1100ELNS1_3gpuE3ELNS1_3repE0EEENS1_30default_config_static_selectorELNS0_4arch9wavefront6targetE1EEEvT1_ ; -- Begin function _ZN7rocprim17ROCPRIM_400000_NS6detail17trampoline_kernelINS0_14default_configENS1_25partition_config_selectorILNS1_17partition_subalgoE9EllbEEZZNS1_14partition_implILS5_9ELb0ES3_jPlS8_PNS0_10empty_typeENS0_5tupleIJS8_S9_EEENSB_IJS8_SA_EEENS0_18inequality_wrapperIZN2at6native12_GLOBAL__N_124unique_dim_cuda_templateIsEESt5tupleIJNSF_6TensorESK_SK_EERKSK_lbbbEUlllE0_EEPmJS9_EEE10hipError_tPvRmT3_T4_T5_T6_T7_T9_mT8_P12ihipStream_tbDpT10_ENKUlT_T0_E_clISt17integral_constantIbLb0EES19_IbLb1EEEEDaS15_S16_EUlS15_E_NS1_11comp_targetILNS1_3genE9ELNS1_11target_archE1100ELNS1_3gpuE3ELNS1_3repE0EEENS1_30default_config_static_selectorELNS0_4arch9wavefront6targetE1EEEvT1_
	.p2align	8
	.type	_ZN7rocprim17ROCPRIM_400000_NS6detail17trampoline_kernelINS0_14default_configENS1_25partition_config_selectorILNS1_17partition_subalgoE9EllbEEZZNS1_14partition_implILS5_9ELb0ES3_jPlS8_PNS0_10empty_typeENS0_5tupleIJS8_S9_EEENSB_IJS8_SA_EEENS0_18inequality_wrapperIZN2at6native12_GLOBAL__N_124unique_dim_cuda_templateIsEESt5tupleIJNSF_6TensorESK_SK_EERKSK_lbbbEUlllE0_EEPmJS9_EEE10hipError_tPvRmT3_T4_T5_T6_T7_T9_mT8_P12ihipStream_tbDpT10_ENKUlT_T0_E_clISt17integral_constantIbLb0EES19_IbLb1EEEEDaS15_S16_EUlS15_E_NS1_11comp_targetILNS1_3genE9ELNS1_11target_archE1100ELNS1_3gpuE3ELNS1_3repE0EEENS1_30default_config_static_selectorELNS0_4arch9wavefront6targetE1EEEvT1_,@function
_ZN7rocprim17ROCPRIM_400000_NS6detail17trampoline_kernelINS0_14default_configENS1_25partition_config_selectorILNS1_17partition_subalgoE9EllbEEZZNS1_14partition_implILS5_9ELb0ES3_jPlS8_PNS0_10empty_typeENS0_5tupleIJS8_S9_EEENSB_IJS8_SA_EEENS0_18inequality_wrapperIZN2at6native12_GLOBAL__N_124unique_dim_cuda_templateIsEESt5tupleIJNSF_6TensorESK_SK_EERKSK_lbbbEUlllE0_EEPmJS9_EEE10hipError_tPvRmT3_T4_T5_T6_T7_T9_mT8_P12ihipStream_tbDpT10_ENKUlT_T0_E_clISt17integral_constantIbLb0EES19_IbLb1EEEEDaS15_S16_EUlS15_E_NS1_11comp_targetILNS1_3genE9ELNS1_11target_archE1100ELNS1_3gpuE3ELNS1_3repE0EEENS1_30default_config_static_selectorELNS0_4arch9wavefront6targetE1EEEvT1_: ; @_ZN7rocprim17ROCPRIM_400000_NS6detail17trampoline_kernelINS0_14default_configENS1_25partition_config_selectorILNS1_17partition_subalgoE9EllbEEZZNS1_14partition_implILS5_9ELb0ES3_jPlS8_PNS0_10empty_typeENS0_5tupleIJS8_S9_EEENSB_IJS8_SA_EEENS0_18inequality_wrapperIZN2at6native12_GLOBAL__N_124unique_dim_cuda_templateIsEESt5tupleIJNSF_6TensorESK_SK_EERKSK_lbbbEUlllE0_EEPmJS9_EEE10hipError_tPvRmT3_T4_T5_T6_T7_T9_mT8_P12ihipStream_tbDpT10_ENKUlT_T0_E_clISt17integral_constantIbLb0EES19_IbLb1EEEEDaS15_S16_EUlS15_E_NS1_11comp_targetILNS1_3genE9ELNS1_11target_archE1100ELNS1_3gpuE3ELNS1_3repE0EEENS1_30default_config_static_selectorELNS0_4arch9wavefront6targetE1EEEvT1_
; %bb.0:
	.section	.rodata,"a",@progbits
	.p2align	6, 0x0
	.amdhsa_kernel _ZN7rocprim17ROCPRIM_400000_NS6detail17trampoline_kernelINS0_14default_configENS1_25partition_config_selectorILNS1_17partition_subalgoE9EllbEEZZNS1_14partition_implILS5_9ELb0ES3_jPlS8_PNS0_10empty_typeENS0_5tupleIJS8_S9_EEENSB_IJS8_SA_EEENS0_18inequality_wrapperIZN2at6native12_GLOBAL__N_124unique_dim_cuda_templateIsEESt5tupleIJNSF_6TensorESK_SK_EERKSK_lbbbEUlllE0_EEPmJS9_EEE10hipError_tPvRmT3_T4_T5_T6_T7_T9_mT8_P12ihipStream_tbDpT10_ENKUlT_T0_E_clISt17integral_constantIbLb0EES19_IbLb1EEEEDaS15_S16_EUlS15_E_NS1_11comp_targetILNS1_3genE9ELNS1_11target_archE1100ELNS1_3gpuE3ELNS1_3repE0EEENS1_30default_config_static_selectorELNS0_4arch9wavefront6targetE1EEEvT1_
		.amdhsa_group_segment_fixed_size 0
		.amdhsa_private_segment_fixed_size 0
		.amdhsa_kernarg_size 136
		.amdhsa_user_sgpr_count 2
		.amdhsa_user_sgpr_dispatch_ptr 0
		.amdhsa_user_sgpr_queue_ptr 0
		.amdhsa_user_sgpr_kernarg_segment_ptr 1
		.amdhsa_user_sgpr_dispatch_id 0
		.amdhsa_user_sgpr_kernarg_preload_length 0
		.amdhsa_user_sgpr_kernarg_preload_offset 0
		.amdhsa_user_sgpr_private_segment_size 0
		.amdhsa_uses_dynamic_stack 0
		.amdhsa_enable_private_segment 0
		.amdhsa_system_sgpr_workgroup_id_x 1
		.amdhsa_system_sgpr_workgroup_id_y 0
		.amdhsa_system_sgpr_workgroup_id_z 0
		.amdhsa_system_sgpr_workgroup_info 0
		.amdhsa_system_vgpr_workitem_id 0
		.amdhsa_next_free_vgpr 1
		.amdhsa_next_free_sgpr 0
		.amdhsa_accum_offset 4
		.amdhsa_reserve_vcc 0
		.amdhsa_float_round_mode_32 0
		.amdhsa_float_round_mode_16_64 0
		.amdhsa_float_denorm_mode_32 3
		.amdhsa_float_denorm_mode_16_64 3
		.amdhsa_dx10_clamp 1
		.amdhsa_ieee_mode 1
		.amdhsa_fp16_overflow 0
		.amdhsa_tg_split 0
		.amdhsa_exception_fp_ieee_invalid_op 0
		.amdhsa_exception_fp_denorm_src 0
		.amdhsa_exception_fp_ieee_div_zero 0
		.amdhsa_exception_fp_ieee_overflow 0
		.amdhsa_exception_fp_ieee_underflow 0
		.amdhsa_exception_fp_ieee_inexact 0
		.amdhsa_exception_int_div_zero 0
	.end_amdhsa_kernel
	.section	.text._ZN7rocprim17ROCPRIM_400000_NS6detail17trampoline_kernelINS0_14default_configENS1_25partition_config_selectorILNS1_17partition_subalgoE9EllbEEZZNS1_14partition_implILS5_9ELb0ES3_jPlS8_PNS0_10empty_typeENS0_5tupleIJS8_S9_EEENSB_IJS8_SA_EEENS0_18inequality_wrapperIZN2at6native12_GLOBAL__N_124unique_dim_cuda_templateIsEESt5tupleIJNSF_6TensorESK_SK_EERKSK_lbbbEUlllE0_EEPmJS9_EEE10hipError_tPvRmT3_T4_T5_T6_T7_T9_mT8_P12ihipStream_tbDpT10_ENKUlT_T0_E_clISt17integral_constantIbLb0EES19_IbLb1EEEEDaS15_S16_EUlS15_E_NS1_11comp_targetILNS1_3genE9ELNS1_11target_archE1100ELNS1_3gpuE3ELNS1_3repE0EEENS1_30default_config_static_selectorELNS0_4arch9wavefront6targetE1EEEvT1_,"axG",@progbits,_ZN7rocprim17ROCPRIM_400000_NS6detail17trampoline_kernelINS0_14default_configENS1_25partition_config_selectorILNS1_17partition_subalgoE9EllbEEZZNS1_14partition_implILS5_9ELb0ES3_jPlS8_PNS0_10empty_typeENS0_5tupleIJS8_S9_EEENSB_IJS8_SA_EEENS0_18inequality_wrapperIZN2at6native12_GLOBAL__N_124unique_dim_cuda_templateIsEESt5tupleIJNSF_6TensorESK_SK_EERKSK_lbbbEUlllE0_EEPmJS9_EEE10hipError_tPvRmT3_T4_T5_T6_T7_T9_mT8_P12ihipStream_tbDpT10_ENKUlT_T0_E_clISt17integral_constantIbLb0EES19_IbLb1EEEEDaS15_S16_EUlS15_E_NS1_11comp_targetILNS1_3genE9ELNS1_11target_archE1100ELNS1_3gpuE3ELNS1_3repE0EEENS1_30default_config_static_selectorELNS0_4arch9wavefront6targetE1EEEvT1_,comdat
.Lfunc_end747:
	.size	_ZN7rocprim17ROCPRIM_400000_NS6detail17trampoline_kernelINS0_14default_configENS1_25partition_config_selectorILNS1_17partition_subalgoE9EllbEEZZNS1_14partition_implILS5_9ELb0ES3_jPlS8_PNS0_10empty_typeENS0_5tupleIJS8_S9_EEENSB_IJS8_SA_EEENS0_18inequality_wrapperIZN2at6native12_GLOBAL__N_124unique_dim_cuda_templateIsEESt5tupleIJNSF_6TensorESK_SK_EERKSK_lbbbEUlllE0_EEPmJS9_EEE10hipError_tPvRmT3_T4_T5_T6_T7_T9_mT8_P12ihipStream_tbDpT10_ENKUlT_T0_E_clISt17integral_constantIbLb0EES19_IbLb1EEEEDaS15_S16_EUlS15_E_NS1_11comp_targetILNS1_3genE9ELNS1_11target_archE1100ELNS1_3gpuE3ELNS1_3repE0EEENS1_30default_config_static_selectorELNS0_4arch9wavefront6targetE1EEEvT1_, .Lfunc_end747-_ZN7rocprim17ROCPRIM_400000_NS6detail17trampoline_kernelINS0_14default_configENS1_25partition_config_selectorILNS1_17partition_subalgoE9EllbEEZZNS1_14partition_implILS5_9ELb0ES3_jPlS8_PNS0_10empty_typeENS0_5tupleIJS8_S9_EEENSB_IJS8_SA_EEENS0_18inequality_wrapperIZN2at6native12_GLOBAL__N_124unique_dim_cuda_templateIsEESt5tupleIJNSF_6TensorESK_SK_EERKSK_lbbbEUlllE0_EEPmJS9_EEE10hipError_tPvRmT3_T4_T5_T6_T7_T9_mT8_P12ihipStream_tbDpT10_ENKUlT_T0_E_clISt17integral_constantIbLb0EES19_IbLb1EEEEDaS15_S16_EUlS15_E_NS1_11comp_targetILNS1_3genE9ELNS1_11target_archE1100ELNS1_3gpuE3ELNS1_3repE0EEENS1_30default_config_static_selectorELNS0_4arch9wavefront6targetE1EEEvT1_
                                        ; -- End function
	.set _ZN7rocprim17ROCPRIM_400000_NS6detail17trampoline_kernelINS0_14default_configENS1_25partition_config_selectorILNS1_17partition_subalgoE9EllbEEZZNS1_14partition_implILS5_9ELb0ES3_jPlS8_PNS0_10empty_typeENS0_5tupleIJS8_S9_EEENSB_IJS8_SA_EEENS0_18inequality_wrapperIZN2at6native12_GLOBAL__N_124unique_dim_cuda_templateIsEESt5tupleIJNSF_6TensorESK_SK_EERKSK_lbbbEUlllE0_EEPmJS9_EEE10hipError_tPvRmT3_T4_T5_T6_T7_T9_mT8_P12ihipStream_tbDpT10_ENKUlT_T0_E_clISt17integral_constantIbLb0EES19_IbLb1EEEEDaS15_S16_EUlS15_E_NS1_11comp_targetILNS1_3genE9ELNS1_11target_archE1100ELNS1_3gpuE3ELNS1_3repE0EEENS1_30default_config_static_selectorELNS0_4arch9wavefront6targetE1EEEvT1_.num_vgpr, 0
	.set _ZN7rocprim17ROCPRIM_400000_NS6detail17trampoline_kernelINS0_14default_configENS1_25partition_config_selectorILNS1_17partition_subalgoE9EllbEEZZNS1_14partition_implILS5_9ELb0ES3_jPlS8_PNS0_10empty_typeENS0_5tupleIJS8_S9_EEENSB_IJS8_SA_EEENS0_18inequality_wrapperIZN2at6native12_GLOBAL__N_124unique_dim_cuda_templateIsEESt5tupleIJNSF_6TensorESK_SK_EERKSK_lbbbEUlllE0_EEPmJS9_EEE10hipError_tPvRmT3_T4_T5_T6_T7_T9_mT8_P12ihipStream_tbDpT10_ENKUlT_T0_E_clISt17integral_constantIbLb0EES19_IbLb1EEEEDaS15_S16_EUlS15_E_NS1_11comp_targetILNS1_3genE9ELNS1_11target_archE1100ELNS1_3gpuE3ELNS1_3repE0EEENS1_30default_config_static_selectorELNS0_4arch9wavefront6targetE1EEEvT1_.num_agpr, 0
	.set _ZN7rocprim17ROCPRIM_400000_NS6detail17trampoline_kernelINS0_14default_configENS1_25partition_config_selectorILNS1_17partition_subalgoE9EllbEEZZNS1_14partition_implILS5_9ELb0ES3_jPlS8_PNS0_10empty_typeENS0_5tupleIJS8_S9_EEENSB_IJS8_SA_EEENS0_18inequality_wrapperIZN2at6native12_GLOBAL__N_124unique_dim_cuda_templateIsEESt5tupleIJNSF_6TensorESK_SK_EERKSK_lbbbEUlllE0_EEPmJS9_EEE10hipError_tPvRmT3_T4_T5_T6_T7_T9_mT8_P12ihipStream_tbDpT10_ENKUlT_T0_E_clISt17integral_constantIbLb0EES19_IbLb1EEEEDaS15_S16_EUlS15_E_NS1_11comp_targetILNS1_3genE9ELNS1_11target_archE1100ELNS1_3gpuE3ELNS1_3repE0EEENS1_30default_config_static_selectorELNS0_4arch9wavefront6targetE1EEEvT1_.numbered_sgpr, 0
	.set _ZN7rocprim17ROCPRIM_400000_NS6detail17trampoline_kernelINS0_14default_configENS1_25partition_config_selectorILNS1_17partition_subalgoE9EllbEEZZNS1_14partition_implILS5_9ELb0ES3_jPlS8_PNS0_10empty_typeENS0_5tupleIJS8_S9_EEENSB_IJS8_SA_EEENS0_18inequality_wrapperIZN2at6native12_GLOBAL__N_124unique_dim_cuda_templateIsEESt5tupleIJNSF_6TensorESK_SK_EERKSK_lbbbEUlllE0_EEPmJS9_EEE10hipError_tPvRmT3_T4_T5_T6_T7_T9_mT8_P12ihipStream_tbDpT10_ENKUlT_T0_E_clISt17integral_constantIbLb0EES19_IbLb1EEEEDaS15_S16_EUlS15_E_NS1_11comp_targetILNS1_3genE9ELNS1_11target_archE1100ELNS1_3gpuE3ELNS1_3repE0EEENS1_30default_config_static_selectorELNS0_4arch9wavefront6targetE1EEEvT1_.num_named_barrier, 0
	.set _ZN7rocprim17ROCPRIM_400000_NS6detail17trampoline_kernelINS0_14default_configENS1_25partition_config_selectorILNS1_17partition_subalgoE9EllbEEZZNS1_14partition_implILS5_9ELb0ES3_jPlS8_PNS0_10empty_typeENS0_5tupleIJS8_S9_EEENSB_IJS8_SA_EEENS0_18inequality_wrapperIZN2at6native12_GLOBAL__N_124unique_dim_cuda_templateIsEESt5tupleIJNSF_6TensorESK_SK_EERKSK_lbbbEUlllE0_EEPmJS9_EEE10hipError_tPvRmT3_T4_T5_T6_T7_T9_mT8_P12ihipStream_tbDpT10_ENKUlT_T0_E_clISt17integral_constantIbLb0EES19_IbLb1EEEEDaS15_S16_EUlS15_E_NS1_11comp_targetILNS1_3genE9ELNS1_11target_archE1100ELNS1_3gpuE3ELNS1_3repE0EEENS1_30default_config_static_selectorELNS0_4arch9wavefront6targetE1EEEvT1_.private_seg_size, 0
	.set _ZN7rocprim17ROCPRIM_400000_NS6detail17trampoline_kernelINS0_14default_configENS1_25partition_config_selectorILNS1_17partition_subalgoE9EllbEEZZNS1_14partition_implILS5_9ELb0ES3_jPlS8_PNS0_10empty_typeENS0_5tupleIJS8_S9_EEENSB_IJS8_SA_EEENS0_18inequality_wrapperIZN2at6native12_GLOBAL__N_124unique_dim_cuda_templateIsEESt5tupleIJNSF_6TensorESK_SK_EERKSK_lbbbEUlllE0_EEPmJS9_EEE10hipError_tPvRmT3_T4_T5_T6_T7_T9_mT8_P12ihipStream_tbDpT10_ENKUlT_T0_E_clISt17integral_constantIbLb0EES19_IbLb1EEEEDaS15_S16_EUlS15_E_NS1_11comp_targetILNS1_3genE9ELNS1_11target_archE1100ELNS1_3gpuE3ELNS1_3repE0EEENS1_30default_config_static_selectorELNS0_4arch9wavefront6targetE1EEEvT1_.uses_vcc, 0
	.set _ZN7rocprim17ROCPRIM_400000_NS6detail17trampoline_kernelINS0_14default_configENS1_25partition_config_selectorILNS1_17partition_subalgoE9EllbEEZZNS1_14partition_implILS5_9ELb0ES3_jPlS8_PNS0_10empty_typeENS0_5tupleIJS8_S9_EEENSB_IJS8_SA_EEENS0_18inequality_wrapperIZN2at6native12_GLOBAL__N_124unique_dim_cuda_templateIsEESt5tupleIJNSF_6TensorESK_SK_EERKSK_lbbbEUlllE0_EEPmJS9_EEE10hipError_tPvRmT3_T4_T5_T6_T7_T9_mT8_P12ihipStream_tbDpT10_ENKUlT_T0_E_clISt17integral_constantIbLb0EES19_IbLb1EEEEDaS15_S16_EUlS15_E_NS1_11comp_targetILNS1_3genE9ELNS1_11target_archE1100ELNS1_3gpuE3ELNS1_3repE0EEENS1_30default_config_static_selectorELNS0_4arch9wavefront6targetE1EEEvT1_.uses_flat_scratch, 0
	.set _ZN7rocprim17ROCPRIM_400000_NS6detail17trampoline_kernelINS0_14default_configENS1_25partition_config_selectorILNS1_17partition_subalgoE9EllbEEZZNS1_14partition_implILS5_9ELb0ES3_jPlS8_PNS0_10empty_typeENS0_5tupleIJS8_S9_EEENSB_IJS8_SA_EEENS0_18inequality_wrapperIZN2at6native12_GLOBAL__N_124unique_dim_cuda_templateIsEESt5tupleIJNSF_6TensorESK_SK_EERKSK_lbbbEUlllE0_EEPmJS9_EEE10hipError_tPvRmT3_T4_T5_T6_T7_T9_mT8_P12ihipStream_tbDpT10_ENKUlT_T0_E_clISt17integral_constantIbLb0EES19_IbLb1EEEEDaS15_S16_EUlS15_E_NS1_11comp_targetILNS1_3genE9ELNS1_11target_archE1100ELNS1_3gpuE3ELNS1_3repE0EEENS1_30default_config_static_selectorELNS0_4arch9wavefront6targetE1EEEvT1_.has_dyn_sized_stack, 0
	.set _ZN7rocprim17ROCPRIM_400000_NS6detail17trampoline_kernelINS0_14default_configENS1_25partition_config_selectorILNS1_17partition_subalgoE9EllbEEZZNS1_14partition_implILS5_9ELb0ES3_jPlS8_PNS0_10empty_typeENS0_5tupleIJS8_S9_EEENSB_IJS8_SA_EEENS0_18inequality_wrapperIZN2at6native12_GLOBAL__N_124unique_dim_cuda_templateIsEESt5tupleIJNSF_6TensorESK_SK_EERKSK_lbbbEUlllE0_EEPmJS9_EEE10hipError_tPvRmT3_T4_T5_T6_T7_T9_mT8_P12ihipStream_tbDpT10_ENKUlT_T0_E_clISt17integral_constantIbLb0EES19_IbLb1EEEEDaS15_S16_EUlS15_E_NS1_11comp_targetILNS1_3genE9ELNS1_11target_archE1100ELNS1_3gpuE3ELNS1_3repE0EEENS1_30default_config_static_selectorELNS0_4arch9wavefront6targetE1EEEvT1_.has_recursion, 0
	.set _ZN7rocprim17ROCPRIM_400000_NS6detail17trampoline_kernelINS0_14default_configENS1_25partition_config_selectorILNS1_17partition_subalgoE9EllbEEZZNS1_14partition_implILS5_9ELb0ES3_jPlS8_PNS0_10empty_typeENS0_5tupleIJS8_S9_EEENSB_IJS8_SA_EEENS0_18inequality_wrapperIZN2at6native12_GLOBAL__N_124unique_dim_cuda_templateIsEESt5tupleIJNSF_6TensorESK_SK_EERKSK_lbbbEUlllE0_EEPmJS9_EEE10hipError_tPvRmT3_T4_T5_T6_T7_T9_mT8_P12ihipStream_tbDpT10_ENKUlT_T0_E_clISt17integral_constantIbLb0EES19_IbLb1EEEEDaS15_S16_EUlS15_E_NS1_11comp_targetILNS1_3genE9ELNS1_11target_archE1100ELNS1_3gpuE3ELNS1_3repE0EEENS1_30default_config_static_selectorELNS0_4arch9wavefront6targetE1EEEvT1_.has_indirect_call, 0
	.section	.AMDGPU.csdata,"",@progbits
; Kernel info:
; codeLenInByte = 0
; TotalNumSgprs: 6
; NumVgprs: 0
; NumAgprs: 0
; TotalNumVgprs: 0
; ScratchSize: 0
; MemoryBound: 0
; FloatMode: 240
; IeeeMode: 1
; LDSByteSize: 0 bytes/workgroup (compile time only)
; SGPRBlocks: 0
; VGPRBlocks: 0
; NumSGPRsForWavesPerEU: 6
; NumVGPRsForWavesPerEU: 1
; AccumOffset: 4
; Occupancy: 8
; WaveLimiterHint : 0
; COMPUTE_PGM_RSRC2:SCRATCH_EN: 0
; COMPUTE_PGM_RSRC2:USER_SGPR: 2
; COMPUTE_PGM_RSRC2:TRAP_HANDLER: 0
; COMPUTE_PGM_RSRC2:TGID_X_EN: 1
; COMPUTE_PGM_RSRC2:TGID_Y_EN: 0
; COMPUTE_PGM_RSRC2:TGID_Z_EN: 0
; COMPUTE_PGM_RSRC2:TIDIG_COMP_CNT: 0
; COMPUTE_PGM_RSRC3_GFX90A:ACCUM_OFFSET: 0
; COMPUTE_PGM_RSRC3_GFX90A:TG_SPLIT: 0
	.section	.text._ZN7rocprim17ROCPRIM_400000_NS6detail17trampoline_kernelINS0_14default_configENS1_25partition_config_selectorILNS1_17partition_subalgoE9EllbEEZZNS1_14partition_implILS5_9ELb0ES3_jPlS8_PNS0_10empty_typeENS0_5tupleIJS8_S9_EEENSB_IJS8_SA_EEENS0_18inequality_wrapperIZN2at6native12_GLOBAL__N_124unique_dim_cuda_templateIsEESt5tupleIJNSF_6TensorESK_SK_EERKSK_lbbbEUlllE0_EEPmJS9_EEE10hipError_tPvRmT3_T4_T5_T6_T7_T9_mT8_P12ihipStream_tbDpT10_ENKUlT_T0_E_clISt17integral_constantIbLb0EES19_IbLb1EEEEDaS15_S16_EUlS15_E_NS1_11comp_targetILNS1_3genE8ELNS1_11target_archE1030ELNS1_3gpuE2ELNS1_3repE0EEENS1_30default_config_static_selectorELNS0_4arch9wavefront6targetE1EEEvT1_,"axG",@progbits,_ZN7rocprim17ROCPRIM_400000_NS6detail17trampoline_kernelINS0_14default_configENS1_25partition_config_selectorILNS1_17partition_subalgoE9EllbEEZZNS1_14partition_implILS5_9ELb0ES3_jPlS8_PNS0_10empty_typeENS0_5tupleIJS8_S9_EEENSB_IJS8_SA_EEENS0_18inequality_wrapperIZN2at6native12_GLOBAL__N_124unique_dim_cuda_templateIsEESt5tupleIJNSF_6TensorESK_SK_EERKSK_lbbbEUlllE0_EEPmJS9_EEE10hipError_tPvRmT3_T4_T5_T6_T7_T9_mT8_P12ihipStream_tbDpT10_ENKUlT_T0_E_clISt17integral_constantIbLb0EES19_IbLb1EEEEDaS15_S16_EUlS15_E_NS1_11comp_targetILNS1_3genE8ELNS1_11target_archE1030ELNS1_3gpuE2ELNS1_3repE0EEENS1_30default_config_static_selectorELNS0_4arch9wavefront6targetE1EEEvT1_,comdat
	.globl	_ZN7rocprim17ROCPRIM_400000_NS6detail17trampoline_kernelINS0_14default_configENS1_25partition_config_selectorILNS1_17partition_subalgoE9EllbEEZZNS1_14partition_implILS5_9ELb0ES3_jPlS8_PNS0_10empty_typeENS0_5tupleIJS8_S9_EEENSB_IJS8_SA_EEENS0_18inequality_wrapperIZN2at6native12_GLOBAL__N_124unique_dim_cuda_templateIsEESt5tupleIJNSF_6TensorESK_SK_EERKSK_lbbbEUlllE0_EEPmJS9_EEE10hipError_tPvRmT3_T4_T5_T6_T7_T9_mT8_P12ihipStream_tbDpT10_ENKUlT_T0_E_clISt17integral_constantIbLb0EES19_IbLb1EEEEDaS15_S16_EUlS15_E_NS1_11comp_targetILNS1_3genE8ELNS1_11target_archE1030ELNS1_3gpuE2ELNS1_3repE0EEENS1_30default_config_static_selectorELNS0_4arch9wavefront6targetE1EEEvT1_ ; -- Begin function _ZN7rocprim17ROCPRIM_400000_NS6detail17trampoline_kernelINS0_14default_configENS1_25partition_config_selectorILNS1_17partition_subalgoE9EllbEEZZNS1_14partition_implILS5_9ELb0ES3_jPlS8_PNS0_10empty_typeENS0_5tupleIJS8_S9_EEENSB_IJS8_SA_EEENS0_18inequality_wrapperIZN2at6native12_GLOBAL__N_124unique_dim_cuda_templateIsEESt5tupleIJNSF_6TensorESK_SK_EERKSK_lbbbEUlllE0_EEPmJS9_EEE10hipError_tPvRmT3_T4_T5_T6_T7_T9_mT8_P12ihipStream_tbDpT10_ENKUlT_T0_E_clISt17integral_constantIbLb0EES19_IbLb1EEEEDaS15_S16_EUlS15_E_NS1_11comp_targetILNS1_3genE8ELNS1_11target_archE1030ELNS1_3gpuE2ELNS1_3repE0EEENS1_30default_config_static_selectorELNS0_4arch9wavefront6targetE1EEEvT1_
	.p2align	8
	.type	_ZN7rocprim17ROCPRIM_400000_NS6detail17trampoline_kernelINS0_14default_configENS1_25partition_config_selectorILNS1_17partition_subalgoE9EllbEEZZNS1_14partition_implILS5_9ELb0ES3_jPlS8_PNS0_10empty_typeENS0_5tupleIJS8_S9_EEENSB_IJS8_SA_EEENS0_18inequality_wrapperIZN2at6native12_GLOBAL__N_124unique_dim_cuda_templateIsEESt5tupleIJNSF_6TensorESK_SK_EERKSK_lbbbEUlllE0_EEPmJS9_EEE10hipError_tPvRmT3_T4_T5_T6_T7_T9_mT8_P12ihipStream_tbDpT10_ENKUlT_T0_E_clISt17integral_constantIbLb0EES19_IbLb1EEEEDaS15_S16_EUlS15_E_NS1_11comp_targetILNS1_3genE8ELNS1_11target_archE1030ELNS1_3gpuE2ELNS1_3repE0EEENS1_30default_config_static_selectorELNS0_4arch9wavefront6targetE1EEEvT1_,@function
_ZN7rocprim17ROCPRIM_400000_NS6detail17trampoline_kernelINS0_14default_configENS1_25partition_config_selectorILNS1_17partition_subalgoE9EllbEEZZNS1_14partition_implILS5_9ELb0ES3_jPlS8_PNS0_10empty_typeENS0_5tupleIJS8_S9_EEENSB_IJS8_SA_EEENS0_18inequality_wrapperIZN2at6native12_GLOBAL__N_124unique_dim_cuda_templateIsEESt5tupleIJNSF_6TensorESK_SK_EERKSK_lbbbEUlllE0_EEPmJS9_EEE10hipError_tPvRmT3_T4_T5_T6_T7_T9_mT8_P12ihipStream_tbDpT10_ENKUlT_T0_E_clISt17integral_constantIbLb0EES19_IbLb1EEEEDaS15_S16_EUlS15_E_NS1_11comp_targetILNS1_3genE8ELNS1_11target_archE1030ELNS1_3gpuE2ELNS1_3repE0EEENS1_30default_config_static_selectorELNS0_4arch9wavefront6targetE1EEEvT1_: ; @_ZN7rocprim17ROCPRIM_400000_NS6detail17trampoline_kernelINS0_14default_configENS1_25partition_config_selectorILNS1_17partition_subalgoE9EllbEEZZNS1_14partition_implILS5_9ELb0ES3_jPlS8_PNS0_10empty_typeENS0_5tupleIJS8_S9_EEENSB_IJS8_SA_EEENS0_18inequality_wrapperIZN2at6native12_GLOBAL__N_124unique_dim_cuda_templateIsEESt5tupleIJNSF_6TensorESK_SK_EERKSK_lbbbEUlllE0_EEPmJS9_EEE10hipError_tPvRmT3_T4_T5_T6_T7_T9_mT8_P12ihipStream_tbDpT10_ENKUlT_T0_E_clISt17integral_constantIbLb0EES19_IbLb1EEEEDaS15_S16_EUlS15_E_NS1_11comp_targetILNS1_3genE8ELNS1_11target_archE1030ELNS1_3gpuE2ELNS1_3repE0EEENS1_30default_config_static_selectorELNS0_4arch9wavefront6targetE1EEEvT1_
; %bb.0:
	.section	.rodata,"a",@progbits
	.p2align	6, 0x0
	.amdhsa_kernel _ZN7rocprim17ROCPRIM_400000_NS6detail17trampoline_kernelINS0_14default_configENS1_25partition_config_selectorILNS1_17partition_subalgoE9EllbEEZZNS1_14partition_implILS5_9ELb0ES3_jPlS8_PNS0_10empty_typeENS0_5tupleIJS8_S9_EEENSB_IJS8_SA_EEENS0_18inequality_wrapperIZN2at6native12_GLOBAL__N_124unique_dim_cuda_templateIsEESt5tupleIJNSF_6TensorESK_SK_EERKSK_lbbbEUlllE0_EEPmJS9_EEE10hipError_tPvRmT3_T4_T5_T6_T7_T9_mT8_P12ihipStream_tbDpT10_ENKUlT_T0_E_clISt17integral_constantIbLb0EES19_IbLb1EEEEDaS15_S16_EUlS15_E_NS1_11comp_targetILNS1_3genE8ELNS1_11target_archE1030ELNS1_3gpuE2ELNS1_3repE0EEENS1_30default_config_static_selectorELNS0_4arch9wavefront6targetE1EEEvT1_
		.amdhsa_group_segment_fixed_size 0
		.amdhsa_private_segment_fixed_size 0
		.amdhsa_kernarg_size 136
		.amdhsa_user_sgpr_count 2
		.amdhsa_user_sgpr_dispatch_ptr 0
		.amdhsa_user_sgpr_queue_ptr 0
		.amdhsa_user_sgpr_kernarg_segment_ptr 1
		.amdhsa_user_sgpr_dispatch_id 0
		.amdhsa_user_sgpr_kernarg_preload_length 0
		.amdhsa_user_sgpr_kernarg_preload_offset 0
		.amdhsa_user_sgpr_private_segment_size 0
		.amdhsa_uses_dynamic_stack 0
		.amdhsa_enable_private_segment 0
		.amdhsa_system_sgpr_workgroup_id_x 1
		.amdhsa_system_sgpr_workgroup_id_y 0
		.amdhsa_system_sgpr_workgroup_id_z 0
		.amdhsa_system_sgpr_workgroup_info 0
		.amdhsa_system_vgpr_workitem_id 0
		.amdhsa_next_free_vgpr 1
		.amdhsa_next_free_sgpr 0
		.amdhsa_accum_offset 4
		.amdhsa_reserve_vcc 0
		.amdhsa_float_round_mode_32 0
		.amdhsa_float_round_mode_16_64 0
		.amdhsa_float_denorm_mode_32 3
		.amdhsa_float_denorm_mode_16_64 3
		.amdhsa_dx10_clamp 1
		.amdhsa_ieee_mode 1
		.amdhsa_fp16_overflow 0
		.amdhsa_tg_split 0
		.amdhsa_exception_fp_ieee_invalid_op 0
		.amdhsa_exception_fp_denorm_src 0
		.amdhsa_exception_fp_ieee_div_zero 0
		.amdhsa_exception_fp_ieee_overflow 0
		.amdhsa_exception_fp_ieee_underflow 0
		.amdhsa_exception_fp_ieee_inexact 0
		.amdhsa_exception_int_div_zero 0
	.end_amdhsa_kernel
	.section	.text._ZN7rocprim17ROCPRIM_400000_NS6detail17trampoline_kernelINS0_14default_configENS1_25partition_config_selectorILNS1_17partition_subalgoE9EllbEEZZNS1_14partition_implILS5_9ELb0ES3_jPlS8_PNS0_10empty_typeENS0_5tupleIJS8_S9_EEENSB_IJS8_SA_EEENS0_18inequality_wrapperIZN2at6native12_GLOBAL__N_124unique_dim_cuda_templateIsEESt5tupleIJNSF_6TensorESK_SK_EERKSK_lbbbEUlllE0_EEPmJS9_EEE10hipError_tPvRmT3_T4_T5_T6_T7_T9_mT8_P12ihipStream_tbDpT10_ENKUlT_T0_E_clISt17integral_constantIbLb0EES19_IbLb1EEEEDaS15_S16_EUlS15_E_NS1_11comp_targetILNS1_3genE8ELNS1_11target_archE1030ELNS1_3gpuE2ELNS1_3repE0EEENS1_30default_config_static_selectorELNS0_4arch9wavefront6targetE1EEEvT1_,"axG",@progbits,_ZN7rocprim17ROCPRIM_400000_NS6detail17trampoline_kernelINS0_14default_configENS1_25partition_config_selectorILNS1_17partition_subalgoE9EllbEEZZNS1_14partition_implILS5_9ELb0ES3_jPlS8_PNS0_10empty_typeENS0_5tupleIJS8_S9_EEENSB_IJS8_SA_EEENS0_18inequality_wrapperIZN2at6native12_GLOBAL__N_124unique_dim_cuda_templateIsEESt5tupleIJNSF_6TensorESK_SK_EERKSK_lbbbEUlllE0_EEPmJS9_EEE10hipError_tPvRmT3_T4_T5_T6_T7_T9_mT8_P12ihipStream_tbDpT10_ENKUlT_T0_E_clISt17integral_constantIbLb0EES19_IbLb1EEEEDaS15_S16_EUlS15_E_NS1_11comp_targetILNS1_3genE8ELNS1_11target_archE1030ELNS1_3gpuE2ELNS1_3repE0EEENS1_30default_config_static_selectorELNS0_4arch9wavefront6targetE1EEEvT1_,comdat
.Lfunc_end748:
	.size	_ZN7rocprim17ROCPRIM_400000_NS6detail17trampoline_kernelINS0_14default_configENS1_25partition_config_selectorILNS1_17partition_subalgoE9EllbEEZZNS1_14partition_implILS5_9ELb0ES3_jPlS8_PNS0_10empty_typeENS0_5tupleIJS8_S9_EEENSB_IJS8_SA_EEENS0_18inequality_wrapperIZN2at6native12_GLOBAL__N_124unique_dim_cuda_templateIsEESt5tupleIJNSF_6TensorESK_SK_EERKSK_lbbbEUlllE0_EEPmJS9_EEE10hipError_tPvRmT3_T4_T5_T6_T7_T9_mT8_P12ihipStream_tbDpT10_ENKUlT_T0_E_clISt17integral_constantIbLb0EES19_IbLb1EEEEDaS15_S16_EUlS15_E_NS1_11comp_targetILNS1_3genE8ELNS1_11target_archE1030ELNS1_3gpuE2ELNS1_3repE0EEENS1_30default_config_static_selectorELNS0_4arch9wavefront6targetE1EEEvT1_, .Lfunc_end748-_ZN7rocprim17ROCPRIM_400000_NS6detail17trampoline_kernelINS0_14default_configENS1_25partition_config_selectorILNS1_17partition_subalgoE9EllbEEZZNS1_14partition_implILS5_9ELb0ES3_jPlS8_PNS0_10empty_typeENS0_5tupleIJS8_S9_EEENSB_IJS8_SA_EEENS0_18inequality_wrapperIZN2at6native12_GLOBAL__N_124unique_dim_cuda_templateIsEESt5tupleIJNSF_6TensorESK_SK_EERKSK_lbbbEUlllE0_EEPmJS9_EEE10hipError_tPvRmT3_T4_T5_T6_T7_T9_mT8_P12ihipStream_tbDpT10_ENKUlT_T0_E_clISt17integral_constantIbLb0EES19_IbLb1EEEEDaS15_S16_EUlS15_E_NS1_11comp_targetILNS1_3genE8ELNS1_11target_archE1030ELNS1_3gpuE2ELNS1_3repE0EEENS1_30default_config_static_selectorELNS0_4arch9wavefront6targetE1EEEvT1_
                                        ; -- End function
	.set _ZN7rocprim17ROCPRIM_400000_NS6detail17trampoline_kernelINS0_14default_configENS1_25partition_config_selectorILNS1_17partition_subalgoE9EllbEEZZNS1_14partition_implILS5_9ELb0ES3_jPlS8_PNS0_10empty_typeENS0_5tupleIJS8_S9_EEENSB_IJS8_SA_EEENS0_18inequality_wrapperIZN2at6native12_GLOBAL__N_124unique_dim_cuda_templateIsEESt5tupleIJNSF_6TensorESK_SK_EERKSK_lbbbEUlllE0_EEPmJS9_EEE10hipError_tPvRmT3_T4_T5_T6_T7_T9_mT8_P12ihipStream_tbDpT10_ENKUlT_T0_E_clISt17integral_constantIbLb0EES19_IbLb1EEEEDaS15_S16_EUlS15_E_NS1_11comp_targetILNS1_3genE8ELNS1_11target_archE1030ELNS1_3gpuE2ELNS1_3repE0EEENS1_30default_config_static_selectorELNS0_4arch9wavefront6targetE1EEEvT1_.num_vgpr, 0
	.set _ZN7rocprim17ROCPRIM_400000_NS6detail17trampoline_kernelINS0_14default_configENS1_25partition_config_selectorILNS1_17partition_subalgoE9EllbEEZZNS1_14partition_implILS5_9ELb0ES3_jPlS8_PNS0_10empty_typeENS0_5tupleIJS8_S9_EEENSB_IJS8_SA_EEENS0_18inequality_wrapperIZN2at6native12_GLOBAL__N_124unique_dim_cuda_templateIsEESt5tupleIJNSF_6TensorESK_SK_EERKSK_lbbbEUlllE0_EEPmJS9_EEE10hipError_tPvRmT3_T4_T5_T6_T7_T9_mT8_P12ihipStream_tbDpT10_ENKUlT_T0_E_clISt17integral_constantIbLb0EES19_IbLb1EEEEDaS15_S16_EUlS15_E_NS1_11comp_targetILNS1_3genE8ELNS1_11target_archE1030ELNS1_3gpuE2ELNS1_3repE0EEENS1_30default_config_static_selectorELNS0_4arch9wavefront6targetE1EEEvT1_.num_agpr, 0
	.set _ZN7rocprim17ROCPRIM_400000_NS6detail17trampoline_kernelINS0_14default_configENS1_25partition_config_selectorILNS1_17partition_subalgoE9EllbEEZZNS1_14partition_implILS5_9ELb0ES3_jPlS8_PNS0_10empty_typeENS0_5tupleIJS8_S9_EEENSB_IJS8_SA_EEENS0_18inequality_wrapperIZN2at6native12_GLOBAL__N_124unique_dim_cuda_templateIsEESt5tupleIJNSF_6TensorESK_SK_EERKSK_lbbbEUlllE0_EEPmJS9_EEE10hipError_tPvRmT3_T4_T5_T6_T7_T9_mT8_P12ihipStream_tbDpT10_ENKUlT_T0_E_clISt17integral_constantIbLb0EES19_IbLb1EEEEDaS15_S16_EUlS15_E_NS1_11comp_targetILNS1_3genE8ELNS1_11target_archE1030ELNS1_3gpuE2ELNS1_3repE0EEENS1_30default_config_static_selectorELNS0_4arch9wavefront6targetE1EEEvT1_.numbered_sgpr, 0
	.set _ZN7rocprim17ROCPRIM_400000_NS6detail17trampoline_kernelINS0_14default_configENS1_25partition_config_selectorILNS1_17partition_subalgoE9EllbEEZZNS1_14partition_implILS5_9ELb0ES3_jPlS8_PNS0_10empty_typeENS0_5tupleIJS8_S9_EEENSB_IJS8_SA_EEENS0_18inequality_wrapperIZN2at6native12_GLOBAL__N_124unique_dim_cuda_templateIsEESt5tupleIJNSF_6TensorESK_SK_EERKSK_lbbbEUlllE0_EEPmJS9_EEE10hipError_tPvRmT3_T4_T5_T6_T7_T9_mT8_P12ihipStream_tbDpT10_ENKUlT_T0_E_clISt17integral_constantIbLb0EES19_IbLb1EEEEDaS15_S16_EUlS15_E_NS1_11comp_targetILNS1_3genE8ELNS1_11target_archE1030ELNS1_3gpuE2ELNS1_3repE0EEENS1_30default_config_static_selectorELNS0_4arch9wavefront6targetE1EEEvT1_.num_named_barrier, 0
	.set _ZN7rocprim17ROCPRIM_400000_NS6detail17trampoline_kernelINS0_14default_configENS1_25partition_config_selectorILNS1_17partition_subalgoE9EllbEEZZNS1_14partition_implILS5_9ELb0ES3_jPlS8_PNS0_10empty_typeENS0_5tupleIJS8_S9_EEENSB_IJS8_SA_EEENS0_18inequality_wrapperIZN2at6native12_GLOBAL__N_124unique_dim_cuda_templateIsEESt5tupleIJNSF_6TensorESK_SK_EERKSK_lbbbEUlllE0_EEPmJS9_EEE10hipError_tPvRmT3_T4_T5_T6_T7_T9_mT8_P12ihipStream_tbDpT10_ENKUlT_T0_E_clISt17integral_constantIbLb0EES19_IbLb1EEEEDaS15_S16_EUlS15_E_NS1_11comp_targetILNS1_3genE8ELNS1_11target_archE1030ELNS1_3gpuE2ELNS1_3repE0EEENS1_30default_config_static_selectorELNS0_4arch9wavefront6targetE1EEEvT1_.private_seg_size, 0
	.set _ZN7rocprim17ROCPRIM_400000_NS6detail17trampoline_kernelINS0_14default_configENS1_25partition_config_selectorILNS1_17partition_subalgoE9EllbEEZZNS1_14partition_implILS5_9ELb0ES3_jPlS8_PNS0_10empty_typeENS0_5tupleIJS8_S9_EEENSB_IJS8_SA_EEENS0_18inequality_wrapperIZN2at6native12_GLOBAL__N_124unique_dim_cuda_templateIsEESt5tupleIJNSF_6TensorESK_SK_EERKSK_lbbbEUlllE0_EEPmJS9_EEE10hipError_tPvRmT3_T4_T5_T6_T7_T9_mT8_P12ihipStream_tbDpT10_ENKUlT_T0_E_clISt17integral_constantIbLb0EES19_IbLb1EEEEDaS15_S16_EUlS15_E_NS1_11comp_targetILNS1_3genE8ELNS1_11target_archE1030ELNS1_3gpuE2ELNS1_3repE0EEENS1_30default_config_static_selectorELNS0_4arch9wavefront6targetE1EEEvT1_.uses_vcc, 0
	.set _ZN7rocprim17ROCPRIM_400000_NS6detail17trampoline_kernelINS0_14default_configENS1_25partition_config_selectorILNS1_17partition_subalgoE9EllbEEZZNS1_14partition_implILS5_9ELb0ES3_jPlS8_PNS0_10empty_typeENS0_5tupleIJS8_S9_EEENSB_IJS8_SA_EEENS0_18inequality_wrapperIZN2at6native12_GLOBAL__N_124unique_dim_cuda_templateIsEESt5tupleIJNSF_6TensorESK_SK_EERKSK_lbbbEUlllE0_EEPmJS9_EEE10hipError_tPvRmT3_T4_T5_T6_T7_T9_mT8_P12ihipStream_tbDpT10_ENKUlT_T0_E_clISt17integral_constantIbLb0EES19_IbLb1EEEEDaS15_S16_EUlS15_E_NS1_11comp_targetILNS1_3genE8ELNS1_11target_archE1030ELNS1_3gpuE2ELNS1_3repE0EEENS1_30default_config_static_selectorELNS0_4arch9wavefront6targetE1EEEvT1_.uses_flat_scratch, 0
	.set _ZN7rocprim17ROCPRIM_400000_NS6detail17trampoline_kernelINS0_14default_configENS1_25partition_config_selectorILNS1_17partition_subalgoE9EllbEEZZNS1_14partition_implILS5_9ELb0ES3_jPlS8_PNS0_10empty_typeENS0_5tupleIJS8_S9_EEENSB_IJS8_SA_EEENS0_18inequality_wrapperIZN2at6native12_GLOBAL__N_124unique_dim_cuda_templateIsEESt5tupleIJNSF_6TensorESK_SK_EERKSK_lbbbEUlllE0_EEPmJS9_EEE10hipError_tPvRmT3_T4_T5_T6_T7_T9_mT8_P12ihipStream_tbDpT10_ENKUlT_T0_E_clISt17integral_constantIbLb0EES19_IbLb1EEEEDaS15_S16_EUlS15_E_NS1_11comp_targetILNS1_3genE8ELNS1_11target_archE1030ELNS1_3gpuE2ELNS1_3repE0EEENS1_30default_config_static_selectorELNS0_4arch9wavefront6targetE1EEEvT1_.has_dyn_sized_stack, 0
	.set _ZN7rocprim17ROCPRIM_400000_NS6detail17trampoline_kernelINS0_14default_configENS1_25partition_config_selectorILNS1_17partition_subalgoE9EllbEEZZNS1_14partition_implILS5_9ELb0ES3_jPlS8_PNS0_10empty_typeENS0_5tupleIJS8_S9_EEENSB_IJS8_SA_EEENS0_18inequality_wrapperIZN2at6native12_GLOBAL__N_124unique_dim_cuda_templateIsEESt5tupleIJNSF_6TensorESK_SK_EERKSK_lbbbEUlllE0_EEPmJS9_EEE10hipError_tPvRmT3_T4_T5_T6_T7_T9_mT8_P12ihipStream_tbDpT10_ENKUlT_T0_E_clISt17integral_constantIbLb0EES19_IbLb1EEEEDaS15_S16_EUlS15_E_NS1_11comp_targetILNS1_3genE8ELNS1_11target_archE1030ELNS1_3gpuE2ELNS1_3repE0EEENS1_30default_config_static_selectorELNS0_4arch9wavefront6targetE1EEEvT1_.has_recursion, 0
	.set _ZN7rocprim17ROCPRIM_400000_NS6detail17trampoline_kernelINS0_14default_configENS1_25partition_config_selectorILNS1_17partition_subalgoE9EllbEEZZNS1_14partition_implILS5_9ELb0ES3_jPlS8_PNS0_10empty_typeENS0_5tupleIJS8_S9_EEENSB_IJS8_SA_EEENS0_18inequality_wrapperIZN2at6native12_GLOBAL__N_124unique_dim_cuda_templateIsEESt5tupleIJNSF_6TensorESK_SK_EERKSK_lbbbEUlllE0_EEPmJS9_EEE10hipError_tPvRmT3_T4_T5_T6_T7_T9_mT8_P12ihipStream_tbDpT10_ENKUlT_T0_E_clISt17integral_constantIbLb0EES19_IbLb1EEEEDaS15_S16_EUlS15_E_NS1_11comp_targetILNS1_3genE8ELNS1_11target_archE1030ELNS1_3gpuE2ELNS1_3repE0EEENS1_30default_config_static_selectorELNS0_4arch9wavefront6targetE1EEEvT1_.has_indirect_call, 0
	.section	.AMDGPU.csdata,"",@progbits
; Kernel info:
; codeLenInByte = 0
; TotalNumSgprs: 6
; NumVgprs: 0
; NumAgprs: 0
; TotalNumVgprs: 0
; ScratchSize: 0
; MemoryBound: 0
; FloatMode: 240
; IeeeMode: 1
; LDSByteSize: 0 bytes/workgroup (compile time only)
; SGPRBlocks: 0
; VGPRBlocks: 0
; NumSGPRsForWavesPerEU: 6
; NumVGPRsForWavesPerEU: 1
; AccumOffset: 4
; Occupancy: 8
; WaveLimiterHint : 0
; COMPUTE_PGM_RSRC2:SCRATCH_EN: 0
; COMPUTE_PGM_RSRC2:USER_SGPR: 2
; COMPUTE_PGM_RSRC2:TRAP_HANDLER: 0
; COMPUTE_PGM_RSRC2:TGID_X_EN: 1
; COMPUTE_PGM_RSRC2:TGID_Y_EN: 0
; COMPUTE_PGM_RSRC2:TGID_Z_EN: 0
; COMPUTE_PGM_RSRC2:TIDIG_COMP_CNT: 0
; COMPUTE_PGM_RSRC3_GFX90A:ACCUM_OFFSET: 0
; COMPUTE_PGM_RSRC3_GFX90A:TG_SPLIT: 0
	.section	.text._ZN7rocprim17ROCPRIM_400000_NS6detail17trampoline_kernelINS0_14default_configENS1_37merge_sort_block_sort_config_selectorIlNS0_10empty_typeEEEZNS1_21merge_sort_block_sortIS3_PlS8_PS5_S9_ZN2at6native12_GLOBAL__N_124unique_dim_cuda_templateIdEESt5tupleIJNSA_6TensorESF_SF_EERKSF_lbbbEUlllE_EE10hipError_tT0_T1_T2_T3_mRjT4_P12ihipStream_tbNS1_7vsmem_tEEUlT_E_NS1_11comp_targetILNS1_3genE0ELNS1_11target_archE4294967295ELNS1_3gpuE0ELNS1_3repE0EEENS1_30default_config_static_selectorELNS0_4arch9wavefront6targetE1EEEvSM_,"axG",@progbits,_ZN7rocprim17ROCPRIM_400000_NS6detail17trampoline_kernelINS0_14default_configENS1_37merge_sort_block_sort_config_selectorIlNS0_10empty_typeEEEZNS1_21merge_sort_block_sortIS3_PlS8_PS5_S9_ZN2at6native12_GLOBAL__N_124unique_dim_cuda_templateIdEESt5tupleIJNSA_6TensorESF_SF_EERKSF_lbbbEUlllE_EE10hipError_tT0_T1_T2_T3_mRjT4_P12ihipStream_tbNS1_7vsmem_tEEUlT_E_NS1_11comp_targetILNS1_3genE0ELNS1_11target_archE4294967295ELNS1_3gpuE0ELNS1_3repE0EEENS1_30default_config_static_selectorELNS0_4arch9wavefront6targetE1EEEvSM_,comdat
	.globl	_ZN7rocprim17ROCPRIM_400000_NS6detail17trampoline_kernelINS0_14default_configENS1_37merge_sort_block_sort_config_selectorIlNS0_10empty_typeEEEZNS1_21merge_sort_block_sortIS3_PlS8_PS5_S9_ZN2at6native12_GLOBAL__N_124unique_dim_cuda_templateIdEESt5tupleIJNSA_6TensorESF_SF_EERKSF_lbbbEUlllE_EE10hipError_tT0_T1_T2_T3_mRjT4_P12ihipStream_tbNS1_7vsmem_tEEUlT_E_NS1_11comp_targetILNS1_3genE0ELNS1_11target_archE4294967295ELNS1_3gpuE0ELNS1_3repE0EEENS1_30default_config_static_selectorELNS0_4arch9wavefront6targetE1EEEvSM_ ; -- Begin function _ZN7rocprim17ROCPRIM_400000_NS6detail17trampoline_kernelINS0_14default_configENS1_37merge_sort_block_sort_config_selectorIlNS0_10empty_typeEEEZNS1_21merge_sort_block_sortIS3_PlS8_PS5_S9_ZN2at6native12_GLOBAL__N_124unique_dim_cuda_templateIdEESt5tupleIJNSA_6TensorESF_SF_EERKSF_lbbbEUlllE_EE10hipError_tT0_T1_T2_T3_mRjT4_P12ihipStream_tbNS1_7vsmem_tEEUlT_E_NS1_11comp_targetILNS1_3genE0ELNS1_11target_archE4294967295ELNS1_3gpuE0ELNS1_3repE0EEENS1_30default_config_static_selectorELNS0_4arch9wavefront6targetE1EEEvSM_
	.p2align	8
	.type	_ZN7rocprim17ROCPRIM_400000_NS6detail17trampoline_kernelINS0_14default_configENS1_37merge_sort_block_sort_config_selectorIlNS0_10empty_typeEEEZNS1_21merge_sort_block_sortIS3_PlS8_PS5_S9_ZN2at6native12_GLOBAL__N_124unique_dim_cuda_templateIdEESt5tupleIJNSA_6TensorESF_SF_EERKSF_lbbbEUlllE_EE10hipError_tT0_T1_T2_T3_mRjT4_P12ihipStream_tbNS1_7vsmem_tEEUlT_E_NS1_11comp_targetILNS1_3genE0ELNS1_11target_archE4294967295ELNS1_3gpuE0ELNS1_3repE0EEENS1_30default_config_static_selectorELNS0_4arch9wavefront6targetE1EEEvSM_,@function
_ZN7rocprim17ROCPRIM_400000_NS6detail17trampoline_kernelINS0_14default_configENS1_37merge_sort_block_sort_config_selectorIlNS0_10empty_typeEEEZNS1_21merge_sort_block_sortIS3_PlS8_PS5_S9_ZN2at6native12_GLOBAL__N_124unique_dim_cuda_templateIdEESt5tupleIJNSA_6TensorESF_SF_EERKSF_lbbbEUlllE_EE10hipError_tT0_T1_T2_T3_mRjT4_P12ihipStream_tbNS1_7vsmem_tEEUlT_E_NS1_11comp_targetILNS1_3genE0ELNS1_11target_archE4294967295ELNS1_3gpuE0ELNS1_3repE0EEENS1_30default_config_static_selectorELNS0_4arch9wavefront6targetE1EEEvSM_: ; @_ZN7rocprim17ROCPRIM_400000_NS6detail17trampoline_kernelINS0_14default_configENS1_37merge_sort_block_sort_config_selectorIlNS0_10empty_typeEEEZNS1_21merge_sort_block_sortIS3_PlS8_PS5_S9_ZN2at6native12_GLOBAL__N_124unique_dim_cuda_templateIdEESt5tupleIJNSA_6TensorESF_SF_EERKSF_lbbbEUlllE_EE10hipError_tT0_T1_T2_T3_mRjT4_P12ihipStream_tbNS1_7vsmem_tEEUlT_E_NS1_11comp_targetILNS1_3genE0ELNS1_11target_archE4294967295ELNS1_3gpuE0ELNS1_3repE0EEENS1_30default_config_static_selectorELNS0_4arch9wavefront6targetE1EEEvSM_
; %bb.0:
	s_mov_b32 s14, s2
	s_load_dwordx2 s[18:19], s[0:1], 0x48
	s_load_dword s2, s[0:1], 0x0
	s_add_u32 s16, s0, 0x48
	s_addc_u32 s17, s1, 0
	s_waitcnt lgkmcnt(0)
	s_mul_i32 s4, s19, s4
	s_add_i32 s3, s4, s3
	s_mul_i32 s3, s3, s18
	s_add_i32 s6, s3, s14
	s_cmp_ge_u32 s6, s2
	s_cbranch_scc1 .LBB749_1228
; %bb.1:
	s_load_dwordx2 s[8:9], s[0:1], 0x8
	s_load_dwordx4 s[24:27], s[0:1], 0x18
	s_load_dwordx4 s[20:23], s[0:1], 0x38
	s_mov_b32 s7, 0
	s_lshl_b64 s[2:3], s[6:7], 14
	s_waitcnt lgkmcnt(0)
	s_lshr_b64 s[0:1], s[8:9], 11
	s_add_u32 s28, s24, s2
	s_addc_u32 s29, s25, s3
	s_add_u32 s24, s26, s2
	s_addc_u32 s25, s27, s3
	s_cmp_lg_u64 s[0:1], s[6:7]
	v_and_b32_e32 v18, 0x3ff, v0
	s_cbranch_scc0 .LBB749_8
; %bb.2:
	v_mov_b32_e32 v19, 0
	v_lshlrev_b32_e32 v20, 3, v18
	v_mov_b32_e32 v21, v19
	v_lshl_add_u64 v[2:3], s[28:29], 0, v[20:21]
	v_add_co_u32_e32 v8, vcc, 0x1000, v2
	global_load_dwordx2 v[4:5], v20, s[28:29]
	global_load_dwordx2 v[6:7], v20, s[28:29] offset:2048
	v_addc_co_u32_e32 v9, vcc, 0, v3, vcc
	v_add_co_u32_e32 v10, vcc, 0x2000, v2
	v_lshrrev_b32_e32 v1, 2, v18
	s_nop 0
	v_addc_co_u32_e32 v11, vcc, 0, v3, vcc
	v_add_co_u32_e32 v2, vcc, 0x3000, v2
	global_load_dwordx2 v[12:13], v[8:9], off
	global_load_dwordx2 v[14:15], v[8:9], off offset:2048
	global_load_dwordx2 v[16:17], v[10:11], off
	global_load_dwordx2 v[22:23], v[10:11], off offset:2048
	v_addc_co_u32_e32 v3, vcc, 0, v3, vcc
	global_load_dwordx2 v[8:9], v[2:3], off
	global_load_dwordx2 v[10:11], v[2:3], off offset:2048
	v_add_u32_e32 v2, 0x100, v18
	v_add_u32_e32 v3, 0x200, v18
	v_add_u32_e32 v21, 0x300, v18
	v_or_b32_e32 v24, 0x400, v18
	v_add_u32_e32 v25, 0x500, v18
	v_add_u32_e32 v26, 0x600, v18
	;; [unrolled: 1-line block ×3, first 2 shown]
	v_lshlrev_b32_e32 v28, 1, v18
	v_and_b32_e32 v1, 0xf8, v1
	v_lshrrev_b32_e32 v2, 2, v2
	v_lshrrev_b32_e32 v3, 2, v3
	;; [unrolled: 1-line block ×7, first 2 shown]
	v_and_b32_e32 v28, 0x7f8, v28
	v_add_u32_e32 v1, v1, v20
	v_and_b32_e32 v2, 0x1f8, v2
	v_and_b32_e32 v3, 0x1f8, v3
	;; [unrolled: 1-line block ×7, first 2 shown]
	v_lshl_add_u32 v32, v18, 6, v28
	v_add_u32_e32 v21, v2, v20
	v_add_u32_e32 v26, v3, v20
	;; [unrolled: 1-line block ×7, first 2 shown]
	v_bfe_u32 v24, v0, 20, 10
	v_cmp_gt_i64_e64 s[10:11], s[20:21], 0
	s_waitcnt vmcnt(7)
	ds_write_b64 v1, v[4:5]
	s_waitcnt vmcnt(6)
	ds_write_b64 v21, v[6:7] offset:2048
	s_waitcnt vmcnt(5)
	ds_write_b64 v26, v[12:13] offset:4096
	;; [unrolled: 2-line block ×7, first 2 shown]
	s_waitcnt lgkmcnt(0)
	s_barrier
	ds_read2_b64 v[14:17], v32 offset1:1
	ds_read2_b64 v[10:13], v32 offset0:2 offset1:3
	ds_read2_b64 v[6:9], v32 offset0:4 offset1:5
	;; [unrolled: 1-line block ×3, first 2 shown]
	s_waitcnt lgkmcnt(0)
	s_barrier
	s_load_dword s0, s[16:17], 0xc
	v_bfe_u32 v23, v0, 10, 10
	v_cndmask_b32_e64 v25, 0, 1, s[10:11]
	s_waitcnt lgkmcnt(0)
	s_lshr_b32 s2, s0, 16
	s_cmp_lt_u32 s14, s18
	s_cselect_b32 s0, 12, 18
	s_add_u32 s0, s16, s0
	s_addc_u32 s1, s17, 0
	global_load_ushort v22, v19, s[0:1]
	v_mad_u32_u24 v23, v24, s2, v23
	s_movk_i32 s0, 0x800
	s_waitcnt vmcnt(0)
	v_mul_lo_u32 v22, v23, v22
	v_add_lshl_u32 v33, v22, v18, 3
	v_cmp_gt_u32_e32 vcc, s0, v33
	v_cmp_ne_u32_e64 s[0:1], 1, v25
	s_and_saveexec_b64 s[4:5], vcc
	s_cbranch_execz .LBB749_190
; %bb.3:
	s_and_b64 vcc, exec, s[0:1]
	s_cbranch_vccnz .LBB749_18
; %bb.4:
	v_mul_lo_u32 v24, v17, s20
	v_mul_lo_u32 v25, v16, s21
	v_mad_u64_u32 v[22:23], s[2:3], v16, s20, 0
	v_add3_u32 v23, v23, v25, v24
	v_mul_lo_u32 v34, v15, s20
	v_mul_lo_u32 v35, v14, s21
	v_mad_u64_u32 v[24:25], s[2:3], v14, s20, 0
	v_add3_u32 v25, v25, v35, v34
	v_lshl_add_u64 v[22:23], v[22:23], 3, s[22:23]
	v_lshl_add_u64 v[24:25], v[24:25], 3, s[22:23]
	s_mov_b64 s[26:27], 0
	s_mov_b64 s[40:41], s[20:21]
                                        ; implicit-def: $sgpr12_sgpr13
                                        ; implicit-def: $sgpr30_sgpr31
                                        ; implicit-def: $sgpr36_sgpr37
                                        ; implicit-def: $sgpr34_sgpr35
                                        ; implicit-def: $sgpr38_sgpr39
	s_branch .LBB749_6
.LBB749_5:                              ;   in Loop: Header=BB749_6 Depth=1
	s_or_b64 exec, exec, s[42:43]
	s_and_b64 s[2:3], s[2:3], s[38:39]
	s_or_b64 s[2:3], vcc, s[2:3]
	s_and_b64 s[42:43], exec, s[36:37]
	s_or_b64 s[26:27], s[42:43], s[26:27]
	s_andn2_b64 s[38:39], s[38:39], exec
	s_and_b64 s[2:3], s[2:3], exec
	s_andn2_b64 s[30:31], s[30:31], exec
	s_and_b64 s[42:43], s[34:35], exec
	s_andn2_b64 s[12:13], s[12:13], exec
	s_or_b64 s[38:39], s[38:39], s[2:3]
	s_or_b64 s[30:31], s[30:31], s[42:43]
	;; [unrolled: 1-line block ×3, first 2 shown]
	s_andn2_b64 exec, exec, s[26:27]
	s_cbranch_execz .LBB749_9
.LBB749_6:                              ; =>This Inner Loop Header: Depth=1
	global_load_dwordx2 v[34:35], v[22:23], off
	global_load_dwordx2 v[36:37], v[24:25], off
	s_or_b64 s[34:35], s[34:35], exec
	s_or_b64 s[36:37], s[36:37], exec
	s_waitcnt vmcnt(0)
	v_cmp_lt_f64_e32 vcc, v[34:35], v[36:37]
	v_cmp_ngt_f64_e64 s[2:3], v[34:35], v[36:37]
	s_xor_b64 s[44:45], vcc, s[2:3]
	s_and_saveexec_b64 s[42:43], s[44:45]
	s_cbranch_execz .LBB749_5
; %bb.7:                                ;   in Loop: Header=BB749_6 Depth=1
	s_add_u32 s40, s40, -1
	s_addc_u32 s41, s41, -1
	s_cmp_eq_u64 s[40:41], 0
	s_cselect_b64 s[44:45], -1, 0
	s_andn2_b64 s[36:37], s[36:37], exec
	s_and_b64 s[44:45], s[44:45], exec
	v_lshl_add_u64 v[22:23], v[22:23], 0, 8
	v_lshl_add_u64 v[24:25], v[24:25], 0, 8
	s_andn2_b64 s[34:35], s[34:35], exec
	s_or_b64 s[36:37], s[36:37], s[44:45]
	s_branch .LBB749_5
.LBB749_8:
	s_mov_b64 s[26:27], 0
                                        ; implicit-def: $vgpr14_vgpr15
	s_cbranch_execnz .LBB749_584
	s_branch .LBB749_1226
.LBB749_9:
	s_or_b64 exec, exec, s[26:27]
	s_and_saveexec_b64 s[2:3], s[30:31]
	s_xor_b64 s[2:3], exec, s[2:3]
; %bb.10:
	v_cndmask_b32_e64 v23, v17, v15, s[12:13]
	v_cndmask_b32_e64 v22, v16, v14, s[12:13]
	;; [unrolled: 1-line block ×4, first 2 shown]
	v_mov_b64_e32 v[16:17], v[22:23]
; %bb.11:
	s_or_b64 exec, exec, s[2:3]
	v_mul_lo_u32 v24, v13, s20
	v_mul_lo_u32 v25, v12, s21
	v_mad_u64_u32 v[22:23], s[2:3], v12, s20, 0
	v_add3_u32 v23, v23, v25, v24
	v_mul_lo_u32 v34, v11, s20
	v_mul_lo_u32 v35, v10, s21
	v_mad_u64_u32 v[24:25], s[2:3], v10, s20, 0
	v_add3_u32 v25, v25, v35, v34
	v_lshl_add_u64 v[22:23], v[22:23], 3, s[22:23]
	v_lshl_add_u64 v[24:25], v[24:25], 3, s[22:23]
	s_mov_b64 s[30:31], 0
	s_mov_b64 s[40:41], s[20:21]
                                        ; implicit-def: $sgpr12_sgpr13
                                        ; implicit-def: $sgpr26_sgpr27
                                        ; implicit-def: $sgpr36_sgpr37
                                        ; implicit-def: $sgpr34_sgpr35
                                        ; implicit-def: $sgpr38_sgpr39
	s_branch .LBB749_13
.LBB749_12:                             ;   in Loop: Header=BB749_13 Depth=1
	s_or_b64 exec, exec, s[42:43]
	s_and_b64 s[2:3], s[2:3], s[38:39]
	s_or_b64 s[2:3], vcc, s[2:3]
	s_and_b64 s[42:43], exec, s[36:37]
	s_or_b64 s[30:31], s[42:43], s[30:31]
	s_andn2_b64 s[38:39], s[38:39], exec
	s_and_b64 s[2:3], s[2:3], exec
	s_andn2_b64 s[26:27], s[26:27], exec
	s_and_b64 s[42:43], s[34:35], exec
	s_andn2_b64 s[12:13], s[12:13], exec
	s_or_b64 s[38:39], s[38:39], s[2:3]
	s_or_b64 s[26:27], s[26:27], s[42:43]
	;; [unrolled: 1-line block ×3, first 2 shown]
	s_andn2_b64 exec, exec, s[30:31]
	s_cbranch_execz .LBB749_15
.LBB749_13:                             ; =>This Inner Loop Header: Depth=1
	global_load_dwordx2 v[34:35], v[22:23], off
	global_load_dwordx2 v[36:37], v[24:25], off
	s_or_b64 s[34:35], s[34:35], exec
	s_or_b64 s[36:37], s[36:37], exec
	s_waitcnt vmcnt(0)
	v_cmp_lt_f64_e32 vcc, v[34:35], v[36:37]
	v_cmp_ngt_f64_e64 s[2:3], v[34:35], v[36:37]
	s_xor_b64 s[44:45], vcc, s[2:3]
	s_and_saveexec_b64 s[42:43], s[44:45]
	s_cbranch_execz .LBB749_12
; %bb.14:                               ;   in Loop: Header=BB749_13 Depth=1
	s_add_u32 s40, s40, -1
	s_addc_u32 s41, s41, -1
	s_cmp_eq_u64 s[40:41], 0
	s_cselect_b64 s[44:45], -1, 0
	s_andn2_b64 s[36:37], s[36:37], exec
	s_and_b64 s[44:45], s[44:45], exec
	v_lshl_add_u64 v[22:23], v[22:23], 0, 8
	v_lshl_add_u64 v[24:25], v[24:25], 0, 8
	s_andn2_b64 s[34:35], s[34:35], exec
	s_or_b64 s[36:37], s[36:37], s[44:45]
	s_branch .LBB749_12
.LBB749_15:
	s_or_b64 exec, exec, s[30:31]
	s_and_saveexec_b64 s[2:3], s[26:27]
	s_xor_b64 s[2:3], exec, s[2:3]
; %bb.16:
	v_cndmask_b32_e64 v23, v11, v13, s[12:13]
	v_cndmask_b32_e64 v22, v10, v12, s[12:13]
	;; [unrolled: 1-line block ×4, first 2 shown]
	v_mov_b64_e32 v[10:11], v[22:23]
; %bb.17:
	s_or_b64 exec, exec, s[2:3]
.LBB749_18:
	s_and_b64 vcc, exec, s[0:1]
	s_cbranch_vccnz .LBB749_32
; %bb.19:
	v_mul_lo_u32 v24, v9, s20
	v_mul_lo_u32 v25, v8, s21
	v_mad_u64_u32 v[22:23], s[2:3], v8, s20, 0
	v_add3_u32 v23, v23, v25, v24
	v_mul_lo_u32 v34, v7, s20
	v_mul_lo_u32 v35, v6, s21
	v_mad_u64_u32 v[24:25], s[2:3], v6, s20, 0
	v_add3_u32 v25, v25, v35, v34
	v_lshl_add_u64 v[22:23], v[22:23], 3, s[22:23]
	v_lshl_add_u64 v[24:25], v[24:25], 3, s[22:23]
	s_mov_b64 s[26:27], 0
	s_mov_b64 s[40:41], s[20:21]
                                        ; implicit-def: $sgpr12_sgpr13
                                        ; implicit-def: $sgpr30_sgpr31
                                        ; implicit-def: $sgpr36_sgpr37
                                        ; implicit-def: $sgpr34_sgpr35
                                        ; implicit-def: $sgpr38_sgpr39
	s_branch .LBB749_21
.LBB749_20:                             ;   in Loop: Header=BB749_21 Depth=1
	s_or_b64 exec, exec, s[42:43]
	s_and_b64 s[2:3], s[2:3], s[38:39]
	s_or_b64 s[2:3], vcc, s[2:3]
	s_and_b64 s[42:43], exec, s[36:37]
	s_or_b64 s[26:27], s[42:43], s[26:27]
	s_andn2_b64 s[38:39], s[38:39], exec
	s_and_b64 s[2:3], s[2:3], exec
	s_andn2_b64 s[30:31], s[30:31], exec
	s_and_b64 s[42:43], s[34:35], exec
	s_andn2_b64 s[12:13], s[12:13], exec
	s_or_b64 s[38:39], s[38:39], s[2:3]
	s_or_b64 s[30:31], s[30:31], s[42:43]
	;; [unrolled: 1-line block ×3, first 2 shown]
	s_andn2_b64 exec, exec, s[26:27]
	s_cbranch_execz .LBB749_23
.LBB749_21:                             ; =>This Inner Loop Header: Depth=1
	global_load_dwordx2 v[34:35], v[22:23], off
	global_load_dwordx2 v[36:37], v[24:25], off
	s_or_b64 s[34:35], s[34:35], exec
	s_or_b64 s[36:37], s[36:37], exec
	s_waitcnt vmcnt(0)
	v_cmp_lt_f64_e32 vcc, v[34:35], v[36:37]
	v_cmp_ngt_f64_e64 s[2:3], v[34:35], v[36:37]
	s_xor_b64 s[44:45], vcc, s[2:3]
	s_and_saveexec_b64 s[42:43], s[44:45]
	s_cbranch_execz .LBB749_20
; %bb.22:                               ;   in Loop: Header=BB749_21 Depth=1
	s_add_u32 s40, s40, -1
	s_addc_u32 s41, s41, -1
	s_cmp_eq_u64 s[40:41], 0
	s_cselect_b64 s[44:45], -1, 0
	s_andn2_b64 s[36:37], s[36:37], exec
	s_and_b64 s[44:45], s[44:45], exec
	v_lshl_add_u64 v[22:23], v[22:23], 0, 8
	v_lshl_add_u64 v[24:25], v[24:25], 0, 8
	s_andn2_b64 s[34:35], s[34:35], exec
	s_or_b64 s[36:37], s[36:37], s[44:45]
	s_branch .LBB749_20
.LBB749_23:
	s_or_b64 exec, exec, s[26:27]
	s_and_saveexec_b64 s[2:3], s[30:31]
	s_xor_b64 s[2:3], exec, s[2:3]
; %bb.24:
	v_cndmask_b32_e64 v23, v7, v9, s[12:13]
	v_cndmask_b32_e64 v22, v6, v8, s[12:13]
	;; [unrolled: 1-line block ×4, first 2 shown]
	v_mov_b64_e32 v[6:7], v[22:23]
; %bb.25:
	s_or_b64 exec, exec, s[2:3]
	v_mul_lo_u32 v24, v5, s20
	v_mul_lo_u32 v25, v4, s21
	v_mad_u64_u32 v[22:23], s[2:3], v4, s20, 0
	v_add3_u32 v23, v23, v25, v24
	v_mul_lo_u32 v34, v3, s20
	v_mul_lo_u32 v35, v2, s21
	v_mad_u64_u32 v[24:25], s[2:3], v2, s20, 0
	v_add3_u32 v25, v25, v35, v34
	v_lshl_add_u64 v[22:23], v[22:23], 3, s[22:23]
	v_lshl_add_u64 v[24:25], v[24:25], 3, s[22:23]
	s_mov_b64 s[30:31], 0
	s_mov_b64 s[40:41], s[20:21]
                                        ; implicit-def: $sgpr12_sgpr13
                                        ; implicit-def: $sgpr26_sgpr27
                                        ; implicit-def: $sgpr36_sgpr37
                                        ; implicit-def: $sgpr34_sgpr35
                                        ; implicit-def: $sgpr38_sgpr39
	s_branch .LBB749_27
.LBB749_26:                             ;   in Loop: Header=BB749_27 Depth=1
	s_or_b64 exec, exec, s[42:43]
	s_and_b64 s[2:3], s[2:3], s[38:39]
	s_or_b64 s[2:3], vcc, s[2:3]
	s_and_b64 s[42:43], exec, s[36:37]
	s_or_b64 s[30:31], s[42:43], s[30:31]
	s_andn2_b64 s[38:39], s[38:39], exec
	s_and_b64 s[2:3], s[2:3], exec
	s_andn2_b64 s[26:27], s[26:27], exec
	s_and_b64 s[42:43], s[34:35], exec
	s_andn2_b64 s[12:13], s[12:13], exec
	s_or_b64 s[38:39], s[38:39], s[2:3]
	s_or_b64 s[26:27], s[26:27], s[42:43]
	;; [unrolled: 1-line block ×3, first 2 shown]
	s_andn2_b64 exec, exec, s[30:31]
	s_cbranch_execz .LBB749_29
.LBB749_27:                             ; =>This Inner Loop Header: Depth=1
	global_load_dwordx2 v[34:35], v[22:23], off
	global_load_dwordx2 v[36:37], v[24:25], off
	s_or_b64 s[34:35], s[34:35], exec
	s_or_b64 s[36:37], s[36:37], exec
	s_waitcnt vmcnt(0)
	v_cmp_lt_f64_e32 vcc, v[34:35], v[36:37]
	v_cmp_ngt_f64_e64 s[2:3], v[34:35], v[36:37]
	s_xor_b64 s[44:45], vcc, s[2:3]
	s_and_saveexec_b64 s[42:43], s[44:45]
	s_cbranch_execz .LBB749_26
; %bb.28:                               ;   in Loop: Header=BB749_27 Depth=1
	s_add_u32 s40, s40, -1
	s_addc_u32 s41, s41, -1
	s_cmp_eq_u64 s[40:41], 0
	s_cselect_b64 s[44:45], -1, 0
	s_andn2_b64 s[36:37], s[36:37], exec
	s_and_b64 s[44:45], s[44:45], exec
	v_lshl_add_u64 v[22:23], v[22:23], 0, 8
	v_lshl_add_u64 v[24:25], v[24:25], 0, 8
	s_andn2_b64 s[34:35], s[34:35], exec
	s_or_b64 s[36:37], s[36:37], s[44:45]
	s_branch .LBB749_26
.LBB749_29:
	s_or_b64 exec, exec, s[30:31]
	s_and_saveexec_b64 s[2:3], s[26:27]
	s_xor_b64 s[2:3], exec, s[2:3]
; %bb.30:
	v_cndmask_b32_e64 v23, v3, v5, s[12:13]
	v_cndmask_b32_e64 v22, v2, v4, s[12:13]
	;; [unrolled: 1-line block ×4, first 2 shown]
	v_mov_b64_e32 v[2:3], v[22:23]
; %bb.31:
	s_or_b64 exec, exec, s[2:3]
.LBB749_32:
	s_and_b64 vcc, exec, s[10:11]
	s_cbranch_vccz .LBB749_46
; %bb.33:
	v_mul_lo_u32 v24, v11, s20
	v_mul_lo_u32 v25, v10, s21
	v_mad_u64_u32 v[22:23], s[2:3], v10, s20, 0
	v_add3_u32 v23, v23, v25, v24
	v_mul_lo_u32 v34, v17, s20
	v_mul_lo_u32 v35, v16, s21
	v_mad_u64_u32 v[24:25], s[2:3], v16, s20, 0
	v_add3_u32 v25, v25, v35, v34
	v_lshl_add_u64 v[22:23], v[22:23], 3, s[22:23]
	v_lshl_add_u64 v[24:25], v[24:25], 3, s[22:23]
	s_mov_b64 s[12:13], 0
	s_mov_b64 s[38:39], s[20:21]
                                        ; implicit-def: $sgpr10_sgpr11
                                        ; implicit-def: $sgpr26_sgpr27
                                        ; implicit-def: $sgpr34_sgpr35
                                        ; implicit-def: $sgpr30_sgpr31
                                        ; implicit-def: $sgpr36_sgpr37
	s_branch .LBB749_35
.LBB749_34:                             ;   in Loop: Header=BB749_35 Depth=1
	s_or_b64 exec, exec, s[40:41]
	s_and_b64 s[2:3], s[2:3], s[36:37]
	s_or_b64 s[2:3], vcc, s[2:3]
	s_and_b64 s[40:41], exec, s[34:35]
	s_or_b64 s[12:13], s[40:41], s[12:13]
	s_andn2_b64 s[36:37], s[36:37], exec
	s_and_b64 s[2:3], s[2:3], exec
	s_andn2_b64 s[26:27], s[26:27], exec
	s_and_b64 s[40:41], s[30:31], exec
	s_andn2_b64 s[10:11], s[10:11], exec
	s_or_b64 s[36:37], s[36:37], s[2:3]
	s_or_b64 s[26:27], s[26:27], s[40:41]
	;; [unrolled: 1-line block ×3, first 2 shown]
	s_andn2_b64 exec, exec, s[12:13]
	s_cbranch_execz .LBB749_37
.LBB749_35:                             ; =>This Inner Loop Header: Depth=1
	global_load_dwordx2 v[34:35], v[22:23], off
	global_load_dwordx2 v[36:37], v[24:25], off
	s_or_b64 s[30:31], s[30:31], exec
	s_or_b64 s[34:35], s[34:35], exec
	s_waitcnt vmcnt(0)
	v_cmp_lt_f64_e32 vcc, v[34:35], v[36:37]
	v_cmp_ngt_f64_e64 s[2:3], v[34:35], v[36:37]
	s_xor_b64 s[42:43], vcc, s[2:3]
	s_and_saveexec_b64 s[40:41], s[42:43]
	s_cbranch_execz .LBB749_34
; %bb.36:                               ;   in Loop: Header=BB749_35 Depth=1
	s_add_u32 s38, s38, -1
	s_addc_u32 s39, s39, -1
	s_cmp_eq_u64 s[38:39], 0
	s_cselect_b64 s[42:43], -1, 0
	s_andn2_b64 s[34:35], s[34:35], exec
	s_and_b64 s[42:43], s[42:43], exec
	v_lshl_add_u64 v[22:23], v[22:23], 0, 8
	v_lshl_add_u64 v[24:25], v[24:25], 0, 8
	s_andn2_b64 s[30:31], s[30:31], exec
	s_or_b64 s[34:35], s[34:35], s[42:43]
	s_branch .LBB749_34
.LBB749_37:
	s_or_b64 exec, exec, s[12:13]
	s_and_saveexec_b64 s[2:3], s[26:27]
	s_xor_b64 s[2:3], exec, s[2:3]
; %bb.38:
	v_cndmask_b32_e64 v23, v17, v11, s[10:11]
	v_cndmask_b32_e64 v22, v16, v10, s[10:11]
	;; [unrolled: 1-line block ×4, first 2 shown]
	v_mov_b64_e32 v[16:17], v[22:23]
; %bb.39:
	s_or_b64 exec, exec, s[2:3]
	v_mul_lo_u32 v24, v7, s20
	v_mul_lo_u32 v25, v6, s21
	v_mad_u64_u32 v[22:23], s[2:3], v6, s20, 0
	v_add3_u32 v23, v23, v25, v24
	v_mul_lo_u32 v34, v13, s20
	v_mul_lo_u32 v35, v12, s21
	v_mad_u64_u32 v[24:25], s[2:3], v12, s20, 0
	v_add3_u32 v25, v25, v35, v34
	v_lshl_add_u64 v[22:23], v[22:23], 3, s[22:23]
	v_lshl_add_u64 v[24:25], v[24:25], 3, s[22:23]
	s_mov_b64 s[26:27], 0
	s_mov_b64 s[38:39], s[20:21]
                                        ; implicit-def: $sgpr10_sgpr11
                                        ; implicit-def: $sgpr12_sgpr13
                                        ; implicit-def: $sgpr34_sgpr35
                                        ; implicit-def: $sgpr30_sgpr31
                                        ; implicit-def: $sgpr36_sgpr37
	s_branch .LBB749_41
.LBB749_40:                             ;   in Loop: Header=BB749_41 Depth=1
	s_or_b64 exec, exec, s[40:41]
	s_and_b64 s[2:3], s[2:3], s[36:37]
	s_or_b64 s[2:3], vcc, s[2:3]
	s_and_b64 s[40:41], exec, s[34:35]
	s_or_b64 s[26:27], s[40:41], s[26:27]
	s_andn2_b64 s[36:37], s[36:37], exec
	s_and_b64 s[2:3], s[2:3], exec
	s_andn2_b64 s[12:13], s[12:13], exec
	s_and_b64 s[40:41], s[30:31], exec
	s_andn2_b64 s[10:11], s[10:11], exec
	s_or_b64 s[36:37], s[36:37], s[2:3]
	s_or_b64 s[12:13], s[12:13], s[40:41]
	;; [unrolled: 1-line block ×3, first 2 shown]
	s_andn2_b64 exec, exec, s[26:27]
	s_cbranch_execz .LBB749_43
.LBB749_41:                             ; =>This Inner Loop Header: Depth=1
	global_load_dwordx2 v[34:35], v[22:23], off
	global_load_dwordx2 v[36:37], v[24:25], off
	s_or_b64 s[30:31], s[30:31], exec
	s_or_b64 s[34:35], s[34:35], exec
	s_waitcnt vmcnt(0)
	v_cmp_lt_f64_e32 vcc, v[34:35], v[36:37]
	v_cmp_ngt_f64_e64 s[2:3], v[34:35], v[36:37]
	s_xor_b64 s[42:43], vcc, s[2:3]
	s_and_saveexec_b64 s[40:41], s[42:43]
	s_cbranch_execz .LBB749_40
; %bb.42:                               ;   in Loop: Header=BB749_41 Depth=1
	s_add_u32 s38, s38, -1
	s_addc_u32 s39, s39, -1
	s_cmp_eq_u64 s[38:39], 0
	s_cselect_b64 s[42:43], -1, 0
	s_andn2_b64 s[34:35], s[34:35], exec
	s_and_b64 s[42:43], s[42:43], exec
	v_lshl_add_u64 v[22:23], v[22:23], 0, 8
	v_lshl_add_u64 v[24:25], v[24:25], 0, 8
	s_andn2_b64 s[30:31], s[30:31], exec
	s_or_b64 s[34:35], s[34:35], s[42:43]
	s_branch .LBB749_40
.LBB749_43:
	s_or_b64 exec, exec, s[26:27]
	s_and_saveexec_b64 s[2:3], s[12:13]
	s_xor_b64 s[2:3], exec, s[2:3]
; %bb.44:
	v_cndmask_b32_e64 v23, v13, v7, s[10:11]
	v_cndmask_b32_e64 v22, v12, v6, s[10:11]
	;; [unrolled: 1-line block ×4, first 2 shown]
	v_mov_b64_e32 v[12:13], v[22:23]
; %bb.45:
	s_or_b64 exec, exec, s[2:3]
.LBB749_46:
	s_and_b64 vcc, exec, s[0:1]
	s_cbranch_vccnz .LBB749_60
; %bb.47:
	v_mul_lo_u32 v24, v3, s20
	v_mul_lo_u32 v25, v2, s21
	v_mad_u64_u32 v[22:23], s[2:3], v2, s20, 0
	v_add3_u32 v23, v23, v25, v24
	v_mul_lo_u32 v34, v9, s20
	v_mul_lo_u32 v35, v8, s21
	v_mad_u64_u32 v[24:25], s[2:3], v8, s20, 0
	v_add3_u32 v25, v25, v35, v34
	v_lshl_add_u64 v[22:23], v[22:23], 3, s[22:23]
	v_lshl_add_u64 v[24:25], v[24:25], 3, s[22:23]
	s_mov_b64 s[12:13], 0
	s_mov_b64 s[38:39], s[20:21]
                                        ; implicit-def: $sgpr10_sgpr11
                                        ; implicit-def: $sgpr26_sgpr27
                                        ; implicit-def: $sgpr34_sgpr35
                                        ; implicit-def: $sgpr30_sgpr31
                                        ; implicit-def: $sgpr36_sgpr37
	s_branch .LBB749_49
.LBB749_48:                             ;   in Loop: Header=BB749_49 Depth=1
	s_or_b64 exec, exec, s[40:41]
	s_and_b64 s[2:3], s[2:3], s[36:37]
	s_or_b64 s[2:3], vcc, s[2:3]
	s_and_b64 s[40:41], exec, s[34:35]
	s_or_b64 s[12:13], s[40:41], s[12:13]
	s_andn2_b64 s[36:37], s[36:37], exec
	s_and_b64 s[2:3], s[2:3], exec
	s_andn2_b64 s[26:27], s[26:27], exec
	s_and_b64 s[40:41], s[30:31], exec
	s_andn2_b64 s[10:11], s[10:11], exec
	s_or_b64 s[36:37], s[36:37], s[2:3]
	s_or_b64 s[26:27], s[26:27], s[40:41]
	;; [unrolled: 1-line block ×3, first 2 shown]
	s_andn2_b64 exec, exec, s[12:13]
	s_cbranch_execz .LBB749_51
.LBB749_49:                             ; =>This Inner Loop Header: Depth=1
	global_load_dwordx2 v[34:35], v[22:23], off
	global_load_dwordx2 v[36:37], v[24:25], off
	s_or_b64 s[30:31], s[30:31], exec
	s_or_b64 s[34:35], s[34:35], exec
	s_waitcnt vmcnt(0)
	v_cmp_lt_f64_e32 vcc, v[34:35], v[36:37]
	v_cmp_ngt_f64_e64 s[2:3], v[34:35], v[36:37]
	s_xor_b64 s[42:43], vcc, s[2:3]
	s_and_saveexec_b64 s[40:41], s[42:43]
	s_cbranch_execz .LBB749_48
; %bb.50:                               ;   in Loop: Header=BB749_49 Depth=1
	s_add_u32 s38, s38, -1
	s_addc_u32 s39, s39, -1
	s_cmp_eq_u64 s[38:39], 0
	s_cselect_b64 s[42:43], -1, 0
	s_andn2_b64 s[34:35], s[34:35], exec
	s_and_b64 s[42:43], s[42:43], exec
	v_lshl_add_u64 v[22:23], v[22:23], 0, 8
	v_lshl_add_u64 v[24:25], v[24:25], 0, 8
	s_andn2_b64 s[30:31], s[30:31], exec
	s_or_b64 s[34:35], s[34:35], s[42:43]
	s_branch .LBB749_48
.LBB749_51:
	s_or_b64 exec, exec, s[12:13]
	s_and_saveexec_b64 s[2:3], s[26:27]
	s_xor_b64 s[2:3], exec, s[2:3]
; %bb.52:
	v_cndmask_b32_e64 v23, v9, v3, s[10:11]
	v_cndmask_b32_e64 v22, v8, v2, s[10:11]
	;; [unrolled: 1-line block ×4, first 2 shown]
	v_mov_b64_e32 v[8:9], v[22:23]
; %bb.53:
	s_or_b64 exec, exec, s[2:3]
	v_mul_lo_u32 v24, v17, s20
	v_mul_lo_u32 v25, v16, s21
	v_mad_u64_u32 v[22:23], s[2:3], v16, s20, 0
	v_add3_u32 v23, v23, v25, v24
	v_mul_lo_u32 v34, v15, s20
	v_mul_lo_u32 v35, v14, s21
	v_mad_u64_u32 v[24:25], s[2:3], v14, s20, 0
	v_add3_u32 v25, v25, v35, v34
	v_lshl_add_u64 v[22:23], v[22:23], 3, s[22:23]
	v_lshl_add_u64 v[24:25], v[24:25], 3, s[22:23]
	s_mov_b64 s[26:27], 0
	s_mov_b64 s[38:39], s[20:21]
                                        ; implicit-def: $sgpr10_sgpr11
                                        ; implicit-def: $sgpr12_sgpr13
                                        ; implicit-def: $sgpr34_sgpr35
                                        ; implicit-def: $sgpr30_sgpr31
                                        ; implicit-def: $sgpr36_sgpr37
	s_branch .LBB749_55
.LBB749_54:                             ;   in Loop: Header=BB749_55 Depth=1
	s_or_b64 exec, exec, s[40:41]
	s_and_b64 s[2:3], s[2:3], s[36:37]
	s_or_b64 s[2:3], vcc, s[2:3]
	s_and_b64 s[40:41], exec, s[34:35]
	s_or_b64 s[26:27], s[40:41], s[26:27]
	s_andn2_b64 s[36:37], s[36:37], exec
	s_and_b64 s[2:3], s[2:3], exec
	s_andn2_b64 s[12:13], s[12:13], exec
	s_and_b64 s[40:41], s[30:31], exec
	s_andn2_b64 s[10:11], s[10:11], exec
	s_or_b64 s[36:37], s[36:37], s[2:3]
	s_or_b64 s[12:13], s[12:13], s[40:41]
	;; [unrolled: 1-line block ×3, first 2 shown]
	s_andn2_b64 exec, exec, s[26:27]
	s_cbranch_execz .LBB749_57
.LBB749_55:                             ; =>This Inner Loop Header: Depth=1
	global_load_dwordx2 v[34:35], v[22:23], off
	global_load_dwordx2 v[36:37], v[24:25], off
	s_or_b64 s[30:31], s[30:31], exec
	s_or_b64 s[34:35], s[34:35], exec
	s_waitcnt vmcnt(0)
	v_cmp_lt_f64_e32 vcc, v[34:35], v[36:37]
	v_cmp_ngt_f64_e64 s[2:3], v[34:35], v[36:37]
	s_xor_b64 s[42:43], vcc, s[2:3]
	s_and_saveexec_b64 s[40:41], s[42:43]
	s_cbranch_execz .LBB749_54
; %bb.56:                               ;   in Loop: Header=BB749_55 Depth=1
	s_add_u32 s38, s38, -1
	s_addc_u32 s39, s39, -1
	s_cmp_eq_u64 s[38:39], 0
	s_cselect_b64 s[42:43], -1, 0
	s_andn2_b64 s[34:35], s[34:35], exec
	s_and_b64 s[42:43], s[42:43], exec
	v_lshl_add_u64 v[22:23], v[22:23], 0, 8
	v_lshl_add_u64 v[24:25], v[24:25], 0, 8
	s_andn2_b64 s[30:31], s[30:31], exec
	s_or_b64 s[34:35], s[34:35], s[42:43]
	s_branch .LBB749_54
.LBB749_57:
	s_or_b64 exec, exec, s[26:27]
	s_and_saveexec_b64 s[2:3], s[12:13]
	s_xor_b64 s[2:3], exec, s[2:3]
; %bb.58:
	v_cndmask_b32_e64 v23, v17, v15, s[10:11]
	v_cndmask_b32_e64 v22, v16, v14, s[10:11]
	;; [unrolled: 1-line block ×4, first 2 shown]
	v_mov_b64_e32 v[16:17], v[22:23]
; %bb.59:
	s_or_b64 exec, exec, s[2:3]
.LBB749_60:
	s_and_b64 vcc, exec, s[0:1]
	s_cbranch_vccnz .LBB749_74
; %bb.61:
	v_mul_lo_u32 v24, v13, s20
	v_mul_lo_u32 v25, v12, s21
	v_mad_u64_u32 v[22:23], s[2:3], v12, s20, 0
	v_add3_u32 v23, v23, v25, v24
	v_mul_lo_u32 v34, v11, s20
	v_mul_lo_u32 v35, v10, s21
	v_mad_u64_u32 v[24:25], s[2:3], v10, s20, 0
	v_add3_u32 v25, v25, v35, v34
	v_lshl_add_u64 v[22:23], v[22:23], 3, s[22:23]
	v_lshl_add_u64 v[24:25], v[24:25], 3, s[22:23]
	s_mov_b64 s[12:13], 0
	s_mov_b64 s[38:39], s[20:21]
                                        ; implicit-def: $sgpr10_sgpr11
                                        ; implicit-def: $sgpr26_sgpr27
                                        ; implicit-def: $sgpr34_sgpr35
                                        ; implicit-def: $sgpr30_sgpr31
                                        ; implicit-def: $sgpr36_sgpr37
	s_branch .LBB749_63
.LBB749_62:                             ;   in Loop: Header=BB749_63 Depth=1
	s_or_b64 exec, exec, s[40:41]
	s_and_b64 s[2:3], s[2:3], s[36:37]
	s_or_b64 s[2:3], vcc, s[2:3]
	s_and_b64 s[40:41], exec, s[34:35]
	s_or_b64 s[12:13], s[40:41], s[12:13]
	s_andn2_b64 s[36:37], s[36:37], exec
	s_and_b64 s[2:3], s[2:3], exec
	s_andn2_b64 s[26:27], s[26:27], exec
	s_and_b64 s[40:41], s[30:31], exec
	s_andn2_b64 s[10:11], s[10:11], exec
	s_or_b64 s[36:37], s[36:37], s[2:3]
	s_or_b64 s[26:27], s[26:27], s[40:41]
	;; [unrolled: 1-line block ×3, first 2 shown]
	s_andn2_b64 exec, exec, s[12:13]
	s_cbranch_execz .LBB749_65
.LBB749_63:                             ; =>This Inner Loop Header: Depth=1
	global_load_dwordx2 v[34:35], v[22:23], off
	global_load_dwordx2 v[36:37], v[24:25], off
	s_or_b64 s[30:31], s[30:31], exec
	s_or_b64 s[34:35], s[34:35], exec
	s_waitcnt vmcnt(0)
	v_cmp_lt_f64_e32 vcc, v[34:35], v[36:37]
	v_cmp_ngt_f64_e64 s[2:3], v[34:35], v[36:37]
	s_xor_b64 s[42:43], vcc, s[2:3]
	s_and_saveexec_b64 s[40:41], s[42:43]
	s_cbranch_execz .LBB749_62
; %bb.64:                               ;   in Loop: Header=BB749_63 Depth=1
	s_add_u32 s38, s38, -1
	s_addc_u32 s39, s39, -1
	s_cmp_eq_u64 s[38:39], 0
	s_cselect_b64 s[42:43], -1, 0
	s_andn2_b64 s[34:35], s[34:35], exec
	s_and_b64 s[42:43], s[42:43], exec
	v_lshl_add_u64 v[22:23], v[22:23], 0, 8
	v_lshl_add_u64 v[24:25], v[24:25], 0, 8
	s_andn2_b64 s[30:31], s[30:31], exec
	s_or_b64 s[34:35], s[34:35], s[42:43]
	s_branch .LBB749_62
.LBB749_65:
	s_or_b64 exec, exec, s[12:13]
	s_and_saveexec_b64 s[2:3], s[26:27]
	s_xor_b64 s[2:3], exec, s[2:3]
; %bb.66:
	v_cndmask_b32_e64 v23, v11, v13, s[10:11]
	v_cndmask_b32_e64 v22, v10, v12, s[10:11]
	;; [unrolled: 1-line block ×4, first 2 shown]
	v_mov_b64_e32 v[10:11], v[22:23]
; %bb.67:
	s_or_b64 exec, exec, s[2:3]
	v_mul_lo_u32 v24, v9, s20
	v_mul_lo_u32 v25, v8, s21
	v_mad_u64_u32 v[22:23], s[2:3], v8, s20, 0
	v_add3_u32 v23, v23, v25, v24
	v_mul_lo_u32 v34, v7, s20
	v_mul_lo_u32 v35, v6, s21
	v_mad_u64_u32 v[24:25], s[2:3], v6, s20, 0
	v_add3_u32 v25, v25, v35, v34
	v_lshl_add_u64 v[22:23], v[22:23], 3, s[22:23]
	v_lshl_add_u64 v[24:25], v[24:25], 3, s[22:23]
	s_mov_b64 s[26:27], 0
	s_mov_b64 s[38:39], s[20:21]
                                        ; implicit-def: $sgpr10_sgpr11
                                        ; implicit-def: $sgpr12_sgpr13
                                        ; implicit-def: $sgpr34_sgpr35
                                        ; implicit-def: $sgpr30_sgpr31
                                        ; implicit-def: $sgpr36_sgpr37
	s_branch .LBB749_69
.LBB749_68:                             ;   in Loop: Header=BB749_69 Depth=1
	s_or_b64 exec, exec, s[40:41]
	s_and_b64 s[2:3], s[2:3], s[36:37]
	s_or_b64 s[2:3], vcc, s[2:3]
	s_and_b64 s[40:41], exec, s[34:35]
	s_or_b64 s[26:27], s[40:41], s[26:27]
	s_andn2_b64 s[36:37], s[36:37], exec
	s_and_b64 s[2:3], s[2:3], exec
	s_andn2_b64 s[12:13], s[12:13], exec
	s_and_b64 s[40:41], s[30:31], exec
	s_andn2_b64 s[10:11], s[10:11], exec
	s_or_b64 s[36:37], s[36:37], s[2:3]
	s_or_b64 s[12:13], s[12:13], s[40:41]
	;; [unrolled: 1-line block ×3, first 2 shown]
	s_andn2_b64 exec, exec, s[26:27]
	s_cbranch_execz .LBB749_71
.LBB749_69:                             ; =>This Inner Loop Header: Depth=1
	global_load_dwordx2 v[34:35], v[22:23], off
	global_load_dwordx2 v[36:37], v[24:25], off
	s_or_b64 s[30:31], s[30:31], exec
	s_or_b64 s[34:35], s[34:35], exec
	s_waitcnt vmcnt(0)
	v_cmp_lt_f64_e32 vcc, v[34:35], v[36:37]
	v_cmp_ngt_f64_e64 s[2:3], v[34:35], v[36:37]
	s_xor_b64 s[42:43], vcc, s[2:3]
	s_and_saveexec_b64 s[40:41], s[42:43]
	s_cbranch_execz .LBB749_68
; %bb.70:                               ;   in Loop: Header=BB749_69 Depth=1
	s_add_u32 s38, s38, -1
	s_addc_u32 s39, s39, -1
	s_cmp_eq_u64 s[38:39], 0
	s_cselect_b64 s[42:43], -1, 0
	s_andn2_b64 s[34:35], s[34:35], exec
	s_and_b64 s[42:43], s[42:43], exec
	v_lshl_add_u64 v[22:23], v[22:23], 0, 8
	v_lshl_add_u64 v[24:25], v[24:25], 0, 8
	s_andn2_b64 s[30:31], s[30:31], exec
	s_or_b64 s[34:35], s[34:35], s[42:43]
	s_branch .LBB749_68
.LBB749_71:
	s_or_b64 exec, exec, s[26:27]
	s_and_saveexec_b64 s[2:3], s[12:13]
	s_xor_b64 s[2:3], exec, s[2:3]
; %bb.72:
	v_cndmask_b32_e64 v23, v7, v9, s[10:11]
	v_cndmask_b32_e64 v22, v6, v8, s[10:11]
	;; [unrolled: 1-line block ×4, first 2 shown]
	v_mov_b64_e32 v[6:7], v[22:23]
; %bb.73:
	s_or_b64 exec, exec, s[2:3]
.LBB749_74:
	s_and_b64 vcc, exec, s[0:1]
	s_cbranch_vccnz .LBB749_88
; %bb.75:
	v_mul_lo_u32 v24, v5, s20
	v_mul_lo_u32 v25, v4, s21
	v_mad_u64_u32 v[22:23], s[2:3], v4, s20, 0
	v_add3_u32 v23, v23, v25, v24
	v_mul_lo_u32 v34, v3, s20
	v_mul_lo_u32 v35, v2, s21
	v_mad_u64_u32 v[24:25], s[2:3], v2, s20, 0
	v_add3_u32 v25, v25, v35, v34
	v_lshl_add_u64 v[22:23], v[22:23], 3, s[22:23]
	v_lshl_add_u64 v[24:25], v[24:25], 3, s[22:23]
	s_mov_b64 s[12:13], 0
	s_mov_b64 s[38:39], s[20:21]
                                        ; implicit-def: $sgpr10_sgpr11
                                        ; implicit-def: $sgpr26_sgpr27
                                        ; implicit-def: $sgpr34_sgpr35
                                        ; implicit-def: $sgpr30_sgpr31
                                        ; implicit-def: $sgpr36_sgpr37
	s_branch .LBB749_77
.LBB749_76:                             ;   in Loop: Header=BB749_77 Depth=1
	s_or_b64 exec, exec, s[40:41]
	s_and_b64 s[2:3], s[2:3], s[36:37]
	s_or_b64 s[2:3], vcc, s[2:3]
	s_and_b64 s[40:41], exec, s[34:35]
	s_or_b64 s[12:13], s[40:41], s[12:13]
	s_andn2_b64 s[36:37], s[36:37], exec
	s_and_b64 s[2:3], s[2:3], exec
	s_andn2_b64 s[26:27], s[26:27], exec
	s_and_b64 s[40:41], s[30:31], exec
	s_andn2_b64 s[10:11], s[10:11], exec
	s_or_b64 s[36:37], s[36:37], s[2:3]
	s_or_b64 s[26:27], s[26:27], s[40:41]
	;; [unrolled: 1-line block ×3, first 2 shown]
	s_andn2_b64 exec, exec, s[12:13]
	s_cbranch_execz .LBB749_79
.LBB749_77:                             ; =>This Inner Loop Header: Depth=1
	global_load_dwordx2 v[34:35], v[22:23], off
	global_load_dwordx2 v[36:37], v[24:25], off
	s_or_b64 s[30:31], s[30:31], exec
	s_or_b64 s[34:35], s[34:35], exec
	s_waitcnt vmcnt(0)
	v_cmp_lt_f64_e32 vcc, v[34:35], v[36:37]
	v_cmp_ngt_f64_e64 s[2:3], v[34:35], v[36:37]
	s_xor_b64 s[42:43], vcc, s[2:3]
	s_and_saveexec_b64 s[40:41], s[42:43]
	s_cbranch_execz .LBB749_76
; %bb.78:                               ;   in Loop: Header=BB749_77 Depth=1
	s_add_u32 s38, s38, -1
	s_addc_u32 s39, s39, -1
	s_cmp_eq_u64 s[38:39], 0
	s_cselect_b64 s[42:43], -1, 0
	s_andn2_b64 s[34:35], s[34:35], exec
	s_and_b64 s[42:43], s[42:43], exec
	v_lshl_add_u64 v[22:23], v[22:23], 0, 8
	v_lshl_add_u64 v[24:25], v[24:25], 0, 8
	s_andn2_b64 s[30:31], s[30:31], exec
	s_or_b64 s[34:35], s[34:35], s[42:43]
	s_branch .LBB749_76
.LBB749_79:
	s_or_b64 exec, exec, s[12:13]
	s_and_saveexec_b64 s[2:3], s[26:27]
	s_xor_b64 s[2:3], exec, s[2:3]
; %bb.80:
	v_cndmask_b32_e64 v23, v3, v5, s[10:11]
	v_cndmask_b32_e64 v22, v2, v4, s[10:11]
	;; [unrolled: 1-line block ×4, first 2 shown]
	v_mov_b64_e32 v[2:3], v[22:23]
; %bb.81:
	s_or_b64 exec, exec, s[2:3]
	v_mul_lo_u32 v24, v11, s20
	v_mul_lo_u32 v25, v10, s21
	v_mad_u64_u32 v[22:23], s[2:3], v10, s20, 0
	v_add3_u32 v23, v23, v25, v24
	v_mul_lo_u32 v34, v17, s20
	v_mul_lo_u32 v35, v16, s21
	v_mad_u64_u32 v[24:25], s[2:3], v16, s20, 0
	v_add3_u32 v25, v25, v35, v34
	v_lshl_add_u64 v[22:23], v[22:23], 3, s[22:23]
	v_lshl_add_u64 v[24:25], v[24:25], 3, s[22:23]
	s_mov_b64 s[26:27], 0
	s_mov_b64 s[38:39], s[20:21]
                                        ; implicit-def: $sgpr10_sgpr11
                                        ; implicit-def: $sgpr12_sgpr13
                                        ; implicit-def: $sgpr34_sgpr35
                                        ; implicit-def: $sgpr30_sgpr31
                                        ; implicit-def: $sgpr36_sgpr37
	s_branch .LBB749_83
.LBB749_82:                             ;   in Loop: Header=BB749_83 Depth=1
	s_or_b64 exec, exec, s[40:41]
	s_and_b64 s[2:3], s[2:3], s[36:37]
	s_or_b64 s[2:3], vcc, s[2:3]
	s_and_b64 s[40:41], exec, s[34:35]
	s_or_b64 s[26:27], s[40:41], s[26:27]
	s_andn2_b64 s[36:37], s[36:37], exec
	s_and_b64 s[2:3], s[2:3], exec
	s_andn2_b64 s[12:13], s[12:13], exec
	s_and_b64 s[40:41], s[30:31], exec
	s_andn2_b64 s[10:11], s[10:11], exec
	s_or_b64 s[36:37], s[36:37], s[2:3]
	s_or_b64 s[12:13], s[12:13], s[40:41]
	;; [unrolled: 1-line block ×3, first 2 shown]
	s_andn2_b64 exec, exec, s[26:27]
	s_cbranch_execz .LBB749_85
.LBB749_83:                             ; =>This Inner Loop Header: Depth=1
	global_load_dwordx2 v[34:35], v[22:23], off
	global_load_dwordx2 v[36:37], v[24:25], off
	s_or_b64 s[30:31], s[30:31], exec
	s_or_b64 s[34:35], s[34:35], exec
	s_waitcnt vmcnt(0)
	v_cmp_lt_f64_e32 vcc, v[34:35], v[36:37]
	v_cmp_ngt_f64_e64 s[2:3], v[34:35], v[36:37]
	s_xor_b64 s[42:43], vcc, s[2:3]
	s_and_saveexec_b64 s[40:41], s[42:43]
	s_cbranch_execz .LBB749_82
; %bb.84:                               ;   in Loop: Header=BB749_83 Depth=1
	s_add_u32 s38, s38, -1
	s_addc_u32 s39, s39, -1
	s_cmp_eq_u64 s[38:39], 0
	s_cselect_b64 s[42:43], -1, 0
	s_andn2_b64 s[34:35], s[34:35], exec
	s_and_b64 s[42:43], s[42:43], exec
	v_lshl_add_u64 v[22:23], v[22:23], 0, 8
	v_lshl_add_u64 v[24:25], v[24:25], 0, 8
	s_andn2_b64 s[30:31], s[30:31], exec
	s_or_b64 s[34:35], s[34:35], s[42:43]
	s_branch .LBB749_82
.LBB749_85:
	s_or_b64 exec, exec, s[26:27]
	s_and_saveexec_b64 s[2:3], s[12:13]
	s_xor_b64 s[2:3], exec, s[2:3]
; %bb.86:
	v_cndmask_b32_e64 v23, v17, v11, s[10:11]
	v_cndmask_b32_e64 v22, v16, v10, s[10:11]
	;; [unrolled: 1-line block ×4, first 2 shown]
	v_mov_b64_e32 v[16:17], v[22:23]
; %bb.87:
	s_or_b64 exec, exec, s[2:3]
.LBB749_88:
	s_and_b64 vcc, exec, s[0:1]
	s_cbranch_vccnz .LBB749_102
; %bb.89:
	v_mul_lo_u32 v24, v7, s20
	v_mul_lo_u32 v25, v6, s21
	v_mad_u64_u32 v[22:23], s[2:3], v6, s20, 0
	v_add3_u32 v23, v23, v25, v24
	v_mul_lo_u32 v34, v13, s20
	v_mul_lo_u32 v35, v12, s21
	v_mad_u64_u32 v[24:25], s[2:3], v12, s20, 0
	v_add3_u32 v25, v25, v35, v34
	v_lshl_add_u64 v[22:23], v[22:23], 3, s[22:23]
	v_lshl_add_u64 v[24:25], v[24:25], 3, s[22:23]
	s_mov_b64 s[12:13], 0
	s_mov_b64 s[38:39], s[20:21]
                                        ; implicit-def: $sgpr10_sgpr11
                                        ; implicit-def: $sgpr26_sgpr27
                                        ; implicit-def: $sgpr34_sgpr35
                                        ; implicit-def: $sgpr30_sgpr31
                                        ; implicit-def: $sgpr36_sgpr37
	s_branch .LBB749_91
.LBB749_90:                             ;   in Loop: Header=BB749_91 Depth=1
	s_or_b64 exec, exec, s[40:41]
	s_and_b64 s[2:3], s[2:3], s[36:37]
	s_or_b64 s[2:3], vcc, s[2:3]
	s_and_b64 s[40:41], exec, s[34:35]
	s_or_b64 s[12:13], s[40:41], s[12:13]
	s_andn2_b64 s[36:37], s[36:37], exec
	s_and_b64 s[2:3], s[2:3], exec
	s_andn2_b64 s[26:27], s[26:27], exec
	s_and_b64 s[40:41], s[30:31], exec
	s_andn2_b64 s[10:11], s[10:11], exec
	s_or_b64 s[36:37], s[36:37], s[2:3]
	s_or_b64 s[26:27], s[26:27], s[40:41]
	;; [unrolled: 1-line block ×3, first 2 shown]
	s_andn2_b64 exec, exec, s[12:13]
	s_cbranch_execz .LBB749_93
.LBB749_91:                             ; =>This Inner Loop Header: Depth=1
	global_load_dwordx2 v[34:35], v[22:23], off
	global_load_dwordx2 v[36:37], v[24:25], off
	s_or_b64 s[30:31], s[30:31], exec
	s_or_b64 s[34:35], s[34:35], exec
	s_waitcnt vmcnt(0)
	v_cmp_lt_f64_e32 vcc, v[34:35], v[36:37]
	v_cmp_ngt_f64_e64 s[2:3], v[34:35], v[36:37]
	s_xor_b64 s[42:43], vcc, s[2:3]
	s_and_saveexec_b64 s[40:41], s[42:43]
	s_cbranch_execz .LBB749_90
; %bb.92:                               ;   in Loop: Header=BB749_91 Depth=1
	s_add_u32 s38, s38, -1
	s_addc_u32 s39, s39, -1
	s_cmp_eq_u64 s[38:39], 0
	s_cselect_b64 s[42:43], -1, 0
	s_andn2_b64 s[34:35], s[34:35], exec
	s_and_b64 s[42:43], s[42:43], exec
	v_lshl_add_u64 v[22:23], v[22:23], 0, 8
	v_lshl_add_u64 v[24:25], v[24:25], 0, 8
	s_andn2_b64 s[30:31], s[30:31], exec
	s_or_b64 s[34:35], s[34:35], s[42:43]
	s_branch .LBB749_90
.LBB749_93:
	s_or_b64 exec, exec, s[12:13]
	s_and_saveexec_b64 s[2:3], s[26:27]
	s_xor_b64 s[2:3], exec, s[2:3]
; %bb.94:
	v_cndmask_b32_e64 v23, v13, v7, s[10:11]
	v_cndmask_b32_e64 v22, v12, v6, s[10:11]
	;; [unrolled: 1-line block ×4, first 2 shown]
	v_mov_b64_e32 v[12:13], v[22:23]
; %bb.95:
	s_or_b64 exec, exec, s[2:3]
	v_mul_lo_u32 v24, v3, s20
	v_mul_lo_u32 v25, v2, s21
	v_mad_u64_u32 v[22:23], s[2:3], v2, s20, 0
	v_add3_u32 v23, v23, v25, v24
	v_mul_lo_u32 v34, v9, s20
	v_mul_lo_u32 v35, v8, s21
	v_mad_u64_u32 v[24:25], s[2:3], v8, s20, 0
	v_add3_u32 v25, v25, v35, v34
	v_lshl_add_u64 v[22:23], v[22:23], 3, s[22:23]
	v_lshl_add_u64 v[24:25], v[24:25], 3, s[22:23]
	s_mov_b64 s[26:27], 0
	s_mov_b64 s[38:39], s[20:21]
                                        ; implicit-def: $sgpr10_sgpr11
                                        ; implicit-def: $sgpr12_sgpr13
                                        ; implicit-def: $sgpr34_sgpr35
                                        ; implicit-def: $sgpr30_sgpr31
                                        ; implicit-def: $sgpr36_sgpr37
	s_branch .LBB749_97
.LBB749_96:                             ;   in Loop: Header=BB749_97 Depth=1
	s_or_b64 exec, exec, s[40:41]
	s_and_b64 s[2:3], s[2:3], s[36:37]
	s_or_b64 s[2:3], vcc, s[2:3]
	s_and_b64 s[40:41], exec, s[34:35]
	s_or_b64 s[26:27], s[40:41], s[26:27]
	s_andn2_b64 s[36:37], s[36:37], exec
	s_and_b64 s[2:3], s[2:3], exec
	s_andn2_b64 s[12:13], s[12:13], exec
	s_and_b64 s[40:41], s[30:31], exec
	s_andn2_b64 s[10:11], s[10:11], exec
	s_or_b64 s[36:37], s[36:37], s[2:3]
	s_or_b64 s[12:13], s[12:13], s[40:41]
	;; [unrolled: 1-line block ×3, first 2 shown]
	s_andn2_b64 exec, exec, s[26:27]
	s_cbranch_execz .LBB749_99
.LBB749_97:                             ; =>This Inner Loop Header: Depth=1
	global_load_dwordx2 v[34:35], v[22:23], off
	global_load_dwordx2 v[36:37], v[24:25], off
	s_or_b64 s[30:31], s[30:31], exec
	s_or_b64 s[34:35], s[34:35], exec
	s_waitcnt vmcnt(0)
	v_cmp_lt_f64_e32 vcc, v[34:35], v[36:37]
	v_cmp_ngt_f64_e64 s[2:3], v[34:35], v[36:37]
	s_xor_b64 s[42:43], vcc, s[2:3]
	s_and_saveexec_b64 s[40:41], s[42:43]
	s_cbranch_execz .LBB749_96
; %bb.98:                               ;   in Loop: Header=BB749_97 Depth=1
	s_add_u32 s38, s38, -1
	s_addc_u32 s39, s39, -1
	s_cmp_eq_u64 s[38:39], 0
	s_cselect_b64 s[42:43], -1, 0
	s_andn2_b64 s[34:35], s[34:35], exec
	s_and_b64 s[42:43], s[42:43], exec
	v_lshl_add_u64 v[22:23], v[22:23], 0, 8
	v_lshl_add_u64 v[24:25], v[24:25], 0, 8
	s_andn2_b64 s[30:31], s[30:31], exec
	s_or_b64 s[34:35], s[34:35], s[42:43]
	s_branch .LBB749_96
.LBB749_99:
	s_or_b64 exec, exec, s[26:27]
	s_and_saveexec_b64 s[2:3], s[12:13]
	s_xor_b64 s[2:3], exec, s[2:3]
; %bb.100:
	v_cndmask_b32_e64 v23, v9, v3, s[10:11]
	v_cndmask_b32_e64 v22, v8, v2, s[10:11]
	;; [unrolled: 1-line block ×4, first 2 shown]
	v_mov_b64_e32 v[8:9], v[22:23]
; %bb.101:
	s_or_b64 exec, exec, s[2:3]
.LBB749_102:
	s_and_b64 vcc, exec, s[0:1]
	s_cbranch_vccnz .LBB749_116
; %bb.103:
	v_mul_lo_u32 v24, v17, s20
	v_mul_lo_u32 v25, v16, s21
	v_mad_u64_u32 v[22:23], s[2:3], v16, s20, 0
	v_add3_u32 v23, v23, v25, v24
	v_mul_lo_u32 v34, v15, s20
	v_mul_lo_u32 v35, v14, s21
	v_mad_u64_u32 v[24:25], s[2:3], v14, s20, 0
	v_add3_u32 v25, v25, v35, v34
	v_lshl_add_u64 v[22:23], v[22:23], 3, s[22:23]
	v_lshl_add_u64 v[24:25], v[24:25], 3, s[22:23]
	s_mov_b64 s[12:13], 0
	s_mov_b64 s[38:39], s[20:21]
                                        ; implicit-def: $sgpr10_sgpr11
                                        ; implicit-def: $sgpr26_sgpr27
                                        ; implicit-def: $sgpr34_sgpr35
                                        ; implicit-def: $sgpr30_sgpr31
                                        ; implicit-def: $sgpr36_sgpr37
	s_branch .LBB749_105
.LBB749_104:                            ;   in Loop: Header=BB749_105 Depth=1
	s_or_b64 exec, exec, s[40:41]
	s_and_b64 s[2:3], s[2:3], s[36:37]
	s_or_b64 s[2:3], vcc, s[2:3]
	s_and_b64 s[40:41], exec, s[34:35]
	s_or_b64 s[12:13], s[40:41], s[12:13]
	s_andn2_b64 s[36:37], s[36:37], exec
	s_and_b64 s[2:3], s[2:3], exec
	s_andn2_b64 s[26:27], s[26:27], exec
	s_and_b64 s[40:41], s[30:31], exec
	s_andn2_b64 s[10:11], s[10:11], exec
	s_or_b64 s[36:37], s[36:37], s[2:3]
	s_or_b64 s[26:27], s[26:27], s[40:41]
	;; [unrolled: 1-line block ×3, first 2 shown]
	s_andn2_b64 exec, exec, s[12:13]
	s_cbranch_execz .LBB749_107
.LBB749_105:                            ; =>This Inner Loop Header: Depth=1
	global_load_dwordx2 v[34:35], v[22:23], off
	global_load_dwordx2 v[36:37], v[24:25], off
	s_or_b64 s[30:31], s[30:31], exec
	s_or_b64 s[34:35], s[34:35], exec
	s_waitcnt vmcnt(0)
	v_cmp_lt_f64_e32 vcc, v[34:35], v[36:37]
	v_cmp_ngt_f64_e64 s[2:3], v[34:35], v[36:37]
	s_xor_b64 s[42:43], vcc, s[2:3]
	s_and_saveexec_b64 s[40:41], s[42:43]
	s_cbranch_execz .LBB749_104
; %bb.106:                              ;   in Loop: Header=BB749_105 Depth=1
	s_add_u32 s38, s38, -1
	s_addc_u32 s39, s39, -1
	s_cmp_eq_u64 s[38:39], 0
	s_cselect_b64 s[42:43], -1, 0
	s_andn2_b64 s[34:35], s[34:35], exec
	s_and_b64 s[42:43], s[42:43], exec
	v_lshl_add_u64 v[22:23], v[22:23], 0, 8
	v_lshl_add_u64 v[24:25], v[24:25], 0, 8
	s_andn2_b64 s[30:31], s[30:31], exec
	s_or_b64 s[34:35], s[34:35], s[42:43]
	s_branch .LBB749_104
.LBB749_107:
	s_or_b64 exec, exec, s[12:13]
	s_and_saveexec_b64 s[2:3], s[26:27]
	s_xor_b64 s[2:3], exec, s[2:3]
; %bb.108:
	v_cndmask_b32_e64 v23, v17, v15, s[10:11]
	v_cndmask_b32_e64 v22, v16, v14, s[10:11]
	;; [unrolled: 1-line block ×4, first 2 shown]
	v_mov_b64_e32 v[16:17], v[22:23]
; %bb.109:
	s_or_b64 exec, exec, s[2:3]
	v_mul_lo_u32 v24, v13, s20
	v_mul_lo_u32 v25, v12, s21
	v_mad_u64_u32 v[22:23], s[2:3], v12, s20, 0
	v_add3_u32 v23, v23, v25, v24
	v_mul_lo_u32 v34, v11, s20
	v_mul_lo_u32 v35, v10, s21
	v_mad_u64_u32 v[24:25], s[2:3], v10, s20, 0
	v_add3_u32 v25, v25, v35, v34
	v_lshl_add_u64 v[22:23], v[22:23], 3, s[22:23]
	v_lshl_add_u64 v[24:25], v[24:25], 3, s[22:23]
	s_mov_b64 s[26:27], 0
	s_mov_b64 s[38:39], s[20:21]
                                        ; implicit-def: $sgpr10_sgpr11
                                        ; implicit-def: $sgpr12_sgpr13
                                        ; implicit-def: $sgpr34_sgpr35
                                        ; implicit-def: $sgpr30_sgpr31
                                        ; implicit-def: $sgpr36_sgpr37
	s_branch .LBB749_111
.LBB749_110:                            ;   in Loop: Header=BB749_111 Depth=1
	s_or_b64 exec, exec, s[40:41]
	s_and_b64 s[2:3], s[2:3], s[36:37]
	s_or_b64 s[2:3], vcc, s[2:3]
	s_and_b64 s[40:41], exec, s[34:35]
	s_or_b64 s[26:27], s[40:41], s[26:27]
	s_andn2_b64 s[36:37], s[36:37], exec
	s_and_b64 s[2:3], s[2:3], exec
	s_andn2_b64 s[12:13], s[12:13], exec
	s_and_b64 s[40:41], s[30:31], exec
	s_andn2_b64 s[10:11], s[10:11], exec
	s_or_b64 s[36:37], s[36:37], s[2:3]
	s_or_b64 s[12:13], s[12:13], s[40:41]
	;; [unrolled: 1-line block ×3, first 2 shown]
	s_andn2_b64 exec, exec, s[26:27]
	s_cbranch_execz .LBB749_113
.LBB749_111:                            ; =>This Inner Loop Header: Depth=1
	global_load_dwordx2 v[34:35], v[22:23], off
	global_load_dwordx2 v[36:37], v[24:25], off
	s_or_b64 s[30:31], s[30:31], exec
	s_or_b64 s[34:35], s[34:35], exec
	s_waitcnt vmcnt(0)
	v_cmp_lt_f64_e32 vcc, v[34:35], v[36:37]
	v_cmp_ngt_f64_e64 s[2:3], v[34:35], v[36:37]
	s_xor_b64 s[42:43], vcc, s[2:3]
	s_and_saveexec_b64 s[40:41], s[42:43]
	s_cbranch_execz .LBB749_110
; %bb.112:                              ;   in Loop: Header=BB749_111 Depth=1
	s_add_u32 s38, s38, -1
	s_addc_u32 s39, s39, -1
	s_cmp_eq_u64 s[38:39], 0
	s_cselect_b64 s[42:43], -1, 0
	s_andn2_b64 s[34:35], s[34:35], exec
	s_and_b64 s[42:43], s[42:43], exec
	v_lshl_add_u64 v[22:23], v[22:23], 0, 8
	v_lshl_add_u64 v[24:25], v[24:25], 0, 8
	s_andn2_b64 s[30:31], s[30:31], exec
	s_or_b64 s[34:35], s[34:35], s[42:43]
	s_branch .LBB749_110
.LBB749_113:
	s_or_b64 exec, exec, s[26:27]
	s_and_saveexec_b64 s[2:3], s[12:13]
	s_xor_b64 s[2:3], exec, s[2:3]
; %bb.114:
	v_cndmask_b32_e64 v23, v11, v13, s[10:11]
	v_cndmask_b32_e64 v22, v10, v12, s[10:11]
	;; [unrolled: 1-line block ×4, first 2 shown]
	v_mov_b64_e32 v[10:11], v[22:23]
; %bb.115:
	s_or_b64 exec, exec, s[2:3]
.LBB749_116:
	s_and_b64 vcc, exec, s[0:1]
	s_cbranch_vccnz .LBB749_190
; %bb.117:
	v_mul_lo_u32 v24, v9, s20
	v_mul_lo_u32 v25, v8, s21
	v_mad_u64_u32 v[22:23], s[2:3], v8, s20, 0
	v_add3_u32 v23, v23, v25, v24
	v_mul_lo_u32 v34, v7, s20
	v_mul_lo_u32 v35, v6, s21
	v_mad_u64_u32 v[24:25], s[2:3], v6, s20, 0
	v_add3_u32 v25, v25, v35, v34
	v_lshl_add_u64 v[22:23], v[22:23], 3, s[22:23]
	v_lshl_add_u64 v[24:25], v[24:25], 3, s[22:23]
	s_mov_b64 s[12:13], 0
	s_mov_b64 s[38:39], s[20:21]
                                        ; implicit-def: $sgpr10_sgpr11
                                        ; implicit-def: $sgpr26_sgpr27
                                        ; implicit-def: $sgpr34_sgpr35
                                        ; implicit-def: $sgpr30_sgpr31
                                        ; implicit-def: $sgpr36_sgpr37
	s_branch .LBB749_119
.LBB749_118:                            ;   in Loop: Header=BB749_119 Depth=1
	s_or_b64 exec, exec, s[40:41]
	s_and_b64 s[2:3], s[2:3], s[36:37]
	s_or_b64 s[2:3], vcc, s[2:3]
	s_and_b64 s[40:41], exec, s[34:35]
	s_or_b64 s[12:13], s[40:41], s[12:13]
	s_andn2_b64 s[36:37], s[36:37], exec
	s_and_b64 s[2:3], s[2:3], exec
	s_andn2_b64 s[26:27], s[26:27], exec
	s_and_b64 s[40:41], s[30:31], exec
	s_andn2_b64 s[10:11], s[10:11], exec
	s_or_b64 s[36:37], s[36:37], s[2:3]
	s_or_b64 s[26:27], s[26:27], s[40:41]
	;; [unrolled: 1-line block ×3, first 2 shown]
	s_andn2_b64 exec, exec, s[12:13]
	s_cbranch_execz .LBB749_121
.LBB749_119:                            ; =>This Inner Loop Header: Depth=1
	global_load_dwordx2 v[34:35], v[22:23], off
	global_load_dwordx2 v[36:37], v[24:25], off
	s_or_b64 s[30:31], s[30:31], exec
	s_or_b64 s[34:35], s[34:35], exec
	s_waitcnt vmcnt(0)
	v_cmp_lt_f64_e32 vcc, v[34:35], v[36:37]
	v_cmp_ngt_f64_e64 s[2:3], v[34:35], v[36:37]
	s_xor_b64 s[42:43], vcc, s[2:3]
	s_and_saveexec_b64 s[40:41], s[42:43]
	s_cbranch_execz .LBB749_118
; %bb.120:                              ;   in Loop: Header=BB749_119 Depth=1
	s_add_u32 s38, s38, -1
	s_addc_u32 s39, s39, -1
	s_cmp_eq_u64 s[38:39], 0
	s_cselect_b64 s[42:43], -1, 0
	s_andn2_b64 s[34:35], s[34:35], exec
	s_and_b64 s[42:43], s[42:43], exec
	v_lshl_add_u64 v[22:23], v[22:23], 0, 8
	v_lshl_add_u64 v[24:25], v[24:25], 0, 8
	s_andn2_b64 s[30:31], s[30:31], exec
	s_or_b64 s[34:35], s[34:35], s[42:43]
	s_branch .LBB749_118
.LBB749_121:
	s_or_b64 exec, exec, s[12:13]
	s_and_saveexec_b64 s[2:3], s[26:27]
	s_xor_b64 s[2:3], exec, s[2:3]
; %bb.122:
	v_cndmask_b32_e64 v23, v7, v9, s[10:11]
	v_cndmask_b32_e64 v22, v6, v8, s[10:11]
	;; [unrolled: 1-line block ×4, first 2 shown]
	v_mov_b64_e32 v[6:7], v[22:23]
; %bb.123:
	s_or_b64 exec, exec, s[2:3]
	v_mul_lo_u32 v24, v5, s20
	v_mul_lo_u32 v25, v4, s21
	v_mad_u64_u32 v[22:23], s[2:3], v4, s20, 0
	v_add3_u32 v23, v23, v25, v24
	v_mul_lo_u32 v34, v3, s20
	v_mul_lo_u32 v35, v2, s21
	v_mad_u64_u32 v[24:25], s[2:3], v2, s20, 0
	v_add3_u32 v25, v25, v35, v34
	v_lshl_add_u64 v[22:23], v[22:23], 3, s[22:23]
	v_lshl_add_u64 v[24:25], v[24:25], 3, s[22:23]
	s_mov_b64 s[12:13], 0
	s_mov_b64 s[38:39], s[20:21]
                                        ; implicit-def: $sgpr10_sgpr11
                                        ; implicit-def: $sgpr26_sgpr27
                                        ; implicit-def: $sgpr34_sgpr35
                                        ; implicit-def: $sgpr30_sgpr31
                                        ; implicit-def: $sgpr36_sgpr37
	s_branch .LBB749_125
.LBB749_124:                            ;   in Loop: Header=BB749_125 Depth=1
	s_or_b64 exec, exec, s[40:41]
	s_and_b64 s[2:3], s[2:3], s[36:37]
	s_or_b64 s[2:3], vcc, s[2:3]
	s_and_b64 s[40:41], exec, s[34:35]
	s_or_b64 s[12:13], s[40:41], s[12:13]
	s_andn2_b64 s[36:37], s[36:37], exec
	s_and_b64 s[2:3], s[2:3], exec
	s_andn2_b64 s[26:27], s[26:27], exec
	s_and_b64 s[40:41], s[30:31], exec
	s_andn2_b64 s[10:11], s[10:11], exec
	s_or_b64 s[36:37], s[36:37], s[2:3]
	s_or_b64 s[26:27], s[26:27], s[40:41]
	;; [unrolled: 1-line block ×3, first 2 shown]
	s_andn2_b64 exec, exec, s[12:13]
	s_cbranch_execz .LBB749_127
.LBB749_125:                            ; =>This Inner Loop Header: Depth=1
	global_load_dwordx2 v[34:35], v[22:23], off
	global_load_dwordx2 v[36:37], v[24:25], off
	s_or_b64 s[30:31], s[30:31], exec
	s_or_b64 s[34:35], s[34:35], exec
	s_waitcnt vmcnt(0)
	v_cmp_lt_f64_e32 vcc, v[34:35], v[36:37]
	v_cmp_ngt_f64_e64 s[2:3], v[34:35], v[36:37]
	s_xor_b64 s[42:43], vcc, s[2:3]
	s_and_saveexec_b64 s[40:41], s[42:43]
	s_cbranch_execz .LBB749_124
; %bb.126:                              ;   in Loop: Header=BB749_125 Depth=1
	s_add_u32 s38, s38, -1
	s_addc_u32 s39, s39, -1
	s_cmp_eq_u64 s[38:39], 0
	s_cselect_b64 s[42:43], -1, 0
	s_andn2_b64 s[34:35], s[34:35], exec
	s_and_b64 s[42:43], s[42:43], exec
	v_lshl_add_u64 v[22:23], v[22:23], 0, 8
	v_lshl_add_u64 v[24:25], v[24:25], 0, 8
	s_andn2_b64 s[30:31], s[30:31], exec
	s_or_b64 s[34:35], s[34:35], s[42:43]
	s_branch .LBB749_124
.LBB749_127:
	s_or_b64 exec, exec, s[12:13]
	s_and_saveexec_b64 s[2:3], s[26:27]
	s_xor_b64 s[2:3], exec, s[2:3]
; %bb.128:
	v_cndmask_b32_e64 v23, v3, v5, s[10:11]
	v_cndmask_b32_e64 v22, v2, v4, s[10:11]
	;; [unrolled: 1-line block ×4, first 2 shown]
	v_mov_b64_e32 v[2:3], v[22:23]
; %bb.129:
	s_or_b64 exec, exec, s[2:3]
	v_mul_lo_u32 v24, v11, s20
	v_mul_lo_u32 v25, v10, s21
	v_mad_u64_u32 v[22:23], s[2:3], v10, s20, 0
	v_add3_u32 v23, v23, v25, v24
	v_mul_lo_u32 v34, v17, s20
	v_mul_lo_u32 v35, v16, s21
	v_mad_u64_u32 v[24:25], s[2:3], v16, s20, 0
	v_add3_u32 v25, v25, v35, v34
	v_lshl_add_u64 v[22:23], v[22:23], 3, s[22:23]
	v_lshl_add_u64 v[24:25], v[24:25], 3, s[22:23]
	s_mov_b64 s[12:13], 0
	s_mov_b64 s[38:39], s[20:21]
                                        ; implicit-def: $sgpr10_sgpr11
                                        ; implicit-def: $sgpr26_sgpr27
                                        ; implicit-def: $sgpr34_sgpr35
                                        ; implicit-def: $sgpr30_sgpr31
                                        ; implicit-def: $sgpr36_sgpr37
	s_branch .LBB749_131
.LBB749_130:                            ;   in Loop: Header=BB749_131 Depth=1
	s_or_b64 exec, exec, s[40:41]
	s_and_b64 s[2:3], s[2:3], s[36:37]
	s_or_b64 s[2:3], vcc, s[2:3]
	s_and_b64 s[40:41], exec, s[34:35]
	s_or_b64 s[12:13], s[40:41], s[12:13]
	s_andn2_b64 s[36:37], s[36:37], exec
	s_and_b64 s[2:3], s[2:3], exec
	s_andn2_b64 s[26:27], s[26:27], exec
	s_and_b64 s[40:41], s[30:31], exec
	s_andn2_b64 s[10:11], s[10:11], exec
	s_or_b64 s[36:37], s[36:37], s[2:3]
	s_or_b64 s[26:27], s[26:27], s[40:41]
	;; [unrolled: 1-line block ×3, first 2 shown]
	s_andn2_b64 exec, exec, s[12:13]
	s_cbranch_execz .LBB749_133
.LBB749_131:                            ; =>This Inner Loop Header: Depth=1
	global_load_dwordx2 v[34:35], v[22:23], off
	global_load_dwordx2 v[36:37], v[24:25], off
	s_or_b64 s[30:31], s[30:31], exec
	s_or_b64 s[34:35], s[34:35], exec
	s_waitcnt vmcnt(0)
	v_cmp_lt_f64_e32 vcc, v[34:35], v[36:37]
	v_cmp_ngt_f64_e64 s[2:3], v[34:35], v[36:37]
	s_xor_b64 s[42:43], vcc, s[2:3]
	s_and_saveexec_b64 s[40:41], s[42:43]
	s_cbranch_execz .LBB749_130
; %bb.132:                              ;   in Loop: Header=BB749_131 Depth=1
	s_add_u32 s38, s38, -1
	s_addc_u32 s39, s39, -1
	s_cmp_eq_u64 s[38:39], 0
	s_cselect_b64 s[42:43], -1, 0
	s_andn2_b64 s[34:35], s[34:35], exec
	s_and_b64 s[42:43], s[42:43], exec
	v_lshl_add_u64 v[22:23], v[22:23], 0, 8
	v_lshl_add_u64 v[24:25], v[24:25], 0, 8
	s_andn2_b64 s[30:31], s[30:31], exec
	s_or_b64 s[34:35], s[34:35], s[42:43]
	s_branch .LBB749_130
.LBB749_133:
	s_or_b64 exec, exec, s[12:13]
	s_and_saveexec_b64 s[2:3], s[26:27]
	s_xor_b64 s[2:3], exec, s[2:3]
; %bb.134:
	v_cndmask_b32_e64 v23, v17, v11, s[10:11]
	v_cndmask_b32_e64 v22, v16, v10, s[10:11]
	;; [unrolled: 1-line block ×4, first 2 shown]
	v_mov_b64_e32 v[16:17], v[22:23]
; %bb.135:
	s_or_b64 exec, exec, s[2:3]
	v_mul_lo_u32 v24, v7, s20
	v_mul_lo_u32 v25, v6, s21
	v_mad_u64_u32 v[22:23], s[2:3], v6, s20, 0
	v_add3_u32 v23, v23, v25, v24
	v_mul_lo_u32 v34, v13, s20
	v_mul_lo_u32 v35, v12, s21
	v_mad_u64_u32 v[24:25], s[2:3], v12, s20, 0
	v_add3_u32 v25, v25, v35, v34
	v_lshl_add_u64 v[22:23], v[22:23], 3, s[22:23]
	v_lshl_add_u64 v[24:25], v[24:25], 3, s[22:23]
	s_mov_b64 s[12:13], 0
	s_mov_b64 s[38:39], s[20:21]
                                        ; implicit-def: $sgpr10_sgpr11
                                        ; implicit-def: $sgpr26_sgpr27
                                        ; implicit-def: $sgpr34_sgpr35
                                        ; implicit-def: $sgpr30_sgpr31
                                        ; implicit-def: $sgpr36_sgpr37
	s_branch .LBB749_137
.LBB749_136:                            ;   in Loop: Header=BB749_137 Depth=1
	s_or_b64 exec, exec, s[40:41]
	s_and_b64 s[2:3], s[2:3], s[36:37]
	s_or_b64 s[2:3], vcc, s[2:3]
	s_and_b64 s[40:41], exec, s[34:35]
	s_or_b64 s[12:13], s[40:41], s[12:13]
	s_andn2_b64 s[36:37], s[36:37], exec
	s_and_b64 s[2:3], s[2:3], exec
	s_andn2_b64 s[26:27], s[26:27], exec
	s_and_b64 s[40:41], s[30:31], exec
	s_andn2_b64 s[10:11], s[10:11], exec
	s_or_b64 s[36:37], s[36:37], s[2:3]
	s_or_b64 s[26:27], s[26:27], s[40:41]
	s_or_b64 s[10:11], s[10:11], s[2:3]
	s_andn2_b64 exec, exec, s[12:13]
	s_cbranch_execz .LBB749_139
.LBB749_137:                            ; =>This Inner Loop Header: Depth=1
	global_load_dwordx2 v[34:35], v[22:23], off
	global_load_dwordx2 v[36:37], v[24:25], off
	s_or_b64 s[30:31], s[30:31], exec
	s_or_b64 s[34:35], s[34:35], exec
	s_waitcnt vmcnt(0)
	v_cmp_lt_f64_e32 vcc, v[34:35], v[36:37]
	v_cmp_ngt_f64_e64 s[2:3], v[34:35], v[36:37]
	s_xor_b64 s[42:43], vcc, s[2:3]
	s_and_saveexec_b64 s[40:41], s[42:43]
	s_cbranch_execz .LBB749_136
; %bb.138:                              ;   in Loop: Header=BB749_137 Depth=1
	s_add_u32 s38, s38, -1
	s_addc_u32 s39, s39, -1
	s_cmp_eq_u64 s[38:39], 0
	s_cselect_b64 s[42:43], -1, 0
	s_andn2_b64 s[34:35], s[34:35], exec
	s_and_b64 s[42:43], s[42:43], exec
	v_lshl_add_u64 v[22:23], v[22:23], 0, 8
	v_lshl_add_u64 v[24:25], v[24:25], 0, 8
	s_andn2_b64 s[30:31], s[30:31], exec
	s_or_b64 s[34:35], s[34:35], s[42:43]
	s_branch .LBB749_136
.LBB749_139:
	s_or_b64 exec, exec, s[12:13]
	s_and_saveexec_b64 s[2:3], s[26:27]
	s_xor_b64 s[2:3], exec, s[2:3]
; %bb.140:
	v_cndmask_b32_e64 v23, v13, v7, s[10:11]
	v_cndmask_b32_e64 v22, v12, v6, s[10:11]
	;; [unrolled: 1-line block ×4, first 2 shown]
	v_mov_b64_e32 v[12:13], v[22:23]
; %bb.141:
	s_or_b64 exec, exec, s[2:3]
	v_mul_lo_u32 v24, v3, s20
	v_mul_lo_u32 v25, v2, s21
	v_mad_u64_u32 v[22:23], s[2:3], v2, s20, 0
	v_add3_u32 v23, v23, v25, v24
	v_mul_lo_u32 v34, v9, s20
	v_mul_lo_u32 v35, v8, s21
	v_mad_u64_u32 v[24:25], s[2:3], v8, s20, 0
	v_add3_u32 v25, v25, v35, v34
	v_lshl_add_u64 v[22:23], v[22:23], 3, s[22:23]
	v_lshl_add_u64 v[24:25], v[24:25], 3, s[22:23]
	s_mov_b64 s[12:13], 0
	s_mov_b64 s[38:39], s[20:21]
                                        ; implicit-def: $sgpr10_sgpr11
                                        ; implicit-def: $sgpr26_sgpr27
                                        ; implicit-def: $sgpr34_sgpr35
                                        ; implicit-def: $sgpr30_sgpr31
                                        ; implicit-def: $sgpr36_sgpr37
	s_branch .LBB749_143
.LBB749_142:                            ;   in Loop: Header=BB749_143 Depth=1
	s_or_b64 exec, exec, s[40:41]
	s_and_b64 s[2:3], s[2:3], s[36:37]
	s_or_b64 s[2:3], vcc, s[2:3]
	s_and_b64 s[40:41], exec, s[34:35]
	s_or_b64 s[12:13], s[40:41], s[12:13]
	s_andn2_b64 s[36:37], s[36:37], exec
	s_and_b64 s[2:3], s[2:3], exec
	s_andn2_b64 s[26:27], s[26:27], exec
	s_and_b64 s[40:41], s[30:31], exec
	s_andn2_b64 s[10:11], s[10:11], exec
	s_or_b64 s[36:37], s[36:37], s[2:3]
	s_or_b64 s[26:27], s[26:27], s[40:41]
	;; [unrolled: 1-line block ×3, first 2 shown]
	s_andn2_b64 exec, exec, s[12:13]
	s_cbranch_execz .LBB749_145
.LBB749_143:                            ; =>This Inner Loop Header: Depth=1
	global_load_dwordx2 v[34:35], v[22:23], off
	global_load_dwordx2 v[36:37], v[24:25], off
	s_or_b64 s[30:31], s[30:31], exec
	s_or_b64 s[34:35], s[34:35], exec
	s_waitcnt vmcnt(0)
	v_cmp_lt_f64_e32 vcc, v[34:35], v[36:37]
	v_cmp_ngt_f64_e64 s[2:3], v[34:35], v[36:37]
	s_xor_b64 s[42:43], vcc, s[2:3]
	s_and_saveexec_b64 s[40:41], s[42:43]
	s_cbranch_execz .LBB749_142
; %bb.144:                              ;   in Loop: Header=BB749_143 Depth=1
	s_add_u32 s38, s38, -1
	s_addc_u32 s39, s39, -1
	s_cmp_eq_u64 s[38:39], 0
	s_cselect_b64 s[42:43], -1, 0
	s_andn2_b64 s[34:35], s[34:35], exec
	s_and_b64 s[42:43], s[42:43], exec
	v_lshl_add_u64 v[22:23], v[22:23], 0, 8
	v_lshl_add_u64 v[24:25], v[24:25], 0, 8
	s_andn2_b64 s[30:31], s[30:31], exec
	s_or_b64 s[34:35], s[34:35], s[42:43]
	s_branch .LBB749_142
.LBB749_145:
	s_or_b64 exec, exec, s[12:13]
	s_and_saveexec_b64 s[2:3], s[26:27]
	s_xor_b64 s[2:3], exec, s[2:3]
; %bb.146:
	v_cndmask_b32_e64 v23, v9, v3, s[10:11]
	v_cndmask_b32_e64 v22, v8, v2, s[10:11]
	;; [unrolled: 1-line block ×4, first 2 shown]
	v_mov_b64_e32 v[8:9], v[22:23]
; %bb.147:
	s_or_b64 exec, exec, s[2:3]
	v_mul_lo_u32 v24, v17, s20
	v_mul_lo_u32 v25, v16, s21
	v_mad_u64_u32 v[22:23], s[2:3], v16, s20, 0
	v_add3_u32 v23, v23, v25, v24
	v_mul_lo_u32 v34, v15, s20
	v_mul_lo_u32 v35, v14, s21
	v_mad_u64_u32 v[24:25], s[2:3], v14, s20, 0
	v_add3_u32 v25, v25, v35, v34
	v_lshl_add_u64 v[22:23], v[22:23], 3, s[22:23]
	v_lshl_add_u64 v[24:25], v[24:25], 3, s[22:23]
	s_mov_b64 s[12:13], 0
	s_mov_b64 s[38:39], s[20:21]
                                        ; implicit-def: $sgpr10_sgpr11
                                        ; implicit-def: $sgpr26_sgpr27
                                        ; implicit-def: $sgpr34_sgpr35
                                        ; implicit-def: $sgpr30_sgpr31
                                        ; implicit-def: $sgpr36_sgpr37
	s_branch .LBB749_149
.LBB749_148:                            ;   in Loop: Header=BB749_149 Depth=1
	s_or_b64 exec, exec, s[40:41]
	s_and_b64 s[2:3], s[2:3], s[36:37]
	s_or_b64 s[2:3], vcc, s[2:3]
	s_and_b64 s[40:41], exec, s[34:35]
	s_or_b64 s[12:13], s[40:41], s[12:13]
	s_andn2_b64 s[36:37], s[36:37], exec
	s_and_b64 s[2:3], s[2:3], exec
	s_andn2_b64 s[26:27], s[26:27], exec
	s_and_b64 s[40:41], s[30:31], exec
	s_andn2_b64 s[10:11], s[10:11], exec
	s_or_b64 s[36:37], s[36:37], s[2:3]
	s_or_b64 s[26:27], s[26:27], s[40:41]
	;; [unrolled: 1-line block ×3, first 2 shown]
	s_andn2_b64 exec, exec, s[12:13]
	s_cbranch_execz .LBB749_151
.LBB749_149:                            ; =>This Inner Loop Header: Depth=1
	global_load_dwordx2 v[34:35], v[22:23], off
	global_load_dwordx2 v[36:37], v[24:25], off
	s_or_b64 s[30:31], s[30:31], exec
	s_or_b64 s[34:35], s[34:35], exec
	s_waitcnt vmcnt(0)
	v_cmp_lt_f64_e32 vcc, v[34:35], v[36:37]
	v_cmp_ngt_f64_e64 s[2:3], v[34:35], v[36:37]
	s_xor_b64 s[42:43], vcc, s[2:3]
	s_and_saveexec_b64 s[40:41], s[42:43]
	s_cbranch_execz .LBB749_148
; %bb.150:                              ;   in Loop: Header=BB749_149 Depth=1
	s_add_u32 s38, s38, -1
	s_addc_u32 s39, s39, -1
	s_cmp_eq_u64 s[38:39], 0
	s_cselect_b64 s[42:43], -1, 0
	s_andn2_b64 s[34:35], s[34:35], exec
	s_and_b64 s[42:43], s[42:43], exec
	v_lshl_add_u64 v[22:23], v[22:23], 0, 8
	v_lshl_add_u64 v[24:25], v[24:25], 0, 8
	s_andn2_b64 s[30:31], s[30:31], exec
	s_or_b64 s[34:35], s[34:35], s[42:43]
	s_branch .LBB749_148
.LBB749_151:
	s_or_b64 exec, exec, s[12:13]
	s_and_saveexec_b64 s[2:3], s[26:27]
	s_xor_b64 s[2:3], exec, s[2:3]
; %bb.152:
	v_cndmask_b32_e64 v23, v17, v15, s[10:11]
	v_cndmask_b32_e64 v22, v16, v14, s[10:11]
	;; [unrolled: 1-line block ×4, first 2 shown]
	v_mov_b64_e32 v[16:17], v[22:23]
; %bb.153:
	s_or_b64 exec, exec, s[2:3]
	v_mul_lo_u32 v24, v13, s20
	v_mul_lo_u32 v25, v12, s21
	v_mad_u64_u32 v[22:23], s[2:3], v12, s20, 0
	v_add3_u32 v23, v23, v25, v24
	v_mul_lo_u32 v34, v11, s20
	v_mul_lo_u32 v35, v10, s21
	v_mad_u64_u32 v[24:25], s[2:3], v10, s20, 0
	v_add3_u32 v25, v25, v35, v34
	v_lshl_add_u64 v[22:23], v[22:23], 3, s[22:23]
	v_lshl_add_u64 v[24:25], v[24:25], 3, s[22:23]
	s_mov_b64 s[12:13], 0
	s_mov_b64 s[38:39], s[20:21]
                                        ; implicit-def: $sgpr10_sgpr11
                                        ; implicit-def: $sgpr26_sgpr27
                                        ; implicit-def: $sgpr34_sgpr35
                                        ; implicit-def: $sgpr30_sgpr31
                                        ; implicit-def: $sgpr36_sgpr37
	s_branch .LBB749_155
.LBB749_154:                            ;   in Loop: Header=BB749_155 Depth=1
	s_or_b64 exec, exec, s[40:41]
	s_and_b64 s[2:3], s[2:3], s[36:37]
	s_or_b64 s[2:3], vcc, s[2:3]
	s_and_b64 s[40:41], exec, s[34:35]
	s_or_b64 s[12:13], s[40:41], s[12:13]
	s_andn2_b64 s[36:37], s[36:37], exec
	s_and_b64 s[2:3], s[2:3], exec
	s_andn2_b64 s[26:27], s[26:27], exec
	s_and_b64 s[40:41], s[30:31], exec
	s_andn2_b64 s[10:11], s[10:11], exec
	s_or_b64 s[36:37], s[36:37], s[2:3]
	s_or_b64 s[26:27], s[26:27], s[40:41]
	;; [unrolled: 1-line block ×3, first 2 shown]
	s_andn2_b64 exec, exec, s[12:13]
	s_cbranch_execz .LBB749_157
.LBB749_155:                            ; =>This Inner Loop Header: Depth=1
	global_load_dwordx2 v[34:35], v[22:23], off
	global_load_dwordx2 v[36:37], v[24:25], off
	s_or_b64 s[30:31], s[30:31], exec
	s_or_b64 s[34:35], s[34:35], exec
	s_waitcnt vmcnt(0)
	v_cmp_lt_f64_e32 vcc, v[34:35], v[36:37]
	v_cmp_ngt_f64_e64 s[2:3], v[34:35], v[36:37]
	s_xor_b64 s[42:43], vcc, s[2:3]
	s_and_saveexec_b64 s[40:41], s[42:43]
	s_cbranch_execz .LBB749_154
; %bb.156:                              ;   in Loop: Header=BB749_155 Depth=1
	s_add_u32 s38, s38, -1
	s_addc_u32 s39, s39, -1
	s_cmp_eq_u64 s[38:39], 0
	s_cselect_b64 s[42:43], -1, 0
	s_andn2_b64 s[34:35], s[34:35], exec
	s_and_b64 s[42:43], s[42:43], exec
	v_lshl_add_u64 v[22:23], v[22:23], 0, 8
	v_lshl_add_u64 v[24:25], v[24:25], 0, 8
	s_andn2_b64 s[30:31], s[30:31], exec
	s_or_b64 s[34:35], s[34:35], s[42:43]
	s_branch .LBB749_154
.LBB749_157:
	s_or_b64 exec, exec, s[12:13]
	s_and_saveexec_b64 s[2:3], s[26:27]
	s_xor_b64 s[2:3], exec, s[2:3]
; %bb.158:
	v_cndmask_b32_e64 v23, v11, v13, s[10:11]
	v_cndmask_b32_e64 v22, v10, v12, s[10:11]
	;; [unrolled: 1-line block ×4, first 2 shown]
	v_mov_b64_e32 v[10:11], v[22:23]
; %bb.159:
	s_or_b64 exec, exec, s[2:3]
	v_mul_lo_u32 v24, v9, s20
	v_mul_lo_u32 v25, v8, s21
	v_mad_u64_u32 v[22:23], s[2:3], v8, s20, 0
	v_add3_u32 v23, v23, v25, v24
	v_mul_lo_u32 v34, v7, s20
	v_mul_lo_u32 v35, v6, s21
	v_mad_u64_u32 v[24:25], s[2:3], v6, s20, 0
	v_add3_u32 v25, v25, v35, v34
	v_lshl_add_u64 v[22:23], v[22:23], 3, s[22:23]
	v_lshl_add_u64 v[24:25], v[24:25], 3, s[22:23]
	s_mov_b64 s[12:13], 0
	s_mov_b64 s[38:39], s[20:21]
                                        ; implicit-def: $sgpr10_sgpr11
                                        ; implicit-def: $sgpr26_sgpr27
                                        ; implicit-def: $sgpr34_sgpr35
                                        ; implicit-def: $sgpr30_sgpr31
                                        ; implicit-def: $sgpr36_sgpr37
	s_branch .LBB749_161
.LBB749_160:                            ;   in Loop: Header=BB749_161 Depth=1
	s_or_b64 exec, exec, s[40:41]
	s_and_b64 s[2:3], s[2:3], s[36:37]
	s_or_b64 s[2:3], vcc, s[2:3]
	s_and_b64 s[40:41], exec, s[34:35]
	s_or_b64 s[12:13], s[40:41], s[12:13]
	s_andn2_b64 s[36:37], s[36:37], exec
	s_and_b64 s[2:3], s[2:3], exec
	s_andn2_b64 s[26:27], s[26:27], exec
	s_and_b64 s[40:41], s[30:31], exec
	s_andn2_b64 s[10:11], s[10:11], exec
	s_or_b64 s[36:37], s[36:37], s[2:3]
	s_or_b64 s[26:27], s[26:27], s[40:41]
	;; [unrolled: 1-line block ×3, first 2 shown]
	s_andn2_b64 exec, exec, s[12:13]
	s_cbranch_execz .LBB749_163
.LBB749_161:                            ; =>This Inner Loop Header: Depth=1
	global_load_dwordx2 v[34:35], v[22:23], off
	global_load_dwordx2 v[36:37], v[24:25], off
	s_or_b64 s[30:31], s[30:31], exec
	s_or_b64 s[34:35], s[34:35], exec
	s_waitcnt vmcnt(0)
	v_cmp_lt_f64_e32 vcc, v[34:35], v[36:37]
	v_cmp_ngt_f64_e64 s[2:3], v[34:35], v[36:37]
	s_xor_b64 s[42:43], vcc, s[2:3]
	s_and_saveexec_b64 s[40:41], s[42:43]
	s_cbranch_execz .LBB749_160
; %bb.162:                              ;   in Loop: Header=BB749_161 Depth=1
	s_add_u32 s38, s38, -1
	s_addc_u32 s39, s39, -1
	s_cmp_eq_u64 s[38:39], 0
	s_cselect_b64 s[42:43], -1, 0
	s_andn2_b64 s[34:35], s[34:35], exec
	s_and_b64 s[42:43], s[42:43], exec
	v_lshl_add_u64 v[22:23], v[22:23], 0, 8
	v_lshl_add_u64 v[24:25], v[24:25], 0, 8
	s_andn2_b64 s[30:31], s[30:31], exec
	s_or_b64 s[34:35], s[34:35], s[42:43]
	s_branch .LBB749_160
.LBB749_163:
	s_or_b64 exec, exec, s[12:13]
	s_and_saveexec_b64 s[2:3], s[26:27]
	s_xor_b64 s[2:3], exec, s[2:3]
; %bb.164:
	v_cndmask_b32_e64 v23, v7, v9, s[10:11]
	v_cndmask_b32_e64 v22, v6, v8, s[10:11]
	;; [unrolled: 1-line block ×4, first 2 shown]
	v_mov_b64_e32 v[6:7], v[22:23]
; %bb.165:
	s_or_b64 exec, exec, s[2:3]
	v_mul_lo_u32 v24, v5, s20
	v_mul_lo_u32 v25, v4, s21
	v_mad_u64_u32 v[22:23], s[2:3], v4, s20, 0
	v_add3_u32 v23, v23, v25, v24
	v_mul_lo_u32 v34, v3, s20
	v_mul_lo_u32 v35, v2, s21
	v_mad_u64_u32 v[24:25], s[2:3], v2, s20, 0
	v_add3_u32 v25, v25, v35, v34
	v_lshl_add_u64 v[22:23], v[22:23], 3, s[22:23]
	v_lshl_add_u64 v[24:25], v[24:25], 3, s[22:23]
	s_mov_b64 s[12:13], 0
	s_mov_b64 s[38:39], s[20:21]
                                        ; implicit-def: $sgpr10_sgpr11
                                        ; implicit-def: $sgpr26_sgpr27
                                        ; implicit-def: $sgpr34_sgpr35
                                        ; implicit-def: $sgpr30_sgpr31
                                        ; implicit-def: $sgpr36_sgpr37
	s_branch .LBB749_167
.LBB749_166:                            ;   in Loop: Header=BB749_167 Depth=1
	s_or_b64 exec, exec, s[40:41]
	s_and_b64 s[2:3], s[2:3], s[36:37]
	s_or_b64 s[2:3], vcc, s[2:3]
	s_and_b64 s[40:41], exec, s[34:35]
	s_or_b64 s[12:13], s[40:41], s[12:13]
	s_andn2_b64 s[36:37], s[36:37], exec
	s_and_b64 s[2:3], s[2:3], exec
	s_andn2_b64 s[26:27], s[26:27], exec
	s_and_b64 s[40:41], s[30:31], exec
	s_andn2_b64 s[10:11], s[10:11], exec
	s_or_b64 s[36:37], s[36:37], s[2:3]
	s_or_b64 s[26:27], s[26:27], s[40:41]
	;; [unrolled: 1-line block ×3, first 2 shown]
	s_andn2_b64 exec, exec, s[12:13]
	s_cbranch_execz .LBB749_169
.LBB749_167:                            ; =>This Inner Loop Header: Depth=1
	global_load_dwordx2 v[34:35], v[22:23], off
	global_load_dwordx2 v[36:37], v[24:25], off
	s_or_b64 s[30:31], s[30:31], exec
	s_or_b64 s[34:35], s[34:35], exec
	s_waitcnt vmcnt(0)
	v_cmp_lt_f64_e32 vcc, v[34:35], v[36:37]
	v_cmp_ngt_f64_e64 s[2:3], v[34:35], v[36:37]
	s_xor_b64 s[42:43], vcc, s[2:3]
	s_and_saveexec_b64 s[40:41], s[42:43]
	s_cbranch_execz .LBB749_166
; %bb.168:                              ;   in Loop: Header=BB749_167 Depth=1
	s_add_u32 s38, s38, -1
	s_addc_u32 s39, s39, -1
	s_cmp_eq_u64 s[38:39], 0
	s_cselect_b64 s[42:43], -1, 0
	s_andn2_b64 s[34:35], s[34:35], exec
	s_and_b64 s[42:43], s[42:43], exec
	v_lshl_add_u64 v[22:23], v[22:23], 0, 8
	v_lshl_add_u64 v[24:25], v[24:25], 0, 8
	s_andn2_b64 s[30:31], s[30:31], exec
	s_or_b64 s[34:35], s[34:35], s[42:43]
	s_branch .LBB749_166
.LBB749_169:
	s_or_b64 exec, exec, s[12:13]
	s_and_saveexec_b64 s[2:3], s[26:27]
	s_xor_b64 s[2:3], exec, s[2:3]
; %bb.170:
	v_cndmask_b32_e64 v23, v3, v5, s[10:11]
	v_cndmask_b32_e64 v22, v2, v4, s[10:11]
	;; [unrolled: 1-line block ×4, first 2 shown]
	v_mov_b64_e32 v[2:3], v[22:23]
; %bb.171:
	s_or_b64 exec, exec, s[2:3]
	v_mul_lo_u32 v24, v11, s20
	v_mul_lo_u32 v25, v10, s21
	v_mad_u64_u32 v[22:23], s[2:3], v10, s20, 0
	v_add3_u32 v23, v23, v25, v24
	v_mul_lo_u32 v34, v17, s20
	v_mul_lo_u32 v35, v16, s21
	v_mad_u64_u32 v[24:25], s[2:3], v16, s20, 0
	v_add3_u32 v25, v25, v35, v34
	v_lshl_add_u64 v[22:23], v[22:23], 3, s[22:23]
	v_lshl_add_u64 v[24:25], v[24:25], 3, s[22:23]
	s_mov_b64 s[12:13], 0
	s_mov_b64 s[38:39], s[20:21]
                                        ; implicit-def: $sgpr10_sgpr11
                                        ; implicit-def: $sgpr26_sgpr27
                                        ; implicit-def: $sgpr34_sgpr35
                                        ; implicit-def: $sgpr30_sgpr31
                                        ; implicit-def: $sgpr36_sgpr37
	s_branch .LBB749_173
.LBB749_172:                            ;   in Loop: Header=BB749_173 Depth=1
	s_or_b64 exec, exec, s[40:41]
	s_and_b64 s[2:3], s[2:3], s[36:37]
	s_or_b64 s[2:3], vcc, s[2:3]
	s_and_b64 s[40:41], exec, s[34:35]
	s_or_b64 s[12:13], s[40:41], s[12:13]
	s_andn2_b64 s[36:37], s[36:37], exec
	s_and_b64 s[2:3], s[2:3], exec
	s_andn2_b64 s[26:27], s[26:27], exec
	s_and_b64 s[40:41], s[30:31], exec
	s_andn2_b64 s[10:11], s[10:11], exec
	s_or_b64 s[36:37], s[36:37], s[2:3]
	s_or_b64 s[26:27], s[26:27], s[40:41]
	;; [unrolled: 1-line block ×3, first 2 shown]
	s_andn2_b64 exec, exec, s[12:13]
	s_cbranch_execz .LBB749_175
.LBB749_173:                            ; =>This Inner Loop Header: Depth=1
	global_load_dwordx2 v[34:35], v[22:23], off
	global_load_dwordx2 v[36:37], v[24:25], off
	s_or_b64 s[30:31], s[30:31], exec
	s_or_b64 s[34:35], s[34:35], exec
	s_waitcnt vmcnt(0)
	v_cmp_lt_f64_e32 vcc, v[34:35], v[36:37]
	v_cmp_ngt_f64_e64 s[2:3], v[34:35], v[36:37]
	s_xor_b64 s[42:43], vcc, s[2:3]
	s_and_saveexec_b64 s[40:41], s[42:43]
	s_cbranch_execz .LBB749_172
; %bb.174:                              ;   in Loop: Header=BB749_173 Depth=1
	s_add_u32 s38, s38, -1
	s_addc_u32 s39, s39, -1
	s_cmp_eq_u64 s[38:39], 0
	s_cselect_b64 s[42:43], -1, 0
	s_andn2_b64 s[34:35], s[34:35], exec
	s_and_b64 s[42:43], s[42:43], exec
	v_lshl_add_u64 v[22:23], v[22:23], 0, 8
	v_lshl_add_u64 v[24:25], v[24:25], 0, 8
	s_andn2_b64 s[30:31], s[30:31], exec
	s_or_b64 s[34:35], s[34:35], s[42:43]
	s_branch .LBB749_172
.LBB749_175:
	s_or_b64 exec, exec, s[12:13]
	s_and_saveexec_b64 s[2:3], s[26:27]
	s_xor_b64 s[2:3], exec, s[2:3]
; %bb.176:
	v_cndmask_b32_e64 v23, v17, v11, s[10:11]
	v_cndmask_b32_e64 v22, v16, v10, s[10:11]
	;; [unrolled: 1-line block ×4, first 2 shown]
	v_mov_b64_e32 v[16:17], v[22:23]
; %bb.177:
	s_or_b64 exec, exec, s[2:3]
	v_mul_lo_u32 v24, v7, s20
	v_mul_lo_u32 v25, v6, s21
	v_mad_u64_u32 v[22:23], s[2:3], v6, s20, 0
	v_add3_u32 v23, v23, v25, v24
	v_mul_lo_u32 v34, v13, s20
	v_mul_lo_u32 v35, v12, s21
	v_mad_u64_u32 v[24:25], s[2:3], v12, s20, 0
	v_add3_u32 v25, v25, v35, v34
	v_lshl_add_u64 v[22:23], v[22:23], 3, s[22:23]
	v_lshl_add_u64 v[24:25], v[24:25], 3, s[22:23]
	s_mov_b64 s[12:13], 0
	s_mov_b64 s[38:39], s[20:21]
                                        ; implicit-def: $sgpr10_sgpr11
                                        ; implicit-def: $sgpr26_sgpr27
                                        ; implicit-def: $sgpr34_sgpr35
                                        ; implicit-def: $sgpr30_sgpr31
                                        ; implicit-def: $sgpr36_sgpr37
	s_branch .LBB749_179
.LBB749_178:                            ;   in Loop: Header=BB749_179 Depth=1
	s_or_b64 exec, exec, s[40:41]
	s_and_b64 s[2:3], s[2:3], s[36:37]
	s_or_b64 s[2:3], vcc, s[2:3]
	s_and_b64 s[40:41], exec, s[34:35]
	s_or_b64 s[12:13], s[40:41], s[12:13]
	s_andn2_b64 s[36:37], s[36:37], exec
	s_and_b64 s[2:3], s[2:3], exec
	s_andn2_b64 s[26:27], s[26:27], exec
	s_and_b64 s[40:41], s[30:31], exec
	s_andn2_b64 s[10:11], s[10:11], exec
	s_or_b64 s[36:37], s[36:37], s[2:3]
	s_or_b64 s[26:27], s[26:27], s[40:41]
	;; [unrolled: 1-line block ×3, first 2 shown]
	s_andn2_b64 exec, exec, s[12:13]
	s_cbranch_execz .LBB749_181
.LBB749_179:                            ; =>This Inner Loop Header: Depth=1
	global_load_dwordx2 v[34:35], v[22:23], off
	global_load_dwordx2 v[36:37], v[24:25], off
	s_or_b64 s[30:31], s[30:31], exec
	s_or_b64 s[34:35], s[34:35], exec
	s_waitcnt vmcnt(0)
	v_cmp_lt_f64_e32 vcc, v[34:35], v[36:37]
	v_cmp_ngt_f64_e64 s[2:3], v[34:35], v[36:37]
	s_xor_b64 s[42:43], vcc, s[2:3]
	s_and_saveexec_b64 s[40:41], s[42:43]
	s_cbranch_execz .LBB749_178
; %bb.180:                              ;   in Loop: Header=BB749_179 Depth=1
	s_add_u32 s38, s38, -1
	s_addc_u32 s39, s39, -1
	s_cmp_eq_u64 s[38:39], 0
	s_cselect_b64 s[42:43], -1, 0
	s_andn2_b64 s[34:35], s[34:35], exec
	s_and_b64 s[42:43], s[42:43], exec
	v_lshl_add_u64 v[22:23], v[22:23], 0, 8
	v_lshl_add_u64 v[24:25], v[24:25], 0, 8
	s_andn2_b64 s[30:31], s[30:31], exec
	s_or_b64 s[34:35], s[34:35], s[42:43]
	s_branch .LBB749_178
.LBB749_181:
	s_or_b64 exec, exec, s[12:13]
	s_and_saveexec_b64 s[2:3], s[26:27]
	s_xor_b64 s[2:3], exec, s[2:3]
; %bb.182:
	v_cndmask_b32_e64 v23, v13, v7, s[10:11]
	v_cndmask_b32_e64 v22, v12, v6, s[10:11]
	v_cndmask_b32_e64 v7, v7, v13, s[10:11]
	v_cndmask_b32_e64 v6, v6, v12, s[10:11]
	v_mov_b64_e32 v[12:13], v[22:23]
; %bb.183:
	s_or_b64 exec, exec, s[2:3]
	v_mul_lo_u32 v24, v3, s20
	v_mul_lo_u32 v25, v2, s21
	v_mad_u64_u32 v[22:23], s[2:3], v2, s20, 0
	v_add3_u32 v23, v23, v25, v24
	v_mul_lo_u32 v34, v9, s20
	v_mul_lo_u32 v35, v8, s21
	v_mad_u64_u32 v[24:25], s[2:3], v8, s20, 0
	v_add3_u32 v25, v25, v35, v34
	v_lshl_add_u64 v[22:23], v[22:23], 3, s[22:23]
	v_lshl_add_u64 v[24:25], v[24:25], 3, s[22:23]
	s_mov_b64 s[26:27], 0
	s_mov_b64 s[38:39], s[20:21]
                                        ; implicit-def: $sgpr10_sgpr11
                                        ; implicit-def: $sgpr12_sgpr13
                                        ; implicit-def: $sgpr34_sgpr35
                                        ; implicit-def: $sgpr30_sgpr31
                                        ; implicit-def: $sgpr36_sgpr37
	s_branch .LBB749_185
.LBB749_184:                            ;   in Loop: Header=BB749_185 Depth=1
	s_or_b64 exec, exec, s[40:41]
	s_and_b64 s[2:3], s[2:3], s[36:37]
	s_or_b64 s[2:3], vcc, s[2:3]
	s_and_b64 s[40:41], exec, s[34:35]
	s_or_b64 s[26:27], s[40:41], s[26:27]
	s_andn2_b64 s[36:37], s[36:37], exec
	s_and_b64 s[2:3], s[2:3], exec
	s_andn2_b64 s[12:13], s[12:13], exec
	s_and_b64 s[40:41], s[30:31], exec
	s_andn2_b64 s[10:11], s[10:11], exec
	s_or_b64 s[36:37], s[36:37], s[2:3]
	s_or_b64 s[12:13], s[12:13], s[40:41]
	;; [unrolled: 1-line block ×3, first 2 shown]
	s_andn2_b64 exec, exec, s[26:27]
	s_cbranch_execz .LBB749_187
.LBB749_185:                            ; =>This Inner Loop Header: Depth=1
	global_load_dwordx2 v[34:35], v[22:23], off
	global_load_dwordx2 v[36:37], v[24:25], off
	s_or_b64 s[30:31], s[30:31], exec
	s_or_b64 s[34:35], s[34:35], exec
	s_waitcnt vmcnt(0)
	v_cmp_lt_f64_e32 vcc, v[34:35], v[36:37]
	v_cmp_ngt_f64_e64 s[2:3], v[34:35], v[36:37]
	s_xor_b64 s[42:43], vcc, s[2:3]
	s_and_saveexec_b64 s[40:41], s[42:43]
	s_cbranch_execz .LBB749_184
; %bb.186:                              ;   in Loop: Header=BB749_185 Depth=1
	s_add_u32 s38, s38, -1
	s_addc_u32 s39, s39, -1
	s_cmp_eq_u64 s[38:39], 0
	s_cselect_b64 s[42:43], -1, 0
	s_andn2_b64 s[34:35], s[34:35], exec
	s_and_b64 s[42:43], s[42:43], exec
	v_lshl_add_u64 v[22:23], v[22:23], 0, 8
	v_lshl_add_u64 v[24:25], v[24:25], 0, 8
	s_andn2_b64 s[30:31], s[30:31], exec
	s_or_b64 s[34:35], s[34:35], s[42:43]
	s_branch .LBB749_184
.LBB749_187:
	s_or_b64 exec, exec, s[26:27]
	s_and_saveexec_b64 s[2:3], s[12:13]
	s_xor_b64 s[2:3], exec, s[2:3]
; %bb.188:
	v_cndmask_b32_e64 v23, v9, v3, s[10:11]
	v_cndmask_b32_e64 v22, v8, v2, s[10:11]
	;; [unrolled: 1-line block ×4, first 2 shown]
	v_mov_b64_e32 v[8:9], v[22:23]
; %bb.189:
	s_or_b64 exec, exec, s[2:3]
.LBB749_190:
	s_or_b64 exec, exec, s[4:5]
	v_mbcnt_lo_u32_b32 v22, -1, 0
	v_mbcnt_hi_u32_b32 v22, -1, v22
	v_and_b32_e32 v23, 0xfffffe00, v33
	s_movk_i32 s2, 0x800
	v_lshlrev_b32_e32 v33, 3, v23
	v_lshlrev_b32_e32 v35, 3, v22
	v_sub_u32_e64 v34, s2, v23 clamp
	v_lshl_add_u32 v36, v22, 6, v33
	v_or_b32_e32 v22, 8, v35
	v_min_u32_e32 v37, v34, v22
	v_add_u32_e32 v22, 8, v37
	v_and_b32_e32 v41, 0x3f0, v35
	v_min_u32_e32 v38, v34, v22
	v_and_b32_e32 v22, 8, v35
	v_min_u32_e32 v42, v34, v22
	v_sub_u32_e32 v22, v37, v41
	v_sub_u32_e32 v23, v38, v37
	v_sub_u32_e64 v40, v42, v23 clamp
	v_min_u32_e32 v43, v42, v22
	v_lshl_add_u32 v39, v41, 3, v33
	v_cmp_lt_u32_e32 vcc, v40, v43
	ds_write_b128 v36, v[14:17]
	ds_write_b128 v36, v[10:13] offset:16
	ds_write_b128 v36, v[6:9] offset:32
	;; [unrolled: 1-line block ×3, first 2 shown]
	; wave barrier
	s_and_saveexec_b64 s[4:5], vcc
	s_cbranch_execz .LBB749_200
; %bb.191:
	v_lshlrev_b32_e32 v22, 3, v37
	v_lshlrev_b32_e32 v23, 3, v42
	v_add3_u32 v44, v33, v22, v23
	s_lshl_b64 s[12:13], s[20:21], 3
	s_mov_b64 s[10:11], 0
	s_branch .LBB749_194
.LBB749_192:                            ;   in Loop: Header=BB749_194 Depth=1
	s_or_b64 exec, exec, s[30:31]
.LBB749_193:                            ;   in Loop: Header=BB749_194 Depth=1
	v_add_u32_e32 v22, 1, v45
	v_cndmask_b32_e64 v43, v43, v45, s[26:27]
	v_cndmask_b32_e64 v40, v22, v40, s[26:27]
	v_cmp_ge_u32_e32 vcc, v40, v43
	s_or_b64 s[10:11], vcc, s[10:11]
	s_andn2_b64 exec, exec, s[10:11]
	s_cbranch_execz .LBB749_199
.LBB749_194:                            ; =>This Loop Header: Depth=1
                                        ;     Child Loop BB749_197 Depth 2
	v_add_u32_e32 v22, v43, v40
	v_lshrrev_b32_e32 v45, 1, v22
	s_and_b64 vcc, exec, s[0:1]
	s_mov_b64 s[26:27], 0
	s_cbranch_vccnz .LBB749_193
; %bb.195:                              ;   in Loop: Header=BB749_194 Depth=1
	v_not_b32_e32 v22, v45
	v_lshl_add_u32 v22, v22, 3, v44
	ds_read_b64 v[22:23], v22
	v_lshl_add_u32 v46, v45, 3, v39
	ds_read_b64 v[46:47], v46
	v_mov_b64_e32 v[24:25], s[22:23]
	s_mov_b64 s[30:31], 0
	s_waitcnt lgkmcnt(1)
	v_mul_lo_u32 v48, s12, v23
	v_mul_lo_u32 v49, s13, v22
	v_mad_u64_u32 v[22:23], s[2:3], s12, v22, v[24:25]
	v_add3_u32 v23, v49, v23, v48
	s_waitcnt lgkmcnt(0)
	v_mul_lo_u32 v47, s12, v47
	v_mul_lo_u32 v48, s13, v46
	v_mad_u64_u32 v[24:25], s[2:3], s12, v46, v[24:25]
	v_add3_u32 v25, v48, v25, v47
	s_mov_b64 s[36:37], s[20:21]
                                        ; implicit-def: $sgpr26_sgpr27
                                        ; implicit-def: $sgpr34_sgpr35
                                        ; implicit-def: $sgpr2_sgpr3
                                        ; implicit-def: $sgpr38_sgpr39
	s_branch .LBB749_197
.LBB749_196:                            ;   in Loop: Header=BB749_197 Depth=2
	s_or_b64 exec, exec, s[42:43]
	s_and_b64 s[42:43], exec, s[34:35]
	s_or_b64 s[30:31], s[42:43], s[30:31]
	s_andn2_b64 s[38:39], s[38:39], exec
	s_and_b64 s[40:41], s[40:41], exec
	s_or_b64 s[38:39], s[38:39], s[40:41]
	s_andn2_b64 s[26:27], s[26:27], exec
	s_and_b64 s[40:41], s[2:3], exec
	s_or_b64 s[26:27], s[26:27], s[40:41]
	s_andn2_b64 exec, exec, s[30:31]
	s_cbranch_execz .LBB749_192
.LBB749_197:                            ;   Parent Loop BB749_194 Depth=1
                                        ; =>  This Inner Loop Header: Depth=2
	global_load_dwordx2 v[46:47], v[22:23], off
	global_load_dwordx2 v[48:49], v[24:25], off
	s_andn2_b64 s[42:43], s[2:3], exec
	s_or_b64 s[34:35], s[34:35], exec
	s_waitcnt vmcnt(0)
	v_cmp_ngt_f64_e64 s[2:3], v[46:47], v[48:49]
	v_cmp_lt_f64_e32 vcc, v[46:47], v[48:49]
	s_and_b64 s[40:41], s[2:3], s[38:39]
	s_or_b64 s[40:41], vcc, s[40:41]
	s_xor_b64 s[44:45], vcc, s[2:3]
	s_and_b64 s[2:3], s[40:41], exec
	s_or_b64 s[2:3], s[42:43], s[2:3]
	s_and_saveexec_b64 s[42:43], s[44:45]
	s_cbranch_execz .LBB749_196
; %bb.198:                              ;   in Loop: Header=BB749_197 Depth=2
	s_add_u32 s36, s36, -1
	s_addc_u32 s37, s37, -1
	s_cmp_eq_u64 s[36:37], 0
	s_cselect_b64 s[38:39], -1, 0
	s_andn2_b64 s[34:35], s[34:35], exec
	s_and_b64 s[38:39], s[38:39], exec
	v_lshl_add_u64 v[22:23], v[22:23], 0, 8
	v_lshl_add_u64 v[24:25], v[24:25], 0, 8
	s_andn2_b64 s[2:3], s[2:3], exec
	s_or_b64 s[34:35], s[34:35], s[38:39]
                                        ; implicit-def: $sgpr38_sgpr39
	s_branch .LBB749_196
.LBB749_199:
	s_or_b64 exec, exec, s[10:11]
.LBB749_200:
	s_or_b64 exec, exec, s[4:5]
	v_add_u32_e32 v22, v37, v42
	v_add_u32_e32 v23, v40, v41
	v_sub_u32_e32 v24, v22, v40
	v_cmp_le_u32_e32 vcc, v23, v37
	v_cmp_le_u32_e64 s[2:3], v24, v38
	v_cmp_lt_i64_e64 s[10:11], s[20:21], 1
	s_or_b64 s[2:3], vcc, s[2:3]
	s_and_saveexec_b64 s[12:13], s[2:3]
	s_cbranch_execz .LBB749_268
; %bb.201:
	v_cmp_ge_u32_e32 vcc, v23, v37
	v_cmp_lt_u32_e64 s[2:3], v23, v37
                                        ; implicit-def: $vgpr2_vgpr3
	s_and_saveexec_b64 s[4:5], s[2:3]
; %bb.202:
	v_lshl_add_u32 v2, v40, 3, v39
	ds_read_b64 v[2:3], v2
; %bb.203:
	s_or_b64 exec, exec, s[4:5]
	v_cmp_ge_u32_e64 s[2:3], v24, v38
	v_cmp_lt_u32_e64 s[4:5], v24, v38
                                        ; implicit-def: $vgpr4_vgpr5
	s_and_saveexec_b64 s[26:27], s[4:5]
; %bb.204:
	v_lshl_add_u32 v4, v24, 3, v33
	ds_read_b64 v[4:5], v4
; %bb.205:
	s_or_b64 exec, exec, s[26:27]
	s_or_b64 s[4:5], vcc, s[2:3]
	s_nor_b64 s[30:31], s[4:5], s[10:11]
	s_xor_b64 s[4:5], vcc, -1
	s_or_b64 s[4:5], s[2:3], s[4:5]
	s_and_saveexec_b64 s[26:27], s[30:31]
	s_cbranch_execz .LBB749_211
; %bb.206:
	s_waitcnt lgkmcnt(0)
	v_mul_lo_u32 v8, v5, s20
	v_mul_lo_u32 v9, v4, s21
	v_mad_u64_u32 v[6:7], s[2:3], v4, s20, 0
	v_add3_u32 v7, v7, v9, v8
	v_mul_lo_u32 v10, v3, s20
	v_mul_lo_u32 v11, v2, s21
	v_mad_u64_u32 v[8:9], s[2:3], v2, s20, 0
	v_add3_u32 v9, v9, v11, v10
	v_lshl_add_u64 v[6:7], v[6:7], 3, s[22:23]
	v_lshl_add_u64 v[8:9], v[8:9], 3, s[22:23]
	s_mov_b64 s[30:31], 0
	s_mov_b64 s[38:39], s[20:21]
                                        ; implicit-def: $sgpr34_sgpr35
                                        ; implicit-def: $sgpr36_sgpr37
                                        ; implicit-def: $sgpr2_sgpr3
                                        ; implicit-def: $sgpr40_sgpr41
	s_branch .LBB749_208
.LBB749_207:                            ;   in Loop: Header=BB749_208 Depth=1
	s_or_b64 exec, exec, s[44:45]
	s_and_b64 s[44:45], exec, s[36:37]
	s_or_b64 s[30:31], s[44:45], s[30:31]
	s_andn2_b64 s[40:41], s[40:41], exec
	s_and_b64 s[42:43], s[42:43], exec
	s_or_b64 s[40:41], s[40:41], s[42:43]
	s_andn2_b64 s[34:35], s[34:35], exec
	s_and_b64 s[42:43], s[2:3], exec
	s_or_b64 s[34:35], s[34:35], s[42:43]
	s_andn2_b64 exec, exec, s[30:31]
	s_cbranch_execz .LBB749_210
.LBB749_208:                            ; =>This Inner Loop Header: Depth=1
	global_load_dwordx2 v[10:11], v[6:7], off
	global_load_dwordx2 v[12:13], v[8:9], off
	s_andn2_b64 s[44:45], s[2:3], exec
	s_or_b64 s[36:37], s[36:37], exec
	s_waitcnt vmcnt(0)
	v_cmp_ngt_f64_e64 s[2:3], v[10:11], v[12:13]
	v_cmp_lt_f64_e32 vcc, v[10:11], v[12:13]
	s_and_b64 s[42:43], s[2:3], s[40:41]
	s_or_b64 s[42:43], vcc, s[42:43]
	s_xor_b64 s[46:47], vcc, s[2:3]
	s_and_b64 s[2:3], s[42:43], exec
	s_or_b64 s[2:3], s[44:45], s[2:3]
	s_and_saveexec_b64 s[44:45], s[46:47]
	s_cbranch_execz .LBB749_207
; %bb.209:                              ;   in Loop: Header=BB749_208 Depth=1
	s_add_u32 s38, s38, -1
	s_addc_u32 s39, s39, -1
	s_cmp_eq_u64 s[38:39], 0
	s_cselect_b64 s[40:41], -1, 0
	s_andn2_b64 s[36:37], s[36:37], exec
	s_and_b64 s[40:41], s[40:41], exec
	v_lshl_add_u64 v[6:7], v[6:7], 0, 8
	v_lshl_add_u64 v[8:9], v[8:9], 0, 8
	s_andn2_b64 s[2:3], s[2:3], exec
	s_or_b64 s[36:37], s[36:37], s[40:41]
                                        ; implicit-def: $sgpr40_sgpr41
	s_branch .LBB749_207
.LBB749_210:
	s_or_b64 exec, exec, s[30:31]
	s_xor_b64 s[2:3], s[34:35], -1
	s_andn2_b64 s[4:5], s[4:5], exec
	s_and_b64 s[2:3], s[2:3], exec
	s_or_b64 s[4:5], s[4:5], s[2:3]
.LBB749_211:
	s_or_b64 exec, exec, s[26:27]
	v_cndmask_b32_e64 v6, v24, v23, s[4:5]
	v_cndmask_b32_e64 v7, v38, v37, s[4:5]
	v_add_u32_e32 v8, 1, v6
	v_add_u32_e32 v6, -1, v7
	v_min_u32_e32 v6, v8, v6
	v_lshl_add_u32 v6, v6, 3, v33
	ds_read_b64 v[6:7], v6
	v_cndmask_b32_e64 v12, v8, v24, s[4:5]
	v_cndmask_b32_e64 v13, v23, v8, s[4:5]
	v_cmp_lt_u32_e32 vcc, v12, v38
	s_mov_b64 s[30:31], -1
	s_waitcnt lgkmcnt(0)
	v_cndmask_b32_e64 v14, v7, v5, s[4:5]
	v_cndmask_b32_e64 v15, v6, v4, s[4:5]
	;; [unrolled: 1-line block ×4, first 2 shown]
	s_mov_b64 s[26:27], -1
	s_and_saveexec_b64 s[34:35], vcc
	s_cbranch_execz .LBB749_219
; %bb.212:
	v_cmp_lt_u32_e64 s[26:27], v13, v37
	s_xor_b64 s[2:3], s[10:11], -1
	s_and_b64 s[2:3], s[26:27], s[2:3]
	s_and_saveexec_b64 s[36:37], s[2:3]
	s_cbranch_execz .LBB749_218
; %bb.213:
	v_mul_lo_u32 v8, v14, s20
	v_mul_lo_u32 v9, v15, s21
	v_mad_u64_u32 v[6:7], s[2:3], v15, s20, 0
	v_add3_u32 v7, v7, v9, v8
	v_mul_lo_u32 v10, v16, s20
	v_mul_lo_u32 v11, v22, s21
	v_mad_u64_u32 v[8:9], s[2:3], v22, s20, 0
	v_add3_u32 v9, v9, v11, v10
	v_lshl_add_u64 v[6:7], v[6:7], 3, s[22:23]
	v_lshl_add_u64 v[8:9], v[8:9], 3, s[22:23]
	s_mov_b64 s[38:39], 0
	s_mov_b64 s[44:45], s[20:21]
                                        ; implicit-def: $sgpr40_sgpr41
                                        ; implicit-def: $sgpr42_sgpr43
                                        ; implicit-def: $sgpr2_sgpr3
                                        ; implicit-def: $sgpr46_sgpr47
	s_branch .LBB749_215
.LBB749_214:                            ;   in Loop: Header=BB749_215 Depth=1
	s_or_b64 exec, exec, s[50:51]
	s_and_b64 s[50:51], exec, s[42:43]
	s_or_b64 s[38:39], s[50:51], s[38:39]
	s_andn2_b64 s[46:47], s[46:47], exec
	s_and_b64 s[48:49], s[48:49], exec
	s_or_b64 s[46:47], s[46:47], s[48:49]
	s_andn2_b64 s[40:41], s[40:41], exec
	s_and_b64 s[48:49], s[2:3], exec
	s_or_b64 s[40:41], s[40:41], s[48:49]
	s_andn2_b64 exec, exec, s[38:39]
	s_cbranch_execz .LBB749_217
.LBB749_215:                            ; =>This Inner Loop Header: Depth=1
	global_load_dwordx2 v[10:11], v[6:7], off
	global_load_dwordx2 v[24:25], v[8:9], off
	s_andn2_b64 s[50:51], s[2:3], exec
	s_or_b64 s[42:43], s[42:43], exec
	s_waitcnt vmcnt(0)
	v_cmp_ngt_f64_e64 s[2:3], v[10:11], v[24:25]
	v_cmp_lt_f64_e32 vcc, v[10:11], v[24:25]
	s_and_b64 s[48:49], s[2:3], s[46:47]
	s_or_b64 s[48:49], vcc, s[48:49]
	s_xor_b64 s[52:53], vcc, s[2:3]
	s_and_b64 s[2:3], s[48:49], exec
	s_or_b64 s[2:3], s[50:51], s[2:3]
	s_and_saveexec_b64 s[50:51], s[52:53]
	s_cbranch_execz .LBB749_214
; %bb.216:                              ;   in Loop: Header=BB749_215 Depth=1
	s_add_u32 s44, s44, -1
	s_addc_u32 s45, s45, -1
	s_cmp_eq_u64 s[44:45], 0
	s_cselect_b64 s[46:47], -1, 0
	s_andn2_b64 s[42:43], s[42:43], exec
	s_and_b64 s[46:47], s[46:47], exec
	v_lshl_add_u64 v[6:7], v[6:7], 0, 8
	v_lshl_add_u64 v[8:9], v[8:9], 0, 8
	s_andn2_b64 s[2:3], s[2:3], exec
	s_or_b64 s[42:43], s[42:43], s[46:47]
                                        ; implicit-def: $sgpr46_sgpr47
	s_branch .LBB749_214
.LBB749_217:
	s_or_b64 exec, exec, s[38:39]
	s_xor_b64 s[2:3], s[40:41], -1
	s_andn2_b64 s[26:27], s[26:27], exec
	s_and_b64 s[2:3], s[2:3], exec
	s_or_b64 s[26:27], s[26:27], s[2:3]
.LBB749_218:
	s_or_b64 exec, exec, s[36:37]
	s_orn2_b64 s[26:27], s[26:27], exec
.LBB749_219:
	s_or_b64 exec, exec, s[34:35]
	v_cndmask_b32_e64 v6, v12, v13, s[26:27]
	v_cndmask_b32_e64 v7, v38, v37, s[26:27]
	v_add_u32_e32 v8, 1, v6
	v_add_u32_e32 v6, -1, v7
	v_min_u32_e32 v6, v8, v6
	v_lshl_add_u32 v6, v6, 3, v33
	ds_read_b64 v[6:7], v6
	v_cndmask_b32_e64 v39, v8, v12, s[26:27]
	v_cndmask_b32_e64 v40, v13, v8, s[26:27]
	v_cmp_lt_u32_e32 vcc, v39, v38
	s_waitcnt lgkmcnt(0)
	v_cndmask_b32_e64 v10, v7, v14, s[26:27]
	v_cndmask_b32_e64 v17, v6, v15, s[26:27]
	;; [unrolled: 1-line block ×4, first 2 shown]
	s_and_saveexec_b64 s[34:35], vcc
	s_cbranch_execz .LBB749_227
; %bb.220:
	v_cmp_lt_u32_e64 s[30:31], v40, v37
	s_xor_b64 s[2:3], s[10:11], -1
	s_and_b64 s[2:3], s[30:31], s[2:3]
	s_and_saveexec_b64 s[36:37], s[2:3]
	s_cbranch_execz .LBB749_226
; %bb.221:
	v_mul_lo_u32 v8, v10, s20
	v_mul_lo_u32 v9, v17, s21
	v_mad_u64_u32 v[6:7], s[2:3], v17, s20, 0
	v_add3_u32 v7, v7, v9, v8
	v_mul_lo_u32 v12, v11, s20
	v_mul_lo_u32 v13, v23, s21
	v_mad_u64_u32 v[8:9], s[2:3], v23, s20, 0
	v_add3_u32 v9, v9, v13, v12
	v_lshl_add_u64 v[6:7], v[6:7], 3, s[22:23]
	v_lshl_add_u64 v[8:9], v[8:9], 3, s[22:23]
	s_mov_b64 s[38:39], 0
	s_mov_b64 s[44:45], s[20:21]
                                        ; implicit-def: $sgpr40_sgpr41
                                        ; implicit-def: $sgpr42_sgpr43
                                        ; implicit-def: $sgpr2_sgpr3
                                        ; implicit-def: $sgpr46_sgpr47
	s_branch .LBB749_223
.LBB749_222:                            ;   in Loop: Header=BB749_223 Depth=1
	s_or_b64 exec, exec, s[50:51]
	s_and_b64 s[50:51], exec, s[42:43]
	s_or_b64 s[38:39], s[50:51], s[38:39]
	s_andn2_b64 s[46:47], s[46:47], exec
	s_and_b64 s[48:49], s[48:49], exec
	s_or_b64 s[46:47], s[46:47], s[48:49]
	s_andn2_b64 s[40:41], s[40:41], exec
	s_and_b64 s[48:49], s[2:3], exec
	s_or_b64 s[40:41], s[40:41], s[48:49]
	s_andn2_b64 exec, exec, s[38:39]
	s_cbranch_execz .LBB749_225
.LBB749_223:                            ; =>This Inner Loop Header: Depth=1
	global_load_dwordx2 v[12:13], v[6:7], off
	global_load_dwordx2 v[24:25], v[8:9], off
	s_andn2_b64 s[50:51], s[2:3], exec
	s_or_b64 s[42:43], s[42:43], exec
	s_waitcnt vmcnt(0)
	v_cmp_ngt_f64_e64 s[2:3], v[12:13], v[24:25]
	v_cmp_lt_f64_e32 vcc, v[12:13], v[24:25]
	s_and_b64 s[48:49], s[2:3], s[46:47]
	s_or_b64 s[48:49], vcc, s[48:49]
	s_xor_b64 s[52:53], vcc, s[2:3]
	s_and_b64 s[2:3], s[48:49], exec
	s_or_b64 s[2:3], s[50:51], s[2:3]
	s_and_saveexec_b64 s[50:51], s[52:53]
	s_cbranch_execz .LBB749_222
; %bb.224:                              ;   in Loop: Header=BB749_223 Depth=1
	s_add_u32 s44, s44, -1
	s_addc_u32 s45, s45, -1
	s_cmp_eq_u64 s[44:45], 0
	s_cselect_b64 s[46:47], -1, 0
	s_andn2_b64 s[42:43], s[42:43], exec
	s_and_b64 s[46:47], s[46:47], exec
	v_lshl_add_u64 v[6:7], v[6:7], 0, 8
	v_lshl_add_u64 v[8:9], v[8:9], 0, 8
	s_andn2_b64 s[2:3], s[2:3], exec
	s_or_b64 s[42:43], s[42:43], s[46:47]
                                        ; implicit-def: $sgpr46_sgpr47
	s_branch .LBB749_222
.LBB749_225:
	s_or_b64 exec, exec, s[38:39]
	s_xor_b64 s[2:3], s[40:41], -1
	s_andn2_b64 s[30:31], s[30:31], exec
	s_and_b64 s[2:3], s[2:3], exec
	s_or_b64 s[30:31], s[30:31], s[2:3]
.LBB749_226:
	s_or_b64 exec, exec, s[36:37]
	s_orn2_b64 s[30:31], s[30:31], exec
.LBB749_227:
	s_or_b64 exec, exec, s[34:35]
	v_cndmask_b32_e64 v6, v39, v40, s[30:31]
	v_cndmask_b32_e64 v7, v38, v37, s[30:31]
	v_add_u32_e32 v8, 1, v6
	v_add_u32_e32 v6, -1, v7
	v_min_u32_e32 v6, v8, v6
	v_lshl_add_u32 v6, v6, 3, v33
	ds_read_b64 v[6:7], v6
	v_cndmask_b32_e64 v43, v8, v39, s[30:31]
	v_cndmask_b32_e64 v44, v40, v8, s[30:31]
	v_cmp_lt_u32_e32 vcc, v43, v38
	s_mov_b64 s[36:37], -1
	s_waitcnt lgkmcnt(0)
	v_cndmask_b32_e64 v12, v7, v10, s[30:31]
	v_cndmask_b32_e64 v24, v6, v17, s[30:31]
	;; [unrolled: 1-line block ×4, first 2 shown]
	s_mov_b64 s[34:35], -1
	s_and_saveexec_b64 s[38:39], vcc
	s_cbranch_execz .LBB749_235
; %bb.228:
	v_cmp_lt_u32_e64 s[34:35], v44, v37
	s_xor_b64 s[2:3], s[10:11], -1
	s_and_b64 s[2:3], s[34:35], s[2:3]
	s_and_saveexec_b64 s[40:41], s[2:3]
	s_cbranch_execz .LBB749_234
; %bb.229:
	v_mul_lo_u32 v8, v12, s20
	v_mul_lo_u32 v9, v24, s21
	v_mad_u64_u32 v[6:7], s[2:3], v24, s20, 0
	v_add3_u32 v7, v7, v9, v8
	v_mul_lo_u32 v39, v13, s20
	v_mul_lo_u32 v40, v25, s21
	v_mad_u64_u32 v[8:9], s[2:3], v25, s20, 0
	v_add3_u32 v9, v9, v40, v39
	v_lshl_add_u64 v[6:7], v[6:7], 3, s[22:23]
	v_lshl_add_u64 v[8:9], v[8:9], 3, s[22:23]
	s_mov_b64 s[42:43], 0
	s_mov_b64 s[48:49], s[20:21]
                                        ; implicit-def: $sgpr44_sgpr45
                                        ; implicit-def: $sgpr46_sgpr47
                                        ; implicit-def: $sgpr2_sgpr3
                                        ; implicit-def: $sgpr50_sgpr51
	s_branch .LBB749_231
.LBB749_230:                            ;   in Loop: Header=BB749_231 Depth=1
	s_or_b64 exec, exec, s[54:55]
	s_and_b64 s[54:55], exec, s[46:47]
	s_or_b64 s[42:43], s[54:55], s[42:43]
	s_andn2_b64 s[50:51], s[50:51], exec
	s_and_b64 s[52:53], s[52:53], exec
	s_or_b64 s[50:51], s[50:51], s[52:53]
	s_andn2_b64 s[44:45], s[44:45], exec
	s_and_b64 s[52:53], s[2:3], exec
	s_or_b64 s[44:45], s[44:45], s[52:53]
	s_andn2_b64 exec, exec, s[42:43]
	s_cbranch_execz .LBB749_233
.LBB749_231:                            ; =>This Inner Loop Header: Depth=1
	global_load_dwordx2 v[40:41], v[6:7], off
	global_load_dwordx2 v[46:47], v[8:9], off
	s_andn2_b64 s[54:55], s[2:3], exec
	s_or_b64 s[46:47], s[46:47], exec
	s_waitcnt vmcnt(0)
	v_cmp_ngt_f64_e64 s[2:3], v[40:41], v[46:47]
	v_cmp_lt_f64_e32 vcc, v[40:41], v[46:47]
	s_and_b64 s[52:53], s[2:3], s[50:51]
	s_or_b64 s[52:53], vcc, s[52:53]
	s_xor_b64 s[56:57], vcc, s[2:3]
	s_and_b64 s[2:3], s[52:53], exec
	s_or_b64 s[2:3], s[54:55], s[2:3]
	s_and_saveexec_b64 s[54:55], s[56:57]
	s_cbranch_execz .LBB749_230
; %bb.232:                              ;   in Loop: Header=BB749_231 Depth=1
	s_add_u32 s48, s48, -1
	s_addc_u32 s49, s49, -1
	s_cmp_eq_u64 s[48:49], 0
	s_cselect_b64 s[50:51], -1, 0
	s_andn2_b64 s[46:47], s[46:47], exec
	s_and_b64 s[50:51], s[50:51], exec
	v_lshl_add_u64 v[6:7], v[6:7], 0, 8
	v_lshl_add_u64 v[8:9], v[8:9], 0, 8
	s_andn2_b64 s[2:3], s[2:3], exec
	s_or_b64 s[46:47], s[46:47], s[50:51]
                                        ; implicit-def: $sgpr50_sgpr51
	s_branch .LBB749_230
.LBB749_233:
	s_or_b64 exec, exec, s[42:43]
	s_xor_b64 s[2:3], s[44:45], -1
	s_andn2_b64 s[34:35], s[34:35], exec
	s_and_b64 s[2:3], s[2:3], exec
	s_or_b64 s[34:35], s[34:35], s[2:3]
.LBB749_234:
	s_or_b64 exec, exec, s[40:41]
	s_orn2_b64 s[34:35], s[34:35], exec
.LBB749_235:
	s_or_b64 exec, exec, s[38:39]
	v_cndmask_b32_e64 v6, v43, v44, s[34:35]
	v_cndmask_b32_e64 v7, v38, v37, s[34:35]
	v_add_u32_e32 v8, 1, v6
	v_add_u32_e32 v6, -1, v7
	v_min_u32_e32 v6, v8, v6
	v_lshl_add_u32 v6, v6, 3, v33
	ds_read_b64 v[6:7], v6
	v_cndmask_b32_e64 v47, v8, v43, s[34:35]
	v_cndmask_b32_e64 v48, v44, v8, s[34:35]
	v_cmp_lt_u32_e32 vcc, v47, v38
	s_waitcnt lgkmcnt(0)
	v_cndmask_b32_e64 v39, v7, v12, s[34:35]
	v_cndmask_b32_e64 v40, v6, v24, s[34:35]
	;; [unrolled: 1-line block ×4, first 2 shown]
	s_and_saveexec_b64 s[38:39], vcc
	s_cbranch_execz .LBB749_243
; %bb.236:
	v_cmp_lt_u32_e64 s[36:37], v48, v37
	s_xor_b64 s[2:3], s[10:11], -1
	s_and_b64 s[2:3], s[36:37], s[2:3]
	s_and_saveexec_b64 s[40:41], s[2:3]
	s_cbranch_execz .LBB749_242
; %bb.237:
	v_mul_lo_u32 v8, v39, s20
	v_mul_lo_u32 v9, v40, s21
	v_mad_u64_u32 v[6:7], s[2:3], v40, s20, 0
	v_add3_u32 v7, v7, v9, v8
	v_mul_lo_u32 v43, v41, s20
	v_mul_lo_u32 v44, v42, s21
	v_mad_u64_u32 v[8:9], s[2:3], v42, s20, 0
	v_add3_u32 v9, v9, v44, v43
	v_lshl_add_u64 v[6:7], v[6:7], 3, s[22:23]
	v_lshl_add_u64 v[8:9], v[8:9], 3, s[22:23]
	s_mov_b64 s[42:43], 0
	s_mov_b64 s[48:49], s[20:21]
                                        ; implicit-def: $sgpr44_sgpr45
                                        ; implicit-def: $sgpr46_sgpr47
                                        ; implicit-def: $sgpr2_sgpr3
                                        ; implicit-def: $sgpr50_sgpr51
	s_branch .LBB749_239
.LBB749_238:                            ;   in Loop: Header=BB749_239 Depth=1
	s_or_b64 exec, exec, s[54:55]
	s_and_b64 s[54:55], exec, s[46:47]
	s_or_b64 s[42:43], s[54:55], s[42:43]
	s_andn2_b64 s[50:51], s[50:51], exec
	s_and_b64 s[52:53], s[52:53], exec
	s_or_b64 s[50:51], s[50:51], s[52:53]
	s_andn2_b64 s[44:45], s[44:45], exec
	s_and_b64 s[52:53], s[2:3], exec
	s_or_b64 s[44:45], s[44:45], s[52:53]
	s_andn2_b64 exec, exec, s[42:43]
	s_cbranch_execz .LBB749_241
.LBB749_239:                            ; =>This Inner Loop Header: Depth=1
	global_load_dwordx2 v[44:45], v[6:7], off
	global_load_dwordx2 v[50:51], v[8:9], off
	s_andn2_b64 s[54:55], s[2:3], exec
	s_or_b64 s[46:47], s[46:47], exec
	s_waitcnt vmcnt(0)
	v_cmp_ngt_f64_e64 s[2:3], v[44:45], v[50:51]
	v_cmp_lt_f64_e32 vcc, v[44:45], v[50:51]
	s_and_b64 s[52:53], s[2:3], s[50:51]
	s_or_b64 s[52:53], vcc, s[52:53]
	s_xor_b64 s[56:57], vcc, s[2:3]
	s_and_b64 s[2:3], s[52:53], exec
	s_or_b64 s[2:3], s[54:55], s[2:3]
	s_and_saveexec_b64 s[54:55], s[56:57]
	s_cbranch_execz .LBB749_238
; %bb.240:                              ;   in Loop: Header=BB749_239 Depth=1
	s_add_u32 s48, s48, -1
	s_addc_u32 s49, s49, -1
	s_cmp_eq_u64 s[48:49], 0
	s_cselect_b64 s[50:51], -1, 0
	s_andn2_b64 s[46:47], s[46:47], exec
	s_and_b64 s[50:51], s[50:51], exec
	v_lshl_add_u64 v[6:7], v[6:7], 0, 8
	v_lshl_add_u64 v[8:9], v[8:9], 0, 8
	s_andn2_b64 s[2:3], s[2:3], exec
	s_or_b64 s[46:47], s[46:47], s[50:51]
                                        ; implicit-def: $sgpr50_sgpr51
	s_branch .LBB749_238
.LBB749_241:
	s_or_b64 exec, exec, s[42:43]
	s_xor_b64 s[2:3], s[44:45], -1
	s_andn2_b64 s[36:37], s[36:37], exec
	s_and_b64 s[2:3], s[2:3], exec
	s_or_b64 s[36:37], s[36:37], s[2:3]
.LBB749_242:
	s_or_b64 exec, exec, s[40:41]
	s_orn2_b64 s[36:37], s[36:37], exec
.LBB749_243:
	s_or_b64 exec, exec, s[38:39]
	v_cndmask_b32_e64 v6, v47, v48, s[36:37]
	v_cndmask_b32_e64 v7, v38, v37, s[36:37]
	v_add_u32_e32 v8, 1, v6
	v_add_u32_e32 v6, -1, v7
	v_min_u32_e32 v6, v8, v6
	v_lshl_add_u32 v6, v6, 3, v33
	ds_read_b64 v[6:7], v6
	v_cndmask_b32_e64 v49, v8, v47, s[36:37]
	v_cndmask_b32_e64 v53, v48, v8, s[36:37]
	v_cmp_lt_u32_e32 vcc, v49, v38
	s_mov_b64 s[38:39], -1
	s_waitcnt lgkmcnt(0)
	v_cndmask_b32_e64 v43, v7, v39, s[36:37]
	v_cndmask_b32_e64 v44, v6, v40, s[36:37]
	;; [unrolled: 1-line block ×4, first 2 shown]
	s_mov_b64 s[40:41], -1
	s_and_saveexec_b64 s[42:43], vcc
	s_cbranch_execz .LBB749_251
; %bb.244:
	v_cmp_lt_u32_e64 s[40:41], v53, v37
	s_xor_b64 s[2:3], s[10:11], -1
	s_and_b64 s[2:3], s[40:41], s[2:3]
	s_and_saveexec_b64 s[44:45], s[2:3]
	s_cbranch_execz .LBB749_250
; %bb.245:
	v_mul_lo_u32 v8, v43, s20
	v_mul_lo_u32 v9, v44, s21
	v_mad_u64_u32 v[6:7], s[2:3], v44, s20, 0
	v_add3_u32 v7, v7, v9, v8
	v_mul_lo_u32 v47, v45, s20
	v_mul_lo_u32 v48, v46, s21
	v_mad_u64_u32 v[8:9], s[2:3], v46, s20, 0
	v_add3_u32 v9, v9, v48, v47
	v_lshl_add_u64 v[6:7], v[6:7], 3, s[22:23]
	v_lshl_add_u64 v[8:9], v[8:9], 3, s[22:23]
	s_mov_b64 s[46:47], 0
	s_mov_b64 s[52:53], s[20:21]
                                        ; implicit-def: $sgpr48_sgpr49
                                        ; implicit-def: $sgpr50_sgpr51
                                        ; implicit-def: $sgpr2_sgpr3
                                        ; implicit-def: $sgpr54_sgpr55
	s_branch .LBB749_247
.LBB749_246:                            ;   in Loop: Header=BB749_247 Depth=1
	s_or_b64 exec, exec, s[58:59]
	s_and_b64 s[58:59], exec, s[50:51]
	s_or_b64 s[46:47], s[58:59], s[46:47]
	s_andn2_b64 s[54:55], s[54:55], exec
	s_and_b64 s[56:57], s[56:57], exec
	s_or_b64 s[54:55], s[54:55], s[56:57]
	s_andn2_b64 s[48:49], s[48:49], exec
	s_and_b64 s[56:57], s[2:3], exec
	s_or_b64 s[48:49], s[48:49], s[56:57]
	s_andn2_b64 exec, exec, s[46:47]
	s_cbranch_execz .LBB749_249
.LBB749_247:                            ; =>This Inner Loop Header: Depth=1
	global_load_dwordx2 v[50:51], v[6:7], off
	global_load_dwordx2 v[54:55], v[8:9], off
	s_andn2_b64 s[58:59], s[2:3], exec
	s_or_b64 s[50:51], s[50:51], exec
	s_waitcnt vmcnt(0)
	v_cmp_ngt_f64_e64 s[2:3], v[50:51], v[54:55]
	v_cmp_lt_f64_e32 vcc, v[50:51], v[54:55]
	s_and_b64 s[56:57], s[2:3], s[54:55]
	s_or_b64 s[56:57], vcc, s[56:57]
	s_xor_b64 s[60:61], vcc, s[2:3]
	s_and_b64 s[2:3], s[56:57], exec
	s_or_b64 s[2:3], s[58:59], s[2:3]
	s_and_saveexec_b64 s[58:59], s[60:61]
	s_cbranch_execz .LBB749_246
; %bb.248:                              ;   in Loop: Header=BB749_247 Depth=1
	s_add_u32 s52, s52, -1
	s_addc_u32 s53, s53, -1
	s_cmp_eq_u64 s[52:53], 0
	s_cselect_b64 s[54:55], -1, 0
	s_andn2_b64 s[50:51], s[50:51], exec
	s_and_b64 s[54:55], s[54:55], exec
	v_lshl_add_u64 v[6:7], v[6:7], 0, 8
	v_lshl_add_u64 v[8:9], v[8:9], 0, 8
	s_andn2_b64 s[2:3], s[2:3], exec
	s_or_b64 s[50:51], s[50:51], s[54:55]
                                        ; implicit-def: $sgpr54_sgpr55
	s_branch .LBB749_246
.LBB749_249:
	s_or_b64 exec, exec, s[46:47]
	s_xor_b64 s[2:3], s[48:49], -1
	s_andn2_b64 s[40:41], s[40:41], exec
	s_and_b64 s[2:3], s[2:3], exec
	s_or_b64 s[40:41], s[40:41], s[2:3]
.LBB749_250:
	s_or_b64 exec, exec, s[44:45]
	s_orn2_b64 s[40:41], s[40:41], exec
.LBB749_251:
	s_or_b64 exec, exec, s[42:43]
	v_cndmask_b32_e64 v6, v49, v53, s[40:41]
	v_cndmask_b32_e64 v7, v38, v37, s[40:41]
	v_add_u32_e32 v8, 1, v6
	v_add_u32_e32 v6, -1, v7
	v_min_u32_e32 v6, v8, v6
	v_lshl_add_u32 v6, v6, 3, v33
	ds_read_b64 v[6:7], v6
	v_cndmask_b32_e64 v50, v8, v49, s[40:41]
	v_cndmask_b32_e64 v49, v53, v8, s[40:41]
	v_cmp_lt_u32_e32 vcc, v50, v38
	s_waitcnt lgkmcnt(0)
	v_cndmask_b32_e64 v47, v7, v43, s[40:41]
	v_cndmask_b32_e64 v48, v6, v44, s[40:41]
	;; [unrolled: 1-line block ×4, first 2 shown]
	s_and_saveexec_b64 s[42:43], vcc
	s_cbranch_execz .LBB749_259
; %bb.252:
	v_cmp_lt_u32_e64 s[38:39], v49, v37
	s_xor_b64 s[2:3], s[10:11], -1
	s_and_b64 s[2:3], s[38:39], s[2:3]
	s_and_saveexec_b64 s[44:45], s[2:3]
	s_cbranch_execz .LBB749_258
; %bb.253:
	v_mul_lo_u32 v8, v47, s20
	v_mul_lo_u32 v9, v48, s21
	v_mad_u64_u32 v[6:7], s[2:3], v48, s20, 0
	v_add3_u32 v7, v7, v9, v8
	v_mul_lo_u32 v53, v51, s20
	v_mul_lo_u32 v54, v52, s21
	v_mad_u64_u32 v[8:9], s[2:3], v52, s20, 0
	v_add3_u32 v9, v9, v54, v53
	v_lshl_add_u64 v[6:7], v[6:7], 3, s[22:23]
	v_lshl_add_u64 v[8:9], v[8:9], 3, s[22:23]
	s_mov_b64 s[46:47], 0
	s_mov_b64 s[52:53], s[20:21]
                                        ; implicit-def: $sgpr48_sgpr49
                                        ; implicit-def: $sgpr50_sgpr51
                                        ; implicit-def: $sgpr2_sgpr3
                                        ; implicit-def: $sgpr54_sgpr55
	s_branch .LBB749_255
.LBB749_254:                            ;   in Loop: Header=BB749_255 Depth=1
	s_or_b64 exec, exec, s[58:59]
	s_and_b64 s[58:59], exec, s[50:51]
	s_or_b64 s[46:47], s[58:59], s[46:47]
	s_andn2_b64 s[54:55], s[54:55], exec
	s_and_b64 s[56:57], s[56:57], exec
	s_or_b64 s[54:55], s[54:55], s[56:57]
	s_andn2_b64 s[48:49], s[48:49], exec
	s_and_b64 s[56:57], s[2:3], exec
	s_or_b64 s[48:49], s[48:49], s[56:57]
	s_andn2_b64 exec, exec, s[46:47]
	s_cbranch_execz .LBB749_257
.LBB749_255:                            ; =>This Inner Loop Header: Depth=1
	global_load_dwordx2 v[54:55], v[6:7], off
	global_load_dwordx2 v[56:57], v[8:9], off
	s_andn2_b64 s[58:59], s[2:3], exec
	s_or_b64 s[50:51], s[50:51], exec
	s_waitcnt vmcnt(0)
	v_cmp_ngt_f64_e64 s[2:3], v[54:55], v[56:57]
	v_cmp_lt_f64_e32 vcc, v[54:55], v[56:57]
	s_and_b64 s[56:57], s[2:3], s[54:55]
	s_or_b64 s[56:57], vcc, s[56:57]
	s_xor_b64 s[60:61], vcc, s[2:3]
	s_and_b64 s[2:3], s[56:57], exec
	s_or_b64 s[2:3], s[58:59], s[2:3]
	s_and_saveexec_b64 s[58:59], s[60:61]
	s_cbranch_execz .LBB749_254
; %bb.256:                              ;   in Loop: Header=BB749_255 Depth=1
	s_add_u32 s52, s52, -1
	s_addc_u32 s53, s53, -1
	s_cmp_eq_u64 s[52:53], 0
	s_cselect_b64 s[54:55], -1, 0
	s_andn2_b64 s[50:51], s[50:51], exec
	s_and_b64 s[54:55], s[54:55], exec
	v_lshl_add_u64 v[6:7], v[6:7], 0, 8
	v_lshl_add_u64 v[8:9], v[8:9], 0, 8
	s_andn2_b64 s[2:3], s[2:3], exec
	s_or_b64 s[50:51], s[50:51], s[54:55]
                                        ; implicit-def: $sgpr54_sgpr55
	s_branch .LBB749_254
.LBB749_257:
	s_or_b64 exec, exec, s[46:47]
	s_xor_b64 s[2:3], s[48:49], -1
	s_andn2_b64 s[38:39], s[38:39], exec
	s_and_b64 s[2:3], s[2:3], exec
	s_or_b64 s[38:39], s[38:39], s[2:3]
.LBB749_258:
	s_or_b64 exec, exec, s[44:45]
	s_orn2_b64 s[38:39], s[38:39], exec
.LBB749_259:
	s_or_b64 exec, exec, s[42:43]
	v_cndmask_b32_e64 v11, v10, v11, s[30:31]
	v_cndmask_b32_e64 v10, v17, v23, s[30:31]
	;; [unrolled: 1-line block ×8, first 2 shown]
	v_add_u32_e32 v24, 1, v14
	v_add_u32_e32 v14, -1, v15
	v_min_u32_e32 v14, v24, v14
	v_lshl_add_u32 v14, v14, 3, v33
	ds_read_b64 v[22:23], v14
	v_cndmask_b32_e64 v25, v24, v50, s[38:39]
	v_cndmask_b32_e64 v9, v43, v45, s[40:41]
	;; [unrolled: 1-line block ×9, first 2 shown]
	s_waitcnt lgkmcnt(0)
	v_cndmask_b32_e64 v5, v51, v23, s[38:39]
	v_cndmask_b32_e64 v4, v52, v22, s[38:39]
	v_cmp_lt_u32_e32 vcc, v25, v38
	s_and_saveexec_b64 s[4:5], vcc
	s_cbranch_execz .LBB749_267
; %bb.260:
	v_cndmask_b32_e64 v39, v22, v48, s[38:39]
	v_cndmask_b32_e64 v22, v49, v24, s[38:39]
	;; [unrolled: 1-line block ×3, first 2 shown]
	v_cmp_ge_u32_e32 vcc, v22, v37
	s_nor_b64 s[2:3], vcc, s[10:11]
	s_nop 0
	v_cndmask_b32_e32 v23, v5, v38, vcc
	v_cndmask_b32_e32 v22, v4, v39, vcc
	s_and_saveexec_b64 s[26:27], s[2:3]
	s_cbranch_execz .LBB749_266
; %bb.261:
	v_mul_lo_u32 v24, v38, s20
	v_mul_lo_u32 v25, v39, s21
	v_mad_u64_u32 v[22:23], s[2:3], v39, s20, 0
	v_add3_u32 v23, v23, v25, v24
	v_mul_lo_u32 v37, v5, s20
	v_mul_lo_u32 v40, v4, s21
	v_mad_u64_u32 v[24:25], s[2:3], v4, s20, 0
	v_add3_u32 v25, v25, v40, v37
	v_lshl_add_u64 v[22:23], v[22:23], 3, s[22:23]
	v_lshl_add_u64 v[24:25], v[24:25], 3, s[22:23]
	s_mov_b64 s[30:31], 0
	s_mov_b64 s[38:39], s[20:21]
                                        ; implicit-def: $sgpr34_sgpr35
                                        ; implicit-def: $sgpr36_sgpr37
                                        ; implicit-def: $sgpr2_sgpr3
                                        ; implicit-def: $sgpr40_sgpr41
	s_branch .LBB749_263
.LBB749_262:                            ;   in Loop: Header=BB749_263 Depth=1
	s_or_b64 exec, exec, s[44:45]
	s_and_b64 s[44:45], exec, s[36:37]
	s_or_b64 s[30:31], s[44:45], s[30:31]
	s_andn2_b64 s[40:41], s[40:41], exec
	s_and_b64 s[42:43], s[42:43], exec
	s_or_b64 s[40:41], s[40:41], s[42:43]
	s_andn2_b64 s[34:35], s[34:35], exec
	s_and_b64 s[42:43], s[2:3], exec
	s_or_b64 s[34:35], s[34:35], s[42:43]
	s_andn2_b64 exec, exec, s[30:31]
	s_cbranch_execz .LBB749_265
.LBB749_263:                            ; =>This Inner Loop Header: Depth=1
	global_load_dwordx2 v[40:41], v[22:23], off
	global_load_dwordx2 v[42:43], v[24:25], off
	s_andn2_b64 s[44:45], s[2:3], exec
	s_or_b64 s[36:37], s[36:37], exec
	s_waitcnt vmcnt(0)
	v_cmp_ngt_f64_e64 s[2:3], v[40:41], v[42:43]
	v_cmp_lt_f64_e32 vcc, v[40:41], v[42:43]
	s_and_b64 s[42:43], s[2:3], s[40:41]
	s_or_b64 s[42:43], vcc, s[42:43]
	s_xor_b64 s[46:47], vcc, s[2:3]
	s_and_b64 s[2:3], s[42:43], exec
	s_or_b64 s[2:3], s[44:45], s[2:3]
	s_and_saveexec_b64 s[44:45], s[46:47]
	s_cbranch_execz .LBB749_262
; %bb.264:                              ;   in Loop: Header=BB749_263 Depth=1
	s_add_u32 s38, s38, -1
	s_addc_u32 s39, s39, -1
	s_cmp_eq_u64 s[38:39], 0
	s_cselect_b64 s[40:41], -1, 0
	s_andn2_b64 s[36:37], s[36:37], exec
	s_and_b64 s[40:41], s[40:41], exec
	v_lshl_add_u64 v[22:23], v[22:23], 0, 8
	v_lshl_add_u64 v[24:25], v[24:25], 0, 8
	s_andn2_b64 s[2:3], s[2:3], exec
	s_or_b64 s[36:37], s[36:37], s[40:41]
                                        ; implicit-def: $sgpr40_sgpr41
	s_branch .LBB749_262
.LBB749_265:
	s_or_b64 exec, exec, s[30:31]
	v_cndmask_b32_e64 v23, v5, v38, s[34:35]
	v_cndmask_b32_e64 v22, v4, v39, s[34:35]
.LBB749_266:
	s_or_b64 exec, exec, s[26:27]
	v_mov_b64_e32 v[4:5], v[22:23]
.LBB749_267:
	s_or_b64 exec, exec, s[4:5]
.LBB749_268:
	s_or_b64 exec, exec, s[12:13]
	v_and_b32_e32 v41, 0x3e0, v35
	v_or_b32_e32 v22, 16, v41
	v_min_u32_e32 v37, v34, v22
	v_add_u32_e32 v22, 16, v37
	v_min_u32_e32 v38, v34, v22
	v_and_b32_e32 v22, 24, v35
	v_min_u32_e32 v42, v34, v22
	v_sub_u32_e32 v22, v37, v41
	v_sub_u32_e32 v23, v38, v37
	v_sub_u32_e64 v40, v42, v23 clamp
	v_min_u32_e32 v43, v42, v22
	v_lshl_add_u32 v39, v41, 3, v33
	v_cmp_lt_u32_e32 vcc, v40, v43
	; wave barrier
	ds_write_b128 v36, v[14:17]
	ds_write_b128 v36, v[10:13] offset:16
	ds_write_b128 v36, v[6:9] offset:32
	;; [unrolled: 1-line block ×3, first 2 shown]
	; wave barrier
	s_and_saveexec_b64 s[4:5], vcc
	s_cbranch_execz .LBB749_278
; %bb.269:
	v_lshlrev_b32_e32 v22, 3, v37
	v_lshlrev_b32_e32 v23, 3, v42
	v_add3_u32 v44, v33, v22, v23
	s_lshl_b64 s[26:27], s[20:21], 3
	s_mov_b64 s[12:13], 0
	s_branch .LBB749_272
.LBB749_270:                            ;   in Loop: Header=BB749_272 Depth=1
	s_or_b64 exec, exec, s[34:35]
.LBB749_271:                            ;   in Loop: Header=BB749_272 Depth=1
	v_add_u32_e32 v22, 1, v45
	v_cndmask_b32_e64 v43, v43, v45, s[30:31]
	v_cndmask_b32_e64 v40, v22, v40, s[30:31]
	v_cmp_ge_u32_e32 vcc, v40, v43
	s_or_b64 s[12:13], vcc, s[12:13]
	s_andn2_b64 exec, exec, s[12:13]
	s_cbranch_execz .LBB749_277
.LBB749_272:                            ; =>This Loop Header: Depth=1
                                        ;     Child Loop BB749_275 Depth 2
	v_add_u32_e32 v22, v43, v40
	v_lshrrev_b32_e32 v45, 1, v22
	s_and_b64 vcc, exec, s[0:1]
	s_mov_b64 s[30:31], 0
	s_cbranch_vccnz .LBB749_271
; %bb.273:                              ;   in Loop: Header=BB749_272 Depth=1
	v_not_b32_e32 v22, v45
	v_lshl_add_u32 v22, v22, 3, v44
	ds_read_b64 v[22:23], v22
	v_lshl_add_u32 v46, v45, 3, v39
	ds_read_b64 v[46:47], v46
	v_mov_b64_e32 v[24:25], s[22:23]
	s_mov_b64 s[34:35], 0
	s_waitcnt lgkmcnt(1)
	v_mul_lo_u32 v48, s26, v23
	v_mul_lo_u32 v49, s27, v22
	v_mad_u64_u32 v[22:23], s[2:3], s26, v22, v[24:25]
	v_add3_u32 v23, v49, v23, v48
	s_waitcnt lgkmcnt(0)
	v_mul_lo_u32 v47, s26, v47
	v_mul_lo_u32 v48, s27, v46
	v_mad_u64_u32 v[24:25], s[2:3], s26, v46, v[24:25]
	v_add3_u32 v25, v48, v25, v47
	s_mov_b64 s[38:39], s[20:21]
                                        ; implicit-def: $sgpr30_sgpr31
                                        ; implicit-def: $sgpr36_sgpr37
                                        ; implicit-def: $sgpr2_sgpr3
                                        ; implicit-def: $sgpr40_sgpr41
	s_branch .LBB749_275
.LBB749_274:                            ;   in Loop: Header=BB749_275 Depth=2
	s_or_b64 exec, exec, s[44:45]
	s_and_b64 s[44:45], exec, s[36:37]
	s_or_b64 s[34:35], s[44:45], s[34:35]
	s_andn2_b64 s[40:41], s[40:41], exec
	s_and_b64 s[42:43], s[42:43], exec
	s_or_b64 s[40:41], s[40:41], s[42:43]
	s_andn2_b64 s[30:31], s[30:31], exec
	s_and_b64 s[42:43], s[2:3], exec
	s_or_b64 s[30:31], s[30:31], s[42:43]
	s_andn2_b64 exec, exec, s[34:35]
	s_cbranch_execz .LBB749_270
.LBB749_275:                            ;   Parent Loop BB749_272 Depth=1
                                        ; =>  This Inner Loop Header: Depth=2
	global_load_dwordx2 v[46:47], v[22:23], off
	global_load_dwordx2 v[48:49], v[24:25], off
	s_andn2_b64 s[44:45], s[2:3], exec
	s_or_b64 s[36:37], s[36:37], exec
	s_waitcnt vmcnt(0)
	v_cmp_ngt_f64_e64 s[2:3], v[46:47], v[48:49]
	v_cmp_lt_f64_e32 vcc, v[46:47], v[48:49]
	s_and_b64 s[42:43], s[2:3], s[40:41]
	s_or_b64 s[42:43], vcc, s[42:43]
	s_xor_b64 s[46:47], vcc, s[2:3]
	s_and_b64 s[2:3], s[42:43], exec
	s_or_b64 s[2:3], s[44:45], s[2:3]
	s_and_saveexec_b64 s[44:45], s[46:47]
	s_cbranch_execz .LBB749_274
; %bb.276:                              ;   in Loop: Header=BB749_275 Depth=2
	s_add_u32 s38, s38, -1
	s_addc_u32 s39, s39, -1
	s_cmp_eq_u64 s[38:39], 0
	s_cselect_b64 s[40:41], -1, 0
	s_andn2_b64 s[36:37], s[36:37], exec
	s_and_b64 s[40:41], s[40:41], exec
	v_lshl_add_u64 v[22:23], v[22:23], 0, 8
	v_lshl_add_u64 v[24:25], v[24:25], 0, 8
	s_andn2_b64 s[2:3], s[2:3], exec
	s_or_b64 s[36:37], s[36:37], s[40:41]
                                        ; implicit-def: $sgpr40_sgpr41
	s_branch .LBB749_274
.LBB749_277:
	s_or_b64 exec, exec, s[12:13]
.LBB749_278:
	s_or_b64 exec, exec, s[4:5]
	v_add_u32_e32 v22, v37, v42
	v_add_u32_e32 v23, v40, v41
	v_sub_u32_e32 v24, v22, v40
	v_cmp_le_u32_e32 vcc, v23, v37
	v_cmp_le_u32_e64 s[2:3], v24, v38
	s_or_b64 s[2:3], vcc, s[2:3]
	s_and_saveexec_b64 s[12:13], s[2:3]
	s_cbranch_execz .LBB749_346
; %bb.279:
	v_cmp_ge_u32_e32 vcc, v23, v37
	v_cmp_lt_u32_e64 s[2:3], v23, v37
                                        ; implicit-def: $vgpr2_vgpr3
	s_and_saveexec_b64 s[4:5], s[2:3]
; %bb.280:
	v_lshl_add_u32 v2, v40, 3, v39
	ds_read_b64 v[2:3], v2
; %bb.281:
	s_or_b64 exec, exec, s[4:5]
	v_cmp_ge_u32_e64 s[2:3], v24, v38
	v_cmp_lt_u32_e64 s[4:5], v24, v38
                                        ; implicit-def: $vgpr4_vgpr5
	s_and_saveexec_b64 s[26:27], s[4:5]
; %bb.282:
	v_lshl_add_u32 v4, v24, 3, v33
	ds_read_b64 v[4:5], v4
; %bb.283:
	s_or_b64 exec, exec, s[26:27]
	s_or_b64 s[4:5], vcc, s[2:3]
	s_nor_b64 s[30:31], s[4:5], s[10:11]
	s_xor_b64 s[4:5], vcc, -1
	s_or_b64 s[4:5], s[2:3], s[4:5]
	s_and_saveexec_b64 s[26:27], s[30:31]
	s_cbranch_execz .LBB749_289
; %bb.284:
	s_waitcnt lgkmcnt(0)
	v_mul_lo_u32 v8, v5, s20
	v_mul_lo_u32 v9, v4, s21
	v_mad_u64_u32 v[6:7], s[2:3], v4, s20, 0
	v_add3_u32 v7, v7, v9, v8
	v_mul_lo_u32 v10, v3, s20
	v_mul_lo_u32 v11, v2, s21
	v_mad_u64_u32 v[8:9], s[2:3], v2, s20, 0
	v_add3_u32 v9, v9, v11, v10
	v_lshl_add_u64 v[6:7], v[6:7], 3, s[22:23]
	v_lshl_add_u64 v[8:9], v[8:9], 3, s[22:23]
	s_mov_b64 s[30:31], 0
	s_mov_b64 s[38:39], s[20:21]
                                        ; implicit-def: $sgpr34_sgpr35
                                        ; implicit-def: $sgpr36_sgpr37
                                        ; implicit-def: $sgpr2_sgpr3
                                        ; implicit-def: $sgpr40_sgpr41
	s_branch .LBB749_286
.LBB749_285:                            ;   in Loop: Header=BB749_286 Depth=1
	s_or_b64 exec, exec, s[44:45]
	s_and_b64 s[44:45], exec, s[36:37]
	s_or_b64 s[30:31], s[44:45], s[30:31]
	s_andn2_b64 s[40:41], s[40:41], exec
	s_and_b64 s[42:43], s[42:43], exec
	s_or_b64 s[40:41], s[40:41], s[42:43]
	s_andn2_b64 s[34:35], s[34:35], exec
	s_and_b64 s[42:43], s[2:3], exec
	s_or_b64 s[34:35], s[34:35], s[42:43]
	s_andn2_b64 exec, exec, s[30:31]
	s_cbranch_execz .LBB749_288
.LBB749_286:                            ; =>This Inner Loop Header: Depth=1
	global_load_dwordx2 v[10:11], v[6:7], off
	global_load_dwordx2 v[12:13], v[8:9], off
	s_andn2_b64 s[44:45], s[2:3], exec
	s_or_b64 s[36:37], s[36:37], exec
	s_waitcnt vmcnt(0)
	v_cmp_ngt_f64_e64 s[2:3], v[10:11], v[12:13]
	v_cmp_lt_f64_e32 vcc, v[10:11], v[12:13]
	s_and_b64 s[42:43], s[2:3], s[40:41]
	s_or_b64 s[42:43], vcc, s[42:43]
	s_xor_b64 s[46:47], vcc, s[2:3]
	s_and_b64 s[2:3], s[42:43], exec
	s_or_b64 s[2:3], s[44:45], s[2:3]
	s_and_saveexec_b64 s[44:45], s[46:47]
	s_cbranch_execz .LBB749_285
; %bb.287:                              ;   in Loop: Header=BB749_286 Depth=1
	s_add_u32 s38, s38, -1
	s_addc_u32 s39, s39, -1
	s_cmp_eq_u64 s[38:39], 0
	s_cselect_b64 s[40:41], -1, 0
	s_andn2_b64 s[36:37], s[36:37], exec
	s_and_b64 s[40:41], s[40:41], exec
	v_lshl_add_u64 v[6:7], v[6:7], 0, 8
	v_lshl_add_u64 v[8:9], v[8:9], 0, 8
	s_andn2_b64 s[2:3], s[2:3], exec
	s_or_b64 s[36:37], s[36:37], s[40:41]
                                        ; implicit-def: $sgpr40_sgpr41
	s_branch .LBB749_285
.LBB749_288:
	s_or_b64 exec, exec, s[30:31]
	s_xor_b64 s[2:3], s[34:35], -1
	s_andn2_b64 s[4:5], s[4:5], exec
	s_and_b64 s[2:3], s[2:3], exec
	s_or_b64 s[4:5], s[4:5], s[2:3]
.LBB749_289:
	s_or_b64 exec, exec, s[26:27]
	v_cndmask_b32_e64 v6, v24, v23, s[4:5]
	v_cndmask_b32_e64 v7, v38, v37, s[4:5]
	v_add_u32_e32 v8, 1, v6
	v_add_u32_e32 v6, -1, v7
	v_min_u32_e32 v6, v8, v6
	v_lshl_add_u32 v6, v6, 3, v33
	ds_read_b64 v[6:7], v6
	v_cndmask_b32_e64 v12, v8, v24, s[4:5]
	v_cndmask_b32_e64 v13, v23, v8, s[4:5]
	v_cmp_lt_u32_e32 vcc, v12, v38
	s_mov_b64 s[30:31], -1
	s_waitcnt lgkmcnt(0)
	v_cndmask_b32_e64 v14, v7, v5, s[4:5]
	v_cndmask_b32_e64 v15, v6, v4, s[4:5]
	;; [unrolled: 1-line block ×4, first 2 shown]
	s_mov_b64 s[26:27], -1
	s_and_saveexec_b64 s[34:35], vcc
	s_cbranch_execz .LBB749_297
; %bb.290:
	v_cmp_lt_u32_e64 s[26:27], v13, v37
	s_xor_b64 s[2:3], s[10:11], -1
	s_and_b64 s[2:3], s[26:27], s[2:3]
	s_and_saveexec_b64 s[36:37], s[2:3]
	s_cbranch_execz .LBB749_296
; %bb.291:
	v_mul_lo_u32 v8, v14, s20
	v_mul_lo_u32 v9, v15, s21
	v_mad_u64_u32 v[6:7], s[2:3], v15, s20, 0
	v_add3_u32 v7, v7, v9, v8
	v_mul_lo_u32 v10, v16, s20
	v_mul_lo_u32 v11, v22, s21
	v_mad_u64_u32 v[8:9], s[2:3], v22, s20, 0
	v_add3_u32 v9, v9, v11, v10
	v_lshl_add_u64 v[6:7], v[6:7], 3, s[22:23]
	v_lshl_add_u64 v[8:9], v[8:9], 3, s[22:23]
	s_mov_b64 s[38:39], 0
	s_mov_b64 s[44:45], s[20:21]
                                        ; implicit-def: $sgpr40_sgpr41
                                        ; implicit-def: $sgpr42_sgpr43
                                        ; implicit-def: $sgpr2_sgpr3
                                        ; implicit-def: $sgpr46_sgpr47
	s_branch .LBB749_293
.LBB749_292:                            ;   in Loop: Header=BB749_293 Depth=1
	s_or_b64 exec, exec, s[50:51]
	s_and_b64 s[50:51], exec, s[42:43]
	s_or_b64 s[38:39], s[50:51], s[38:39]
	s_andn2_b64 s[46:47], s[46:47], exec
	s_and_b64 s[48:49], s[48:49], exec
	s_or_b64 s[46:47], s[46:47], s[48:49]
	s_andn2_b64 s[40:41], s[40:41], exec
	s_and_b64 s[48:49], s[2:3], exec
	s_or_b64 s[40:41], s[40:41], s[48:49]
	s_andn2_b64 exec, exec, s[38:39]
	s_cbranch_execz .LBB749_295
.LBB749_293:                            ; =>This Inner Loop Header: Depth=1
	global_load_dwordx2 v[10:11], v[6:7], off
	global_load_dwordx2 v[24:25], v[8:9], off
	s_andn2_b64 s[50:51], s[2:3], exec
	s_or_b64 s[42:43], s[42:43], exec
	s_waitcnt vmcnt(0)
	v_cmp_ngt_f64_e64 s[2:3], v[10:11], v[24:25]
	v_cmp_lt_f64_e32 vcc, v[10:11], v[24:25]
	s_and_b64 s[48:49], s[2:3], s[46:47]
	s_or_b64 s[48:49], vcc, s[48:49]
	s_xor_b64 s[52:53], vcc, s[2:3]
	s_and_b64 s[2:3], s[48:49], exec
	s_or_b64 s[2:3], s[50:51], s[2:3]
	s_and_saveexec_b64 s[50:51], s[52:53]
	s_cbranch_execz .LBB749_292
; %bb.294:                              ;   in Loop: Header=BB749_293 Depth=1
	s_add_u32 s44, s44, -1
	s_addc_u32 s45, s45, -1
	s_cmp_eq_u64 s[44:45], 0
	s_cselect_b64 s[46:47], -1, 0
	s_andn2_b64 s[42:43], s[42:43], exec
	s_and_b64 s[46:47], s[46:47], exec
	v_lshl_add_u64 v[6:7], v[6:7], 0, 8
	v_lshl_add_u64 v[8:9], v[8:9], 0, 8
	s_andn2_b64 s[2:3], s[2:3], exec
	s_or_b64 s[42:43], s[42:43], s[46:47]
                                        ; implicit-def: $sgpr46_sgpr47
	s_branch .LBB749_292
.LBB749_295:
	s_or_b64 exec, exec, s[38:39]
	s_xor_b64 s[2:3], s[40:41], -1
	s_andn2_b64 s[26:27], s[26:27], exec
	s_and_b64 s[2:3], s[2:3], exec
	s_or_b64 s[26:27], s[26:27], s[2:3]
.LBB749_296:
	s_or_b64 exec, exec, s[36:37]
	s_orn2_b64 s[26:27], s[26:27], exec
.LBB749_297:
	s_or_b64 exec, exec, s[34:35]
	v_cndmask_b32_e64 v6, v12, v13, s[26:27]
	v_cndmask_b32_e64 v7, v38, v37, s[26:27]
	v_add_u32_e32 v8, 1, v6
	v_add_u32_e32 v6, -1, v7
	v_min_u32_e32 v6, v8, v6
	v_lshl_add_u32 v6, v6, 3, v33
	ds_read_b64 v[6:7], v6
	v_cndmask_b32_e64 v39, v8, v12, s[26:27]
	v_cndmask_b32_e64 v40, v13, v8, s[26:27]
	v_cmp_lt_u32_e32 vcc, v39, v38
	s_waitcnt lgkmcnt(0)
	v_cndmask_b32_e64 v10, v7, v14, s[26:27]
	v_cndmask_b32_e64 v17, v6, v15, s[26:27]
	;; [unrolled: 1-line block ×4, first 2 shown]
	s_and_saveexec_b64 s[34:35], vcc
	s_cbranch_execz .LBB749_305
; %bb.298:
	v_cmp_lt_u32_e64 s[30:31], v40, v37
	s_xor_b64 s[2:3], s[10:11], -1
	s_and_b64 s[2:3], s[30:31], s[2:3]
	s_and_saveexec_b64 s[36:37], s[2:3]
	s_cbranch_execz .LBB749_304
; %bb.299:
	v_mul_lo_u32 v8, v10, s20
	v_mul_lo_u32 v9, v17, s21
	v_mad_u64_u32 v[6:7], s[2:3], v17, s20, 0
	v_add3_u32 v7, v7, v9, v8
	v_mul_lo_u32 v12, v11, s20
	v_mul_lo_u32 v13, v23, s21
	v_mad_u64_u32 v[8:9], s[2:3], v23, s20, 0
	v_add3_u32 v9, v9, v13, v12
	v_lshl_add_u64 v[6:7], v[6:7], 3, s[22:23]
	v_lshl_add_u64 v[8:9], v[8:9], 3, s[22:23]
	s_mov_b64 s[38:39], 0
	s_mov_b64 s[44:45], s[20:21]
                                        ; implicit-def: $sgpr40_sgpr41
                                        ; implicit-def: $sgpr42_sgpr43
                                        ; implicit-def: $sgpr2_sgpr3
                                        ; implicit-def: $sgpr46_sgpr47
	s_branch .LBB749_301
.LBB749_300:                            ;   in Loop: Header=BB749_301 Depth=1
	s_or_b64 exec, exec, s[50:51]
	s_and_b64 s[50:51], exec, s[42:43]
	s_or_b64 s[38:39], s[50:51], s[38:39]
	s_andn2_b64 s[46:47], s[46:47], exec
	s_and_b64 s[48:49], s[48:49], exec
	s_or_b64 s[46:47], s[46:47], s[48:49]
	s_andn2_b64 s[40:41], s[40:41], exec
	s_and_b64 s[48:49], s[2:3], exec
	s_or_b64 s[40:41], s[40:41], s[48:49]
	s_andn2_b64 exec, exec, s[38:39]
	s_cbranch_execz .LBB749_303
.LBB749_301:                            ; =>This Inner Loop Header: Depth=1
	global_load_dwordx2 v[12:13], v[6:7], off
	global_load_dwordx2 v[24:25], v[8:9], off
	s_andn2_b64 s[50:51], s[2:3], exec
	s_or_b64 s[42:43], s[42:43], exec
	s_waitcnt vmcnt(0)
	v_cmp_ngt_f64_e64 s[2:3], v[12:13], v[24:25]
	v_cmp_lt_f64_e32 vcc, v[12:13], v[24:25]
	s_and_b64 s[48:49], s[2:3], s[46:47]
	s_or_b64 s[48:49], vcc, s[48:49]
	s_xor_b64 s[52:53], vcc, s[2:3]
	s_and_b64 s[2:3], s[48:49], exec
	s_or_b64 s[2:3], s[50:51], s[2:3]
	s_and_saveexec_b64 s[50:51], s[52:53]
	s_cbranch_execz .LBB749_300
; %bb.302:                              ;   in Loop: Header=BB749_301 Depth=1
	s_add_u32 s44, s44, -1
	s_addc_u32 s45, s45, -1
	s_cmp_eq_u64 s[44:45], 0
	s_cselect_b64 s[46:47], -1, 0
	s_andn2_b64 s[42:43], s[42:43], exec
	s_and_b64 s[46:47], s[46:47], exec
	v_lshl_add_u64 v[6:7], v[6:7], 0, 8
	v_lshl_add_u64 v[8:9], v[8:9], 0, 8
	s_andn2_b64 s[2:3], s[2:3], exec
	s_or_b64 s[42:43], s[42:43], s[46:47]
                                        ; implicit-def: $sgpr46_sgpr47
	s_branch .LBB749_300
.LBB749_303:
	s_or_b64 exec, exec, s[38:39]
	s_xor_b64 s[2:3], s[40:41], -1
	s_andn2_b64 s[30:31], s[30:31], exec
	s_and_b64 s[2:3], s[2:3], exec
	s_or_b64 s[30:31], s[30:31], s[2:3]
.LBB749_304:
	s_or_b64 exec, exec, s[36:37]
	s_orn2_b64 s[30:31], s[30:31], exec
.LBB749_305:
	s_or_b64 exec, exec, s[34:35]
	v_cndmask_b32_e64 v6, v39, v40, s[30:31]
	v_cndmask_b32_e64 v7, v38, v37, s[30:31]
	v_add_u32_e32 v8, 1, v6
	v_add_u32_e32 v6, -1, v7
	v_min_u32_e32 v6, v8, v6
	v_lshl_add_u32 v6, v6, 3, v33
	ds_read_b64 v[6:7], v6
	v_cndmask_b32_e64 v43, v8, v39, s[30:31]
	v_cndmask_b32_e64 v44, v40, v8, s[30:31]
	v_cmp_lt_u32_e32 vcc, v43, v38
	s_mov_b64 s[36:37], -1
	s_waitcnt lgkmcnt(0)
	v_cndmask_b32_e64 v12, v7, v10, s[30:31]
	v_cndmask_b32_e64 v24, v6, v17, s[30:31]
	;; [unrolled: 1-line block ×4, first 2 shown]
	s_mov_b64 s[34:35], -1
	s_and_saveexec_b64 s[38:39], vcc
	s_cbranch_execz .LBB749_313
; %bb.306:
	v_cmp_lt_u32_e64 s[34:35], v44, v37
	s_xor_b64 s[2:3], s[10:11], -1
	s_and_b64 s[2:3], s[34:35], s[2:3]
	s_and_saveexec_b64 s[40:41], s[2:3]
	s_cbranch_execz .LBB749_312
; %bb.307:
	v_mul_lo_u32 v8, v12, s20
	v_mul_lo_u32 v9, v24, s21
	v_mad_u64_u32 v[6:7], s[2:3], v24, s20, 0
	v_add3_u32 v7, v7, v9, v8
	v_mul_lo_u32 v39, v13, s20
	v_mul_lo_u32 v40, v25, s21
	v_mad_u64_u32 v[8:9], s[2:3], v25, s20, 0
	v_add3_u32 v9, v9, v40, v39
	v_lshl_add_u64 v[6:7], v[6:7], 3, s[22:23]
	v_lshl_add_u64 v[8:9], v[8:9], 3, s[22:23]
	s_mov_b64 s[42:43], 0
	s_mov_b64 s[48:49], s[20:21]
                                        ; implicit-def: $sgpr44_sgpr45
                                        ; implicit-def: $sgpr46_sgpr47
                                        ; implicit-def: $sgpr2_sgpr3
                                        ; implicit-def: $sgpr50_sgpr51
	s_branch .LBB749_309
.LBB749_308:                            ;   in Loop: Header=BB749_309 Depth=1
	s_or_b64 exec, exec, s[54:55]
	s_and_b64 s[54:55], exec, s[46:47]
	s_or_b64 s[42:43], s[54:55], s[42:43]
	s_andn2_b64 s[50:51], s[50:51], exec
	s_and_b64 s[52:53], s[52:53], exec
	s_or_b64 s[50:51], s[50:51], s[52:53]
	s_andn2_b64 s[44:45], s[44:45], exec
	s_and_b64 s[52:53], s[2:3], exec
	s_or_b64 s[44:45], s[44:45], s[52:53]
	s_andn2_b64 exec, exec, s[42:43]
	s_cbranch_execz .LBB749_311
.LBB749_309:                            ; =>This Inner Loop Header: Depth=1
	global_load_dwordx2 v[40:41], v[6:7], off
	global_load_dwordx2 v[46:47], v[8:9], off
	s_andn2_b64 s[54:55], s[2:3], exec
	s_or_b64 s[46:47], s[46:47], exec
	s_waitcnt vmcnt(0)
	v_cmp_ngt_f64_e64 s[2:3], v[40:41], v[46:47]
	v_cmp_lt_f64_e32 vcc, v[40:41], v[46:47]
	s_and_b64 s[52:53], s[2:3], s[50:51]
	s_or_b64 s[52:53], vcc, s[52:53]
	s_xor_b64 s[56:57], vcc, s[2:3]
	s_and_b64 s[2:3], s[52:53], exec
	s_or_b64 s[2:3], s[54:55], s[2:3]
	s_and_saveexec_b64 s[54:55], s[56:57]
	s_cbranch_execz .LBB749_308
; %bb.310:                              ;   in Loop: Header=BB749_309 Depth=1
	s_add_u32 s48, s48, -1
	s_addc_u32 s49, s49, -1
	s_cmp_eq_u64 s[48:49], 0
	s_cselect_b64 s[50:51], -1, 0
	s_andn2_b64 s[46:47], s[46:47], exec
	s_and_b64 s[50:51], s[50:51], exec
	v_lshl_add_u64 v[6:7], v[6:7], 0, 8
	v_lshl_add_u64 v[8:9], v[8:9], 0, 8
	s_andn2_b64 s[2:3], s[2:3], exec
	s_or_b64 s[46:47], s[46:47], s[50:51]
                                        ; implicit-def: $sgpr50_sgpr51
	s_branch .LBB749_308
.LBB749_311:
	s_or_b64 exec, exec, s[42:43]
	s_xor_b64 s[2:3], s[44:45], -1
	s_andn2_b64 s[34:35], s[34:35], exec
	s_and_b64 s[2:3], s[2:3], exec
	s_or_b64 s[34:35], s[34:35], s[2:3]
.LBB749_312:
	s_or_b64 exec, exec, s[40:41]
	s_orn2_b64 s[34:35], s[34:35], exec
.LBB749_313:
	s_or_b64 exec, exec, s[38:39]
	v_cndmask_b32_e64 v6, v43, v44, s[34:35]
	v_cndmask_b32_e64 v7, v38, v37, s[34:35]
	v_add_u32_e32 v8, 1, v6
	v_add_u32_e32 v6, -1, v7
	v_min_u32_e32 v6, v8, v6
	v_lshl_add_u32 v6, v6, 3, v33
	ds_read_b64 v[6:7], v6
	v_cndmask_b32_e64 v47, v8, v43, s[34:35]
	v_cndmask_b32_e64 v48, v44, v8, s[34:35]
	v_cmp_lt_u32_e32 vcc, v47, v38
	s_waitcnt lgkmcnt(0)
	v_cndmask_b32_e64 v39, v7, v12, s[34:35]
	v_cndmask_b32_e64 v40, v6, v24, s[34:35]
	;; [unrolled: 1-line block ×4, first 2 shown]
	s_and_saveexec_b64 s[38:39], vcc
	s_cbranch_execz .LBB749_321
; %bb.314:
	v_cmp_lt_u32_e64 s[36:37], v48, v37
	s_xor_b64 s[2:3], s[10:11], -1
	s_and_b64 s[2:3], s[36:37], s[2:3]
	s_and_saveexec_b64 s[40:41], s[2:3]
	s_cbranch_execz .LBB749_320
; %bb.315:
	v_mul_lo_u32 v8, v39, s20
	v_mul_lo_u32 v9, v40, s21
	v_mad_u64_u32 v[6:7], s[2:3], v40, s20, 0
	v_add3_u32 v7, v7, v9, v8
	v_mul_lo_u32 v43, v41, s20
	v_mul_lo_u32 v44, v42, s21
	v_mad_u64_u32 v[8:9], s[2:3], v42, s20, 0
	v_add3_u32 v9, v9, v44, v43
	v_lshl_add_u64 v[6:7], v[6:7], 3, s[22:23]
	v_lshl_add_u64 v[8:9], v[8:9], 3, s[22:23]
	s_mov_b64 s[42:43], 0
	s_mov_b64 s[48:49], s[20:21]
                                        ; implicit-def: $sgpr44_sgpr45
                                        ; implicit-def: $sgpr46_sgpr47
                                        ; implicit-def: $sgpr2_sgpr3
                                        ; implicit-def: $sgpr50_sgpr51
	s_branch .LBB749_317
.LBB749_316:                            ;   in Loop: Header=BB749_317 Depth=1
	s_or_b64 exec, exec, s[54:55]
	s_and_b64 s[54:55], exec, s[46:47]
	s_or_b64 s[42:43], s[54:55], s[42:43]
	s_andn2_b64 s[50:51], s[50:51], exec
	s_and_b64 s[52:53], s[52:53], exec
	s_or_b64 s[50:51], s[50:51], s[52:53]
	s_andn2_b64 s[44:45], s[44:45], exec
	s_and_b64 s[52:53], s[2:3], exec
	s_or_b64 s[44:45], s[44:45], s[52:53]
	s_andn2_b64 exec, exec, s[42:43]
	s_cbranch_execz .LBB749_319
.LBB749_317:                            ; =>This Inner Loop Header: Depth=1
	global_load_dwordx2 v[44:45], v[6:7], off
	global_load_dwordx2 v[50:51], v[8:9], off
	s_andn2_b64 s[54:55], s[2:3], exec
	s_or_b64 s[46:47], s[46:47], exec
	s_waitcnt vmcnt(0)
	v_cmp_ngt_f64_e64 s[2:3], v[44:45], v[50:51]
	v_cmp_lt_f64_e32 vcc, v[44:45], v[50:51]
	s_and_b64 s[52:53], s[2:3], s[50:51]
	s_or_b64 s[52:53], vcc, s[52:53]
	s_xor_b64 s[56:57], vcc, s[2:3]
	s_and_b64 s[2:3], s[52:53], exec
	s_or_b64 s[2:3], s[54:55], s[2:3]
	s_and_saveexec_b64 s[54:55], s[56:57]
	s_cbranch_execz .LBB749_316
; %bb.318:                              ;   in Loop: Header=BB749_317 Depth=1
	s_add_u32 s48, s48, -1
	s_addc_u32 s49, s49, -1
	s_cmp_eq_u64 s[48:49], 0
	s_cselect_b64 s[50:51], -1, 0
	s_andn2_b64 s[46:47], s[46:47], exec
	s_and_b64 s[50:51], s[50:51], exec
	v_lshl_add_u64 v[6:7], v[6:7], 0, 8
	v_lshl_add_u64 v[8:9], v[8:9], 0, 8
	s_andn2_b64 s[2:3], s[2:3], exec
	s_or_b64 s[46:47], s[46:47], s[50:51]
                                        ; implicit-def: $sgpr50_sgpr51
	s_branch .LBB749_316
.LBB749_319:
	s_or_b64 exec, exec, s[42:43]
	s_xor_b64 s[2:3], s[44:45], -1
	s_andn2_b64 s[36:37], s[36:37], exec
	s_and_b64 s[2:3], s[2:3], exec
	s_or_b64 s[36:37], s[36:37], s[2:3]
.LBB749_320:
	s_or_b64 exec, exec, s[40:41]
	s_orn2_b64 s[36:37], s[36:37], exec
.LBB749_321:
	s_or_b64 exec, exec, s[38:39]
	v_cndmask_b32_e64 v6, v47, v48, s[36:37]
	v_cndmask_b32_e64 v7, v38, v37, s[36:37]
	v_add_u32_e32 v8, 1, v6
	v_add_u32_e32 v6, -1, v7
	v_min_u32_e32 v6, v8, v6
	v_lshl_add_u32 v6, v6, 3, v33
	ds_read_b64 v[6:7], v6
	v_cndmask_b32_e64 v49, v8, v47, s[36:37]
	v_cndmask_b32_e64 v53, v48, v8, s[36:37]
	v_cmp_lt_u32_e32 vcc, v49, v38
	s_mov_b64 s[38:39], -1
	s_waitcnt lgkmcnt(0)
	v_cndmask_b32_e64 v43, v7, v39, s[36:37]
	v_cndmask_b32_e64 v44, v6, v40, s[36:37]
	;; [unrolled: 1-line block ×4, first 2 shown]
	s_mov_b64 s[40:41], -1
	s_and_saveexec_b64 s[42:43], vcc
	s_cbranch_execz .LBB749_329
; %bb.322:
	v_cmp_lt_u32_e64 s[40:41], v53, v37
	s_xor_b64 s[2:3], s[10:11], -1
	s_and_b64 s[2:3], s[40:41], s[2:3]
	s_and_saveexec_b64 s[44:45], s[2:3]
	s_cbranch_execz .LBB749_328
; %bb.323:
	v_mul_lo_u32 v8, v43, s20
	v_mul_lo_u32 v9, v44, s21
	v_mad_u64_u32 v[6:7], s[2:3], v44, s20, 0
	v_add3_u32 v7, v7, v9, v8
	v_mul_lo_u32 v47, v45, s20
	v_mul_lo_u32 v48, v46, s21
	v_mad_u64_u32 v[8:9], s[2:3], v46, s20, 0
	v_add3_u32 v9, v9, v48, v47
	v_lshl_add_u64 v[6:7], v[6:7], 3, s[22:23]
	v_lshl_add_u64 v[8:9], v[8:9], 3, s[22:23]
	s_mov_b64 s[46:47], 0
	s_mov_b64 s[52:53], s[20:21]
                                        ; implicit-def: $sgpr48_sgpr49
                                        ; implicit-def: $sgpr50_sgpr51
                                        ; implicit-def: $sgpr2_sgpr3
                                        ; implicit-def: $sgpr54_sgpr55
	s_branch .LBB749_325
.LBB749_324:                            ;   in Loop: Header=BB749_325 Depth=1
	s_or_b64 exec, exec, s[58:59]
	s_and_b64 s[58:59], exec, s[50:51]
	s_or_b64 s[46:47], s[58:59], s[46:47]
	s_andn2_b64 s[54:55], s[54:55], exec
	s_and_b64 s[56:57], s[56:57], exec
	s_or_b64 s[54:55], s[54:55], s[56:57]
	s_andn2_b64 s[48:49], s[48:49], exec
	s_and_b64 s[56:57], s[2:3], exec
	s_or_b64 s[48:49], s[48:49], s[56:57]
	s_andn2_b64 exec, exec, s[46:47]
	s_cbranch_execz .LBB749_327
.LBB749_325:                            ; =>This Inner Loop Header: Depth=1
	global_load_dwordx2 v[50:51], v[6:7], off
	global_load_dwordx2 v[54:55], v[8:9], off
	s_andn2_b64 s[58:59], s[2:3], exec
	s_or_b64 s[50:51], s[50:51], exec
	s_waitcnt vmcnt(0)
	v_cmp_ngt_f64_e64 s[2:3], v[50:51], v[54:55]
	v_cmp_lt_f64_e32 vcc, v[50:51], v[54:55]
	s_and_b64 s[56:57], s[2:3], s[54:55]
	s_or_b64 s[56:57], vcc, s[56:57]
	s_xor_b64 s[60:61], vcc, s[2:3]
	s_and_b64 s[2:3], s[56:57], exec
	s_or_b64 s[2:3], s[58:59], s[2:3]
	s_and_saveexec_b64 s[58:59], s[60:61]
	s_cbranch_execz .LBB749_324
; %bb.326:                              ;   in Loop: Header=BB749_325 Depth=1
	s_add_u32 s52, s52, -1
	s_addc_u32 s53, s53, -1
	s_cmp_eq_u64 s[52:53], 0
	s_cselect_b64 s[54:55], -1, 0
	s_andn2_b64 s[50:51], s[50:51], exec
	s_and_b64 s[54:55], s[54:55], exec
	v_lshl_add_u64 v[6:7], v[6:7], 0, 8
	v_lshl_add_u64 v[8:9], v[8:9], 0, 8
	s_andn2_b64 s[2:3], s[2:3], exec
	s_or_b64 s[50:51], s[50:51], s[54:55]
                                        ; implicit-def: $sgpr54_sgpr55
	s_branch .LBB749_324
.LBB749_327:
	s_or_b64 exec, exec, s[46:47]
	s_xor_b64 s[2:3], s[48:49], -1
	s_andn2_b64 s[40:41], s[40:41], exec
	s_and_b64 s[2:3], s[2:3], exec
	s_or_b64 s[40:41], s[40:41], s[2:3]
.LBB749_328:
	s_or_b64 exec, exec, s[44:45]
	s_orn2_b64 s[40:41], s[40:41], exec
.LBB749_329:
	s_or_b64 exec, exec, s[42:43]
	v_cndmask_b32_e64 v6, v49, v53, s[40:41]
	v_cndmask_b32_e64 v7, v38, v37, s[40:41]
	v_add_u32_e32 v8, 1, v6
	v_add_u32_e32 v6, -1, v7
	v_min_u32_e32 v6, v8, v6
	v_lshl_add_u32 v6, v6, 3, v33
	ds_read_b64 v[6:7], v6
	v_cndmask_b32_e64 v50, v8, v49, s[40:41]
	v_cndmask_b32_e64 v49, v53, v8, s[40:41]
	v_cmp_lt_u32_e32 vcc, v50, v38
	s_waitcnt lgkmcnt(0)
	v_cndmask_b32_e64 v47, v7, v43, s[40:41]
	v_cndmask_b32_e64 v48, v6, v44, s[40:41]
	;; [unrolled: 1-line block ×4, first 2 shown]
	s_and_saveexec_b64 s[42:43], vcc
	s_cbranch_execz .LBB749_337
; %bb.330:
	v_cmp_lt_u32_e64 s[38:39], v49, v37
	s_xor_b64 s[2:3], s[10:11], -1
	s_and_b64 s[2:3], s[38:39], s[2:3]
	s_and_saveexec_b64 s[44:45], s[2:3]
	s_cbranch_execz .LBB749_336
; %bb.331:
	v_mul_lo_u32 v8, v47, s20
	v_mul_lo_u32 v9, v48, s21
	v_mad_u64_u32 v[6:7], s[2:3], v48, s20, 0
	v_add3_u32 v7, v7, v9, v8
	v_mul_lo_u32 v53, v51, s20
	v_mul_lo_u32 v54, v52, s21
	v_mad_u64_u32 v[8:9], s[2:3], v52, s20, 0
	v_add3_u32 v9, v9, v54, v53
	v_lshl_add_u64 v[6:7], v[6:7], 3, s[22:23]
	v_lshl_add_u64 v[8:9], v[8:9], 3, s[22:23]
	s_mov_b64 s[46:47], 0
	s_mov_b64 s[52:53], s[20:21]
                                        ; implicit-def: $sgpr48_sgpr49
                                        ; implicit-def: $sgpr50_sgpr51
                                        ; implicit-def: $sgpr2_sgpr3
                                        ; implicit-def: $sgpr54_sgpr55
	s_branch .LBB749_333
.LBB749_332:                            ;   in Loop: Header=BB749_333 Depth=1
	s_or_b64 exec, exec, s[58:59]
	s_and_b64 s[58:59], exec, s[50:51]
	s_or_b64 s[46:47], s[58:59], s[46:47]
	s_andn2_b64 s[54:55], s[54:55], exec
	s_and_b64 s[56:57], s[56:57], exec
	s_or_b64 s[54:55], s[54:55], s[56:57]
	s_andn2_b64 s[48:49], s[48:49], exec
	s_and_b64 s[56:57], s[2:3], exec
	s_or_b64 s[48:49], s[48:49], s[56:57]
	s_andn2_b64 exec, exec, s[46:47]
	s_cbranch_execz .LBB749_335
.LBB749_333:                            ; =>This Inner Loop Header: Depth=1
	global_load_dwordx2 v[54:55], v[6:7], off
	global_load_dwordx2 v[56:57], v[8:9], off
	s_andn2_b64 s[58:59], s[2:3], exec
	s_or_b64 s[50:51], s[50:51], exec
	s_waitcnt vmcnt(0)
	v_cmp_ngt_f64_e64 s[2:3], v[54:55], v[56:57]
	v_cmp_lt_f64_e32 vcc, v[54:55], v[56:57]
	s_and_b64 s[56:57], s[2:3], s[54:55]
	s_or_b64 s[56:57], vcc, s[56:57]
	s_xor_b64 s[60:61], vcc, s[2:3]
	s_and_b64 s[2:3], s[56:57], exec
	s_or_b64 s[2:3], s[58:59], s[2:3]
	s_and_saveexec_b64 s[58:59], s[60:61]
	s_cbranch_execz .LBB749_332
; %bb.334:                              ;   in Loop: Header=BB749_333 Depth=1
	s_add_u32 s52, s52, -1
	s_addc_u32 s53, s53, -1
	s_cmp_eq_u64 s[52:53], 0
	s_cselect_b64 s[54:55], -1, 0
	s_andn2_b64 s[50:51], s[50:51], exec
	s_and_b64 s[54:55], s[54:55], exec
	v_lshl_add_u64 v[6:7], v[6:7], 0, 8
	v_lshl_add_u64 v[8:9], v[8:9], 0, 8
	s_andn2_b64 s[2:3], s[2:3], exec
	s_or_b64 s[50:51], s[50:51], s[54:55]
                                        ; implicit-def: $sgpr54_sgpr55
	s_branch .LBB749_332
.LBB749_335:
	s_or_b64 exec, exec, s[46:47]
	s_xor_b64 s[2:3], s[48:49], -1
	s_andn2_b64 s[38:39], s[38:39], exec
	s_and_b64 s[2:3], s[2:3], exec
	s_or_b64 s[38:39], s[38:39], s[2:3]
.LBB749_336:
	s_or_b64 exec, exec, s[44:45]
	s_orn2_b64 s[38:39], s[38:39], exec
.LBB749_337:
	s_or_b64 exec, exec, s[42:43]
	v_cndmask_b32_e64 v11, v10, v11, s[30:31]
	v_cndmask_b32_e64 v10, v17, v23, s[30:31]
	;; [unrolled: 1-line block ×8, first 2 shown]
	v_add_u32_e32 v24, 1, v14
	v_add_u32_e32 v14, -1, v15
	v_min_u32_e32 v14, v24, v14
	v_lshl_add_u32 v14, v14, 3, v33
	ds_read_b64 v[22:23], v14
	v_cndmask_b32_e64 v25, v24, v50, s[38:39]
	v_cndmask_b32_e64 v9, v43, v45, s[40:41]
	;; [unrolled: 1-line block ×9, first 2 shown]
	s_waitcnt lgkmcnt(0)
	v_cndmask_b32_e64 v5, v51, v23, s[38:39]
	v_cndmask_b32_e64 v4, v52, v22, s[38:39]
	v_cmp_lt_u32_e32 vcc, v25, v38
	s_and_saveexec_b64 s[4:5], vcc
	s_cbranch_execz .LBB749_345
; %bb.338:
	v_cndmask_b32_e64 v39, v22, v48, s[38:39]
	v_cndmask_b32_e64 v22, v49, v24, s[38:39]
	;; [unrolled: 1-line block ×3, first 2 shown]
	v_cmp_ge_u32_e32 vcc, v22, v37
	s_nor_b64 s[2:3], vcc, s[10:11]
	s_nop 0
	v_cndmask_b32_e32 v23, v5, v38, vcc
	v_cndmask_b32_e32 v22, v4, v39, vcc
	s_and_saveexec_b64 s[26:27], s[2:3]
	s_cbranch_execz .LBB749_344
; %bb.339:
	v_mul_lo_u32 v24, v38, s20
	v_mul_lo_u32 v25, v39, s21
	v_mad_u64_u32 v[22:23], s[2:3], v39, s20, 0
	v_add3_u32 v23, v23, v25, v24
	v_mul_lo_u32 v37, v5, s20
	v_mul_lo_u32 v40, v4, s21
	v_mad_u64_u32 v[24:25], s[2:3], v4, s20, 0
	v_add3_u32 v25, v25, v40, v37
	v_lshl_add_u64 v[22:23], v[22:23], 3, s[22:23]
	v_lshl_add_u64 v[24:25], v[24:25], 3, s[22:23]
	s_mov_b64 s[30:31], 0
	s_mov_b64 s[38:39], s[20:21]
                                        ; implicit-def: $sgpr34_sgpr35
                                        ; implicit-def: $sgpr36_sgpr37
                                        ; implicit-def: $sgpr2_sgpr3
                                        ; implicit-def: $sgpr40_sgpr41
	s_branch .LBB749_341
.LBB749_340:                            ;   in Loop: Header=BB749_341 Depth=1
	s_or_b64 exec, exec, s[44:45]
	s_and_b64 s[44:45], exec, s[36:37]
	s_or_b64 s[30:31], s[44:45], s[30:31]
	s_andn2_b64 s[40:41], s[40:41], exec
	s_and_b64 s[42:43], s[42:43], exec
	s_or_b64 s[40:41], s[40:41], s[42:43]
	s_andn2_b64 s[34:35], s[34:35], exec
	s_and_b64 s[42:43], s[2:3], exec
	s_or_b64 s[34:35], s[34:35], s[42:43]
	s_andn2_b64 exec, exec, s[30:31]
	s_cbranch_execz .LBB749_343
.LBB749_341:                            ; =>This Inner Loop Header: Depth=1
	global_load_dwordx2 v[40:41], v[22:23], off
	global_load_dwordx2 v[42:43], v[24:25], off
	s_andn2_b64 s[44:45], s[2:3], exec
	s_or_b64 s[36:37], s[36:37], exec
	s_waitcnt vmcnt(0)
	v_cmp_ngt_f64_e64 s[2:3], v[40:41], v[42:43]
	v_cmp_lt_f64_e32 vcc, v[40:41], v[42:43]
	s_and_b64 s[42:43], s[2:3], s[40:41]
	s_or_b64 s[42:43], vcc, s[42:43]
	s_xor_b64 s[46:47], vcc, s[2:3]
	s_and_b64 s[2:3], s[42:43], exec
	s_or_b64 s[2:3], s[44:45], s[2:3]
	s_and_saveexec_b64 s[44:45], s[46:47]
	s_cbranch_execz .LBB749_340
; %bb.342:                              ;   in Loop: Header=BB749_341 Depth=1
	s_add_u32 s38, s38, -1
	s_addc_u32 s39, s39, -1
	s_cmp_eq_u64 s[38:39], 0
	s_cselect_b64 s[40:41], -1, 0
	s_andn2_b64 s[36:37], s[36:37], exec
	s_and_b64 s[40:41], s[40:41], exec
	v_lshl_add_u64 v[22:23], v[22:23], 0, 8
	v_lshl_add_u64 v[24:25], v[24:25], 0, 8
	s_andn2_b64 s[2:3], s[2:3], exec
	s_or_b64 s[36:37], s[36:37], s[40:41]
                                        ; implicit-def: $sgpr40_sgpr41
	s_branch .LBB749_340
.LBB749_343:
	s_or_b64 exec, exec, s[30:31]
	v_cndmask_b32_e64 v23, v5, v38, s[34:35]
	v_cndmask_b32_e64 v22, v4, v39, s[34:35]
.LBB749_344:
	s_or_b64 exec, exec, s[26:27]
	v_mov_b64_e32 v[4:5], v[22:23]
.LBB749_345:
	s_or_b64 exec, exec, s[4:5]
.LBB749_346:
	s_or_b64 exec, exec, s[12:13]
	v_and_b32_e32 v41, 0x3c0, v35
	v_or_b32_e32 v22, 32, v41
	v_min_u32_e32 v37, v34, v22
	v_add_u32_e32 v22, 32, v37
	v_min_u32_e32 v38, v34, v22
	v_and_b32_e32 v22, 56, v35
	v_min_u32_e32 v42, v34, v22
	v_sub_u32_e32 v22, v37, v41
	v_sub_u32_e32 v23, v38, v37
	v_sub_u32_e64 v40, v42, v23 clamp
	v_min_u32_e32 v43, v42, v22
	v_lshl_add_u32 v39, v41, 3, v33
	v_cmp_lt_u32_e32 vcc, v40, v43
	; wave barrier
	ds_write_b128 v36, v[14:17]
	ds_write_b128 v36, v[10:13] offset:16
	ds_write_b128 v36, v[6:9] offset:32
	;; [unrolled: 1-line block ×3, first 2 shown]
	; wave barrier
	s_and_saveexec_b64 s[4:5], vcc
	s_cbranch_execz .LBB749_356
; %bb.347:
	v_lshlrev_b32_e32 v22, 3, v37
	v_lshlrev_b32_e32 v23, 3, v42
	v_add3_u32 v44, v33, v22, v23
	s_lshl_b64 s[26:27], s[20:21], 3
	s_mov_b64 s[12:13], 0
	s_branch .LBB749_350
.LBB749_348:                            ;   in Loop: Header=BB749_350 Depth=1
	s_or_b64 exec, exec, s[34:35]
.LBB749_349:                            ;   in Loop: Header=BB749_350 Depth=1
	v_add_u32_e32 v22, 1, v45
	v_cndmask_b32_e64 v43, v43, v45, s[30:31]
	v_cndmask_b32_e64 v40, v22, v40, s[30:31]
	v_cmp_ge_u32_e32 vcc, v40, v43
	s_or_b64 s[12:13], vcc, s[12:13]
	s_andn2_b64 exec, exec, s[12:13]
	s_cbranch_execz .LBB749_355
.LBB749_350:                            ; =>This Loop Header: Depth=1
                                        ;     Child Loop BB749_353 Depth 2
	v_add_u32_e32 v22, v43, v40
	v_lshrrev_b32_e32 v45, 1, v22
	s_and_b64 vcc, exec, s[0:1]
	s_mov_b64 s[30:31], 0
	s_cbranch_vccnz .LBB749_349
; %bb.351:                              ;   in Loop: Header=BB749_350 Depth=1
	v_not_b32_e32 v22, v45
	v_lshl_add_u32 v22, v22, 3, v44
	ds_read_b64 v[22:23], v22
	v_lshl_add_u32 v46, v45, 3, v39
	ds_read_b64 v[46:47], v46
	v_mov_b64_e32 v[24:25], s[22:23]
	s_mov_b64 s[34:35], 0
	s_waitcnt lgkmcnt(1)
	v_mul_lo_u32 v48, s26, v23
	v_mul_lo_u32 v49, s27, v22
	v_mad_u64_u32 v[22:23], s[2:3], s26, v22, v[24:25]
	v_add3_u32 v23, v49, v23, v48
	s_waitcnt lgkmcnt(0)
	v_mul_lo_u32 v47, s26, v47
	v_mul_lo_u32 v48, s27, v46
	v_mad_u64_u32 v[24:25], s[2:3], s26, v46, v[24:25]
	v_add3_u32 v25, v48, v25, v47
	s_mov_b64 s[38:39], s[20:21]
                                        ; implicit-def: $sgpr30_sgpr31
                                        ; implicit-def: $sgpr36_sgpr37
                                        ; implicit-def: $sgpr2_sgpr3
                                        ; implicit-def: $sgpr40_sgpr41
	s_branch .LBB749_353
.LBB749_352:                            ;   in Loop: Header=BB749_353 Depth=2
	s_or_b64 exec, exec, s[44:45]
	s_and_b64 s[44:45], exec, s[36:37]
	s_or_b64 s[34:35], s[44:45], s[34:35]
	s_andn2_b64 s[40:41], s[40:41], exec
	s_and_b64 s[42:43], s[42:43], exec
	s_or_b64 s[40:41], s[40:41], s[42:43]
	s_andn2_b64 s[30:31], s[30:31], exec
	s_and_b64 s[42:43], s[2:3], exec
	s_or_b64 s[30:31], s[30:31], s[42:43]
	s_andn2_b64 exec, exec, s[34:35]
	s_cbranch_execz .LBB749_348
.LBB749_353:                            ;   Parent Loop BB749_350 Depth=1
                                        ; =>  This Inner Loop Header: Depth=2
	global_load_dwordx2 v[46:47], v[22:23], off
	global_load_dwordx2 v[48:49], v[24:25], off
	s_andn2_b64 s[44:45], s[2:3], exec
	s_or_b64 s[36:37], s[36:37], exec
	s_waitcnt vmcnt(0)
	v_cmp_ngt_f64_e64 s[2:3], v[46:47], v[48:49]
	v_cmp_lt_f64_e32 vcc, v[46:47], v[48:49]
	s_and_b64 s[42:43], s[2:3], s[40:41]
	s_or_b64 s[42:43], vcc, s[42:43]
	s_xor_b64 s[46:47], vcc, s[2:3]
	s_and_b64 s[2:3], s[42:43], exec
	s_or_b64 s[2:3], s[44:45], s[2:3]
	s_and_saveexec_b64 s[44:45], s[46:47]
	s_cbranch_execz .LBB749_352
; %bb.354:                              ;   in Loop: Header=BB749_353 Depth=2
	s_add_u32 s38, s38, -1
	s_addc_u32 s39, s39, -1
	s_cmp_eq_u64 s[38:39], 0
	s_cselect_b64 s[40:41], -1, 0
	s_andn2_b64 s[36:37], s[36:37], exec
	s_and_b64 s[40:41], s[40:41], exec
	v_lshl_add_u64 v[22:23], v[22:23], 0, 8
	v_lshl_add_u64 v[24:25], v[24:25], 0, 8
	s_andn2_b64 s[2:3], s[2:3], exec
	s_or_b64 s[36:37], s[36:37], s[40:41]
                                        ; implicit-def: $sgpr40_sgpr41
	s_branch .LBB749_352
.LBB749_355:
	s_or_b64 exec, exec, s[12:13]
.LBB749_356:
	s_or_b64 exec, exec, s[4:5]
	v_add_u32_e32 v22, v37, v42
	v_add_u32_e32 v23, v40, v41
	v_sub_u32_e32 v24, v22, v40
	v_cmp_le_u32_e32 vcc, v23, v37
	v_cmp_le_u32_e64 s[2:3], v24, v38
	s_or_b64 s[2:3], vcc, s[2:3]
	s_and_saveexec_b64 s[12:13], s[2:3]
	s_cbranch_execz .LBB749_424
; %bb.357:
	v_cmp_ge_u32_e32 vcc, v23, v37
	v_cmp_lt_u32_e64 s[2:3], v23, v37
                                        ; implicit-def: $vgpr2_vgpr3
	s_and_saveexec_b64 s[4:5], s[2:3]
; %bb.358:
	v_lshl_add_u32 v2, v40, 3, v39
	ds_read_b64 v[2:3], v2
; %bb.359:
	s_or_b64 exec, exec, s[4:5]
	v_cmp_ge_u32_e64 s[2:3], v24, v38
	v_cmp_lt_u32_e64 s[4:5], v24, v38
                                        ; implicit-def: $vgpr4_vgpr5
	s_and_saveexec_b64 s[26:27], s[4:5]
; %bb.360:
	v_lshl_add_u32 v4, v24, 3, v33
	ds_read_b64 v[4:5], v4
; %bb.361:
	s_or_b64 exec, exec, s[26:27]
	s_or_b64 s[4:5], vcc, s[2:3]
	s_nor_b64 s[30:31], s[4:5], s[10:11]
	s_xor_b64 s[4:5], vcc, -1
	s_or_b64 s[4:5], s[2:3], s[4:5]
	s_and_saveexec_b64 s[26:27], s[30:31]
	s_cbranch_execz .LBB749_367
; %bb.362:
	s_waitcnt lgkmcnt(0)
	v_mul_lo_u32 v8, v5, s20
	v_mul_lo_u32 v9, v4, s21
	v_mad_u64_u32 v[6:7], s[2:3], v4, s20, 0
	v_add3_u32 v7, v7, v9, v8
	v_mul_lo_u32 v10, v3, s20
	v_mul_lo_u32 v11, v2, s21
	v_mad_u64_u32 v[8:9], s[2:3], v2, s20, 0
	v_add3_u32 v9, v9, v11, v10
	v_lshl_add_u64 v[6:7], v[6:7], 3, s[22:23]
	v_lshl_add_u64 v[8:9], v[8:9], 3, s[22:23]
	s_mov_b64 s[30:31], 0
	s_mov_b64 s[38:39], s[20:21]
                                        ; implicit-def: $sgpr34_sgpr35
                                        ; implicit-def: $sgpr36_sgpr37
                                        ; implicit-def: $sgpr2_sgpr3
                                        ; implicit-def: $sgpr40_sgpr41
	s_branch .LBB749_364
.LBB749_363:                            ;   in Loop: Header=BB749_364 Depth=1
	s_or_b64 exec, exec, s[44:45]
	s_and_b64 s[44:45], exec, s[36:37]
	s_or_b64 s[30:31], s[44:45], s[30:31]
	s_andn2_b64 s[40:41], s[40:41], exec
	s_and_b64 s[42:43], s[42:43], exec
	s_or_b64 s[40:41], s[40:41], s[42:43]
	s_andn2_b64 s[34:35], s[34:35], exec
	s_and_b64 s[42:43], s[2:3], exec
	s_or_b64 s[34:35], s[34:35], s[42:43]
	s_andn2_b64 exec, exec, s[30:31]
	s_cbranch_execz .LBB749_366
.LBB749_364:                            ; =>This Inner Loop Header: Depth=1
	global_load_dwordx2 v[10:11], v[6:7], off
	global_load_dwordx2 v[12:13], v[8:9], off
	s_andn2_b64 s[44:45], s[2:3], exec
	s_or_b64 s[36:37], s[36:37], exec
	s_waitcnt vmcnt(0)
	v_cmp_ngt_f64_e64 s[2:3], v[10:11], v[12:13]
	v_cmp_lt_f64_e32 vcc, v[10:11], v[12:13]
	s_and_b64 s[42:43], s[2:3], s[40:41]
	s_or_b64 s[42:43], vcc, s[42:43]
	s_xor_b64 s[46:47], vcc, s[2:3]
	s_and_b64 s[2:3], s[42:43], exec
	s_or_b64 s[2:3], s[44:45], s[2:3]
	s_and_saveexec_b64 s[44:45], s[46:47]
	s_cbranch_execz .LBB749_363
; %bb.365:                              ;   in Loop: Header=BB749_364 Depth=1
	s_add_u32 s38, s38, -1
	s_addc_u32 s39, s39, -1
	s_cmp_eq_u64 s[38:39], 0
	s_cselect_b64 s[40:41], -1, 0
	s_andn2_b64 s[36:37], s[36:37], exec
	s_and_b64 s[40:41], s[40:41], exec
	v_lshl_add_u64 v[6:7], v[6:7], 0, 8
	v_lshl_add_u64 v[8:9], v[8:9], 0, 8
	s_andn2_b64 s[2:3], s[2:3], exec
	s_or_b64 s[36:37], s[36:37], s[40:41]
                                        ; implicit-def: $sgpr40_sgpr41
	s_branch .LBB749_363
.LBB749_366:
	s_or_b64 exec, exec, s[30:31]
	s_xor_b64 s[2:3], s[34:35], -1
	s_andn2_b64 s[4:5], s[4:5], exec
	s_and_b64 s[2:3], s[2:3], exec
	s_or_b64 s[4:5], s[4:5], s[2:3]
.LBB749_367:
	s_or_b64 exec, exec, s[26:27]
	v_cndmask_b32_e64 v6, v24, v23, s[4:5]
	v_cndmask_b32_e64 v7, v38, v37, s[4:5]
	v_add_u32_e32 v8, 1, v6
	v_add_u32_e32 v6, -1, v7
	v_min_u32_e32 v6, v8, v6
	v_lshl_add_u32 v6, v6, 3, v33
	ds_read_b64 v[6:7], v6
	v_cndmask_b32_e64 v12, v8, v24, s[4:5]
	v_cndmask_b32_e64 v13, v23, v8, s[4:5]
	v_cmp_lt_u32_e32 vcc, v12, v38
	s_mov_b64 s[30:31], -1
	s_waitcnt lgkmcnt(0)
	v_cndmask_b32_e64 v14, v7, v5, s[4:5]
	v_cndmask_b32_e64 v15, v6, v4, s[4:5]
	;; [unrolled: 1-line block ×4, first 2 shown]
	s_mov_b64 s[26:27], -1
	s_and_saveexec_b64 s[34:35], vcc
	s_cbranch_execz .LBB749_375
; %bb.368:
	v_cmp_lt_u32_e64 s[26:27], v13, v37
	s_xor_b64 s[2:3], s[10:11], -1
	s_and_b64 s[2:3], s[26:27], s[2:3]
	s_and_saveexec_b64 s[36:37], s[2:3]
	s_cbranch_execz .LBB749_374
; %bb.369:
	v_mul_lo_u32 v8, v14, s20
	v_mul_lo_u32 v9, v15, s21
	v_mad_u64_u32 v[6:7], s[2:3], v15, s20, 0
	v_add3_u32 v7, v7, v9, v8
	v_mul_lo_u32 v10, v16, s20
	v_mul_lo_u32 v11, v22, s21
	v_mad_u64_u32 v[8:9], s[2:3], v22, s20, 0
	v_add3_u32 v9, v9, v11, v10
	v_lshl_add_u64 v[6:7], v[6:7], 3, s[22:23]
	v_lshl_add_u64 v[8:9], v[8:9], 3, s[22:23]
	s_mov_b64 s[38:39], 0
	s_mov_b64 s[44:45], s[20:21]
                                        ; implicit-def: $sgpr40_sgpr41
                                        ; implicit-def: $sgpr42_sgpr43
                                        ; implicit-def: $sgpr2_sgpr3
                                        ; implicit-def: $sgpr46_sgpr47
	s_branch .LBB749_371
.LBB749_370:                            ;   in Loop: Header=BB749_371 Depth=1
	s_or_b64 exec, exec, s[50:51]
	s_and_b64 s[50:51], exec, s[42:43]
	s_or_b64 s[38:39], s[50:51], s[38:39]
	s_andn2_b64 s[46:47], s[46:47], exec
	s_and_b64 s[48:49], s[48:49], exec
	s_or_b64 s[46:47], s[46:47], s[48:49]
	s_andn2_b64 s[40:41], s[40:41], exec
	s_and_b64 s[48:49], s[2:3], exec
	s_or_b64 s[40:41], s[40:41], s[48:49]
	s_andn2_b64 exec, exec, s[38:39]
	s_cbranch_execz .LBB749_373
.LBB749_371:                            ; =>This Inner Loop Header: Depth=1
	global_load_dwordx2 v[10:11], v[6:7], off
	global_load_dwordx2 v[24:25], v[8:9], off
	s_andn2_b64 s[50:51], s[2:3], exec
	s_or_b64 s[42:43], s[42:43], exec
	s_waitcnt vmcnt(0)
	v_cmp_ngt_f64_e64 s[2:3], v[10:11], v[24:25]
	v_cmp_lt_f64_e32 vcc, v[10:11], v[24:25]
	s_and_b64 s[48:49], s[2:3], s[46:47]
	s_or_b64 s[48:49], vcc, s[48:49]
	s_xor_b64 s[52:53], vcc, s[2:3]
	s_and_b64 s[2:3], s[48:49], exec
	s_or_b64 s[2:3], s[50:51], s[2:3]
	s_and_saveexec_b64 s[50:51], s[52:53]
	s_cbranch_execz .LBB749_370
; %bb.372:                              ;   in Loop: Header=BB749_371 Depth=1
	s_add_u32 s44, s44, -1
	s_addc_u32 s45, s45, -1
	s_cmp_eq_u64 s[44:45], 0
	s_cselect_b64 s[46:47], -1, 0
	s_andn2_b64 s[42:43], s[42:43], exec
	s_and_b64 s[46:47], s[46:47], exec
	v_lshl_add_u64 v[6:7], v[6:7], 0, 8
	v_lshl_add_u64 v[8:9], v[8:9], 0, 8
	s_andn2_b64 s[2:3], s[2:3], exec
	s_or_b64 s[42:43], s[42:43], s[46:47]
                                        ; implicit-def: $sgpr46_sgpr47
	s_branch .LBB749_370
.LBB749_373:
	s_or_b64 exec, exec, s[38:39]
	s_xor_b64 s[2:3], s[40:41], -1
	s_andn2_b64 s[26:27], s[26:27], exec
	s_and_b64 s[2:3], s[2:3], exec
	s_or_b64 s[26:27], s[26:27], s[2:3]
.LBB749_374:
	s_or_b64 exec, exec, s[36:37]
	s_orn2_b64 s[26:27], s[26:27], exec
.LBB749_375:
	s_or_b64 exec, exec, s[34:35]
	v_cndmask_b32_e64 v6, v12, v13, s[26:27]
	v_cndmask_b32_e64 v7, v38, v37, s[26:27]
	v_add_u32_e32 v8, 1, v6
	v_add_u32_e32 v6, -1, v7
	v_min_u32_e32 v6, v8, v6
	v_lshl_add_u32 v6, v6, 3, v33
	ds_read_b64 v[6:7], v6
	v_cndmask_b32_e64 v39, v8, v12, s[26:27]
	v_cndmask_b32_e64 v40, v13, v8, s[26:27]
	v_cmp_lt_u32_e32 vcc, v39, v38
	s_waitcnt lgkmcnt(0)
	v_cndmask_b32_e64 v10, v7, v14, s[26:27]
	v_cndmask_b32_e64 v17, v6, v15, s[26:27]
	;; [unrolled: 1-line block ×4, first 2 shown]
	s_and_saveexec_b64 s[34:35], vcc
	s_cbranch_execz .LBB749_383
; %bb.376:
	v_cmp_lt_u32_e64 s[30:31], v40, v37
	s_xor_b64 s[2:3], s[10:11], -1
	s_and_b64 s[2:3], s[30:31], s[2:3]
	s_and_saveexec_b64 s[36:37], s[2:3]
	s_cbranch_execz .LBB749_382
; %bb.377:
	v_mul_lo_u32 v8, v10, s20
	v_mul_lo_u32 v9, v17, s21
	v_mad_u64_u32 v[6:7], s[2:3], v17, s20, 0
	v_add3_u32 v7, v7, v9, v8
	v_mul_lo_u32 v12, v11, s20
	v_mul_lo_u32 v13, v23, s21
	v_mad_u64_u32 v[8:9], s[2:3], v23, s20, 0
	v_add3_u32 v9, v9, v13, v12
	v_lshl_add_u64 v[6:7], v[6:7], 3, s[22:23]
	v_lshl_add_u64 v[8:9], v[8:9], 3, s[22:23]
	s_mov_b64 s[38:39], 0
	s_mov_b64 s[44:45], s[20:21]
                                        ; implicit-def: $sgpr40_sgpr41
                                        ; implicit-def: $sgpr42_sgpr43
                                        ; implicit-def: $sgpr2_sgpr3
                                        ; implicit-def: $sgpr46_sgpr47
	s_branch .LBB749_379
.LBB749_378:                            ;   in Loop: Header=BB749_379 Depth=1
	s_or_b64 exec, exec, s[50:51]
	s_and_b64 s[50:51], exec, s[42:43]
	s_or_b64 s[38:39], s[50:51], s[38:39]
	s_andn2_b64 s[46:47], s[46:47], exec
	s_and_b64 s[48:49], s[48:49], exec
	s_or_b64 s[46:47], s[46:47], s[48:49]
	s_andn2_b64 s[40:41], s[40:41], exec
	s_and_b64 s[48:49], s[2:3], exec
	s_or_b64 s[40:41], s[40:41], s[48:49]
	s_andn2_b64 exec, exec, s[38:39]
	s_cbranch_execz .LBB749_381
.LBB749_379:                            ; =>This Inner Loop Header: Depth=1
	global_load_dwordx2 v[12:13], v[6:7], off
	global_load_dwordx2 v[24:25], v[8:9], off
	s_andn2_b64 s[50:51], s[2:3], exec
	s_or_b64 s[42:43], s[42:43], exec
	s_waitcnt vmcnt(0)
	v_cmp_ngt_f64_e64 s[2:3], v[12:13], v[24:25]
	v_cmp_lt_f64_e32 vcc, v[12:13], v[24:25]
	s_and_b64 s[48:49], s[2:3], s[46:47]
	s_or_b64 s[48:49], vcc, s[48:49]
	s_xor_b64 s[52:53], vcc, s[2:3]
	s_and_b64 s[2:3], s[48:49], exec
	s_or_b64 s[2:3], s[50:51], s[2:3]
	s_and_saveexec_b64 s[50:51], s[52:53]
	s_cbranch_execz .LBB749_378
; %bb.380:                              ;   in Loop: Header=BB749_379 Depth=1
	s_add_u32 s44, s44, -1
	s_addc_u32 s45, s45, -1
	s_cmp_eq_u64 s[44:45], 0
	s_cselect_b64 s[46:47], -1, 0
	s_andn2_b64 s[42:43], s[42:43], exec
	s_and_b64 s[46:47], s[46:47], exec
	v_lshl_add_u64 v[6:7], v[6:7], 0, 8
	v_lshl_add_u64 v[8:9], v[8:9], 0, 8
	s_andn2_b64 s[2:3], s[2:3], exec
	s_or_b64 s[42:43], s[42:43], s[46:47]
                                        ; implicit-def: $sgpr46_sgpr47
	s_branch .LBB749_378
.LBB749_381:
	s_or_b64 exec, exec, s[38:39]
	s_xor_b64 s[2:3], s[40:41], -1
	s_andn2_b64 s[30:31], s[30:31], exec
	s_and_b64 s[2:3], s[2:3], exec
	s_or_b64 s[30:31], s[30:31], s[2:3]
.LBB749_382:
	s_or_b64 exec, exec, s[36:37]
	s_orn2_b64 s[30:31], s[30:31], exec
.LBB749_383:
	s_or_b64 exec, exec, s[34:35]
	v_cndmask_b32_e64 v6, v39, v40, s[30:31]
	v_cndmask_b32_e64 v7, v38, v37, s[30:31]
	v_add_u32_e32 v8, 1, v6
	v_add_u32_e32 v6, -1, v7
	v_min_u32_e32 v6, v8, v6
	v_lshl_add_u32 v6, v6, 3, v33
	ds_read_b64 v[6:7], v6
	v_cndmask_b32_e64 v43, v8, v39, s[30:31]
	v_cndmask_b32_e64 v44, v40, v8, s[30:31]
	v_cmp_lt_u32_e32 vcc, v43, v38
	s_mov_b64 s[36:37], -1
	s_waitcnt lgkmcnt(0)
	v_cndmask_b32_e64 v12, v7, v10, s[30:31]
	v_cndmask_b32_e64 v24, v6, v17, s[30:31]
	v_cndmask_b32_e64 v13, v11, v7, s[30:31]
	v_cndmask_b32_e64 v25, v23, v6, s[30:31]
	s_mov_b64 s[34:35], -1
	s_and_saveexec_b64 s[38:39], vcc
	s_cbranch_execz .LBB749_391
; %bb.384:
	v_cmp_lt_u32_e64 s[34:35], v44, v37
	s_xor_b64 s[2:3], s[10:11], -1
	s_and_b64 s[2:3], s[34:35], s[2:3]
	s_and_saveexec_b64 s[40:41], s[2:3]
	s_cbranch_execz .LBB749_390
; %bb.385:
	v_mul_lo_u32 v8, v12, s20
	v_mul_lo_u32 v9, v24, s21
	v_mad_u64_u32 v[6:7], s[2:3], v24, s20, 0
	v_add3_u32 v7, v7, v9, v8
	v_mul_lo_u32 v39, v13, s20
	v_mul_lo_u32 v40, v25, s21
	v_mad_u64_u32 v[8:9], s[2:3], v25, s20, 0
	v_add3_u32 v9, v9, v40, v39
	v_lshl_add_u64 v[6:7], v[6:7], 3, s[22:23]
	v_lshl_add_u64 v[8:9], v[8:9], 3, s[22:23]
	s_mov_b64 s[42:43], 0
	s_mov_b64 s[48:49], s[20:21]
                                        ; implicit-def: $sgpr44_sgpr45
                                        ; implicit-def: $sgpr46_sgpr47
                                        ; implicit-def: $sgpr2_sgpr3
                                        ; implicit-def: $sgpr50_sgpr51
	s_branch .LBB749_387
.LBB749_386:                            ;   in Loop: Header=BB749_387 Depth=1
	s_or_b64 exec, exec, s[54:55]
	s_and_b64 s[54:55], exec, s[46:47]
	s_or_b64 s[42:43], s[54:55], s[42:43]
	s_andn2_b64 s[50:51], s[50:51], exec
	s_and_b64 s[52:53], s[52:53], exec
	s_or_b64 s[50:51], s[50:51], s[52:53]
	s_andn2_b64 s[44:45], s[44:45], exec
	s_and_b64 s[52:53], s[2:3], exec
	s_or_b64 s[44:45], s[44:45], s[52:53]
	s_andn2_b64 exec, exec, s[42:43]
	s_cbranch_execz .LBB749_389
.LBB749_387:                            ; =>This Inner Loop Header: Depth=1
	global_load_dwordx2 v[40:41], v[6:7], off
	global_load_dwordx2 v[46:47], v[8:9], off
	s_andn2_b64 s[54:55], s[2:3], exec
	s_or_b64 s[46:47], s[46:47], exec
	s_waitcnt vmcnt(0)
	v_cmp_ngt_f64_e64 s[2:3], v[40:41], v[46:47]
	v_cmp_lt_f64_e32 vcc, v[40:41], v[46:47]
	s_and_b64 s[52:53], s[2:3], s[50:51]
	s_or_b64 s[52:53], vcc, s[52:53]
	s_xor_b64 s[56:57], vcc, s[2:3]
	s_and_b64 s[2:3], s[52:53], exec
	s_or_b64 s[2:3], s[54:55], s[2:3]
	s_and_saveexec_b64 s[54:55], s[56:57]
	s_cbranch_execz .LBB749_386
; %bb.388:                              ;   in Loop: Header=BB749_387 Depth=1
	s_add_u32 s48, s48, -1
	s_addc_u32 s49, s49, -1
	s_cmp_eq_u64 s[48:49], 0
	s_cselect_b64 s[50:51], -1, 0
	s_andn2_b64 s[46:47], s[46:47], exec
	s_and_b64 s[50:51], s[50:51], exec
	v_lshl_add_u64 v[6:7], v[6:7], 0, 8
	v_lshl_add_u64 v[8:9], v[8:9], 0, 8
	s_andn2_b64 s[2:3], s[2:3], exec
	s_or_b64 s[46:47], s[46:47], s[50:51]
                                        ; implicit-def: $sgpr50_sgpr51
	s_branch .LBB749_386
.LBB749_389:
	s_or_b64 exec, exec, s[42:43]
	s_xor_b64 s[2:3], s[44:45], -1
	s_andn2_b64 s[34:35], s[34:35], exec
	s_and_b64 s[2:3], s[2:3], exec
	s_or_b64 s[34:35], s[34:35], s[2:3]
.LBB749_390:
	s_or_b64 exec, exec, s[40:41]
	s_orn2_b64 s[34:35], s[34:35], exec
.LBB749_391:
	s_or_b64 exec, exec, s[38:39]
	v_cndmask_b32_e64 v6, v43, v44, s[34:35]
	v_cndmask_b32_e64 v7, v38, v37, s[34:35]
	v_add_u32_e32 v8, 1, v6
	v_add_u32_e32 v6, -1, v7
	v_min_u32_e32 v6, v8, v6
	v_lshl_add_u32 v6, v6, 3, v33
	ds_read_b64 v[6:7], v6
	v_cndmask_b32_e64 v47, v8, v43, s[34:35]
	v_cndmask_b32_e64 v48, v44, v8, s[34:35]
	v_cmp_lt_u32_e32 vcc, v47, v38
	s_waitcnt lgkmcnt(0)
	v_cndmask_b32_e64 v39, v7, v12, s[34:35]
	v_cndmask_b32_e64 v40, v6, v24, s[34:35]
	;; [unrolled: 1-line block ×4, first 2 shown]
	s_and_saveexec_b64 s[38:39], vcc
	s_cbranch_execz .LBB749_399
; %bb.392:
	v_cmp_lt_u32_e64 s[36:37], v48, v37
	s_xor_b64 s[2:3], s[10:11], -1
	s_and_b64 s[2:3], s[36:37], s[2:3]
	s_and_saveexec_b64 s[40:41], s[2:3]
	s_cbranch_execz .LBB749_398
; %bb.393:
	v_mul_lo_u32 v8, v39, s20
	v_mul_lo_u32 v9, v40, s21
	v_mad_u64_u32 v[6:7], s[2:3], v40, s20, 0
	v_add3_u32 v7, v7, v9, v8
	v_mul_lo_u32 v43, v41, s20
	v_mul_lo_u32 v44, v42, s21
	v_mad_u64_u32 v[8:9], s[2:3], v42, s20, 0
	v_add3_u32 v9, v9, v44, v43
	v_lshl_add_u64 v[6:7], v[6:7], 3, s[22:23]
	v_lshl_add_u64 v[8:9], v[8:9], 3, s[22:23]
	s_mov_b64 s[42:43], 0
	s_mov_b64 s[48:49], s[20:21]
                                        ; implicit-def: $sgpr44_sgpr45
                                        ; implicit-def: $sgpr46_sgpr47
                                        ; implicit-def: $sgpr2_sgpr3
                                        ; implicit-def: $sgpr50_sgpr51
	s_branch .LBB749_395
.LBB749_394:                            ;   in Loop: Header=BB749_395 Depth=1
	s_or_b64 exec, exec, s[54:55]
	s_and_b64 s[54:55], exec, s[46:47]
	s_or_b64 s[42:43], s[54:55], s[42:43]
	s_andn2_b64 s[50:51], s[50:51], exec
	s_and_b64 s[52:53], s[52:53], exec
	s_or_b64 s[50:51], s[50:51], s[52:53]
	s_andn2_b64 s[44:45], s[44:45], exec
	s_and_b64 s[52:53], s[2:3], exec
	s_or_b64 s[44:45], s[44:45], s[52:53]
	s_andn2_b64 exec, exec, s[42:43]
	s_cbranch_execz .LBB749_397
.LBB749_395:                            ; =>This Inner Loop Header: Depth=1
	global_load_dwordx2 v[44:45], v[6:7], off
	global_load_dwordx2 v[50:51], v[8:9], off
	s_andn2_b64 s[54:55], s[2:3], exec
	s_or_b64 s[46:47], s[46:47], exec
	s_waitcnt vmcnt(0)
	v_cmp_ngt_f64_e64 s[2:3], v[44:45], v[50:51]
	v_cmp_lt_f64_e32 vcc, v[44:45], v[50:51]
	s_and_b64 s[52:53], s[2:3], s[50:51]
	s_or_b64 s[52:53], vcc, s[52:53]
	s_xor_b64 s[56:57], vcc, s[2:3]
	s_and_b64 s[2:3], s[52:53], exec
	s_or_b64 s[2:3], s[54:55], s[2:3]
	s_and_saveexec_b64 s[54:55], s[56:57]
	s_cbranch_execz .LBB749_394
; %bb.396:                              ;   in Loop: Header=BB749_395 Depth=1
	s_add_u32 s48, s48, -1
	s_addc_u32 s49, s49, -1
	s_cmp_eq_u64 s[48:49], 0
	s_cselect_b64 s[50:51], -1, 0
	s_andn2_b64 s[46:47], s[46:47], exec
	s_and_b64 s[50:51], s[50:51], exec
	v_lshl_add_u64 v[6:7], v[6:7], 0, 8
	v_lshl_add_u64 v[8:9], v[8:9], 0, 8
	s_andn2_b64 s[2:3], s[2:3], exec
	s_or_b64 s[46:47], s[46:47], s[50:51]
                                        ; implicit-def: $sgpr50_sgpr51
	s_branch .LBB749_394
.LBB749_397:
	s_or_b64 exec, exec, s[42:43]
	s_xor_b64 s[2:3], s[44:45], -1
	s_andn2_b64 s[36:37], s[36:37], exec
	s_and_b64 s[2:3], s[2:3], exec
	s_or_b64 s[36:37], s[36:37], s[2:3]
.LBB749_398:
	s_or_b64 exec, exec, s[40:41]
	s_orn2_b64 s[36:37], s[36:37], exec
.LBB749_399:
	s_or_b64 exec, exec, s[38:39]
	v_cndmask_b32_e64 v6, v47, v48, s[36:37]
	v_cndmask_b32_e64 v7, v38, v37, s[36:37]
	v_add_u32_e32 v8, 1, v6
	v_add_u32_e32 v6, -1, v7
	v_min_u32_e32 v6, v8, v6
	v_lshl_add_u32 v6, v6, 3, v33
	ds_read_b64 v[6:7], v6
	v_cndmask_b32_e64 v49, v8, v47, s[36:37]
	v_cndmask_b32_e64 v53, v48, v8, s[36:37]
	v_cmp_lt_u32_e32 vcc, v49, v38
	s_mov_b64 s[38:39], -1
	s_waitcnt lgkmcnt(0)
	v_cndmask_b32_e64 v43, v7, v39, s[36:37]
	v_cndmask_b32_e64 v44, v6, v40, s[36:37]
	;; [unrolled: 1-line block ×4, first 2 shown]
	s_mov_b64 s[40:41], -1
	s_and_saveexec_b64 s[42:43], vcc
	s_cbranch_execz .LBB749_407
; %bb.400:
	v_cmp_lt_u32_e64 s[40:41], v53, v37
	s_xor_b64 s[2:3], s[10:11], -1
	s_and_b64 s[2:3], s[40:41], s[2:3]
	s_and_saveexec_b64 s[44:45], s[2:3]
	s_cbranch_execz .LBB749_406
; %bb.401:
	v_mul_lo_u32 v8, v43, s20
	v_mul_lo_u32 v9, v44, s21
	v_mad_u64_u32 v[6:7], s[2:3], v44, s20, 0
	v_add3_u32 v7, v7, v9, v8
	v_mul_lo_u32 v47, v45, s20
	v_mul_lo_u32 v48, v46, s21
	v_mad_u64_u32 v[8:9], s[2:3], v46, s20, 0
	v_add3_u32 v9, v9, v48, v47
	v_lshl_add_u64 v[6:7], v[6:7], 3, s[22:23]
	v_lshl_add_u64 v[8:9], v[8:9], 3, s[22:23]
	s_mov_b64 s[46:47], 0
	s_mov_b64 s[52:53], s[20:21]
                                        ; implicit-def: $sgpr48_sgpr49
                                        ; implicit-def: $sgpr50_sgpr51
                                        ; implicit-def: $sgpr2_sgpr3
                                        ; implicit-def: $sgpr54_sgpr55
	s_branch .LBB749_403
.LBB749_402:                            ;   in Loop: Header=BB749_403 Depth=1
	s_or_b64 exec, exec, s[58:59]
	s_and_b64 s[58:59], exec, s[50:51]
	s_or_b64 s[46:47], s[58:59], s[46:47]
	s_andn2_b64 s[54:55], s[54:55], exec
	s_and_b64 s[56:57], s[56:57], exec
	s_or_b64 s[54:55], s[54:55], s[56:57]
	s_andn2_b64 s[48:49], s[48:49], exec
	s_and_b64 s[56:57], s[2:3], exec
	s_or_b64 s[48:49], s[48:49], s[56:57]
	s_andn2_b64 exec, exec, s[46:47]
	s_cbranch_execz .LBB749_405
.LBB749_403:                            ; =>This Inner Loop Header: Depth=1
	global_load_dwordx2 v[50:51], v[6:7], off
	global_load_dwordx2 v[54:55], v[8:9], off
	s_andn2_b64 s[58:59], s[2:3], exec
	s_or_b64 s[50:51], s[50:51], exec
	s_waitcnt vmcnt(0)
	v_cmp_ngt_f64_e64 s[2:3], v[50:51], v[54:55]
	v_cmp_lt_f64_e32 vcc, v[50:51], v[54:55]
	s_and_b64 s[56:57], s[2:3], s[54:55]
	s_or_b64 s[56:57], vcc, s[56:57]
	s_xor_b64 s[60:61], vcc, s[2:3]
	s_and_b64 s[2:3], s[56:57], exec
	s_or_b64 s[2:3], s[58:59], s[2:3]
	s_and_saveexec_b64 s[58:59], s[60:61]
	s_cbranch_execz .LBB749_402
; %bb.404:                              ;   in Loop: Header=BB749_403 Depth=1
	s_add_u32 s52, s52, -1
	s_addc_u32 s53, s53, -1
	s_cmp_eq_u64 s[52:53], 0
	s_cselect_b64 s[54:55], -1, 0
	s_andn2_b64 s[50:51], s[50:51], exec
	s_and_b64 s[54:55], s[54:55], exec
	v_lshl_add_u64 v[6:7], v[6:7], 0, 8
	v_lshl_add_u64 v[8:9], v[8:9], 0, 8
	s_andn2_b64 s[2:3], s[2:3], exec
	s_or_b64 s[50:51], s[50:51], s[54:55]
                                        ; implicit-def: $sgpr54_sgpr55
	s_branch .LBB749_402
.LBB749_405:
	s_or_b64 exec, exec, s[46:47]
	s_xor_b64 s[2:3], s[48:49], -1
	s_andn2_b64 s[40:41], s[40:41], exec
	s_and_b64 s[2:3], s[2:3], exec
	s_or_b64 s[40:41], s[40:41], s[2:3]
.LBB749_406:
	s_or_b64 exec, exec, s[44:45]
	s_orn2_b64 s[40:41], s[40:41], exec
.LBB749_407:
	s_or_b64 exec, exec, s[42:43]
	v_cndmask_b32_e64 v6, v49, v53, s[40:41]
	v_cndmask_b32_e64 v7, v38, v37, s[40:41]
	v_add_u32_e32 v8, 1, v6
	v_add_u32_e32 v6, -1, v7
	v_min_u32_e32 v6, v8, v6
	v_lshl_add_u32 v6, v6, 3, v33
	ds_read_b64 v[6:7], v6
	v_cndmask_b32_e64 v50, v8, v49, s[40:41]
	v_cndmask_b32_e64 v49, v53, v8, s[40:41]
	v_cmp_lt_u32_e32 vcc, v50, v38
	s_waitcnt lgkmcnt(0)
	v_cndmask_b32_e64 v47, v7, v43, s[40:41]
	v_cndmask_b32_e64 v48, v6, v44, s[40:41]
	v_cndmask_b32_e64 v51, v45, v7, s[40:41]
	v_cndmask_b32_e64 v52, v46, v6, s[40:41]
	s_and_saveexec_b64 s[42:43], vcc
	s_cbranch_execz .LBB749_415
; %bb.408:
	v_cmp_lt_u32_e64 s[38:39], v49, v37
	s_xor_b64 s[2:3], s[10:11], -1
	s_and_b64 s[2:3], s[38:39], s[2:3]
	s_and_saveexec_b64 s[44:45], s[2:3]
	s_cbranch_execz .LBB749_414
; %bb.409:
	v_mul_lo_u32 v8, v47, s20
	v_mul_lo_u32 v9, v48, s21
	v_mad_u64_u32 v[6:7], s[2:3], v48, s20, 0
	v_add3_u32 v7, v7, v9, v8
	v_mul_lo_u32 v53, v51, s20
	v_mul_lo_u32 v54, v52, s21
	v_mad_u64_u32 v[8:9], s[2:3], v52, s20, 0
	v_add3_u32 v9, v9, v54, v53
	v_lshl_add_u64 v[6:7], v[6:7], 3, s[22:23]
	v_lshl_add_u64 v[8:9], v[8:9], 3, s[22:23]
	s_mov_b64 s[46:47], 0
	s_mov_b64 s[52:53], s[20:21]
                                        ; implicit-def: $sgpr48_sgpr49
                                        ; implicit-def: $sgpr50_sgpr51
                                        ; implicit-def: $sgpr2_sgpr3
                                        ; implicit-def: $sgpr54_sgpr55
	s_branch .LBB749_411
.LBB749_410:                            ;   in Loop: Header=BB749_411 Depth=1
	s_or_b64 exec, exec, s[58:59]
	s_and_b64 s[58:59], exec, s[50:51]
	s_or_b64 s[46:47], s[58:59], s[46:47]
	s_andn2_b64 s[54:55], s[54:55], exec
	s_and_b64 s[56:57], s[56:57], exec
	s_or_b64 s[54:55], s[54:55], s[56:57]
	s_andn2_b64 s[48:49], s[48:49], exec
	s_and_b64 s[56:57], s[2:3], exec
	s_or_b64 s[48:49], s[48:49], s[56:57]
	s_andn2_b64 exec, exec, s[46:47]
	s_cbranch_execz .LBB749_413
.LBB749_411:                            ; =>This Inner Loop Header: Depth=1
	global_load_dwordx2 v[54:55], v[6:7], off
	global_load_dwordx2 v[56:57], v[8:9], off
	s_andn2_b64 s[58:59], s[2:3], exec
	s_or_b64 s[50:51], s[50:51], exec
	s_waitcnt vmcnt(0)
	v_cmp_ngt_f64_e64 s[2:3], v[54:55], v[56:57]
	v_cmp_lt_f64_e32 vcc, v[54:55], v[56:57]
	s_and_b64 s[56:57], s[2:3], s[54:55]
	s_or_b64 s[56:57], vcc, s[56:57]
	s_xor_b64 s[60:61], vcc, s[2:3]
	s_and_b64 s[2:3], s[56:57], exec
	s_or_b64 s[2:3], s[58:59], s[2:3]
	s_and_saveexec_b64 s[58:59], s[60:61]
	s_cbranch_execz .LBB749_410
; %bb.412:                              ;   in Loop: Header=BB749_411 Depth=1
	s_add_u32 s52, s52, -1
	s_addc_u32 s53, s53, -1
	s_cmp_eq_u64 s[52:53], 0
	s_cselect_b64 s[54:55], -1, 0
	s_andn2_b64 s[50:51], s[50:51], exec
	s_and_b64 s[54:55], s[54:55], exec
	v_lshl_add_u64 v[6:7], v[6:7], 0, 8
	v_lshl_add_u64 v[8:9], v[8:9], 0, 8
	s_andn2_b64 s[2:3], s[2:3], exec
	s_or_b64 s[50:51], s[50:51], s[54:55]
                                        ; implicit-def: $sgpr54_sgpr55
	s_branch .LBB749_410
.LBB749_413:
	s_or_b64 exec, exec, s[46:47]
	s_xor_b64 s[2:3], s[48:49], -1
	s_andn2_b64 s[38:39], s[38:39], exec
	s_and_b64 s[2:3], s[2:3], exec
	s_or_b64 s[38:39], s[38:39], s[2:3]
.LBB749_414:
	s_or_b64 exec, exec, s[44:45]
	s_orn2_b64 s[38:39], s[38:39], exec
.LBB749_415:
	s_or_b64 exec, exec, s[42:43]
	v_cndmask_b32_e64 v11, v10, v11, s[30:31]
	v_cndmask_b32_e64 v10, v17, v23, s[30:31]
	;; [unrolled: 1-line block ×8, first 2 shown]
	v_add_u32_e32 v24, 1, v14
	v_add_u32_e32 v14, -1, v15
	v_min_u32_e32 v14, v24, v14
	v_lshl_add_u32 v14, v14, 3, v33
	ds_read_b64 v[22:23], v14
	v_cndmask_b32_e64 v25, v24, v50, s[38:39]
	v_cndmask_b32_e64 v9, v43, v45, s[40:41]
	;; [unrolled: 1-line block ×9, first 2 shown]
	s_waitcnt lgkmcnt(0)
	v_cndmask_b32_e64 v5, v51, v23, s[38:39]
	v_cndmask_b32_e64 v4, v52, v22, s[38:39]
	v_cmp_lt_u32_e32 vcc, v25, v38
	s_and_saveexec_b64 s[4:5], vcc
	s_cbranch_execz .LBB749_423
; %bb.416:
	v_cndmask_b32_e64 v39, v22, v48, s[38:39]
	v_cndmask_b32_e64 v22, v49, v24, s[38:39]
	v_cndmask_b32_e64 v38, v23, v47, s[38:39]
	v_cmp_ge_u32_e32 vcc, v22, v37
	s_nor_b64 s[2:3], vcc, s[10:11]
	s_nop 0
	v_cndmask_b32_e32 v23, v5, v38, vcc
	v_cndmask_b32_e32 v22, v4, v39, vcc
	s_and_saveexec_b64 s[26:27], s[2:3]
	s_cbranch_execz .LBB749_422
; %bb.417:
	v_mul_lo_u32 v24, v38, s20
	v_mul_lo_u32 v25, v39, s21
	v_mad_u64_u32 v[22:23], s[2:3], v39, s20, 0
	v_add3_u32 v23, v23, v25, v24
	v_mul_lo_u32 v37, v5, s20
	v_mul_lo_u32 v40, v4, s21
	v_mad_u64_u32 v[24:25], s[2:3], v4, s20, 0
	v_add3_u32 v25, v25, v40, v37
	v_lshl_add_u64 v[22:23], v[22:23], 3, s[22:23]
	v_lshl_add_u64 v[24:25], v[24:25], 3, s[22:23]
	s_mov_b64 s[30:31], 0
	s_mov_b64 s[38:39], s[20:21]
                                        ; implicit-def: $sgpr34_sgpr35
                                        ; implicit-def: $sgpr36_sgpr37
                                        ; implicit-def: $sgpr2_sgpr3
                                        ; implicit-def: $sgpr40_sgpr41
	s_branch .LBB749_419
.LBB749_418:                            ;   in Loop: Header=BB749_419 Depth=1
	s_or_b64 exec, exec, s[44:45]
	s_and_b64 s[44:45], exec, s[36:37]
	s_or_b64 s[30:31], s[44:45], s[30:31]
	s_andn2_b64 s[40:41], s[40:41], exec
	s_and_b64 s[42:43], s[42:43], exec
	s_or_b64 s[40:41], s[40:41], s[42:43]
	s_andn2_b64 s[34:35], s[34:35], exec
	s_and_b64 s[42:43], s[2:3], exec
	s_or_b64 s[34:35], s[34:35], s[42:43]
	s_andn2_b64 exec, exec, s[30:31]
	s_cbranch_execz .LBB749_421
.LBB749_419:                            ; =>This Inner Loop Header: Depth=1
	global_load_dwordx2 v[40:41], v[22:23], off
	global_load_dwordx2 v[42:43], v[24:25], off
	s_andn2_b64 s[44:45], s[2:3], exec
	s_or_b64 s[36:37], s[36:37], exec
	s_waitcnt vmcnt(0)
	v_cmp_ngt_f64_e64 s[2:3], v[40:41], v[42:43]
	v_cmp_lt_f64_e32 vcc, v[40:41], v[42:43]
	s_and_b64 s[42:43], s[2:3], s[40:41]
	s_or_b64 s[42:43], vcc, s[42:43]
	s_xor_b64 s[46:47], vcc, s[2:3]
	s_and_b64 s[2:3], s[42:43], exec
	s_or_b64 s[2:3], s[44:45], s[2:3]
	s_and_saveexec_b64 s[44:45], s[46:47]
	s_cbranch_execz .LBB749_418
; %bb.420:                              ;   in Loop: Header=BB749_419 Depth=1
	s_add_u32 s38, s38, -1
	s_addc_u32 s39, s39, -1
	s_cmp_eq_u64 s[38:39], 0
	s_cselect_b64 s[40:41], -1, 0
	s_andn2_b64 s[36:37], s[36:37], exec
	s_and_b64 s[40:41], s[40:41], exec
	v_lshl_add_u64 v[22:23], v[22:23], 0, 8
	v_lshl_add_u64 v[24:25], v[24:25], 0, 8
	s_andn2_b64 s[2:3], s[2:3], exec
	s_or_b64 s[36:37], s[36:37], s[40:41]
                                        ; implicit-def: $sgpr40_sgpr41
	s_branch .LBB749_418
.LBB749_421:
	s_or_b64 exec, exec, s[30:31]
	v_cndmask_b32_e64 v23, v5, v38, s[34:35]
	v_cndmask_b32_e64 v22, v4, v39, s[34:35]
.LBB749_422:
	s_or_b64 exec, exec, s[26:27]
	v_mov_b64_e32 v[4:5], v[22:23]
.LBB749_423:
	s_or_b64 exec, exec, s[4:5]
.LBB749_424:
	s_or_b64 exec, exec, s[12:13]
	v_and_b32_e32 v38, 0x380, v35
	v_or_b32_e32 v22, 64, v38
	; wave barrier
	ds_write_b128 v36, v[14:17]
	ds_write_b128 v36, v[10:13] offset:16
	ds_write_b128 v36, v[6:9] offset:32
	;; [unrolled: 1-line block ×3, first 2 shown]
	v_min_u32_e32 v36, v34, v22
	v_add_u32_e32 v22, 64, v36
	v_min_u32_e32 v37, v34, v22
	v_and_b32_e32 v22, 0x78, v35
	v_min_u32_e32 v39, v34, v22
	v_sub_u32_e32 v22, v36, v38
	v_sub_u32_e32 v23, v37, v36
	v_sub_u32_e64 v35, v39, v23 clamp
	v_min_u32_e32 v40, v39, v22
	v_lshl_add_u32 v34, v38, 3, v33
	v_cmp_lt_u32_e32 vcc, v35, v40
	; wave barrier
	s_and_saveexec_b64 s[4:5], vcc
	s_cbranch_execz .LBB749_434
; %bb.425:
	v_lshlrev_b32_e32 v22, 3, v36
	v_lshlrev_b32_e32 v23, 3, v39
	v_add3_u32 v41, v33, v22, v23
	s_lshl_b64 s[26:27], s[20:21], 3
	s_mov_b64 s[12:13], 0
	s_branch .LBB749_428
.LBB749_426:                            ;   in Loop: Header=BB749_428 Depth=1
	s_or_b64 exec, exec, s[34:35]
.LBB749_427:                            ;   in Loop: Header=BB749_428 Depth=1
	v_add_u32_e32 v22, 1, v42
	v_cndmask_b32_e64 v40, v40, v42, s[30:31]
	v_cndmask_b32_e64 v35, v22, v35, s[30:31]
	v_cmp_ge_u32_e32 vcc, v35, v40
	s_or_b64 s[12:13], vcc, s[12:13]
	s_andn2_b64 exec, exec, s[12:13]
	s_cbranch_execz .LBB749_433
.LBB749_428:                            ; =>This Loop Header: Depth=1
                                        ;     Child Loop BB749_431 Depth 2
	v_add_u32_e32 v22, v40, v35
	v_lshrrev_b32_e32 v42, 1, v22
	s_and_b64 vcc, exec, s[0:1]
	s_mov_b64 s[30:31], 0
	s_cbranch_vccnz .LBB749_427
; %bb.429:                              ;   in Loop: Header=BB749_428 Depth=1
	v_not_b32_e32 v22, v42
	v_lshl_add_u32 v22, v22, 3, v41
	ds_read_b64 v[22:23], v22
	v_lshl_add_u32 v43, v42, 3, v34
	ds_read_b64 v[44:45], v43
	v_mov_b64_e32 v[24:25], s[22:23]
	s_mov_b64 s[34:35], 0
	s_waitcnt lgkmcnt(1)
	v_mul_lo_u32 v43, s26, v23
	v_mul_lo_u32 v46, s27, v22
	v_mad_u64_u32 v[22:23], s[2:3], s26, v22, v[24:25]
	v_add3_u32 v23, v46, v23, v43
	s_waitcnt lgkmcnt(0)
	v_mul_lo_u32 v43, s26, v45
	v_mul_lo_u32 v45, s27, v44
	v_mad_u64_u32 v[24:25], s[2:3], s26, v44, v[24:25]
	v_add3_u32 v25, v45, v25, v43
	s_mov_b64 s[38:39], s[20:21]
                                        ; implicit-def: $sgpr30_sgpr31
                                        ; implicit-def: $sgpr36_sgpr37
                                        ; implicit-def: $sgpr2_sgpr3
                                        ; implicit-def: $sgpr40_sgpr41
	s_branch .LBB749_431
.LBB749_430:                            ;   in Loop: Header=BB749_431 Depth=2
	s_or_b64 exec, exec, s[44:45]
	s_and_b64 s[44:45], exec, s[36:37]
	s_or_b64 s[34:35], s[44:45], s[34:35]
	s_andn2_b64 s[40:41], s[40:41], exec
	s_and_b64 s[42:43], s[42:43], exec
	s_or_b64 s[40:41], s[40:41], s[42:43]
	s_andn2_b64 s[30:31], s[30:31], exec
	s_and_b64 s[42:43], s[2:3], exec
	s_or_b64 s[30:31], s[30:31], s[42:43]
	s_andn2_b64 exec, exec, s[34:35]
	s_cbranch_execz .LBB749_426
.LBB749_431:                            ;   Parent Loop BB749_428 Depth=1
                                        ; =>  This Inner Loop Header: Depth=2
	global_load_dwordx2 v[44:45], v[22:23], off
	global_load_dwordx2 v[46:47], v[24:25], off
	s_andn2_b64 s[44:45], s[2:3], exec
	s_or_b64 s[36:37], s[36:37], exec
	s_waitcnt vmcnt(0)
	v_cmp_ngt_f64_e64 s[2:3], v[44:45], v[46:47]
	v_cmp_lt_f64_e32 vcc, v[44:45], v[46:47]
	s_and_b64 s[42:43], s[2:3], s[40:41]
	s_or_b64 s[42:43], vcc, s[42:43]
	s_xor_b64 s[46:47], vcc, s[2:3]
	s_and_b64 s[2:3], s[42:43], exec
	s_or_b64 s[2:3], s[44:45], s[2:3]
	s_and_saveexec_b64 s[44:45], s[46:47]
	s_cbranch_execz .LBB749_430
; %bb.432:                              ;   in Loop: Header=BB749_431 Depth=2
	s_add_u32 s38, s38, -1
	s_addc_u32 s39, s39, -1
	s_cmp_eq_u64 s[38:39], 0
	s_cselect_b64 s[40:41], -1, 0
	s_andn2_b64 s[36:37], s[36:37], exec
	s_and_b64 s[40:41], s[40:41], exec
	v_lshl_add_u64 v[22:23], v[22:23], 0, 8
	v_lshl_add_u64 v[24:25], v[24:25], 0, 8
	s_andn2_b64 s[2:3], s[2:3], exec
	s_or_b64 s[36:37], s[36:37], s[40:41]
                                        ; implicit-def: $sgpr40_sgpr41
	s_branch .LBB749_430
.LBB749_433:
	s_or_b64 exec, exec, s[12:13]
.LBB749_434:
	s_or_b64 exec, exec, s[4:5]
	v_add_u32_e32 v22, v36, v39
	v_add_u32_e32 v23, v35, v38
	v_sub_u32_e32 v24, v22, v35
	v_cmp_le_u32_e32 vcc, v23, v36
	v_cmp_le_u32_e64 s[2:3], v24, v37
	s_or_b64 s[2:3], vcc, s[2:3]
	s_and_saveexec_b64 s[12:13], s[2:3]
	s_cbranch_execz .LBB749_502
; %bb.435:
	v_cmp_ge_u32_e32 vcc, v23, v36
	v_cmp_lt_u32_e64 s[2:3], v23, v36
                                        ; implicit-def: $vgpr2_vgpr3
	s_and_saveexec_b64 s[4:5], s[2:3]
; %bb.436:
	v_lshl_add_u32 v2, v35, 3, v34
	ds_read_b64 v[2:3], v2
; %bb.437:
	s_or_b64 exec, exec, s[4:5]
	v_cmp_ge_u32_e64 s[2:3], v24, v37
	v_cmp_lt_u32_e64 s[4:5], v24, v37
                                        ; implicit-def: $vgpr4_vgpr5
	s_and_saveexec_b64 s[26:27], s[4:5]
; %bb.438:
	v_lshl_add_u32 v4, v24, 3, v33
	ds_read_b64 v[4:5], v4
; %bb.439:
	s_or_b64 exec, exec, s[26:27]
	s_or_b64 s[4:5], vcc, s[2:3]
	s_nor_b64 s[30:31], s[4:5], s[10:11]
	s_xor_b64 s[4:5], vcc, -1
	s_or_b64 s[4:5], s[2:3], s[4:5]
	s_and_saveexec_b64 s[26:27], s[30:31]
	s_cbranch_execz .LBB749_445
; %bb.440:
	s_waitcnt lgkmcnt(0)
	v_mul_lo_u32 v8, v5, s20
	v_mul_lo_u32 v9, v4, s21
	v_mad_u64_u32 v[6:7], s[2:3], v4, s20, 0
	v_add3_u32 v7, v7, v9, v8
	v_mul_lo_u32 v10, v3, s20
	v_mul_lo_u32 v11, v2, s21
	v_mad_u64_u32 v[8:9], s[2:3], v2, s20, 0
	v_add3_u32 v9, v9, v11, v10
	v_lshl_add_u64 v[6:7], v[6:7], 3, s[22:23]
	v_lshl_add_u64 v[8:9], v[8:9], 3, s[22:23]
	s_mov_b64 s[30:31], 0
	s_mov_b64 s[38:39], s[20:21]
                                        ; implicit-def: $sgpr34_sgpr35
                                        ; implicit-def: $sgpr36_sgpr37
                                        ; implicit-def: $sgpr2_sgpr3
                                        ; implicit-def: $sgpr40_sgpr41
	s_branch .LBB749_442
.LBB749_441:                            ;   in Loop: Header=BB749_442 Depth=1
	s_or_b64 exec, exec, s[44:45]
	s_and_b64 s[44:45], exec, s[36:37]
	s_or_b64 s[30:31], s[44:45], s[30:31]
	s_andn2_b64 s[40:41], s[40:41], exec
	s_and_b64 s[42:43], s[42:43], exec
	s_or_b64 s[40:41], s[40:41], s[42:43]
	s_andn2_b64 s[34:35], s[34:35], exec
	s_and_b64 s[42:43], s[2:3], exec
	s_or_b64 s[34:35], s[34:35], s[42:43]
	s_andn2_b64 exec, exec, s[30:31]
	s_cbranch_execz .LBB749_444
.LBB749_442:                            ; =>This Inner Loop Header: Depth=1
	global_load_dwordx2 v[10:11], v[6:7], off
	global_load_dwordx2 v[12:13], v[8:9], off
	s_andn2_b64 s[44:45], s[2:3], exec
	s_or_b64 s[36:37], s[36:37], exec
	s_waitcnt vmcnt(0)
	v_cmp_ngt_f64_e64 s[2:3], v[10:11], v[12:13]
	v_cmp_lt_f64_e32 vcc, v[10:11], v[12:13]
	s_and_b64 s[42:43], s[2:3], s[40:41]
	s_or_b64 s[42:43], vcc, s[42:43]
	s_xor_b64 s[46:47], vcc, s[2:3]
	s_and_b64 s[2:3], s[42:43], exec
	s_or_b64 s[2:3], s[44:45], s[2:3]
	s_and_saveexec_b64 s[44:45], s[46:47]
	s_cbranch_execz .LBB749_441
; %bb.443:                              ;   in Loop: Header=BB749_442 Depth=1
	s_add_u32 s38, s38, -1
	s_addc_u32 s39, s39, -1
	s_cmp_eq_u64 s[38:39], 0
	s_cselect_b64 s[40:41], -1, 0
	s_andn2_b64 s[36:37], s[36:37], exec
	s_and_b64 s[40:41], s[40:41], exec
	v_lshl_add_u64 v[6:7], v[6:7], 0, 8
	v_lshl_add_u64 v[8:9], v[8:9], 0, 8
	s_andn2_b64 s[2:3], s[2:3], exec
	s_or_b64 s[36:37], s[36:37], s[40:41]
                                        ; implicit-def: $sgpr40_sgpr41
	s_branch .LBB749_441
.LBB749_444:
	s_or_b64 exec, exec, s[30:31]
	s_xor_b64 s[2:3], s[34:35], -1
	s_andn2_b64 s[4:5], s[4:5], exec
	s_and_b64 s[2:3], s[2:3], exec
	s_or_b64 s[4:5], s[4:5], s[2:3]
.LBB749_445:
	s_or_b64 exec, exec, s[26:27]
	v_cndmask_b32_e64 v6, v24, v23, s[4:5]
	v_cndmask_b32_e64 v7, v37, v36, s[4:5]
	v_add_u32_e32 v8, 1, v6
	v_add_u32_e32 v6, -1, v7
	v_min_u32_e32 v6, v8, v6
	v_lshl_add_u32 v6, v6, 3, v33
	ds_read_b64 v[6:7], v6
	v_cndmask_b32_e64 v12, v8, v24, s[4:5]
	v_cndmask_b32_e64 v13, v23, v8, s[4:5]
	v_cmp_lt_u32_e32 vcc, v12, v37
	s_mov_b64 s[30:31], -1
	s_waitcnt lgkmcnt(0)
	v_cndmask_b32_e64 v14, v7, v5, s[4:5]
	v_cndmask_b32_e64 v15, v6, v4, s[4:5]
	;; [unrolled: 1-line block ×4, first 2 shown]
	s_mov_b64 s[26:27], -1
	s_and_saveexec_b64 s[34:35], vcc
	s_cbranch_execz .LBB749_453
; %bb.446:
	v_cmp_lt_u32_e64 s[26:27], v13, v36
	s_xor_b64 s[2:3], s[10:11], -1
	s_and_b64 s[2:3], s[26:27], s[2:3]
	s_and_saveexec_b64 s[36:37], s[2:3]
	s_cbranch_execz .LBB749_452
; %bb.447:
	v_mul_lo_u32 v8, v14, s20
	v_mul_lo_u32 v9, v15, s21
	v_mad_u64_u32 v[6:7], s[2:3], v15, s20, 0
	v_add3_u32 v7, v7, v9, v8
	v_mul_lo_u32 v10, v16, s20
	v_mul_lo_u32 v11, v22, s21
	v_mad_u64_u32 v[8:9], s[2:3], v22, s20, 0
	v_add3_u32 v9, v9, v11, v10
	v_lshl_add_u64 v[6:7], v[6:7], 3, s[22:23]
	v_lshl_add_u64 v[8:9], v[8:9], 3, s[22:23]
	s_mov_b64 s[38:39], 0
	s_mov_b64 s[44:45], s[20:21]
                                        ; implicit-def: $sgpr40_sgpr41
                                        ; implicit-def: $sgpr42_sgpr43
                                        ; implicit-def: $sgpr2_sgpr3
                                        ; implicit-def: $sgpr46_sgpr47
	s_branch .LBB749_449
.LBB749_448:                            ;   in Loop: Header=BB749_449 Depth=1
	s_or_b64 exec, exec, s[50:51]
	s_and_b64 s[50:51], exec, s[42:43]
	s_or_b64 s[38:39], s[50:51], s[38:39]
	s_andn2_b64 s[46:47], s[46:47], exec
	s_and_b64 s[48:49], s[48:49], exec
	s_or_b64 s[46:47], s[46:47], s[48:49]
	s_andn2_b64 s[40:41], s[40:41], exec
	s_and_b64 s[48:49], s[2:3], exec
	s_or_b64 s[40:41], s[40:41], s[48:49]
	s_andn2_b64 exec, exec, s[38:39]
	s_cbranch_execz .LBB749_451
.LBB749_449:                            ; =>This Inner Loop Header: Depth=1
	global_load_dwordx2 v[10:11], v[6:7], off
	global_load_dwordx2 v[24:25], v[8:9], off
	s_andn2_b64 s[50:51], s[2:3], exec
	s_or_b64 s[42:43], s[42:43], exec
	s_waitcnt vmcnt(0)
	v_cmp_ngt_f64_e64 s[2:3], v[10:11], v[24:25]
	v_cmp_lt_f64_e32 vcc, v[10:11], v[24:25]
	s_and_b64 s[48:49], s[2:3], s[46:47]
	s_or_b64 s[48:49], vcc, s[48:49]
	s_xor_b64 s[52:53], vcc, s[2:3]
	s_and_b64 s[2:3], s[48:49], exec
	s_or_b64 s[2:3], s[50:51], s[2:3]
	s_and_saveexec_b64 s[50:51], s[52:53]
	s_cbranch_execz .LBB749_448
; %bb.450:                              ;   in Loop: Header=BB749_449 Depth=1
	s_add_u32 s44, s44, -1
	s_addc_u32 s45, s45, -1
	s_cmp_eq_u64 s[44:45], 0
	s_cselect_b64 s[46:47], -1, 0
	s_andn2_b64 s[42:43], s[42:43], exec
	s_and_b64 s[46:47], s[46:47], exec
	v_lshl_add_u64 v[6:7], v[6:7], 0, 8
	v_lshl_add_u64 v[8:9], v[8:9], 0, 8
	s_andn2_b64 s[2:3], s[2:3], exec
	s_or_b64 s[42:43], s[42:43], s[46:47]
                                        ; implicit-def: $sgpr46_sgpr47
	s_branch .LBB749_448
.LBB749_451:
	s_or_b64 exec, exec, s[38:39]
	s_xor_b64 s[2:3], s[40:41], -1
	s_andn2_b64 s[26:27], s[26:27], exec
	s_and_b64 s[2:3], s[2:3], exec
	s_or_b64 s[26:27], s[26:27], s[2:3]
.LBB749_452:
	s_or_b64 exec, exec, s[36:37]
	s_orn2_b64 s[26:27], s[26:27], exec
.LBB749_453:
	s_or_b64 exec, exec, s[34:35]
	v_cndmask_b32_e64 v6, v12, v13, s[26:27]
	v_cndmask_b32_e64 v7, v37, v36, s[26:27]
	v_add_u32_e32 v8, 1, v6
	v_add_u32_e32 v6, -1, v7
	v_min_u32_e32 v6, v8, v6
	v_lshl_add_u32 v6, v6, 3, v33
	ds_read_b64 v[6:7], v6
	v_cndmask_b32_e64 v34, v8, v12, s[26:27]
	v_cndmask_b32_e64 v35, v13, v8, s[26:27]
	v_cmp_lt_u32_e32 vcc, v34, v37
	s_waitcnt lgkmcnt(0)
	v_cndmask_b32_e64 v10, v7, v14, s[26:27]
	v_cndmask_b32_e64 v17, v6, v15, s[26:27]
	;; [unrolled: 1-line block ×4, first 2 shown]
	s_and_saveexec_b64 s[34:35], vcc
	s_cbranch_execz .LBB749_461
; %bb.454:
	v_cmp_lt_u32_e64 s[30:31], v35, v36
	s_xor_b64 s[2:3], s[10:11], -1
	s_and_b64 s[2:3], s[30:31], s[2:3]
	s_and_saveexec_b64 s[36:37], s[2:3]
	s_cbranch_execz .LBB749_460
; %bb.455:
	v_mul_lo_u32 v8, v10, s20
	v_mul_lo_u32 v9, v17, s21
	v_mad_u64_u32 v[6:7], s[2:3], v17, s20, 0
	v_add3_u32 v7, v7, v9, v8
	v_mul_lo_u32 v12, v11, s20
	v_mul_lo_u32 v13, v23, s21
	v_mad_u64_u32 v[8:9], s[2:3], v23, s20, 0
	v_add3_u32 v9, v9, v13, v12
	v_lshl_add_u64 v[6:7], v[6:7], 3, s[22:23]
	v_lshl_add_u64 v[8:9], v[8:9], 3, s[22:23]
	s_mov_b64 s[38:39], 0
	s_mov_b64 s[44:45], s[20:21]
                                        ; implicit-def: $sgpr40_sgpr41
                                        ; implicit-def: $sgpr42_sgpr43
                                        ; implicit-def: $sgpr2_sgpr3
                                        ; implicit-def: $sgpr46_sgpr47
	s_branch .LBB749_457
.LBB749_456:                            ;   in Loop: Header=BB749_457 Depth=1
	s_or_b64 exec, exec, s[50:51]
	s_and_b64 s[50:51], exec, s[42:43]
	s_or_b64 s[38:39], s[50:51], s[38:39]
	s_andn2_b64 s[46:47], s[46:47], exec
	s_and_b64 s[48:49], s[48:49], exec
	s_or_b64 s[46:47], s[46:47], s[48:49]
	s_andn2_b64 s[40:41], s[40:41], exec
	s_and_b64 s[48:49], s[2:3], exec
	s_or_b64 s[40:41], s[40:41], s[48:49]
	s_andn2_b64 exec, exec, s[38:39]
	s_cbranch_execz .LBB749_459
.LBB749_457:                            ; =>This Inner Loop Header: Depth=1
	global_load_dwordx2 v[12:13], v[6:7], off
	global_load_dwordx2 v[24:25], v[8:9], off
	s_andn2_b64 s[50:51], s[2:3], exec
	s_or_b64 s[42:43], s[42:43], exec
	s_waitcnt vmcnt(0)
	v_cmp_ngt_f64_e64 s[2:3], v[12:13], v[24:25]
	v_cmp_lt_f64_e32 vcc, v[12:13], v[24:25]
	s_and_b64 s[48:49], s[2:3], s[46:47]
	s_or_b64 s[48:49], vcc, s[48:49]
	s_xor_b64 s[52:53], vcc, s[2:3]
	s_and_b64 s[2:3], s[48:49], exec
	s_or_b64 s[2:3], s[50:51], s[2:3]
	s_and_saveexec_b64 s[50:51], s[52:53]
	s_cbranch_execz .LBB749_456
; %bb.458:                              ;   in Loop: Header=BB749_457 Depth=1
	s_add_u32 s44, s44, -1
	s_addc_u32 s45, s45, -1
	s_cmp_eq_u64 s[44:45], 0
	s_cselect_b64 s[46:47], -1, 0
	s_andn2_b64 s[42:43], s[42:43], exec
	s_and_b64 s[46:47], s[46:47], exec
	v_lshl_add_u64 v[6:7], v[6:7], 0, 8
	v_lshl_add_u64 v[8:9], v[8:9], 0, 8
	s_andn2_b64 s[2:3], s[2:3], exec
	s_or_b64 s[42:43], s[42:43], s[46:47]
                                        ; implicit-def: $sgpr46_sgpr47
	s_branch .LBB749_456
.LBB749_459:
	s_or_b64 exec, exec, s[38:39]
	s_xor_b64 s[2:3], s[40:41], -1
	s_andn2_b64 s[30:31], s[30:31], exec
	s_and_b64 s[2:3], s[2:3], exec
	s_or_b64 s[30:31], s[30:31], s[2:3]
.LBB749_460:
	s_or_b64 exec, exec, s[36:37]
	s_orn2_b64 s[30:31], s[30:31], exec
.LBB749_461:
	s_or_b64 exec, exec, s[34:35]
	v_cndmask_b32_e64 v6, v34, v35, s[30:31]
	v_cndmask_b32_e64 v7, v37, v36, s[30:31]
	v_add_u32_e32 v8, 1, v6
	v_add_u32_e32 v6, -1, v7
	v_min_u32_e32 v6, v8, v6
	v_lshl_add_u32 v6, v6, 3, v33
	ds_read_b64 v[6:7], v6
	v_cndmask_b32_e64 v40, v8, v34, s[30:31]
	v_cndmask_b32_e64 v41, v35, v8, s[30:31]
	v_cmp_lt_u32_e32 vcc, v40, v37
	s_mov_b64 s[36:37], -1
	s_waitcnt lgkmcnt(0)
	v_cndmask_b32_e64 v12, v7, v10, s[30:31]
	v_cndmask_b32_e64 v24, v6, v17, s[30:31]
	;; [unrolled: 1-line block ×4, first 2 shown]
	s_mov_b64 s[34:35], -1
	s_and_saveexec_b64 s[38:39], vcc
	s_cbranch_execz .LBB749_469
; %bb.462:
	v_cmp_lt_u32_e64 s[34:35], v41, v36
	s_xor_b64 s[2:3], s[10:11], -1
	s_and_b64 s[2:3], s[34:35], s[2:3]
	s_and_saveexec_b64 s[40:41], s[2:3]
	s_cbranch_execz .LBB749_468
; %bb.463:
	v_mul_lo_u32 v8, v12, s20
	v_mul_lo_u32 v9, v24, s21
	v_mad_u64_u32 v[6:7], s[2:3], v24, s20, 0
	v_add3_u32 v7, v7, v9, v8
	v_mul_lo_u32 v34, v13, s20
	v_mul_lo_u32 v35, v25, s21
	v_mad_u64_u32 v[8:9], s[2:3], v25, s20, 0
	v_add3_u32 v9, v9, v35, v34
	v_lshl_add_u64 v[6:7], v[6:7], 3, s[22:23]
	v_lshl_add_u64 v[8:9], v[8:9], 3, s[22:23]
	s_mov_b64 s[42:43], 0
	s_mov_b64 s[48:49], s[20:21]
                                        ; implicit-def: $sgpr44_sgpr45
                                        ; implicit-def: $sgpr46_sgpr47
                                        ; implicit-def: $sgpr2_sgpr3
                                        ; implicit-def: $sgpr50_sgpr51
	s_branch .LBB749_465
.LBB749_464:                            ;   in Loop: Header=BB749_465 Depth=1
	s_or_b64 exec, exec, s[54:55]
	s_and_b64 s[54:55], exec, s[46:47]
	s_or_b64 s[42:43], s[54:55], s[42:43]
	s_andn2_b64 s[50:51], s[50:51], exec
	s_and_b64 s[52:53], s[52:53], exec
	s_or_b64 s[50:51], s[50:51], s[52:53]
	s_andn2_b64 s[44:45], s[44:45], exec
	s_and_b64 s[52:53], s[2:3], exec
	s_or_b64 s[44:45], s[44:45], s[52:53]
	s_andn2_b64 exec, exec, s[42:43]
	s_cbranch_execz .LBB749_467
.LBB749_465:                            ; =>This Inner Loop Header: Depth=1
	global_load_dwordx2 v[34:35], v[6:7], off
	global_load_dwordx2 v[38:39], v[8:9], off
	s_andn2_b64 s[54:55], s[2:3], exec
	s_or_b64 s[46:47], s[46:47], exec
	s_waitcnt vmcnt(0)
	v_cmp_ngt_f64_e64 s[2:3], v[34:35], v[38:39]
	v_cmp_lt_f64_e32 vcc, v[34:35], v[38:39]
	s_and_b64 s[52:53], s[2:3], s[50:51]
	s_or_b64 s[52:53], vcc, s[52:53]
	s_xor_b64 s[56:57], vcc, s[2:3]
	s_and_b64 s[2:3], s[52:53], exec
	s_or_b64 s[2:3], s[54:55], s[2:3]
	s_and_saveexec_b64 s[54:55], s[56:57]
	s_cbranch_execz .LBB749_464
; %bb.466:                              ;   in Loop: Header=BB749_465 Depth=1
	s_add_u32 s48, s48, -1
	s_addc_u32 s49, s49, -1
	s_cmp_eq_u64 s[48:49], 0
	s_cselect_b64 s[50:51], -1, 0
	s_andn2_b64 s[46:47], s[46:47], exec
	s_and_b64 s[50:51], s[50:51], exec
	v_lshl_add_u64 v[6:7], v[6:7], 0, 8
	v_lshl_add_u64 v[8:9], v[8:9], 0, 8
	s_andn2_b64 s[2:3], s[2:3], exec
	s_or_b64 s[46:47], s[46:47], s[50:51]
                                        ; implicit-def: $sgpr50_sgpr51
	s_branch .LBB749_464
.LBB749_467:
	s_or_b64 exec, exec, s[42:43]
	s_xor_b64 s[2:3], s[44:45], -1
	s_andn2_b64 s[34:35], s[34:35], exec
	s_and_b64 s[2:3], s[2:3], exec
	s_or_b64 s[34:35], s[34:35], s[2:3]
.LBB749_468:
	s_or_b64 exec, exec, s[40:41]
	s_orn2_b64 s[34:35], s[34:35], exec
.LBB749_469:
	s_or_b64 exec, exec, s[38:39]
	v_cndmask_b32_e64 v6, v40, v41, s[34:35]
	v_cndmask_b32_e64 v7, v37, v36, s[34:35]
	v_add_u32_e32 v8, 1, v6
	v_add_u32_e32 v6, -1, v7
	v_min_u32_e32 v6, v8, v6
	v_lshl_add_u32 v6, v6, 3, v33
	ds_read_b64 v[6:7], v6
	v_cndmask_b32_e64 v44, v8, v40, s[34:35]
	v_cndmask_b32_e64 v45, v41, v8, s[34:35]
	v_cmp_lt_u32_e32 vcc, v44, v37
	s_waitcnt lgkmcnt(0)
	v_cndmask_b32_e64 v34, v7, v12, s[34:35]
	v_cndmask_b32_e64 v35, v6, v24, s[34:35]
	;; [unrolled: 1-line block ×4, first 2 shown]
	s_and_saveexec_b64 s[38:39], vcc
	s_cbranch_execz .LBB749_477
; %bb.470:
	v_cmp_lt_u32_e64 s[36:37], v45, v36
	s_xor_b64 s[2:3], s[10:11], -1
	s_and_b64 s[2:3], s[36:37], s[2:3]
	s_and_saveexec_b64 s[40:41], s[2:3]
	s_cbranch_execz .LBB749_476
; %bb.471:
	v_mul_lo_u32 v8, v34, s20
	v_mul_lo_u32 v9, v35, s21
	v_mad_u64_u32 v[6:7], s[2:3], v35, s20, 0
	v_add3_u32 v7, v7, v9, v8
	v_mul_lo_u32 v40, v38, s20
	v_mul_lo_u32 v41, v39, s21
	v_mad_u64_u32 v[8:9], s[2:3], v39, s20, 0
	v_add3_u32 v9, v9, v41, v40
	v_lshl_add_u64 v[6:7], v[6:7], 3, s[22:23]
	v_lshl_add_u64 v[8:9], v[8:9], 3, s[22:23]
	s_mov_b64 s[42:43], 0
	s_mov_b64 s[48:49], s[20:21]
                                        ; implicit-def: $sgpr44_sgpr45
                                        ; implicit-def: $sgpr46_sgpr47
                                        ; implicit-def: $sgpr2_sgpr3
                                        ; implicit-def: $sgpr50_sgpr51
	s_branch .LBB749_473
.LBB749_472:                            ;   in Loop: Header=BB749_473 Depth=1
	s_or_b64 exec, exec, s[54:55]
	s_and_b64 s[54:55], exec, s[46:47]
	s_or_b64 s[42:43], s[54:55], s[42:43]
	s_andn2_b64 s[50:51], s[50:51], exec
	s_and_b64 s[52:53], s[52:53], exec
	s_or_b64 s[50:51], s[50:51], s[52:53]
	s_andn2_b64 s[44:45], s[44:45], exec
	s_and_b64 s[52:53], s[2:3], exec
	s_or_b64 s[44:45], s[44:45], s[52:53]
	s_andn2_b64 exec, exec, s[42:43]
	s_cbranch_execz .LBB749_475
.LBB749_473:                            ; =>This Inner Loop Header: Depth=1
	global_load_dwordx2 v[40:41], v[6:7], off
	global_load_dwordx2 v[42:43], v[8:9], off
	s_andn2_b64 s[54:55], s[2:3], exec
	s_or_b64 s[46:47], s[46:47], exec
	s_waitcnt vmcnt(0)
	v_cmp_ngt_f64_e64 s[2:3], v[40:41], v[42:43]
	v_cmp_lt_f64_e32 vcc, v[40:41], v[42:43]
	s_and_b64 s[52:53], s[2:3], s[50:51]
	s_or_b64 s[52:53], vcc, s[52:53]
	s_xor_b64 s[56:57], vcc, s[2:3]
	s_and_b64 s[2:3], s[52:53], exec
	s_or_b64 s[2:3], s[54:55], s[2:3]
	s_and_saveexec_b64 s[54:55], s[56:57]
	s_cbranch_execz .LBB749_472
; %bb.474:                              ;   in Loop: Header=BB749_473 Depth=1
	s_add_u32 s48, s48, -1
	s_addc_u32 s49, s49, -1
	s_cmp_eq_u64 s[48:49], 0
	s_cselect_b64 s[50:51], -1, 0
	s_andn2_b64 s[46:47], s[46:47], exec
	s_and_b64 s[50:51], s[50:51], exec
	v_lshl_add_u64 v[6:7], v[6:7], 0, 8
	v_lshl_add_u64 v[8:9], v[8:9], 0, 8
	s_andn2_b64 s[2:3], s[2:3], exec
	s_or_b64 s[46:47], s[46:47], s[50:51]
                                        ; implicit-def: $sgpr50_sgpr51
	s_branch .LBB749_472
.LBB749_475:
	s_or_b64 exec, exec, s[42:43]
	s_xor_b64 s[2:3], s[44:45], -1
	s_andn2_b64 s[36:37], s[36:37], exec
	s_and_b64 s[2:3], s[2:3], exec
	s_or_b64 s[36:37], s[36:37], s[2:3]
.LBB749_476:
	s_or_b64 exec, exec, s[40:41]
	s_orn2_b64 s[36:37], s[36:37], exec
.LBB749_477:
	s_or_b64 exec, exec, s[38:39]
	v_cndmask_b32_e64 v6, v44, v45, s[36:37]
	v_cndmask_b32_e64 v7, v37, v36, s[36:37]
	v_add_u32_e32 v8, 1, v6
	v_add_u32_e32 v6, -1, v7
	v_min_u32_e32 v6, v8, v6
	v_lshl_add_u32 v6, v6, 3, v33
	ds_read_b64 v[6:7], v6
	v_cndmask_b32_e64 v46, v8, v44, s[36:37]
	v_cndmask_b32_e64 v50, v45, v8, s[36:37]
	v_cmp_lt_u32_e32 vcc, v46, v37
	s_mov_b64 s[38:39], -1
	s_waitcnt lgkmcnt(0)
	v_cndmask_b32_e64 v40, v7, v34, s[36:37]
	v_cndmask_b32_e64 v41, v6, v35, s[36:37]
	;; [unrolled: 1-line block ×4, first 2 shown]
	s_mov_b64 s[40:41], -1
	s_and_saveexec_b64 s[42:43], vcc
	s_cbranch_execz .LBB749_485
; %bb.478:
	v_cmp_lt_u32_e64 s[40:41], v50, v36
	s_xor_b64 s[2:3], s[10:11], -1
	s_and_b64 s[2:3], s[40:41], s[2:3]
	s_and_saveexec_b64 s[44:45], s[2:3]
	s_cbranch_execz .LBB749_484
; %bb.479:
	v_mul_lo_u32 v8, v40, s20
	v_mul_lo_u32 v9, v41, s21
	v_mad_u64_u32 v[6:7], s[2:3], v41, s20, 0
	v_add3_u32 v7, v7, v9, v8
	v_mul_lo_u32 v44, v42, s20
	v_mul_lo_u32 v45, v43, s21
	v_mad_u64_u32 v[8:9], s[2:3], v43, s20, 0
	v_add3_u32 v9, v9, v45, v44
	v_lshl_add_u64 v[6:7], v[6:7], 3, s[22:23]
	v_lshl_add_u64 v[8:9], v[8:9], 3, s[22:23]
	s_mov_b64 s[46:47], 0
	s_mov_b64 s[52:53], s[20:21]
                                        ; implicit-def: $sgpr48_sgpr49
                                        ; implicit-def: $sgpr50_sgpr51
                                        ; implicit-def: $sgpr2_sgpr3
                                        ; implicit-def: $sgpr54_sgpr55
	s_branch .LBB749_481
.LBB749_480:                            ;   in Loop: Header=BB749_481 Depth=1
	s_or_b64 exec, exec, s[58:59]
	s_and_b64 s[58:59], exec, s[50:51]
	s_or_b64 s[46:47], s[58:59], s[46:47]
	s_andn2_b64 s[54:55], s[54:55], exec
	s_and_b64 s[56:57], s[56:57], exec
	s_or_b64 s[54:55], s[54:55], s[56:57]
	s_andn2_b64 s[48:49], s[48:49], exec
	s_and_b64 s[56:57], s[2:3], exec
	s_or_b64 s[48:49], s[48:49], s[56:57]
	s_andn2_b64 exec, exec, s[46:47]
	s_cbranch_execz .LBB749_483
.LBB749_481:                            ; =>This Inner Loop Header: Depth=1
	global_load_dwordx2 v[44:45], v[6:7], off
	global_load_dwordx2 v[48:49], v[8:9], off
	s_andn2_b64 s[58:59], s[2:3], exec
	s_or_b64 s[50:51], s[50:51], exec
	s_waitcnt vmcnt(0)
	v_cmp_ngt_f64_e64 s[2:3], v[44:45], v[48:49]
	v_cmp_lt_f64_e32 vcc, v[44:45], v[48:49]
	s_and_b64 s[56:57], s[2:3], s[54:55]
	s_or_b64 s[56:57], vcc, s[56:57]
	s_xor_b64 s[60:61], vcc, s[2:3]
	s_and_b64 s[2:3], s[56:57], exec
	s_or_b64 s[2:3], s[58:59], s[2:3]
	s_and_saveexec_b64 s[58:59], s[60:61]
	s_cbranch_execz .LBB749_480
; %bb.482:                              ;   in Loop: Header=BB749_481 Depth=1
	s_add_u32 s52, s52, -1
	s_addc_u32 s53, s53, -1
	s_cmp_eq_u64 s[52:53], 0
	s_cselect_b64 s[54:55], -1, 0
	s_andn2_b64 s[50:51], s[50:51], exec
	s_and_b64 s[54:55], s[54:55], exec
	v_lshl_add_u64 v[6:7], v[6:7], 0, 8
	v_lshl_add_u64 v[8:9], v[8:9], 0, 8
	s_andn2_b64 s[2:3], s[2:3], exec
	s_or_b64 s[50:51], s[50:51], s[54:55]
                                        ; implicit-def: $sgpr54_sgpr55
	s_branch .LBB749_480
.LBB749_483:
	s_or_b64 exec, exec, s[46:47]
	s_xor_b64 s[2:3], s[48:49], -1
	s_andn2_b64 s[40:41], s[40:41], exec
	s_and_b64 s[2:3], s[2:3], exec
	s_or_b64 s[40:41], s[40:41], s[2:3]
.LBB749_484:
	s_or_b64 exec, exec, s[44:45]
	s_orn2_b64 s[40:41], s[40:41], exec
.LBB749_485:
	s_or_b64 exec, exec, s[42:43]
	v_cndmask_b32_e64 v6, v46, v50, s[40:41]
	v_cndmask_b32_e64 v7, v37, v36, s[40:41]
	v_add_u32_e32 v8, 1, v6
	v_add_u32_e32 v6, -1, v7
	v_min_u32_e32 v6, v8, v6
	v_lshl_add_u32 v6, v6, 3, v33
	ds_read_b64 v[6:7], v6
	v_cndmask_b32_e64 v47, v8, v46, s[40:41]
	v_cndmask_b32_e64 v46, v50, v8, s[40:41]
	v_cmp_lt_u32_e32 vcc, v47, v37
	s_waitcnt lgkmcnt(0)
	v_cndmask_b32_e64 v44, v7, v40, s[40:41]
	v_cndmask_b32_e64 v45, v6, v41, s[40:41]
	;; [unrolled: 1-line block ×4, first 2 shown]
	s_and_saveexec_b64 s[42:43], vcc
	s_cbranch_execz .LBB749_493
; %bb.486:
	v_cmp_lt_u32_e64 s[38:39], v46, v36
	s_xor_b64 s[2:3], s[10:11], -1
	s_and_b64 s[2:3], s[38:39], s[2:3]
	s_and_saveexec_b64 s[44:45], s[2:3]
	s_cbranch_execz .LBB749_492
; %bb.487:
	v_mul_lo_u32 v8, v44, s20
	v_mul_lo_u32 v9, v45, s21
	v_mad_u64_u32 v[6:7], s[2:3], v45, s20, 0
	v_add3_u32 v7, v7, v9, v8
	v_mul_lo_u32 v50, v48, s20
	v_mul_lo_u32 v51, v49, s21
	v_mad_u64_u32 v[8:9], s[2:3], v49, s20, 0
	v_add3_u32 v9, v9, v51, v50
	v_lshl_add_u64 v[6:7], v[6:7], 3, s[22:23]
	v_lshl_add_u64 v[8:9], v[8:9], 3, s[22:23]
	s_mov_b64 s[46:47], 0
	s_mov_b64 s[52:53], s[20:21]
                                        ; implicit-def: $sgpr48_sgpr49
                                        ; implicit-def: $sgpr50_sgpr51
                                        ; implicit-def: $sgpr2_sgpr3
                                        ; implicit-def: $sgpr54_sgpr55
	s_branch .LBB749_489
.LBB749_488:                            ;   in Loop: Header=BB749_489 Depth=1
	s_or_b64 exec, exec, s[58:59]
	s_and_b64 s[58:59], exec, s[50:51]
	s_or_b64 s[46:47], s[58:59], s[46:47]
	s_andn2_b64 s[54:55], s[54:55], exec
	s_and_b64 s[56:57], s[56:57], exec
	s_or_b64 s[54:55], s[54:55], s[56:57]
	s_andn2_b64 s[48:49], s[48:49], exec
	s_and_b64 s[56:57], s[2:3], exec
	s_or_b64 s[48:49], s[48:49], s[56:57]
	s_andn2_b64 exec, exec, s[46:47]
	s_cbranch_execz .LBB749_491
.LBB749_489:                            ; =>This Inner Loop Header: Depth=1
	global_load_dwordx2 v[50:51], v[6:7], off
	global_load_dwordx2 v[52:53], v[8:9], off
	s_andn2_b64 s[58:59], s[2:3], exec
	s_or_b64 s[50:51], s[50:51], exec
	s_waitcnt vmcnt(0)
	v_cmp_ngt_f64_e64 s[2:3], v[50:51], v[52:53]
	v_cmp_lt_f64_e32 vcc, v[50:51], v[52:53]
	s_and_b64 s[56:57], s[2:3], s[54:55]
	s_or_b64 s[56:57], vcc, s[56:57]
	s_xor_b64 s[60:61], vcc, s[2:3]
	s_and_b64 s[2:3], s[56:57], exec
	s_or_b64 s[2:3], s[58:59], s[2:3]
	s_and_saveexec_b64 s[58:59], s[60:61]
	s_cbranch_execz .LBB749_488
; %bb.490:                              ;   in Loop: Header=BB749_489 Depth=1
	s_add_u32 s52, s52, -1
	s_addc_u32 s53, s53, -1
	s_cmp_eq_u64 s[52:53], 0
	s_cselect_b64 s[54:55], -1, 0
	s_andn2_b64 s[50:51], s[50:51], exec
	s_and_b64 s[54:55], s[54:55], exec
	v_lshl_add_u64 v[6:7], v[6:7], 0, 8
	v_lshl_add_u64 v[8:9], v[8:9], 0, 8
	s_andn2_b64 s[2:3], s[2:3], exec
	s_or_b64 s[50:51], s[50:51], s[54:55]
                                        ; implicit-def: $sgpr54_sgpr55
	s_branch .LBB749_488
.LBB749_491:
	s_or_b64 exec, exec, s[46:47]
	s_xor_b64 s[2:3], s[48:49], -1
	s_andn2_b64 s[38:39], s[38:39], exec
	s_and_b64 s[2:3], s[2:3], exec
	s_or_b64 s[38:39], s[38:39], s[2:3]
.LBB749_492:
	s_or_b64 exec, exec, s[44:45]
	s_orn2_b64 s[38:39], s[38:39], exec
.LBB749_493:
	s_or_b64 exec, exec, s[42:43]
	v_cndmask_b32_e64 v11, v10, v11, s[30:31]
	v_cndmask_b32_e64 v10, v17, v23, s[30:31]
	;; [unrolled: 1-line block ×8, first 2 shown]
	v_add_u32_e32 v24, 1, v14
	v_add_u32_e32 v14, -1, v15
	v_min_u32_e32 v14, v24, v14
	v_lshl_add_u32 v14, v14, 3, v33
	ds_read_b64 v[22:23], v14
	v_cndmask_b32_e64 v25, v24, v47, s[38:39]
	v_cndmask_b32_e64 v9, v40, v42, s[40:41]
	v_cndmask_b32_e64 v8, v41, v43, s[40:41]
	v_cndmask_b32_e64 v7, v34, v38, s[36:37]
	v_cndmask_b32_e64 v6, v35, v39, s[36:37]
	v_cndmask_b32_e64 v15, v5, v3, s[4:5]
	v_cndmask_b32_e64 v14, v4, v2, s[4:5]
	v_cndmask_b32_e64 v3, v44, v48, s[38:39]
	v_cndmask_b32_e64 v2, v45, v49, s[38:39]
	s_waitcnt lgkmcnt(0)
	v_cndmask_b32_e64 v5, v48, v23, s[38:39]
	v_cndmask_b32_e64 v4, v49, v22, s[38:39]
	v_cmp_lt_u32_e32 vcc, v25, v37
	s_and_saveexec_b64 s[4:5], vcc
	s_cbranch_execz .LBB749_501
; %bb.494:
	v_cndmask_b32_e64 v34, v22, v45, s[38:39]
	v_cndmask_b32_e64 v22, v46, v24, s[38:39]
	;; [unrolled: 1-line block ×3, first 2 shown]
	v_cmp_ge_u32_e32 vcc, v22, v36
	s_nor_b64 s[2:3], vcc, s[10:11]
	s_nop 0
	v_cndmask_b32_e32 v23, v5, v33, vcc
	v_cndmask_b32_e32 v22, v4, v34, vcc
	s_and_saveexec_b64 s[26:27], s[2:3]
	s_cbranch_execz .LBB749_500
; %bb.495:
	v_mul_lo_u32 v24, v33, s20
	v_mul_lo_u32 v25, v34, s21
	v_mad_u64_u32 v[22:23], s[2:3], v34, s20, 0
	v_add3_u32 v23, v23, v25, v24
	v_mul_lo_u32 v35, v5, s20
	v_mul_lo_u32 v36, v4, s21
	v_mad_u64_u32 v[24:25], s[2:3], v4, s20, 0
	v_add3_u32 v25, v25, v36, v35
	v_lshl_add_u64 v[22:23], v[22:23], 3, s[22:23]
	v_lshl_add_u64 v[24:25], v[24:25], 3, s[22:23]
	s_mov_b64 s[30:31], 0
	s_mov_b64 s[38:39], s[20:21]
                                        ; implicit-def: $sgpr34_sgpr35
                                        ; implicit-def: $sgpr36_sgpr37
                                        ; implicit-def: $sgpr2_sgpr3
                                        ; implicit-def: $sgpr40_sgpr41
	s_branch .LBB749_497
.LBB749_496:                            ;   in Loop: Header=BB749_497 Depth=1
	s_or_b64 exec, exec, s[44:45]
	s_and_b64 s[44:45], exec, s[36:37]
	s_or_b64 s[30:31], s[44:45], s[30:31]
	s_andn2_b64 s[40:41], s[40:41], exec
	s_and_b64 s[42:43], s[42:43], exec
	s_or_b64 s[40:41], s[40:41], s[42:43]
	s_andn2_b64 s[34:35], s[34:35], exec
	s_and_b64 s[42:43], s[2:3], exec
	s_or_b64 s[34:35], s[34:35], s[42:43]
	s_andn2_b64 exec, exec, s[30:31]
	s_cbranch_execz .LBB749_499
.LBB749_497:                            ; =>This Inner Loop Header: Depth=1
	global_load_dwordx2 v[36:37], v[22:23], off
	global_load_dwordx2 v[38:39], v[24:25], off
	s_andn2_b64 s[44:45], s[2:3], exec
	s_or_b64 s[36:37], s[36:37], exec
	s_waitcnt vmcnt(0)
	v_cmp_ngt_f64_e64 s[2:3], v[36:37], v[38:39]
	v_cmp_lt_f64_e32 vcc, v[36:37], v[38:39]
	s_and_b64 s[42:43], s[2:3], s[40:41]
	s_or_b64 s[42:43], vcc, s[42:43]
	s_xor_b64 s[46:47], vcc, s[2:3]
	s_and_b64 s[2:3], s[42:43], exec
	s_or_b64 s[2:3], s[44:45], s[2:3]
	s_and_saveexec_b64 s[44:45], s[46:47]
	s_cbranch_execz .LBB749_496
; %bb.498:                              ;   in Loop: Header=BB749_497 Depth=1
	s_add_u32 s38, s38, -1
	s_addc_u32 s39, s39, -1
	s_cmp_eq_u64 s[38:39], 0
	s_cselect_b64 s[40:41], -1, 0
	s_andn2_b64 s[36:37], s[36:37], exec
	s_and_b64 s[40:41], s[40:41], exec
	v_lshl_add_u64 v[22:23], v[22:23], 0, 8
	v_lshl_add_u64 v[24:25], v[24:25], 0, 8
	s_andn2_b64 s[2:3], s[2:3], exec
	s_or_b64 s[36:37], s[36:37], s[40:41]
                                        ; implicit-def: $sgpr40_sgpr41
	s_branch .LBB749_496
.LBB749_499:
	s_or_b64 exec, exec, s[30:31]
	v_cndmask_b32_e64 v23, v5, v33, s[34:35]
	v_cndmask_b32_e64 v22, v4, v34, s[34:35]
.LBB749_500:
	s_or_b64 exec, exec, s[26:27]
	v_mov_b64_e32 v[4:5], v[22:23]
.LBB749_501:
	s_or_b64 exec, exec, s[4:5]
.LBB749_502:
	s_or_b64 exec, exec, s[12:13]
	v_lshlrev_b32_e32 v33, 3, v20
	s_lshl_b64 s[12:13], s[20:21], 3
	s_movk_i32 s9, 0x80
	; wave barrier
	s_waitcnt lgkmcnt(0)
	s_barrier
.LBB749_503:                            ; =>This Loop Header: Depth=1
                                        ;     Child Loop BB749_507 Depth 2
                                        ;       Child Loop BB749_510 Depth 3
                                        ;     Child Loop BB749_521 Depth 2
                                        ;     Child Loop BB749_528 Depth 2
	;; [unrolled: 1-line block ×8, first 2 shown]
	s_lshl_b32 s15, s9, 1
	s_sub_i32 s3, 0, s15
	v_and_b32_e32 v38, s3, v20
	v_add_u32_e32 v22, s9, v38
	v_min_u32_e32 v34, 0x800, v22
	s_add_i32 s2, s15, -1
	v_add_u32_e32 v22, s9, v34
	v_min_u32_e32 v35, 0x800, v22
	v_and_b32_e32 v22, s2, v20
	v_min_u32_e32 v39, 0x800, v22
	v_sub_u32_e32 v22, v34, v38
	v_sub_u32_e32 v23, v35, v34
	v_sub_u32_e64 v37, v39, v23 clamp
	v_min_u32_e32 v40, v39, v22
	v_lshlrev_b32_e32 v36, 3, v38
	v_cmp_lt_u32_e32 vcc, v37, v40
	ds_write_b128 v33, v[14:17]
	ds_write_b128 v33, v[10:13] offset:16
	ds_write_b128 v33, v[6:9] offset:32
	;; [unrolled: 1-line block ×3, first 2 shown]
	s_waitcnt lgkmcnt(0)
	s_barrier
	s_and_saveexec_b64 s[4:5], vcc
	s_cbranch_execz .LBB749_513
; %bb.504:                              ;   in Loop: Header=BB749_503 Depth=1
	v_lshlrev_b32_e32 v22, 3, v39
	v_lshl_add_u32 v41, v34, 3, v22
	s_mov_b64 s[26:27], 0
	s_branch .LBB749_507
.LBB749_505:                            ;   in Loop: Header=BB749_507 Depth=2
	s_or_b64 exec, exec, s[34:35]
.LBB749_506:                            ;   in Loop: Header=BB749_507 Depth=2
	v_add_u32_e32 v22, 1, v42
	v_cndmask_b32_e64 v40, v40, v42, s[30:31]
	v_cndmask_b32_e64 v37, v22, v37, s[30:31]
	v_cmp_ge_u32_e32 vcc, v37, v40
	s_or_b64 s[26:27], vcc, s[26:27]
	s_andn2_b64 exec, exec, s[26:27]
	s_cbranch_execz .LBB749_512
.LBB749_507:                            ;   Parent Loop BB749_503 Depth=1
                                        ; =>  This Loop Header: Depth=2
                                        ;       Child Loop BB749_510 Depth 3
	v_add_u32_e32 v22, v40, v37
	v_lshrrev_b32_e32 v42, 1, v22
	s_and_b64 vcc, exec, s[0:1]
	s_mov_b64 s[30:31], 0
	s_cbranch_vccnz .LBB749_506
; %bb.508:                              ;   in Loop: Header=BB749_507 Depth=2
	v_not_b32_e32 v22, v42
	v_lshl_add_u32 v22, v22, 3, v41
	ds_read_b64 v[22:23], v22
	v_lshl_add_u32 v43, v42, 3, v36
	ds_read_b64 v[44:45], v43
	v_mov_b64_e32 v[24:25], s[22:23]
	s_mov_b64 s[34:35], 0
	s_waitcnt lgkmcnt(1)
	v_mul_lo_u32 v43, s12, v23
	v_mul_lo_u32 v46, s13, v22
	v_mad_u64_u32 v[22:23], s[2:3], s12, v22, v[24:25]
	v_add3_u32 v23, v46, v23, v43
	s_waitcnt lgkmcnt(0)
	v_mul_lo_u32 v43, s12, v45
	v_mul_lo_u32 v45, s13, v44
	v_mad_u64_u32 v[24:25], s[2:3], s12, v44, v[24:25]
	v_add3_u32 v25, v45, v25, v43
	s_mov_b64 s[38:39], s[20:21]
                                        ; implicit-def: $sgpr30_sgpr31
                                        ; implicit-def: $sgpr36_sgpr37
                                        ; implicit-def: $sgpr2_sgpr3
                                        ; implicit-def: $sgpr40_sgpr41
	s_branch .LBB749_510
.LBB749_509:                            ;   in Loop: Header=BB749_510 Depth=3
	s_or_b64 exec, exec, s[44:45]
	s_and_b64 s[44:45], exec, s[36:37]
	s_or_b64 s[34:35], s[44:45], s[34:35]
	s_andn2_b64 s[40:41], s[40:41], exec
	s_and_b64 s[42:43], s[42:43], exec
	s_or_b64 s[40:41], s[40:41], s[42:43]
	s_andn2_b64 s[30:31], s[30:31], exec
	s_and_b64 s[42:43], s[2:3], exec
	s_or_b64 s[30:31], s[30:31], s[42:43]
	s_andn2_b64 exec, exec, s[34:35]
	s_cbranch_execz .LBB749_505
.LBB749_510:                            ;   Parent Loop BB749_503 Depth=1
                                        ;     Parent Loop BB749_507 Depth=2
                                        ; =>    This Inner Loop Header: Depth=3
	global_load_dwordx2 v[44:45], v[22:23], off
	global_load_dwordx2 v[46:47], v[24:25], off
	s_andn2_b64 s[44:45], s[2:3], exec
	s_or_b64 s[36:37], s[36:37], exec
	s_waitcnt vmcnt(0)
	v_cmp_ngt_f64_e64 s[2:3], v[44:45], v[46:47]
	v_cmp_lt_f64_e32 vcc, v[44:45], v[46:47]
	s_and_b64 s[42:43], s[2:3], s[40:41]
	s_or_b64 s[42:43], vcc, s[42:43]
	s_xor_b64 s[46:47], vcc, s[2:3]
	s_and_b64 s[2:3], s[42:43], exec
	s_or_b64 s[2:3], s[44:45], s[2:3]
	s_and_saveexec_b64 s[44:45], s[46:47]
	s_cbranch_execz .LBB749_509
; %bb.511:                              ;   in Loop: Header=BB749_510 Depth=3
	s_add_u32 s38, s38, -1
	s_addc_u32 s39, s39, -1
	s_cmp_eq_u64 s[38:39], 0
	s_cselect_b64 s[40:41], -1, 0
	s_andn2_b64 s[36:37], s[36:37], exec
	s_and_b64 s[40:41], s[40:41], exec
	v_lshl_add_u64 v[22:23], v[22:23], 0, 8
	v_lshl_add_u64 v[24:25], v[24:25], 0, 8
	s_andn2_b64 s[2:3], s[2:3], exec
	s_or_b64 s[36:37], s[36:37], s[40:41]
                                        ; implicit-def: $sgpr40_sgpr41
	s_branch .LBB749_509
.LBB749_512:                            ;   in Loop: Header=BB749_503 Depth=1
	s_or_b64 exec, exec, s[26:27]
.LBB749_513:                            ;   in Loop: Header=BB749_503 Depth=1
	s_or_b64 exec, exec, s[4:5]
	v_sub_u32_e32 v22, v39, v37
	v_add_u32_e32 v24, v37, v38
	v_add_u32_e32 v25, v22, v34
	v_cmp_le_u32_e32 vcc, v24, v34
	v_cmp_le_u32_e64 s[2:3], v25, v35
	s_or_b64 s[2:3], vcc, s[2:3]
	s_and_saveexec_b64 s[26:27], s[2:3]
	s_cbranch_execz .LBB749_581
; %bb.514:                              ;   in Loop: Header=BB749_503 Depth=1
	v_cmp_ge_u32_e32 vcc, v24, v34
	v_cmp_lt_u32_e64 s[2:3], v24, v34
                                        ; implicit-def: $vgpr2_vgpr3
	s_and_saveexec_b64 s[4:5], s[2:3]
; %bb.515:                              ;   in Loop: Header=BB749_503 Depth=1
	v_lshl_add_u32 v2, v37, 3, v36
	ds_read_b64 v[2:3], v2
; %bb.516:                              ;   in Loop: Header=BB749_503 Depth=1
	s_or_b64 exec, exec, s[4:5]
	v_cmp_ge_u32_e64 s[2:3], v25, v35
	v_cmp_lt_u32_e64 s[4:5], v25, v35
                                        ; implicit-def: $vgpr14_vgpr15
	s_and_saveexec_b64 s[30:31], s[4:5]
; %bb.517:                              ;   in Loop: Header=BB749_503 Depth=1
	v_lshlrev_b32_e32 v4, 3, v25
	ds_read_b64 v[14:15], v4
; %bb.518:                              ;   in Loop: Header=BB749_503 Depth=1
	s_or_b64 exec, exec, s[30:31]
	s_or_b64 s[4:5], vcc, s[2:3]
	s_nor_b64 s[34:35], s[4:5], s[10:11]
	s_xor_b64 s[4:5], vcc, -1
	s_or_b64 s[4:5], s[2:3], s[4:5]
	s_and_saveexec_b64 s[30:31], s[34:35]
	s_cbranch_execz .LBB749_524
; %bb.519:                              ;   in Loop: Header=BB749_503 Depth=1
	v_mov_b64_e32 v[6:7], s[22:23]
	s_waitcnt lgkmcnt(0)
	v_mad_u64_u32 v[4:5], s[2:3], s12, v14, v[6:7]
	v_mul_lo_u32 v8, s12, v15
	v_mul_lo_u32 v9, s13, v14
	v_add3_u32 v5, v9, v5, v8
	v_mad_u64_u32 v[6:7], s[2:3], s12, v2, v[6:7]
	v_mul_lo_u32 v8, s12, v3
	v_mul_lo_u32 v9, s13, v2
	v_add3_u32 v7, v9, v7, v8
	s_mov_b64 s[34:35], 0
	s_mov_b64 s[40:41], s[20:21]
                                        ; implicit-def: $sgpr36_sgpr37
                                        ; implicit-def: $sgpr38_sgpr39
                                        ; implicit-def: $sgpr2_sgpr3
                                        ; implicit-def: $sgpr42_sgpr43
	s_branch .LBB749_521
.LBB749_520:                            ;   in Loop: Header=BB749_521 Depth=2
	s_or_b64 exec, exec, s[46:47]
	s_and_b64 s[46:47], exec, s[38:39]
	s_or_b64 s[34:35], s[46:47], s[34:35]
	s_andn2_b64 s[42:43], s[42:43], exec
	s_and_b64 s[44:45], s[44:45], exec
	s_or_b64 s[42:43], s[42:43], s[44:45]
	s_andn2_b64 s[36:37], s[36:37], exec
	s_and_b64 s[44:45], s[2:3], exec
	s_or_b64 s[36:37], s[36:37], s[44:45]
	s_andn2_b64 exec, exec, s[34:35]
	s_cbranch_execz .LBB749_523
.LBB749_521:                            ;   Parent Loop BB749_503 Depth=1
                                        ; =>  This Inner Loop Header: Depth=2
	global_load_dwordx2 v[8:9], v[4:5], off
	global_load_dwordx2 v[10:11], v[6:7], off
	s_andn2_b64 s[46:47], s[2:3], exec
	s_or_b64 s[38:39], s[38:39], exec
	s_waitcnt vmcnt(0)
	v_cmp_ngt_f64_e64 s[2:3], v[8:9], v[10:11]
	v_cmp_lt_f64_e32 vcc, v[8:9], v[10:11]
	s_and_b64 s[44:45], s[2:3], s[42:43]
	s_or_b64 s[44:45], vcc, s[44:45]
	s_xor_b64 s[48:49], vcc, s[2:3]
	s_and_b64 s[2:3], s[44:45], exec
	s_or_b64 s[2:3], s[46:47], s[2:3]
	s_and_saveexec_b64 s[46:47], s[48:49]
	s_cbranch_execz .LBB749_520
; %bb.522:                              ;   in Loop: Header=BB749_521 Depth=2
	s_add_u32 s40, s40, -1
	s_addc_u32 s41, s41, -1
	s_cmp_eq_u64 s[40:41], 0
	s_cselect_b64 s[42:43], -1, 0
	s_andn2_b64 s[38:39], s[38:39], exec
	s_and_b64 s[42:43], s[42:43], exec
	v_lshl_add_u64 v[4:5], v[4:5], 0, 8
	v_lshl_add_u64 v[6:7], v[6:7], 0, 8
	s_andn2_b64 s[2:3], s[2:3], exec
	s_or_b64 s[38:39], s[38:39], s[42:43]
                                        ; implicit-def: $sgpr42_sgpr43
	s_branch .LBB749_520
.LBB749_523:                            ;   in Loop: Header=BB749_503 Depth=1
	s_or_b64 exec, exec, s[34:35]
	s_xor_b64 s[2:3], s[36:37], -1
	s_andn2_b64 s[4:5], s[4:5], exec
	s_and_b64 s[2:3], s[2:3], exec
	s_or_b64 s[4:5], s[4:5], s[2:3]
.LBB749_524:                            ;   in Loop: Header=BB749_503 Depth=1
	s_or_b64 exec, exec, s[30:31]
	v_cndmask_b32_e64 v4, v25, v24, s[4:5]
	v_cndmask_b32_e64 v5, v35, v34, s[4:5]
	v_add_u32_e32 v6, 1, v4
	v_add_u32_e32 v4, -1, v5
	v_min_u32_e32 v4, v6, v4
	v_lshlrev_b32_e32 v4, 3, v4
	ds_read_b64 v[4:5], v4
	v_cndmask_b32_e64 v8, v6, v25, s[4:5]
	v_cndmask_b32_e64 v9, v24, v6, s[4:5]
	v_cmp_lt_u32_e32 vcc, v8, v35
	s_mov_b64 s[34:35], -1
	s_waitcnt lgkmcnt(0)
	v_cndmask_b32_e64 v16, v5, v15, s[4:5]
	v_cndmask_b32_e64 v22, v4, v14, s[4:5]
	;; [unrolled: 1-line block ×4, first 2 shown]
	s_mov_b64 s[30:31], -1
	s_and_saveexec_b64 s[36:37], vcc
	s_cbranch_execz .LBB749_532
; %bb.525:                              ;   in Loop: Header=BB749_503 Depth=1
	v_cmp_lt_u32_e64 s[30:31], v9, v34
	s_xor_b64 s[2:3], s[10:11], -1
	s_and_b64 s[2:3], s[30:31], s[2:3]
	s_and_saveexec_b64 s[38:39], s[2:3]
	s_cbranch_execz .LBB749_531
; %bb.526:                              ;   in Loop: Header=BB749_503 Depth=1
	v_mov_b64_e32 v[6:7], s[22:23]
	v_mad_u64_u32 v[4:5], s[2:3], s12, v22, v[6:7]
	v_mul_lo_u32 v10, s12, v16
	v_mul_lo_u32 v11, s13, v22
	v_add3_u32 v5, v11, v5, v10
	v_mad_u64_u32 v[6:7], s[2:3], s12, v23, v[6:7]
	v_mul_lo_u32 v10, s12, v17
	v_mul_lo_u32 v11, s13, v23
	v_add3_u32 v7, v11, v7, v10
	s_mov_b64 s[40:41], 0
	s_mov_b64 s[46:47], s[20:21]
                                        ; implicit-def: $sgpr42_sgpr43
                                        ; implicit-def: $sgpr44_sgpr45
                                        ; implicit-def: $sgpr2_sgpr3
                                        ; implicit-def: $sgpr48_sgpr49
	s_branch .LBB749_528
.LBB749_527:                            ;   in Loop: Header=BB749_528 Depth=2
	s_or_b64 exec, exec, s[52:53]
	s_and_b64 s[52:53], exec, s[44:45]
	s_or_b64 s[40:41], s[52:53], s[40:41]
	s_andn2_b64 s[48:49], s[48:49], exec
	s_and_b64 s[50:51], s[50:51], exec
	s_or_b64 s[48:49], s[48:49], s[50:51]
	s_andn2_b64 s[42:43], s[42:43], exec
	s_and_b64 s[50:51], s[2:3], exec
	s_or_b64 s[42:43], s[42:43], s[50:51]
	s_andn2_b64 exec, exec, s[40:41]
	s_cbranch_execz .LBB749_530
.LBB749_528:                            ;   Parent Loop BB749_503 Depth=1
                                        ; =>  This Inner Loop Header: Depth=2
	global_load_dwordx2 v[10:11], v[4:5], off
	global_load_dwordx2 v[12:13], v[6:7], off
	s_andn2_b64 s[52:53], s[2:3], exec
	s_or_b64 s[44:45], s[44:45], exec
	s_waitcnt vmcnt(0)
	v_cmp_ngt_f64_e64 s[2:3], v[10:11], v[12:13]
	v_cmp_lt_f64_e32 vcc, v[10:11], v[12:13]
	s_and_b64 s[50:51], s[2:3], s[48:49]
	s_or_b64 s[50:51], vcc, s[50:51]
	s_xor_b64 s[54:55], vcc, s[2:3]
	s_and_b64 s[2:3], s[50:51], exec
	s_or_b64 s[2:3], s[52:53], s[2:3]
	s_and_saveexec_b64 s[52:53], s[54:55]
	s_cbranch_execz .LBB749_527
; %bb.529:                              ;   in Loop: Header=BB749_528 Depth=2
	s_add_u32 s46, s46, -1
	s_addc_u32 s47, s47, -1
	s_cmp_eq_u64 s[46:47], 0
	s_cselect_b64 s[48:49], -1, 0
	s_andn2_b64 s[44:45], s[44:45], exec
	s_and_b64 s[48:49], s[48:49], exec
	v_lshl_add_u64 v[4:5], v[4:5], 0, 8
	v_lshl_add_u64 v[6:7], v[6:7], 0, 8
	s_andn2_b64 s[2:3], s[2:3], exec
	s_or_b64 s[44:45], s[44:45], s[48:49]
                                        ; implicit-def: $sgpr48_sgpr49
	s_branch .LBB749_527
.LBB749_530:                            ;   in Loop: Header=BB749_503 Depth=1
	s_or_b64 exec, exec, s[40:41]
	s_xor_b64 s[2:3], s[42:43], -1
	s_andn2_b64 s[30:31], s[30:31], exec
	s_and_b64 s[2:3], s[2:3], exec
	s_or_b64 s[30:31], s[30:31], s[2:3]
.LBB749_531:                            ;   in Loop: Header=BB749_503 Depth=1
	s_or_b64 exec, exec, s[38:39]
	s_orn2_b64 s[30:31], s[30:31], exec
.LBB749_532:                            ;   in Loop: Header=BB749_503 Depth=1
	s_or_b64 exec, exec, s[36:37]
	v_cndmask_b32_e64 v4, v8, v9, s[30:31]
	v_cndmask_b32_e64 v5, v35, v34, s[30:31]
	v_add_u32_e32 v6, 1, v4
	v_add_u32_e32 v4, -1, v5
	v_min_u32_e32 v4, v6, v4
	v_lshlrev_b32_e32 v4, 3, v4
	ds_read_b64 v[4:5], v4
	v_cndmask_b32_e64 v8, v6, v8, s[30:31]
	v_cndmask_b32_e64 v9, v9, v6, s[30:31]
	v_cmp_lt_u32_e32 vcc, v8, v35
	s_waitcnt lgkmcnt(0)
	v_cndmask_b32_e64 v10, v5, v16, s[30:31]
	v_cndmask_b32_e64 v24, v4, v22, s[30:31]
	;; [unrolled: 1-line block ×4, first 2 shown]
	s_and_saveexec_b64 s[36:37], vcc
	s_cbranch_execz .LBB749_540
; %bb.533:                              ;   in Loop: Header=BB749_503 Depth=1
	v_cmp_lt_u32_e64 s[34:35], v9, v34
	s_xor_b64 s[2:3], s[10:11], -1
	s_and_b64 s[2:3], s[34:35], s[2:3]
	s_and_saveexec_b64 s[38:39], s[2:3]
	s_cbranch_execz .LBB749_539
; %bb.534:                              ;   in Loop: Header=BB749_503 Depth=1
	v_mov_b64_e32 v[6:7], s[22:23]
	v_mad_u64_u32 v[4:5], s[2:3], s12, v24, v[6:7]
	v_mul_lo_u32 v12, s12, v10
	v_mul_lo_u32 v13, s13, v24
	v_add3_u32 v5, v13, v5, v12
	v_mad_u64_u32 v[6:7], s[2:3], s12, v25, v[6:7]
	v_mul_lo_u32 v12, s12, v11
	v_mul_lo_u32 v13, s13, v25
	v_add3_u32 v7, v13, v7, v12
	s_mov_b64 s[40:41], 0
	s_mov_b64 s[46:47], s[20:21]
                                        ; implicit-def: $sgpr42_sgpr43
                                        ; implicit-def: $sgpr44_sgpr45
                                        ; implicit-def: $sgpr2_sgpr3
                                        ; implicit-def: $sgpr48_sgpr49
	s_branch .LBB749_536
.LBB749_535:                            ;   in Loop: Header=BB749_536 Depth=2
	s_or_b64 exec, exec, s[52:53]
	s_and_b64 s[52:53], exec, s[44:45]
	s_or_b64 s[40:41], s[52:53], s[40:41]
	s_andn2_b64 s[48:49], s[48:49], exec
	s_and_b64 s[50:51], s[50:51], exec
	s_or_b64 s[48:49], s[48:49], s[50:51]
	s_andn2_b64 s[42:43], s[42:43], exec
	s_and_b64 s[50:51], s[2:3], exec
	s_or_b64 s[42:43], s[42:43], s[50:51]
	s_andn2_b64 exec, exec, s[40:41]
	s_cbranch_execz .LBB749_538
.LBB749_536:                            ;   Parent Loop BB749_503 Depth=1
                                        ; =>  This Inner Loop Header: Depth=2
	global_load_dwordx2 v[12:13], v[4:5], off
	global_load_dwordx2 v[36:37], v[6:7], off
	s_andn2_b64 s[52:53], s[2:3], exec
	s_or_b64 s[44:45], s[44:45], exec
	s_waitcnt vmcnt(0)
	v_cmp_ngt_f64_e64 s[2:3], v[12:13], v[36:37]
	v_cmp_lt_f64_e32 vcc, v[12:13], v[36:37]
	s_and_b64 s[50:51], s[2:3], s[48:49]
	s_or_b64 s[50:51], vcc, s[50:51]
	s_xor_b64 s[54:55], vcc, s[2:3]
	s_and_b64 s[2:3], s[50:51], exec
	s_or_b64 s[2:3], s[52:53], s[2:3]
	s_and_saveexec_b64 s[52:53], s[54:55]
	s_cbranch_execz .LBB749_535
; %bb.537:                              ;   in Loop: Header=BB749_536 Depth=2
	s_add_u32 s46, s46, -1
	s_addc_u32 s47, s47, -1
	s_cmp_eq_u64 s[46:47], 0
	s_cselect_b64 s[48:49], -1, 0
	s_andn2_b64 s[44:45], s[44:45], exec
	s_and_b64 s[48:49], s[48:49], exec
	v_lshl_add_u64 v[4:5], v[4:5], 0, 8
	v_lshl_add_u64 v[6:7], v[6:7], 0, 8
	s_andn2_b64 s[2:3], s[2:3], exec
	s_or_b64 s[44:45], s[44:45], s[48:49]
                                        ; implicit-def: $sgpr48_sgpr49
	s_branch .LBB749_535
.LBB749_538:                            ;   in Loop: Header=BB749_503 Depth=1
	s_or_b64 exec, exec, s[40:41]
	s_xor_b64 s[2:3], s[42:43], -1
	s_andn2_b64 s[34:35], s[34:35], exec
	s_and_b64 s[2:3], s[2:3], exec
	s_or_b64 s[34:35], s[34:35], s[2:3]
.LBB749_539:                            ;   in Loop: Header=BB749_503 Depth=1
	s_or_b64 exec, exec, s[38:39]
	s_orn2_b64 s[34:35], s[34:35], exec
.LBB749_540:                            ;   in Loop: Header=BB749_503 Depth=1
	s_or_b64 exec, exec, s[36:37]
	v_cndmask_b32_e64 v4, v8, v9, s[34:35]
	v_cndmask_b32_e64 v5, v35, v34, s[34:35]
	v_add_u32_e32 v6, 1, v4
	v_add_u32_e32 v4, -1, v5
	v_min_u32_e32 v4, v6, v4
	v_lshlrev_b32_e32 v4, 3, v4
	ds_read_b64 v[4:5], v4
	v_cndmask_b32_e64 v8, v6, v8, s[34:35]
	v_cndmask_b32_e64 v9, v9, v6, s[34:35]
	v_cmp_lt_u32_e32 vcc, v8, v35
	s_mov_b64 s[38:39], -1
	s_waitcnt lgkmcnt(0)
	v_cndmask_b32_e64 v12, v5, v10, s[34:35]
	v_cndmask_b32_e64 v36, v4, v24, s[34:35]
	;; [unrolled: 1-line block ×4, first 2 shown]
	s_mov_b64 s[36:37], -1
	s_and_saveexec_b64 s[40:41], vcc
	s_cbranch_execz .LBB749_548
; %bb.541:                              ;   in Loop: Header=BB749_503 Depth=1
	v_cmp_lt_u32_e64 s[36:37], v9, v34
	s_xor_b64 s[2:3], s[10:11], -1
	s_and_b64 s[2:3], s[36:37], s[2:3]
	s_and_saveexec_b64 s[42:43], s[2:3]
	s_cbranch_execz .LBB749_547
; %bb.542:                              ;   in Loop: Header=BB749_503 Depth=1
	v_mov_b64_e32 v[6:7], s[22:23]
	v_mad_u64_u32 v[4:5], s[2:3], s12, v36, v[6:7]
	v_mul_lo_u32 v38, s12, v12
	v_mul_lo_u32 v39, s13, v36
	v_add3_u32 v5, v39, v5, v38
	v_mad_u64_u32 v[6:7], s[2:3], s12, v37, v[6:7]
	v_mul_lo_u32 v38, s12, v13
	v_mul_lo_u32 v39, s13, v37
	v_add3_u32 v7, v39, v7, v38
	s_mov_b64 s[44:45], 0
	s_mov_b64 s[50:51], s[20:21]
                                        ; implicit-def: $sgpr46_sgpr47
                                        ; implicit-def: $sgpr48_sgpr49
                                        ; implicit-def: $sgpr2_sgpr3
                                        ; implicit-def: $sgpr52_sgpr53
	s_branch .LBB749_544
.LBB749_543:                            ;   in Loop: Header=BB749_544 Depth=2
	s_or_b64 exec, exec, s[56:57]
	s_and_b64 s[56:57], exec, s[48:49]
	s_or_b64 s[44:45], s[56:57], s[44:45]
	s_andn2_b64 s[52:53], s[52:53], exec
	s_and_b64 s[54:55], s[54:55], exec
	s_or_b64 s[52:53], s[52:53], s[54:55]
	s_andn2_b64 s[46:47], s[46:47], exec
	s_and_b64 s[54:55], s[2:3], exec
	s_or_b64 s[46:47], s[46:47], s[54:55]
	s_andn2_b64 exec, exec, s[44:45]
	s_cbranch_execz .LBB749_546
.LBB749_544:                            ;   Parent Loop BB749_503 Depth=1
                                        ; =>  This Inner Loop Header: Depth=2
	global_load_dwordx2 v[38:39], v[4:5], off
	global_load_dwordx2 v[40:41], v[6:7], off
	s_andn2_b64 s[56:57], s[2:3], exec
	s_or_b64 s[48:49], s[48:49], exec
	s_waitcnt vmcnt(0)
	v_cmp_ngt_f64_e64 s[2:3], v[38:39], v[40:41]
	v_cmp_lt_f64_e32 vcc, v[38:39], v[40:41]
	s_and_b64 s[54:55], s[2:3], s[52:53]
	s_or_b64 s[54:55], vcc, s[54:55]
	s_xor_b64 s[58:59], vcc, s[2:3]
	s_and_b64 s[2:3], s[54:55], exec
	s_or_b64 s[2:3], s[56:57], s[2:3]
	s_and_saveexec_b64 s[56:57], s[58:59]
	s_cbranch_execz .LBB749_543
; %bb.545:                              ;   in Loop: Header=BB749_544 Depth=2
	s_add_u32 s50, s50, -1
	s_addc_u32 s51, s51, -1
	s_cmp_eq_u64 s[50:51], 0
	s_cselect_b64 s[52:53], -1, 0
	s_andn2_b64 s[48:49], s[48:49], exec
	s_and_b64 s[52:53], s[52:53], exec
	v_lshl_add_u64 v[4:5], v[4:5], 0, 8
	v_lshl_add_u64 v[6:7], v[6:7], 0, 8
	s_andn2_b64 s[2:3], s[2:3], exec
	s_or_b64 s[48:49], s[48:49], s[52:53]
                                        ; implicit-def: $sgpr52_sgpr53
	s_branch .LBB749_543
.LBB749_546:                            ;   in Loop: Header=BB749_503 Depth=1
	s_or_b64 exec, exec, s[44:45]
	s_xor_b64 s[2:3], s[46:47], -1
	s_andn2_b64 s[36:37], s[36:37], exec
	s_and_b64 s[2:3], s[2:3], exec
	s_or_b64 s[36:37], s[36:37], s[2:3]
.LBB749_547:                            ;   in Loop: Header=BB749_503 Depth=1
	s_or_b64 exec, exec, s[42:43]
	s_orn2_b64 s[36:37], s[36:37], exec
.LBB749_548:                            ;   in Loop: Header=BB749_503 Depth=1
	s_or_b64 exec, exec, s[40:41]
	v_cndmask_b32_e64 v4, v8, v9, s[36:37]
	v_cndmask_b32_e64 v5, v35, v34, s[36:37]
	v_add_u32_e32 v6, 1, v4
	v_add_u32_e32 v4, -1, v5
	v_min_u32_e32 v4, v6, v4
	v_lshlrev_b32_e32 v4, 3, v4
	ds_read_b64 v[4:5], v4
	v_cndmask_b32_e64 v8, v6, v8, s[36:37]
	v_cndmask_b32_e64 v9, v9, v6, s[36:37]
	v_cmp_lt_u32_e32 vcc, v8, v35
	s_waitcnt lgkmcnt(0)
	v_cndmask_b32_e64 v38, v5, v12, s[36:37]
	v_cndmask_b32_e64 v39, v4, v36, s[36:37]
	;; [unrolled: 1-line block ×4, first 2 shown]
	s_and_saveexec_b64 s[40:41], vcc
	s_cbranch_execz .LBB749_556
; %bb.549:                              ;   in Loop: Header=BB749_503 Depth=1
	v_cmp_lt_u32_e64 s[38:39], v9, v34
	s_xor_b64 s[2:3], s[10:11], -1
	s_and_b64 s[2:3], s[38:39], s[2:3]
	s_and_saveexec_b64 s[42:43], s[2:3]
	s_cbranch_execz .LBB749_555
; %bb.550:                              ;   in Loop: Header=BB749_503 Depth=1
	v_mov_b64_e32 v[6:7], s[22:23]
	v_mad_u64_u32 v[4:5], s[2:3], s12, v39, v[6:7]
	v_mul_lo_u32 v42, s12, v38
	v_mul_lo_u32 v43, s13, v39
	v_add3_u32 v5, v43, v5, v42
	v_mad_u64_u32 v[6:7], s[2:3], s12, v41, v[6:7]
	v_mul_lo_u32 v42, s12, v40
	v_mul_lo_u32 v43, s13, v41
	v_add3_u32 v7, v43, v7, v42
	s_mov_b64 s[44:45], 0
	s_mov_b64 s[50:51], s[20:21]
                                        ; implicit-def: $sgpr46_sgpr47
                                        ; implicit-def: $sgpr48_sgpr49
                                        ; implicit-def: $sgpr2_sgpr3
                                        ; implicit-def: $sgpr52_sgpr53
	s_branch .LBB749_552
.LBB749_551:                            ;   in Loop: Header=BB749_552 Depth=2
	s_or_b64 exec, exec, s[56:57]
	s_and_b64 s[56:57], exec, s[48:49]
	s_or_b64 s[44:45], s[56:57], s[44:45]
	s_andn2_b64 s[52:53], s[52:53], exec
	s_and_b64 s[54:55], s[54:55], exec
	s_or_b64 s[52:53], s[52:53], s[54:55]
	s_andn2_b64 s[46:47], s[46:47], exec
	s_and_b64 s[54:55], s[2:3], exec
	s_or_b64 s[46:47], s[46:47], s[54:55]
	s_andn2_b64 exec, exec, s[44:45]
	s_cbranch_execz .LBB749_554
.LBB749_552:                            ;   Parent Loop BB749_503 Depth=1
                                        ; =>  This Inner Loop Header: Depth=2
	global_load_dwordx2 v[42:43], v[4:5], off
	global_load_dwordx2 v[44:45], v[6:7], off
	s_andn2_b64 s[56:57], s[2:3], exec
	s_or_b64 s[48:49], s[48:49], exec
	s_waitcnt vmcnt(0)
	v_cmp_ngt_f64_e64 s[2:3], v[42:43], v[44:45]
	v_cmp_lt_f64_e32 vcc, v[42:43], v[44:45]
	s_and_b64 s[54:55], s[2:3], s[52:53]
	s_or_b64 s[54:55], vcc, s[54:55]
	s_xor_b64 s[58:59], vcc, s[2:3]
	s_and_b64 s[2:3], s[54:55], exec
	s_or_b64 s[2:3], s[56:57], s[2:3]
	s_and_saveexec_b64 s[56:57], s[58:59]
	s_cbranch_execz .LBB749_551
; %bb.553:                              ;   in Loop: Header=BB749_552 Depth=2
	s_add_u32 s50, s50, -1
	s_addc_u32 s51, s51, -1
	s_cmp_eq_u64 s[50:51], 0
	s_cselect_b64 s[52:53], -1, 0
	s_andn2_b64 s[48:49], s[48:49], exec
	s_and_b64 s[52:53], s[52:53], exec
	v_lshl_add_u64 v[4:5], v[4:5], 0, 8
	v_lshl_add_u64 v[6:7], v[6:7], 0, 8
	s_andn2_b64 s[2:3], s[2:3], exec
	s_or_b64 s[48:49], s[48:49], s[52:53]
                                        ; implicit-def: $sgpr52_sgpr53
	s_branch .LBB749_551
.LBB749_554:                            ;   in Loop: Header=BB749_503 Depth=1
	s_or_b64 exec, exec, s[44:45]
	s_xor_b64 s[2:3], s[46:47], -1
	s_andn2_b64 s[38:39], s[38:39], exec
	s_and_b64 s[2:3], s[2:3], exec
	s_or_b64 s[38:39], s[38:39], s[2:3]
.LBB749_555:                            ;   in Loop: Header=BB749_503 Depth=1
	s_or_b64 exec, exec, s[42:43]
	s_orn2_b64 s[38:39], s[38:39], exec
.LBB749_556:                            ;   in Loop: Header=BB749_503 Depth=1
	s_or_b64 exec, exec, s[40:41]
	v_cndmask_b32_e64 v4, v8, v9, s[38:39]
	v_cndmask_b32_e64 v5, v35, v34, s[38:39]
	v_add_u32_e32 v6, 1, v4
	v_add_u32_e32 v4, -1, v5
	v_min_u32_e32 v4, v6, v4
	v_lshlrev_b32_e32 v4, 3, v4
	ds_read_b64 v[4:5], v4
	v_cndmask_b32_e64 v8, v6, v8, s[38:39]
	v_cndmask_b32_e64 v9, v9, v6, s[38:39]
	v_cmp_lt_u32_e32 vcc, v8, v35
	s_mov_b64 s[40:41], -1
	s_waitcnt lgkmcnt(0)
	v_cndmask_b32_e64 v42, v5, v38, s[38:39]
	v_cndmask_b32_e64 v43, v4, v39, s[38:39]
	;; [unrolled: 1-line block ×4, first 2 shown]
	s_mov_b64 s[42:43], -1
	s_and_saveexec_b64 s[44:45], vcc
	s_cbranch_execz .LBB749_564
; %bb.557:                              ;   in Loop: Header=BB749_503 Depth=1
	v_cmp_lt_u32_e64 s[42:43], v9, v34
	s_xor_b64 s[2:3], s[10:11], -1
	s_and_b64 s[2:3], s[42:43], s[2:3]
	s_and_saveexec_b64 s[46:47], s[2:3]
	s_cbranch_execz .LBB749_563
; %bb.558:                              ;   in Loop: Header=BB749_503 Depth=1
	v_mov_b64_e32 v[6:7], s[22:23]
	v_mad_u64_u32 v[4:5], s[2:3], s12, v43, v[6:7]
	v_mul_lo_u32 v46, s12, v42
	v_mul_lo_u32 v47, s13, v43
	v_add3_u32 v5, v47, v5, v46
	v_mad_u64_u32 v[6:7], s[2:3], s12, v45, v[6:7]
	v_mul_lo_u32 v46, s12, v44
	v_mul_lo_u32 v47, s13, v45
	v_add3_u32 v7, v47, v7, v46
	s_mov_b64 s[48:49], 0
	s_mov_b64 s[54:55], s[20:21]
                                        ; implicit-def: $sgpr50_sgpr51
                                        ; implicit-def: $sgpr52_sgpr53
                                        ; implicit-def: $sgpr2_sgpr3
                                        ; implicit-def: $sgpr56_sgpr57
	s_branch .LBB749_560
.LBB749_559:                            ;   in Loop: Header=BB749_560 Depth=2
	s_or_b64 exec, exec, s[60:61]
	s_and_b64 s[60:61], exec, s[52:53]
	s_or_b64 s[48:49], s[60:61], s[48:49]
	s_andn2_b64 s[56:57], s[56:57], exec
	s_and_b64 s[58:59], s[58:59], exec
	s_or_b64 s[56:57], s[56:57], s[58:59]
	s_andn2_b64 s[50:51], s[50:51], exec
	s_and_b64 s[58:59], s[2:3], exec
	s_or_b64 s[50:51], s[50:51], s[58:59]
	s_andn2_b64 exec, exec, s[48:49]
	s_cbranch_execz .LBB749_562
.LBB749_560:                            ;   Parent Loop BB749_503 Depth=1
                                        ; =>  This Inner Loop Header: Depth=2
	global_load_dwordx2 v[46:47], v[4:5], off
	global_load_dwordx2 v[48:49], v[6:7], off
	s_andn2_b64 s[60:61], s[2:3], exec
	s_or_b64 s[52:53], s[52:53], exec
	s_waitcnt vmcnt(0)
	v_cmp_ngt_f64_e64 s[2:3], v[46:47], v[48:49]
	v_cmp_lt_f64_e32 vcc, v[46:47], v[48:49]
	s_and_b64 s[58:59], s[2:3], s[56:57]
	s_or_b64 s[58:59], vcc, s[58:59]
	s_xor_b64 s[62:63], vcc, s[2:3]
	s_and_b64 s[2:3], s[58:59], exec
	s_or_b64 s[2:3], s[60:61], s[2:3]
	s_and_saveexec_b64 s[60:61], s[62:63]
	s_cbranch_execz .LBB749_559
; %bb.561:                              ;   in Loop: Header=BB749_560 Depth=2
	s_add_u32 s54, s54, -1
	s_addc_u32 s55, s55, -1
	s_cmp_eq_u64 s[54:55], 0
	s_cselect_b64 s[56:57], -1, 0
	s_andn2_b64 s[52:53], s[52:53], exec
	s_and_b64 s[56:57], s[56:57], exec
	v_lshl_add_u64 v[4:5], v[4:5], 0, 8
	v_lshl_add_u64 v[6:7], v[6:7], 0, 8
	s_andn2_b64 s[2:3], s[2:3], exec
	s_or_b64 s[52:53], s[52:53], s[56:57]
                                        ; implicit-def: $sgpr56_sgpr57
	s_branch .LBB749_559
.LBB749_562:                            ;   in Loop: Header=BB749_503 Depth=1
	s_or_b64 exec, exec, s[48:49]
	s_xor_b64 s[2:3], s[50:51], -1
	s_andn2_b64 s[42:43], s[42:43], exec
	s_and_b64 s[2:3], s[2:3], exec
	s_or_b64 s[42:43], s[42:43], s[2:3]
.LBB749_563:                            ;   in Loop: Header=BB749_503 Depth=1
	s_or_b64 exec, exec, s[46:47]
	s_orn2_b64 s[42:43], s[42:43], exec
.LBB749_564:                            ;   in Loop: Header=BB749_503 Depth=1
	s_or_b64 exec, exec, s[44:45]
	v_cndmask_b32_e64 v4, v8, v9, s[42:43]
	v_cndmask_b32_e64 v5, v35, v34, s[42:43]
	v_add_u32_e32 v6, 1, v4
	v_add_u32_e32 v4, -1, v5
	v_min_u32_e32 v4, v6, v4
	v_lshlrev_b32_e32 v4, 3, v4
	ds_read_b64 v[4:5], v4
	v_cndmask_b32_e64 v50, v6, v8, s[42:43]
	v_cndmask_b32_e64 v8, v9, v6, s[42:43]
	v_cmp_lt_u32_e32 vcc, v50, v35
	s_waitcnt lgkmcnt(0)
	v_cndmask_b32_e64 v46, v5, v42, s[42:43]
	v_cndmask_b32_e64 v47, v4, v43, s[42:43]
	;; [unrolled: 1-line block ×4, first 2 shown]
	s_and_saveexec_b64 s[44:45], vcc
	s_cbranch_execz .LBB749_572
; %bb.565:                              ;   in Loop: Header=BB749_503 Depth=1
	v_cmp_lt_u32_e64 s[40:41], v8, v34
	s_xor_b64 s[2:3], s[10:11], -1
	s_and_b64 s[2:3], s[40:41], s[2:3]
	s_and_saveexec_b64 s[46:47], s[2:3]
	s_cbranch_execz .LBB749_571
; %bb.566:                              ;   in Loop: Header=BB749_503 Depth=1
	v_mov_b64_e32 v[6:7], s[22:23]
	v_mad_u64_u32 v[4:5], s[2:3], s12, v47, v[6:7]
	v_mul_lo_u32 v9, s12, v46
	v_mul_lo_u32 v51, s13, v47
	v_add3_u32 v5, v51, v5, v9
	v_mad_u64_u32 v[6:7], s[2:3], s12, v49, v[6:7]
	v_mul_lo_u32 v9, s12, v48
	v_mul_lo_u32 v51, s13, v49
	v_add3_u32 v7, v51, v7, v9
	s_mov_b64 s[48:49], 0
	s_mov_b64 s[54:55], s[20:21]
                                        ; implicit-def: $sgpr50_sgpr51
                                        ; implicit-def: $sgpr52_sgpr53
                                        ; implicit-def: $sgpr2_sgpr3
                                        ; implicit-def: $sgpr56_sgpr57
	s_branch .LBB749_568
.LBB749_567:                            ;   in Loop: Header=BB749_568 Depth=2
	s_or_b64 exec, exec, s[60:61]
	s_and_b64 s[60:61], exec, s[52:53]
	s_or_b64 s[48:49], s[60:61], s[48:49]
	s_andn2_b64 s[56:57], s[56:57], exec
	s_and_b64 s[58:59], s[58:59], exec
	s_or_b64 s[56:57], s[56:57], s[58:59]
	s_andn2_b64 s[50:51], s[50:51], exec
	s_and_b64 s[58:59], s[2:3], exec
	s_or_b64 s[50:51], s[50:51], s[58:59]
	s_andn2_b64 exec, exec, s[48:49]
	s_cbranch_execz .LBB749_570
.LBB749_568:                            ;   Parent Loop BB749_503 Depth=1
                                        ; =>  This Inner Loop Header: Depth=2
	global_load_dwordx2 v[52:53], v[4:5], off
	global_load_dwordx2 v[54:55], v[6:7], off
	s_andn2_b64 s[60:61], s[2:3], exec
	s_or_b64 s[52:53], s[52:53], exec
	s_waitcnt vmcnt(0)
	v_cmp_ngt_f64_e64 s[2:3], v[52:53], v[54:55]
	v_cmp_lt_f64_e32 vcc, v[52:53], v[54:55]
	s_and_b64 s[58:59], s[2:3], s[56:57]
	s_or_b64 s[58:59], vcc, s[58:59]
	s_xor_b64 s[62:63], vcc, s[2:3]
	s_and_b64 s[2:3], s[58:59], exec
	s_or_b64 s[2:3], s[60:61], s[2:3]
	s_and_saveexec_b64 s[60:61], s[62:63]
	s_cbranch_execz .LBB749_567
; %bb.569:                              ;   in Loop: Header=BB749_568 Depth=2
	s_add_u32 s54, s54, -1
	s_addc_u32 s55, s55, -1
	s_cmp_eq_u64 s[54:55], 0
	s_cselect_b64 s[56:57], -1, 0
	s_andn2_b64 s[52:53], s[52:53], exec
	s_and_b64 s[56:57], s[56:57], exec
	v_lshl_add_u64 v[4:5], v[4:5], 0, 8
	v_lshl_add_u64 v[6:7], v[6:7], 0, 8
	s_andn2_b64 s[2:3], s[2:3], exec
	s_or_b64 s[52:53], s[52:53], s[56:57]
                                        ; implicit-def: $sgpr56_sgpr57
	s_branch .LBB749_567
.LBB749_570:                            ;   in Loop: Header=BB749_503 Depth=1
	s_or_b64 exec, exec, s[48:49]
	s_xor_b64 s[2:3], s[50:51], -1
	s_andn2_b64 s[40:41], s[40:41], exec
	s_and_b64 s[2:3], s[2:3], exec
	s_or_b64 s[40:41], s[40:41], s[2:3]
.LBB749_571:                            ;   in Loop: Header=BB749_503 Depth=1
	s_or_b64 exec, exec, s[46:47]
	s_orn2_b64 s[40:41], s[40:41], exec
.LBB749_572:                            ;   in Loop: Header=BB749_503 Depth=1
	s_or_b64 exec, exec, s[44:45]
	v_cndmask_b32_e64 v4, v50, v8, s[40:41]
	v_cndmask_b32_e64 v5, v35, v34, s[40:41]
	v_add_u32_e32 v9, 1, v4
	v_add_u32_e32 v4, -1, v5
	v_min_u32_e32 v4, v9, v4
	v_lshlrev_b32_e32 v4, 3, v4
	ds_read_b64 v[6:7], v4
	v_cndmask_b32_e64 v50, v9, v50, s[40:41]
	v_cmp_lt_u32_e32 vcc, v50, v35
	s_waitcnt lgkmcnt(0)
	v_cndmask_b32_e64 v5, v48, v7, s[40:41]
	v_cndmask_b32_e64 v4, v49, v6, s[40:41]
	s_and_saveexec_b64 s[44:45], vcc
	s_cbranch_execz .LBB749_580
; %bb.573:                              ;   in Loop: Header=BB749_503 Depth=1
	v_cndmask_b32_e64 v50, v6, v47, s[40:41]
	v_cndmask_b32_e64 v6, v8, v9, s[40:41]
	;; [unrolled: 1-line block ×3, first 2 shown]
	v_cmp_ge_u32_e32 vcc, v6, v34
	s_nor_b64 s[2:3], vcc, s[10:11]
	s_nop 0
	v_cndmask_b32_e32 v7, v5, v35, vcc
	v_cndmask_b32_e32 v6, v4, v50, vcc
	s_and_saveexec_b64 s[46:47], s[2:3]
	s_cbranch_execz .LBB749_579
; %bb.574:                              ;   in Loop: Header=BB749_503 Depth=1
	v_mov_b64_e32 v[8:9], s[22:23]
	v_mad_u64_u32 v[6:7], s[2:3], s12, v50, v[8:9]
	v_mul_lo_u32 v34, s12, v35
	v_mul_lo_u32 v51, s13, v50
	v_add3_u32 v7, v51, v7, v34
	v_mad_u64_u32 v[8:9], s[2:3], s12, v4, v[8:9]
	v_mul_lo_u32 v34, s12, v5
	v_mul_lo_u32 v51, s13, v4
	v_add3_u32 v9, v51, v9, v34
	s_mov_b64 s[48:49], 0
	s_mov_b64 s[54:55], s[20:21]
                                        ; implicit-def: $sgpr50_sgpr51
                                        ; implicit-def: $sgpr52_sgpr53
                                        ; implicit-def: $sgpr2_sgpr3
                                        ; implicit-def: $sgpr56_sgpr57
	s_branch .LBB749_576
.LBB749_575:                            ;   in Loop: Header=BB749_576 Depth=2
	s_or_b64 exec, exec, s[60:61]
	s_and_b64 s[60:61], exec, s[52:53]
	s_or_b64 s[48:49], s[60:61], s[48:49]
	s_andn2_b64 s[56:57], s[56:57], exec
	s_and_b64 s[58:59], s[58:59], exec
	s_or_b64 s[56:57], s[56:57], s[58:59]
	s_andn2_b64 s[50:51], s[50:51], exec
	s_and_b64 s[58:59], s[2:3], exec
	s_or_b64 s[50:51], s[50:51], s[58:59]
	s_andn2_b64 exec, exec, s[48:49]
	s_cbranch_execz .LBB749_578
.LBB749_576:                            ;   Parent Loop BB749_503 Depth=1
                                        ; =>  This Inner Loop Header: Depth=2
	global_load_dwordx2 v[52:53], v[6:7], off
	global_load_dwordx2 v[54:55], v[8:9], off
	s_andn2_b64 s[60:61], s[2:3], exec
	s_or_b64 s[52:53], s[52:53], exec
	s_waitcnt vmcnt(0)
	v_cmp_ngt_f64_e64 s[2:3], v[52:53], v[54:55]
	v_cmp_lt_f64_e32 vcc, v[52:53], v[54:55]
	s_and_b64 s[58:59], s[2:3], s[56:57]
	s_or_b64 s[58:59], vcc, s[58:59]
	s_xor_b64 s[62:63], vcc, s[2:3]
	s_and_b64 s[2:3], s[58:59], exec
	s_or_b64 s[2:3], s[60:61], s[2:3]
	s_and_saveexec_b64 s[60:61], s[62:63]
	s_cbranch_execz .LBB749_575
; %bb.577:                              ;   in Loop: Header=BB749_576 Depth=2
	s_add_u32 s54, s54, -1
	s_addc_u32 s55, s55, -1
	s_cmp_eq_u64 s[54:55], 0
	s_cselect_b64 s[56:57], -1, 0
	s_andn2_b64 s[52:53], s[52:53], exec
	s_and_b64 s[56:57], s[56:57], exec
	v_lshl_add_u64 v[6:7], v[6:7], 0, 8
	v_lshl_add_u64 v[8:9], v[8:9], 0, 8
	s_andn2_b64 s[2:3], s[2:3], exec
	s_or_b64 s[52:53], s[52:53], s[56:57]
                                        ; implicit-def: $sgpr56_sgpr57
	s_branch .LBB749_575
.LBB749_578:                            ;   in Loop: Header=BB749_503 Depth=1
	s_or_b64 exec, exec, s[48:49]
	v_cndmask_b32_e64 v7, v5, v35, s[50:51]
	v_cndmask_b32_e64 v6, v4, v50, s[50:51]
.LBB749_579:                            ;   in Loop: Header=BB749_503 Depth=1
	s_or_b64 exec, exec, s[46:47]
	v_mov_b64_e32 v[4:5], v[6:7]
.LBB749_580:                            ;   in Loop: Header=BB749_503 Depth=1
	s_or_b64 exec, exec, s[44:45]
	v_cndmask_b32_e64 v9, v42, v44, s[42:43]
	v_cndmask_b32_e64 v8, v43, v45, s[42:43]
	;; [unrolled: 1-line block ×14, first 2 shown]
.LBB749_581:                            ;   in Loop: Header=BB749_503 Depth=1
	s_or_b64 exec, exec, s[26:27]
	s_cmpk_lt_u32 s9, 0x400
	s_barrier
	s_cbranch_scc0 .LBB749_583
; %bb.582:                              ;   in Loop: Header=BB749_503 Depth=1
	s_mov_b32 s9, s15
	s_branch .LBB749_503
.LBB749_583:
	s_barrier
	ds_write2_b64 v32, v[14:15], v[16:17] offset1:1
	ds_write2_b64 v32, v[10:11], v[12:13] offset0:2 offset1:3
	ds_write2_b64 v32, v[6:7], v[8:9] offset0:4 offset1:5
	;; [unrolled: 1-line block ×3, first 2 shown]
	s_waitcnt lgkmcnt(0)
	s_barrier
	ds_read_b64 v[2:3], v1
	ds_read_b64 v[4:5], v21 offset:2048
	ds_read_b64 v[6:7], v26 offset:4096
	;; [unrolled: 1-line block ×7, first 2 shown]
	v_mov_b32_e32 v21, 0
	v_lshl_add_u64 v[22:23], s[24:25], 0, v[20:21]
	s_movk_i32 s0, 0x1000
	s_waitcnt lgkmcnt(7)
	global_store_dwordx2 v20, v[2:3], s[24:25]
	s_waitcnt lgkmcnt(6)
	global_store_dwordx2 v20, v[4:5], s[24:25] offset:2048
	v_add_co_u32_e32 v2, vcc, s0, v22
	s_nop 1
	v_addc_co_u32_e32 v3, vcc, 0, v23, vcc
	s_waitcnt lgkmcnt(5)
	global_store_dwordx2 v[2:3], v[6:7], off
	s_waitcnt lgkmcnt(4)
	global_store_dwordx2 v[2:3], v[8:9], off offset:2048
	v_add_co_u32_e32 v2, vcc, 0x2000, v22
	s_mov_b64 s[26:27], -1
	s_nop 0
	v_addc_co_u32_e32 v3, vcc, 0, v23, vcc
	s_waitcnt lgkmcnt(3)
	global_store_dwordx2 v[2:3], v[10:11], off
	s_waitcnt lgkmcnt(2)
	global_store_dwordx2 v[2:3], v[12:13], off offset:2048
	v_add_co_u32_e32 v2, vcc, 0x3000, v22
	s_nop 1
	v_addc_co_u32_e32 v3, vcc, 0, v23, vcc
	s_waitcnt lgkmcnt(1)
	global_store_dwordx2 v[2:3], v[16:17], off
	s_branch .LBB749_1226
.LBB749_584:
	s_lshl_b64 s[0:1], s[6:7], 11
	s_sub_i32 s33, s8, s0
	v_cmp_gt_u32_e64 s[0:1], s33, v18
	v_lshlrev_b32_e32 v20, 3, v18
                                        ; implicit-def: $vgpr8_vgpr9
	s_and_saveexec_b64 s[2:3], s[0:1]
	s_cbranch_execz .LBB749_586
; %bb.585:
	global_load_dwordx2 v[8:9], v20, s[28:29]
.LBB749_586:
	s_or_b64 exec, exec, s[2:3]
	v_add_u32_e32 v1, 0x100, v18
	v_cmp_gt_u32_e64 s[2:3], s33, v1
                                        ; implicit-def: $vgpr10_vgpr11
	s_and_saveexec_b64 s[4:5], s[2:3]
	s_cbranch_execz .LBB749_588
; %bb.587:
	global_load_dwordx2 v[10:11], v20, s[28:29] offset:2048
.LBB749_588:
	s_or_b64 exec, exec, s[4:5]
	v_add_u32_e32 v2, 0x200, v18
	v_cmp_gt_u32_e64 s[4:5], s33, v2
                                        ; implicit-def: $vgpr12_vgpr13
	s_and_saveexec_b64 s[6:7], s[4:5]
	s_cbranch_execz .LBB749_590
; %bb.589:
	v_lshlrev_b32_e32 v3, 3, v2
	global_load_dwordx2 v[12:13], v3, s[28:29]
.LBB749_590:
	s_or_b64 exec, exec, s[6:7]
	v_add_u32_e32 v3, 0x300, v18
	v_cmp_gt_u32_e64 s[6:7], s33, v3
                                        ; implicit-def: $vgpr14_vgpr15
	s_and_saveexec_b64 s[8:9], s[6:7]
	s_cbranch_execz .LBB749_592
; %bb.591:
	v_lshlrev_b32_e32 v4, 3, v3
	s_waitcnt lgkmcnt(0)
	global_load_dwordx2 v[14:15], v4, s[28:29]
.LBB749_592:
	s_or_b64 exec, exec, s[8:9]
	v_or_b32_e32 v4, 0x400, v18
	v_cmp_gt_u32_e64 s[8:9], s33, v4
                                        ; implicit-def: $vgpr16_vgpr17
	s_and_saveexec_b64 s[10:11], s[8:9]
	s_cbranch_execz .LBB749_594
; %bb.593:
	v_lshlrev_b32_e32 v5, 3, v4
	global_load_dwordx2 v[16:17], v5, s[28:29]
.LBB749_594:
	s_or_b64 exec, exec, s[10:11]
	v_add_u32_e32 v5, 0x500, v18
	v_cmp_gt_u32_e64 s[10:11], s33, v5
                                        ; implicit-def: $vgpr22_vgpr23
	s_and_saveexec_b64 s[12:13], s[10:11]
	s_cbranch_execz .LBB749_596
; %bb.595:
	v_lshlrev_b32_e32 v6, 3, v5
	global_load_dwordx2 v[22:23], v6, s[28:29]
.LBB749_596:
	s_or_b64 exec, exec, s[12:13]
	v_add_u32_e32 v6, 0x600, v18
	v_cmp_gt_u32_e64 s[12:13], s33, v6
                                        ; implicit-def: $vgpr30_vgpr31
	s_and_saveexec_b64 s[26:27], s[12:13]
	s_cbranch_execz .LBB749_598
; %bb.597:
	v_lshlrev_b32_e32 v7, 3, v6
	global_load_dwordx2 v[30:31], v7, s[28:29]
.LBB749_598:
	s_or_b64 exec, exec, s[26:27]
	v_add_u32_e32 v7, 0x700, v18
	v_cmp_gt_u32_e64 s[26:27], s33, v7
                                        ; implicit-def: $vgpr32_vgpr33
	s_and_saveexec_b64 s[30:31], s[26:27]
	s_cbranch_execz .LBB749_600
; %bb.599:
	v_lshlrev_b32_e32 v19, 3, v7
	global_load_dwordx2 v[32:33], v19, s[28:29]
.LBB749_600:
	s_or_b64 exec, exec, s[30:31]
	v_lshrrev_b32_e32 v1, 2, v1
	v_and_b32_e32 v1, 0x1f8, v1
	v_add_u32_e32 v21, v1, v20
	v_lshrrev_b32_e32 v1, 2, v2
	v_and_b32_e32 v1, 0x1f8, v1
	v_add_u32_e32 v24, v1, v20
	;; [unrolled: 3-line block ×6, first 2 shown]
	v_lshrrev_b32_e32 v1, 2, v7
	v_and_b32_e32 v1, 0x3f8, v1
	v_lshrrev_b32_e32 v19, 2, v18
	v_add_u32_e32 v29, v1, v20
	v_lshlrev_b32_e32 v1, 1, v18
	v_and_b32_e32 v19, 0xf8, v19
	v_and_b32_e32 v1, 0x7f8, v1
	v_add_u32_e32 v19, v19, v20
	s_waitcnt vmcnt(0)
	ds_write_b64 v28, v[30:31] offset:12288
	v_lshl_add_u32 v30, v18, 6, v1
	ds_write_b64 v19, v[8:9]
	ds_write_b64 v21, v[10:11] offset:2048
	ds_write_b64 v24, v[12:13] offset:4096
	s_waitcnt lgkmcnt(4)
	ds_write_b64 v25, v[14:15] offset:6144
	ds_write_b64 v26, v[16:17] offset:8192
	;; [unrolled: 1-line block ×4, first 2 shown]
	s_waitcnt lgkmcnt(0)
	s_barrier
	ds_read2_b64 v[14:17], v30 offset1:1
	ds_read2_b64 v[10:13], v30 offset0:2 offset1:3
	ds_read2_b64 v[6:9], v30 offset0:4 offset1:5
	;; [unrolled: 1-line block ×3, first 2 shown]
	s_waitcnt lgkmcnt(0)
	s_barrier
	s_load_dword s15, s[16:17], 0xc
	v_mov_b32_e32 v1, 0
	v_bfe_u32 v22, v0, 10, 10
	v_bfe_u32 v0, v0, 20, 10
	v_cmp_lt_i64_e64 s[28:29], s[20:21], 1
	s_waitcnt lgkmcnt(0)
	s_lshr_b32 s19, s15, 16
	s_cmp_lt_u32 s14, s18
	s_cselect_b32 s14, 12, 18
	s_add_u32 s14, s16, s14
	s_addc_u32 s15, s17, 0
	global_load_ushort v1, v1, s[14:15]
	v_mad_u32_u24 v0, v0, s19, v22
	v_cmp_gt_i64_e64 s[18:19], s[20:21], 0
	s_mov_b64 s[34:35], 0
	s_waitcnt vmcnt(0)
	v_mul_lo_u32 v0, v0, v1
	v_add_lshl_u32 v31, v0, v18, 3
	v_sub_u32_e64 v32, s33, v31 clamp
	v_cmp_lt_u32_e32 vcc, 1, v32
	s_and_b64 s[16:17], vcc, s[18:19]
	s_and_saveexec_b64 s[30:31], s[16:17]
	s_cbranch_execz .LBB749_608
; %bb.601:
	v_mul_lo_u32 v22, v17, s20
	v_mul_lo_u32 v23, v16, s21
	v_mad_u64_u32 v[0:1], s[14:15], v16, s20, 0
	v_add3_u32 v1, v1, v23, v22
	v_mul_lo_u32 v33, v15, s20
	v_mul_lo_u32 v34, v14, s21
	v_mad_u64_u32 v[22:23], s[14:15], v14, s20, 0
	v_add3_u32 v23, v23, v34, v33
	v_lshl_add_u64 v[0:1], v[0:1], 3, s[22:23]
	v_lshl_add_u64 v[22:23], v[22:23], 3, s[22:23]
	s_mov_b64 s[46:47], s[20:21]
                                        ; implicit-def: $sgpr36_sgpr37
                                        ; implicit-def: $sgpr38_sgpr39
                                        ; implicit-def: $sgpr42_sgpr43
                                        ; implicit-def: $sgpr40_sgpr41
                                        ; implicit-def: $sgpr44_sgpr45
	s_branch .LBB749_603
.LBB749_602:                            ;   in Loop: Header=BB749_603 Depth=1
	s_or_b64 exec, exec, s[48:49]
	s_and_b64 s[14:15], s[14:15], s[44:45]
	s_or_b64 s[14:15], vcc, s[14:15]
	s_and_b64 s[48:49], exec, s[42:43]
	s_or_b64 s[34:35], s[48:49], s[34:35]
	s_andn2_b64 s[44:45], s[44:45], exec
	s_and_b64 s[14:15], s[14:15], exec
	s_andn2_b64 s[38:39], s[38:39], exec
	s_and_b64 s[48:49], s[40:41], exec
	s_andn2_b64 s[36:37], s[36:37], exec
	s_or_b64 s[44:45], s[44:45], s[14:15]
	s_or_b64 s[38:39], s[38:39], s[48:49]
	;; [unrolled: 1-line block ×3, first 2 shown]
	s_andn2_b64 exec, exec, s[34:35]
	s_cbranch_execz .LBB749_605
.LBB749_603:                            ; =>This Inner Loop Header: Depth=1
	global_load_dwordx2 v[34:35], v[0:1], off
	global_load_dwordx2 v[36:37], v[22:23], off
	s_or_b64 s[40:41], s[40:41], exec
	s_or_b64 s[42:43], s[42:43], exec
	s_waitcnt vmcnt(0)
	v_cmp_lt_f64_e32 vcc, v[34:35], v[36:37]
	v_cmp_ngt_f64_e64 s[14:15], v[34:35], v[36:37]
	s_xor_b64 s[50:51], vcc, s[14:15]
	s_and_saveexec_b64 s[48:49], s[50:51]
	s_cbranch_execz .LBB749_602
; %bb.604:                              ;   in Loop: Header=BB749_603 Depth=1
	s_add_u32 s46, s46, -1
	s_addc_u32 s47, s47, -1
	s_cmp_eq_u64 s[46:47], 0
	s_cselect_b64 s[50:51], -1, 0
	s_andn2_b64 s[42:43], s[42:43], exec
	s_and_b64 s[50:51], s[50:51], exec
	v_lshl_add_u64 v[0:1], v[0:1], 0, 8
	v_lshl_add_u64 v[22:23], v[22:23], 0, 8
	s_andn2_b64 s[40:41], s[40:41], exec
	s_or_b64 s[42:43], s[42:43], s[50:51]
	s_branch .LBB749_602
.LBB749_605:
	s_or_b64 exec, exec, s[34:35]
	s_and_saveexec_b64 s[14:15], s[38:39]
	s_xor_b64 s[14:15], exec, s[14:15]
; %bb.606:
	v_cndmask_b32_e64 v1, v17, v15, s[36:37]
	v_cndmask_b32_e64 v0, v16, v14, s[36:37]
	v_cndmask_b32_e64 v15, v15, v17, s[36:37]
	v_cndmask_b32_e64 v14, v14, v16, s[36:37]
	v_mov_b64_e32 v[16:17], v[0:1]
; %bb.607:
	s_or_b64 exec, exec, s[14:15]
.LBB749_608:
	s_or_b64 exec, exec, s[30:31]
	v_cmp_lt_u32_e32 vcc, 3, v32
	s_xor_b64 s[30:31], s[28:29], -1
	s_and_b64 s[34:35], vcc, s[30:31]
	s_and_saveexec_b64 s[36:37], s[34:35]
	s_cbranch_execz .LBB749_616
; %bb.609:
	v_mul_lo_u32 v22, v13, s20
	v_mul_lo_u32 v23, v12, s21
	v_mad_u64_u32 v[0:1], s[14:15], v12, s20, 0
	v_add3_u32 v1, v1, v23, v22
	v_mul_lo_u32 v33, v11, s20
	v_mul_lo_u32 v34, v10, s21
	v_mad_u64_u32 v[22:23], s[14:15], v10, s20, 0
	v_add3_u32 v23, v23, v34, v33
	v_lshl_add_u64 v[0:1], v[0:1], 3, s[22:23]
	v_lshl_add_u64 v[22:23], v[22:23], 3, s[22:23]
	s_mov_b64 s[40:41], 0
	s_mov_b64 s[50:51], s[20:21]
                                        ; implicit-def: $sgpr38_sgpr39
                                        ; implicit-def: $sgpr42_sgpr43
                                        ; implicit-def: $sgpr46_sgpr47
                                        ; implicit-def: $sgpr44_sgpr45
                                        ; implicit-def: $sgpr48_sgpr49
	s_branch .LBB749_611
.LBB749_610:                            ;   in Loop: Header=BB749_611 Depth=1
	s_or_b64 exec, exec, s[52:53]
	s_and_b64 s[14:15], s[14:15], s[48:49]
	s_or_b64 s[14:15], vcc, s[14:15]
	s_and_b64 s[52:53], exec, s[46:47]
	s_or_b64 s[40:41], s[52:53], s[40:41]
	s_andn2_b64 s[48:49], s[48:49], exec
	s_and_b64 s[14:15], s[14:15], exec
	s_andn2_b64 s[42:43], s[42:43], exec
	s_and_b64 s[52:53], s[44:45], exec
	s_andn2_b64 s[38:39], s[38:39], exec
	s_or_b64 s[48:49], s[48:49], s[14:15]
	s_or_b64 s[42:43], s[42:43], s[52:53]
	;; [unrolled: 1-line block ×3, first 2 shown]
	s_andn2_b64 exec, exec, s[40:41]
	s_cbranch_execz .LBB749_613
.LBB749_611:                            ; =>This Inner Loop Header: Depth=1
	global_load_dwordx2 v[34:35], v[0:1], off
	global_load_dwordx2 v[36:37], v[22:23], off
	s_or_b64 s[44:45], s[44:45], exec
	s_or_b64 s[46:47], s[46:47], exec
	s_waitcnt vmcnt(0)
	v_cmp_lt_f64_e32 vcc, v[34:35], v[36:37]
	v_cmp_ngt_f64_e64 s[14:15], v[34:35], v[36:37]
	s_xor_b64 s[54:55], vcc, s[14:15]
	s_and_saveexec_b64 s[52:53], s[54:55]
	s_cbranch_execz .LBB749_610
; %bb.612:                              ;   in Loop: Header=BB749_611 Depth=1
	s_add_u32 s50, s50, -1
	s_addc_u32 s51, s51, -1
	s_cmp_eq_u64 s[50:51], 0
	s_cselect_b64 s[54:55], -1, 0
	s_andn2_b64 s[46:47], s[46:47], exec
	s_and_b64 s[54:55], s[54:55], exec
	v_lshl_add_u64 v[0:1], v[0:1], 0, 8
	v_lshl_add_u64 v[22:23], v[22:23], 0, 8
	s_andn2_b64 s[44:45], s[44:45], exec
	s_or_b64 s[46:47], s[46:47], s[54:55]
	s_branch .LBB749_610
.LBB749_613:
	s_or_b64 exec, exec, s[40:41]
	s_and_saveexec_b64 s[14:15], s[42:43]
	s_xor_b64 s[14:15], exec, s[14:15]
; %bb.614:
	v_cndmask_b32_e64 v1, v11, v13, s[38:39]
	v_cndmask_b32_e64 v0, v10, v12, s[38:39]
	;; [unrolled: 1-line block ×4, first 2 shown]
	v_mov_b64_e32 v[10:11], v[0:1]
; %bb.615:
	s_or_b64 exec, exec, s[14:15]
.LBB749_616:
	s_or_b64 exec, exec, s[36:37]
	v_cmp_lt_u32_e32 vcc, 5, v32
	s_and_b64 s[36:37], vcc, s[30:31]
	s_and_saveexec_b64 s[38:39], s[36:37]
	s_cbranch_execz .LBB749_624
; %bb.617:
	v_mul_lo_u32 v22, v9, s20
	v_mul_lo_u32 v23, v8, s21
	v_mad_u64_u32 v[0:1], s[14:15], v8, s20, 0
	v_add3_u32 v1, v1, v23, v22
	v_mul_lo_u32 v33, v7, s20
	v_mul_lo_u32 v34, v6, s21
	v_mad_u64_u32 v[22:23], s[14:15], v6, s20, 0
	v_add3_u32 v23, v23, v34, v33
	v_lshl_add_u64 v[0:1], v[0:1], 3, s[22:23]
	v_lshl_add_u64 v[22:23], v[22:23], 3, s[22:23]
	s_mov_b64 s[42:43], 0
	s_mov_b64 s[52:53], s[20:21]
                                        ; implicit-def: $sgpr40_sgpr41
                                        ; implicit-def: $sgpr44_sgpr45
                                        ; implicit-def: $sgpr48_sgpr49
                                        ; implicit-def: $sgpr46_sgpr47
                                        ; implicit-def: $sgpr50_sgpr51
	s_branch .LBB749_619
.LBB749_618:                            ;   in Loop: Header=BB749_619 Depth=1
	s_or_b64 exec, exec, s[54:55]
	s_and_b64 s[14:15], s[14:15], s[50:51]
	s_or_b64 s[14:15], vcc, s[14:15]
	s_and_b64 s[54:55], exec, s[48:49]
	s_or_b64 s[42:43], s[54:55], s[42:43]
	s_andn2_b64 s[50:51], s[50:51], exec
	s_and_b64 s[14:15], s[14:15], exec
	s_andn2_b64 s[44:45], s[44:45], exec
	s_and_b64 s[54:55], s[46:47], exec
	s_andn2_b64 s[40:41], s[40:41], exec
	s_or_b64 s[50:51], s[50:51], s[14:15]
	s_or_b64 s[44:45], s[44:45], s[54:55]
	;; [unrolled: 1-line block ×3, first 2 shown]
	s_andn2_b64 exec, exec, s[42:43]
	s_cbranch_execz .LBB749_621
.LBB749_619:                            ; =>This Inner Loop Header: Depth=1
	global_load_dwordx2 v[34:35], v[0:1], off
	global_load_dwordx2 v[36:37], v[22:23], off
	s_or_b64 s[46:47], s[46:47], exec
	s_or_b64 s[48:49], s[48:49], exec
	s_waitcnt vmcnt(0)
	v_cmp_lt_f64_e32 vcc, v[34:35], v[36:37]
	v_cmp_ngt_f64_e64 s[14:15], v[34:35], v[36:37]
	s_xor_b64 s[56:57], vcc, s[14:15]
	s_and_saveexec_b64 s[54:55], s[56:57]
	s_cbranch_execz .LBB749_618
; %bb.620:                              ;   in Loop: Header=BB749_619 Depth=1
	s_add_u32 s52, s52, -1
	s_addc_u32 s53, s53, -1
	s_cmp_eq_u64 s[52:53], 0
	s_cselect_b64 s[56:57], -1, 0
	s_andn2_b64 s[48:49], s[48:49], exec
	s_and_b64 s[56:57], s[56:57], exec
	v_lshl_add_u64 v[0:1], v[0:1], 0, 8
	v_lshl_add_u64 v[22:23], v[22:23], 0, 8
	s_andn2_b64 s[46:47], s[46:47], exec
	s_or_b64 s[48:49], s[48:49], s[56:57]
	s_branch .LBB749_618
.LBB749_621:
	s_or_b64 exec, exec, s[42:43]
	s_and_saveexec_b64 s[14:15], s[44:45]
	s_xor_b64 s[14:15], exec, s[14:15]
; %bb.622:
	v_cndmask_b32_e64 v1, v7, v9, s[40:41]
	v_cndmask_b32_e64 v0, v6, v8, s[40:41]
	;; [unrolled: 1-line block ×4, first 2 shown]
	v_mov_b64_e32 v[6:7], v[0:1]
; %bb.623:
	s_or_b64 exec, exec, s[14:15]
.LBB749_624:
	s_or_b64 exec, exec, s[38:39]
	v_cmp_lt_u32_e32 vcc, 7, v32
	s_and_b64 s[38:39], vcc, s[30:31]
	s_and_saveexec_b64 s[40:41], s[38:39]
	s_cbranch_execz .LBB749_632
; %bb.625:
	v_mul_lo_u32 v22, v5, s20
	v_mul_lo_u32 v23, v4, s21
	v_mad_u64_u32 v[0:1], s[14:15], v4, s20, 0
	v_add3_u32 v1, v1, v23, v22
	v_mul_lo_u32 v33, v3, s20
	v_mul_lo_u32 v34, v2, s21
	v_mad_u64_u32 v[22:23], s[14:15], v2, s20, 0
	v_add3_u32 v23, v23, v34, v33
	v_lshl_add_u64 v[0:1], v[0:1], 3, s[22:23]
	v_lshl_add_u64 v[22:23], v[22:23], 3, s[22:23]
	s_mov_b64 s[44:45], 0
	s_mov_b64 s[54:55], s[20:21]
                                        ; implicit-def: $sgpr42_sgpr43
                                        ; implicit-def: $sgpr46_sgpr47
                                        ; implicit-def: $sgpr50_sgpr51
                                        ; implicit-def: $sgpr48_sgpr49
                                        ; implicit-def: $sgpr52_sgpr53
	s_branch .LBB749_627
.LBB749_626:                            ;   in Loop: Header=BB749_627 Depth=1
	s_or_b64 exec, exec, s[56:57]
	s_and_b64 s[14:15], s[14:15], s[52:53]
	s_or_b64 s[14:15], vcc, s[14:15]
	s_and_b64 s[56:57], exec, s[50:51]
	s_or_b64 s[44:45], s[56:57], s[44:45]
	s_andn2_b64 s[52:53], s[52:53], exec
	s_and_b64 s[14:15], s[14:15], exec
	s_andn2_b64 s[46:47], s[46:47], exec
	s_and_b64 s[56:57], s[48:49], exec
	s_andn2_b64 s[42:43], s[42:43], exec
	s_or_b64 s[52:53], s[52:53], s[14:15]
	s_or_b64 s[46:47], s[46:47], s[56:57]
	;; [unrolled: 1-line block ×3, first 2 shown]
	s_andn2_b64 exec, exec, s[44:45]
	s_cbranch_execz .LBB749_629
.LBB749_627:                            ; =>This Inner Loop Header: Depth=1
	global_load_dwordx2 v[34:35], v[0:1], off
	global_load_dwordx2 v[36:37], v[22:23], off
	s_or_b64 s[48:49], s[48:49], exec
	s_or_b64 s[50:51], s[50:51], exec
	s_waitcnt vmcnt(0)
	v_cmp_lt_f64_e32 vcc, v[34:35], v[36:37]
	v_cmp_ngt_f64_e64 s[14:15], v[34:35], v[36:37]
	s_xor_b64 s[58:59], vcc, s[14:15]
	s_and_saveexec_b64 s[56:57], s[58:59]
	s_cbranch_execz .LBB749_626
; %bb.628:                              ;   in Loop: Header=BB749_627 Depth=1
	s_add_u32 s54, s54, -1
	s_addc_u32 s55, s55, -1
	s_cmp_eq_u64 s[54:55], 0
	s_cselect_b64 s[58:59], -1, 0
	s_andn2_b64 s[50:51], s[50:51], exec
	s_and_b64 s[58:59], s[58:59], exec
	v_lshl_add_u64 v[0:1], v[0:1], 0, 8
	v_lshl_add_u64 v[22:23], v[22:23], 0, 8
	s_andn2_b64 s[48:49], s[48:49], exec
	s_or_b64 s[50:51], s[50:51], s[58:59]
	s_branch .LBB749_626
.LBB749_629:
	s_or_b64 exec, exec, s[44:45]
	s_and_saveexec_b64 s[14:15], s[46:47]
	s_xor_b64 s[14:15], exec, s[14:15]
; %bb.630:
	v_cndmask_b32_e64 v1, v3, v5, s[42:43]
	v_cndmask_b32_e64 v0, v2, v4, s[42:43]
	v_cndmask_b32_e64 v5, v5, v3, s[42:43]
	v_cndmask_b32_e64 v4, v4, v2, s[42:43]
	v_mov_b64_e32 v[2:3], v[0:1]
; %bb.631:
	s_or_b64 exec, exec, s[14:15]
.LBB749_632:
	s_or_b64 exec, exec, s[40:41]
	v_cmp_lt_u32_e32 vcc, 2, v32
	s_and_b64 s[40:41], vcc, s[30:31]
	s_and_saveexec_b64 s[14:15], s[40:41]
	s_xor_b64 s[42:43], exec, s[14:15]
	s_cbranch_execz .LBB749_640
; %bb.633:
	v_mul_lo_u32 v22, v11, s20
	v_mul_lo_u32 v23, v10, s21
	v_mad_u64_u32 v[0:1], s[14:15], v10, s20, 0
	v_add3_u32 v1, v1, v23, v22
	v_mul_lo_u32 v33, v17, s20
	v_mul_lo_u32 v34, v16, s21
	v_mad_u64_u32 v[22:23], s[14:15], v16, s20, 0
	v_add3_u32 v23, v23, v34, v33
	v_lshl_add_u64 v[0:1], v[0:1], 3, s[22:23]
	v_lshl_add_u64 v[22:23], v[22:23], 3, s[22:23]
	s_mov_b64 s[46:47], 0
	s_mov_b64 s[56:57], s[20:21]
                                        ; implicit-def: $sgpr44_sgpr45
                                        ; implicit-def: $sgpr48_sgpr49
                                        ; implicit-def: $sgpr52_sgpr53
                                        ; implicit-def: $sgpr50_sgpr51
                                        ; implicit-def: $sgpr54_sgpr55
	s_branch .LBB749_635
.LBB749_634:                            ;   in Loop: Header=BB749_635 Depth=1
	s_or_b64 exec, exec, s[58:59]
	s_and_b64 s[14:15], s[14:15], s[54:55]
	s_or_b64 s[14:15], vcc, s[14:15]
	s_and_b64 s[58:59], exec, s[52:53]
	s_or_b64 s[46:47], s[58:59], s[46:47]
	s_andn2_b64 s[54:55], s[54:55], exec
	s_and_b64 s[14:15], s[14:15], exec
	s_andn2_b64 s[48:49], s[48:49], exec
	s_and_b64 s[58:59], s[50:51], exec
	s_andn2_b64 s[44:45], s[44:45], exec
	s_or_b64 s[54:55], s[54:55], s[14:15]
	s_or_b64 s[48:49], s[48:49], s[58:59]
	;; [unrolled: 1-line block ×3, first 2 shown]
	s_andn2_b64 exec, exec, s[46:47]
	s_cbranch_execz .LBB749_637
.LBB749_635:                            ; =>This Inner Loop Header: Depth=1
	global_load_dwordx2 v[34:35], v[0:1], off
	global_load_dwordx2 v[36:37], v[22:23], off
	s_or_b64 s[50:51], s[50:51], exec
	s_or_b64 s[52:53], s[52:53], exec
	s_waitcnt vmcnt(0)
	v_cmp_lt_f64_e32 vcc, v[34:35], v[36:37]
	v_cmp_ngt_f64_e64 s[14:15], v[34:35], v[36:37]
	s_xor_b64 s[60:61], vcc, s[14:15]
	s_and_saveexec_b64 s[58:59], s[60:61]
	s_cbranch_execz .LBB749_634
; %bb.636:                              ;   in Loop: Header=BB749_635 Depth=1
	s_add_u32 s56, s56, -1
	s_addc_u32 s57, s57, -1
	s_cmp_eq_u64 s[56:57], 0
	s_cselect_b64 s[60:61], -1, 0
	s_andn2_b64 s[52:53], s[52:53], exec
	s_and_b64 s[60:61], s[60:61], exec
	v_lshl_add_u64 v[0:1], v[0:1], 0, 8
	v_lshl_add_u64 v[22:23], v[22:23], 0, 8
	s_andn2_b64 s[50:51], s[50:51], exec
	s_or_b64 s[52:53], s[52:53], s[60:61]
	s_branch .LBB749_634
.LBB749_637:
	s_or_b64 exec, exec, s[46:47]
	s_and_saveexec_b64 s[14:15], s[48:49]
	s_xor_b64 s[14:15], exec, s[14:15]
; %bb.638:
	v_cndmask_b32_e64 v1, v17, v11, s[44:45]
	v_cndmask_b32_e64 v0, v16, v10, s[44:45]
	;; [unrolled: 1-line block ×4, first 2 shown]
	v_mov_b64_e32 v[16:17], v[0:1]
; %bb.639:
	s_or_b64 exec, exec, s[14:15]
.LBB749_640:
	s_or_b64 exec, exec, s[42:43]
	v_cmp_lt_u32_e32 vcc, 4, v32
	s_and_b64 s[42:43], vcc, s[30:31]
	s_and_saveexec_b64 s[44:45], s[42:43]
	s_cbranch_execz .LBB749_648
; %bb.641:
	v_mul_lo_u32 v22, v7, s20
	v_mul_lo_u32 v23, v6, s21
	v_mad_u64_u32 v[0:1], s[14:15], v6, s20, 0
	v_add3_u32 v1, v1, v23, v22
	v_mul_lo_u32 v33, v13, s20
	v_mul_lo_u32 v34, v12, s21
	v_mad_u64_u32 v[22:23], s[14:15], v12, s20, 0
	v_add3_u32 v23, v23, v34, v33
	v_lshl_add_u64 v[0:1], v[0:1], 3, s[22:23]
	v_lshl_add_u64 v[22:23], v[22:23], 3, s[22:23]
	s_mov_b64 s[48:49], 0
	s_mov_b64 s[58:59], s[20:21]
                                        ; implicit-def: $sgpr46_sgpr47
                                        ; implicit-def: $sgpr50_sgpr51
                                        ; implicit-def: $sgpr54_sgpr55
                                        ; implicit-def: $sgpr52_sgpr53
                                        ; implicit-def: $sgpr56_sgpr57
	s_branch .LBB749_643
.LBB749_642:                            ;   in Loop: Header=BB749_643 Depth=1
	s_or_b64 exec, exec, s[60:61]
	s_and_b64 s[14:15], s[14:15], s[56:57]
	s_or_b64 s[14:15], vcc, s[14:15]
	s_and_b64 s[60:61], exec, s[54:55]
	s_or_b64 s[48:49], s[60:61], s[48:49]
	s_andn2_b64 s[56:57], s[56:57], exec
	s_and_b64 s[14:15], s[14:15], exec
	s_andn2_b64 s[50:51], s[50:51], exec
	s_and_b64 s[60:61], s[52:53], exec
	s_andn2_b64 s[46:47], s[46:47], exec
	s_or_b64 s[56:57], s[56:57], s[14:15]
	s_or_b64 s[50:51], s[50:51], s[60:61]
	s_or_b64 s[46:47], s[46:47], s[14:15]
	s_andn2_b64 exec, exec, s[48:49]
	s_cbranch_execz .LBB749_645
.LBB749_643:                            ; =>This Inner Loop Header: Depth=1
	global_load_dwordx2 v[34:35], v[0:1], off
	global_load_dwordx2 v[36:37], v[22:23], off
	s_or_b64 s[52:53], s[52:53], exec
	s_or_b64 s[54:55], s[54:55], exec
	s_waitcnt vmcnt(0)
	v_cmp_lt_f64_e32 vcc, v[34:35], v[36:37]
	v_cmp_ngt_f64_e64 s[14:15], v[34:35], v[36:37]
	s_xor_b64 s[62:63], vcc, s[14:15]
	s_and_saveexec_b64 s[60:61], s[62:63]
	s_cbranch_execz .LBB749_642
; %bb.644:                              ;   in Loop: Header=BB749_643 Depth=1
	s_add_u32 s58, s58, -1
	s_addc_u32 s59, s59, -1
	s_cmp_eq_u64 s[58:59], 0
	s_cselect_b64 s[62:63], -1, 0
	s_andn2_b64 s[54:55], s[54:55], exec
	s_and_b64 s[62:63], s[62:63], exec
	v_lshl_add_u64 v[0:1], v[0:1], 0, 8
	v_lshl_add_u64 v[22:23], v[22:23], 0, 8
	s_andn2_b64 s[52:53], s[52:53], exec
	s_or_b64 s[54:55], s[54:55], s[62:63]
	s_branch .LBB749_642
.LBB749_645:
	s_or_b64 exec, exec, s[48:49]
	s_and_saveexec_b64 s[14:15], s[50:51]
	s_xor_b64 s[14:15], exec, s[14:15]
; %bb.646:
	v_cndmask_b32_e64 v1, v13, v7, s[46:47]
	v_cndmask_b32_e64 v0, v12, v6, s[46:47]
	;; [unrolled: 1-line block ×4, first 2 shown]
	v_mov_b64_e32 v[12:13], v[0:1]
; %bb.647:
	s_or_b64 exec, exec, s[14:15]
.LBB749_648:
	s_or_b64 exec, exec, s[44:45]
	v_cmp_lt_u32_e32 vcc, 6, v32
	s_and_b64 s[44:45], vcc, s[30:31]
	s_and_saveexec_b64 s[46:47], s[44:45]
	s_cbranch_execnz .LBB749_670
; %bb.649:
	s_or_b64 exec, exec, s[46:47]
	s_and_saveexec_b64 s[46:47], s[16:17]
	s_cbranch_execnz .LBB749_677
.LBB749_650:
	s_or_b64 exec, exec, s[46:47]
	s_and_saveexec_b64 s[46:47], s[34:35]
	s_cbranch_execnz .LBB749_684
.LBB749_651:
	s_or_b64 exec, exec, s[46:47]
	s_and_saveexec_b64 s[46:47], s[36:37]
	s_cbranch_execnz .LBB749_691
.LBB749_652:
	s_or_b64 exec, exec, s[46:47]
	s_and_saveexec_b64 s[46:47], s[38:39]
	s_cbranch_execnz .LBB749_698
.LBB749_653:
	s_or_b64 exec, exec, s[46:47]
	s_and_saveexec_b64 s[46:47], s[40:41]
	s_cbranch_execnz .LBB749_705
.LBB749_654:
	s_or_b64 exec, exec, s[46:47]
	s_and_saveexec_b64 s[46:47], s[42:43]
	s_cbranch_execnz .LBB749_712
.LBB749_655:
	s_or_b64 exec, exec, s[46:47]
	s_and_saveexec_b64 s[46:47], s[44:45]
	s_cbranch_execnz .LBB749_719
.LBB749_656:
	s_or_b64 exec, exec, s[46:47]
	s_and_saveexec_b64 s[46:47], s[16:17]
	s_cbranch_execnz .LBB749_726
.LBB749_657:
	s_or_b64 exec, exec, s[46:47]
	s_and_saveexec_b64 s[46:47], s[34:35]
	s_cbranch_execnz .LBB749_733
.LBB749_658:
	s_or_b64 exec, exec, s[46:47]
	s_and_saveexec_b64 s[46:47], s[36:37]
	s_cbranch_execnz .LBB749_740
.LBB749_659:
	s_or_b64 exec, exec, s[46:47]
	s_and_saveexec_b64 s[46:47], s[38:39]
	s_cbranch_execnz .LBB749_747
.LBB749_660:
	s_or_b64 exec, exec, s[46:47]
	s_and_saveexec_b64 s[46:47], s[40:41]
	s_cbranch_execnz .LBB749_754
.LBB749_661:
	s_or_b64 exec, exec, s[46:47]
	s_and_saveexec_b64 s[46:47], s[42:43]
	s_cbranch_execnz .LBB749_761
.LBB749_662:
	s_or_b64 exec, exec, s[46:47]
	s_and_saveexec_b64 s[46:47], s[44:45]
	s_cbranch_execnz .LBB749_768
.LBB749_663:
	s_or_b64 exec, exec, s[46:47]
	s_and_saveexec_b64 s[46:47], s[16:17]
	s_cbranch_execnz .LBB749_775
.LBB749_664:
	s_or_b64 exec, exec, s[46:47]
	s_and_saveexec_b64 s[16:17], s[34:35]
	s_cbranch_execnz .LBB749_782
.LBB749_665:
	s_or_b64 exec, exec, s[16:17]
	s_and_saveexec_b64 s[16:17], s[36:37]
	s_cbranch_execnz .LBB749_789
.LBB749_666:
	s_or_b64 exec, exec, s[16:17]
	s_and_saveexec_b64 s[16:17], s[38:39]
	s_cbranch_execnz .LBB749_796
.LBB749_667:
	s_or_b64 exec, exec, s[16:17]
	s_and_saveexec_b64 s[16:17], s[40:41]
	s_cbranch_execnz .LBB749_803
.LBB749_668:
	s_or_b64 exec, exec, s[16:17]
	s_and_saveexec_b64 s[16:17], s[42:43]
	s_cbranch_execnz .LBB749_810
.LBB749_669:
	s_or_b64 exec, exec, s[16:17]
	s_and_saveexec_b64 s[16:17], s[44:45]
	s_cbranch_execnz .LBB749_817
	s_branch .LBB749_824
.LBB749_670:
	v_mul_lo_u32 v22, v3, s20
	v_mul_lo_u32 v23, v2, s21
	v_mad_u64_u32 v[0:1], s[14:15], v2, s20, 0
	v_add3_u32 v1, v1, v23, v22
	v_mul_lo_u32 v32, v9, s20
	v_mul_lo_u32 v33, v8, s21
	v_mad_u64_u32 v[22:23], s[14:15], v8, s20, 0
	v_add3_u32 v23, v23, v33, v32
	v_lshl_add_u64 v[0:1], v[0:1], 3, s[22:23]
	v_lshl_add_u64 v[22:23], v[22:23], 3, s[22:23]
	s_mov_b64 s[50:51], 0
	s_mov_b64 s[60:61], s[20:21]
                                        ; implicit-def: $sgpr48_sgpr49
                                        ; implicit-def: $sgpr52_sgpr53
                                        ; implicit-def: $sgpr56_sgpr57
                                        ; implicit-def: $sgpr54_sgpr55
                                        ; implicit-def: $sgpr58_sgpr59
	s_branch .LBB749_672
.LBB749_671:                            ;   in Loop: Header=BB749_672 Depth=1
	s_or_b64 exec, exec, s[62:63]
	s_and_b64 s[14:15], s[14:15], s[58:59]
	s_or_b64 s[14:15], vcc, s[14:15]
	s_and_b64 s[62:63], exec, s[56:57]
	s_or_b64 s[50:51], s[62:63], s[50:51]
	s_andn2_b64 s[58:59], s[58:59], exec
	s_and_b64 s[14:15], s[14:15], exec
	s_andn2_b64 s[52:53], s[52:53], exec
	s_and_b64 s[62:63], s[54:55], exec
	s_andn2_b64 s[48:49], s[48:49], exec
	s_or_b64 s[58:59], s[58:59], s[14:15]
	s_or_b64 s[52:53], s[52:53], s[62:63]
	;; [unrolled: 1-line block ×3, first 2 shown]
	s_andn2_b64 exec, exec, s[50:51]
	s_cbranch_execz .LBB749_674
.LBB749_672:                            ; =>This Inner Loop Header: Depth=1
	global_load_dwordx2 v[32:33], v[0:1], off
	global_load_dwordx2 v[34:35], v[22:23], off
	s_or_b64 s[54:55], s[54:55], exec
	s_or_b64 s[56:57], s[56:57], exec
	s_waitcnt vmcnt(0)
	v_cmp_lt_f64_e32 vcc, v[32:33], v[34:35]
	v_cmp_ngt_f64_e64 s[14:15], v[32:33], v[34:35]
	s_xor_b64 s[64:65], vcc, s[14:15]
	s_and_saveexec_b64 s[62:63], s[64:65]
	s_cbranch_execz .LBB749_671
; %bb.673:                              ;   in Loop: Header=BB749_672 Depth=1
	s_add_u32 s60, s60, -1
	s_addc_u32 s61, s61, -1
	s_cmp_eq_u64 s[60:61], 0
	s_cselect_b64 s[64:65], -1, 0
	s_andn2_b64 s[56:57], s[56:57], exec
	s_and_b64 s[64:65], s[64:65], exec
	v_lshl_add_u64 v[0:1], v[0:1], 0, 8
	v_lshl_add_u64 v[22:23], v[22:23], 0, 8
	s_andn2_b64 s[54:55], s[54:55], exec
	s_or_b64 s[56:57], s[56:57], s[64:65]
	s_branch .LBB749_671
.LBB749_674:
	s_or_b64 exec, exec, s[50:51]
	s_and_saveexec_b64 s[14:15], s[52:53]
	s_xor_b64 s[14:15], exec, s[14:15]
; %bb.675:
	v_cndmask_b32_e64 v1, v9, v3, s[48:49]
	v_cndmask_b32_e64 v0, v8, v2, s[48:49]
	;; [unrolled: 1-line block ×4, first 2 shown]
	v_mov_b64_e32 v[8:9], v[0:1]
; %bb.676:
	s_or_b64 exec, exec, s[14:15]
	s_or_b64 exec, exec, s[46:47]
	s_and_saveexec_b64 s[46:47], s[16:17]
	s_cbranch_execz .LBB749_650
.LBB749_677:
	v_mul_lo_u32 v22, v17, s20
	v_mul_lo_u32 v23, v16, s21
	v_mad_u64_u32 v[0:1], s[14:15], v16, s20, 0
	v_add3_u32 v1, v1, v23, v22
	v_mul_lo_u32 v32, v15, s20
	v_mul_lo_u32 v33, v14, s21
	v_mad_u64_u32 v[22:23], s[14:15], v14, s20, 0
	v_add3_u32 v23, v23, v33, v32
	v_lshl_add_u64 v[0:1], v[0:1], 3, s[22:23]
	v_lshl_add_u64 v[22:23], v[22:23], 3, s[22:23]
	s_mov_b64 s[50:51], 0
	s_mov_b64 s[60:61], s[20:21]
                                        ; implicit-def: $sgpr48_sgpr49
                                        ; implicit-def: $sgpr52_sgpr53
                                        ; implicit-def: $sgpr56_sgpr57
                                        ; implicit-def: $sgpr54_sgpr55
                                        ; implicit-def: $sgpr58_sgpr59
	s_branch .LBB749_679
.LBB749_678:                            ;   in Loop: Header=BB749_679 Depth=1
	s_or_b64 exec, exec, s[62:63]
	s_and_b64 s[14:15], s[14:15], s[58:59]
	s_or_b64 s[14:15], vcc, s[14:15]
	s_and_b64 s[62:63], exec, s[56:57]
	s_or_b64 s[50:51], s[62:63], s[50:51]
	s_andn2_b64 s[58:59], s[58:59], exec
	s_and_b64 s[14:15], s[14:15], exec
	s_andn2_b64 s[52:53], s[52:53], exec
	s_and_b64 s[62:63], s[54:55], exec
	s_andn2_b64 s[48:49], s[48:49], exec
	s_or_b64 s[58:59], s[58:59], s[14:15]
	s_or_b64 s[52:53], s[52:53], s[62:63]
	;; [unrolled: 1-line block ×3, first 2 shown]
	s_andn2_b64 exec, exec, s[50:51]
	s_cbranch_execz .LBB749_681
.LBB749_679:                            ; =>This Inner Loop Header: Depth=1
	global_load_dwordx2 v[32:33], v[0:1], off
	global_load_dwordx2 v[34:35], v[22:23], off
	s_or_b64 s[54:55], s[54:55], exec
	s_or_b64 s[56:57], s[56:57], exec
	s_waitcnt vmcnt(0)
	v_cmp_lt_f64_e32 vcc, v[32:33], v[34:35]
	v_cmp_ngt_f64_e64 s[14:15], v[32:33], v[34:35]
	s_xor_b64 s[64:65], vcc, s[14:15]
	s_and_saveexec_b64 s[62:63], s[64:65]
	s_cbranch_execz .LBB749_678
; %bb.680:                              ;   in Loop: Header=BB749_679 Depth=1
	s_add_u32 s60, s60, -1
	s_addc_u32 s61, s61, -1
	s_cmp_eq_u64 s[60:61], 0
	s_cselect_b64 s[64:65], -1, 0
	s_andn2_b64 s[56:57], s[56:57], exec
	s_and_b64 s[64:65], s[64:65], exec
	v_lshl_add_u64 v[0:1], v[0:1], 0, 8
	v_lshl_add_u64 v[22:23], v[22:23], 0, 8
	s_andn2_b64 s[54:55], s[54:55], exec
	s_or_b64 s[56:57], s[56:57], s[64:65]
	s_branch .LBB749_678
.LBB749_681:
	s_or_b64 exec, exec, s[50:51]
	s_and_saveexec_b64 s[14:15], s[52:53]
	s_xor_b64 s[14:15], exec, s[14:15]
; %bb.682:
	v_cndmask_b32_e64 v1, v17, v15, s[48:49]
	v_cndmask_b32_e64 v0, v16, v14, s[48:49]
	;; [unrolled: 1-line block ×4, first 2 shown]
	v_mov_b64_e32 v[16:17], v[0:1]
; %bb.683:
	s_or_b64 exec, exec, s[14:15]
	s_or_b64 exec, exec, s[46:47]
	s_and_saveexec_b64 s[46:47], s[34:35]
	s_cbranch_execz .LBB749_651
.LBB749_684:
	v_mul_lo_u32 v22, v13, s20
	v_mul_lo_u32 v23, v12, s21
	v_mad_u64_u32 v[0:1], s[14:15], v12, s20, 0
	v_add3_u32 v1, v1, v23, v22
	v_mul_lo_u32 v32, v11, s20
	v_mul_lo_u32 v33, v10, s21
	v_mad_u64_u32 v[22:23], s[14:15], v10, s20, 0
	v_add3_u32 v23, v23, v33, v32
	v_lshl_add_u64 v[0:1], v[0:1], 3, s[22:23]
	v_lshl_add_u64 v[22:23], v[22:23], 3, s[22:23]
	s_mov_b64 s[50:51], 0
	s_mov_b64 s[60:61], s[20:21]
                                        ; implicit-def: $sgpr48_sgpr49
                                        ; implicit-def: $sgpr52_sgpr53
                                        ; implicit-def: $sgpr56_sgpr57
                                        ; implicit-def: $sgpr54_sgpr55
                                        ; implicit-def: $sgpr58_sgpr59
	s_branch .LBB749_686
.LBB749_685:                            ;   in Loop: Header=BB749_686 Depth=1
	s_or_b64 exec, exec, s[62:63]
	s_and_b64 s[14:15], s[14:15], s[58:59]
	s_or_b64 s[14:15], vcc, s[14:15]
	s_and_b64 s[62:63], exec, s[56:57]
	s_or_b64 s[50:51], s[62:63], s[50:51]
	s_andn2_b64 s[58:59], s[58:59], exec
	s_and_b64 s[14:15], s[14:15], exec
	s_andn2_b64 s[52:53], s[52:53], exec
	s_and_b64 s[62:63], s[54:55], exec
	s_andn2_b64 s[48:49], s[48:49], exec
	s_or_b64 s[58:59], s[58:59], s[14:15]
	s_or_b64 s[52:53], s[52:53], s[62:63]
	;; [unrolled: 1-line block ×3, first 2 shown]
	s_andn2_b64 exec, exec, s[50:51]
	s_cbranch_execz .LBB749_688
.LBB749_686:                            ; =>This Inner Loop Header: Depth=1
	global_load_dwordx2 v[32:33], v[0:1], off
	global_load_dwordx2 v[34:35], v[22:23], off
	s_or_b64 s[54:55], s[54:55], exec
	s_or_b64 s[56:57], s[56:57], exec
	s_waitcnt vmcnt(0)
	v_cmp_lt_f64_e32 vcc, v[32:33], v[34:35]
	v_cmp_ngt_f64_e64 s[14:15], v[32:33], v[34:35]
	s_xor_b64 s[64:65], vcc, s[14:15]
	s_and_saveexec_b64 s[62:63], s[64:65]
	s_cbranch_execz .LBB749_685
; %bb.687:                              ;   in Loop: Header=BB749_686 Depth=1
	s_add_u32 s60, s60, -1
	s_addc_u32 s61, s61, -1
	s_cmp_eq_u64 s[60:61], 0
	s_cselect_b64 s[64:65], -1, 0
	s_andn2_b64 s[56:57], s[56:57], exec
	s_and_b64 s[64:65], s[64:65], exec
	v_lshl_add_u64 v[0:1], v[0:1], 0, 8
	v_lshl_add_u64 v[22:23], v[22:23], 0, 8
	s_andn2_b64 s[54:55], s[54:55], exec
	s_or_b64 s[56:57], s[56:57], s[64:65]
	s_branch .LBB749_685
.LBB749_688:
	s_or_b64 exec, exec, s[50:51]
	s_and_saveexec_b64 s[14:15], s[52:53]
	s_xor_b64 s[14:15], exec, s[14:15]
; %bb.689:
	v_cndmask_b32_e64 v1, v11, v13, s[48:49]
	v_cndmask_b32_e64 v0, v10, v12, s[48:49]
	;; [unrolled: 1-line block ×4, first 2 shown]
	v_mov_b64_e32 v[10:11], v[0:1]
; %bb.690:
	s_or_b64 exec, exec, s[14:15]
	s_or_b64 exec, exec, s[46:47]
	s_and_saveexec_b64 s[46:47], s[36:37]
	s_cbranch_execz .LBB749_652
.LBB749_691:
	v_mul_lo_u32 v22, v9, s20
	v_mul_lo_u32 v23, v8, s21
	v_mad_u64_u32 v[0:1], s[14:15], v8, s20, 0
	v_add3_u32 v1, v1, v23, v22
	v_mul_lo_u32 v32, v7, s20
	v_mul_lo_u32 v33, v6, s21
	v_mad_u64_u32 v[22:23], s[14:15], v6, s20, 0
	v_add3_u32 v23, v23, v33, v32
	v_lshl_add_u64 v[0:1], v[0:1], 3, s[22:23]
	v_lshl_add_u64 v[22:23], v[22:23], 3, s[22:23]
	s_mov_b64 s[50:51], 0
	s_mov_b64 s[60:61], s[20:21]
                                        ; implicit-def: $sgpr48_sgpr49
                                        ; implicit-def: $sgpr52_sgpr53
                                        ; implicit-def: $sgpr56_sgpr57
                                        ; implicit-def: $sgpr54_sgpr55
                                        ; implicit-def: $sgpr58_sgpr59
	s_branch .LBB749_693
.LBB749_692:                            ;   in Loop: Header=BB749_693 Depth=1
	s_or_b64 exec, exec, s[62:63]
	s_and_b64 s[14:15], s[14:15], s[58:59]
	s_or_b64 s[14:15], vcc, s[14:15]
	s_and_b64 s[62:63], exec, s[56:57]
	s_or_b64 s[50:51], s[62:63], s[50:51]
	s_andn2_b64 s[58:59], s[58:59], exec
	s_and_b64 s[14:15], s[14:15], exec
	s_andn2_b64 s[52:53], s[52:53], exec
	s_and_b64 s[62:63], s[54:55], exec
	s_andn2_b64 s[48:49], s[48:49], exec
	s_or_b64 s[58:59], s[58:59], s[14:15]
	s_or_b64 s[52:53], s[52:53], s[62:63]
	s_or_b64 s[48:49], s[48:49], s[14:15]
	s_andn2_b64 exec, exec, s[50:51]
	s_cbranch_execz .LBB749_695
.LBB749_693:                            ; =>This Inner Loop Header: Depth=1
	global_load_dwordx2 v[32:33], v[0:1], off
	global_load_dwordx2 v[34:35], v[22:23], off
	s_or_b64 s[54:55], s[54:55], exec
	s_or_b64 s[56:57], s[56:57], exec
	s_waitcnt vmcnt(0)
	v_cmp_lt_f64_e32 vcc, v[32:33], v[34:35]
	v_cmp_ngt_f64_e64 s[14:15], v[32:33], v[34:35]
	s_xor_b64 s[64:65], vcc, s[14:15]
	s_and_saveexec_b64 s[62:63], s[64:65]
	s_cbranch_execz .LBB749_692
; %bb.694:                              ;   in Loop: Header=BB749_693 Depth=1
	s_add_u32 s60, s60, -1
	s_addc_u32 s61, s61, -1
	s_cmp_eq_u64 s[60:61], 0
	s_cselect_b64 s[64:65], -1, 0
	s_andn2_b64 s[56:57], s[56:57], exec
	s_and_b64 s[64:65], s[64:65], exec
	v_lshl_add_u64 v[0:1], v[0:1], 0, 8
	v_lshl_add_u64 v[22:23], v[22:23], 0, 8
	s_andn2_b64 s[54:55], s[54:55], exec
	s_or_b64 s[56:57], s[56:57], s[64:65]
	s_branch .LBB749_692
.LBB749_695:
	s_or_b64 exec, exec, s[50:51]
	s_and_saveexec_b64 s[14:15], s[52:53]
	s_xor_b64 s[14:15], exec, s[14:15]
; %bb.696:
	v_cndmask_b32_e64 v1, v7, v9, s[48:49]
	v_cndmask_b32_e64 v0, v6, v8, s[48:49]
	;; [unrolled: 1-line block ×4, first 2 shown]
	v_mov_b64_e32 v[6:7], v[0:1]
; %bb.697:
	s_or_b64 exec, exec, s[14:15]
	s_or_b64 exec, exec, s[46:47]
	s_and_saveexec_b64 s[46:47], s[38:39]
	s_cbranch_execz .LBB749_653
.LBB749_698:
	v_mul_lo_u32 v22, v5, s20
	v_mul_lo_u32 v23, v4, s21
	v_mad_u64_u32 v[0:1], s[14:15], v4, s20, 0
	v_add3_u32 v1, v1, v23, v22
	v_mul_lo_u32 v32, v3, s20
	v_mul_lo_u32 v33, v2, s21
	v_mad_u64_u32 v[22:23], s[14:15], v2, s20, 0
	v_add3_u32 v23, v23, v33, v32
	v_lshl_add_u64 v[0:1], v[0:1], 3, s[22:23]
	v_lshl_add_u64 v[22:23], v[22:23], 3, s[22:23]
	s_mov_b64 s[50:51], 0
	s_mov_b64 s[60:61], s[20:21]
                                        ; implicit-def: $sgpr48_sgpr49
                                        ; implicit-def: $sgpr52_sgpr53
                                        ; implicit-def: $sgpr56_sgpr57
                                        ; implicit-def: $sgpr54_sgpr55
                                        ; implicit-def: $sgpr58_sgpr59
	s_branch .LBB749_700
.LBB749_699:                            ;   in Loop: Header=BB749_700 Depth=1
	s_or_b64 exec, exec, s[62:63]
	s_and_b64 s[14:15], s[14:15], s[58:59]
	s_or_b64 s[14:15], vcc, s[14:15]
	s_and_b64 s[62:63], exec, s[56:57]
	s_or_b64 s[50:51], s[62:63], s[50:51]
	s_andn2_b64 s[58:59], s[58:59], exec
	s_and_b64 s[14:15], s[14:15], exec
	s_andn2_b64 s[52:53], s[52:53], exec
	s_and_b64 s[62:63], s[54:55], exec
	s_andn2_b64 s[48:49], s[48:49], exec
	s_or_b64 s[58:59], s[58:59], s[14:15]
	s_or_b64 s[52:53], s[52:53], s[62:63]
	;; [unrolled: 1-line block ×3, first 2 shown]
	s_andn2_b64 exec, exec, s[50:51]
	s_cbranch_execz .LBB749_702
.LBB749_700:                            ; =>This Inner Loop Header: Depth=1
	global_load_dwordx2 v[32:33], v[0:1], off
	global_load_dwordx2 v[34:35], v[22:23], off
	s_or_b64 s[54:55], s[54:55], exec
	s_or_b64 s[56:57], s[56:57], exec
	s_waitcnt vmcnt(0)
	v_cmp_lt_f64_e32 vcc, v[32:33], v[34:35]
	v_cmp_ngt_f64_e64 s[14:15], v[32:33], v[34:35]
	s_xor_b64 s[64:65], vcc, s[14:15]
	s_and_saveexec_b64 s[62:63], s[64:65]
	s_cbranch_execz .LBB749_699
; %bb.701:                              ;   in Loop: Header=BB749_700 Depth=1
	s_add_u32 s60, s60, -1
	s_addc_u32 s61, s61, -1
	s_cmp_eq_u64 s[60:61], 0
	s_cselect_b64 s[64:65], -1, 0
	s_andn2_b64 s[56:57], s[56:57], exec
	s_and_b64 s[64:65], s[64:65], exec
	v_lshl_add_u64 v[0:1], v[0:1], 0, 8
	v_lshl_add_u64 v[22:23], v[22:23], 0, 8
	s_andn2_b64 s[54:55], s[54:55], exec
	s_or_b64 s[56:57], s[56:57], s[64:65]
	s_branch .LBB749_699
.LBB749_702:
	s_or_b64 exec, exec, s[50:51]
	s_and_saveexec_b64 s[14:15], s[52:53]
	s_xor_b64 s[14:15], exec, s[14:15]
; %bb.703:
	v_cndmask_b32_e64 v1, v3, v5, s[48:49]
	v_cndmask_b32_e64 v0, v2, v4, s[48:49]
	;; [unrolled: 1-line block ×4, first 2 shown]
	v_mov_b64_e32 v[2:3], v[0:1]
; %bb.704:
	s_or_b64 exec, exec, s[14:15]
	s_or_b64 exec, exec, s[46:47]
	s_and_saveexec_b64 s[46:47], s[40:41]
	s_cbranch_execz .LBB749_654
.LBB749_705:
	v_mul_lo_u32 v22, v11, s20
	v_mul_lo_u32 v23, v10, s21
	v_mad_u64_u32 v[0:1], s[14:15], v10, s20, 0
	v_add3_u32 v1, v1, v23, v22
	v_mul_lo_u32 v32, v17, s20
	v_mul_lo_u32 v33, v16, s21
	v_mad_u64_u32 v[22:23], s[14:15], v16, s20, 0
	v_add3_u32 v23, v23, v33, v32
	v_lshl_add_u64 v[0:1], v[0:1], 3, s[22:23]
	v_lshl_add_u64 v[22:23], v[22:23], 3, s[22:23]
	s_mov_b64 s[50:51], 0
	s_mov_b64 s[60:61], s[20:21]
                                        ; implicit-def: $sgpr48_sgpr49
                                        ; implicit-def: $sgpr52_sgpr53
                                        ; implicit-def: $sgpr56_sgpr57
                                        ; implicit-def: $sgpr54_sgpr55
                                        ; implicit-def: $sgpr58_sgpr59
	s_branch .LBB749_707
.LBB749_706:                            ;   in Loop: Header=BB749_707 Depth=1
	s_or_b64 exec, exec, s[62:63]
	s_and_b64 s[14:15], s[14:15], s[58:59]
	s_or_b64 s[14:15], vcc, s[14:15]
	s_and_b64 s[62:63], exec, s[56:57]
	s_or_b64 s[50:51], s[62:63], s[50:51]
	s_andn2_b64 s[58:59], s[58:59], exec
	s_and_b64 s[14:15], s[14:15], exec
	s_andn2_b64 s[52:53], s[52:53], exec
	s_and_b64 s[62:63], s[54:55], exec
	s_andn2_b64 s[48:49], s[48:49], exec
	s_or_b64 s[58:59], s[58:59], s[14:15]
	s_or_b64 s[52:53], s[52:53], s[62:63]
	;; [unrolled: 1-line block ×3, first 2 shown]
	s_andn2_b64 exec, exec, s[50:51]
	s_cbranch_execz .LBB749_709
.LBB749_707:                            ; =>This Inner Loop Header: Depth=1
	global_load_dwordx2 v[32:33], v[0:1], off
	global_load_dwordx2 v[34:35], v[22:23], off
	s_or_b64 s[54:55], s[54:55], exec
	s_or_b64 s[56:57], s[56:57], exec
	s_waitcnt vmcnt(0)
	v_cmp_lt_f64_e32 vcc, v[32:33], v[34:35]
	v_cmp_ngt_f64_e64 s[14:15], v[32:33], v[34:35]
	s_xor_b64 s[64:65], vcc, s[14:15]
	s_and_saveexec_b64 s[62:63], s[64:65]
	s_cbranch_execz .LBB749_706
; %bb.708:                              ;   in Loop: Header=BB749_707 Depth=1
	s_add_u32 s60, s60, -1
	s_addc_u32 s61, s61, -1
	s_cmp_eq_u64 s[60:61], 0
	s_cselect_b64 s[64:65], -1, 0
	s_andn2_b64 s[56:57], s[56:57], exec
	s_and_b64 s[64:65], s[64:65], exec
	v_lshl_add_u64 v[0:1], v[0:1], 0, 8
	v_lshl_add_u64 v[22:23], v[22:23], 0, 8
	s_andn2_b64 s[54:55], s[54:55], exec
	s_or_b64 s[56:57], s[56:57], s[64:65]
	s_branch .LBB749_706
.LBB749_709:
	s_or_b64 exec, exec, s[50:51]
	s_and_saveexec_b64 s[14:15], s[52:53]
	s_xor_b64 s[14:15], exec, s[14:15]
; %bb.710:
	v_cndmask_b32_e64 v1, v17, v11, s[48:49]
	v_cndmask_b32_e64 v0, v16, v10, s[48:49]
	;; [unrolled: 1-line block ×4, first 2 shown]
	v_mov_b64_e32 v[16:17], v[0:1]
; %bb.711:
	s_or_b64 exec, exec, s[14:15]
	s_or_b64 exec, exec, s[46:47]
	s_and_saveexec_b64 s[46:47], s[42:43]
	s_cbranch_execz .LBB749_655
.LBB749_712:
	v_mul_lo_u32 v22, v7, s20
	v_mul_lo_u32 v23, v6, s21
	v_mad_u64_u32 v[0:1], s[14:15], v6, s20, 0
	v_add3_u32 v1, v1, v23, v22
	v_mul_lo_u32 v32, v13, s20
	v_mul_lo_u32 v33, v12, s21
	v_mad_u64_u32 v[22:23], s[14:15], v12, s20, 0
	v_add3_u32 v23, v23, v33, v32
	v_lshl_add_u64 v[0:1], v[0:1], 3, s[22:23]
	v_lshl_add_u64 v[22:23], v[22:23], 3, s[22:23]
	s_mov_b64 s[50:51], 0
	s_mov_b64 s[60:61], s[20:21]
                                        ; implicit-def: $sgpr48_sgpr49
                                        ; implicit-def: $sgpr52_sgpr53
                                        ; implicit-def: $sgpr56_sgpr57
                                        ; implicit-def: $sgpr54_sgpr55
                                        ; implicit-def: $sgpr58_sgpr59
	s_branch .LBB749_714
.LBB749_713:                            ;   in Loop: Header=BB749_714 Depth=1
	s_or_b64 exec, exec, s[62:63]
	s_and_b64 s[14:15], s[14:15], s[58:59]
	s_or_b64 s[14:15], vcc, s[14:15]
	s_and_b64 s[62:63], exec, s[56:57]
	s_or_b64 s[50:51], s[62:63], s[50:51]
	s_andn2_b64 s[58:59], s[58:59], exec
	s_and_b64 s[14:15], s[14:15], exec
	s_andn2_b64 s[52:53], s[52:53], exec
	s_and_b64 s[62:63], s[54:55], exec
	s_andn2_b64 s[48:49], s[48:49], exec
	s_or_b64 s[58:59], s[58:59], s[14:15]
	s_or_b64 s[52:53], s[52:53], s[62:63]
	s_or_b64 s[48:49], s[48:49], s[14:15]
	s_andn2_b64 exec, exec, s[50:51]
	s_cbranch_execz .LBB749_716
.LBB749_714:                            ; =>This Inner Loop Header: Depth=1
	global_load_dwordx2 v[32:33], v[0:1], off
	global_load_dwordx2 v[34:35], v[22:23], off
	s_or_b64 s[54:55], s[54:55], exec
	s_or_b64 s[56:57], s[56:57], exec
	s_waitcnt vmcnt(0)
	v_cmp_lt_f64_e32 vcc, v[32:33], v[34:35]
	v_cmp_ngt_f64_e64 s[14:15], v[32:33], v[34:35]
	s_xor_b64 s[64:65], vcc, s[14:15]
	s_and_saveexec_b64 s[62:63], s[64:65]
	s_cbranch_execz .LBB749_713
; %bb.715:                              ;   in Loop: Header=BB749_714 Depth=1
	s_add_u32 s60, s60, -1
	s_addc_u32 s61, s61, -1
	s_cmp_eq_u64 s[60:61], 0
	s_cselect_b64 s[64:65], -1, 0
	s_andn2_b64 s[56:57], s[56:57], exec
	s_and_b64 s[64:65], s[64:65], exec
	v_lshl_add_u64 v[0:1], v[0:1], 0, 8
	v_lshl_add_u64 v[22:23], v[22:23], 0, 8
	s_andn2_b64 s[54:55], s[54:55], exec
	s_or_b64 s[56:57], s[56:57], s[64:65]
	s_branch .LBB749_713
.LBB749_716:
	s_or_b64 exec, exec, s[50:51]
	s_and_saveexec_b64 s[14:15], s[52:53]
	s_xor_b64 s[14:15], exec, s[14:15]
; %bb.717:
	v_cndmask_b32_e64 v1, v13, v7, s[48:49]
	v_cndmask_b32_e64 v0, v12, v6, s[48:49]
	;; [unrolled: 1-line block ×4, first 2 shown]
	v_mov_b64_e32 v[12:13], v[0:1]
; %bb.718:
	s_or_b64 exec, exec, s[14:15]
	s_or_b64 exec, exec, s[46:47]
	s_and_saveexec_b64 s[46:47], s[44:45]
	s_cbranch_execz .LBB749_656
.LBB749_719:
	v_mul_lo_u32 v22, v3, s20
	v_mul_lo_u32 v23, v2, s21
	v_mad_u64_u32 v[0:1], s[14:15], v2, s20, 0
	v_add3_u32 v1, v1, v23, v22
	v_mul_lo_u32 v32, v9, s20
	v_mul_lo_u32 v33, v8, s21
	v_mad_u64_u32 v[22:23], s[14:15], v8, s20, 0
	v_add3_u32 v23, v23, v33, v32
	v_lshl_add_u64 v[0:1], v[0:1], 3, s[22:23]
	v_lshl_add_u64 v[22:23], v[22:23], 3, s[22:23]
	s_mov_b64 s[50:51], 0
	s_mov_b64 s[60:61], s[20:21]
                                        ; implicit-def: $sgpr48_sgpr49
                                        ; implicit-def: $sgpr52_sgpr53
                                        ; implicit-def: $sgpr56_sgpr57
                                        ; implicit-def: $sgpr54_sgpr55
                                        ; implicit-def: $sgpr58_sgpr59
	s_branch .LBB749_721
.LBB749_720:                            ;   in Loop: Header=BB749_721 Depth=1
	s_or_b64 exec, exec, s[62:63]
	s_and_b64 s[14:15], s[14:15], s[58:59]
	s_or_b64 s[14:15], vcc, s[14:15]
	s_and_b64 s[62:63], exec, s[56:57]
	s_or_b64 s[50:51], s[62:63], s[50:51]
	s_andn2_b64 s[58:59], s[58:59], exec
	s_and_b64 s[14:15], s[14:15], exec
	s_andn2_b64 s[52:53], s[52:53], exec
	s_and_b64 s[62:63], s[54:55], exec
	s_andn2_b64 s[48:49], s[48:49], exec
	s_or_b64 s[58:59], s[58:59], s[14:15]
	s_or_b64 s[52:53], s[52:53], s[62:63]
	;; [unrolled: 1-line block ×3, first 2 shown]
	s_andn2_b64 exec, exec, s[50:51]
	s_cbranch_execz .LBB749_723
.LBB749_721:                            ; =>This Inner Loop Header: Depth=1
	global_load_dwordx2 v[32:33], v[0:1], off
	global_load_dwordx2 v[34:35], v[22:23], off
	s_or_b64 s[54:55], s[54:55], exec
	s_or_b64 s[56:57], s[56:57], exec
	s_waitcnt vmcnt(0)
	v_cmp_lt_f64_e32 vcc, v[32:33], v[34:35]
	v_cmp_ngt_f64_e64 s[14:15], v[32:33], v[34:35]
	s_xor_b64 s[64:65], vcc, s[14:15]
	s_and_saveexec_b64 s[62:63], s[64:65]
	s_cbranch_execz .LBB749_720
; %bb.722:                              ;   in Loop: Header=BB749_721 Depth=1
	s_add_u32 s60, s60, -1
	s_addc_u32 s61, s61, -1
	s_cmp_eq_u64 s[60:61], 0
	s_cselect_b64 s[64:65], -1, 0
	s_andn2_b64 s[56:57], s[56:57], exec
	s_and_b64 s[64:65], s[64:65], exec
	v_lshl_add_u64 v[0:1], v[0:1], 0, 8
	v_lshl_add_u64 v[22:23], v[22:23], 0, 8
	s_andn2_b64 s[54:55], s[54:55], exec
	s_or_b64 s[56:57], s[56:57], s[64:65]
	s_branch .LBB749_720
.LBB749_723:
	s_or_b64 exec, exec, s[50:51]
	s_and_saveexec_b64 s[14:15], s[52:53]
	s_xor_b64 s[14:15], exec, s[14:15]
; %bb.724:
	v_cndmask_b32_e64 v1, v9, v3, s[48:49]
	v_cndmask_b32_e64 v0, v8, v2, s[48:49]
	;; [unrolled: 1-line block ×4, first 2 shown]
	v_mov_b64_e32 v[8:9], v[0:1]
; %bb.725:
	s_or_b64 exec, exec, s[14:15]
	s_or_b64 exec, exec, s[46:47]
	s_and_saveexec_b64 s[46:47], s[16:17]
	s_cbranch_execz .LBB749_657
.LBB749_726:
	v_mul_lo_u32 v22, v17, s20
	v_mul_lo_u32 v23, v16, s21
	v_mad_u64_u32 v[0:1], s[14:15], v16, s20, 0
	v_add3_u32 v1, v1, v23, v22
	v_mul_lo_u32 v32, v15, s20
	v_mul_lo_u32 v33, v14, s21
	v_mad_u64_u32 v[22:23], s[14:15], v14, s20, 0
	v_add3_u32 v23, v23, v33, v32
	v_lshl_add_u64 v[0:1], v[0:1], 3, s[22:23]
	v_lshl_add_u64 v[22:23], v[22:23], 3, s[22:23]
	s_mov_b64 s[50:51], 0
	s_mov_b64 s[60:61], s[20:21]
                                        ; implicit-def: $sgpr48_sgpr49
                                        ; implicit-def: $sgpr52_sgpr53
                                        ; implicit-def: $sgpr56_sgpr57
                                        ; implicit-def: $sgpr54_sgpr55
                                        ; implicit-def: $sgpr58_sgpr59
	s_branch .LBB749_728
.LBB749_727:                            ;   in Loop: Header=BB749_728 Depth=1
	s_or_b64 exec, exec, s[62:63]
	s_and_b64 s[14:15], s[14:15], s[58:59]
	s_or_b64 s[14:15], vcc, s[14:15]
	s_and_b64 s[62:63], exec, s[56:57]
	s_or_b64 s[50:51], s[62:63], s[50:51]
	s_andn2_b64 s[58:59], s[58:59], exec
	s_and_b64 s[14:15], s[14:15], exec
	s_andn2_b64 s[52:53], s[52:53], exec
	s_and_b64 s[62:63], s[54:55], exec
	s_andn2_b64 s[48:49], s[48:49], exec
	s_or_b64 s[58:59], s[58:59], s[14:15]
	s_or_b64 s[52:53], s[52:53], s[62:63]
	;; [unrolled: 1-line block ×3, first 2 shown]
	s_andn2_b64 exec, exec, s[50:51]
	s_cbranch_execz .LBB749_730
.LBB749_728:                            ; =>This Inner Loop Header: Depth=1
	global_load_dwordx2 v[32:33], v[0:1], off
	global_load_dwordx2 v[34:35], v[22:23], off
	s_or_b64 s[54:55], s[54:55], exec
	s_or_b64 s[56:57], s[56:57], exec
	s_waitcnt vmcnt(0)
	v_cmp_lt_f64_e32 vcc, v[32:33], v[34:35]
	v_cmp_ngt_f64_e64 s[14:15], v[32:33], v[34:35]
	s_xor_b64 s[64:65], vcc, s[14:15]
	s_and_saveexec_b64 s[62:63], s[64:65]
	s_cbranch_execz .LBB749_727
; %bb.729:                              ;   in Loop: Header=BB749_728 Depth=1
	s_add_u32 s60, s60, -1
	s_addc_u32 s61, s61, -1
	s_cmp_eq_u64 s[60:61], 0
	s_cselect_b64 s[64:65], -1, 0
	s_andn2_b64 s[56:57], s[56:57], exec
	s_and_b64 s[64:65], s[64:65], exec
	v_lshl_add_u64 v[0:1], v[0:1], 0, 8
	v_lshl_add_u64 v[22:23], v[22:23], 0, 8
	s_andn2_b64 s[54:55], s[54:55], exec
	s_or_b64 s[56:57], s[56:57], s[64:65]
	s_branch .LBB749_727
.LBB749_730:
	s_or_b64 exec, exec, s[50:51]
	s_and_saveexec_b64 s[14:15], s[52:53]
	s_xor_b64 s[14:15], exec, s[14:15]
; %bb.731:
	v_cndmask_b32_e64 v1, v17, v15, s[48:49]
	v_cndmask_b32_e64 v0, v16, v14, s[48:49]
	;; [unrolled: 1-line block ×4, first 2 shown]
	v_mov_b64_e32 v[16:17], v[0:1]
; %bb.732:
	s_or_b64 exec, exec, s[14:15]
	s_or_b64 exec, exec, s[46:47]
	s_and_saveexec_b64 s[46:47], s[34:35]
	s_cbranch_execz .LBB749_658
.LBB749_733:
	v_mul_lo_u32 v22, v13, s20
	v_mul_lo_u32 v23, v12, s21
	v_mad_u64_u32 v[0:1], s[14:15], v12, s20, 0
	v_add3_u32 v1, v1, v23, v22
	v_mul_lo_u32 v32, v11, s20
	v_mul_lo_u32 v33, v10, s21
	v_mad_u64_u32 v[22:23], s[14:15], v10, s20, 0
	v_add3_u32 v23, v23, v33, v32
	v_lshl_add_u64 v[0:1], v[0:1], 3, s[22:23]
	v_lshl_add_u64 v[22:23], v[22:23], 3, s[22:23]
	s_mov_b64 s[50:51], 0
	s_mov_b64 s[60:61], s[20:21]
                                        ; implicit-def: $sgpr48_sgpr49
                                        ; implicit-def: $sgpr52_sgpr53
                                        ; implicit-def: $sgpr56_sgpr57
                                        ; implicit-def: $sgpr54_sgpr55
                                        ; implicit-def: $sgpr58_sgpr59
	s_branch .LBB749_735
.LBB749_734:                            ;   in Loop: Header=BB749_735 Depth=1
	s_or_b64 exec, exec, s[62:63]
	s_and_b64 s[14:15], s[14:15], s[58:59]
	s_or_b64 s[14:15], vcc, s[14:15]
	s_and_b64 s[62:63], exec, s[56:57]
	s_or_b64 s[50:51], s[62:63], s[50:51]
	s_andn2_b64 s[58:59], s[58:59], exec
	s_and_b64 s[14:15], s[14:15], exec
	s_andn2_b64 s[52:53], s[52:53], exec
	s_and_b64 s[62:63], s[54:55], exec
	s_andn2_b64 s[48:49], s[48:49], exec
	s_or_b64 s[58:59], s[58:59], s[14:15]
	s_or_b64 s[52:53], s[52:53], s[62:63]
	;; [unrolled: 1-line block ×3, first 2 shown]
	s_andn2_b64 exec, exec, s[50:51]
	s_cbranch_execz .LBB749_737
.LBB749_735:                            ; =>This Inner Loop Header: Depth=1
	global_load_dwordx2 v[32:33], v[0:1], off
	global_load_dwordx2 v[34:35], v[22:23], off
	s_or_b64 s[54:55], s[54:55], exec
	s_or_b64 s[56:57], s[56:57], exec
	s_waitcnt vmcnt(0)
	v_cmp_lt_f64_e32 vcc, v[32:33], v[34:35]
	v_cmp_ngt_f64_e64 s[14:15], v[32:33], v[34:35]
	s_xor_b64 s[64:65], vcc, s[14:15]
	s_and_saveexec_b64 s[62:63], s[64:65]
	s_cbranch_execz .LBB749_734
; %bb.736:                              ;   in Loop: Header=BB749_735 Depth=1
	s_add_u32 s60, s60, -1
	s_addc_u32 s61, s61, -1
	s_cmp_eq_u64 s[60:61], 0
	s_cselect_b64 s[64:65], -1, 0
	s_andn2_b64 s[56:57], s[56:57], exec
	s_and_b64 s[64:65], s[64:65], exec
	v_lshl_add_u64 v[0:1], v[0:1], 0, 8
	v_lshl_add_u64 v[22:23], v[22:23], 0, 8
	s_andn2_b64 s[54:55], s[54:55], exec
	s_or_b64 s[56:57], s[56:57], s[64:65]
	s_branch .LBB749_734
.LBB749_737:
	s_or_b64 exec, exec, s[50:51]
	s_and_saveexec_b64 s[14:15], s[52:53]
	s_xor_b64 s[14:15], exec, s[14:15]
; %bb.738:
	v_cndmask_b32_e64 v1, v11, v13, s[48:49]
	v_cndmask_b32_e64 v0, v10, v12, s[48:49]
	;; [unrolled: 1-line block ×4, first 2 shown]
	v_mov_b64_e32 v[10:11], v[0:1]
; %bb.739:
	s_or_b64 exec, exec, s[14:15]
	s_or_b64 exec, exec, s[46:47]
	s_and_saveexec_b64 s[46:47], s[36:37]
	s_cbranch_execz .LBB749_659
.LBB749_740:
	v_mul_lo_u32 v22, v9, s20
	v_mul_lo_u32 v23, v8, s21
	v_mad_u64_u32 v[0:1], s[14:15], v8, s20, 0
	v_add3_u32 v1, v1, v23, v22
	v_mul_lo_u32 v32, v7, s20
	v_mul_lo_u32 v33, v6, s21
	v_mad_u64_u32 v[22:23], s[14:15], v6, s20, 0
	v_add3_u32 v23, v23, v33, v32
	v_lshl_add_u64 v[0:1], v[0:1], 3, s[22:23]
	v_lshl_add_u64 v[22:23], v[22:23], 3, s[22:23]
	s_mov_b64 s[50:51], 0
	s_mov_b64 s[60:61], s[20:21]
                                        ; implicit-def: $sgpr48_sgpr49
                                        ; implicit-def: $sgpr52_sgpr53
                                        ; implicit-def: $sgpr56_sgpr57
                                        ; implicit-def: $sgpr54_sgpr55
                                        ; implicit-def: $sgpr58_sgpr59
	s_branch .LBB749_742
.LBB749_741:                            ;   in Loop: Header=BB749_742 Depth=1
	s_or_b64 exec, exec, s[62:63]
	s_and_b64 s[14:15], s[14:15], s[58:59]
	s_or_b64 s[14:15], vcc, s[14:15]
	s_and_b64 s[62:63], exec, s[56:57]
	s_or_b64 s[50:51], s[62:63], s[50:51]
	s_andn2_b64 s[58:59], s[58:59], exec
	s_and_b64 s[14:15], s[14:15], exec
	s_andn2_b64 s[52:53], s[52:53], exec
	s_and_b64 s[62:63], s[54:55], exec
	s_andn2_b64 s[48:49], s[48:49], exec
	s_or_b64 s[58:59], s[58:59], s[14:15]
	s_or_b64 s[52:53], s[52:53], s[62:63]
	s_or_b64 s[48:49], s[48:49], s[14:15]
	s_andn2_b64 exec, exec, s[50:51]
	s_cbranch_execz .LBB749_744
.LBB749_742:                            ; =>This Inner Loop Header: Depth=1
	global_load_dwordx2 v[32:33], v[0:1], off
	global_load_dwordx2 v[34:35], v[22:23], off
	s_or_b64 s[54:55], s[54:55], exec
	s_or_b64 s[56:57], s[56:57], exec
	s_waitcnt vmcnt(0)
	v_cmp_lt_f64_e32 vcc, v[32:33], v[34:35]
	v_cmp_ngt_f64_e64 s[14:15], v[32:33], v[34:35]
	s_xor_b64 s[64:65], vcc, s[14:15]
	s_and_saveexec_b64 s[62:63], s[64:65]
	s_cbranch_execz .LBB749_741
; %bb.743:                              ;   in Loop: Header=BB749_742 Depth=1
	s_add_u32 s60, s60, -1
	s_addc_u32 s61, s61, -1
	s_cmp_eq_u64 s[60:61], 0
	s_cselect_b64 s[64:65], -1, 0
	s_andn2_b64 s[56:57], s[56:57], exec
	s_and_b64 s[64:65], s[64:65], exec
	v_lshl_add_u64 v[0:1], v[0:1], 0, 8
	v_lshl_add_u64 v[22:23], v[22:23], 0, 8
	s_andn2_b64 s[54:55], s[54:55], exec
	s_or_b64 s[56:57], s[56:57], s[64:65]
	s_branch .LBB749_741
.LBB749_744:
	s_or_b64 exec, exec, s[50:51]
	s_and_saveexec_b64 s[14:15], s[52:53]
	s_xor_b64 s[14:15], exec, s[14:15]
; %bb.745:
	v_cndmask_b32_e64 v1, v7, v9, s[48:49]
	v_cndmask_b32_e64 v0, v6, v8, s[48:49]
	;; [unrolled: 1-line block ×4, first 2 shown]
	v_mov_b64_e32 v[6:7], v[0:1]
; %bb.746:
	s_or_b64 exec, exec, s[14:15]
	s_or_b64 exec, exec, s[46:47]
	s_and_saveexec_b64 s[46:47], s[38:39]
	s_cbranch_execz .LBB749_660
.LBB749_747:
	v_mul_lo_u32 v22, v5, s20
	v_mul_lo_u32 v23, v4, s21
	v_mad_u64_u32 v[0:1], s[14:15], v4, s20, 0
	v_add3_u32 v1, v1, v23, v22
	v_mul_lo_u32 v32, v3, s20
	v_mul_lo_u32 v33, v2, s21
	v_mad_u64_u32 v[22:23], s[14:15], v2, s20, 0
	v_add3_u32 v23, v23, v33, v32
	v_lshl_add_u64 v[0:1], v[0:1], 3, s[22:23]
	v_lshl_add_u64 v[22:23], v[22:23], 3, s[22:23]
	s_mov_b64 s[50:51], 0
	s_mov_b64 s[60:61], s[20:21]
                                        ; implicit-def: $sgpr48_sgpr49
                                        ; implicit-def: $sgpr52_sgpr53
                                        ; implicit-def: $sgpr56_sgpr57
                                        ; implicit-def: $sgpr54_sgpr55
                                        ; implicit-def: $sgpr58_sgpr59
	s_branch .LBB749_749
.LBB749_748:                            ;   in Loop: Header=BB749_749 Depth=1
	s_or_b64 exec, exec, s[62:63]
	s_and_b64 s[14:15], s[14:15], s[58:59]
	s_or_b64 s[14:15], vcc, s[14:15]
	s_and_b64 s[62:63], exec, s[56:57]
	s_or_b64 s[50:51], s[62:63], s[50:51]
	s_andn2_b64 s[58:59], s[58:59], exec
	s_and_b64 s[14:15], s[14:15], exec
	s_andn2_b64 s[52:53], s[52:53], exec
	s_and_b64 s[62:63], s[54:55], exec
	s_andn2_b64 s[48:49], s[48:49], exec
	s_or_b64 s[58:59], s[58:59], s[14:15]
	s_or_b64 s[52:53], s[52:53], s[62:63]
	;; [unrolled: 1-line block ×3, first 2 shown]
	s_andn2_b64 exec, exec, s[50:51]
	s_cbranch_execz .LBB749_751
.LBB749_749:                            ; =>This Inner Loop Header: Depth=1
	global_load_dwordx2 v[32:33], v[0:1], off
	global_load_dwordx2 v[34:35], v[22:23], off
	s_or_b64 s[54:55], s[54:55], exec
	s_or_b64 s[56:57], s[56:57], exec
	s_waitcnt vmcnt(0)
	v_cmp_lt_f64_e32 vcc, v[32:33], v[34:35]
	v_cmp_ngt_f64_e64 s[14:15], v[32:33], v[34:35]
	s_xor_b64 s[64:65], vcc, s[14:15]
	s_and_saveexec_b64 s[62:63], s[64:65]
	s_cbranch_execz .LBB749_748
; %bb.750:                              ;   in Loop: Header=BB749_749 Depth=1
	s_add_u32 s60, s60, -1
	s_addc_u32 s61, s61, -1
	s_cmp_eq_u64 s[60:61], 0
	s_cselect_b64 s[64:65], -1, 0
	s_andn2_b64 s[56:57], s[56:57], exec
	s_and_b64 s[64:65], s[64:65], exec
	v_lshl_add_u64 v[0:1], v[0:1], 0, 8
	v_lshl_add_u64 v[22:23], v[22:23], 0, 8
	s_andn2_b64 s[54:55], s[54:55], exec
	s_or_b64 s[56:57], s[56:57], s[64:65]
	s_branch .LBB749_748
.LBB749_751:
	s_or_b64 exec, exec, s[50:51]
	s_and_saveexec_b64 s[14:15], s[52:53]
	s_xor_b64 s[14:15], exec, s[14:15]
; %bb.752:
	v_cndmask_b32_e64 v1, v3, v5, s[48:49]
	v_cndmask_b32_e64 v0, v2, v4, s[48:49]
	v_cndmask_b32_e64 v5, v5, v3, s[48:49]
	v_cndmask_b32_e64 v4, v4, v2, s[48:49]
	v_mov_b64_e32 v[2:3], v[0:1]
; %bb.753:
	s_or_b64 exec, exec, s[14:15]
	s_or_b64 exec, exec, s[46:47]
	s_and_saveexec_b64 s[46:47], s[40:41]
	s_cbranch_execz .LBB749_661
.LBB749_754:
	v_mul_lo_u32 v22, v11, s20
	v_mul_lo_u32 v23, v10, s21
	v_mad_u64_u32 v[0:1], s[14:15], v10, s20, 0
	v_add3_u32 v1, v1, v23, v22
	v_mul_lo_u32 v32, v17, s20
	v_mul_lo_u32 v33, v16, s21
	v_mad_u64_u32 v[22:23], s[14:15], v16, s20, 0
	v_add3_u32 v23, v23, v33, v32
	v_lshl_add_u64 v[0:1], v[0:1], 3, s[22:23]
	v_lshl_add_u64 v[22:23], v[22:23], 3, s[22:23]
	s_mov_b64 s[50:51], 0
	s_mov_b64 s[60:61], s[20:21]
                                        ; implicit-def: $sgpr48_sgpr49
                                        ; implicit-def: $sgpr52_sgpr53
                                        ; implicit-def: $sgpr56_sgpr57
                                        ; implicit-def: $sgpr54_sgpr55
                                        ; implicit-def: $sgpr58_sgpr59
	s_branch .LBB749_756
.LBB749_755:                            ;   in Loop: Header=BB749_756 Depth=1
	s_or_b64 exec, exec, s[62:63]
	s_and_b64 s[14:15], s[14:15], s[58:59]
	s_or_b64 s[14:15], vcc, s[14:15]
	s_and_b64 s[62:63], exec, s[56:57]
	s_or_b64 s[50:51], s[62:63], s[50:51]
	s_andn2_b64 s[58:59], s[58:59], exec
	s_and_b64 s[14:15], s[14:15], exec
	s_andn2_b64 s[52:53], s[52:53], exec
	s_and_b64 s[62:63], s[54:55], exec
	s_andn2_b64 s[48:49], s[48:49], exec
	s_or_b64 s[58:59], s[58:59], s[14:15]
	s_or_b64 s[52:53], s[52:53], s[62:63]
	;; [unrolled: 1-line block ×3, first 2 shown]
	s_andn2_b64 exec, exec, s[50:51]
	s_cbranch_execz .LBB749_758
.LBB749_756:                            ; =>This Inner Loop Header: Depth=1
	global_load_dwordx2 v[32:33], v[0:1], off
	global_load_dwordx2 v[34:35], v[22:23], off
	s_or_b64 s[54:55], s[54:55], exec
	s_or_b64 s[56:57], s[56:57], exec
	s_waitcnt vmcnt(0)
	v_cmp_lt_f64_e32 vcc, v[32:33], v[34:35]
	v_cmp_ngt_f64_e64 s[14:15], v[32:33], v[34:35]
	s_xor_b64 s[64:65], vcc, s[14:15]
	s_and_saveexec_b64 s[62:63], s[64:65]
	s_cbranch_execz .LBB749_755
; %bb.757:                              ;   in Loop: Header=BB749_756 Depth=1
	s_add_u32 s60, s60, -1
	s_addc_u32 s61, s61, -1
	s_cmp_eq_u64 s[60:61], 0
	s_cselect_b64 s[64:65], -1, 0
	s_andn2_b64 s[56:57], s[56:57], exec
	s_and_b64 s[64:65], s[64:65], exec
	v_lshl_add_u64 v[0:1], v[0:1], 0, 8
	v_lshl_add_u64 v[22:23], v[22:23], 0, 8
	s_andn2_b64 s[54:55], s[54:55], exec
	s_or_b64 s[56:57], s[56:57], s[64:65]
	s_branch .LBB749_755
.LBB749_758:
	s_or_b64 exec, exec, s[50:51]
	s_and_saveexec_b64 s[14:15], s[52:53]
	s_xor_b64 s[14:15], exec, s[14:15]
; %bb.759:
	v_cndmask_b32_e64 v1, v17, v11, s[48:49]
	v_cndmask_b32_e64 v0, v16, v10, s[48:49]
	v_cndmask_b32_e64 v11, v11, v17, s[48:49]
	v_cndmask_b32_e64 v10, v10, v16, s[48:49]
	v_mov_b64_e32 v[16:17], v[0:1]
; %bb.760:
	s_or_b64 exec, exec, s[14:15]
	s_or_b64 exec, exec, s[46:47]
	s_and_saveexec_b64 s[46:47], s[42:43]
	s_cbranch_execz .LBB749_662
.LBB749_761:
	v_mul_lo_u32 v22, v7, s20
	v_mul_lo_u32 v23, v6, s21
	v_mad_u64_u32 v[0:1], s[14:15], v6, s20, 0
	v_add3_u32 v1, v1, v23, v22
	v_mul_lo_u32 v32, v13, s20
	v_mul_lo_u32 v33, v12, s21
	v_mad_u64_u32 v[22:23], s[14:15], v12, s20, 0
	v_add3_u32 v23, v23, v33, v32
	v_lshl_add_u64 v[0:1], v[0:1], 3, s[22:23]
	v_lshl_add_u64 v[22:23], v[22:23], 3, s[22:23]
	s_mov_b64 s[50:51], 0
	s_mov_b64 s[60:61], s[20:21]
                                        ; implicit-def: $sgpr48_sgpr49
                                        ; implicit-def: $sgpr52_sgpr53
                                        ; implicit-def: $sgpr56_sgpr57
                                        ; implicit-def: $sgpr54_sgpr55
                                        ; implicit-def: $sgpr58_sgpr59
	s_branch .LBB749_763
.LBB749_762:                            ;   in Loop: Header=BB749_763 Depth=1
	s_or_b64 exec, exec, s[62:63]
	s_and_b64 s[14:15], s[14:15], s[58:59]
	s_or_b64 s[14:15], vcc, s[14:15]
	s_and_b64 s[62:63], exec, s[56:57]
	s_or_b64 s[50:51], s[62:63], s[50:51]
	s_andn2_b64 s[58:59], s[58:59], exec
	s_and_b64 s[14:15], s[14:15], exec
	s_andn2_b64 s[52:53], s[52:53], exec
	s_and_b64 s[62:63], s[54:55], exec
	s_andn2_b64 s[48:49], s[48:49], exec
	s_or_b64 s[58:59], s[58:59], s[14:15]
	s_or_b64 s[52:53], s[52:53], s[62:63]
	;; [unrolled: 1-line block ×3, first 2 shown]
	s_andn2_b64 exec, exec, s[50:51]
	s_cbranch_execz .LBB749_765
.LBB749_763:                            ; =>This Inner Loop Header: Depth=1
	global_load_dwordx2 v[32:33], v[0:1], off
	global_load_dwordx2 v[34:35], v[22:23], off
	s_or_b64 s[54:55], s[54:55], exec
	s_or_b64 s[56:57], s[56:57], exec
	s_waitcnt vmcnt(0)
	v_cmp_lt_f64_e32 vcc, v[32:33], v[34:35]
	v_cmp_ngt_f64_e64 s[14:15], v[32:33], v[34:35]
	s_xor_b64 s[64:65], vcc, s[14:15]
	s_and_saveexec_b64 s[62:63], s[64:65]
	s_cbranch_execz .LBB749_762
; %bb.764:                              ;   in Loop: Header=BB749_763 Depth=1
	s_add_u32 s60, s60, -1
	s_addc_u32 s61, s61, -1
	s_cmp_eq_u64 s[60:61], 0
	s_cselect_b64 s[64:65], -1, 0
	s_andn2_b64 s[56:57], s[56:57], exec
	s_and_b64 s[64:65], s[64:65], exec
	v_lshl_add_u64 v[0:1], v[0:1], 0, 8
	v_lshl_add_u64 v[22:23], v[22:23], 0, 8
	s_andn2_b64 s[54:55], s[54:55], exec
	s_or_b64 s[56:57], s[56:57], s[64:65]
	s_branch .LBB749_762
.LBB749_765:
	s_or_b64 exec, exec, s[50:51]
	s_and_saveexec_b64 s[14:15], s[52:53]
	s_xor_b64 s[14:15], exec, s[14:15]
; %bb.766:
	v_cndmask_b32_e64 v1, v13, v7, s[48:49]
	v_cndmask_b32_e64 v0, v12, v6, s[48:49]
	;; [unrolled: 1-line block ×4, first 2 shown]
	v_mov_b64_e32 v[12:13], v[0:1]
; %bb.767:
	s_or_b64 exec, exec, s[14:15]
	s_or_b64 exec, exec, s[46:47]
	s_and_saveexec_b64 s[46:47], s[44:45]
	s_cbranch_execz .LBB749_663
.LBB749_768:
	v_mul_lo_u32 v22, v3, s20
	v_mul_lo_u32 v23, v2, s21
	v_mad_u64_u32 v[0:1], s[14:15], v2, s20, 0
	v_add3_u32 v1, v1, v23, v22
	v_mul_lo_u32 v32, v9, s20
	v_mul_lo_u32 v33, v8, s21
	v_mad_u64_u32 v[22:23], s[14:15], v8, s20, 0
	v_add3_u32 v23, v23, v33, v32
	v_lshl_add_u64 v[0:1], v[0:1], 3, s[22:23]
	v_lshl_add_u64 v[22:23], v[22:23], 3, s[22:23]
	s_mov_b64 s[50:51], 0
	s_mov_b64 s[60:61], s[20:21]
                                        ; implicit-def: $sgpr48_sgpr49
                                        ; implicit-def: $sgpr52_sgpr53
                                        ; implicit-def: $sgpr56_sgpr57
                                        ; implicit-def: $sgpr54_sgpr55
                                        ; implicit-def: $sgpr58_sgpr59
	s_branch .LBB749_770
.LBB749_769:                            ;   in Loop: Header=BB749_770 Depth=1
	s_or_b64 exec, exec, s[62:63]
	s_and_b64 s[14:15], s[14:15], s[58:59]
	s_or_b64 s[14:15], vcc, s[14:15]
	s_and_b64 s[62:63], exec, s[56:57]
	s_or_b64 s[50:51], s[62:63], s[50:51]
	s_andn2_b64 s[58:59], s[58:59], exec
	s_and_b64 s[14:15], s[14:15], exec
	s_andn2_b64 s[52:53], s[52:53], exec
	s_and_b64 s[62:63], s[54:55], exec
	s_andn2_b64 s[48:49], s[48:49], exec
	s_or_b64 s[58:59], s[58:59], s[14:15]
	s_or_b64 s[52:53], s[52:53], s[62:63]
	;; [unrolled: 1-line block ×3, first 2 shown]
	s_andn2_b64 exec, exec, s[50:51]
	s_cbranch_execz .LBB749_772
.LBB749_770:                            ; =>This Inner Loop Header: Depth=1
	global_load_dwordx2 v[32:33], v[0:1], off
	global_load_dwordx2 v[34:35], v[22:23], off
	s_or_b64 s[54:55], s[54:55], exec
	s_or_b64 s[56:57], s[56:57], exec
	s_waitcnt vmcnt(0)
	v_cmp_lt_f64_e32 vcc, v[32:33], v[34:35]
	v_cmp_ngt_f64_e64 s[14:15], v[32:33], v[34:35]
	s_xor_b64 s[64:65], vcc, s[14:15]
	s_and_saveexec_b64 s[62:63], s[64:65]
	s_cbranch_execz .LBB749_769
; %bb.771:                              ;   in Loop: Header=BB749_770 Depth=1
	s_add_u32 s60, s60, -1
	s_addc_u32 s61, s61, -1
	s_cmp_eq_u64 s[60:61], 0
	s_cselect_b64 s[64:65], -1, 0
	s_andn2_b64 s[56:57], s[56:57], exec
	s_and_b64 s[64:65], s[64:65], exec
	v_lshl_add_u64 v[0:1], v[0:1], 0, 8
	v_lshl_add_u64 v[22:23], v[22:23], 0, 8
	s_andn2_b64 s[54:55], s[54:55], exec
	s_or_b64 s[56:57], s[56:57], s[64:65]
	s_branch .LBB749_769
.LBB749_772:
	s_or_b64 exec, exec, s[50:51]
	s_and_saveexec_b64 s[14:15], s[52:53]
	s_xor_b64 s[14:15], exec, s[14:15]
; %bb.773:
	v_cndmask_b32_e64 v1, v9, v3, s[48:49]
	v_cndmask_b32_e64 v0, v8, v2, s[48:49]
	v_cndmask_b32_e64 v3, v3, v9, s[48:49]
	v_cndmask_b32_e64 v2, v2, v8, s[48:49]
	v_mov_b64_e32 v[8:9], v[0:1]
; %bb.774:
	s_or_b64 exec, exec, s[14:15]
	s_or_b64 exec, exec, s[46:47]
	s_and_saveexec_b64 s[46:47], s[16:17]
	s_cbranch_execz .LBB749_664
.LBB749_775:
	v_mul_lo_u32 v22, v17, s20
	v_mul_lo_u32 v23, v16, s21
	v_mad_u64_u32 v[0:1], s[14:15], v16, s20, 0
	v_add3_u32 v1, v1, v23, v22
	v_mul_lo_u32 v32, v15, s20
	v_mul_lo_u32 v33, v14, s21
	v_mad_u64_u32 v[22:23], s[14:15], v14, s20, 0
	v_add3_u32 v23, v23, v33, v32
	v_lshl_add_u64 v[0:1], v[0:1], 3, s[22:23]
	v_lshl_add_u64 v[22:23], v[22:23], 3, s[22:23]
	s_mov_b64 s[48:49], 0
	s_mov_b64 s[58:59], s[20:21]
                                        ; implicit-def: $sgpr16_sgpr17
                                        ; implicit-def: $sgpr50_sgpr51
                                        ; implicit-def: $sgpr54_sgpr55
                                        ; implicit-def: $sgpr52_sgpr53
                                        ; implicit-def: $sgpr56_sgpr57
	s_branch .LBB749_777
.LBB749_776:                            ;   in Loop: Header=BB749_777 Depth=1
	s_or_b64 exec, exec, s[60:61]
	s_and_b64 s[14:15], s[14:15], s[56:57]
	s_or_b64 s[14:15], vcc, s[14:15]
	s_and_b64 s[60:61], exec, s[54:55]
	s_or_b64 s[48:49], s[60:61], s[48:49]
	s_andn2_b64 s[56:57], s[56:57], exec
	s_and_b64 s[14:15], s[14:15], exec
	s_andn2_b64 s[50:51], s[50:51], exec
	s_and_b64 s[60:61], s[52:53], exec
	s_andn2_b64 s[16:17], s[16:17], exec
	s_or_b64 s[56:57], s[56:57], s[14:15]
	s_or_b64 s[50:51], s[50:51], s[60:61]
	s_or_b64 s[16:17], s[16:17], s[14:15]
	s_andn2_b64 exec, exec, s[48:49]
	s_cbranch_execz .LBB749_779
.LBB749_777:                            ; =>This Inner Loop Header: Depth=1
	global_load_dwordx2 v[32:33], v[0:1], off
	global_load_dwordx2 v[34:35], v[22:23], off
	s_or_b64 s[52:53], s[52:53], exec
	s_or_b64 s[54:55], s[54:55], exec
	s_waitcnt vmcnt(0)
	v_cmp_lt_f64_e32 vcc, v[32:33], v[34:35]
	v_cmp_ngt_f64_e64 s[14:15], v[32:33], v[34:35]
	s_xor_b64 s[62:63], vcc, s[14:15]
	s_and_saveexec_b64 s[60:61], s[62:63]
	s_cbranch_execz .LBB749_776
; %bb.778:                              ;   in Loop: Header=BB749_777 Depth=1
	s_add_u32 s58, s58, -1
	s_addc_u32 s59, s59, -1
	s_cmp_eq_u64 s[58:59], 0
	s_cselect_b64 s[62:63], -1, 0
	s_andn2_b64 s[54:55], s[54:55], exec
	s_and_b64 s[62:63], s[62:63], exec
	v_lshl_add_u64 v[0:1], v[0:1], 0, 8
	v_lshl_add_u64 v[22:23], v[22:23], 0, 8
	s_andn2_b64 s[52:53], s[52:53], exec
	s_or_b64 s[54:55], s[54:55], s[62:63]
	s_branch .LBB749_776
.LBB749_779:
	s_or_b64 exec, exec, s[48:49]
	s_and_saveexec_b64 s[14:15], s[50:51]
	s_xor_b64 s[14:15], exec, s[14:15]
; %bb.780:
	v_cndmask_b32_e64 v1, v17, v15, s[16:17]
	v_cndmask_b32_e64 v0, v16, v14, s[16:17]
	;; [unrolled: 1-line block ×4, first 2 shown]
	v_mov_b64_e32 v[16:17], v[0:1]
; %bb.781:
	s_or_b64 exec, exec, s[14:15]
	s_or_b64 exec, exec, s[46:47]
	s_and_saveexec_b64 s[16:17], s[34:35]
	s_cbranch_execz .LBB749_665
.LBB749_782:
	v_mul_lo_u32 v22, v13, s20
	v_mul_lo_u32 v23, v12, s21
	v_mad_u64_u32 v[0:1], s[14:15], v12, s20, 0
	v_add3_u32 v1, v1, v23, v22
	v_mul_lo_u32 v32, v11, s20
	v_mul_lo_u32 v33, v10, s21
	v_mad_u64_u32 v[22:23], s[14:15], v10, s20, 0
	v_add3_u32 v23, v23, v33, v32
	v_lshl_add_u64 v[0:1], v[0:1], 3, s[22:23]
	v_lshl_add_u64 v[22:23], v[22:23], 3, s[22:23]
	s_mov_b64 s[46:47], 0
	s_mov_b64 s[56:57], s[20:21]
                                        ; implicit-def: $sgpr34_sgpr35
                                        ; implicit-def: $sgpr48_sgpr49
                                        ; implicit-def: $sgpr52_sgpr53
                                        ; implicit-def: $sgpr50_sgpr51
                                        ; implicit-def: $sgpr54_sgpr55
	s_branch .LBB749_784
.LBB749_783:                            ;   in Loop: Header=BB749_784 Depth=1
	s_or_b64 exec, exec, s[58:59]
	s_and_b64 s[14:15], s[14:15], s[54:55]
	s_or_b64 s[14:15], vcc, s[14:15]
	s_and_b64 s[58:59], exec, s[52:53]
	s_or_b64 s[46:47], s[58:59], s[46:47]
	s_andn2_b64 s[54:55], s[54:55], exec
	s_and_b64 s[14:15], s[14:15], exec
	s_andn2_b64 s[48:49], s[48:49], exec
	s_and_b64 s[58:59], s[50:51], exec
	s_andn2_b64 s[34:35], s[34:35], exec
	s_or_b64 s[54:55], s[54:55], s[14:15]
	s_or_b64 s[48:49], s[48:49], s[58:59]
	;; [unrolled: 1-line block ×3, first 2 shown]
	s_andn2_b64 exec, exec, s[46:47]
	s_cbranch_execz .LBB749_786
.LBB749_784:                            ; =>This Inner Loop Header: Depth=1
	global_load_dwordx2 v[32:33], v[0:1], off
	global_load_dwordx2 v[34:35], v[22:23], off
	s_or_b64 s[50:51], s[50:51], exec
	s_or_b64 s[52:53], s[52:53], exec
	s_waitcnt vmcnt(0)
	v_cmp_lt_f64_e32 vcc, v[32:33], v[34:35]
	v_cmp_ngt_f64_e64 s[14:15], v[32:33], v[34:35]
	s_xor_b64 s[60:61], vcc, s[14:15]
	s_and_saveexec_b64 s[58:59], s[60:61]
	s_cbranch_execz .LBB749_783
; %bb.785:                              ;   in Loop: Header=BB749_784 Depth=1
	s_add_u32 s56, s56, -1
	s_addc_u32 s57, s57, -1
	s_cmp_eq_u64 s[56:57], 0
	s_cselect_b64 s[60:61], -1, 0
	s_andn2_b64 s[52:53], s[52:53], exec
	s_and_b64 s[60:61], s[60:61], exec
	v_lshl_add_u64 v[0:1], v[0:1], 0, 8
	v_lshl_add_u64 v[22:23], v[22:23], 0, 8
	s_andn2_b64 s[50:51], s[50:51], exec
	s_or_b64 s[52:53], s[52:53], s[60:61]
	s_branch .LBB749_783
.LBB749_786:
	s_or_b64 exec, exec, s[46:47]
	s_and_saveexec_b64 s[14:15], s[48:49]
	s_xor_b64 s[14:15], exec, s[14:15]
; %bb.787:
	v_cndmask_b32_e64 v1, v11, v13, s[34:35]
	v_cndmask_b32_e64 v0, v10, v12, s[34:35]
	;; [unrolled: 1-line block ×4, first 2 shown]
	v_mov_b64_e32 v[10:11], v[0:1]
; %bb.788:
	s_or_b64 exec, exec, s[14:15]
	s_or_b64 exec, exec, s[16:17]
	s_and_saveexec_b64 s[16:17], s[36:37]
	s_cbranch_execz .LBB749_666
.LBB749_789:
	v_mul_lo_u32 v22, v9, s20
	v_mul_lo_u32 v23, v8, s21
	v_mad_u64_u32 v[0:1], s[14:15], v8, s20, 0
	v_add3_u32 v1, v1, v23, v22
	v_mul_lo_u32 v32, v7, s20
	v_mul_lo_u32 v33, v6, s21
	v_mad_u64_u32 v[22:23], s[14:15], v6, s20, 0
	v_add3_u32 v23, v23, v33, v32
	v_lshl_add_u64 v[0:1], v[0:1], 3, s[22:23]
	v_lshl_add_u64 v[22:23], v[22:23], 3, s[22:23]
	s_mov_b64 s[36:37], 0
	s_mov_b64 s[54:55], s[20:21]
                                        ; implicit-def: $sgpr34_sgpr35
                                        ; implicit-def: $sgpr46_sgpr47
                                        ; implicit-def: $sgpr50_sgpr51
                                        ; implicit-def: $sgpr48_sgpr49
                                        ; implicit-def: $sgpr52_sgpr53
	s_branch .LBB749_791
.LBB749_790:                            ;   in Loop: Header=BB749_791 Depth=1
	s_or_b64 exec, exec, s[56:57]
	s_and_b64 s[14:15], s[14:15], s[52:53]
	s_or_b64 s[14:15], vcc, s[14:15]
	s_and_b64 s[56:57], exec, s[50:51]
	s_or_b64 s[36:37], s[56:57], s[36:37]
	s_andn2_b64 s[52:53], s[52:53], exec
	s_and_b64 s[14:15], s[14:15], exec
	s_andn2_b64 s[46:47], s[46:47], exec
	s_and_b64 s[56:57], s[48:49], exec
	s_andn2_b64 s[34:35], s[34:35], exec
	s_or_b64 s[52:53], s[52:53], s[14:15]
	s_or_b64 s[46:47], s[46:47], s[56:57]
	s_or_b64 s[34:35], s[34:35], s[14:15]
	s_andn2_b64 exec, exec, s[36:37]
	s_cbranch_execz .LBB749_793
.LBB749_791:                            ; =>This Inner Loop Header: Depth=1
	global_load_dwordx2 v[32:33], v[0:1], off
	global_load_dwordx2 v[34:35], v[22:23], off
	s_or_b64 s[48:49], s[48:49], exec
	s_or_b64 s[50:51], s[50:51], exec
	s_waitcnt vmcnt(0)
	v_cmp_lt_f64_e32 vcc, v[32:33], v[34:35]
	v_cmp_ngt_f64_e64 s[14:15], v[32:33], v[34:35]
	s_xor_b64 s[58:59], vcc, s[14:15]
	s_and_saveexec_b64 s[56:57], s[58:59]
	s_cbranch_execz .LBB749_790
; %bb.792:                              ;   in Loop: Header=BB749_791 Depth=1
	s_add_u32 s54, s54, -1
	s_addc_u32 s55, s55, -1
	s_cmp_eq_u64 s[54:55], 0
	s_cselect_b64 s[58:59], -1, 0
	s_andn2_b64 s[50:51], s[50:51], exec
	s_and_b64 s[58:59], s[58:59], exec
	v_lshl_add_u64 v[0:1], v[0:1], 0, 8
	v_lshl_add_u64 v[22:23], v[22:23], 0, 8
	s_andn2_b64 s[48:49], s[48:49], exec
	s_or_b64 s[50:51], s[50:51], s[58:59]
	s_branch .LBB749_790
.LBB749_793:
	s_or_b64 exec, exec, s[36:37]
	s_and_saveexec_b64 s[14:15], s[46:47]
	s_xor_b64 s[14:15], exec, s[14:15]
; %bb.794:
	v_cndmask_b32_e64 v1, v7, v9, s[34:35]
	v_cndmask_b32_e64 v0, v6, v8, s[34:35]
	;; [unrolled: 1-line block ×4, first 2 shown]
	v_mov_b64_e32 v[6:7], v[0:1]
; %bb.795:
	s_or_b64 exec, exec, s[14:15]
	s_or_b64 exec, exec, s[16:17]
	s_and_saveexec_b64 s[16:17], s[38:39]
	s_cbranch_execz .LBB749_667
.LBB749_796:
	v_mul_lo_u32 v22, v5, s20
	v_mul_lo_u32 v23, v4, s21
	v_mad_u64_u32 v[0:1], s[14:15], v4, s20, 0
	v_add3_u32 v1, v1, v23, v22
	v_mul_lo_u32 v32, v3, s20
	v_mul_lo_u32 v33, v2, s21
	v_mad_u64_u32 v[22:23], s[14:15], v2, s20, 0
	v_add3_u32 v23, v23, v33, v32
	v_lshl_add_u64 v[0:1], v[0:1], 3, s[22:23]
	v_lshl_add_u64 v[22:23], v[22:23], 3, s[22:23]
	s_mov_b64 s[36:37], 0
	s_mov_b64 s[52:53], s[20:21]
                                        ; implicit-def: $sgpr34_sgpr35
                                        ; implicit-def: $sgpr38_sgpr39
                                        ; implicit-def: $sgpr48_sgpr49
                                        ; implicit-def: $sgpr46_sgpr47
                                        ; implicit-def: $sgpr50_sgpr51
	s_branch .LBB749_798
.LBB749_797:                            ;   in Loop: Header=BB749_798 Depth=1
	s_or_b64 exec, exec, s[54:55]
	s_and_b64 s[14:15], s[14:15], s[50:51]
	s_or_b64 s[14:15], vcc, s[14:15]
	s_and_b64 s[54:55], exec, s[48:49]
	s_or_b64 s[36:37], s[54:55], s[36:37]
	s_andn2_b64 s[50:51], s[50:51], exec
	s_and_b64 s[14:15], s[14:15], exec
	s_andn2_b64 s[38:39], s[38:39], exec
	s_and_b64 s[54:55], s[46:47], exec
	s_andn2_b64 s[34:35], s[34:35], exec
	s_or_b64 s[50:51], s[50:51], s[14:15]
	s_or_b64 s[38:39], s[38:39], s[54:55]
	;; [unrolled: 1-line block ×3, first 2 shown]
	s_andn2_b64 exec, exec, s[36:37]
	s_cbranch_execz .LBB749_800
.LBB749_798:                            ; =>This Inner Loop Header: Depth=1
	global_load_dwordx2 v[32:33], v[0:1], off
	global_load_dwordx2 v[34:35], v[22:23], off
	s_or_b64 s[46:47], s[46:47], exec
	s_or_b64 s[48:49], s[48:49], exec
	s_waitcnt vmcnt(0)
	v_cmp_lt_f64_e32 vcc, v[32:33], v[34:35]
	v_cmp_ngt_f64_e64 s[14:15], v[32:33], v[34:35]
	s_xor_b64 s[56:57], vcc, s[14:15]
	s_and_saveexec_b64 s[54:55], s[56:57]
	s_cbranch_execz .LBB749_797
; %bb.799:                              ;   in Loop: Header=BB749_798 Depth=1
	s_add_u32 s52, s52, -1
	s_addc_u32 s53, s53, -1
	s_cmp_eq_u64 s[52:53], 0
	s_cselect_b64 s[56:57], -1, 0
	s_andn2_b64 s[48:49], s[48:49], exec
	s_and_b64 s[56:57], s[56:57], exec
	v_lshl_add_u64 v[0:1], v[0:1], 0, 8
	v_lshl_add_u64 v[22:23], v[22:23], 0, 8
	s_andn2_b64 s[46:47], s[46:47], exec
	s_or_b64 s[48:49], s[48:49], s[56:57]
	s_branch .LBB749_797
.LBB749_800:
	s_or_b64 exec, exec, s[36:37]
	s_and_saveexec_b64 s[14:15], s[38:39]
	s_xor_b64 s[14:15], exec, s[14:15]
; %bb.801:
	v_cndmask_b32_e64 v1, v3, v5, s[34:35]
	v_cndmask_b32_e64 v0, v2, v4, s[34:35]
	;; [unrolled: 1-line block ×4, first 2 shown]
	v_mov_b64_e32 v[2:3], v[0:1]
; %bb.802:
	s_or_b64 exec, exec, s[14:15]
	s_or_b64 exec, exec, s[16:17]
	s_and_saveexec_b64 s[16:17], s[40:41]
	s_cbranch_execz .LBB749_668
.LBB749_803:
	v_mul_lo_u32 v22, v11, s20
	v_mul_lo_u32 v23, v10, s21
	v_mad_u64_u32 v[0:1], s[14:15], v10, s20, 0
	v_add3_u32 v1, v1, v23, v22
	v_mul_lo_u32 v32, v17, s20
	v_mul_lo_u32 v33, v16, s21
	v_mad_u64_u32 v[22:23], s[14:15], v16, s20, 0
	v_add3_u32 v23, v23, v33, v32
	v_lshl_add_u64 v[0:1], v[0:1], 3, s[22:23]
	v_lshl_add_u64 v[22:23], v[22:23], 3, s[22:23]
	s_mov_b64 s[36:37], 0
	s_mov_b64 s[50:51], s[20:21]
                                        ; implicit-def: $sgpr34_sgpr35
                                        ; implicit-def: $sgpr38_sgpr39
                                        ; implicit-def: $sgpr46_sgpr47
                                        ; implicit-def: $sgpr40_sgpr41
                                        ; implicit-def: $sgpr48_sgpr49
	s_branch .LBB749_805
.LBB749_804:                            ;   in Loop: Header=BB749_805 Depth=1
	s_or_b64 exec, exec, s[52:53]
	s_and_b64 s[14:15], s[14:15], s[48:49]
	s_or_b64 s[14:15], vcc, s[14:15]
	s_and_b64 s[52:53], exec, s[46:47]
	s_or_b64 s[36:37], s[52:53], s[36:37]
	s_andn2_b64 s[48:49], s[48:49], exec
	s_and_b64 s[14:15], s[14:15], exec
	s_andn2_b64 s[38:39], s[38:39], exec
	s_and_b64 s[52:53], s[40:41], exec
	s_andn2_b64 s[34:35], s[34:35], exec
	s_or_b64 s[48:49], s[48:49], s[14:15]
	s_or_b64 s[38:39], s[38:39], s[52:53]
	;; [unrolled: 1-line block ×3, first 2 shown]
	s_andn2_b64 exec, exec, s[36:37]
	s_cbranch_execz .LBB749_807
.LBB749_805:                            ; =>This Inner Loop Header: Depth=1
	global_load_dwordx2 v[32:33], v[0:1], off
	global_load_dwordx2 v[34:35], v[22:23], off
	s_or_b64 s[40:41], s[40:41], exec
	s_or_b64 s[46:47], s[46:47], exec
	s_waitcnt vmcnt(0)
	v_cmp_lt_f64_e32 vcc, v[32:33], v[34:35]
	v_cmp_ngt_f64_e64 s[14:15], v[32:33], v[34:35]
	s_xor_b64 s[54:55], vcc, s[14:15]
	s_and_saveexec_b64 s[52:53], s[54:55]
	s_cbranch_execz .LBB749_804
; %bb.806:                              ;   in Loop: Header=BB749_805 Depth=1
	s_add_u32 s50, s50, -1
	s_addc_u32 s51, s51, -1
	s_cmp_eq_u64 s[50:51], 0
	s_cselect_b64 s[54:55], -1, 0
	s_andn2_b64 s[46:47], s[46:47], exec
	s_and_b64 s[54:55], s[54:55], exec
	v_lshl_add_u64 v[0:1], v[0:1], 0, 8
	v_lshl_add_u64 v[22:23], v[22:23], 0, 8
	s_andn2_b64 s[40:41], s[40:41], exec
	s_or_b64 s[46:47], s[46:47], s[54:55]
	s_branch .LBB749_804
.LBB749_807:
	s_or_b64 exec, exec, s[36:37]
	s_and_saveexec_b64 s[14:15], s[38:39]
	s_xor_b64 s[14:15], exec, s[14:15]
; %bb.808:
	v_cndmask_b32_e64 v1, v17, v11, s[34:35]
	v_cndmask_b32_e64 v0, v16, v10, s[34:35]
	;; [unrolled: 1-line block ×4, first 2 shown]
	v_mov_b64_e32 v[16:17], v[0:1]
; %bb.809:
	s_or_b64 exec, exec, s[14:15]
	s_or_b64 exec, exec, s[16:17]
	s_and_saveexec_b64 s[16:17], s[42:43]
	s_cbranch_execz .LBB749_669
.LBB749_810:
	v_mul_lo_u32 v22, v7, s20
	v_mul_lo_u32 v23, v6, s21
	v_mad_u64_u32 v[0:1], s[14:15], v6, s20, 0
	v_add3_u32 v1, v1, v23, v22
	v_mul_lo_u32 v32, v13, s20
	v_mul_lo_u32 v33, v12, s21
	v_mad_u64_u32 v[22:23], s[14:15], v12, s20, 0
	v_add3_u32 v23, v23, v33, v32
	v_lshl_add_u64 v[0:1], v[0:1], 3, s[22:23]
	v_lshl_add_u64 v[22:23], v[22:23], 3, s[22:23]
	s_mov_b64 s[36:37], 0
	s_mov_b64 s[48:49], s[20:21]
                                        ; implicit-def: $sgpr34_sgpr35
                                        ; implicit-def: $sgpr38_sgpr39
                                        ; implicit-def: $sgpr42_sgpr43
                                        ; implicit-def: $sgpr40_sgpr41
                                        ; implicit-def: $sgpr46_sgpr47
	s_branch .LBB749_812
.LBB749_811:                            ;   in Loop: Header=BB749_812 Depth=1
	s_or_b64 exec, exec, s[50:51]
	s_and_b64 s[14:15], s[14:15], s[46:47]
	s_or_b64 s[14:15], vcc, s[14:15]
	s_and_b64 s[50:51], exec, s[42:43]
	s_or_b64 s[36:37], s[50:51], s[36:37]
	s_andn2_b64 s[46:47], s[46:47], exec
	s_and_b64 s[14:15], s[14:15], exec
	s_andn2_b64 s[38:39], s[38:39], exec
	s_and_b64 s[50:51], s[40:41], exec
	s_andn2_b64 s[34:35], s[34:35], exec
	s_or_b64 s[46:47], s[46:47], s[14:15]
	s_or_b64 s[38:39], s[38:39], s[50:51]
	;; [unrolled: 1-line block ×3, first 2 shown]
	s_andn2_b64 exec, exec, s[36:37]
	s_cbranch_execz .LBB749_814
.LBB749_812:                            ; =>This Inner Loop Header: Depth=1
	global_load_dwordx2 v[32:33], v[0:1], off
	global_load_dwordx2 v[34:35], v[22:23], off
	s_or_b64 s[40:41], s[40:41], exec
	s_or_b64 s[42:43], s[42:43], exec
	s_waitcnt vmcnt(0)
	v_cmp_lt_f64_e32 vcc, v[32:33], v[34:35]
	v_cmp_ngt_f64_e64 s[14:15], v[32:33], v[34:35]
	s_xor_b64 s[52:53], vcc, s[14:15]
	s_and_saveexec_b64 s[50:51], s[52:53]
	s_cbranch_execz .LBB749_811
; %bb.813:                              ;   in Loop: Header=BB749_812 Depth=1
	s_add_u32 s48, s48, -1
	s_addc_u32 s49, s49, -1
	s_cmp_eq_u64 s[48:49], 0
	s_cselect_b64 s[52:53], -1, 0
	s_andn2_b64 s[42:43], s[42:43], exec
	s_and_b64 s[52:53], s[52:53], exec
	v_lshl_add_u64 v[0:1], v[0:1], 0, 8
	v_lshl_add_u64 v[22:23], v[22:23], 0, 8
	s_andn2_b64 s[40:41], s[40:41], exec
	s_or_b64 s[42:43], s[42:43], s[52:53]
	s_branch .LBB749_811
.LBB749_814:
	s_or_b64 exec, exec, s[36:37]
	s_and_saveexec_b64 s[14:15], s[38:39]
	s_xor_b64 s[14:15], exec, s[14:15]
; %bb.815:
	v_cndmask_b32_e64 v1, v13, v7, s[34:35]
	v_cndmask_b32_e64 v0, v12, v6, s[34:35]
	;; [unrolled: 1-line block ×4, first 2 shown]
	v_mov_b64_e32 v[12:13], v[0:1]
; %bb.816:
	s_or_b64 exec, exec, s[14:15]
	s_or_b64 exec, exec, s[16:17]
	s_and_saveexec_b64 s[16:17], s[44:45]
	s_cbranch_execz .LBB749_824
.LBB749_817:
	v_mul_lo_u32 v22, v3, s20
	v_mul_lo_u32 v23, v2, s21
	v_mad_u64_u32 v[0:1], s[14:15], v2, s20, 0
	v_add3_u32 v1, v1, v23, v22
	v_mul_lo_u32 v32, v9, s20
	v_mul_lo_u32 v33, v8, s21
	v_mad_u64_u32 v[22:23], s[14:15], v8, s20, 0
	v_add3_u32 v23, v23, v33, v32
	v_lshl_add_u64 v[0:1], v[0:1], 3, s[22:23]
	v_lshl_add_u64 v[22:23], v[22:23], 3, s[22:23]
	s_mov_b64 s[36:37], 0
	s_mov_b64 s[46:47], s[20:21]
                                        ; implicit-def: $sgpr34_sgpr35
                                        ; implicit-def: $sgpr38_sgpr39
                                        ; implicit-def: $sgpr42_sgpr43
                                        ; implicit-def: $sgpr40_sgpr41
                                        ; implicit-def: $sgpr44_sgpr45
	s_branch .LBB749_819
.LBB749_818:                            ;   in Loop: Header=BB749_819 Depth=1
	s_or_b64 exec, exec, s[48:49]
	s_and_b64 s[14:15], s[14:15], s[44:45]
	s_or_b64 s[14:15], vcc, s[14:15]
	s_and_b64 s[48:49], exec, s[42:43]
	s_or_b64 s[36:37], s[48:49], s[36:37]
	s_andn2_b64 s[44:45], s[44:45], exec
	s_and_b64 s[14:15], s[14:15], exec
	s_andn2_b64 s[38:39], s[38:39], exec
	s_and_b64 s[48:49], s[40:41], exec
	s_andn2_b64 s[34:35], s[34:35], exec
	s_or_b64 s[44:45], s[44:45], s[14:15]
	s_or_b64 s[38:39], s[38:39], s[48:49]
	;; [unrolled: 1-line block ×3, first 2 shown]
	s_andn2_b64 exec, exec, s[36:37]
	s_cbranch_execz .LBB749_821
.LBB749_819:                            ; =>This Inner Loop Header: Depth=1
	global_load_dwordx2 v[32:33], v[0:1], off
	global_load_dwordx2 v[34:35], v[22:23], off
	s_or_b64 s[40:41], s[40:41], exec
	s_or_b64 s[42:43], s[42:43], exec
	s_waitcnt vmcnt(0)
	v_cmp_lt_f64_e32 vcc, v[32:33], v[34:35]
	v_cmp_ngt_f64_e64 s[14:15], v[32:33], v[34:35]
	s_xor_b64 s[50:51], vcc, s[14:15]
	s_and_saveexec_b64 s[48:49], s[50:51]
	s_cbranch_execz .LBB749_818
; %bb.820:                              ;   in Loop: Header=BB749_819 Depth=1
	s_add_u32 s46, s46, -1
	s_addc_u32 s47, s47, -1
	s_cmp_eq_u64 s[46:47], 0
	s_cselect_b64 s[50:51], -1, 0
	s_andn2_b64 s[42:43], s[42:43], exec
	s_and_b64 s[50:51], s[50:51], exec
	v_lshl_add_u64 v[0:1], v[0:1], 0, 8
	v_lshl_add_u64 v[22:23], v[22:23], 0, 8
	s_andn2_b64 s[40:41], s[40:41], exec
	s_or_b64 s[42:43], s[42:43], s[50:51]
	s_branch .LBB749_818
.LBB749_821:
	s_or_b64 exec, exec, s[36:37]
	s_and_saveexec_b64 s[14:15], s[38:39]
	s_xor_b64 s[14:15], exec, s[14:15]
; %bb.822:
	v_cndmask_b32_e64 v1, v9, v3, s[34:35]
	v_cndmask_b32_e64 v0, v8, v2, s[34:35]
	;; [unrolled: 1-line block ×4, first 2 shown]
	v_mov_b64_e32 v[8:9], v[0:1]
; %bb.823:
	s_or_b64 exec, exec, s[14:15]
.LBB749_824:
	s_or_b64 exec, exec, s[16:17]
	v_mbcnt_lo_u32_b32 v0, -1, 0
	v_mbcnt_hi_u32_b32 v0, -1, v0
	v_and_b32_e32 v1, 0xfffffe00, v31
	v_lshlrev_b32_e32 v31, 3, v1
	v_lshlrev_b32_e32 v33, 3, v0
	v_sub_u32_e64 v32, s33, v1 clamp
	v_lshl_add_u32 v34, v0, 6, v31
	v_or_b32_e32 v0, 8, v33
	v_min_u32_e32 v35, v32, v0
	v_add_u32_e32 v0, 8, v35
	v_and_b32_e32 v39, 0x3f0, v33
	v_min_u32_e32 v36, v32, v0
	v_and_b32_e32 v0, 8, v33
	v_min_u32_e32 v40, v32, v0
	v_sub_u32_e32 v0, v35, v39
	v_sub_u32_e32 v1, v36, v35
	v_sub_u32_e64 v38, v40, v1 clamp
	v_min_u32_e32 v41, v40, v0
	v_lshl_add_u32 v37, v39, 3, v31
	v_cmp_lt_u32_e32 vcc, v38, v41
	ds_write_b128 v34, v[14:17]
	ds_write_b128 v34, v[10:13] offset:16
	ds_write_b128 v34, v[6:9] offset:32
	;; [unrolled: 1-line block ×3, first 2 shown]
	; wave barrier
	s_and_saveexec_b64 s[34:35], vcc
	s_cbranch_execz .LBB749_834
; %bb.825:
	v_lshlrev_b32_e32 v0, 3, v35
	v_lshlrev_b32_e32 v1, 3, v40
	v_add3_u32 v42, v31, v0, v1
	v_cndmask_b32_e64 v0, 0, 1, s[18:19]
	s_lshl_b64 s[38:39], s[20:21], 3
	s_mov_b64 s[36:37], 0
	v_cmp_ne_u32_e64 s[14:15], 1, v0
	s_branch .LBB749_828
.LBB749_826:                            ;   in Loop: Header=BB749_828 Depth=1
	s_or_b64 exec, exec, s[42:43]
.LBB749_827:                            ;   in Loop: Header=BB749_828 Depth=1
	v_add_u32_e32 v0, 1, v43
	v_cndmask_b32_e64 v41, v41, v43, s[40:41]
	v_cndmask_b32_e64 v38, v0, v38, s[40:41]
	v_cmp_ge_u32_e32 vcc, v38, v41
	s_or_b64 s[36:37], vcc, s[36:37]
	s_andn2_b64 exec, exec, s[36:37]
	s_cbranch_execz .LBB749_833
.LBB749_828:                            ; =>This Loop Header: Depth=1
                                        ;     Child Loop BB749_831 Depth 2
	v_add_u32_e32 v0, v41, v38
	v_lshrrev_b32_e32 v43, 1, v0
	s_and_b64 vcc, exec, s[14:15]
	s_mov_b64 s[40:41], 0
	s_cbranch_vccnz .LBB749_827
; %bb.829:                              ;   in Loop: Header=BB749_828 Depth=1
	v_not_b32_e32 v0, v43
	v_lshl_add_u32 v0, v0, 3, v42
	ds_read_b64 v[0:1], v0
	v_lshl_add_u32 v44, v43, 3, v37
	ds_read_b64 v[44:45], v44
	v_mov_b64_e32 v[22:23], s[22:23]
	s_mov_b64 s[42:43], 0
	s_waitcnt lgkmcnt(1)
	v_mul_lo_u32 v46, s38, v1
	v_mul_lo_u32 v47, s39, v0
	v_mad_u64_u32 v[0:1], s[16:17], s38, v0, v[22:23]
	v_add3_u32 v1, v47, v1, v46
	s_waitcnt lgkmcnt(0)
	v_mul_lo_u32 v45, s38, v45
	v_mul_lo_u32 v46, s39, v44
	v_mad_u64_u32 v[22:23], s[16:17], s38, v44, v[22:23]
	v_add3_u32 v23, v46, v23, v45
	s_mov_b64 s[46:47], s[20:21]
                                        ; implicit-def: $sgpr40_sgpr41
                                        ; implicit-def: $sgpr44_sgpr45
                                        ; implicit-def: $sgpr16_sgpr17
                                        ; implicit-def: $sgpr48_sgpr49
	s_branch .LBB749_831
.LBB749_830:                            ;   in Loop: Header=BB749_831 Depth=2
	s_or_b64 exec, exec, s[52:53]
	s_and_b64 s[52:53], exec, s[44:45]
	s_or_b64 s[42:43], s[52:53], s[42:43]
	s_andn2_b64 s[48:49], s[48:49], exec
	s_and_b64 s[50:51], s[50:51], exec
	s_or_b64 s[48:49], s[48:49], s[50:51]
	s_andn2_b64 s[40:41], s[40:41], exec
	s_and_b64 s[50:51], s[16:17], exec
	s_or_b64 s[40:41], s[40:41], s[50:51]
	s_andn2_b64 exec, exec, s[42:43]
	s_cbranch_execz .LBB749_826
.LBB749_831:                            ;   Parent Loop BB749_828 Depth=1
                                        ; =>  This Inner Loop Header: Depth=2
	global_load_dwordx2 v[44:45], v[0:1], off
	global_load_dwordx2 v[46:47], v[22:23], off
	s_andn2_b64 s[52:53], s[16:17], exec
	s_or_b64 s[44:45], s[44:45], exec
	s_waitcnt vmcnt(0)
	v_cmp_ngt_f64_e64 s[16:17], v[44:45], v[46:47]
	v_cmp_lt_f64_e32 vcc, v[44:45], v[46:47]
	s_and_b64 s[50:51], s[16:17], s[48:49]
	s_or_b64 s[50:51], vcc, s[50:51]
	s_xor_b64 s[54:55], vcc, s[16:17]
	s_and_b64 s[16:17], s[50:51], exec
	s_or_b64 s[16:17], s[52:53], s[16:17]
	s_and_saveexec_b64 s[52:53], s[54:55]
	s_cbranch_execz .LBB749_830
; %bb.832:                              ;   in Loop: Header=BB749_831 Depth=2
	s_add_u32 s46, s46, -1
	s_addc_u32 s47, s47, -1
	s_cmp_eq_u64 s[46:47], 0
	s_cselect_b64 s[48:49], -1, 0
	s_andn2_b64 s[44:45], s[44:45], exec
	s_and_b64 s[48:49], s[48:49], exec
	v_lshl_add_u64 v[0:1], v[0:1], 0, 8
	v_lshl_add_u64 v[22:23], v[22:23], 0, 8
	s_andn2_b64 s[16:17], s[16:17], exec
	s_or_b64 s[44:45], s[44:45], s[48:49]
                                        ; implicit-def: $sgpr48_sgpr49
	s_branch .LBB749_830
.LBB749_833:
	s_or_b64 exec, exec, s[36:37]
.LBB749_834:
	s_or_b64 exec, exec, s[34:35]
	v_add_u32_e32 v0, v35, v40
	v_add_u32_e32 v23, v38, v39
	v_sub_u32_e32 v39, v0, v38
	v_cmp_le_u32_e32 vcc, v23, v35
	v_cmp_le_u32_e64 s[14:15], v39, v36
	s_or_b64 s[14:15], vcc, s[14:15]
	s_and_saveexec_b64 s[34:35], s[14:15]
	s_cbranch_execz .LBB749_902
; %bb.835:
	v_cmp_ge_u32_e32 vcc, v23, v35
	v_cmp_lt_u32_e64 s[14:15], v23, v35
                                        ; implicit-def: $vgpr0_vgpr1
	s_and_saveexec_b64 s[16:17], s[14:15]
; %bb.836:
	v_lshl_add_u32 v0, v38, 3, v37
	ds_read_b64 v[0:1], v0
; %bb.837:
	s_or_b64 exec, exec, s[16:17]
	v_cmp_ge_u32_e64 s[14:15], v39, v36
	v_cmp_lt_u32_e64 s[16:17], v39, v36
                                        ; implicit-def: $vgpr2_vgpr3
	s_and_saveexec_b64 s[36:37], s[16:17]
; %bb.838:
	v_lshl_add_u32 v2, v39, 3, v31
	ds_read_b64 v[2:3], v2
; %bb.839:
	s_or_b64 exec, exec, s[36:37]
	s_or_b64 s[16:17], vcc, s[14:15]
	s_nor_b64 s[38:39], s[16:17], s[28:29]
	s_xor_b64 s[16:17], vcc, -1
	s_or_b64 s[16:17], s[14:15], s[16:17]
	s_and_saveexec_b64 s[36:37], s[38:39]
	s_cbranch_execz .LBB749_845
; %bb.840:
	s_waitcnt lgkmcnt(0)
	v_mul_lo_u32 v6, v3, s20
	v_mul_lo_u32 v7, v2, s21
	v_mad_u64_u32 v[4:5], s[14:15], v2, s20, 0
	v_add3_u32 v5, v5, v7, v6
	v_mul_lo_u32 v8, v1, s20
	v_mul_lo_u32 v9, v0, s21
	v_mad_u64_u32 v[6:7], s[14:15], v0, s20, 0
	v_add3_u32 v7, v7, v9, v8
	v_lshl_add_u64 v[4:5], v[4:5], 3, s[22:23]
	v_lshl_add_u64 v[6:7], v[6:7], 3, s[22:23]
	s_mov_b64 s[38:39], 0
	s_mov_b64 s[44:45], s[20:21]
                                        ; implicit-def: $sgpr40_sgpr41
                                        ; implicit-def: $sgpr42_sgpr43
                                        ; implicit-def: $sgpr14_sgpr15
                                        ; implicit-def: $sgpr46_sgpr47
	s_branch .LBB749_842
.LBB749_841:                            ;   in Loop: Header=BB749_842 Depth=1
	s_or_b64 exec, exec, s[50:51]
	s_and_b64 s[50:51], exec, s[42:43]
	s_or_b64 s[38:39], s[50:51], s[38:39]
	s_andn2_b64 s[46:47], s[46:47], exec
	s_and_b64 s[48:49], s[48:49], exec
	s_or_b64 s[46:47], s[46:47], s[48:49]
	s_andn2_b64 s[40:41], s[40:41], exec
	s_and_b64 s[48:49], s[14:15], exec
	s_or_b64 s[40:41], s[40:41], s[48:49]
	s_andn2_b64 exec, exec, s[38:39]
	s_cbranch_execz .LBB749_844
.LBB749_842:                            ; =>This Inner Loop Header: Depth=1
	global_load_dwordx2 v[8:9], v[4:5], off
	global_load_dwordx2 v[10:11], v[6:7], off
	s_andn2_b64 s[50:51], s[14:15], exec
	s_or_b64 s[42:43], s[42:43], exec
	s_waitcnt vmcnt(0)
	v_cmp_ngt_f64_e64 s[14:15], v[8:9], v[10:11]
	v_cmp_lt_f64_e32 vcc, v[8:9], v[10:11]
	s_and_b64 s[48:49], s[14:15], s[46:47]
	s_or_b64 s[48:49], vcc, s[48:49]
	s_xor_b64 s[52:53], vcc, s[14:15]
	s_and_b64 s[14:15], s[48:49], exec
	s_or_b64 s[14:15], s[50:51], s[14:15]
	s_and_saveexec_b64 s[50:51], s[52:53]
	s_cbranch_execz .LBB749_841
; %bb.843:                              ;   in Loop: Header=BB749_842 Depth=1
	s_add_u32 s44, s44, -1
	s_addc_u32 s45, s45, -1
	s_cmp_eq_u64 s[44:45], 0
	s_cselect_b64 s[46:47], -1, 0
	s_andn2_b64 s[42:43], s[42:43], exec
	s_and_b64 s[46:47], s[46:47], exec
	v_lshl_add_u64 v[4:5], v[4:5], 0, 8
	v_lshl_add_u64 v[6:7], v[6:7], 0, 8
	s_andn2_b64 s[14:15], s[14:15], exec
	s_or_b64 s[42:43], s[42:43], s[46:47]
                                        ; implicit-def: $sgpr46_sgpr47
	s_branch .LBB749_841
.LBB749_844:
	s_or_b64 exec, exec, s[38:39]
	s_xor_b64 s[14:15], s[40:41], -1
	s_andn2_b64 s[16:17], s[16:17], exec
	s_and_b64 s[14:15], s[14:15], exec
	s_or_b64 s[16:17], s[16:17], s[14:15]
.LBB749_845:
	s_or_b64 exec, exec, s[36:37]
	v_cndmask_b32_e64 v4, v39, v23, s[16:17]
	v_cndmask_b32_e64 v5, v36, v35, s[16:17]
	v_add_u32_e32 v6, 1, v4
	v_add_u32_e32 v4, -1, v5
	v_min_u32_e32 v4, v6, v4
	v_lshl_add_u32 v4, v4, 3, v31
	ds_read_b64 v[4:5], v4
	v_cndmask_b32_e64 v8, v6, v39, s[16:17]
	v_cndmask_b32_e64 v9, v23, v6, s[16:17]
	v_cmp_lt_u32_e32 vcc, v8, v36
	s_mov_b64 s[38:39], -1
	s_waitcnt lgkmcnt(0)
	v_cndmask_b32_e64 v14, v5, v3, s[16:17]
	v_cndmask_b32_e64 v15, v4, v2, s[16:17]
	;; [unrolled: 1-line block ×4, first 2 shown]
	s_mov_b64 s[36:37], -1
	s_and_saveexec_b64 s[40:41], vcc
	s_cbranch_execz .LBB749_853
; %bb.846:
	v_cmp_lt_u32_e64 s[36:37], v9, v35
	s_and_b64 s[14:15], s[36:37], s[30:31]
	s_and_saveexec_b64 s[42:43], s[14:15]
	s_cbranch_execz .LBB749_852
; %bb.847:
	v_mul_lo_u32 v6, v14, s20
	v_mul_lo_u32 v7, v15, s21
	v_mad_u64_u32 v[4:5], s[14:15], v15, s20, 0
	v_add3_u32 v5, v5, v7, v6
	v_mul_lo_u32 v10, v16, s20
	v_mul_lo_u32 v11, v22, s21
	v_mad_u64_u32 v[6:7], s[14:15], v22, s20, 0
	v_add3_u32 v7, v7, v11, v10
	v_lshl_add_u64 v[4:5], v[4:5], 3, s[22:23]
	v_lshl_add_u64 v[6:7], v[6:7], 3, s[22:23]
	s_mov_b64 s[44:45], 0
	s_mov_b64 s[50:51], s[20:21]
                                        ; implicit-def: $sgpr46_sgpr47
                                        ; implicit-def: $sgpr48_sgpr49
                                        ; implicit-def: $sgpr14_sgpr15
                                        ; implicit-def: $sgpr52_sgpr53
	s_branch .LBB749_849
.LBB749_848:                            ;   in Loop: Header=BB749_849 Depth=1
	s_or_b64 exec, exec, s[56:57]
	s_and_b64 s[56:57], exec, s[48:49]
	s_or_b64 s[44:45], s[56:57], s[44:45]
	s_andn2_b64 s[52:53], s[52:53], exec
	s_and_b64 s[54:55], s[54:55], exec
	s_or_b64 s[52:53], s[52:53], s[54:55]
	s_andn2_b64 s[46:47], s[46:47], exec
	s_and_b64 s[54:55], s[14:15], exec
	s_or_b64 s[46:47], s[46:47], s[54:55]
	s_andn2_b64 exec, exec, s[44:45]
	s_cbranch_execz .LBB749_851
.LBB749_849:                            ; =>This Inner Loop Header: Depth=1
	global_load_dwordx2 v[10:11], v[4:5], off
	global_load_dwordx2 v[12:13], v[6:7], off
	s_andn2_b64 s[56:57], s[14:15], exec
	s_or_b64 s[48:49], s[48:49], exec
	s_waitcnt vmcnt(0)
	v_cmp_ngt_f64_e64 s[14:15], v[10:11], v[12:13]
	v_cmp_lt_f64_e32 vcc, v[10:11], v[12:13]
	s_and_b64 s[54:55], s[14:15], s[52:53]
	s_or_b64 s[54:55], vcc, s[54:55]
	s_xor_b64 s[58:59], vcc, s[14:15]
	s_and_b64 s[14:15], s[54:55], exec
	s_or_b64 s[14:15], s[56:57], s[14:15]
	s_and_saveexec_b64 s[56:57], s[58:59]
	s_cbranch_execz .LBB749_848
; %bb.850:                              ;   in Loop: Header=BB749_849 Depth=1
	s_add_u32 s50, s50, -1
	s_addc_u32 s51, s51, -1
	s_cmp_eq_u64 s[50:51], 0
	s_cselect_b64 s[52:53], -1, 0
	s_andn2_b64 s[48:49], s[48:49], exec
	s_and_b64 s[52:53], s[52:53], exec
	v_lshl_add_u64 v[4:5], v[4:5], 0, 8
	v_lshl_add_u64 v[6:7], v[6:7], 0, 8
	s_andn2_b64 s[14:15], s[14:15], exec
	s_or_b64 s[48:49], s[48:49], s[52:53]
                                        ; implicit-def: $sgpr52_sgpr53
	s_branch .LBB749_848
.LBB749_851:
	s_or_b64 exec, exec, s[44:45]
	s_xor_b64 s[14:15], s[46:47], -1
	s_andn2_b64 s[36:37], s[36:37], exec
	s_and_b64 s[14:15], s[14:15], exec
	s_or_b64 s[36:37], s[36:37], s[14:15]
.LBB749_852:
	s_or_b64 exec, exec, s[42:43]
	s_orn2_b64 s[36:37], s[36:37], exec
.LBB749_853:
	s_or_b64 exec, exec, s[40:41]
	v_cndmask_b32_e64 v4, v8, v9, s[36:37]
	v_cndmask_b32_e64 v5, v36, v35, s[36:37]
	v_add_u32_e32 v6, 1, v4
	v_add_u32_e32 v4, -1, v5
	v_min_u32_e32 v4, v6, v4
	v_lshl_add_u32 v4, v4, 3, v31
	ds_read_b64 v[4:5], v4
	v_cndmask_b32_e64 v8, v6, v8, s[36:37]
	v_cndmask_b32_e64 v9, v9, v6, s[36:37]
	v_cmp_lt_u32_e32 vcc, v8, v36
	s_waitcnt lgkmcnt(0)
	v_cndmask_b32_e64 v10, v5, v14, s[36:37]
	v_cndmask_b32_e64 v17, v4, v15, s[36:37]
	;; [unrolled: 1-line block ×4, first 2 shown]
	s_and_saveexec_b64 s[40:41], vcc
	s_cbranch_execz .LBB749_861
; %bb.854:
	v_cmp_lt_u32_e64 s[38:39], v9, v35
	s_and_b64 s[14:15], s[38:39], s[30:31]
	s_and_saveexec_b64 s[42:43], s[14:15]
	s_cbranch_execz .LBB749_860
; %bb.855:
	v_mul_lo_u32 v6, v10, s20
	v_mul_lo_u32 v7, v17, s21
	v_mad_u64_u32 v[4:5], s[14:15], v17, s20, 0
	v_add3_u32 v5, v5, v7, v6
	v_mul_lo_u32 v12, v11, s20
	v_mul_lo_u32 v13, v23, s21
	v_mad_u64_u32 v[6:7], s[14:15], v23, s20, 0
	v_add3_u32 v7, v7, v13, v12
	v_lshl_add_u64 v[4:5], v[4:5], 3, s[22:23]
	v_lshl_add_u64 v[6:7], v[6:7], 3, s[22:23]
	s_mov_b64 s[44:45], 0
	s_mov_b64 s[50:51], s[20:21]
                                        ; implicit-def: $sgpr46_sgpr47
                                        ; implicit-def: $sgpr48_sgpr49
                                        ; implicit-def: $sgpr14_sgpr15
                                        ; implicit-def: $sgpr52_sgpr53
	s_branch .LBB749_857
.LBB749_856:                            ;   in Loop: Header=BB749_857 Depth=1
	s_or_b64 exec, exec, s[56:57]
	s_and_b64 s[56:57], exec, s[48:49]
	s_or_b64 s[44:45], s[56:57], s[44:45]
	s_andn2_b64 s[52:53], s[52:53], exec
	s_and_b64 s[54:55], s[54:55], exec
	s_or_b64 s[52:53], s[52:53], s[54:55]
	s_andn2_b64 s[46:47], s[46:47], exec
	s_and_b64 s[54:55], s[14:15], exec
	s_or_b64 s[46:47], s[46:47], s[54:55]
	s_andn2_b64 exec, exec, s[44:45]
	s_cbranch_execz .LBB749_859
.LBB749_857:                            ; =>This Inner Loop Header: Depth=1
	global_load_dwordx2 v[12:13], v[4:5], off
	global_load_dwordx2 v[38:39], v[6:7], off
	s_andn2_b64 s[56:57], s[14:15], exec
	s_or_b64 s[48:49], s[48:49], exec
	s_waitcnt vmcnt(0)
	v_cmp_ngt_f64_e64 s[14:15], v[12:13], v[38:39]
	v_cmp_lt_f64_e32 vcc, v[12:13], v[38:39]
	s_and_b64 s[54:55], s[14:15], s[52:53]
	s_or_b64 s[54:55], vcc, s[54:55]
	s_xor_b64 s[58:59], vcc, s[14:15]
	s_and_b64 s[14:15], s[54:55], exec
	s_or_b64 s[14:15], s[56:57], s[14:15]
	s_and_saveexec_b64 s[56:57], s[58:59]
	s_cbranch_execz .LBB749_856
; %bb.858:                              ;   in Loop: Header=BB749_857 Depth=1
	s_add_u32 s50, s50, -1
	s_addc_u32 s51, s51, -1
	s_cmp_eq_u64 s[50:51], 0
	s_cselect_b64 s[52:53], -1, 0
	s_andn2_b64 s[48:49], s[48:49], exec
	s_and_b64 s[52:53], s[52:53], exec
	v_lshl_add_u64 v[4:5], v[4:5], 0, 8
	v_lshl_add_u64 v[6:7], v[6:7], 0, 8
	s_andn2_b64 s[14:15], s[14:15], exec
	s_or_b64 s[48:49], s[48:49], s[52:53]
                                        ; implicit-def: $sgpr52_sgpr53
	s_branch .LBB749_856
.LBB749_859:
	s_or_b64 exec, exec, s[44:45]
	s_xor_b64 s[14:15], s[46:47], -1
	s_andn2_b64 s[38:39], s[38:39], exec
	s_and_b64 s[14:15], s[14:15], exec
	s_or_b64 s[38:39], s[38:39], s[14:15]
.LBB749_860:
	s_or_b64 exec, exec, s[42:43]
	s_orn2_b64 s[38:39], s[38:39], exec
.LBB749_861:
	s_or_b64 exec, exec, s[40:41]
	v_cndmask_b32_e64 v4, v8, v9, s[38:39]
	v_cndmask_b32_e64 v5, v36, v35, s[38:39]
	v_add_u32_e32 v6, 1, v4
	v_add_u32_e32 v4, -1, v5
	v_min_u32_e32 v4, v6, v4
	v_lshl_add_u32 v4, v4, 3, v31
	ds_read_b64 v[4:5], v4
	v_cndmask_b32_e64 v8, v6, v8, s[38:39]
	v_cndmask_b32_e64 v9, v9, v6, s[38:39]
	v_cmp_lt_u32_e32 vcc, v8, v36
	s_mov_b64 s[42:43], -1
	s_waitcnt lgkmcnt(0)
	v_cndmask_b32_e64 v12, v5, v10, s[38:39]
	v_cndmask_b32_e64 v37, v4, v17, s[38:39]
	;; [unrolled: 1-line block ×4, first 2 shown]
	s_mov_b64 s[40:41], -1
	s_and_saveexec_b64 s[44:45], vcc
	s_cbranch_execz .LBB749_869
; %bb.862:
	v_cmp_lt_u32_e64 s[40:41], v9, v35
	s_and_b64 s[14:15], s[40:41], s[30:31]
	s_and_saveexec_b64 s[46:47], s[14:15]
	s_cbranch_execz .LBB749_868
; %bb.863:
	v_mul_lo_u32 v6, v12, s20
	v_mul_lo_u32 v7, v37, s21
	v_mad_u64_u32 v[4:5], s[14:15], v37, s20, 0
	v_add3_u32 v5, v5, v7, v6
	v_mul_lo_u32 v39, v13, s20
	v_mul_lo_u32 v40, v38, s21
	v_mad_u64_u32 v[6:7], s[14:15], v38, s20, 0
	v_add3_u32 v7, v7, v40, v39
	v_lshl_add_u64 v[4:5], v[4:5], 3, s[22:23]
	v_lshl_add_u64 v[6:7], v[6:7], 3, s[22:23]
	s_mov_b64 s[48:49], 0
	s_mov_b64 s[54:55], s[20:21]
                                        ; implicit-def: $sgpr50_sgpr51
                                        ; implicit-def: $sgpr52_sgpr53
                                        ; implicit-def: $sgpr14_sgpr15
                                        ; implicit-def: $sgpr56_sgpr57
	s_branch .LBB749_865
.LBB749_864:                            ;   in Loop: Header=BB749_865 Depth=1
	s_or_b64 exec, exec, s[60:61]
	s_and_b64 s[60:61], exec, s[52:53]
	s_or_b64 s[48:49], s[60:61], s[48:49]
	s_andn2_b64 s[56:57], s[56:57], exec
	s_and_b64 s[58:59], s[58:59], exec
	s_or_b64 s[56:57], s[56:57], s[58:59]
	s_andn2_b64 s[50:51], s[50:51], exec
	s_and_b64 s[58:59], s[14:15], exec
	s_or_b64 s[50:51], s[50:51], s[58:59]
	s_andn2_b64 exec, exec, s[48:49]
	s_cbranch_execz .LBB749_867
.LBB749_865:                            ; =>This Inner Loop Header: Depth=1
	global_load_dwordx2 v[40:41], v[4:5], off
	global_load_dwordx2 v[42:43], v[6:7], off
	s_andn2_b64 s[60:61], s[14:15], exec
	s_or_b64 s[52:53], s[52:53], exec
	s_waitcnt vmcnt(0)
	v_cmp_ngt_f64_e64 s[14:15], v[40:41], v[42:43]
	v_cmp_lt_f64_e32 vcc, v[40:41], v[42:43]
	s_and_b64 s[58:59], s[14:15], s[56:57]
	s_or_b64 s[58:59], vcc, s[58:59]
	s_xor_b64 s[62:63], vcc, s[14:15]
	s_and_b64 s[14:15], s[58:59], exec
	s_or_b64 s[14:15], s[60:61], s[14:15]
	s_and_saveexec_b64 s[60:61], s[62:63]
	s_cbranch_execz .LBB749_864
; %bb.866:                              ;   in Loop: Header=BB749_865 Depth=1
	s_add_u32 s54, s54, -1
	s_addc_u32 s55, s55, -1
	s_cmp_eq_u64 s[54:55], 0
	s_cselect_b64 s[56:57], -1, 0
	s_andn2_b64 s[52:53], s[52:53], exec
	s_and_b64 s[56:57], s[56:57], exec
	v_lshl_add_u64 v[4:5], v[4:5], 0, 8
	v_lshl_add_u64 v[6:7], v[6:7], 0, 8
	s_andn2_b64 s[14:15], s[14:15], exec
	s_or_b64 s[52:53], s[52:53], s[56:57]
                                        ; implicit-def: $sgpr56_sgpr57
	s_branch .LBB749_864
.LBB749_867:
	s_or_b64 exec, exec, s[48:49]
	s_xor_b64 s[14:15], s[50:51], -1
	s_andn2_b64 s[40:41], s[40:41], exec
	s_and_b64 s[14:15], s[14:15], exec
	s_or_b64 s[40:41], s[40:41], s[14:15]
.LBB749_868:
	s_or_b64 exec, exec, s[46:47]
	s_orn2_b64 s[40:41], s[40:41], exec
.LBB749_869:
	s_or_b64 exec, exec, s[44:45]
	v_cndmask_b32_e64 v4, v8, v9, s[40:41]
	v_cndmask_b32_e64 v5, v36, v35, s[40:41]
	v_add_u32_e32 v6, 1, v4
	v_add_u32_e32 v4, -1, v5
	v_min_u32_e32 v4, v6, v4
	v_lshl_add_u32 v4, v4, 3, v31
	ds_read_b64 v[4:5], v4
	v_cndmask_b32_e64 v45, v6, v8, s[40:41]
	v_cndmask_b32_e64 v46, v9, v6, s[40:41]
	v_cmp_lt_u32_e32 vcc, v45, v36
	s_waitcnt lgkmcnt(0)
	v_cndmask_b32_e64 v39, v5, v12, s[40:41]
	v_cndmask_b32_e64 v40, v4, v37, s[40:41]
	;; [unrolled: 1-line block ×4, first 2 shown]
	s_and_saveexec_b64 s[44:45], vcc
	s_cbranch_execz .LBB749_877
; %bb.870:
	v_cmp_lt_u32_e64 s[42:43], v46, v35
	s_and_b64 s[14:15], s[42:43], s[30:31]
	s_and_saveexec_b64 s[46:47], s[14:15]
	s_cbranch_execz .LBB749_876
; %bb.871:
	v_mul_lo_u32 v6, v39, s20
	v_mul_lo_u32 v7, v40, s21
	v_mad_u64_u32 v[4:5], s[14:15], v40, s20, 0
	v_add3_u32 v5, v5, v7, v6
	v_mul_lo_u32 v8, v41, s20
	v_mul_lo_u32 v9, v42, s21
	v_mad_u64_u32 v[6:7], s[14:15], v42, s20, 0
	v_add3_u32 v7, v7, v9, v8
	v_lshl_add_u64 v[4:5], v[4:5], 3, s[22:23]
	v_lshl_add_u64 v[6:7], v[6:7], 3, s[22:23]
	s_mov_b64 s[48:49], 0
	s_mov_b64 s[54:55], s[20:21]
                                        ; implicit-def: $sgpr50_sgpr51
                                        ; implicit-def: $sgpr52_sgpr53
                                        ; implicit-def: $sgpr14_sgpr15
                                        ; implicit-def: $sgpr56_sgpr57
	s_branch .LBB749_873
.LBB749_872:                            ;   in Loop: Header=BB749_873 Depth=1
	s_or_b64 exec, exec, s[60:61]
	s_and_b64 s[60:61], exec, s[52:53]
	s_or_b64 s[48:49], s[60:61], s[48:49]
	s_andn2_b64 s[56:57], s[56:57], exec
	s_and_b64 s[58:59], s[58:59], exec
	s_or_b64 s[56:57], s[56:57], s[58:59]
	s_andn2_b64 s[50:51], s[50:51], exec
	s_and_b64 s[58:59], s[14:15], exec
	s_or_b64 s[50:51], s[50:51], s[58:59]
	s_andn2_b64 exec, exec, s[48:49]
	s_cbranch_execz .LBB749_875
.LBB749_873:                            ; =>This Inner Loop Header: Depth=1
	global_load_dwordx2 v[8:9], v[4:5], off
	global_load_dwordx2 v[48:49], v[6:7], off
	s_andn2_b64 s[60:61], s[14:15], exec
	s_or_b64 s[52:53], s[52:53], exec
	s_waitcnt vmcnt(0)
	v_cmp_ngt_f64_e64 s[14:15], v[8:9], v[48:49]
	v_cmp_lt_f64_e32 vcc, v[8:9], v[48:49]
	s_and_b64 s[58:59], s[14:15], s[56:57]
	s_or_b64 s[58:59], vcc, s[58:59]
	s_xor_b64 s[62:63], vcc, s[14:15]
	s_and_b64 s[14:15], s[58:59], exec
	s_or_b64 s[14:15], s[60:61], s[14:15]
	s_and_saveexec_b64 s[60:61], s[62:63]
	s_cbranch_execz .LBB749_872
; %bb.874:                              ;   in Loop: Header=BB749_873 Depth=1
	s_add_u32 s54, s54, -1
	s_addc_u32 s55, s55, -1
	s_cmp_eq_u64 s[54:55], 0
	s_cselect_b64 s[56:57], -1, 0
	s_andn2_b64 s[52:53], s[52:53], exec
	s_and_b64 s[56:57], s[56:57], exec
	v_lshl_add_u64 v[4:5], v[4:5], 0, 8
	v_lshl_add_u64 v[6:7], v[6:7], 0, 8
	s_andn2_b64 s[14:15], s[14:15], exec
	s_or_b64 s[52:53], s[52:53], s[56:57]
                                        ; implicit-def: $sgpr56_sgpr57
	s_branch .LBB749_872
.LBB749_875:
	s_or_b64 exec, exec, s[48:49]
	s_xor_b64 s[14:15], s[50:51], -1
	s_andn2_b64 s[42:43], s[42:43], exec
	s_and_b64 s[14:15], s[14:15], exec
	s_or_b64 s[42:43], s[42:43], s[14:15]
.LBB749_876:
	s_or_b64 exec, exec, s[46:47]
	s_orn2_b64 s[42:43], s[42:43], exec
.LBB749_877:
	s_or_b64 exec, exec, s[44:45]
	v_cndmask_b32_e64 v4, v45, v46, s[42:43]
	v_cndmask_b32_e64 v5, v36, v35, s[42:43]
	v_add_u32_e32 v6, 1, v4
	v_add_u32_e32 v4, -1, v5
	v_min_u32_e32 v4, v6, v4
	v_lshl_add_u32 v4, v4, 3, v31
	ds_read_b64 v[4:5], v4
	v_cndmask_b32_e64 v47, v6, v45, s[42:43]
	v_cndmask_b32_e64 v51, v46, v6, s[42:43]
	v_cmp_lt_u32_e32 vcc, v47, v36
	s_mov_b64 s[44:45], -1
	s_waitcnt lgkmcnt(0)
	v_cndmask_b32_e64 v8, v5, v39, s[42:43]
	v_cndmask_b32_e64 v43, v4, v40, s[42:43]
	;; [unrolled: 1-line block ×4, first 2 shown]
	s_mov_b64 s[46:47], -1
	s_and_saveexec_b64 s[48:49], vcc
	s_cbranch_execz .LBB749_885
; %bb.878:
	v_cmp_lt_u32_e64 s[46:47], v51, v35
	s_and_b64 s[14:15], s[46:47], s[30:31]
	s_and_saveexec_b64 s[50:51], s[14:15]
	s_cbranch_execz .LBB749_884
; %bb.879:
	v_mul_lo_u32 v6, v8, s20
	v_mul_lo_u32 v7, v43, s21
	v_mad_u64_u32 v[4:5], s[14:15], v43, s20, 0
	v_add3_u32 v5, v5, v7, v6
	v_mul_lo_u32 v45, v9, s20
	v_mul_lo_u32 v46, v44, s21
	v_mad_u64_u32 v[6:7], s[14:15], v44, s20, 0
	v_add3_u32 v7, v7, v46, v45
	v_lshl_add_u64 v[4:5], v[4:5], 3, s[22:23]
	v_lshl_add_u64 v[6:7], v[6:7], 3, s[22:23]
	s_mov_b64 s[52:53], 0
	s_mov_b64 s[58:59], s[20:21]
                                        ; implicit-def: $sgpr54_sgpr55
                                        ; implicit-def: $sgpr56_sgpr57
                                        ; implicit-def: $sgpr14_sgpr15
                                        ; implicit-def: $sgpr60_sgpr61
	s_branch .LBB749_881
.LBB749_880:                            ;   in Loop: Header=BB749_881 Depth=1
	s_or_b64 exec, exec, s[64:65]
	s_and_b64 s[64:65], exec, s[56:57]
	s_or_b64 s[52:53], s[64:65], s[52:53]
	s_andn2_b64 s[60:61], s[60:61], exec
	s_and_b64 s[62:63], s[62:63], exec
	s_or_b64 s[60:61], s[60:61], s[62:63]
	s_andn2_b64 s[54:55], s[54:55], exec
	s_and_b64 s[62:63], s[14:15], exec
	s_or_b64 s[54:55], s[54:55], s[62:63]
	s_andn2_b64 exec, exec, s[52:53]
	s_cbranch_execz .LBB749_883
.LBB749_881:                            ; =>This Inner Loop Header: Depth=1
	global_load_dwordx2 v[48:49], v[4:5], off
	global_load_dwordx2 v[52:53], v[6:7], off
	s_andn2_b64 s[64:65], s[14:15], exec
	s_or_b64 s[56:57], s[56:57], exec
	s_waitcnt vmcnt(0)
	v_cmp_ngt_f64_e64 s[14:15], v[48:49], v[52:53]
	v_cmp_lt_f64_e32 vcc, v[48:49], v[52:53]
	s_and_b64 s[62:63], s[14:15], s[60:61]
	s_or_b64 s[62:63], vcc, s[62:63]
	s_xor_b64 s[66:67], vcc, s[14:15]
	s_and_b64 s[14:15], s[62:63], exec
	s_or_b64 s[14:15], s[64:65], s[14:15]
	s_and_saveexec_b64 s[64:65], s[66:67]
	s_cbranch_execz .LBB749_880
; %bb.882:                              ;   in Loop: Header=BB749_881 Depth=1
	s_add_u32 s58, s58, -1
	s_addc_u32 s59, s59, -1
	s_cmp_eq_u64 s[58:59], 0
	s_cselect_b64 s[60:61], -1, 0
	s_andn2_b64 s[56:57], s[56:57], exec
	s_and_b64 s[60:61], s[60:61], exec
	v_lshl_add_u64 v[4:5], v[4:5], 0, 8
	v_lshl_add_u64 v[6:7], v[6:7], 0, 8
	s_andn2_b64 s[14:15], s[14:15], exec
	s_or_b64 s[56:57], s[56:57], s[60:61]
                                        ; implicit-def: $sgpr60_sgpr61
	s_branch .LBB749_880
.LBB749_883:
	s_or_b64 exec, exec, s[52:53]
	s_xor_b64 s[14:15], s[54:55], -1
	s_andn2_b64 s[46:47], s[46:47], exec
	s_and_b64 s[14:15], s[14:15], exec
	s_or_b64 s[46:47], s[46:47], s[14:15]
.LBB749_884:
	s_or_b64 exec, exec, s[50:51]
	s_orn2_b64 s[46:47], s[46:47], exec
.LBB749_885:
	s_or_b64 exec, exec, s[48:49]
	v_cndmask_b32_e64 v4, v47, v51, s[46:47]
	v_cndmask_b32_e64 v5, v36, v35, s[46:47]
	v_add_u32_e32 v6, 1, v4
	v_add_u32_e32 v4, -1, v5
	v_min_u32_e32 v4, v6, v4
	v_lshl_add_u32 v4, v4, 3, v31
	ds_read_b64 v[4:5], v4
	v_cndmask_b32_e64 v48, v6, v47, s[46:47]
	v_cndmask_b32_e64 v47, v51, v6, s[46:47]
	v_cmp_lt_u32_e32 vcc, v48, v36
	s_waitcnt lgkmcnt(0)
	v_cndmask_b32_e64 v45, v5, v8, s[46:47]
	v_cndmask_b32_e64 v46, v4, v43, s[46:47]
	;; [unrolled: 1-line block ×4, first 2 shown]
	s_and_saveexec_b64 s[48:49], vcc
	s_cbranch_execz .LBB749_893
; %bb.886:
	v_cmp_lt_u32_e64 s[44:45], v47, v35
	s_and_b64 s[14:15], s[44:45], s[30:31]
	s_and_saveexec_b64 s[50:51], s[14:15]
	s_cbranch_execz .LBB749_892
; %bb.887:
	v_mul_lo_u32 v6, v45, s20
	v_mul_lo_u32 v7, v46, s21
	v_mad_u64_u32 v[4:5], s[14:15], v46, s20, 0
	v_add3_u32 v5, v5, v7, v6
	v_mul_lo_u32 v51, v49, s20
	v_mul_lo_u32 v52, v50, s21
	v_mad_u64_u32 v[6:7], s[14:15], v50, s20, 0
	v_add3_u32 v7, v7, v52, v51
	v_lshl_add_u64 v[4:5], v[4:5], 3, s[22:23]
	v_lshl_add_u64 v[6:7], v[6:7], 3, s[22:23]
	s_mov_b64 s[52:53], 0
	s_mov_b64 s[58:59], s[20:21]
                                        ; implicit-def: $sgpr54_sgpr55
                                        ; implicit-def: $sgpr56_sgpr57
                                        ; implicit-def: $sgpr14_sgpr15
                                        ; implicit-def: $sgpr60_sgpr61
	s_branch .LBB749_889
.LBB749_888:                            ;   in Loop: Header=BB749_889 Depth=1
	s_or_b64 exec, exec, s[64:65]
	s_and_b64 s[64:65], exec, s[56:57]
	s_or_b64 s[52:53], s[64:65], s[52:53]
	s_andn2_b64 s[60:61], s[60:61], exec
	s_and_b64 s[62:63], s[62:63], exec
	s_or_b64 s[60:61], s[60:61], s[62:63]
	s_andn2_b64 s[54:55], s[54:55], exec
	s_and_b64 s[62:63], s[14:15], exec
	s_or_b64 s[54:55], s[54:55], s[62:63]
	s_andn2_b64 exec, exec, s[52:53]
	s_cbranch_execz .LBB749_891
.LBB749_889:                            ; =>This Inner Loop Header: Depth=1
	global_load_dwordx2 v[52:53], v[4:5], off
	global_load_dwordx2 v[54:55], v[6:7], off
	s_andn2_b64 s[64:65], s[14:15], exec
	s_or_b64 s[56:57], s[56:57], exec
	s_waitcnt vmcnt(0)
	v_cmp_ngt_f64_e64 s[14:15], v[52:53], v[54:55]
	v_cmp_lt_f64_e32 vcc, v[52:53], v[54:55]
	s_and_b64 s[62:63], s[14:15], s[60:61]
	s_or_b64 s[62:63], vcc, s[62:63]
	s_xor_b64 s[66:67], vcc, s[14:15]
	s_and_b64 s[14:15], s[62:63], exec
	s_or_b64 s[14:15], s[64:65], s[14:15]
	s_and_saveexec_b64 s[64:65], s[66:67]
	s_cbranch_execz .LBB749_888
; %bb.890:                              ;   in Loop: Header=BB749_889 Depth=1
	s_add_u32 s58, s58, -1
	s_addc_u32 s59, s59, -1
	s_cmp_eq_u64 s[58:59], 0
	s_cselect_b64 s[60:61], -1, 0
	s_andn2_b64 s[56:57], s[56:57], exec
	s_and_b64 s[60:61], s[60:61], exec
	v_lshl_add_u64 v[4:5], v[4:5], 0, 8
	v_lshl_add_u64 v[6:7], v[6:7], 0, 8
	s_andn2_b64 s[14:15], s[14:15], exec
	s_or_b64 s[56:57], s[56:57], s[60:61]
                                        ; implicit-def: $sgpr60_sgpr61
	s_branch .LBB749_888
.LBB749_891:
	s_or_b64 exec, exec, s[52:53]
	s_xor_b64 s[14:15], s[54:55], -1
	s_andn2_b64 s[44:45], s[44:45], exec
	s_and_b64 s[14:15], s[14:15], exec
	s_or_b64 s[44:45], s[44:45], s[14:15]
.LBB749_892:
	s_or_b64 exec, exec, s[50:51]
	s_orn2_b64 s[44:45], s[44:45], exec
.LBB749_893:
	s_or_b64 exec, exec, s[48:49]
	v_cndmask_b32_e64 v4, v48, v47, s[44:45]
	v_cndmask_b32_e64 v5, v36, v35, s[44:45]
	;; [unrolled: 1-line block ×4, first 2 shown]
	v_add_u32_e32 v38, 1, v4
	v_add_u32_e32 v4, -1, v5
	v_min_u32_e32 v4, v38, v4
	v_lshl_add_u32 v4, v4, 3, v31
	v_cndmask_b32_e64 v11, v10, v11, s[38:39]
	v_cndmask_b32_e64 v10, v17, v23, s[38:39]
	;; [unrolled: 1-line block ×4, first 2 shown]
	ds_read_b64 v[22:23], v4
	v_cndmask_b32_e64 v14, v2, v0, s[16:17]
	v_cndmask_b32_e64 v0, v38, v48, s[44:45]
	;; [unrolled: 1-line block ×9, first 2 shown]
	s_waitcnt lgkmcnt(0)
	v_cndmask_b32_e64 v5, v49, v23, s[44:45]
	v_cndmask_b32_e64 v4, v50, v22, s[44:45]
	v_cmp_lt_u32_e32 vcc, v0, v36
	s_and_saveexec_b64 s[16:17], vcc
	s_cbranch_execz .LBB749_901
; %bb.894:
	v_cndmask_b32_e64 v0, v47, v38, s[44:45]
	v_cndmask_b32_e64 v36, v23, v45, s[44:45]
	;; [unrolled: 1-line block ×3, first 2 shown]
	v_cmp_ge_u32_e32 vcc, v0, v35
	s_nor_b64 s[14:15], vcc, s[28:29]
	s_nop 0
	v_cndmask_b32_e32 v1, v5, v36, vcc
	v_cndmask_b32_e32 v0, v4, v37, vcc
	s_and_saveexec_b64 s[36:37], s[14:15]
	s_cbranch_execz .LBB749_900
; %bb.895:
	v_mul_lo_u32 v22, v36, s20
	v_mul_lo_u32 v23, v37, s21
	v_mad_u64_u32 v[0:1], s[14:15], v37, s20, 0
	v_add3_u32 v1, v1, v23, v22
	v_mul_lo_u32 v35, v5, s20
	v_mul_lo_u32 v38, v4, s21
	v_mad_u64_u32 v[22:23], s[14:15], v4, s20, 0
	v_add3_u32 v23, v23, v38, v35
	v_lshl_add_u64 v[0:1], v[0:1], 3, s[22:23]
	v_lshl_add_u64 v[22:23], v[22:23], 3, s[22:23]
	s_mov_b64 s[38:39], 0
	s_mov_b64 s[44:45], s[20:21]
                                        ; implicit-def: $sgpr40_sgpr41
                                        ; implicit-def: $sgpr42_sgpr43
                                        ; implicit-def: $sgpr14_sgpr15
                                        ; implicit-def: $sgpr46_sgpr47
	s_branch .LBB749_897
.LBB749_896:                            ;   in Loop: Header=BB749_897 Depth=1
	s_or_b64 exec, exec, s[50:51]
	s_and_b64 s[50:51], exec, s[42:43]
	s_or_b64 s[38:39], s[50:51], s[38:39]
	s_andn2_b64 s[46:47], s[46:47], exec
	s_and_b64 s[48:49], s[48:49], exec
	s_or_b64 s[46:47], s[46:47], s[48:49]
	s_andn2_b64 s[40:41], s[40:41], exec
	s_and_b64 s[48:49], s[14:15], exec
	s_or_b64 s[40:41], s[40:41], s[48:49]
	s_andn2_b64 exec, exec, s[38:39]
	s_cbranch_execz .LBB749_899
.LBB749_897:                            ; =>This Inner Loop Header: Depth=1
	global_load_dwordx2 v[38:39], v[0:1], off
	global_load_dwordx2 v[40:41], v[22:23], off
	s_andn2_b64 s[50:51], s[14:15], exec
	s_or_b64 s[42:43], s[42:43], exec
	s_waitcnt vmcnt(0)
	v_cmp_ngt_f64_e64 s[14:15], v[38:39], v[40:41]
	v_cmp_lt_f64_e32 vcc, v[38:39], v[40:41]
	s_and_b64 s[48:49], s[14:15], s[46:47]
	s_or_b64 s[48:49], vcc, s[48:49]
	s_xor_b64 s[52:53], vcc, s[14:15]
	s_and_b64 s[14:15], s[48:49], exec
	s_or_b64 s[14:15], s[50:51], s[14:15]
	s_and_saveexec_b64 s[50:51], s[52:53]
	s_cbranch_execz .LBB749_896
; %bb.898:                              ;   in Loop: Header=BB749_897 Depth=1
	s_add_u32 s44, s44, -1
	s_addc_u32 s45, s45, -1
	s_cmp_eq_u64 s[44:45], 0
	s_cselect_b64 s[46:47], -1, 0
	s_andn2_b64 s[42:43], s[42:43], exec
	s_and_b64 s[46:47], s[46:47], exec
	v_lshl_add_u64 v[0:1], v[0:1], 0, 8
	v_lshl_add_u64 v[22:23], v[22:23], 0, 8
	s_andn2_b64 s[14:15], s[14:15], exec
	s_or_b64 s[42:43], s[42:43], s[46:47]
                                        ; implicit-def: $sgpr46_sgpr47
	s_branch .LBB749_896
.LBB749_899:
	s_or_b64 exec, exec, s[38:39]
	v_cndmask_b32_e64 v1, v5, v36, s[40:41]
	v_cndmask_b32_e64 v0, v4, v37, s[40:41]
.LBB749_900:
	s_or_b64 exec, exec, s[36:37]
	v_mov_b64_e32 v[4:5], v[0:1]
.LBB749_901:
	s_or_b64 exec, exec, s[16:17]
.LBB749_902:
	s_or_b64 exec, exec, s[34:35]
	v_and_b32_e32 v39, 0x3e0, v33
	v_or_b32_e32 v0, 16, v39
	v_min_u32_e32 v35, v32, v0
	v_add_u32_e32 v0, 16, v35
	v_min_u32_e32 v36, v32, v0
	v_and_b32_e32 v0, 24, v33
	v_min_u32_e32 v40, v32, v0
	v_sub_u32_e32 v0, v35, v39
	v_sub_u32_e32 v1, v36, v35
	v_sub_u32_e64 v38, v40, v1 clamp
	v_min_u32_e32 v41, v40, v0
	v_lshl_add_u32 v37, v39, 3, v31
	v_cmp_lt_u32_e32 vcc, v38, v41
	; wave barrier
	ds_write_b128 v34, v[14:17]
	ds_write_b128 v34, v[10:13] offset:16
	ds_write_b128 v34, v[6:9] offset:32
	;; [unrolled: 1-line block ×3, first 2 shown]
	; wave barrier
	s_and_saveexec_b64 s[34:35], vcc
	s_cbranch_execz .LBB749_912
; %bb.903:
	v_lshlrev_b32_e32 v0, 3, v35
	v_lshlrev_b32_e32 v1, 3, v40
	v_add3_u32 v42, v31, v0, v1
	v_cndmask_b32_e64 v0, 0, 1, s[18:19]
	s_lshl_b64 s[38:39], s[20:21], 3
	s_mov_b64 s[36:37], 0
	v_cmp_ne_u32_e64 s[14:15], 1, v0
	s_branch .LBB749_906
.LBB749_904:                            ;   in Loop: Header=BB749_906 Depth=1
	s_or_b64 exec, exec, s[42:43]
.LBB749_905:                            ;   in Loop: Header=BB749_906 Depth=1
	v_add_u32_e32 v0, 1, v43
	v_cndmask_b32_e64 v41, v41, v43, s[40:41]
	v_cndmask_b32_e64 v38, v0, v38, s[40:41]
	v_cmp_ge_u32_e32 vcc, v38, v41
	s_or_b64 s[36:37], vcc, s[36:37]
	s_andn2_b64 exec, exec, s[36:37]
	s_cbranch_execz .LBB749_911
.LBB749_906:                            ; =>This Loop Header: Depth=1
                                        ;     Child Loop BB749_909 Depth 2
	v_add_u32_e32 v0, v41, v38
	v_lshrrev_b32_e32 v43, 1, v0
	s_and_b64 vcc, exec, s[14:15]
	s_mov_b64 s[40:41], 0
	s_cbranch_vccnz .LBB749_905
; %bb.907:                              ;   in Loop: Header=BB749_906 Depth=1
	v_not_b32_e32 v0, v43
	v_lshl_add_u32 v0, v0, 3, v42
	ds_read_b64 v[0:1], v0
	v_lshl_add_u32 v44, v43, 3, v37
	ds_read_b64 v[44:45], v44
	v_mov_b64_e32 v[22:23], s[22:23]
	s_mov_b64 s[42:43], 0
	s_waitcnt lgkmcnt(1)
	v_mul_lo_u32 v46, s38, v1
	v_mul_lo_u32 v47, s39, v0
	v_mad_u64_u32 v[0:1], s[16:17], s38, v0, v[22:23]
	v_add3_u32 v1, v47, v1, v46
	s_waitcnt lgkmcnt(0)
	v_mul_lo_u32 v45, s38, v45
	v_mul_lo_u32 v46, s39, v44
	v_mad_u64_u32 v[22:23], s[16:17], s38, v44, v[22:23]
	v_add3_u32 v23, v46, v23, v45
	s_mov_b64 s[46:47], s[20:21]
                                        ; implicit-def: $sgpr40_sgpr41
                                        ; implicit-def: $sgpr44_sgpr45
                                        ; implicit-def: $sgpr16_sgpr17
                                        ; implicit-def: $sgpr48_sgpr49
	s_branch .LBB749_909
.LBB749_908:                            ;   in Loop: Header=BB749_909 Depth=2
	s_or_b64 exec, exec, s[52:53]
	s_and_b64 s[52:53], exec, s[44:45]
	s_or_b64 s[42:43], s[52:53], s[42:43]
	s_andn2_b64 s[48:49], s[48:49], exec
	s_and_b64 s[50:51], s[50:51], exec
	s_or_b64 s[48:49], s[48:49], s[50:51]
	s_andn2_b64 s[40:41], s[40:41], exec
	s_and_b64 s[50:51], s[16:17], exec
	s_or_b64 s[40:41], s[40:41], s[50:51]
	s_andn2_b64 exec, exec, s[42:43]
	s_cbranch_execz .LBB749_904
.LBB749_909:                            ;   Parent Loop BB749_906 Depth=1
                                        ; =>  This Inner Loop Header: Depth=2
	global_load_dwordx2 v[44:45], v[0:1], off
	global_load_dwordx2 v[46:47], v[22:23], off
	s_andn2_b64 s[52:53], s[16:17], exec
	s_or_b64 s[44:45], s[44:45], exec
	s_waitcnt vmcnt(0)
	v_cmp_ngt_f64_e64 s[16:17], v[44:45], v[46:47]
	v_cmp_lt_f64_e32 vcc, v[44:45], v[46:47]
	s_and_b64 s[50:51], s[16:17], s[48:49]
	s_or_b64 s[50:51], vcc, s[50:51]
	s_xor_b64 s[54:55], vcc, s[16:17]
	s_and_b64 s[16:17], s[50:51], exec
	s_or_b64 s[16:17], s[52:53], s[16:17]
	s_and_saveexec_b64 s[52:53], s[54:55]
	s_cbranch_execz .LBB749_908
; %bb.910:                              ;   in Loop: Header=BB749_909 Depth=2
	s_add_u32 s46, s46, -1
	s_addc_u32 s47, s47, -1
	s_cmp_eq_u64 s[46:47], 0
	s_cselect_b64 s[48:49], -1, 0
	s_andn2_b64 s[44:45], s[44:45], exec
	s_and_b64 s[48:49], s[48:49], exec
	v_lshl_add_u64 v[0:1], v[0:1], 0, 8
	v_lshl_add_u64 v[22:23], v[22:23], 0, 8
	s_andn2_b64 s[16:17], s[16:17], exec
	s_or_b64 s[44:45], s[44:45], s[48:49]
                                        ; implicit-def: $sgpr48_sgpr49
	s_branch .LBB749_908
.LBB749_911:
	s_or_b64 exec, exec, s[36:37]
.LBB749_912:
	s_or_b64 exec, exec, s[34:35]
	v_add_u32_e32 v0, v35, v40
	v_add_u32_e32 v23, v38, v39
	v_sub_u32_e32 v39, v0, v38
	v_cmp_le_u32_e32 vcc, v23, v35
	v_cmp_le_u32_e64 s[14:15], v39, v36
	s_or_b64 s[14:15], vcc, s[14:15]
	s_and_saveexec_b64 s[34:35], s[14:15]
	s_cbranch_execz .LBB749_980
; %bb.913:
	v_cmp_ge_u32_e32 vcc, v23, v35
	v_cmp_lt_u32_e64 s[14:15], v23, v35
                                        ; implicit-def: $vgpr0_vgpr1
	s_and_saveexec_b64 s[16:17], s[14:15]
; %bb.914:
	v_lshl_add_u32 v0, v38, 3, v37
	ds_read_b64 v[0:1], v0
; %bb.915:
	s_or_b64 exec, exec, s[16:17]
	v_cmp_ge_u32_e64 s[14:15], v39, v36
	v_cmp_lt_u32_e64 s[16:17], v39, v36
                                        ; implicit-def: $vgpr2_vgpr3
	s_and_saveexec_b64 s[36:37], s[16:17]
; %bb.916:
	v_lshl_add_u32 v2, v39, 3, v31
	ds_read_b64 v[2:3], v2
; %bb.917:
	s_or_b64 exec, exec, s[36:37]
	s_or_b64 s[16:17], vcc, s[14:15]
	s_nor_b64 s[38:39], s[16:17], s[28:29]
	s_xor_b64 s[16:17], vcc, -1
	s_or_b64 s[16:17], s[14:15], s[16:17]
	s_and_saveexec_b64 s[36:37], s[38:39]
	s_cbranch_execz .LBB749_923
; %bb.918:
	s_waitcnt lgkmcnt(0)
	v_mul_lo_u32 v6, v3, s20
	v_mul_lo_u32 v7, v2, s21
	v_mad_u64_u32 v[4:5], s[14:15], v2, s20, 0
	v_add3_u32 v5, v5, v7, v6
	v_mul_lo_u32 v8, v1, s20
	v_mul_lo_u32 v9, v0, s21
	v_mad_u64_u32 v[6:7], s[14:15], v0, s20, 0
	v_add3_u32 v7, v7, v9, v8
	v_lshl_add_u64 v[4:5], v[4:5], 3, s[22:23]
	v_lshl_add_u64 v[6:7], v[6:7], 3, s[22:23]
	s_mov_b64 s[38:39], 0
	s_mov_b64 s[44:45], s[20:21]
                                        ; implicit-def: $sgpr40_sgpr41
                                        ; implicit-def: $sgpr42_sgpr43
                                        ; implicit-def: $sgpr14_sgpr15
                                        ; implicit-def: $sgpr46_sgpr47
	s_branch .LBB749_920
.LBB749_919:                            ;   in Loop: Header=BB749_920 Depth=1
	s_or_b64 exec, exec, s[50:51]
	s_and_b64 s[50:51], exec, s[42:43]
	s_or_b64 s[38:39], s[50:51], s[38:39]
	s_andn2_b64 s[46:47], s[46:47], exec
	s_and_b64 s[48:49], s[48:49], exec
	s_or_b64 s[46:47], s[46:47], s[48:49]
	s_andn2_b64 s[40:41], s[40:41], exec
	s_and_b64 s[48:49], s[14:15], exec
	s_or_b64 s[40:41], s[40:41], s[48:49]
	s_andn2_b64 exec, exec, s[38:39]
	s_cbranch_execz .LBB749_922
.LBB749_920:                            ; =>This Inner Loop Header: Depth=1
	global_load_dwordx2 v[8:9], v[4:5], off
	global_load_dwordx2 v[10:11], v[6:7], off
	s_andn2_b64 s[50:51], s[14:15], exec
	s_or_b64 s[42:43], s[42:43], exec
	s_waitcnt vmcnt(0)
	v_cmp_ngt_f64_e64 s[14:15], v[8:9], v[10:11]
	v_cmp_lt_f64_e32 vcc, v[8:9], v[10:11]
	s_and_b64 s[48:49], s[14:15], s[46:47]
	s_or_b64 s[48:49], vcc, s[48:49]
	s_xor_b64 s[52:53], vcc, s[14:15]
	s_and_b64 s[14:15], s[48:49], exec
	s_or_b64 s[14:15], s[50:51], s[14:15]
	s_and_saveexec_b64 s[50:51], s[52:53]
	s_cbranch_execz .LBB749_919
; %bb.921:                              ;   in Loop: Header=BB749_920 Depth=1
	s_add_u32 s44, s44, -1
	s_addc_u32 s45, s45, -1
	s_cmp_eq_u64 s[44:45], 0
	s_cselect_b64 s[46:47], -1, 0
	s_andn2_b64 s[42:43], s[42:43], exec
	s_and_b64 s[46:47], s[46:47], exec
	v_lshl_add_u64 v[4:5], v[4:5], 0, 8
	v_lshl_add_u64 v[6:7], v[6:7], 0, 8
	s_andn2_b64 s[14:15], s[14:15], exec
	s_or_b64 s[42:43], s[42:43], s[46:47]
                                        ; implicit-def: $sgpr46_sgpr47
	s_branch .LBB749_919
.LBB749_922:
	s_or_b64 exec, exec, s[38:39]
	s_xor_b64 s[14:15], s[40:41], -1
	s_andn2_b64 s[16:17], s[16:17], exec
	s_and_b64 s[14:15], s[14:15], exec
	s_or_b64 s[16:17], s[16:17], s[14:15]
.LBB749_923:
	s_or_b64 exec, exec, s[36:37]
	v_cndmask_b32_e64 v4, v39, v23, s[16:17]
	v_cndmask_b32_e64 v5, v36, v35, s[16:17]
	v_add_u32_e32 v6, 1, v4
	v_add_u32_e32 v4, -1, v5
	v_min_u32_e32 v4, v6, v4
	v_lshl_add_u32 v4, v4, 3, v31
	ds_read_b64 v[4:5], v4
	v_cndmask_b32_e64 v8, v6, v39, s[16:17]
	v_cndmask_b32_e64 v9, v23, v6, s[16:17]
	v_cmp_lt_u32_e32 vcc, v8, v36
	s_mov_b64 s[38:39], -1
	s_waitcnt lgkmcnt(0)
	v_cndmask_b32_e64 v14, v5, v3, s[16:17]
	v_cndmask_b32_e64 v15, v4, v2, s[16:17]
	;; [unrolled: 1-line block ×4, first 2 shown]
	s_mov_b64 s[36:37], -1
	s_and_saveexec_b64 s[40:41], vcc
	s_cbranch_execz .LBB749_931
; %bb.924:
	v_cmp_lt_u32_e64 s[36:37], v9, v35
	s_and_b64 s[14:15], s[36:37], s[30:31]
	s_and_saveexec_b64 s[42:43], s[14:15]
	s_cbranch_execz .LBB749_930
; %bb.925:
	v_mul_lo_u32 v6, v14, s20
	v_mul_lo_u32 v7, v15, s21
	v_mad_u64_u32 v[4:5], s[14:15], v15, s20, 0
	v_add3_u32 v5, v5, v7, v6
	v_mul_lo_u32 v10, v16, s20
	v_mul_lo_u32 v11, v22, s21
	v_mad_u64_u32 v[6:7], s[14:15], v22, s20, 0
	v_add3_u32 v7, v7, v11, v10
	v_lshl_add_u64 v[4:5], v[4:5], 3, s[22:23]
	v_lshl_add_u64 v[6:7], v[6:7], 3, s[22:23]
	s_mov_b64 s[44:45], 0
	s_mov_b64 s[50:51], s[20:21]
                                        ; implicit-def: $sgpr46_sgpr47
                                        ; implicit-def: $sgpr48_sgpr49
                                        ; implicit-def: $sgpr14_sgpr15
                                        ; implicit-def: $sgpr52_sgpr53
	s_branch .LBB749_927
.LBB749_926:                            ;   in Loop: Header=BB749_927 Depth=1
	s_or_b64 exec, exec, s[56:57]
	s_and_b64 s[56:57], exec, s[48:49]
	s_or_b64 s[44:45], s[56:57], s[44:45]
	s_andn2_b64 s[52:53], s[52:53], exec
	s_and_b64 s[54:55], s[54:55], exec
	s_or_b64 s[52:53], s[52:53], s[54:55]
	s_andn2_b64 s[46:47], s[46:47], exec
	s_and_b64 s[54:55], s[14:15], exec
	s_or_b64 s[46:47], s[46:47], s[54:55]
	s_andn2_b64 exec, exec, s[44:45]
	s_cbranch_execz .LBB749_929
.LBB749_927:                            ; =>This Inner Loop Header: Depth=1
	global_load_dwordx2 v[10:11], v[4:5], off
	global_load_dwordx2 v[12:13], v[6:7], off
	s_andn2_b64 s[56:57], s[14:15], exec
	s_or_b64 s[48:49], s[48:49], exec
	s_waitcnt vmcnt(0)
	v_cmp_ngt_f64_e64 s[14:15], v[10:11], v[12:13]
	v_cmp_lt_f64_e32 vcc, v[10:11], v[12:13]
	s_and_b64 s[54:55], s[14:15], s[52:53]
	s_or_b64 s[54:55], vcc, s[54:55]
	s_xor_b64 s[58:59], vcc, s[14:15]
	s_and_b64 s[14:15], s[54:55], exec
	s_or_b64 s[14:15], s[56:57], s[14:15]
	s_and_saveexec_b64 s[56:57], s[58:59]
	s_cbranch_execz .LBB749_926
; %bb.928:                              ;   in Loop: Header=BB749_927 Depth=1
	s_add_u32 s50, s50, -1
	s_addc_u32 s51, s51, -1
	s_cmp_eq_u64 s[50:51], 0
	s_cselect_b64 s[52:53], -1, 0
	s_andn2_b64 s[48:49], s[48:49], exec
	s_and_b64 s[52:53], s[52:53], exec
	v_lshl_add_u64 v[4:5], v[4:5], 0, 8
	v_lshl_add_u64 v[6:7], v[6:7], 0, 8
	s_andn2_b64 s[14:15], s[14:15], exec
	s_or_b64 s[48:49], s[48:49], s[52:53]
                                        ; implicit-def: $sgpr52_sgpr53
	s_branch .LBB749_926
.LBB749_929:
	s_or_b64 exec, exec, s[44:45]
	s_xor_b64 s[14:15], s[46:47], -1
	s_andn2_b64 s[36:37], s[36:37], exec
	s_and_b64 s[14:15], s[14:15], exec
	s_or_b64 s[36:37], s[36:37], s[14:15]
.LBB749_930:
	s_or_b64 exec, exec, s[42:43]
	s_orn2_b64 s[36:37], s[36:37], exec
.LBB749_931:
	s_or_b64 exec, exec, s[40:41]
	v_cndmask_b32_e64 v4, v8, v9, s[36:37]
	v_cndmask_b32_e64 v5, v36, v35, s[36:37]
	v_add_u32_e32 v6, 1, v4
	v_add_u32_e32 v4, -1, v5
	v_min_u32_e32 v4, v6, v4
	v_lshl_add_u32 v4, v4, 3, v31
	ds_read_b64 v[4:5], v4
	v_cndmask_b32_e64 v8, v6, v8, s[36:37]
	v_cndmask_b32_e64 v9, v9, v6, s[36:37]
	v_cmp_lt_u32_e32 vcc, v8, v36
	s_waitcnt lgkmcnt(0)
	v_cndmask_b32_e64 v10, v5, v14, s[36:37]
	v_cndmask_b32_e64 v17, v4, v15, s[36:37]
	;; [unrolled: 1-line block ×4, first 2 shown]
	s_and_saveexec_b64 s[40:41], vcc
	s_cbranch_execz .LBB749_939
; %bb.932:
	v_cmp_lt_u32_e64 s[38:39], v9, v35
	s_and_b64 s[14:15], s[38:39], s[30:31]
	s_and_saveexec_b64 s[42:43], s[14:15]
	s_cbranch_execz .LBB749_938
; %bb.933:
	v_mul_lo_u32 v6, v10, s20
	v_mul_lo_u32 v7, v17, s21
	v_mad_u64_u32 v[4:5], s[14:15], v17, s20, 0
	v_add3_u32 v5, v5, v7, v6
	v_mul_lo_u32 v12, v11, s20
	v_mul_lo_u32 v13, v23, s21
	v_mad_u64_u32 v[6:7], s[14:15], v23, s20, 0
	v_add3_u32 v7, v7, v13, v12
	v_lshl_add_u64 v[4:5], v[4:5], 3, s[22:23]
	v_lshl_add_u64 v[6:7], v[6:7], 3, s[22:23]
	s_mov_b64 s[44:45], 0
	s_mov_b64 s[50:51], s[20:21]
                                        ; implicit-def: $sgpr46_sgpr47
                                        ; implicit-def: $sgpr48_sgpr49
                                        ; implicit-def: $sgpr14_sgpr15
                                        ; implicit-def: $sgpr52_sgpr53
	s_branch .LBB749_935
.LBB749_934:                            ;   in Loop: Header=BB749_935 Depth=1
	s_or_b64 exec, exec, s[56:57]
	s_and_b64 s[56:57], exec, s[48:49]
	s_or_b64 s[44:45], s[56:57], s[44:45]
	s_andn2_b64 s[52:53], s[52:53], exec
	s_and_b64 s[54:55], s[54:55], exec
	s_or_b64 s[52:53], s[52:53], s[54:55]
	s_andn2_b64 s[46:47], s[46:47], exec
	s_and_b64 s[54:55], s[14:15], exec
	s_or_b64 s[46:47], s[46:47], s[54:55]
	s_andn2_b64 exec, exec, s[44:45]
	s_cbranch_execz .LBB749_937
.LBB749_935:                            ; =>This Inner Loop Header: Depth=1
	global_load_dwordx2 v[12:13], v[4:5], off
	global_load_dwordx2 v[38:39], v[6:7], off
	s_andn2_b64 s[56:57], s[14:15], exec
	s_or_b64 s[48:49], s[48:49], exec
	s_waitcnt vmcnt(0)
	v_cmp_ngt_f64_e64 s[14:15], v[12:13], v[38:39]
	v_cmp_lt_f64_e32 vcc, v[12:13], v[38:39]
	s_and_b64 s[54:55], s[14:15], s[52:53]
	s_or_b64 s[54:55], vcc, s[54:55]
	s_xor_b64 s[58:59], vcc, s[14:15]
	s_and_b64 s[14:15], s[54:55], exec
	s_or_b64 s[14:15], s[56:57], s[14:15]
	s_and_saveexec_b64 s[56:57], s[58:59]
	s_cbranch_execz .LBB749_934
; %bb.936:                              ;   in Loop: Header=BB749_935 Depth=1
	s_add_u32 s50, s50, -1
	s_addc_u32 s51, s51, -1
	s_cmp_eq_u64 s[50:51], 0
	s_cselect_b64 s[52:53], -1, 0
	s_andn2_b64 s[48:49], s[48:49], exec
	s_and_b64 s[52:53], s[52:53], exec
	v_lshl_add_u64 v[4:5], v[4:5], 0, 8
	v_lshl_add_u64 v[6:7], v[6:7], 0, 8
	s_andn2_b64 s[14:15], s[14:15], exec
	s_or_b64 s[48:49], s[48:49], s[52:53]
                                        ; implicit-def: $sgpr52_sgpr53
	s_branch .LBB749_934
.LBB749_937:
	s_or_b64 exec, exec, s[44:45]
	s_xor_b64 s[14:15], s[46:47], -1
	s_andn2_b64 s[38:39], s[38:39], exec
	s_and_b64 s[14:15], s[14:15], exec
	s_or_b64 s[38:39], s[38:39], s[14:15]
.LBB749_938:
	s_or_b64 exec, exec, s[42:43]
	s_orn2_b64 s[38:39], s[38:39], exec
.LBB749_939:
	s_or_b64 exec, exec, s[40:41]
	v_cndmask_b32_e64 v4, v8, v9, s[38:39]
	v_cndmask_b32_e64 v5, v36, v35, s[38:39]
	v_add_u32_e32 v6, 1, v4
	v_add_u32_e32 v4, -1, v5
	v_min_u32_e32 v4, v6, v4
	v_lshl_add_u32 v4, v4, 3, v31
	ds_read_b64 v[4:5], v4
	v_cndmask_b32_e64 v8, v6, v8, s[38:39]
	v_cndmask_b32_e64 v9, v9, v6, s[38:39]
	v_cmp_lt_u32_e32 vcc, v8, v36
	s_mov_b64 s[42:43], -1
	s_waitcnt lgkmcnt(0)
	v_cndmask_b32_e64 v12, v5, v10, s[38:39]
	v_cndmask_b32_e64 v37, v4, v17, s[38:39]
	;; [unrolled: 1-line block ×4, first 2 shown]
	s_mov_b64 s[40:41], -1
	s_and_saveexec_b64 s[44:45], vcc
	s_cbranch_execz .LBB749_947
; %bb.940:
	v_cmp_lt_u32_e64 s[40:41], v9, v35
	s_and_b64 s[14:15], s[40:41], s[30:31]
	s_and_saveexec_b64 s[46:47], s[14:15]
	s_cbranch_execz .LBB749_946
; %bb.941:
	v_mul_lo_u32 v6, v12, s20
	v_mul_lo_u32 v7, v37, s21
	v_mad_u64_u32 v[4:5], s[14:15], v37, s20, 0
	v_add3_u32 v5, v5, v7, v6
	v_mul_lo_u32 v39, v13, s20
	v_mul_lo_u32 v40, v38, s21
	v_mad_u64_u32 v[6:7], s[14:15], v38, s20, 0
	v_add3_u32 v7, v7, v40, v39
	v_lshl_add_u64 v[4:5], v[4:5], 3, s[22:23]
	v_lshl_add_u64 v[6:7], v[6:7], 3, s[22:23]
	s_mov_b64 s[48:49], 0
	s_mov_b64 s[54:55], s[20:21]
                                        ; implicit-def: $sgpr50_sgpr51
                                        ; implicit-def: $sgpr52_sgpr53
                                        ; implicit-def: $sgpr14_sgpr15
                                        ; implicit-def: $sgpr56_sgpr57
	s_branch .LBB749_943
.LBB749_942:                            ;   in Loop: Header=BB749_943 Depth=1
	s_or_b64 exec, exec, s[60:61]
	s_and_b64 s[60:61], exec, s[52:53]
	s_or_b64 s[48:49], s[60:61], s[48:49]
	s_andn2_b64 s[56:57], s[56:57], exec
	s_and_b64 s[58:59], s[58:59], exec
	s_or_b64 s[56:57], s[56:57], s[58:59]
	s_andn2_b64 s[50:51], s[50:51], exec
	s_and_b64 s[58:59], s[14:15], exec
	s_or_b64 s[50:51], s[50:51], s[58:59]
	s_andn2_b64 exec, exec, s[48:49]
	s_cbranch_execz .LBB749_945
.LBB749_943:                            ; =>This Inner Loop Header: Depth=1
	global_load_dwordx2 v[40:41], v[4:5], off
	global_load_dwordx2 v[42:43], v[6:7], off
	s_andn2_b64 s[60:61], s[14:15], exec
	s_or_b64 s[52:53], s[52:53], exec
	s_waitcnt vmcnt(0)
	v_cmp_ngt_f64_e64 s[14:15], v[40:41], v[42:43]
	v_cmp_lt_f64_e32 vcc, v[40:41], v[42:43]
	s_and_b64 s[58:59], s[14:15], s[56:57]
	s_or_b64 s[58:59], vcc, s[58:59]
	s_xor_b64 s[62:63], vcc, s[14:15]
	s_and_b64 s[14:15], s[58:59], exec
	s_or_b64 s[14:15], s[60:61], s[14:15]
	s_and_saveexec_b64 s[60:61], s[62:63]
	s_cbranch_execz .LBB749_942
; %bb.944:                              ;   in Loop: Header=BB749_943 Depth=1
	s_add_u32 s54, s54, -1
	s_addc_u32 s55, s55, -1
	s_cmp_eq_u64 s[54:55], 0
	s_cselect_b64 s[56:57], -1, 0
	s_andn2_b64 s[52:53], s[52:53], exec
	s_and_b64 s[56:57], s[56:57], exec
	v_lshl_add_u64 v[4:5], v[4:5], 0, 8
	v_lshl_add_u64 v[6:7], v[6:7], 0, 8
	s_andn2_b64 s[14:15], s[14:15], exec
	s_or_b64 s[52:53], s[52:53], s[56:57]
                                        ; implicit-def: $sgpr56_sgpr57
	s_branch .LBB749_942
.LBB749_945:
	s_or_b64 exec, exec, s[48:49]
	s_xor_b64 s[14:15], s[50:51], -1
	s_andn2_b64 s[40:41], s[40:41], exec
	s_and_b64 s[14:15], s[14:15], exec
	s_or_b64 s[40:41], s[40:41], s[14:15]
.LBB749_946:
	s_or_b64 exec, exec, s[46:47]
	s_orn2_b64 s[40:41], s[40:41], exec
.LBB749_947:
	s_or_b64 exec, exec, s[44:45]
	v_cndmask_b32_e64 v4, v8, v9, s[40:41]
	v_cndmask_b32_e64 v5, v36, v35, s[40:41]
	v_add_u32_e32 v6, 1, v4
	v_add_u32_e32 v4, -1, v5
	v_min_u32_e32 v4, v6, v4
	v_lshl_add_u32 v4, v4, 3, v31
	ds_read_b64 v[4:5], v4
	v_cndmask_b32_e64 v45, v6, v8, s[40:41]
	v_cndmask_b32_e64 v46, v9, v6, s[40:41]
	v_cmp_lt_u32_e32 vcc, v45, v36
	s_waitcnt lgkmcnt(0)
	v_cndmask_b32_e64 v39, v5, v12, s[40:41]
	v_cndmask_b32_e64 v40, v4, v37, s[40:41]
	;; [unrolled: 1-line block ×4, first 2 shown]
	s_and_saveexec_b64 s[44:45], vcc
	s_cbranch_execz .LBB749_955
; %bb.948:
	v_cmp_lt_u32_e64 s[42:43], v46, v35
	s_and_b64 s[14:15], s[42:43], s[30:31]
	s_and_saveexec_b64 s[46:47], s[14:15]
	s_cbranch_execz .LBB749_954
; %bb.949:
	v_mul_lo_u32 v6, v39, s20
	v_mul_lo_u32 v7, v40, s21
	v_mad_u64_u32 v[4:5], s[14:15], v40, s20, 0
	v_add3_u32 v5, v5, v7, v6
	v_mul_lo_u32 v8, v41, s20
	v_mul_lo_u32 v9, v42, s21
	v_mad_u64_u32 v[6:7], s[14:15], v42, s20, 0
	v_add3_u32 v7, v7, v9, v8
	v_lshl_add_u64 v[4:5], v[4:5], 3, s[22:23]
	v_lshl_add_u64 v[6:7], v[6:7], 3, s[22:23]
	s_mov_b64 s[48:49], 0
	s_mov_b64 s[54:55], s[20:21]
                                        ; implicit-def: $sgpr50_sgpr51
                                        ; implicit-def: $sgpr52_sgpr53
                                        ; implicit-def: $sgpr14_sgpr15
                                        ; implicit-def: $sgpr56_sgpr57
	s_branch .LBB749_951
.LBB749_950:                            ;   in Loop: Header=BB749_951 Depth=1
	s_or_b64 exec, exec, s[60:61]
	s_and_b64 s[60:61], exec, s[52:53]
	s_or_b64 s[48:49], s[60:61], s[48:49]
	s_andn2_b64 s[56:57], s[56:57], exec
	s_and_b64 s[58:59], s[58:59], exec
	s_or_b64 s[56:57], s[56:57], s[58:59]
	s_andn2_b64 s[50:51], s[50:51], exec
	s_and_b64 s[58:59], s[14:15], exec
	s_or_b64 s[50:51], s[50:51], s[58:59]
	s_andn2_b64 exec, exec, s[48:49]
	s_cbranch_execz .LBB749_953
.LBB749_951:                            ; =>This Inner Loop Header: Depth=1
	global_load_dwordx2 v[8:9], v[4:5], off
	global_load_dwordx2 v[48:49], v[6:7], off
	s_andn2_b64 s[60:61], s[14:15], exec
	s_or_b64 s[52:53], s[52:53], exec
	s_waitcnt vmcnt(0)
	v_cmp_ngt_f64_e64 s[14:15], v[8:9], v[48:49]
	v_cmp_lt_f64_e32 vcc, v[8:9], v[48:49]
	s_and_b64 s[58:59], s[14:15], s[56:57]
	s_or_b64 s[58:59], vcc, s[58:59]
	s_xor_b64 s[62:63], vcc, s[14:15]
	s_and_b64 s[14:15], s[58:59], exec
	s_or_b64 s[14:15], s[60:61], s[14:15]
	s_and_saveexec_b64 s[60:61], s[62:63]
	s_cbranch_execz .LBB749_950
; %bb.952:                              ;   in Loop: Header=BB749_951 Depth=1
	s_add_u32 s54, s54, -1
	s_addc_u32 s55, s55, -1
	s_cmp_eq_u64 s[54:55], 0
	s_cselect_b64 s[56:57], -1, 0
	s_andn2_b64 s[52:53], s[52:53], exec
	s_and_b64 s[56:57], s[56:57], exec
	v_lshl_add_u64 v[4:5], v[4:5], 0, 8
	v_lshl_add_u64 v[6:7], v[6:7], 0, 8
	s_andn2_b64 s[14:15], s[14:15], exec
	s_or_b64 s[52:53], s[52:53], s[56:57]
                                        ; implicit-def: $sgpr56_sgpr57
	s_branch .LBB749_950
.LBB749_953:
	s_or_b64 exec, exec, s[48:49]
	s_xor_b64 s[14:15], s[50:51], -1
	s_andn2_b64 s[42:43], s[42:43], exec
	s_and_b64 s[14:15], s[14:15], exec
	s_or_b64 s[42:43], s[42:43], s[14:15]
.LBB749_954:
	s_or_b64 exec, exec, s[46:47]
	s_orn2_b64 s[42:43], s[42:43], exec
.LBB749_955:
	s_or_b64 exec, exec, s[44:45]
	v_cndmask_b32_e64 v4, v45, v46, s[42:43]
	v_cndmask_b32_e64 v5, v36, v35, s[42:43]
	v_add_u32_e32 v6, 1, v4
	v_add_u32_e32 v4, -1, v5
	v_min_u32_e32 v4, v6, v4
	v_lshl_add_u32 v4, v4, 3, v31
	ds_read_b64 v[4:5], v4
	v_cndmask_b32_e64 v47, v6, v45, s[42:43]
	v_cndmask_b32_e64 v51, v46, v6, s[42:43]
	v_cmp_lt_u32_e32 vcc, v47, v36
	s_mov_b64 s[44:45], -1
	s_waitcnt lgkmcnt(0)
	v_cndmask_b32_e64 v8, v5, v39, s[42:43]
	v_cndmask_b32_e64 v43, v4, v40, s[42:43]
	;; [unrolled: 1-line block ×4, first 2 shown]
	s_mov_b64 s[46:47], -1
	s_and_saveexec_b64 s[48:49], vcc
	s_cbranch_execz .LBB749_963
; %bb.956:
	v_cmp_lt_u32_e64 s[46:47], v51, v35
	s_and_b64 s[14:15], s[46:47], s[30:31]
	s_and_saveexec_b64 s[50:51], s[14:15]
	s_cbranch_execz .LBB749_962
; %bb.957:
	v_mul_lo_u32 v6, v8, s20
	v_mul_lo_u32 v7, v43, s21
	v_mad_u64_u32 v[4:5], s[14:15], v43, s20, 0
	v_add3_u32 v5, v5, v7, v6
	v_mul_lo_u32 v45, v9, s20
	v_mul_lo_u32 v46, v44, s21
	v_mad_u64_u32 v[6:7], s[14:15], v44, s20, 0
	v_add3_u32 v7, v7, v46, v45
	v_lshl_add_u64 v[4:5], v[4:5], 3, s[22:23]
	v_lshl_add_u64 v[6:7], v[6:7], 3, s[22:23]
	s_mov_b64 s[52:53], 0
	s_mov_b64 s[58:59], s[20:21]
                                        ; implicit-def: $sgpr54_sgpr55
                                        ; implicit-def: $sgpr56_sgpr57
                                        ; implicit-def: $sgpr14_sgpr15
                                        ; implicit-def: $sgpr60_sgpr61
	s_branch .LBB749_959
.LBB749_958:                            ;   in Loop: Header=BB749_959 Depth=1
	s_or_b64 exec, exec, s[64:65]
	s_and_b64 s[64:65], exec, s[56:57]
	s_or_b64 s[52:53], s[64:65], s[52:53]
	s_andn2_b64 s[60:61], s[60:61], exec
	s_and_b64 s[62:63], s[62:63], exec
	s_or_b64 s[60:61], s[60:61], s[62:63]
	s_andn2_b64 s[54:55], s[54:55], exec
	s_and_b64 s[62:63], s[14:15], exec
	s_or_b64 s[54:55], s[54:55], s[62:63]
	s_andn2_b64 exec, exec, s[52:53]
	s_cbranch_execz .LBB749_961
.LBB749_959:                            ; =>This Inner Loop Header: Depth=1
	global_load_dwordx2 v[48:49], v[4:5], off
	global_load_dwordx2 v[52:53], v[6:7], off
	s_andn2_b64 s[64:65], s[14:15], exec
	s_or_b64 s[56:57], s[56:57], exec
	s_waitcnt vmcnt(0)
	v_cmp_ngt_f64_e64 s[14:15], v[48:49], v[52:53]
	v_cmp_lt_f64_e32 vcc, v[48:49], v[52:53]
	s_and_b64 s[62:63], s[14:15], s[60:61]
	s_or_b64 s[62:63], vcc, s[62:63]
	s_xor_b64 s[66:67], vcc, s[14:15]
	s_and_b64 s[14:15], s[62:63], exec
	s_or_b64 s[14:15], s[64:65], s[14:15]
	s_and_saveexec_b64 s[64:65], s[66:67]
	s_cbranch_execz .LBB749_958
; %bb.960:                              ;   in Loop: Header=BB749_959 Depth=1
	s_add_u32 s58, s58, -1
	s_addc_u32 s59, s59, -1
	s_cmp_eq_u64 s[58:59], 0
	s_cselect_b64 s[60:61], -1, 0
	s_andn2_b64 s[56:57], s[56:57], exec
	s_and_b64 s[60:61], s[60:61], exec
	v_lshl_add_u64 v[4:5], v[4:5], 0, 8
	v_lshl_add_u64 v[6:7], v[6:7], 0, 8
	s_andn2_b64 s[14:15], s[14:15], exec
	s_or_b64 s[56:57], s[56:57], s[60:61]
                                        ; implicit-def: $sgpr60_sgpr61
	s_branch .LBB749_958
.LBB749_961:
	s_or_b64 exec, exec, s[52:53]
	s_xor_b64 s[14:15], s[54:55], -1
	s_andn2_b64 s[46:47], s[46:47], exec
	s_and_b64 s[14:15], s[14:15], exec
	s_or_b64 s[46:47], s[46:47], s[14:15]
.LBB749_962:
	s_or_b64 exec, exec, s[50:51]
	s_orn2_b64 s[46:47], s[46:47], exec
.LBB749_963:
	s_or_b64 exec, exec, s[48:49]
	v_cndmask_b32_e64 v4, v47, v51, s[46:47]
	v_cndmask_b32_e64 v5, v36, v35, s[46:47]
	v_add_u32_e32 v6, 1, v4
	v_add_u32_e32 v4, -1, v5
	v_min_u32_e32 v4, v6, v4
	v_lshl_add_u32 v4, v4, 3, v31
	ds_read_b64 v[4:5], v4
	v_cndmask_b32_e64 v48, v6, v47, s[46:47]
	v_cndmask_b32_e64 v47, v51, v6, s[46:47]
	v_cmp_lt_u32_e32 vcc, v48, v36
	s_waitcnt lgkmcnt(0)
	v_cndmask_b32_e64 v45, v5, v8, s[46:47]
	v_cndmask_b32_e64 v46, v4, v43, s[46:47]
	;; [unrolled: 1-line block ×4, first 2 shown]
	s_and_saveexec_b64 s[48:49], vcc
	s_cbranch_execz .LBB749_971
; %bb.964:
	v_cmp_lt_u32_e64 s[44:45], v47, v35
	s_and_b64 s[14:15], s[44:45], s[30:31]
	s_and_saveexec_b64 s[50:51], s[14:15]
	s_cbranch_execz .LBB749_970
; %bb.965:
	v_mul_lo_u32 v6, v45, s20
	v_mul_lo_u32 v7, v46, s21
	v_mad_u64_u32 v[4:5], s[14:15], v46, s20, 0
	v_add3_u32 v5, v5, v7, v6
	v_mul_lo_u32 v51, v49, s20
	v_mul_lo_u32 v52, v50, s21
	v_mad_u64_u32 v[6:7], s[14:15], v50, s20, 0
	v_add3_u32 v7, v7, v52, v51
	v_lshl_add_u64 v[4:5], v[4:5], 3, s[22:23]
	v_lshl_add_u64 v[6:7], v[6:7], 3, s[22:23]
	s_mov_b64 s[52:53], 0
	s_mov_b64 s[58:59], s[20:21]
                                        ; implicit-def: $sgpr54_sgpr55
                                        ; implicit-def: $sgpr56_sgpr57
                                        ; implicit-def: $sgpr14_sgpr15
                                        ; implicit-def: $sgpr60_sgpr61
	s_branch .LBB749_967
.LBB749_966:                            ;   in Loop: Header=BB749_967 Depth=1
	s_or_b64 exec, exec, s[64:65]
	s_and_b64 s[64:65], exec, s[56:57]
	s_or_b64 s[52:53], s[64:65], s[52:53]
	s_andn2_b64 s[60:61], s[60:61], exec
	s_and_b64 s[62:63], s[62:63], exec
	s_or_b64 s[60:61], s[60:61], s[62:63]
	s_andn2_b64 s[54:55], s[54:55], exec
	s_and_b64 s[62:63], s[14:15], exec
	s_or_b64 s[54:55], s[54:55], s[62:63]
	s_andn2_b64 exec, exec, s[52:53]
	s_cbranch_execz .LBB749_969
.LBB749_967:                            ; =>This Inner Loop Header: Depth=1
	global_load_dwordx2 v[52:53], v[4:5], off
	global_load_dwordx2 v[54:55], v[6:7], off
	s_andn2_b64 s[64:65], s[14:15], exec
	s_or_b64 s[56:57], s[56:57], exec
	s_waitcnt vmcnt(0)
	v_cmp_ngt_f64_e64 s[14:15], v[52:53], v[54:55]
	v_cmp_lt_f64_e32 vcc, v[52:53], v[54:55]
	s_and_b64 s[62:63], s[14:15], s[60:61]
	s_or_b64 s[62:63], vcc, s[62:63]
	s_xor_b64 s[66:67], vcc, s[14:15]
	s_and_b64 s[14:15], s[62:63], exec
	s_or_b64 s[14:15], s[64:65], s[14:15]
	s_and_saveexec_b64 s[64:65], s[66:67]
	s_cbranch_execz .LBB749_966
; %bb.968:                              ;   in Loop: Header=BB749_967 Depth=1
	s_add_u32 s58, s58, -1
	s_addc_u32 s59, s59, -1
	s_cmp_eq_u64 s[58:59], 0
	s_cselect_b64 s[60:61], -1, 0
	s_andn2_b64 s[56:57], s[56:57], exec
	s_and_b64 s[60:61], s[60:61], exec
	v_lshl_add_u64 v[4:5], v[4:5], 0, 8
	v_lshl_add_u64 v[6:7], v[6:7], 0, 8
	s_andn2_b64 s[14:15], s[14:15], exec
	s_or_b64 s[56:57], s[56:57], s[60:61]
                                        ; implicit-def: $sgpr60_sgpr61
	s_branch .LBB749_966
.LBB749_969:
	s_or_b64 exec, exec, s[52:53]
	s_xor_b64 s[14:15], s[54:55], -1
	s_andn2_b64 s[44:45], s[44:45], exec
	s_and_b64 s[14:15], s[14:15], exec
	s_or_b64 s[44:45], s[44:45], s[14:15]
.LBB749_970:
	s_or_b64 exec, exec, s[50:51]
	s_orn2_b64 s[44:45], s[44:45], exec
.LBB749_971:
	s_or_b64 exec, exec, s[48:49]
	v_cndmask_b32_e64 v4, v48, v47, s[44:45]
	v_cndmask_b32_e64 v5, v36, v35, s[44:45]
	;; [unrolled: 1-line block ×4, first 2 shown]
	v_add_u32_e32 v38, 1, v4
	v_add_u32_e32 v4, -1, v5
	v_min_u32_e32 v4, v38, v4
	v_lshl_add_u32 v4, v4, 3, v31
	v_cndmask_b32_e64 v11, v10, v11, s[38:39]
	v_cndmask_b32_e64 v10, v17, v23, s[38:39]
	v_cndmask_b32_e64 v17, v14, v16, s[36:37]
	v_cndmask_b32_e64 v16, v15, v22, s[36:37]
	ds_read_b64 v[22:23], v4
	v_cndmask_b32_e64 v14, v2, v0, s[16:17]
	v_cndmask_b32_e64 v0, v38, v48, s[44:45]
	;; [unrolled: 1-line block ×9, first 2 shown]
	s_waitcnt lgkmcnt(0)
	v_cndmask_b32_e64 v5, v49, v23, s[44:45]
	v_cndmask_b32_e64 v4, v50, v22, s[44:45]
	v_cmp_lt_u32_e32 vcc, v0, v36
	s_and_saveexec_b64 s[16:17], vcc
	s_cbranch_execz .LBB749_979
; %bb.972:
	v_cndmask_b32_e64 v0, v47, v38, s[44:45]
	v_cndmask_b32_e64 v36, v23, v45, s[44:45]
	;; [unrolled: 1-line block ×3, first 2 shown]
	v_cmp_ge_u32_e32 vcc, v0, v35
	s_nor_b64 s[14:15], vcc, s[28:29]
	s_nop 0
	v_cndmask_b32_e32 v1, v5, v36, vcc
	v_cndmask_b32_e32 v0, v4, v37, vcc
	s_and_saveexec_b64 s[36:37], s[14:15]
	s_cbranch_execz .LBB749_978
; %bb.973:
	v_mul_lo_u32 v22, v36, s20
	v_mul_lo_u32 v23, v37, s21
	v_mad_u64_u32 v[0:1], s[14:15], v37, s20, 0
	v_add3_u32 v1, v1, v23, v22
	v_mul_lo_u32 v35, v5, s20
	v_mul_lo_u32 v38, v4, s21
	v_mad_u64_u32 v[22:23], s[14:15], v4, s20, 0
	v_add3_u32 v23, v23, v38, v35
	v_lshl_add_u64 v[0:1], v[0:1], 3, s[22:23]
	v_lshl_add_u64 v[22:23], v[22:23], 3, s[22:23]
	s_mov_b64 s[38:39], 0
	s_mov_b64 s[44:45], s[20:21]
                                        ; implicit-def: $sgpr40_sgpr41
                                        ; implicit-def: $sgpr42_sgpr43
                                        ; implicit-def: $sgpr14_sgpr15
                                        ; implicit-def: $sgpr46_sgpr47
	s_branch .LBB749_975
.LBB749_974:                            ;   in Loop: Header=BB749_975 Depth=1
	s_or_b64 exec, exec, s[50:51]
	s_and_b64 s[50:51], exec, s[42:43]
	s_or_b64 s[38:39], s[50:51], s[38:39]
	s_andn2_b64 s[46:47], s[46:47], exec
	s_and_b64 s[48:49], s[48:49], exec
	s_or_b64 s[46:47], s[46:47], s[48:49]
	s_andn2_b64 s[40:41], s[40:41], exec
	s_and_b64 s[48:49], s[14:15], exec
	s_or_b64 s[40:41], s[40:41], s[48:49]
	s_andn2_b64 exec, exec, s[38:39]
	s_cbranch_execz .LBB749_977
.LBB749_975:                            ; =>This Inner Loop Header: Depth=1
	global_load_dwordx2 v[38:39], v[0:1], off
	global_load_dwordx2 v[40:41], v[22:23], off
	s_andn2_b64 s[50:51], s[14:15], exec
	s_or_b64 s[42:43], s[42:43], exec
	s_waitcnt vmcnt(0)
	v_cmp_ngt_f64_e64 s[14:15], v[38:39], v[40:41]
	v_cmp_lt_f64_e32 vcc, v[38:39], v[40:41]
	s_and_b64 s[48:49], s[14:15], s[46:47]
	s_or_b64 s[48:49], vcc, s[48:49]
	s_xor_b64 s[52:53], vcc, s[14:15]
	s_and_b64 s[14:15], s[48:49], exec
	s_or_b64 s[14:15], s[50:51], s[14:15]
	s_and_saveexec_b64 s[50:51], s[52:53]
	s_cbranch_execz .LBB749_974
; %bb.976:                              ;   in Loop: Header=BB749_975 Depth=1
	s_add_u32 s44, s44, -1
	s_addc_u32 s45, s45, -1
	s_cmp_eq_u64 s[44:45], 0
	s_cselect_b64 s[46:47], -1, 0
	s_andn2_b64 s[42:43], s[42:43], exec
	s_and_b64 s[46:47], s[46:47], exec
	v_lshl_add_u64 v[0:1], v[0:1], 0, 8
	v_lshl_add_u64 v[22:23], v[22:23], 0, 8
	s_andn2_b64 s[14:15], s[14:15], exec
	s_or_b64 s[42:43], s[42:43], s[46:47]
                                        ; implicit-def: $sgpr46_sgpr47
	s_branch .LBB749_974
.LBB749_977:
	s_or_b64 exec, exec, s[38:39]
	v_cndmask_b32_e64 v1, v5, v36, s[40:41]
	v_cndmask_b32_e64 v0, v4, v37, s[40:41]
.LBB749_978:
	s_or_b64 exec, exec, s[36:37]
	v_mov_b64_e32 v[4:5], v[0:1]
.LBB749_979:
	s_or_b64 exec, exec, s[16:17]
.LBB749_980:
	s_or_b64 exec, exec, s[34:35]
	v_and_b32_e32 v39, 0x3c0, v33
	v_or_b32_e32 v0, 32, v39
	v_min_u32_e32 v35, v32, v0
	v_add_u32_e32 v0, 32, v35
	v_min_u32_e32 v36, v32, v0
	v_and_b32_e32 v0, 56, v33
	v_min_u32_e32 v40, v32, v0
	v_sub_u32_e32 v0, v35, v39
	v_sub_u32_e32 v1, v36, v35
	v_sub_u32_e64 v38, v40, v1 clamp
	v_min_u32_e32 v41, v40, v0
	v_lshl_add_u32 v37, v39, 3, v31
	v_cmp_lt_u32_e32 vcc, v38, v41
	; wave barrier
	ds_write_b128 v34, v[14:17]
	ds_write_b128 v34, v[10:13] offset:16
	ds_write_b128 v34, v[6:9] offset:32
	ds_write_b128 v34, v[2:5] offset:48
	; wave barrier
	s_and_saveexec_b64 s[34:35], vcc
	s_cbranch_execz .LBB749_990
; %bb.981:
	v_lshlrev_b32_e32 v0, 3, v35
	v_lshlrev_b32_e32 v1, 3, v40
	v_add3_u32 v42, v31, v0, v1
	v_cndmask_b32_e64 v0, 0, 1, s[18:19]
	s_lshl_b64 s[38:39], s[20:21], 3
	s_mov_b64 s[36:37], 0
	v_cmp_ne_u32_e64 s[14:15], 1, v0
	s_branch .LBB749_984
.LBB749_982:                            ;   in Loop: Header=BB749_984 Depth=1
	s_or_b64 exec, exec, s[42:43]
.LBB749_983:                            ;   in Loop: Header=BB749_984 Depth=1
	v_add_u32_e32 v0, 1, v43
	v_cndmask_b32_e64 v41, v41, v43, s[40:41]
	v_cndmask_b32_e64 v38, v0, v38, s[40:41]
	v_cmp_ge_u32_e32 vcc, v38, v41
	s_or_b64 s[36:37], vcc, s[36:37]
	s_andn2_b64 exec, exec, s[36:37]
	s_cbranch_execz .LBB749_989
.LBB749_984:                            ; =>This Loop Header: Depth=1
                                        ;     Child Loop BB749_987 Depth 2
	v_add_u32_e32 v0, v41, v38
	v_lshrrev_b32_e32 v43, 1, v0
	s_and_b64 vcc, exec, s[14:15]
	s_mov_b64 s[40:41], 0
	s_cbranch_vccnz .LBB749_983
; %bb.985:                              ;   in Loop: Header=BB749_984 Depth=1
	v_not_b32_e32 v0, v43
	v_lshl_add_u32 v0, v0, 3, v42
	ds_read_b64 v[0:1], v0
	v_lshl_add_u32 v44, v43, 3, v37
	ds_read_b64 v[44:45], v44
	v_mov_b64_e32 v[22:23], s[22:23]
	s_mov_b64 s[42:43], 0
	s_waitcnt lgkmcnt(1)
	v_mul_lo_u32 v46, s38, v1
	v_mul_lo_u32 v47, s39, v0
	v_mad_u64_u32 v[0:1], s[16:17], s38, v0, v[22:23]
	v_add3_u32 v1, v47, v1, v46
	s_waitcnt lgkmcnt(0)
	v_mul_lo_u32 v45, s38, v45
	v_mul_lo_u32 v46, s39, v44
	v_mad_u64_u32 v[22:23], s[16:17], s38, v44, v[22:23]
	v_add3_u32 v23, v46, v23, v45
	s_mov_b64 s[46:47], s[20:21]
                                        ; implicit-def: $sgpr40_sgpr41
                                        ; implicit-def: $sgpr44_sgpr45
                                        ; implicit-def: $sgpr16_sgpr17
                                        ; implicit-def: $sgpr48_sgpr49
	s_branch .LBB749_987
.LBB749_986:                            ;   in Loop: Header=BB749_987 Depth=2
	s_or_b64 exec, exec, s[52:53]
	s_and_b64 s[52:53], exec, s[44:45]
	s_or_b64 s[42:43], s[52:53], s[42:43]
	s_andn2_b64 s[48:49], s[48:49], exec
	s_and_b64 s[50:51], s[50:51], exec
	s_or_b64 s[48:49], s[48:49], s[50:51]
	s_andn2_b64 s[40:41], s[40:41], exec
	s_and_b64 s[50:51], s[16:17], exec
	s_or_b64 s[40:41], s[40:41], s[50:51]
	s_andn2_b64 exec, exec, s[42:43]
	s_cbranch_execz .LBB749_982
.LBB749_987:                            ;   Parent Loop BB749_984 Depth=1
                                        ; =>  This Inner Loop Header: Depth=2
	global_load_dwordx2 v[44:45], v[0:1], off
	global_load_dwordx2 v[46:47], v[22:23], off
	s_andn2_b64 s[52:53], s[16:17], exec
	s_or_b64 s[44:45], s[44:45], exec
	s_waitcnt vmcnt(0)
	v_cmp_ngt_f64_e64 s[16:17], v[44:45], v[46:47]
	v_cmp_lt_f64_e32 vcc, v[44:45], v[46:47]
	s_and_b64 s[50:51], s[16:17], s[48:49]
	s_or_b64 s[50:51], vcc, s[50:51]
	s_xor_b64 s[54:55], vcc, s[16:17]
	s_and_b64 s[16:17], s[50:51], exec
	s_or_b64 s[16:17], s[52:53], s[16:17]
	s_and_saveexec_b64 s[52:53], s[54:55]
	s_cbranch_execz .LBB749_986
; %bb.988:                              ;   in Loop: Header=BB749_987 Depth=2
	s_add_u32 s46, s46, -1
	s_addc_u32 s47, s47, -1
	s_cmp_eq_u64 s[46:47], 0
	s_cselect_b64 s[48:49], -1, 0
	s_andn2_b64 s[44:45], s[44:45], exec
	s_and_b64 s[48:49], s[48:49], exec
	v_lshl_add_u64 v[0:1], v[0:1], 0, 8
	v_lshl_add_u64 v[22:23], v[22:23], 0, 8
	s_andn2_b64 s[16:17], s[16:17], exec
	s_or_b64 s[44:45], s[44:45], s[48:49]
                                        ; implicit-def: $sgpr48_sgpr49
	s_branch .LBB749_986
.LBB749_989:
	s_or_b64 exec, exec, s[36:37]
.LBB749_990:
	s_or_b64 exec, exec, s[34:35]
	v_add_u32_e32 v0, v35, v40
	v_add_u32_e32 v23, v38, v39
	v_sub_u32_e32 v39, v0, v38
	v_cmp_le_u32_e32 vcc, v23, v35
	v_cmp_le_u32_e64 s[14:15], v39, v36
	s_or_b64 s[14:15], vcc, s[14:15]
	s_and_saveexec_b64 s[34:35], s[14:15]
	s_cbranch_execz .LBB749_1058
; %bb.991:
	v_cmp_ge_u32_e32 vcc, v23, v35
	v_cmp_lt_u32_e64 s[14:15], v23, v35
                                        ; implicit-def: $vgpr0_vgpr1
	s_and_saveexec_b64 s[16:17], s[14:15]
; %bb.992:
	v_lshl_add_u32 v0, v38, 3, v37
	ds_read_b64 v[0:1], v0
; %bb.993:
	s_or_b64 exec, exec, s[16:17]
	v_cmp_ge_u32_e64 s[14:15], v39, v36
	v_cmp_lt_u32_e64 s[16:17], v39, v36
                                        ; implicit-def: $vgpr2_vgpr3
	s_and_saveexec_b64 s[36:37], s[16:17]
; %bb.994:
	v_lshl_add_u32 v2, v39, 3, v31
	ds_read_b64 v[2:3], v2
; %bb.995:
	s_or_b64 exec, exec, s[36:37]
	s_or_b64 s[16:17], vcc, s[14:15]
	s_nor_b64 s[38:39], s[16:17], s[28:29]
	s_xor_b64 s[16:17], vcc, -1
	s_or_b64 s[16:17], s[14:15], s[16:17]
	s_and_saveexec_b64 s[36:37], s[38:39]
	s_cbranch_execz .LBB749_1001
; %bb.996:
	s_waitcnt lgkmcnt(0)
	v_mul_lo_u32 v6, v3, s20
	v_mul_lo_u32 v7, v2, s21
	v_mad_u64_u32 v[4:5], s[14:15], v2, s20, 0
	v_add3_u32 v5, v5, v7, v6
	v_mul_lo_u32 v8, v1, s20
	v_mul_lo_u32 v9, v0, s21
	v_mad_u64_u32 v[6:7], s[14:15], v0, s20, 0
	v_add3_u32 v7, v7, v9, v8
	v_lshl_add_u64 v[4:5], v[4:5], 3, s[22:23]
	v_lshl_add_u64 v[6:7], v[6:7], 3, s[22:23]
	s_mov_b64 s[38:39], 0
	s_mov_b64 s[44:45], s[20:21]
                                        ; implicit-def: $sgpr40_sgpr41
                                        ; implicit-def: $sgpr42_sgpr43
                                        ; implicit-def: $sgpr14_sgpr15
                                        ; implicit-def: $sgpr46_sgpr47
	s_branch .LBB749_998
.LBB749_997:                            ;   in Loop: Header=BB749_998 Depth=1
	s_or_b64 exec, exec, s[50:51]
	s_and_b64 s[50:51], exec, s[42:43]
	s_or_b64 s[38:39], s[50:51], s[38:39]
	s_andn2_b64 s[46:47], s[46:47], exec
	s_and_b64 s[48:49], s[48:49], exec
	s_or_b64 s[46:47], s[46:47], s[48:49]
	s_andn2_b64 s[40:41], s[40:41], exec
	s_and_b64 s[48:49], s[14:15], exec
	s_or_b64 s[40:41], s[40:41], s[48:49]
	s_andn2_b64 exec, exec, s[38:39]
	s_cbranch_execz .LBB749_1000
.LBB749_998:                            ; =>This Inner Loop Header: Depth=1
	global_load_dwordx2 v[8:9], v[4:5], off
	global_load_dwordx2 v[10:11], v[6:7], off
	s_andn2_b64 s[50:51], s[14:15], exec
	s_or_b64 s[42:43], s[42:43], exec
	s_waitcnt vmcnt(0)
	v_cmp_ngt_f64_e64 s[14:15], v[8:9], v[10:11]
	v_cmp_lt_f64_e32 vcc, v[8:9], v[10:11]
	s_and_b64 s[48:49], s[14:15], s[46:47]
	s_or_b64 s[48:49], vcc, s[48:49]
	s_xor_b64 s[52:53], vcc, s[14:15]
	s_and_b64 s[14:15], s[48:49], exec
	s_or_b64 s[14:15], s[50:51], s[14:15]
	s_and_saveexec_b64 s[50:51], s[52:53]
	s_cbranch_execz .LBB749_997
; %bb.999:                              ;   in Loop: Header=BB749_998 Depth=1
	s_add_u32 s44, s44, -1
	s_addc_u32 s45, s45, -1
	s_cmp_eq_u64 s[44:45], 0
	s_cselect_b64 s[46:47], -1, 0
	s_andn2_b64 s[42:43], s[42:43], exec
	s_and_b64 s[46:47], s[46:47], exec
	v_lshl_add_u64 v[4:5], v[4:5], 0, 8
	v_lshl_add_u64 v[6:7], v[6:7], 0, 8
	s_andn2_b64 s[14:15], s[14:15], exec
	s_or_b64 s[42:43], s[42:43], s[46:47]
                                        ; implicit-def: $sgpr46_sgpr47
	s_branch .LBB749_997
.LBB749_1000:
	s_or_b64 exec, exec, s[38:39]
	s_xor_b64 s[14:15], s[40:41], -1
	s_andn2_b64 s[16:17], s[16:17], exec
	s_and_b64 s[14:15], s[14:15], exec
	s_or_b64 s[16:17], s[16:17], s[14:15]
.LBB749_1001:
	s_or_b64 exec, exec, s[36:37]
	v_cndmask_b32_e64 v4, v39, v23, s[16:17]
	v_cndmask_b32_e64 v5, v36, v35, s[16:17]
	v_add_u32_e32 v6, 1, v4
	v_add_u32_e32 v4, -1, v5
	v_min_u32_e32 v4, v6, v4
	v_lshl_add_u32 v4, v4, 3, v31
	ds_read_b64 v[4:5], v4
	v_cndmask_b32_e64 v8, v6, v39, s[16:17]
	v_cndmask_b32_e64 v9, v23, v6, s[16:17]
	v_cmp_lt_u32_e32 vcc, v8, v36
	s_mov_b64 s[38:39], -1
	s_waitcnt lgkmcnt(0)
	v_cndmask_b32_e64 v14, v5, v3, s[16:17]
	v_cndmask_b32_e64 v15, v4, v2, s[16:17]
	;; [unrolled: 1-line block ×4, first 2 shown]
	s_mov_b64 s[36:37], -1
	s_and_saveexec_b64 s[40:41], vcc
	s_cbranch_execz .LBB749_1009
; %bb.1002:
	v_cmp_lt_u32_e64 s[36:37], v9, v35
	s_and_b64 s[14:15], s[36:37], s[30:31]
	s_and_saveexec_b64 s[42:43], s[14:15]
	s_cbranch_execz .LBB749_1008
; %bb.1003:
	v_mul_lo_u32 v6, v14, s20
	v_mul_lo_u32 v7, v15, s21
	v_mad_u64_u32 v[4:5], s[14:15], v15, s20, 0
	v_add3_u32 v5, v5, v7, v6
	v_mul_lo_u32 v10, v16, s20
	v_mul_lo_u32 v11, v22, s21
	v_mad_u64_u32 v[6:7], s[14:15], v22, s20, 0
	v_add3_u32 v7, v7, v11, v10
	v_lshl_add_u64 v[4:5], v[4:5], 3, s[22:23]
	v_lshl_add_u64 v[6:7], v[6:7], 3, s[22:23]
	s_mov_b64 s[44:45], 0
	s_mov_b64 s[50:51], s[20:21]
                                        ; implicit-def: $sgpr46_sgpr47
                                        ; implicit-def: $sgpr48_sgpr49
                                        ; implicit-def: $sgpr14_sgpr15
                                        ; implicit-def: $sgpr52_sgpr53
	s_branch .LBB749_1005
.LBB749_1004:                           ;   in Loop: Header=BB749_1005 Depth=1
	s_or_b64 exec, exec, s[56:57]
	s_and_b64 s[56:57], exec, s[48:49]
	s_or_b64 s[44:45], s[56:57], s[44:45]
	s_andn2_b64 s[52:53], s[52:53], exec
	s_and_b64 s[54:55], s[54:55], exec
	s_or_b64 s[52:53], s[52:53], s[54:55]
	s_andn2_b64 s[46:47], s[46:47], exec
	s_and_b64 s[54:55], s[14:15], exec
	s_or_b64 s[46:47], s[46:47], s[54:55]
	s_andn2_b64 exec, exec, s[44:45]
	s_cbranch_execz .LBB749_1007
.LBB749_1005:                           ; =>This Inner Loop Header: Depth=1
	global_load_dwordx2 v[10:11], v[4:5], off
	global_load_dwordx2 v[12:13], v[6:7], off
	s_andn2_b64 s[56:57], s[14:15], exec
	s_or_b64 s[48:49], s[48:49], exec
	s_waitcnt vmcnt(0)
	v_cmp_ngt_f64_e64 s[14:15], v[10:11], v[12:13]
	v_cmp_lt_f64_e32 vcc, v[10:11], v[12:13]
	s_and_b64 s[54:55], s[14:15], s[52:53]
	s_or_b64 s[54:55], vcc, s[54:55]
	s_xor_b64 s[58:59], vcc, s[14:15]
	s_and_b64 s[14:15], s[54:55], exec
	s_or_b64 s[14:15], s[56:57], s[14:15]
	s_and_saveexec_b64 s[56:57], s[58:59]
	s_cbranch_execz .LBB749_1004
; %bb.1006:                             ;   in Loop: Header=BB749_1005 Depth=1
	s_add_u32 s50, s50, -1
	s_addc_u32 s51, s51, -1
	s_cmp_eq_u64 s[50:51], 0
	s_cselect_b64 s[52:53], -1, 0
	s_andn2_b64 s[48:49], s[48:49], exec
	s_and_b64 s[52:53], s[52:53], exec
	v_lshl_add_u64 v[4:5], v[4:5], 0, 8
	v_lshl_add_u64 v[6:7], v[6:7], 0, 8
	s_andn2_b64 s[14:15], s[14:15], exec
	s_or_b64 s[48:49], s[48:49], s[52:53]
                                        ; implicit-def: $sgpr52_sgpr53
	s_branch .LBB749_1004
.LBB749_1007:
	s_or_b64 exec, exec, s[44:45]
	s_xor_b64 s[14:15], s[46:47], -1
	s_andn2_b64 s[36:37], s[36:37], exec
	s_and_b64 s[14:15], s[14:15], exec
	s_or_b64 s[36:37], s[36:37], s[14:15]
.LBB749_1008:
	s_or_b64 exec, exec, s[42:43]
	s_orn2_b64 s[36:37], s[36:37], exec
.LBB749_1009:
	s_or_b64 exec, exec, s[40:41]
	v_cndmask_b32_e64 v4, v8, v9, s[36:37]
	v_cndmask_b32_e64 v5, v36, v35, s[36:37]
	v_add_u32_e32 v6, 1, v4
	v_add_u32_e32 v4, -1, v5
	v_min_u32_e32 v4, v6, v4
	v_lshl_add_u32 v4, v4, 3, v31
	ds_read_b64 v[4:5], v4
	v_cndmask_b32_e64 v8, v6, v8, s[36:37]
	v_cndmask_b32_e64 v9, v9, v6, s[36:37]
	v_cmp_lt_u32_e32 vcc, v8, v36
	s_waitcnt lgkmcnt(0)
	v_cndmask_b32_e64 v10, v5, v14, s[36:37]
	v_cndmask_b32_e64 v17, v4, v15, s[36:37]
	;; [unrolled: 1-line block ×4, first 2 shown]
	s_and_saveexec_b64 s[40:41], vcc
	s_cbranch_execz .LBB749_1017
; %bb.1010:
	v_cmp_lt_u32_e64 s[38:39], v9, v35
	s_and_b64 s[14:15], s[38:39], s[30:31]
	s_and_saveexec_b64 s[42:43], s[14:15]
	s_cbranch_execz .LBB749_1016
; %bb.1011:
	v_mul_lo_u32 v6, v10, s20
	v_mul_lo_u32 v7, v17, s21
	v_mad_u64_u32 v[4:5], s[14:15], v17, s20, 0
	v_add3_u32 v5, v5, v7, v6
	v_mul_lo_u32 v12, v11, s20
	v_mul_lo_u32 v13, v23, s21
	v_mad_u64_u32 v[6:7], s[14:15], v23, s20, 0
	v_add3_u32 v7, v7, v13, v12
	v_lshl_add_u64 v[4:5], v[4:5], 3, s[22:23]
	v_lshl_add_u64 v[6:7], v[6:7], 3, s[22:23]
	s_mov_b64 s[44:45], 0
	s_mov_b64 s[50:51], s[20:21]
                                        ; implicit-def: $sgpr46_sgpr47
                                        ; implicit-def: $sgpr48_sgpr49
                                        ; implicit-def: $sgpr14_sgpr15
                                        ; implicit-def: $sgpr52_sgpr53
	s_branch .LBB749_1013
.LBB749_1012:                           ;   in Loop: Header=BB749_1013 Depth=1
	s_or_b64 exec, exec, s[56:57]
	s_and_b64 s[56:57], exec, s[48:49]
	s_or_b64 s[44:45], s[56:57], s[44:45]
	s_andn2_b64 s[52:53], s[52:53], exec
	s_and_b64 s[54:55], s[54:55], exec
	s_or_b64 s[52:53], s[52:53], s[54:55]
	s_andn2_b64 s[46:47], s[46:47], exec
	s_and_b64 s[54:55], s[14:15], exec
	s_or_b64 s[46:47], s[46:47], s[54:55]
	s_andn2_b64 exec, exec, s[44:45]
	s_cbranch_execz .LBB749_1015
.LBB749_1013:                           ; =>This Inner Loop Header: Depth=1
	global_load_dwordx2 v[12:13], v[4:5], off
	global_load_dwordx2 v[38:39], v[6:7], off
	s_andn2_b64 s[56:57], s[14:15], exec
	s_or_b64 s[48:49], s[48:49], exec
	s_waitcnt vmcnt(0)
	v_cmp_ngt_f64_e64 s[14:15], v[12:13], v[38:39]
	v_cmp_lt_f64_e32 vcc, v[12:13], v[38:39]
	s_and_b64 s[54:55], s[14:15], s[52:53]
	s_or_b64 s[54:55], vcc, s[54:55]
	s_xor_b64 s[58:59], vcc, s[14:15]
	s_and_b64 s[14:15], s[54:55], exec
	s_or_b64 s[14:15], s[56:57], s[14:15]
	s_and_saveexec_b64 s[56:57], s[58:59]
	s_cbranch_execz .LBB749_1012
; %bb.1014:                             ;   in Loop: Header=BB749_1013 Depth=1
	s_add_u32 s50, s50, -1
	s_addc_u32 s51, s51, -1
	s_cmp_eq_u64 s[50:51], 0
	s_cselect_b64 s[52:53], -1, 0
	s_andn2_b64 s[48:49], s[48:49], exec
	s_and_b64 s[52:53], s[52:53], exec
	v_lshl_add_u64 v[4:5], v[4:5], 0, 8
	v_lshl_add_u64 v[6:7], v[6:7], 0, 8
	s_andn2_b64 s[14:15], s[14:15], exec
	s_or_b64 s[48:49], s[48:49], s[52:53]
                                        ; implicit-def: $sgpr52_sgpr53
	s_branch .LBB749_1012
.LBB749_1015:
	s_or_b64 exec, exec, s[44:45]
	s_xor_b64 s[14:15], s[46:47], -1
	s_andn2_b64 s[38:39], s[38:39], exec
	s_and_b64 s[14:15], s[14:15], exec
	s_or_b64 s[38:39], s[38:39], s[14:15]
.LBB749_1016:
	s_or_b64 exec, exec, s[42:43]
	s_orn2_b64 s[38:39], s[38:39], exec
.LBB749_1017:
	s_or_b64 exec, exec, s[40:41]
	v_cndmask_b32_e64 v4, v8, v9, s[38:39]
	v_cndmask_b32_e64 v5, v36, v35, s[38:39]
	v_add_u32_e32 v6, 1, v4
	v_add_u32_e32 v4, -1, v5
	v_min_u32_e32 v4, v6, v4
	v_lshl_add_u32 v4, v4, 3, v31
	ds_read_b64 v[4:5], v4
	v_cndmask_b32_e64 v8, v6, v8, s[38:39]
	v_cndmask_b32_e64 v9, v9, v6, s[38:39]
	v_cmp_lt_u32_e32 vcc, v8, v36
	s_mov_b64 s[42:43], -1
	s_waitcnt lgkmcnt(0)
	v_cndmask_b32_e64 v12, v5, v10, s[38:39]
	v_cndmask_b32_e64 v37, v4, v17, s[38:39]
	;; [unrolled: 1-line block ×4, first 2 shown]
	s_mov_b64 s[40:41], -1
	s_and_saveexec_b64 s[44:45], vcc
	s_cbranch_execz .LBB749_1025
; %bb.1018:
	v_cmp_lt_u32_e64 s[40:41], v9, v35
	s_and_b64 s[14:15], s[40:41], s[30:31]
	s_and_saveexec_b64 s[46:47], s[14:15]
	s_cbranch_execz .LBB749_1024
; %bb.1019:
	v_mul_lo_u32 v6, v12, s20
	v_mul_lo_u32 v7, v37, s21
	v_mad_u64_u32 v[4:5], s[14:15], v37, s20, 0
	v_add3_u32 v5, v5, v7, v6
	v_mul_lo_u32 v39, v13, s20
	v_mul_lo_u32 v40, v38, s21
	v_mad_u64_u32 v[6:7], s[14:15], v38, s20, 0
	v_add3_u32 v7, v7, v40, v39
	v_lshl_add_u64 v[4:5], v[4:5], 3, s[22:23]
	v_lshl_add_u64 v[6:7], v[6:7], 3, s[22:23]
	s_mov_b64 s[48:49], 0
	s_mov_b64 s[54:55], s[20:21]
                                        ; implicit-def: $sgpr50_sgpr51
                                        ; implicit-def: $sgpr52_sgpr53
                                        ; implicit-def: $sgpr14_sgpr15
                                        ; implicit-def: $sgpr56_sgpr57
	s_branch .LBB749_1021
.LBB749_1020:                           ;   in Loop: Header=BB749_1021 Depth=1
	s_or_b64 exec, exec, s[60:61]
	s_and_b64 s[60:61], exec, s[52:53]
	s_or_b64 s[48:49], s[60:61], s[48:49]
	s_andn2_b64 s[56:57], s[56:57], exec
	s_and_b64 s[58:59], s[58:59], exec
	s_or_b64 s[56:57], s[56:57], s[58:59]
	s_andn2_b64 s[50:51], s[50:51], exec
	s_and_b64 s[58:59], s[14:15], exec
	s_or_b64 s[50:51], s[50:51], s[58:59]
	s_andn2_b64 exec, exec, s[48:49]
	s_cbranch_execz .LBB749_1023
.LBB749_1021:                           ; =>This Inner Loop Header: Depth=1
	global_load_dwordx2 v[40:41], v[4:5], off
	global_load_dwordx2 v[42:43], v[6:7], off
	s_andn2_b64 s[60:61], s[14:15], exec
	s_or_b64 s[52:53], s[52:53], exec
	s_waitcnt vmcnt(0)
	v_cmp_ngt_f64_e64 s[14:15], v[40:41], v[42:43]
	v_cmp_lt_f64_e32 vcc, v[40:41], v[42:43]
	s_and_b64 s[58:59], s[14:15], s[56:57]
	s_or_b64 s[58:59], vcc, s[58:59]
	s_xor_b64 s[62:63], vcc, s[14:15]
	s_and_b64 s[14:15], s[58:59], exec
	s_or_b64 s[14:15], s[60:61], s[14:15]
	s_and_saveexec_b64 s[60:61], s[62:63]
	s_cbranch_execz .LBB749_1020
; %bb.1022:                             ;   in Loop: Header=BB749_1021 Depth=1
	s_add_u32 s54, s54, -1
	s_addc_u32 s55, s55, -1
	s_cmp_eq_u64 s[54:55], 0
	s_cselect_b64 s[56:57], -1, 0
	s_andn2_b64 s[52:53], s[52:53], exec
	s_and_b64 s[56:57], s[56:57], exec
	v_lshl_add_u64 v[4:5], v[4:5], 0, 8
	v_lshl_add_u64 v[6:7], v[6:7], 0, 8
	s_andn2_b64 s[14:15], s[14:15], exec
	s_or_b64 s[52:53], s[52:53], s[56:57]
                                        ; implicit-def: $sgpr56_sgpr57
	s_branch .LBB749_1020
.LBB749_1023:
	s_or_b64 exec, exec, s[48:49]
	s_xor_b64 s[14:15], s[50:51], -1
	s_andn2_b64 s[40:41], s[40:41], exec
	s_and_b64 s[14:15], s[14:15], exec
	s_or_b64 s[40:41], s[40:41], s[14:15]
.LBB749_1024:
	s_or_b64 exec, exec, s[46:47]
	s_orn2_b64 s[40:41], s[40:41], exec
.LBB749_1025:
	s_or_b64 exec, exec, s[44:45]
	v_cndmask_b32_e64 v4, v8, v9, s[40:41]
	v_cndmask_b32_e64 v5, v36, v35, s[40:41]
	v_add_u32_e32 v6, 1, v4
	v_add_u32_e32 v4, -1, v5
	v_min_u32_e32 v4, v6, v4
	v_lshl_add_u32 v4, v4, 3, v31
	ds_read_b64 v[4:5], v4
	v_cndmask_b32_e64 v45, v6, v8, s[40:41]
	v_cndmask_b32_e64 v46, v9, v6, s[40:41]
	v_cmp_lt_u32_e32 vcc, v45, v36
	s_waitcnt lgkmcnt(0)
	v_cndmask_b32_e64 v39, v5, v12, s[40:41]
	v_cndmask_b32_e64 v40, v4, v37, s[40:41]
	;; [unrolled: 1-line block ×4, first 2 shown]
	s_and_saveexec_b64 s[44:45], vcc
	s_cbranch_execz .LBB749_1033
; %bb.1026:
	v_cmp_lt_u32_e64 s[42:43], v46, v35
	s_and_b64 s[14:15], s[42:43], s[30:31]
	s_and_saveexec_b64 s[46:47], s[14:15]
	s_cbranch_execz .LBB749_1032
; %bb.1027:
	v_mul_lo_u32 v6, v39, s20
	v_mul_lo_u32 v7, v40, s21
	v_mad_u64_u32 v[4:5], s[14:15], v40, s20, 0
	v_add3_u32 v5, v5, v7, v6
	v_mul_lo_u32 v8, v41, s20
	v_mul_lo_u32 v9, v42, s21
	v_mad_u64_u32 v[6:7], s[14:15], v42, s20, 0
	v_add3_u32 v7, v7, v9, v8
	v_lshl_add_u64 v[4:5], v[4:5], 3, s[22:23]
	v_lshl_add_u64 v[6:7], v[6:7], 3, s[22:23]
	s_mov_b64 s[48:49], 0
	s_mov_b64 s[54:55], s[20:21]
                                        ; implicit-def: $sgpr50_sgpr51
                                        ; implicit-def: $sgpr52_sgpr53
                                        ; implicit-def: $sgpr14_sgpr15
                                        ; implicit-def: $sgpr56_sgpr57
	s_branch .LBB749_1029
.LBB749_1028:                           ;   in Loop: Header=BB749_1029 Depth=1
	s_or_b64 exec, exec, s[60:61]
	s_and_b64 s[60:61], exec, s[52:53]
	s_or_b64 s[48:49], s[60:61], s[48:49]
	s_andn2_b64 s[56:57], s[56:57], exec
	s_and_b64 s[58:59], s[58:59], exec
	s_or_b64 s[56:57], s[56:57], s[58:59]
	s_andn2_b64 s[50:51], s[50:51], exec
	s_and_b64 s[58:59], s[14:15], exec
	s_or_b64 s[50:51], s[50:51], s[58:59]
	s_andn2_b64 exec, exec, s[48:49]
	s_cbranch_execz .LBB749_1031
.LBB749_1029:                           ; =>This Inner Loop Header: Depth=1
	global_load_dwordx2 v[8:9], v[4:5], off
	global_load_dwordx2 v[48:49], v[6:7], off
	s_andn2_b64 s[60:61], s[14:15], exec
	s_or_b64 s[52:53], s[52:53], exec
	s_waitcnt vmcnt(0)
	v_cmp_ngt_f64_e64 s[14:15], v[8:9], v[48:49]
	v_cmp_lt_f64_e32 vcc, v[8:9], v[48:49]
	s_and_b64 s[58:59], s[14:15], s[56:57]
	s_or_b64 s[58:59], vcc, s[58:59]
	s_xor_b64 s[62:63], vcc, s[14:15]
	s_and_b64 s[14:15], s[58:59], exec
	s_or_b64 s[14:15], s[60:61], s[14:15]
	s_and_saveexec_b64 s[60:61], s[62:63]
	s_cbranch_execz .LBB749_1028
; %bb.1030:                             ;   in Loop: Header=BB749_1029 Depth=1
	s_add_u32 s54, s54, -1
	s_addc_u32 s55, s55, -1
	s_cmp_eq_u64 s[54:55], 0
	s_cselect_b64 s[56:57], -1, 0
	s_andn2_b64 s[52:53], s[52:53], exec
	s_and_b64 s[56:57], s[56:57], exec
	v_lshl_add_u64 v[4:5], v[4:5], 0, 8
	v_lshl_add_u64 v[6:7], v[6:7], 0, 8
	s_andn2_b64 s[14:15], s[14:15], exec
	s_or_b64 s[52:53], s[52:53], s[56:57]
                                        ; implicit-def: $sgpr56_sgpr57
	s_branch .LBB749_1028
.LBB749_1031:
	s_or_b64 exec, exec, s[48:49]
	s_xor_b64 s[14:15], s[50:51], -1
	s_andn2_b64 s[42:43], s[42:43], exec
	s_and_b64 s[14:15], s[14:15], exec
	s_or_b64 s[42:43], s[42:43], s[14:15]
.LBB749_1032:
	s_or_b64 exec, exec, s[46:47]
	s_orn2_b64 s[42:43], s[42:43], exec
.LBB749_1033:
	s_or_b64 exec, exec, s[44:45]
	v_cndmask_b32_e64 v4, v45, v46, s[42:43]
	v_cndmask_b32_e64 v5, v36, v35, s[42:43]
	v_add_u32_e32 v6, 1, v4
	v_add_u32_e32 v4, -1, v5
	v_min_u32_e32 v4, v6, v4
	v_lshl_add_u32 v4, v4, 3, v31
	ds_read_b64 v[4:5], v4
	v_cndmask_b32_e64 v47, v6, v45, s[42:43]
	v_cndmask_b32_e64 v51, v46, v6, s[42:43]
	v_cmp_lt_u32_e32 vcc, v47, v36
	s_mov_b64 s[44:45], -1
	s_waitcnt lgkmcnt(0)
	v_cndmask_b32_e64 v8, v5, v39, s[42:43]
	v_cndmask_b32_e64 v43, v4, v40, s[42:43]
	;; [unrolled: 1-line block ×4, first 2 shown]
	s_mov_b64 s[46:47], -1
	s_and_saveexec_b64 s[48:49], vcc
	s_cbranch_execz .LBB749_1041
; %bb.1034:
	v_cmp_lt_u32_e64 s[46:47], v51, v35
	s_and_b64 s[14:15], s[46:47], s[30:31]
	s_and_saveexec_b64 s[50:51], s[14:15]
	s_cbranch_execz .LBB749_1040
; %bb.1035:
	v_mul_lo_u32 v6, v8, s20
	v_mul_lo_u32 v7, v43, s21
	v_mad_u64_u32 v[4:5], s[14:15], v43, s20, 0
	v_add3_u32 v5, v5, v7, v6
	v_mul_lo_u32 v45, v9, s20
	v_mul_lo_u32 v46, v44, s21
	v_mad_u64_u32 v[6:7], s[14:15], v44, s20, 0
	v_add3_u32 v7, v7, v46, v45
	v_lshl_add_u64 v[4:5], v[4:5], 3, s[22:23]
	v_lshl_add_u64 v[6:7], v[6:7], 3, s[22:23]
	s_mov_b64 s[52:53], 0
	s_mov_b64 s[58:59], s[20:21]
                                        ; implicit-def: $sgpr54_sgpr55
                                        ; implicit-def: $sgpr56_sgpr57
                                        ; implicit-def: $sgpr14_sgpr15
                                        ; implicit-def: $sgpr60_sgpr61
	s_branch .LBB749_1037
.LBB749_1036:                           ;   in Loop: Header=BB749_1037 Depth=1
	s_or_b64 exec, exec, s[64:65]
	s_and_b64 s[64:65], exec, s[56:57]
	s_or_b64 s[52:53], s[64:65], s[52:53]
	s_andn2_b64 s[60:61], s[60:61], exec
	s_and_b64 s[62:63], s[62:63], exec
	s_or_b64 s[60:61], s[60:61], s[62:63]
	s_andn2_b64 s[54:55], s[54:55], exec
	s_and_b64 s[62:63], s[14:15], exec
	s_or_b64 s[54:55], s[54:55], s[62:63]
	s_andn2_b64 exec, exec, s[52:53]
	s_cbranch_execz .LBB749_1039
.LBB749_1037:                           ; =>This Inner Loop Header: Depth=1
	global_load_dwordx2 v[48:49], v[4:5], off
	global_load_dwordx2 v[52:53], v[6:7], off
	s_andn2_b64 s[64:65], s[14:15], exec
	s_or_b64 s[56:57], s[56:57], exec
	s_waitcnt vmcnt(0)
	v_cmp_ngt_f64_e64 s[14:15], v[48:49], v[52:53]
	v_cmp_lt_f64_e32 vcc, v[48:49], v[52:53]
	s_and_b64 s[62:63], s[14:15], s[60:61]
	s_or_b64 s[62:63], vcc, s[62:63]
	s_xor_b64 s[66:67], vcc, s[14:15]
	s_and_b64 s[14:15], s[62:63], exec
	s_or_b64 s[14:15], s[64:65], s[14:15]
	s_and_saveexec_b64 s[64:65], s[66:67]
	s_cbranch_execz .LBB749_1036
; %bb.1038:                             ;   in Loop: Header=BB749_1037 Depth=1
	s_add_u32 s58, s58, -1
	s_addc_u32 s59, s59, -1
	s_cmp_eq_u64 s[58:59], 0
	s_cselect_b64 s[60:61], -1, 0
	s_andn2_b64 s[56:57], s[56:57], exec
	s_and_b64 s[60:61], s[60:61], exec
	v_lshl_add_u64 v[4:5], v[4:5], 0, 8
	v_lshl_add_u64 v[6:7], v[6:7], 0, 8
	s_andn2_b64 s[14:15], s[14:15], exec
	s_or_b64 s[56:57], s[56:57], s[60:61]
                                        ; implicit-def: $sgpr60_sgpr61
	s_branch .LBB749_1036
.LBB749_1039:
	s_or_b64 exec, exec, s[52:53]
	s_xor_b64 s[14:15], s[54:55], -1
	s_andn2_b64 s[46:47], s[46:47], exec
	s_and_b64 s[14:15], s[14:15], exec
	s_or_b64 s[46:47], s[46:47], s[14:15]
.LBB749_1040:
	s_or_b64 exec, exec, s[50:51]
	s_orn2_b64 s[46:47], s[46:47], exec
.LBB749_1041:
	s_or_b64 exec, exec, s[48:49]
	v_cndmask_b32_e64 v4, v47, v51, s[46:47]
	v_cndmask_b32_e64 v5, v36, v35, s[46:47]
	v_add_u32_e32 v6, 1, v4
	v_add_u32_e32 v4, -1, v5
	v_min_u32_e32 v4, v6, v4
	v_lshl_add_u32 v4, v4, 3, v31
	ds_read_b64 v[4:5], v4
	v_cndmask_b32_e64 v48, v6, v47, s[46:47]
	v_cndmask_b32_e64 v47, v51, v6, s[46:47]
	v_cmp_lt_u32_e32 vcc, v48, v36
	s_waitcnt lgkmcnt(0)
	v_cndmask_b32_e64 v45, v5, v8, s[46:47]
	v_cndmask_b32_e64 v46, v4, v43, s[46:47]
	v_cndmask_b32_e64 v49, v9, v5, s[46:47]
	v_cndmask_b32_e64 v50, v44, v4, s[46:47]
	s_and_saveexec_b64 s[48:49], vcc
	s_cbranch_execz .LBB749_1049
; %bb.1042:
	v_cmp_lt_u32_e64 s[44:45], v47, v35
	s_and_b64 s[14:15], s[44:45], s[30:31]
	s_and_saveexec_b64 s[50:51], s[14:15]
	s_cbranch_execz .LBB749_1048
; %bb.1043:
	v_mul_lo_u32 v6, v45, s20
	v_mul_lo_u32 v7, v46, s21
	v_mad_u64_u32 v[4:5], s[14:15], v46, s20, 0
	v_add3_u32 v5, v5, v7, v6
	v_mul_lo_u32 v51, v49, s20
	v_mul_lo_u32 v52, v50, s21
	v_mad_u64_u32 v[6:7], s[14:15], v50, s20, 0
	v_add3_u32 v7, v7, v52, v51
	v_lshl_add_u64 v[4:5], v[4:5], 3, s[22:23]
	v_lshl_add_u64 v[6:7], v[6:7], 3, s[22:23]
	s_mov_b64 s[52:53], 0
	s_mov_b64 s[58:59], s[20:21]
                                        ; implicit-def: $sgpr54_sgpr55
                                        ; implicit-def: $sgpr56_sgpr57
                                        ; implicit-def: $sgpr14_sgpr15
                                        ; implicit-def: $sgpr60_sgpr61
	s_branch .LBB749_1045
.LBB749_1044:                           ;   in Loop: Header=BB749_1045 Depth=1
	s_or_b64 exec, exec, s[64:65]
	s_and_b64 s[64:65], exec, s[56:57]
	s_or_b64 s[52:53], s[64:65], s[52:53]
	s_andn2_b64 s[60:61], s[60:61], exec
	s_and_b64 s[62:63], s[62:63], exec
	s_or_b64 s[60:61], s[60:61], s[62:63]
	s_andn2_b64 s[54:55], s[54:55], exec
	s_and_b64 s[62:63], s[14:15], exec
	s_or_b64 s[54:55], s[54:55], s[62:63]
	s_andn2_b64 exec, exec, s[52:53]
	s_cbranch_execz .LBB749_1047
.LBB749_1045:                           ; =>This Inner Loop Header: Depth=1
	global_load_dwordx2 v[52:53], v[4:5], off
	global_load_dwordx2 v[54:55], v[6:7], off
	s_andn2_b64 s[64:65], s[14:15], exec
	s_or_b64 s[56:57], s[56:57], exec
	s_waitcnt vmcnt(0)
	v_cmp_ngt_f64_e64 s[14:15], v[52:53], v[54:55]
	v_cmp_lt_f64_e32 vcc, v[52:53], v[54:55]
	s_and_b64 s[62:63], s[14:15], s[60:61]
	s_or_b64 s[62:63], vcc, s[62:63]
	s_xor_b64 s[66:67], vcc, s[14:15]
	s_and_b64 s[14:15], s[62:63], exec
	s_or_b64 s[14:15], s[64:65], s[14:15]
	s_and_saveexec_b64 s[64:65], s[66:67]
	s_cbranch_execz .LBB749_1044
; %bb.1046:                             ;   in Loop: Header=BB749_1045 Depth=1
	s_add_u32 s58, s58, -1
	s_addc_u32 s59, s59, -1
	s_cmp_eq_u64 s[58:59], 0
	s_cselect_b64 s[60:61], -1, 0
	s_andn2_b64 s[56:57], s[56:57], exec
	s_and_b64 s[60:61], s[60:61], exec
	v_lshl_add_u64 v[4:5], v[4:5], 0, 8
	v_lshl_add_u64 v[6:7], v[6:7], 0, 8
	s_andn2_b64 s[14:15], s[14:15], exec
	s_or_b64 s[56:57], s[56:57], s[60:61]
                                        ; implicit-def: $sgpr60_sgpr61
	s_branch .LBB749_1044
.LBB749_1047:
	s_or_b64 exec, exec, s[52:53]
	s_xor_b64 s[14:15], s[54:55], -1
	s_andn2_b64 s[44:45], s[44:45], exec
	s_and_b64 s[14:15], s[14:15], exec
	s_or_b64 s[44:45], s[44:45], s[14:15]
.LBB749_1048:
	s_or_b64 exec, exec, s[50:51]
	s_orn2_b64 s[44:45], s[44:45], exec
.LBB749_1049:
	s_or_b64 exec, exec, s[48:49]
	v_cndmask_b32_e64 v4, v48, v47, s[44:45]
	v_cndmask_b32_e64 v5, v36, v35, s[44:45]
	;; [unrolled: 1-line block ×4, first 2 shown]
	v_add_u32_e32 v38, 1, v4
	v_add_u32_e32 v4, -1, v5
	v_min_u32_e32 v4, v38, v4
	v_lshl_add_u32 v4, v4, 3, v31
	v_cndmask_b32_e64 v11, v10, v11, s[38:39]
	v_cndmask_b32_e64 v10, v17, v23, s[38:39]
	;; [unrolled: 1-line block ×4, first 2 shown]
	ds_read_b64 v[22:23], v4
	v_cndmask_b32_e64 v14, v2, v0, s[16:17]
	v_cndmask_b32_e64 v0, v38, v48, s[44:45]
	;; [unrolled: 1-line block ×9, first 2 shown]
	s_waitcnt lgkmcnt(0)
	v_cndmask_b32_e64 v5, v49, v23, s[44:45]
	v_cndmask_b32_e64 v4, v50, v22, s[44:45]
	v_cmp_lt_u32_e32 vcc, v0, v36
	s_and_saveexec_b64 s[16:17], vcc
	s_cbranch_execz .LBB749_1057
; %bb.1050:
	v_cndmask_b32_e64 v0, v47, v38, s[44:45]
	v_cndmask_b32_e64 v36, v23, v45, s[44:45]
	;; [unrolled: 1-line block ×3, first 2 shown]
	v_cmp_ge_u32_e32 vcc, v0, v35
	s_nor_b64 s[14:15], vcc, s[28:29]
	s_nop 0
	v_cndmask_b32_e32 v1, v5, v36, vcc
	v_cndmask_b32_e32 v0, v4, v37, vcc
	s_and_saveexec_b64 s[36:37], s[14:15]
	s_cbranch_execz .LBB749_1056
; %bb.1051:
	v_mul_lo_u32 v22, v36, s20
	v_mul_lo_u32 v23, v37, s21
	v_mad_u64_u32 v[0:1], s[14:15], v37, s20, 0
	v_add3_u32 v1, v1, v23, v22
	v_mul_lo_u32 v35, v5, s20
	v_mul_lo_u32 v38, v4, s21
	v_mad_u64_u32 v[22:23], s[14:15], v4, s20, 0
	v_add3_u32 v23, v23, v38, v35
	v_lshl_add_u64 v[0:1], v[0:1], 3, s[22:23]
	v_lshl_add_u64 v[22:23], v[22:23], 3, s[22:23]
	s_mov_b64 s[38:39], 0
	s_mov_b64 s[44:45], s[20:21]
                                        ; implicit-def: $sgpr40_sgpr41
                                        ; implicit-def: $sgpr42_sgpr43
                                        ; implicit-def: $sgpr14_sgpr15
                                        ; implicit-def: $sgpr46_sgpr47
	s_branch .LBB749_1053
.LBB749_1052:                           ;   in Loop: Header=BB749_1053 Depth=1
	s_or_b64 exec, exec, s[50:51]
	s_and_b64 s[50:51], exec, s[42:43]
	s_or_b64 s[38:39], s[50:51], s[38:39]
	s_andn2_b64 s[46:47], s[46:47], exec
	s_and_b64 s[48:49], s[48:49], exec
	s_or_b64 s[46:47], s[46:47], s[48:49]
	s_andn2_b64 s[40:41], s[40:41], exec
	s_and_b64 s[48:49], s[14:15], exec
	s_or_b64 s[40:41], s[40:41], s[48:49]
	s_andn2_b64 exec, exec, s[38:39]
	s_cbranch_execz .LBB749_1055
.LBB749_1053:                           ; =>This Inner Loop Header: Depth=1
	global_load_dwordx2 v[38:39], v[0:1], off
	global_load_dwordx2 v[40:41], v[22:23], off
	s_andn2_b64 s[50:51], s[14:15], exec
	s_or_b64 s[42:43], s[42:43], exec
	s_waitcnt vmcnt(0)
	v_cmp_ngt_f64_e64 s[14:15], v[38:39], v[40:41]
	v_cmp_lt_f64_e32 vcc, v[38:39], v[40:41]
	s_and_b64 s[48:49], s[14:15], s[46:47]
	s_or_b64 s[48:49], vcc, s[48:49]
	s_xor_b64 s[52:53], vcc, s[14:15]
	s_and_b64 s[14:15], s[48:49], exec
	s_or_b64 s[14:15], s[50:51], s[14:15]
	s_and_saveexec_b64 s[50:51], s[52:53]
	s_cbranch_execz .LBB749_1052
; %bb.1054:                             ;   in Loop: Header=BB749_1053 Depth=1
	s_add_u32 s44, s44, -1
	s_addc_u32 s45, s45, -1
	s_cmp_eq_u64 s[44:45], 0
	s_cselect_b64 s[46:47], -1, 0
	s_andn2_b64 s[42:43], s[42:43], exec
	s_and_b64 s[46:47], s[46:47], exec
	v_lshl_add_u64 v[0:1], v[0:1], 0, 8
	v_lshl_add_u64 v[22:23], v[22:23], 0, 8
	s_andn2_b64 s[14:15], s[14:15], exec
	s_or_b64 s[42:43], s[42:43], s[46:47]
                                        ; implicit-def: $sgpr46_sgpr47
	s_branch .LBB749_1052
.LBB749_1055:
	s_or_b64 exec, exec, s[38:39]
	v_cndmask_b32_e64 v1, v5, v36, s[40:41]
	v_cndmask_b32_e64 v0, v4, v37, s[40:41]
.LBB749_1056:
	s_or_b64 exec, exec, s[36:37]
	v_mov_b64_e32 v[4:5], v[0:1]
.LBB749_1057:
	s_or_b64 exec, exec, s[16:17]
.LBB749_1058:
	s_or_b64 exec, exec, s[34:35]
	v_and_b32_e32 v36, 0x380, v33
	v_or_b32_e32 v0, 64, v36
	; wave barrier
	ds_write_b128 v34, v[14:17]
	ds_write_b128 v34, v[10:13] offset:16
	ds_write_b128 v34, v[6:9] offset:32
	;; [unrolled: 1-line block ×3, first 2 shown]
	v_min_u32_e32 v34, v32, v0
	v_add_u32_e32 v0, 64, v34
	v_min_u32_e32 v35, v32, v0
	v_and_b32_e32 v0, 0x78, v33
	v_min_u32_e32 v37, v32, v0
	v_sub_u32_e32 v0, v34, v36
	v_sub_u32_e32 v1, v35, v34
	v_sub_u32_e64 v33, v37, v1 clamp
	v_min_u32_e32 v38, v37, v0
	v_lshl_add_u32 v32, v36, 3, v31
	v_cmp_lt_u32_e32 vcc, v33, v38
	; wave barrier
	s_and_saveexec_b64 s[34:35], vcc
	s_cbranch_execz .LBB749_1068
; %bb.1059:
	v_lshlrev_b32_e32 v0, 3, v34
	v_lshlrev_b32_e32 v1, 3, v37
	v_add3_u32 v39, v31, v0, v1
	v_cndmask_b32_e64 v0, 0, 1, s[18:19]
	s_lshl_b64 s[38:39], s[20:21], 3
	s_mov_b64 s[36:37], 0
	v_cmp_ne_u32_e64 s[14:15], 1, v0
	s_branch .LBB749_1062
.LBB749_1060:                           ;   in Loop: Header=BB749_1062 Depth=1
	s_or_b64 exec, exec, s[42:43]
.LBB749_1061:                           ;   in Loop: Header=BB749_1062 Depth=1
	v_add_u32_e32 v0, 1, v40
	v_cndmask_b32_e64 v38, v38, v40, s[40:41]
	v_cndmask_b32_e64 v33, v0, v33, s[40:41]
	v_cmp_ge_u32_e32 vcc, v33, v38
	s_or_b64 s[36:37], vcc, s[36:37]
	s_andn2_b64 exec, exec, s[36:37]
	s_cbranch_execz .LBB749_1067
.LBB749_1062:                           ; =>This Loop Header: Depth=1
                                        ;     Child Loop BB749_1065 Depth 2
	v_add_u32_e32 v0, v38, v33
	v_lshrrev_b32_e32 v40, 1, v0
	s_and_b64 vcc, exec, s[14:15]
	s_mov_b64 s[40:41], 0
	s_cbranch_vccnz .LBB749_1061
; %bb.1063:                             ;   in Loop: Header=BB749_1062 Depth=1
	v_not_b32_e32 v0, v40
	v_lshl_add_u32 v0, v0, 3, v39
	ds_read_b64 v[0:1], v0
	v_lshl_add_u32 v41, v40, 3, v32
	ds_read_b64 v[42:43], v41
	v_mov_b64_e32 v[22:23], s[22:23]
	s_mov_b64 s[42:43], 0
	s_waitcnt lgkmcnt(1)
	v_mul_lo_u32 v41, s38, v1
	v_mul_lo_u32 v44, s39, v0
	v_mad_u64_u32 v[0:1], s[16:17], s38, v0, v[22:23]
	v_add3_u32 v1, v44, v1, v41
	s_waitcnt lgkmcnt(0)
	v_mul_lo_u32 v41, s38, v43
	v_mul_lo_u32 v43, s39, v42
	v_mad_u64_u32 v[22:23], s[16:17], s38, v42, v[22:23]
	v_add3_u32 v23, v43, v23, v41
	s_mov_b64 s[46:47], s[20:21]
                                        ; implicit-def: $sgpr40_sgpr41
                                        ; implicit-def: $sgpr44_sgpr45
                                        ; implicit-def: $sgpr16_sgpr17
                                        ; implicit-def: $sgpr48_sgpr49
	s_branch .LBB749_1065
.LBB749_1064:                           ;   in Loop: Header=BB749_1065 Depth=2
	s_or_b64 exec, exec, s[52:53]
	s_and_b64 s[52:53], exec, s[44:45]
	s_or_b64 s[42:43], s[52:53], s[42:43]
	s_andn2_b64 s[48:49], s[48:49], exec
	s_and_b64 s[50:51], s[50:51], exec
	s_or_b64 s[48:49], s[48:49], s[50:51]
	s_andn2_b64 s[40:41], s[40:41], exec
	s_and_b64 s[50:51], s[16:17], exec
	s_or_b64 s[40:41], s[40:41], s[50:51]
	s_andn2_b64 exec, exec, s[42:43]
	s_cbranch_execz .LBB749_1060
.LBB749_1065:                           ;   Parent Loop BB749_1062 Depth=1
                                        ; =>  This Inner Loop Header: Depth=2
	global_load_dwordx2 v[42:43], v[0:1], off
	global_load_dwordx2 v[44:45], v[22:23], off
	s_andn2_b64 s[52:53], s[16:17], exec
	s_or_b64 s[44:45], s[44:45], exec
	s_waitcnt vmcnt(0)
	v_cmp_ngt_f64_e64 s[16:17], v[42:43], v[44:45]
	v_cmp_lt_f64_e32 vcc, v[42:43], v[44:45]
	s_and_b64 s[50:51], s[16:17], s[48:49]
	s_or_b64 s[50:51], vcc, s[50:51]
	s_xor_b64 s[54:55], vcc, s[16:17]
	s_and_b64 s[16:17], s[50:51], exec
	s_or_b64 s[16:17], s[52:53], s[16:17]
	s_and_saveexec_b64 s[52:53], s[54:55]
	s_cbranch_execz .LBB749_1064
; %bb.1066:                             ;   in Loop: Header=BB749_1065 Depth=2
	s_add_u32 s46, s46, -1
	s_addc_u32 s47, s47, -1
	s_cmp_eq_u64 s[46:47], 0
	s_cselect_b64 s[48:49], -1, 0
	s_andn2_b64 s[44:45], s[44:45], exec
	s_and_b64 s[48:49], s[48:49], exec
	v_lshl_add_u64 v[0:1], v[0:1], 0, 8
	v_lshl_add_u64 v[22:23], v[22:23], 0, 8
	s_andn2_b64 s[16:17], s[16:17], exec
	s_or_b64 s[44:45], s[44:45], s[48:49]
                                        ; implicit-def: $sgpr48_sgpr49
	s_branch .LBB749_1064
.LBB749_1067:
	s_or_b64 exec, exec, s[36:37]
.LBB749_1068:
	s_or_b64 exec, exec, s[34:35]
	v_add_u32_e32 v0, v34, v37
	v_add_u32_e32 v23, v33, v36
	v_sub_u32_e32 v36, v0, v33
	v_cmp_le_u32_e32 vcc, v23, v34
	v_cmp_le_u32_e64 s[14:15], v36, v35
	s_or_b64 s[14:15], vcc, s[14:15]
	s_and_saveexec_b64 s[34:35], s[14:15]
	s_cbranch_execz .LBB749_1136
; %bb.1069:
	v_cmp_ge_u32_e32 vcc, v23, v34
	v_cmp_lt_u32_e64 s[14:15], v23, v34
                                        ; implicit-def: $vgpr0_vgpr1
	s_and_saveexec_b64 s[16:17], s[14:15]
; %bb.1070:
	v_lshl_add_u32 v0, v33, 3, v32
	ds_read_b64 v[0:1], v0
; %bb.1071:
	s_or_b64 exec, exec, s[16:17]
	v_cmp_ge_u32_e64 s[14:15], v36, v35
	v_cmp_lt_u32_e64 s[16:17], v36, v35
                                        ; implicit-def: $vgpr2_vgpr3
	s_and_saveexec_b64 s[36:37], s[16:17]
; %bb.1072:
	v_lshl_add_u32 v2, v36, 3, v31
	ds_read_b64 v[2:3], v2
; %bb.1073:
	s_or_b64 exec, exec, s[36:37]
	s_or_b64 s[16:17], vcc, s[14:15]
	s_nor_b64 s[38:39], s[16:17], s[28:29]
	s_xor_b64 s[16:17], vcc, -1
	s_or_b64 s[16:17], s[14:15], s[16:17]
	s_and_saveexec_b64 s[36:37], s[38:39]
	s_cbranch_execz .LBB749_1079
; %bb.1074:
	s_waitcnt lgkmcnt(0)
	v_mul_lo_u32 v6, v3, s20
	v_mul_lo_u32 v7, v2, s21
	v_mad_u64_u32 v[4:5], s[14:15], v2, s20, 0
	v_add3_u32 v5, v5, v7, v6
	v_mul_lo_u32 v8, v1, s20
	v_mul_lo_u32 v9, v0, s21
	v_mad_u64_u32 v[6:7], s[14:15], v0, s20, 0
	v_add3_u32 v7, v7, v9, v8
	v_lshl_add_u64 v[4:5], v[4:5], 3, s[22:23]
	v_lshl_add_u64 v[6:7], v[6:7], 3, s[22:23]
	s_mov_b64 s[38:39], 0
	s_mov_b64 s[44:45], s[20:21]
                                        ; implicit-def: $sgpr40_sgpr41
                                        ; implicit-def: $sgpr42_sgpr43
                                        ; implicit-def: $sgpr14_sgpr15
                                        ; implicit-def: $sgpr46_sgpr47
	s_branch .LBB749_1076
.LBB749_1075:                           ;   in Loop: Header=BB749_1076 Depth=1
	s_or_b64 exec, exec, s[50:51]
	s_and_b64 s[50:51], exec, s[42:43]
	s_or_b64 s[38:39], s[50:51], s[38:39]
	s_andn2_b64 s[46:47], s[46:47], exec
	s_and_b64 s[48:49], s[48:49], exec
	s_or_b64 s[46:47], s[46:47], s[48:49]
	s_andn2_b64 s[40:41], s[40:41], exec
	s_and_b64 s[48:49], s[14:15], exec
	s_or_b64 s[40:41], s[40:41], s[48:49]
	s_andn2_b64 exec, exec, s[38:39]
	s_cbranch_execz .LBB749_1078
.LBB749_1076:                           ; =>This Inner Loop Header: Depth=1
	global_load_dwordx2 v[8:9], v[4:5], off
	global_load_dwordx2 v[10:11], v[6:7], off
	s_andn2_b64 s[50:51], s[14:15], exec
	s_or_b64 s[42:43], s[42:43], exec
	s_waitcnt vmcnt(0)
	v_cmp_ngt_f64_e64 s[14:15], v[8:9], v[10:11]
	v_cmp_lt_f64_e32 vcc, v[8:9], v[10:11]
	s_and_b64 s[48:49], s[14:15], s[46:47]
	s_or_b64 s[48:49], vcc, s[48:49]
	s_xor_b64 s[52:53], vcc, s[14:15]
	s_and_b64 s[14:15], s[48:49], exec
	s_or_b64 s[14:15], s[50:51], s[14:15]
	s_and_saveexec_b64 s[50:51], s[52:53]
	s_cbranch_execz .LBB749_1075
; %bb.1077:                             ;   in Loop: Header=BB749_1076 Depth=1
	s_add_u32 s44, s44, -1
	s_addc_u32 s45, s45, -1
	s_cmp_eq_u64 s[44:45], 0
	s_cselect_b64 s[46:47], -1, 0
	s_andn2_b64 s[42:43], s[42:43], exec
	s_and_b64 s[46:47], s[46:47], exec
	v_lshl_add_u64 v[4:5], v[4:5], 0, 8
	v_lshl_add_u64 v[6:7], v[6:7], 0, 8
	s_andn2_b64 s[14:15], s[14:15], exec
	s_or_b64 s[42:43], s[42:43], s[46:47]
                                        ; implicit-def: $sgpr46_sgpr47
	s_branch .LBB749_1075
.LBB749_1078:
	s_or_b64 exec, exec, s[38:39]
	s_xor_b64 s[14:15], s[40:41], -1
	s_andn2_b64 s[16:17], s[16:17], exec
	s_and_b64 s[14:15], s[14:15], exec
	s_or_b64 s[16:17], s[16:17], s[14:15]
.LBB749_1079:
	s_or_b64 exec, exec, s[36:37]
	v_cndmask_b32_e64 v4, v36, v23, s[16:17]
	v_cndmask_b32_e64 v5, v35, v34, s[16:17]
	v_add_u32_e32 v6, 1, v4
	v_add_u32_e32 v4, -1, v5
	v_min_u32_e32 v4, v6, v4
	v_lshl_add_u32 v4, v4, 3, v31
	ds_read_b64 v[4:5], v4
	v_cndmask_b32_e64 v8, v6, v36, s[16:17]
	v_cndmask_b32_e64 v9, v23, v6, s[16:17]
	v_cmp_lt_u32_e32 vcc, v8, v35
	s_mov_b64 s[38:39], -1
	s_waitcnt lgkmcnt(0)
	v_cndmask_b32_e64 v14, v5, v3, s[16:17]
	v_cndmask_b32_e64 v15, v4, v2, s[16:17]
	;; [unrolled: 1-line block ×4, first 2 shown]
	s_mov_b64 s[36:37], -1
	s_and_saveexec_b64 s[40:41], vcc
	s_cbranch_execz .LBB749_1087
; %bb.1080:
	v_cmp_lt_u32_e64 s[36:37], v9, v34
	s_and_b64 s[14:15], s[36:37], s[30:31]
	s_and_saveexec_b64 s[42:43], s[14:15]
	s_cbranch_execz .LBB749_1086
; %bb.1081:
	v_mul_lo_u32 v6, v14, s20
	v_mul_lo_u32 v7, v15, s21
	v_mad_u64_u32 v[4:5], s[14:15], v15, s20, 0
	v_add3_u32 v5, v5, v7, v6
	v_mul_lo_u32 v10, v16, s20
	v_mul_lo_u32 v11, v22, s21
	v_mad_u64_u32 v[6:7], s[14:15], v22, s20, 0
	v_add3_u32 v7, v7, v11, v10
	v_lshl_add_u64 v[4:5], v[4:5], 3, s[22:23]
	v_lshl_add_u64 v[6:7], v[6:7], 3, s[22:23]
	s_mov_b64 s[44:45], 0
	s_mov_b64 s[50:51], s[20:21]
                                        ; implicit-def: $sgpr46_sgpr47
                                        ; implicit-def: $sgpr48_sgpr49
                                        ; implicit-def: $sgpr14_sgpr15
                                        ; implicit-def: $sgpr52_sgpr53
	s_branch .LBB749_1083
.LBB749_1082:                           ;   in Loop: Header=BB749_1083 Depth=1
	s_or_b64 exec, exec, s[56:57]
	s_and_b64 s[56:57], exec, s[48:49]
	s_or_b64 s[44:45], s[56:57], s[44:45]
	s_andn2_b64 s[52:53], s[52:53], exec
	s_and_b64 s[54:55], s[54:55], exec
	s_or_b64 s[52:53], s[52:53], s[54:55]
	s_andn2_b64 s[46:47], s[46:47], exec
	s_and_b64 s[54:55], s[14:15], exec
	s_or_b64 s[46:47], s[46:47], s[54:55]
	s_andn2_b64 exec, exec, s[44:45]
	s_cbranch_execz .LBB749_1085
.LBB749_1083:                           ; =>This Inner Loop Header: Depth=1
	global_load_dwordx2 v[10:11], v[4:5], off
	global_load_dwordx2 v[12:13], v[6:7], off
	s_andn2_b64 s[56:57], s[14:15], exec
	s_or_b64 s[48:49], s[48:49], exec
	s_waitcnt vmcnt(0)
	v_cmp_ngt_f64_e64 s[14:15], v[10:11], v[12:13]
	v_cmp_lt_f64_e32 vcc, v[10:11], v[12:13]
	s_and_b64 s[54:55], s[14:15], s[52:53]
	s_or_b64 s[54:55], vcc, s[54:55]
	s_xor_b64 s[58:59], vcc, s[14:15]
	s_and_b64 s[14:15], s[54:55], exec
	s_or_b64 s[14:15], s[56:57], s[14:15]
	s_and_saveexec_b64 s[56:57], s[58:59]
	s_cbranch_execz .LBB749_1082
; %bb.1084:                             ;   in Loop: Header=BB749_1083 Depth=1
	s_add_u32 s50, s50, -1
	s_addc_u32 s51, s51, -1
	s_cmp_eq_u64 s[50:51], 0
	s_cselect_b64 s[52:53], -1, 0
	s_andn2_b64 s[48:49], s[48:49], exec
	s_and_b64 s[52:53], s[52:53], exec
	v_lshl_add_u64 v[4:5], v[4:5], 0, 8
	v_lshl_add_u64 v[6:7], v[6:7], 0, 8
	s_andn2_b64 s[14:15], s[14:15], exec
	s_or_b64 s[48:49], s[48:49], s[52:53]
                                        ; implicit-def: $sgpr52_sgpr53
	s_branch .LBB749_1082
.LBB749_1085:
	s_or_b64 exec, exec, s[44:45]
	s_xor_b64 s[14:15], s[46:47], -1
	s_andn2_b64 s[36:37], s[36:37], exec
	s_and_b64 s[14:15], s[14:15], exec
	s_or_b64 s[36:37], s[36:37], s[14:15]
.LBB749_1086:
	s_or_b64 exec, exec, s[42:43]
	s_orn2_b64 s[36:37], s[36:37], exec
.LBB749_1087:
	s_or_b64 exec, exec, s[40:41]
	v_cndmask_b32_e64 v4, v8, v9, s[36:37]
	v_cndmask_b32_e64 v5, v35, v34, s[36:37]
	v_add_u32_e32 v6, 1, v4
	v_add_u32_e32 v4, -1, v5
	v_min_u32_e32 v4, v6, v4
	v_lshl_add_u32 v4, v4, 3, v31
	ds_read_b64 v[4:5], v4
	v_cndmask_b32_e64 v8, v6, v8, s[36:37]
	v_cndmask_b32_e64 v9, v9, v6, s[36:37]
	v_cmp_lt_u32_e32 vcc, v8, v35
	s_waitcnt lgkmcnt(0)
	v_cndmask_b32_e64 v10, v5, v14, s[36:37]
	v_cndmask_b32_e64 v17, v4, v15, s[36:37]
	;; [unrolled: 1-line block ×4, first 2 shown]
	s_and_saveexec_b64 s[40:41], vcc
	s_cbranch_execz .LBB749_1095
; %bb.1088:
	v_cmp_lt_u32_e64 s[38:39], v9, v34
	s_and_b64 s[14:15], s[38:39], s[30:31]
	s_and_saveexec_b64 s[42:43], s[14:15]
	s_cbranch_execz .LBB749_1094
; %bb.1089:
	v_mul_lo_u32 v6, v10, s20
	v_mul_lo_u32 v7, v17, s21
	v_mad_u64_u32 v[4:5], s[14:15], v17, s20, 0
	v_add3_u32 v5, v5, v7, v6
	v_mul_lo_u32 v12, v11, s20
	v_mul_lo_u32 v13, v23, s21
	v_mad_u64_u32 v[6:7], s[14:15], v23, s20, 0
	v_add3_u32 v7, v7, v13, v12
	v_lshl_add_u64 v[4:5], v[4:5], 3, s[22:23]
	v_lshl_add_u64 v[6:7], v[6:7], 3, s[22:23]
	s_mov_b64 s[44:45], 0
	s_mov_b64 s[50:51], s[20:21]
                                        ; implicit-def: $sgpr46_sgpr47
                                        ; implicit-def: $sgpr48_sgpr49
                                        ; implicit-def: $sgpr14_sgpr15
                                        ; implicit-def: $sgpr52_sgpr53
	s_branch .LBB749_1091
.LBB749_1090:                           ;   in Loop: Header=BB749_1091 Depth=1
	s_or_b64 exec, exec, s[56:57]
	s_and_b64 s[56:57], exec, s[48:49]
	s_or_b64 s[44:45], s[56:57], s[44:45]
	s_andn2_b64 s[52:53], s[52:53], exec
	s_and_b64 s[54:55], s[54:55], exec
	s_or_b64 s[52:53], s[52:53], s[54:55]
	s_andn2_b64 s[46:47], s[46:47], exec
	s_and_b64 s[54:55], s[14:15], exec
	s_or_b64 s[46:47], s[46:47], s[54:55]
	s_andn2_b64 exec, exec, s[44:45]
	s_cbranch_execz .LBB749_1093
.LBB749_1091:                           ; =>This Inner Loop Header: Depth=1
	global_load_dwordx2 v[12:13], v[4:5], off
	global_load_dwordx2 v[32:33], v[6:7], off
	s_andn2_b64 s[56:57], s[14:15], exec
	s_or_b64 s[48:49], s[48:49], exec
	s_waitcnt vmcnt(0)
	v_cmp_ngt_f64_e64 s[14:15], v[12:13], v[32:33]
	v_cmp_lt_f64_e32 vcc, v[12:13], v[32:33]
	s_and_b64 s[54:55], s[14:15], s[52:53]
	s_or_b64 s[54:55], vcc, s[54:55]
	s_xor_b64 s[58:59], vcc, s[14:15]
	s_and_b64 s[14:15], s[54:55], exec
	s_or_b64 s[14:15], s[56:57], s[14:15]
	s_and_saveexec_b64 s[56:57], s[58:59]
	s_cbranch_execz .LBB749_1090
; %bb.1092:                             ;   in Loop: Header=BB749_1091 Depth=1
	s_add_u32 s50, s50, -1
	s_addc_u32 s51, s51, -1
	s_cmp_eq_u64 s[50:51], 0
	s_cselect_b64 s[52:53], -1, 0
	s_andn2_b64 s[48:49], s[48:49], exec
	s_and_b64 s[52:53], s[52:53], exec
	v_lshl_add_u64 v[4:5], v[4:5], 0, 8
	v_lshl_add_u64 v[6:7], v[6:7], 0, 8
	s_andn2_b64 s[14:15], s[14:15], exec
	s_or_b64 s[48:49], s[48:49], s[52:53]
                                        ; implicit-def: $sgpr52_sgpr53
	s_branch .LBB749_1090
.LBB749_1093:
	s_or_b64 exec, exec, s[44:45]
	s_xor_b64 s[14:15], s[46:47], -1
	s_andn2_b64 s[38:39], s[38:39], exec
	s_and_b64 s[14:15], s[14:15], exec
	s_or_b64 s[38:39], s[38:39], s[14:15]
.LBB749_1094:
	s_or_b64 exec, exec, s[42:43]
	s_orn2_b64 s[38:39], s[38:39], exec
.LBB749_1095:
	s_or_b64 exec, exec, s[40:41]
	v_cndmask_b32_e64 v4, v8, v9, s[38:39]
	v_cndmask_b32_e64 v5, v35, v34, s[38:39]
	v_add_u32_e32 v6, 1, v4
	v_add_u32_e32 v4, -1, v5
	v_min_u32_e32 v4, v6, v4
	v_lshl_add_u32 v4, v4, 3, v31
	ds_read_b64 v[4:5], v4
	v_cndmask_b32_e64 v8, v6, v8, s[38:39]
	v_cndmask_b32_e64 v9, v9, v6, s[38:39]
	v_cmp_lt_u32_e32 vcc, v8, v35
	s_mov_b64 s[42:43], -1
	s_waitcnt lgkmcnt(0)
	v_cndmask_b32_e64 v12, v5, v10, s[38:39]
	v_cndmask_b32_e64 v32, v4, v17, s[38:39]
	;; [unrolled: 1-line block ×4, first 2 shown]
	s_mov_b64 s[40:41], -1
	s_and_saveexec_b64 s[44:45], vcc
	s_cbranch_execz .LBB749_1103
; %bb.1096:
	v_cmp_lt_u32_e64 s[40:41], v9, v34
	s_and_b64 s[14:15], s[40:41], s[30:31]
	s_and_saveexec_b64 s[46:47], s[14:15]
	s_cbranch_execz .LBB749_1102
; %bb.1097:
	v_mul_lo_u32 v6, v12, s20
	v_mul_lo_u32 v7, v32, s21
	v_mad_u64_u32 v[4:5], s[14:15], v32, s20, 0
	v_add3_u32 v5, v5, v7, v6
	v_mul_lo_u32 v36, v13, s20
	v_mul_lo_u32 v37, v33, s21
	v_mad_u64_u32 v[6:7], s[14:15], v33, s20, 0
	v_add3_u32 v7, v7, v37, v36
	v_lshl_add_u64 v[4:5], v[4:5], 3, s[22:23]
	v_lshl_add_u64 v[6:7], v[6:7], 3, s[22:23]
	s_mov_b64 s[48:49], 0
	s_mov_b64 s[54:55], s[20:21]
                                        ; implicit-def: $sgpr50_sgpr51
                                        ; implicit-def: $sgpr52_sgpr53
                                        ; implicit-def: $sgpr14_sgpr15
                                        ; implicit-def: $sgpr56_sgpr57
	s_branch .LBB749_1099
.LBB749_1098:                           ;   in Loop: Header=BB749_1099 Depth=1
	s_or_b64 exec, exec, s[60:61]
	s_and_b64 s[60:61], exec, s[52:53]
	s_or_b64 s[48:49], s[60:61], s[48:49]
	s_andn2_b64 s[56:57], s[56:57], exec
	s_and_b64 s[58:59], s[58:59], exec
	s_or_b64 s[56:57], s[56:57], s[58:59]
	s_andn2_b64 s[50:51], s[50:51], exec
	s_and_b64 s[58:59], s[14:15], exec
	s_or_b64 s[50:51], s[50:51], s[58:59]
	s_andn2_b64 exec, exec, s[48:49]
	s_cbranch_execz .LBB749_1101
.LBB749_1099:                           ; =>This Inner Loop Header: Depth=1
	global_load_dwordx2 v[36:37], v[4:5], off
	global_load_dwordx2 v[38:39], v[6:7], off
	s_andn2_b64 s[60:61], s[14:15], exec
	s_or_b64 s[52:53], s[52:53], exec
	s_waitcnt vmcnt(0)
	v_cmp_ngt_f64_e64 s[14:15], v[36:37], v[38:39]
	v_cmp_lt_f64_e32 vcc, v[36:37], v[38:39]
	s_and_b64 s[58:59], s[14:15], s[56:57]
	s_or_b64 s[58:59], vcc, s[58:59]
	s_xor_b64 s[62:63], vcc, s[14:15]
	s_and_b64 s[14:15], s[58:59], exec
	s_or_b64 s[14:15], s[60:61], s[14:15]
	s_and_saveexec_b64 s[60:61], s[62:63]
	s_cbranch_execz .LBB749_1098
; %bb.1100:                             ;   in Loop: Header=BB749_1099 Depth=1
	s_add_u32 s54, s54, -1
	s_addc_u32 s55, s55, -1
	s_cmp_eq_u64 s[54:55], 0
	s_cselect_b64 s[56:57], -1, 0
	s_andn2_b64 s[52:53], s[52:53], exec
	s_and_b64 s[56:57], s[56:57], exec
	v_lshl_add_u64 v[4:5], v[4:5], 0, 8
	v_lshl_add_u64 v[6:7], v[6:7], 0, 8
	s_andn2_b64 s[14:15], s[14:15], exec
	s_or_b64 s[52:53], s[52:53], s[56:57]
                                        ; implicit-def: $sgpr56_sgpr57
	s_branch .LBB749_1098
.LBB749_1101:
	s_or_b64 exec, exec, s[48:49]
	s_xor_b64 s[14:15], s[50:51], -1
	s_andn2_b64 s[40:41], s[40:41], exec
	s_and_b64 s[14:15], s[14:15], exec
	s_or_b64 s[40:41], s[40:41], s[14:15]
.LBB749_1102:
	s_or_b64 exec, exec, s[46:47]
	s_orn2_b64 s[40:41], s[40:41], exec
.LBB749_1103:
	s_or_b64 exec, exec, s[44:45]
	v_cndmask_b32_e64 v4, v8, v9, s[40:41]
	v_cndmask_b32_e64 v5, v35, v34, s[40:41]
	v_add_u32_e32 v6, 1, v4
	v_add_u32_e32 v4, -1, v5
	v_min_u32_e32 v4, v6, v4
	v_lshl_add_u32 v4, v4, 3, v31
	ds_read_b64 v[4:5], v4
	v_cndmask_b32_e64 v42, v6, v8, s[40:41]
	v_cndmask_b32_e64 v43, v9, v6, s[40:41]
	v_cmp_lt_u32_e32 vcc, v42, v35
	s_waitcnt lgkmcnt(0)
	v_cndmask_b32_e64 v36, v5, v12, s[40:41]
	v_cndmask_b32_e64 v37, v4, v32, s[40:41]
	;; [unrolled: 1-line block ×4, first 2 shown]
	s_and_saveexec_b64 s[44:45], vcc
	s_cbranch_execz .LBB749_1111
; %bb.1104:
	v_cmp_lt_u32_e64 s[42:43], v43, v34
	s_and_b64 s[14:15], s[42:43], s[30:31]
	s_and_saveexec_b64 s[46:47], s[14:15]
	s_cbranch_execz .LBB749_1110
; %bb.1105:
	v_mul_lo_u32 v6, v36, s20
	v_mul_lo_u32 v7, v37, s21
	v_mad_u64_u32 v[4:5], s[14:15], v37, s20, 0
	v_add3_u32 v5, v5, v7, v6
	v_mul_lo_u32 v8, v38, s20
	v_mul_lo_u32 v9, v39, s21
	v_mad_u64_u32 v[6:7], s[14:15], v39, s20, 0
	v_add3_u32 v7, v7, v9, v8
	v_lshl_add_u64 v[4:5], v[4:5], 3, s[22:23]
	v_lshl_add_u64 v[6:7], v[6:7], 3, s[22:23]
	s_mov_b64 s[48:49], 0
	s_mov_b64 s[54:55], s[20:21]
                                        ; implicit-def: $sgpr50_sgpr51
                                        ; implicit-def: $sgpr52_sgpr53
                                        ; implicit-def: $sgpr14_sgpr15
                                        ; implicit-def: $sgpr56_sgpr57
	s_branch .LBB749_1107
.LBB749_1106:                           ;   in Loop: Header=BB749_1107 Depth=1
	s_or_b64 exec, exec, s[60:61]
	s_and_b64 s[60:61], exec, s[52:53]
	s_or_b64 s[48:49], s[60:61], s[48:49]
	s_andn2_b64 s[56:57], s[56:57], exec
	s_and_b64 s[58:59], s[58:59], exec
	s_or_b64 s[56:57], s[56:57], s[58:59]
	s_andn2_b64 s[50:51], s[50:51], exec
	s_and_b64 s[58:59], s[14:15], exec
	s_or_b64 s[50:51], s[50:51], s[58:59]
	s_andn2_b64 exec, exec, s[48:49]
	s_cbranch_execz .LBB749_1109
.LBB749_1107:                           ; =>This Inner Loop Header: Depth=1
	global_load_dwordx2 v[8:9], v[4:5], off
	global_load_dwordx2 v[40:41], v[6:7], off
	s_andn2_b64 s[60:61], s[14:15], exec
	s_or_b64 s[52:53], s[52:53], exec
	s_waitcnt vmcnt(0)
	v_cmp_ngt_f64_e64 s[14:15], v[8:9], v[40:41]
	v_cmp_lt_f64_e32 vcc, v[8:9], v[40:41]
	s_and_b64 s[58:59], s[14:15], s[56:57]
	s_or_b64 s[58:59], vcc, s[58:59]
	s_xor_b64 s[62:63], vcc, s[14:15]
	s_and_b64 s[14:15], s[58:59], exec
	s_or_b64 s[14:15], s[60:61], s[14:15]
	s_and_saveexec_b64 s[60:61], s[62:63]
	s_cbranch_execz .LBB749_1106
; %bb.1108:                             ;   in Loop: Header=BB749_1107 Depth=1
	s_add_u32 s54, s54, -1
	s_addc_u32 s55, s55, -1
	s_cmp_eq_u64 s[54:55], 0
	s_cselect_b64 s[56:57], -1, 0
	s_andn2_b64 s[52:53], s[52:53], exec
	s_and_b64 s[56:57], s[56:57], exec
	v_lshl_add_u64 v[4:5], v[4:5], 0, 8
	v_lshl_add_u64 v[6:7], v[6:7], 0, 8
	s_andn2_b64 s[14:15], s[14:15], exec
	s_or_b64 s[52:53], s[52:53], s[56:57]
                                        ; implicit-def: $sgpr56_sgpr57
	s_branch .LBB749_1106
.LBB749_1109:
	s_or_b64 exec, exec, s[48:49]
	s_xor_b64 s[14:15], s[50:51], -1
	s_andn2_b64 s[42:43], s[42:43], exec
	s_and_b64 s[14:15], s[14:15], exec
	s_or_b64 s[42:43], s[42:43], s[14:15]
.LBB749_1110:
	s_or_b64 exec, exec, s[46:47]
	s_orn2_b64 s[42:43], s[42:43], exec
.LBB749_1111:
	s_or_b64 exec, exec, s[44:45]
	v_cndmask_b32_e64 v4, v42, v43, s[42:43]
	v_cndmask_b32_e64 v5, v35, v34, s[42:43]
	v_add_u32_e32 v6, 1, v4
	v_add_u32_e32 v4, -1, v5
	v_min_u32_e32 v4, v6, v4
	v_lshl_add_u32 v4, v4, 3, v31
	ds_read_b64 v[4:5], v4
	v_cndmask_b32_e64 v44, v6, v42, s[42:43]
	v_cndmask_b32_e64 v48, v43, v6, s[42:43]
	v_cmp_lt_u32_e32 vcc, v44, v35
	s_mov_b64 s[44:45], -1
	s_waitcnt lgkmcnt(0)
	v_cndmask_b32_e64 v8, v5, v36, s[42:43]
	v_cndmask_b32_e64 v40, v4, v37, s[42:43]
	;; [unrolled: 1-line block ×4, first 2 shown]
	s_mov_b64 s[46:47], -1
	s_and_saveexec_b64 s[48:49], vcc
	s_cbranch_execz .LBB749_1119
; %bb.1112:
	v_cmp_lt_u32_e64 s[46:47], v48, v34
	s_and_b64 s[14:15], s[46:47], s[30:31]
	s_and_saveexec_b64 s[50:51], s[14:15]
	s_cbranch_execz .LBB749_1118
; %bb.1113:
	v_mul_lo_u32 v6, v8, s20
	v_mul_lo_u32 v7, v40, s21
	v_mad_u64_u32 v[4:5], s[14:15], v40, s20, 0
	v_add3_u32 v5, v5, v7, v6
	v_mul_lo_u32 v42, v9, s20
	v_mul_lo_u32 v43, v41, s21
	v_mad_u64_u32 v[6:7], s[14:15], v41, s20, 0
	v_add3_u32 v7, v7, v43, v42
	v_lshl_add_u64 v[4:5], v[4:5], 3, s[22:23]
	v_lshl_add_u64 v[6:7], v[6:7], 3, s[22:23]
	s_mov_b64 s[52:53], 0
	s_mov_b64 s[58:59], s[20:21]
                                        ; implicit-def: $sgpr54_sgpr55
                                        ; implicit-def: $sgpr56_sgpr57
                                        ; implicit-def: $sgpr14_sgpr15
                                        ; implicit-def: $sgpr60_sgpr61
	s_branch .LBB749_1115
.LBB749_1114:                           ;   in Loop: Header=BB749_1115 Depth=1
	s_or_b64 exec, exec, s[64:65]
	s_and_b64 s[64:65], exec, s[56:57]
	s_or_b64 s[52:53], s[64:65], s[52:53]
	s_andn2_b64 s[60:61], s[60:61], exec
	s_and_b64 s[62:63], s[62:63], exec
	s_or_b64 s[60:61], s[60:61], s[62:63]
	s_andn2_b64 s[54:55], s[54:55], exec
	s_and_b64 s[62:63], s[14:15], exec
	s_or_b64 s[54:55], s[54:55], s[62:63]
	s_andn2_b64 exec, exec, s[52:53]
	s_cbranch_execz .LBB749_1117
.LBB749_1115:                           ; =>This Inner Loop Header: Depth=1
	global_load_dwordx2 v[42:43], v[4:5], off
	global_load_dwordx2 v[46:47], v[6:7], off
	s_andn2_b64 s[64:65], s[14:15], exec
	s_or_b64 s[56:57], s[56:57], exec
	s_waitcnt vmcnt(0)
	v_cmp_ngt_f64_e64 s[14:15], v[42:43], v[46:47]
	v_cmp_lt_f64_e32 vcc, v[42:43], v[46:47]
	s_and_b64 s[62:63], s[14:15], s[60:61]
	s_or_b64 s[62:63], vcc, s[62:63]
	s_xor_b64 s[66:67], vcc, s[14:15]
	s_and_b64 s[14:15], s[62:63], exec
	s_or_b64 s[14:15], s[64:65], s[14:15]
	s_and_saveexec_b64 s[64:65], s[66:67]
	s_cbranch_execz .LBB749_1114
; %bb.1116:                             ;   in Loop: Header=BB749_1115 Depth=1
	s_add_u32 s58, s58, -1
	s_addc_u32 s59, s59, -1
	s_cmp_eq_u64 s[58:59], 0
	s_cselect_b64 s[60:61], -1, 0
	s_andn2_b64 s[56:57], s[56:57], exec
	s_and_b64 s[60:61], s[60:61], exec
	v_lshl_add_u64 v[4:5], v[4:5], 0, 8
	v_lshl_add_u64 v[6:7], v[6:7], 0, 8
	s_andn2_b64 s[14:15], s[14:15], exec
	s_or_b64 s[56:57], s[56:57], s[60:61]
                                        ; implicit-def: $sgpr60_sgpr61
	s_branch .LBB749_1114
.LBB749_1117:
	s_or_b64 exec, exec, s[52:53]
	s_xor_b64 s[14:15], s[54:55], -1
	s_andn2_b64 s[46:47], s[46:47], exec
	s_and_b64 s[14:15], s[14:15], exec
	s_or_b64 s[46:47], s[46:47], s[14:15]
.LBB749_1118:
	s_or_b64 exec, exec, s[50:51]
	s_orn2_b64 s[46:47], s[46:47], exec
.LBB749_1119:
	s_or_b64 exec, exec, s[48:49]
	v_cndmask_b32_e64 v4, v44, v48, s[46:47]
	v_cndmask_b32_e64 v5, v35, v34, s[46:47]
	v_add_u32_e32 v6, 1, v4
	v_add_u32_e32 v4, -1, v5
	v_min_u32_e32 v4, v6, v4
	v_lshl_add_u32 v4, v4, 3, v31
	ds_read_b64 v[4:5], v4
	v_cndmask_b32_e64 v45, v6, v44, s[46:47]
	v_cndmask_b32_e64 v44, v48, v6, s[46:47]
	v_cmp_lt_u32_e32 vcc, v45, v35
	s_waitcnt lgkmcnt(0)
	v_cndmask_b32_e64 v42, v5, v8, s[46:47]
	v_cndmask_b32_e64 v43, v4, v40, s[46:47]
	;; [unrolled: 1-line block ×4, first 2 shown]
	s_and_saveexec_b64 s[48:49], vcc
	s_cbranch_execz .LBB749_1127
; %bb.1120:
	v_cmp_lt_u32_e64 s[44:45], v44, v34
	s_and_b64 s[14:15], s[44:45], s[30:31]
	s_and_saveexec_b64 s[50:51], s[14:15]
	s_cbranch_execz .LBB749_1126
; %bb.1121:
	v_mul_lo_u32 v6, v42, s20
	v_mul_lo_u32 v7, v43, s21
	v_mad_u64_u32 v[4:5], s[14:15], v43, s20, 0
	v_add3_u32 v5, v5, v7, v6
	v_mul_lo_u32 v48, v46, s20
	v_mul_lo_u32 v49, v47, s21
	v_mad_u64_u32 v[6:7], s[14:15], v47, s20, 0
	v_add3_u32 v7, v7, v49, v48
	v_lshl_add_u64 v[4:5], v[4:5], 3, s[22:23]
	v_lshl_add_u64 v[6:7], v[6:7], 3, s[22:23]
	s_mov_b64 s[52:53], 0
	s_mov_b64 s[58:59], s[20:21]
                                        ; implicit-def: $sgpr54_sgpr55
                                        ; implicit-def: $sgpr56_sgpr57
                                        ; implicit-def: $sgpr14_sgpr15
                                        ; implicit-def: $sgpr60_sgpr61
	s_branch .LBB749_1123
.LBB749_1122:                           ;   in Loop: Header=BB749_1123 Depth=1
	s_or_b64 exec, exec, s[64:65]
	s_and_b64 s[64:65], exec, s[56:57]
	s_or_b64 s[52:53], s[64:65], s[52:53]
	s_andn2_b64 s[60:61], s[60:61], exec
	s_and_b64 s[62:63], s[62:63], exec
	s_or_b64 s[60:61], s[60:61], s[62:63]
	s_andn2_b64 s[54:55], s[54:55], exec
	s_and_b64 s[62:63], s[14:15], exec
	s_or_b64 s[54:55], s[54:55], s[62:63]
	s_andn2_b64 exec, exec, s[52:53]
	s_cbranch_execz .LBB749_1125
.LBB749_1123:                           ; =>This Inner Loop Header: Depth=1
	global_load_dwordx2 v[48:49], v[4:5], off
	global_load_dwordx2 v[50:51], v[6:7], off
	s_andn2_b64 s[64:65], s[14:15], exec
	s_or_b64 s[56:57], s[56:57], exec
	s_waitcnt vmcnt(0)
	v_cmp_ngt_f64_e64 s[14:15], v[48:49], v[50:51]
	v_cmp_lt_f64_e32 vcc, v[48:49], v[50:51]
	s_and_b64 s[62:63], s[14:15], s[60:61]
	s_or_b64 s[62:63], vcc, s[62:63]
	s_xor_b64 s[66:67], vcc, s[14:15]
	s_and_b64 s[14:15], s[62:63], exec
	s_or_b64 s[14:15], s[64:65], s[14:15]
	s_and_saveexec_b64 s[64:65], s[66:67]
	s_cbranch_execz .LBB749_1122
; %bb.1124:                             ;   in Loop: Header=BB749_1123 Depth=1
	s_add_u32 s58, s58, -1
	s_addc_u32 s59, s59, -1
	s_cmp_eq_u64 s[58:59], 0
	s_cselect_b64 s[60:61], -1, 0
	s_andn2_b64 s[56:57], s[56:57], exec
	s_and_b64 s[60:61], s[60:61], exec
	v_lshl_add_u64 v[4:5], v[4:5], 0, 8
	v_lshl_add_u64 v[6:7], v[6:7], 0, 8
	s_andn2_b64 s[14:15], s[14:15], exec
	s_or_b64 s[56:57], s[56:57], s[60:61]
                                        ; implicit-def: $sgpr60_sgpr61
	s_branch .LBB749_1122
.LBB749_1125:
	s_or_b64 exec, exec, s[52:53]
	s_xor_b64 s[14:15], s[54:55], -1
	s_andn2_b64 s[44:45], s[44:45], exec
	s_and_b64 s[14:15], s[14:15], exec
	s_or_b64 s[44:45], s[44:45], s[14:15]
.LBB749_1126:
	s_or_b64 exec, exec, s[50:51]
	s_orn2_b64 s[44:45], s[44:45], exec
.LBB749_1127:
	s_or_b64 exec, exec, s[48:49]
	v_cndmask_b32_e64 v4, v45, v44, s[44:45]
	v_cndmask_b32_e64 v5, v35, v34, s[44:45]
	;; [unrolled: 1-line block ×4, first 2 shown]
	v_add_u32_e32 v33, 1, v4
	v_add_u32_e32 v4, -1, v5
	v_min_u32_e32 v4, v33, v4
	v_lshl_add_u32 v4, v4, 3, v31
	v_cndmask_b32_e64 v11, v10, v11, s[38:39]
	v_cndmask_b32_e64 v10, v17, v23, s[38:39]
	;; [unrolled: 1-line block ×4, first 2 shown]
	ds_read_b64 v[22:23], v4
	v_cndmask_b32_e64 v14, v2, v0, s[16:17]
	v_cndmask_b32_e64 v0, v33, v45, s[44:45]
	;; [unrolled: 1-line block ×9, first 2 shown]
	s_waitcnt lgkmcnt(0)
	v_cndmask_b32_e64 v5, v46, v23, s[44:45]
	v_cndmask_b32_e64 v4, v47, v22, s[44:45]
	v_cmp_lt_u32_e32 vcc, v0, v35
	s_and_saveexec_b64 s[16:17], vcc
	s_cbranch_execz .LBB749_1135
; %bb.1128:
	v_cndmask_b32_e64 v0, v44, v33, s[44:45]
	v_cndmask_b32_e64 v31, v23, v42, s[44:45]
	;; [unrolled: 1-line block ×3, first 2 shown]
	v_cmp_ge_u32_e32 vcc, v0, v34
	s_nor_b64 s[14:15], vcc, s[28:29]
	s_nop 0
	v_cndmask_b32_e32 v1, v5, v31, vcc
	v_cndmask_b32_e32 v0, v4, v32, vcc
	s_and_saveexec_b64 s[36:37], s[14:15]
	s_cbranch_execz .LBB749_1134
; %bb.1129:
	v_mul_lo_u32 v22, v31, s20
	v_mul_lo_u32 v23, v32, s21
	v_mad_u64_u32 v[0:1], s[14:15], v32, s20, 0
	v_add3_u32 v1, v1, v23, v22
	v_mul_lo_u32 v33, v5, s20
	v_mul_lo_u32 v34, v4, s21
	v_mad_u64_u32 v[22:23], s[14:15], v4, s20, 0
	v_add3_u32 v23, v23, v34, v33
	v_lshl_add_u64 v[0:1], v[0:1], 3, s[22:23]
	v_lshl_add_u64 v[22:23], v[22:23], 3, s[22:23]
	s_mov_b64 s[38:39], 0
	s_mov_b64 s[44:45], s[20:21]
                                        ; implicit-def: $sgpr40_sgpr41
                                        ; implicit-def: $sgpr42_sgpr43
                                        ; implicit-def: $sgpr14_sgpr15
                                        ; implicit-def: $sgpr46_sgpr47
	s_branch .LBB749_1131
.LBB749_1130:                           ;   in Loop: Header=BB749_1131 Depth=1
	s_or_b64 exec, exec, s[50:51]
	s_and_b64 s[50:51], exec, s[42:43]
	s_or_b64 s[38:39], s[50:51], s[38:39]
	s_andn2_b64 s[46:47], s[46:47], exec
	s_and_b64 s[48:49], s[48:49], exec
	s_or_b64 s[46:47], s[46:47], s[48:49]
	s_andn2_b64 s[40:41], s[40:41], exec
	s_and_b64 s[48:49], s[14:15], exec
	s_or_b64 s[40:41], s[40:41], s[48:49]
	s_andn2_b64 exec, exec, s[38:39]
	s_cbranch_execz .LBB749_1133
.LBB749_1131:                           ; =>This Inner Loop Header: Depth=1
	global_load_dwordx2 v[34:35], v[0:1], off
	global_load_dwordx2 v[36:37], v[22:23], off
	s_andn2_b64 s[50:51], s[14:15], exec
	s_or_b64 s[42:43], s[42:43], exec
	s_waitcnt vmcnt(0)
	v_cmp_ngt_f64_e64 s[14:15], v[34:35], v[36:37]
	v_cmp_lt_f64_e32 vcc, v[34:35], v[36:37]
	s_and_b64 s[48:49], s[14:15], s[46:47]
	s_or_b64 s[48:49], vcc, s[48:49]
	s_xor_b64 s[52:53], vcc, s[14:15]
	s_and_b64 s[14:15], s[48:49], exec
	s_or_b64 s[14:15], s[50:51], s[14:15]
	s_and_saveexec_b64 s[50:51], s[52:53]
	s_cbranch_execz .LBB749_1130
; %bb.1132:                             ;   in Loop: Header=BB749_1131 Depth=1
	s_add_u32 s44, s44, -1
	s_addc_u32 s45, s45, -1
	s_cmp_eq_u64 s[44:45], 0
	s_cselect_b64 s[46:47], -1, 0
	s_andn2_b64 s[42:43], s[42:43], exec
	s_and_b64 s[46:47], s[46:47], exec
	v_lshl_add_u64 v[0:1], v[0:1], 0, 8
	v_lshl_add_u64 v[22:23], v[22:23], 0, 8
	s_andn2_b64 s[14:15], s[14:15], exec
	s_or_b64 s[42:43], s[42:43], s[46:47]
                                        ; implicit-def: $sgpr46_sgpr47
	s_branch .LBB749_1130
.LBB749_1133:
	s_or_b64 exec, exec, s[38:39]
	v_cndmask_b32_e64 v1, v5, v31, s[40:41]
	v_cndmask_b32_e64 v0, v4, v32, s[40:41]
.LBB749_1134:
	s_or_b64 exec, exec, s[36:37]
	v_mov_b64_e32 v[4:5], v[0:1]
.LBB749_1135:
	s_or_b64 exec, exec, s[16:17]
.LBB749_1136:
	s_or_b64 exec, exec, s[34:35]
	s_cmpk_lt_u32 s33, 0x81
	; wave barrier
	s_waitcnt lgkmcnt(0)
	s_barrier
	s_cbranch_scc1 .LBB749_1217
; %bb.1137:
	v_cndmask_b32_e64 v0, 0, 1, s[18:19]
	v_lshlrev_b32_e32 v31, 3, v20
	s_lshl_b64 s[34:35], s[20:21], 3
	s_movk_i32 s68, 0x80
	v_cmp_ne_u32_e64 s[14:15], 1, v0
	s_branch .LBB749_1142
.LBB749_1138:                           ;   in Loop: Header=BB749_1142 Depth=1
	s_or_b64 exec, exec, s[54:55]
	v_cndmask_b32_e64 v7, v5, v33, s[56:57]
	v_cndmask_b32_e64 v6, v4, v48, s[56:57]
.LBB749_1139:                           ;   in Loop: Header=BB749_1142 Depth=1
	s_or_b64 exec, exec, s[52:53]
	v_mov_b64_e32 v[4:5], v[6:7]
.LBB749_1140:                           ;   in Loop: Header=BB749_1142 Depth=1
	s_or_b64 exec, exec, s[50:51]
	v_cndmask_b32_e64 v9, v40, v42, s[48:49]
	v_cndmask_b32_e64 v8, v41, v43, s[48:49]
	;; [unrolled: 1-line block ×14, first 2 shown]
.LBB749_1141:                           ;   in Loop: Header=BB749_1142 Depth=1
	s_or_b64 exec, exec, s[36:37]
	s_cmp_lt_u32 s68, s33
	s_barrier
	s_cbranch_scc0 .LBB749_1217
.LBB749_1142:                           ; =>This Loop Header: Depth=1
                                        ;     Child Loop BB749_1146 Depth 2
                                        ;       Child Loop BB749_1149 Depth 3
                                        ;     Child Loop BB749_1160 Depth 2
                                        ;     Child Loop BB749_1167 Depth 2
	;; [unrolled: 1-line block ×8, first 2 shown]
	s_mov_b32 s16, s68
	s_lshl_b32 s68, s68, 1
	s_sub_i32 s18, 0, s68
	v_and_b32_e32 v36, s18, v20
	v_add_u32_e32 v0, s16, v36
	v_min_u32_e32 v32, s33, v0
	s_add_i32 s17, s68, -1
	v_add_u32_e32 v0, s16, v32
	v_min_u32_e32 v33, s33, v0
	v_and_b32_e32 v0, s17, v20
	v_min_u32_e32 v37, s33, v0
	v_sub_u32_e32 v0, v32, v36
	v_sub_u32_e32 v1, v33, v32
	v_sub_u32_e64 v35, v37, v1 clamp
	v_min_u32_e32 v38, v37, v0
	v_lshlrev_b32_e32 v34, 3, v36
	v_cmp_lt_u32_e32 vcc, v35, v38
	ds_write_b128 v31, v[14:17]
	ds_write_b128 v31, v[10:13] offset:16
	ds_write_b128 v31, v[6:9] offset:32
	;; [unrolled: 1-line block ×3, first 2 shown]
	s_waitcnt lgkmcnt(0)
	s_barrier
	s_and_saveexec_b64 s[18:19], vcc
	s_cbranch_execz .LBB749_1152
; %bb.1143:                             ;   in Loop: Header=BB749_1142 Depth=1
	v_lshlrev_b32_e32 v0, 3, v37
	v_lshl_add_u32 v39, v32, 3, v0
	s_mov_b64 s[36:37], 0
	s_branch .LBB749_1146
.LBB749_1144:                           ;   in Loop: Header=BB749_1146 Depth=2
	s_or_b64 exec, exec, s[40:41]
.LBB749_1145:                           ;   in Loop: Header=BB749_1146 Depth=2
	v_add_u32_e32 v0, 1, v40
	v_cndmask_b32_e64 v38, v38, v40, s[38:39]
	v_cndmask_b32_e64 v35, v0, v35, s[38:39]
	v_cmp_ge_u32_e32 vcc, v35, v38
	s_or_b64 s[36:37], vcc, s[36:37]
	s_andn2_b64 exec, exec, s[36:37]
	s_cbranch_execz .LBB749_1151
.LBB749_1146:                           ;   Parent Loop BB749_1142 Depth=1
                                        ; =>  This Loop Header: Depth=2
                                        ;       Child Loop BB749_1149 Depth 3
	v_add_u32_e32 v0, v38, v35
	v_lshrrev_b32_e32 v40, 1, v0
	s_and_b64 vcc, exec, s[14:15]
	s_mov_b64 s[38:39], 0
	s_cbranch_vccnz .LBB749_1145
; %bb.1147:                             ;   in Loop: Header=BB749_1146 Depth=2
	v_not_b32_e32 v0, v40
	v_lshl_add_u32 v0, v0, 3, v39
	ds_read_b64 v[0:1], v0
	v_lshl_add_u32 v41, v40, 3, v34
	ds_read_b64 v[42:43], v41
	v_mov_b64_e32 v[22:23], s[22:23]
	s_mov_b64 s[40:41], 0
	s_waitcnt lgkmcnt(1)
	v_mul_lo_u32 v41, s34, v1
	v_mul_lo_u32 v44, s35, v0
	v_mad_u64_u32 v[0:1], s[16:17], s34, v0, v[22:23]
	v_add3_u32 v1, v44, v1, v41
	s_waitcnt lgkmcnt(0)
	v_mul_lo_u32 v41, s34, v43
	v_mul_lo_u32 v43, s35, v42
	v_mad_u64_u32 v[22:23], s[16:17], s34, v42, v[22:23]
	v_add3_u32 v23, v43, v23, v41
	s_mov_b64 s[44:45], s[20:21]
                                        ; implicit-def: $sgpr38_sgpr39
                                        ; implicit-def: $sgpr42_sgpr43
                                        ; implicit-def: $sgpr16_sgpr17
                                        ; implicit-def: $sgpr46_sgpr47
	s_branch .LBB749_1149
.LBB749_1148:                           ;   in Loop: Header=BB749_1149 Depth=3
	s_or_b64 exec, exec, s[50:51]
	s_and_b64 s[50:51], exec, s[42:43]
	s_or_b64 s[40:41], s[50:51], s[40:41]
	s_andn2_b64 s[46:47], s[46:47], exec
	s_and_b64 s[48:49], s[48:49], exec
	s_or_b64 s[46:47], s[46:47], s[48:49]
	s_andn2_b64 s[38:39], s[38:39], exec
	s_and_b64 s[48:49], s[16:17], exec
	s_or_b64 s[38:39], s[38:39], s[48:49]
	s_andn2_b64 exec, exec, s[40:41]
	s_cbranch_execz .LBB749_1144
.LBB749_1149:                           ;   Parent Loop BB749_1142 Depth=1
                                        ;     Parent Loop BB749_1146 Depth=2
                                        ; =>    This Inner Loop Header: Depth=3
	global_load_dwordx2 v[42:43], v[0:1], off
	global_load_dwordx2 v[44:45], v[22:23], off
	s_andn2_b64 s[50:51], s[16:17], exec
	s_or_b64 s[42:43], s[42:43], exec
	s_waitcnt vmcnt(0)
	v_cmp_ngt_f64_e64 s[16:17], v[42:43], v[44:45]
	v_cmp_lt_f64_e32 vcc, v[42:43], v[44:45]
	s_and_b64 s[48:49], s[16:17], s[46:47]
	s_or_b64 s[48:49], vcc, s[48:49]
	s_xor_b64 s[52:53], vcc, s[16:17]
	s_and_b64 s[16:17], s[48:49], exec
	s_or_b64 s[16:17], s[50:51], s[16:17]
	s_and_saveexec_b64 s[50:51], s[52:53]
	s_cbranch_execz .LBB749_1148
; %bb.1150:                             ;   in Loop: Header=BB749_1149 Depth=3
	s_add_u32 s44, s44, -1
	s_addc_u32 s45, s45, -1
	s_cmp_eq_u64 s[44:45], 0
	s_cselect_b64 s[46:47], -1, 0
	s_andn2_b64 s[42:43], s[42:43], exec
	s_and_b64 s[46:47], s[46:47], exec
	v_lshl_add_u64 v[0:1], v[0:1], 0, 8
	v_lshl_add_u64 v[22:23], v[22:23], 0, 8
	s_andn2_b64 s[16:17], s[16:17], exec
	s_or_b64 s[42:43], s[42:43], s[46:47]
                                        ; implicit-def: $sgpr46_sgpr47
	s_branch .LBB749_1148
.LBB749_1151:                           ;   in Loop: Header=BB749_1142 Depth=1
	s_or_b64 exec, exec, s[36:37]
.LBB749_1152:                           ;   in Loop: Header=BB749_1142 Depth=1
	s_or_b64 exec, exec, s[18:19]
	v_sub_u32_e32 v0, v37, v35
	v_add_u32_e32 v23, v35, v36
	v_add_u32_e32 v36, v0, v32
	v_cmp_le_u32_e32 vcc, v23, v32
	v_cmp_le_u32_e64 s[16:17], v36, v33
	s_or_b64 s[16:17], vcc, s[16:17]
	s_and_saveexec_b64 s[36:37], s[16:17]
	s_cbranch_execz .LBB749_1141
; %bb.1153:                             ;   in Loop: Header=BB749_1142 Depth=1
	v_cmp_ge_u32_e32 vcc, v23, v32
	v_cmp_lt_u32_e64 s[16:17], v23, v32
                                        ; implicit-def: $vgpr0_vgpr1
	s_and_saveexec_b64 s[18:19], s[16:17]
; %bb.1154:                             ;   in Loop: Header=BB749_1142 Depth=1
	v_lshl_add_u32 v0, v35, 3, v34
	ds_read_b64 v[0:1], v0
; %bb.1155:                             ;   in Loop: Header=BB749_1142 Depth=1
	s_or_b64 exec, exec, s[18:19]
	v_cmp_ge_u32_e64 s[16:17], v36, v33
	v_cmp_lt_u32_e64 s[18:19], v36, v33
                                        ; implicit-def: $vgpr2_vgpr3
	s_and_saveexec_b64 s[38:39], s[18:19]
; %bb.1156:                             ;   in Loop: Header=BB749_1142 Depth=1
	v_lshlrev_b32_e32 v2, 3, v36
	ds_read_b64 v[2:3], v2
; %bb.1157:                             ;   in Loop: Header=BB749_1142 Depth=1
	s_or_b64 exec, exec, s[38:39]
	s_or_b64 s[18:19], vcc, s[16:17]
	s_nor_b64 s[40:41], s[18:19], s[28:29]
	s_xor_b64 s[18:19], vcc, -1
	s_or_b64 s[18:19], s[16:17], s[18:19]
	s_and_saveexec_b64 s[38:39], s[40:41]
	s_cbranch_execz .LBB749_1163
; %bb.1158:                             ;   in Loop: Header=BB749_1142 Depth=1
	v_mov_b64_e32 v[6:7], s[22:23]
	s_waitcnt lgkmcnt(0)
	v_mad_u64_u32 v[4:5], s[16:17], s34, v2, v[6:7]
	v_mul_lo_u32 v8, s34, v3
	v_mul_lo_u32 v9, s35, v2
	v_add3_u32 v5, v9, v5, v8
	v_mad_u64_u32 v[6:7], s[16:17], s34, v0, v[6:7]
	v_mul_lo_u32 v8, s34, v1
	v_mul_lo_u32 v9, s35, v0
	v_add3_u32 v7, v9, v7, v8
	s_mov_b64 s[40:41], 0
	s_mov_b64 s[46:47], s[20:21]
                                        ; implicit-def: $sgpr42_sgpr43
                                        ; implicit-def: $sgpr44_sgpr45
                                        ; implicit-def: $sgpr16_sgpr17
                                        ; implicit-def: $sgpr48_sgpr49
	s_branch .LBB749_1160
.LBB749_1159:                           ;   in Loop: Header=BB749_1160 Depth=2
	s_or_b64 exec, exec, s[52:53]
	s_and_b64 s[52:53], exec, s[44:45]
	s_or_b64 s[40:41], s[52:53], s[40:41]
	s_andn2_b64 s[48:49], s[48:49], exec
	s_and_b64 s[50:51], s[50:51], exec
	s_or_b64 s[48:49], s[48:49], s[50:51]
	s_andn2_b64 s[42:43], s[42:43], exec
	s_and_b64 s[50:51], s[16:17], exec
	s_or_b64 s[42:43], s[42:43], s[50:51]
	s_andn2_b64 exec, exec, s[40:41]
	s_cbranch_execz .LBB749_1162
.LBB749_1160:                           ;   Parent Loop BB749_1142 Depth=1
                                        ; =>  This Inner Loop Header: Depth=2
	global_load_dwordx2 v[8:9], v[4:5], off
	global_load_dwordx2 v[10:11], v[6:7], off
	s_andn2_b64 s[52:53], s[16:17], exec
	s_or_b64 s[44:45], s[44:45], exec
	s_waitcnt vmcnt(0)
	v_cmp_ngt_f64_e64 s[16:17], v[8:9], v[10:11]
	v_cmp_lt_f64_e32 vcc, v[8:9], v[10:11]
	s_and_b64 s[50:51], s[16:17], s[48:49]
	s_or_b64 s[50:51], vcc, s[50:51]
	s_xor_b64 s[54:55], vcc, s[16:17]
	s_and_b64 s[16:17], s[50:51], exec
	s_or_b64 s[16:17], s[52:53], s[16:17]
	s_and_saveexec_b64 s[52:53], s[54:55]
	s_cbranch_execz .LBB749_1159
; %bb.1161:                             ;   in Loop: Header=BB749_1160 Depth=2
	s_add_u32 s46, s46, -1
	s_addc_u32 s47, s47, -1
	s_cmp_eq_u64 s[46:47], 0
	s_cselect_b64 s[48:49], -1, 0
	s_andn2_b64 s[44:45], s[44:45], exec
	s_and_b64 s[48:49], s[48:49], exec
	v_lshl_add_u64 v[4:5], v[4:5], 0, 8
	v_lshl_add_u64 v[6:7], v[6:7], 0, 8
	s_andn2_b64 s[16:17], s[16:17], exec
	s_or_b64 s[44:45], s[44:45], s[48:49]
                                        ; implicit-def: $sgpr48_sgpr49
	s_branch .LBB749_1159
.LBB749_1162:                           ;   in Loop: Header=BB749_1142 Depth=1
	s_or_b64 exec, exec, s[40:41]
	s_xor_b64 s[16:17], s[42:43], -1
	s_andn2_b64 s[18:19], s[18:19], exec
	s_and_b64 s[16:17], s[16:17], exec
	s_or_b64 s[18:19], s[18:19], s[16:17]
.LBB749_1163:                           ;   in Loop: Header=BB749_1142 Depth=1
	s_or_b64 exec, exec, s[38:39]
	v_cndmask_b32_e64 v4, v36, v23, s[18:19]
	v_cndmask_b32_e64 v5, v33, v32, s[18:19]
	v_add_u32_e32 v6, 1, v4
	v_add_u32_e32 v4, -1, v5
	v_min_u32_e32 v4, v6, v4
	v_lshlrev_b32_e32 v4, 3, v4
	ds_read_b64 v[4:5], v4
	v_cndmask_b32_e64 v8, v6, v36, s[18:19]
	v_cndmask_b32_e64 v9, v23, v6, s[18:19]
	v_cmp_lt_u32_e32 vcc, v8, v33
	s_mov_b64 s[40:41], -1
	s_waitcnt lgkmcnt(0)
	v_cndmask_b32_e64 v14, v5, v3, s[18:19]
	v_cndmask_b32_e64 v15, v4, v2, s[18:19]
	;; [unrolled: 1-line block ×4, first 2 shown]
	s_mov_b64 s[38:39], -1
	s_and_saveexec_b64 s[42:43], vcc
	s_cbranch_execz .LBB749_1171
; %bb.1164:                             ;   in Loop: Header=BB749_1142 Depth=1
	v_cmp_lt_u32_e64 s[38:39], v9, v32
	s_and_b64 s[16:17], s[38:39], s[30:31]
	s_and_saveexec_b64 s[44:45], s[16:17]
	s_cbranch_execz .LBB749_1170
; %bb.1165:                             ;   in Loop: Header=BB749_1142 Depth=1
	v_mov_b64_e32 v[6:7], s[22:23]
	v_mad_u64_u32 v[4:5], s[16:17], s34, v15, v[6:7]
	v_mul_lo_u32 v10, s34, v14
	v_mul_lo_u32 v11, s35, v15
	v_add3_u32 v5, v11, v5, v10
	v_mad_u64_u32 v[6:7], s[16:17], s34, v22, v[6:7]
	v_mul_lo_u32 v10, s34, v16
	v_mul_lo_u32 v11, s35, v22
	v_add3_u32 v7, v11, v7, v10
	s_mov_b64 s[46:47], 0
	s_mov_b64 s[52:53], s[20:21]
                                        ; implicit-def: $sgpr48_sgpr49
                                        ; implicit-def: $sgpr50_sgpr51
                                        ; implicit-def: $sgpr16_sgpr17
                                        ; implicit-def: $sgpr54_sgpr55
	s_branch .LBB749_1167
.LBB749_1166:                           ;   in Loop: Header=BB749_1167 Depth=2
	s_or_b64 exec, exec, s[58:59]
	s_and_b64 s[58:59], exec, s[50:51]
	s_or_b64 s[46:47], s[58:59], s[46:47]
	s_andn2_b64 s[54:55], s[54:55], exec
	s_and_b64 s[56:57], s[56:57], exec
	s_or_b64 s[54:55], s[54:55], s[56:57]
	s_andn2_b64 s[48:49], s[48:49], exec
	s_and_b64 s[56:57], s[16:17], exec
	s_or_b64 s[48:49], s[48:49], s[56:57]
	s_andn2_b64 exec, exec, s[46:47]
	s_cbranch_execz .LBB749_1169
.LBB749_1167:                           ;   Parent Loop BB749_1142 Depth=1
                                        ; =>  This Inner Loop Header: Depth=2
	global_load_dwordx2 v[10:11], v[4:5], off
	global_load_dwordx2 v[12:13], v[6:7], off
	s_andn2_b64 s[58:59], s[16:17], exec
	s_or_b64 s[50:51], s[50:51], exec
	s_waitcnt vmcnt(0)
	v_cmp_ngt_f64_e64 s[16:17], v[10:11], v[12:13]
	v_cmp_lt_f64_e32 vcc, v[10:11], v[12:13]
	s_and_b64 s[56:57], s[16:17], s[54:55]
	s_or_b64 s[56:57], vcc, s[56:57]
	s_xor_b64 s[60:61], vcc, s[16:17]
	s_and_b64 s[16:17], s[56:57], exec
	s_or_b64 s[16:17], s[58:59], s[16:17]
	s_and_saveexec_b64 s[58:59], s[60:61]
	s_cbranch_execz .LBB749_1166
; %bb.1168:                             ;   in Loop: Header=BB749_1167 Depth=2
	s_add_u32 s52, s52, -1
	s_addc_u32 s53, s53, -1
	s_cmp_eq_u64 s[52:53], 0
	s_cselect_b64 s[54:55], -1, 0
	s_andn2_b64 s[50:51], s[50:51], exec
	s_and_b64 s[54:55], s[54:55], exec
	v_lshl_add_u64 v[4:5], v[4:5], 0, 8
	v_lshl_add_u64 v[6:7], v[6:7], 0, 8
	s_andn2_b64 s[16:17], s[16:17], exec
	s_or_b64 s[50:51], s[50:51], s[54:55]
                                        ; implicit-def: $sgpr54_sgpr55
	s_branch .LBB749_1166
.LBB749_1169:                           ;   in Loop: Header=BB749_1142 Depth=1
	s_or_b64 exec, exec, s[46:47]
	s_xor_b64 s[16:17], s[48:49], -1
	s_andn2_b64 s[38:39], s[38:39], exec
	s_and_b64 s[16:17], s[16:17], exec
	s_or_b64 s[38:39], s[38:39], s[16:17]
.LBB749_1170:                           ;   in Loop: Header=BB749_1142 Depth=1
	s_or_b64 exec, exec, s[44:45]
	s_orn2_b64 s[38:39], s[38:39], exec
.LBB749_1171:                           ;   in Loop: Header=BB749_1142 Depth=1
	s_or_b64 exec, exec, s[42:43]
	v_cndmask_b32_e64 v4, v8, v9, s[38:39]
	v_cndmask_b32_e64 v5, v33, v32, s[38:39]
	v_add_u32_e32 v6, 1, v4
	v_add_u32_e32 v4, -1, v5
	v_min_u32_e32 v4, v6, v4
	v_lshlrev_b32_e32 v4, 3, v4
	ds_read_b64 v[4:5], v4
	v_cndmask_b32_e64 v8, v6, v8, s[38:39]
	v_cndmask_b32_e64 v9, v9, v6, s[38:39]
	v_cmp_lt_u32_e32 vcc, v8, v33
	s_waitcnt lgkmcnt(0)
	v_cndmask_b32_e64 v10, v5, v14, s[38:39]
	v_cndmask_b32_e64 v17, v4, v15, s[38:39]
	v_cndmask_b32_e64 v11, v16, v5, s[38:39]
	v_cndmask_b32_e64 v23, v22, v4, s[38:39]
	s_and_saveexec_b64 s[42:43], vcc
	s_cbranch_execz .LBB749_1179
; %bb.1172:                             ;   in Loop: Header=BB749_1142 Depth=1
	v_cmp_lt_u32_e64 s[40:41], v9, v32
	s_and_b64 s[16:17], s[40:41], s[30:31]
	s_and_saveexec_b64 s[44:45], s[16:17]
	s_cbranch_execz .LBB749_1178
; %bb.1173:                             ;   in Loop: Header=BB749_1142 Depth=1
	v_mov_b64_e32 v[6:7], s[22:23]
	v_mad_u64_u32 v[4:5], s[16:17], s34, v17, v[6:7]
	v_mul_lo_u32 v12, s34, v10
	v_mul_lo_u32 v13, s35, v17
	v_add3_u32 v5, v13, v5, v12
	v_mad_u64_u32 v[6:7], s[16:17], s34, v23, v[6:7]
	v_mul_lo_u32 v12, s34, v11
	v_mul_lo_u32 v13, s35, v23
	v_add3_u32 v7, v13, v7, v12
	s_mov_b64 s[46:47], 0
	s_mov_b64 s[52:53], s[20:21]
                                        ; implicit-def: $sgpr48_sgpr49
                                        ; implicit-def: $sgpr50_sgpr51
                                        ; implicit-def: $sgpr16_sgpr17
                                        ; implicit-def: $sgpr54_sgpr55
	s_branch .LBB749_1175
.LBB749_1174:                           ;   in Loop: Header=BB749_1175 Depth=2
	s_or_b64 exec, exec, s[58:59]
	s_and_b64 s[58:59], exec, s[50:51]
	s_or_b64 s[46:47], s[58:59], s[46:47]
	s_andn2_b64 s[54:55], s[54:55], exec
	s_and_b64 s[56:57], s[56:57], exec
	s_or_b64 s[54:55], s[54:55], s[56:57]
	s_andn2_b64 s[48:49], s[48:49], exec
	s_and_b64 s[56:57], s[16:17], exec
	s_or_b64 s[48:49], s[48:49], s[56:57]
	s_andn2_b64 exec, exec, s[46:47]
	s_cbranch_execz .LBB749_1177
.LBB749_1175:                           ;   Parent Loop BB749_1142 Depth=1
                                        ; =>  This Inner Loop Header: Depth=2
	global_load_dwordx2 v[12:13], v[4:5], off
	global_load_dwordx2 v[34:35], v[6:7], off
	s_andn2_b64 s[58:59], s[16:17], exec
	s_or_b64 s[50:51], s[50:51], exec
	s_waitcnt vmcnt(0)
	v_cmp_ngt_f64_e64 s[16:17], v[12:13], v[34:35]
	v_cmp_lt_f64_e32 vcc, v[12:13], v[34:35]
	s_and_b64 s[56:57], s[16:17], s[54:55]
	s_or_b64 s[56:57], vcc, s[56:57]
	s_xor_b64 s[60:61], vcc, s[16:17]
	s_and_b64 s[16:17], s[56:57], exec
	s_or_b64 s[16:17], s[58:59], s[16:17]
	s_and_saveexec_b64 s[58:59], s[60:61]
	s_cbranch_execz .LBB749_1174
; %bb.1176:                             ;   in Loop: Header=BB749_1175 Depth=2
	s_add_u32 s52, s52, -1
	s_addc_u32 s53, s53, -1
	s_cmp_eq_u64 s[52:53], 0
	s_cselect_b64 s[54:55], -1, 0
	s_andn2_b64 s[50:51], s[50:51], exec
	s_and_b64 s[54:55], s[54:55], exec
	v_lshl_add_u64 v[4:5], v[4:5], 0, 8
	v_lshl_add_u64 v[6:7], v[6:7], 0, 8
	s_andn2_b64 s[16:17], s[16:17], exec
	s_or_b64 s[50:51], s[50:51], s[54:55]
                                        ; implicit-def: $sgpr54_sgpr55
	s_branch .LBB749_1174
.LBB749_1177:                           ;   in Loop: Header=BB749_1142 Depth=1
	s_or_b64 exec, exec, s[46:47]
	s_xor_b64 s[16:17], s[48:49], -1
	s_andn2_b64 s[40:41], s[40:41], exec
	s_and_b64 s[16:17], s[16:17], exec
	s_or_b64 s[40:41], s[40:41], s[16:17]
.LBB749_1178:                           ;   in Loop: Header=BB749_1142 Depth=1
	s_or_b64 exec, exec, s[44:45]
	s_orn2_b64 s[40:41], s[40:41], exec
.LBB749_1179:                           ;   in Loop: Header=BB749_1142 Depth=1
	s_or_b64 exec, exec, s[42:43]
	v_cndmask_b32_e64 v4, v8, v9, s[40:41]
	v_cndmask_b32_e64 v5, v33, v32, s[40:41]
	v_add_u32_e32 v6, 1, v4
	v_add_u32_e32 v4, -1, v5
	v_min_u32_e32 v4, v6, v4
	v_lshlrev_b32_e32 v4, 3, v4
	ds_read_b64 v[4:5], v4
	v_cndmask_b32_e64 v8, v6, v8, s[40:41]
	v_cndmask_b32_e64 v9, v9, v6, s[40:41]
	v_cmp_lt_u32_e32 vcc, v8, v33
	s_mov_b64 s[44:45], -1
	s_waitcnt lgkmcnt(0)
	v_cndmask_b32_e64 v12, v5, v10, s[40:41]
	v_cndmask_b32_e64 v34, v4, v17, s[40:41]
	;; [unrolled: 1-line block ×4, first 2 shown]
	s_mov_b64 s[42:43], -1
	s_and_saveexec_b64 s[46:47], vcc
	s_cbranch_execz .LBB749_1187
; %bb.1180:                             ;   in Loop: Header=BB749_1142 Depth=1
	v_cmp_lt_u32_e64 s[42:43], v9, v32
	s_and_b64 s[16:17], s[42:43], s[30:31]
	s_and_saveexec_b64 s[48:49], s[16:17]
	s_cbranch_execz .LBB749_1186
; %bb.1181:                             ;   in Loop: Header=BB749_1142 Depth=1
	v_mov_b64_e32 v[6:7], s[22:23]
	v_mad_u64_u32 v[4:5], s[16:17], s34, v34, v[6:7]
	v_mul_lo_u32 v36, s34, v12
	v_mul_lo_u32 v37, s35, v34
	v_add3_u32 v5, v37, v5, v36
	v_mad_u64_u32 v[6:7], s[16:17], s34, v35, v[6:7]
	v_mul_lo_u32 v36, s34, v13
	v_mul_lo_u32 v37, s35, v35
	v_add3_u32 v7, v37, v7, v36
	s_mov_b64 s[50:51], 0
	s_mov_b64 s[56:57], s[20:21]
                                        ; implicit-def: $sgpr52_sgpr53
                                        ; implicit-def: $sgpr54_sgpr55
                                        ; implicit-def: $sgpr16_sgpr17
                                        ; implicit-def: $sgpr58_sgpr59
	s_branch .LBB749_1183
.LBB749_1182:                           ;   in Loop: Header=BB749_1183 Depth=2
	s_or_b64 exec, exec, s[62:63]
	s_and_b64 s[62:63], exec, s[54:55]
	s_or_b64 s[50:51], s[62:63], s[50:51]
	s_andn2_b64 s[58:59], s[58:59], exec
	s_and_b64 s[60:61], s[60:61], exec
	s_or_b64 s[58:59], s[58:59], s[60:61]
	s_andn2_b64 s[52:53], s[52:53], exec
	s_and_b64 s[60:61], s[16:17], exec
	s_or_b64 s[52:53], s[52:53], s[60:61]
	s_andn2_b64 exec, exec, s[50:51]
	s_cbranch_execz .LBB749_1185
.LBB749_1183:                           ;   Parent Loop BB749_1142 Depth=1
                                        ; =>  This Inner Loop Header: Depth=2
	global_load_dwordx2 v[36:37], v[4:5], off
	global_load_dwordx2 v[38:39], v[6:7], off
	s_andn2_b64 s[62:63], s[16:17], exec
	s_or_b64 s[54:55], s[54:55], exec
	s_waitcnt vmcnt(0)
	v_cmp_ngt_f64_e64 s[16:17], v[36:37], v[38:39]
	v_cmp_lt_f64_e32 vcc, v[36:37], v[38:39]
	s_and_b64 s[60:61], s[16:17], s[58:59]
	s_or_b64 s[60:61], vcc, s[60:61]
	s_xor_b64 s[64:65], vcc, s[16:17]
	s_and_b64 s[16:17], s[60:61], exec
	s_or_b64 s[16:17], s[62:63], s[16:17]
	s_and_saveexec_b64 s[62:63], s[64:65]
	s_cbranch_execz .LBB749_1182
; %bb.1184:                             ;   in Loop: Header=BB749_1183 Depth=2
	s_add_u32 s56, s56, -1
	s_addc_u32 s57, s57, -1
	s_cmp_eq_u64 s[56:57], 0
	s_cselect_b64 s[58:59], -1, 0
	s_andn2_b64 s[54:55], s[54:55], exec
	s_and_b64 s[58:59], s[58:59], exec
	v_lshl_add_u64 v[4:5], v[4:5], 0, 8
	v_lshl_add_u64 v[6:7], v[6:7], 0, 8
	s_andn2_b64 s[16:17], s[16:17], exec
	s_or_b64 s[54:55], s[54:55], s[58:59]
                                        ; implicit-def: $sgpr58_sgpr59
	s_branch .LBB749_1182
.LBB749_1185:                           ;   in Loop: Header=BB749_1142 Depth=1
	s_or_b64 exec, exec, s[50:51]
	s_xor_b64 s[16:17], s[52:53], -1
	s_andn2_b64 s[42:43], s[42:43], exec
	s_and_b64 s[16:17], s[16:17], exec
	s_or_b64 s[42:43], s[42:43], s[16:17]
.LBB749_1186:                           ;   in Loop: Header=BB749_1142 Depth=1
	s_or_b64 exec, exec, s[48:49]
	s_orn2_b64 s[42:43], s[42:43], exec
.LBB749_1187:                           ;   in Loop: Header=BB749_1142 Depth=1
	s_or_b64 exec, exec, s[46:47]
	v_cndmask_b32_e64 v4, v8, v9, s[42:43]
	v_cndmask_b32_e64 v5, v33, v32, s[42:43]
	v_add_u32_e32 v6, 1, v4
	v_add_u32_e32 v4, -1, v5
	v_min_u32_e32 v4, v6, v4
	v_lshlrev_b32_e32 v4, 3, v4
	ds_read_b64 v[4:5], v4
	v_cndmask_b32_e64 v8, v6, v8, s[42:43]
	v_cndmask_b32_e64 v9, v9, v6, s[42:43]
	v_cmp_lt_u32_e32 vcc, v8, v33
	s_waitcnt lgkmcnt(0)
	v_cndmask_b32_e64 v36, v5, v12, s[42:43]
	v_cndmask_b32_e64 v37, v4, v34, s[42:43]
	;; [unrolled: 1-line block ×4, first 2 shown]
	s_and_saveexec_b64 s[46:47], vcc
	s_cbranch_execz .LBB749_1195
; %bb.1188:                             ;   in Loop: Header=BB749_1142 Depth=1
	v_cmp_lt_u32_e64 s[44:45], v9, v32
	s_and_b64 s[16:17], s[44:45], s[30:31]
	s_and_saveexec_b64 s[48:49], s[16:17]
	s_cbranch_execz .LBB749_1194
; %bb.1189:                             ;   in Loop: Header=BB749_1142 Depth=1
	v_mov_b64_e32 v[6:7], s[22:23]
	v_mad_u64_u32 v[4:5], s[16:17], s34, v37, v[6:7]
	v_mul_lo_u32 v40, s34, v36
	v_mul_lo_u32 v41, s35, v37
	v_add3_u32 v5, v41, v5, v40
	v_mad_u64_u32 v[6:7], s[16:17], s34, v39, v[6:7]
	v_mul_lo_u32 v40, s34, v38
	v_mul_lo_u32 v41, s35, v39
	v_add3_u32 v7, v41, v7, v40
	s_mov_b64 s[50:51], 0
	s_mov_b64 s[56:57], s[20:21]
                                        ; implicit-def: $sgpr52_sgpr53
                                        ; implicit-def: $sgpr54_sgpr55
                                        ; implicit-def: $sgpr16_sgpr17
                                        ; implicit-def: $sgpr58_sgpr59
	s_branch .LBB749_1191
.LBB749_1190:                           ;   in Loop: Header=BB749_1191 Depth=2
	s_or_b64 exec, exec, s[62:63]
	s_and_b64 s[62:63], exec, s[54:55]
	s_or_b64 s[50:51], s[62:63], s[50:51]
	s_andn2_b64 s[58:59], s[58:59], exec
	s_and_b64 s[60:61], s[60:61], exec
	s_or_b64 s[58:59], s[58:59], s[60:61]
	s_andn2_b64 s[52:53], s[52:53], exec
	s_and_b64 s[60:61], s[16:17], exec
	s_or_b64 s[52:53], s[52:53], s[60:61]
	s_andn2_b64 exec, exec, s[50:51]
	s_cbranch_execz .LBB749_1193
.LBB749_1191:                           ;   Parent Loop BB749_1142 Depth=1
                                        ; =>  This Inner Loop Header: Depth=2
	global_load_dwordx2 v[40:41], v[4:5], off
	global_load_dwordx2 v[42:43], v[6:7], off
	s_andn2_b64 s[62:63], s[16:17], exec
	s_or_b64 s[54:55], s[54:55], exec
	s_waitcnt vmcnt(0)
	v_cmp_ngt_f64_e64 s[16:17], v[40:41], v[42:43]
	v_cmp_lt_f64_e32 vcc, v[40:41], v[42:43]
	s_and_b64 s[60:61], s[16:17], s[58:59]
	s_or_b64 s[60:61], vcc, s[60:61]
	s_xor_b64 s[64:65], vcc, s[16:17]
	s_and_b64 s[16:17], s[60:61], exec
	s_or_b64 s[16:17], s[62:63], s[16:17]
	s_and_saveexec_b64 s[62:63], s[64:65]
	s_cbranch_execz .LBB749_1190
; %bb.1192:                             ;   in Loop: Header=BB749_1191 Depth=2
	s_add_u32 s56, s56, -1
	s_addc_u32 s57, s57, -1
	s_cmp_eq_u64 s[56:57], 0
	s_cselect_b64 s[58:59], -1, 0
	s_andn2_b64 s[54:55], s[54:55], exec
	s_and_b64 s[58:59], s[58:59], exec
	v_lshl_add_u64 v[4:5], v[4:5], 0, 8
	v_lshl_add_u64 v[6:7], v[6:7], 0, 8
	s_andn2_b64 s[16:17], s[16:17], exec
	s_or_b64 s[54:55], s[54:55], s[58:59]
                                        ; implicit-def: $sgpr58_sgpr59
	s_branch .LBB749_1190
.LBB749_1193:                           ;   in Loop: Header=BB749_1142 Depth=1
	s_or_b64 exec, exec, s[50:51]
	s_xor_b64 s[16:17], s[52:53], -1
	s_andn2_b64 s[44:45], s[44:45], exec
	s_and_b64 s[16:17], s[16:17], exec
	s_or_b64 s[44:45], s[44:45], s[16:17]
.LBB749_1194:                           ;   in Loop: Header=BB749_1142 Depth=1
	s_or_b64 exec, exec, s[48:49]
	s_orn2_b64 s[44:45], s[44:45], exec
.LBB749_1195:                           ;   in Loop: Header=BB749_1142 Depth=1
	s_or_b64 exec, exec, s[46:47]
	v_cndmask_b32_e64 v4, v8, v9, s[44:45]
	v_cndmask_b32_e64 v5, v33, v32, s[44:45]
	v_add_u32_e32 v6, 1, v4
	v_add_u32_e32 v4, -1, v5
	v_min_u32_e32 v4, v6, v4
	v_lshlrev_b32_e32 v4, 3, v4
	ds_read_b64 v[4:5], v4
	v_cndmask_b32_e64 v8, v6, v8, s[44:45]
	v_cndmask_b32_e64 v9, v9, v6, s[44:45]
	v_cmp_lt_u32_e32 vcc, v8, v33
	s_mov_b64 s[46:47], -1
	s_waitcnt lgkmcnt(0)
	v_cndmask_b32_e64 v40, v5, v36, s[44:45]
	v_cndmask_b32_e64 v41, v4, v37, s[44:45]
	;; [unrolled: 1-line block ×4, first 2 shown]
	s_mov_b64 s[48:49], -1
	s_and_saveexec_b64 s[50:51], vcc
	s_cbranch_execz .LBB749_1203
; %bb.1196:                             ;   in Loop: Header=BB749_1142 Depth=1
	v_cmp_lt_u32_e64 s[48:49], v9, v32
	s_and_b64 s[16:17], s[48:49], s[30:31]
	s_and_saveexec_b64 s[52:53], s[16:17]
	s_cbranch_execz .LBB749_1202
; %bb.1197:                             ;   in Loop: Header=BB749_1142 Depth=1
	v_mov_b64_e32 v[6:7], s[22:23]
	v_mad_u64_u32 v[4:5], s[16:17], s34, v41, v[6:7]
	v_mul_lo_u32 v44, s34, v40
	v_mul_lo_u32 v45, s35, v41
	v_add3_u32 v5, v45, v5, v44
	v_mad_u64_u32 v[6:7], s[16:17], s34, v43, v[6:7]
	v_mul_lo_u32 v44, s34, v42
	v_mul_lo_u32 v45, s35, v43
	v_add3_u32 v7, v45, v7, v44
	s_mov_b64 s[54:55], 0
	s_mov_b64 s[60:61], s[20:21]
                                        ; implicit-def: $sgpr56_sgpr57
                                        ; implicit-def: $sgpr58_sgpr59
                                        ; implicit-def: $sgpr16_sgpr17
                                        ; implicit-def: $sgpr62_sgpr63
	s_branch .LBB749_1199
.LBB749_1198:                           ;   in Loop: Header=BB749_1199 Depth=2
	s_or_b64 exec, exec, s[66:67]
	s_and_b64 s[66:67], exec, s[58:59]
	s_or_b64 s[54:55], s[66:67], s[54:55]
	s_andn2_b64 s[62:63], s[62:63], exec
	s_and_b64 s[64:65], s[64:65], exec
	s_or_b64 s[62:63], s[62:63], s[64:65]
	s_andn2_b64 s[56:57], s[56:57], exec
	s_and_b64 s[64:65], s[16:17], exec
	s_or_b64 s[56:57], s[56:57], s[64:65]
	s_andn2_b64 exec, exec, s[54:55]
	s_cbranch_execz .LBB749_1201
.LBB749_1199:                           ;   Parent Loop BB749_1142 Depth=1
                                        ; =>  This Inner Loop Header: Depth=2
	global_load_dwordx2 v[44:45], v[4:5], off
	global_load_dwordx2 v[46:47], v[6:7], off
	s_andn2_b64 s[66:67], s[16:17], exec
	s_or_b64 s[58:59], s[58:59], exec
	s_waitcnt vmcnt(0)
	v_cmp_ngt_f64_e64 s[16:17], v[44:45], v[46:47]
	v_cmp_lt_f64_e32 vcc, v[44:45], v[46:47]
	s_and_b64 s[64:65], s[16:17], s[62:63]
	s_or_b64 s[64:65], vcc, s[64:65]
	s_xor_b64 s[70:71], vcc, s[16:17]
	s_and_b64 s[16:17], s[64:65], exec
	s_or_b64 s[16:17], s[66:67], s[16:17]
	s_and_saveexec_b64 s[66:67], s[70:71]
	s_cbranch_execz .LBB749_1198
; %bb.1200:                             ;   in Loop: Header=BB749_1199 Depth=2
	s_add_u32 s60, s60, -1
	s_addc_u32 s61, s61, -1
	s_cmp_eq_u64 s[60:61], 0
	s_cselect_b64 s[62:63], -1, 0
	s_andn2_b64 s[58:59], s[58:59], exec
	s_and_b64 s[62:63], s[62:63], exec
	v_lshl_add_u64 v[4:5], v[4:5], 0, 8
	v_lshl_add_u64 v[6:7], v[6:7], 0, 8
	s_andn2_b64 s[16:17], s[16:17], exec
	s_or_b64 s[58:59], s[58:59], s[62:63]
                                        ; implicit-def: $sgpr62_sgpr63
	s_branch .LBB749_1198
.LBB749_1201:                           ;   in Loop: Header=BB749_1142 Depth=1
	s_or_b64 exec, exec, s[54:55]
	s_xor_b64 s[16:17], s[56:57], -1
	s_andn2_b64 s[48:49], s[48:49], exec
	s_and_b64 s[16:17], s[16:17], exec
	s_or_b64 s[48:49], s[48:49], s[16:17]
.LBB749_1202:                           ;   in Loop: Header=BB749_1142 Depth=1
	s_or_b64 exec, exec, s[52:53]
	s_orn2_b64 s[48:49], s[48:49], exec
.LBB749_1203:                           ;   in Loop: Header=BB749_1142 Depth=1
	s_or_b64 exec, exec, s[50:51]
	v_cndmask_b32_e64 v4, v8, v9, s[48:49]
	v_cndmask_b32_e64 v5, v33, v32, s[48:49]
	v_add_u32_e32 v6, 1, v4
	v_add_u32_e32 v4, -1, v5
	v_min_u32_e32 v4, v6, v4
	v_lshlrev_b32_e32 v4, 3, v4
	ds_read_b64 v[4:5], v4
	v_cndmask_b32_e64 v48, v6, v8, s[48:49]
	v_cndmask_b32_e64 v8, v9, v6, s[48:49]
	v_cmp_lt_u32_e32 vcc, v48, v33
	s_waitcnt lgkmcnt(0)
	v_cndmask_b32_e64 v44, v5, v40, s[48:49]
	v_cndmask_b32_e64 v45, v4, v41, s[48:49]
	;; [unrolled: 1-line block ×4, first 2 shown]
	s_and_saveexec_b64 s[50:51], vcc
	s_cbranch_execz .LBB749_1211
; %bb.1204:                             ;   in Loop: Header=BB749_1142 Depth=1
	v_cmp_lt_u32_e64 s[46:47], v8, v32
	s_and_b64 s[16:17], s[46:47], s[30:31]
	s_and_saveexec_b64 s[52:53], s[16:17]
	s_cbranch_execz .LBB749_1210
; %bb.1205:                             ;   in Loop: Header=BB749_1142 Depth=1
	v_mov_b64_e32 v[6:7], s[22:23]
	v_mad_u64_u32 v[4:5], s[16:17], s34, v45, v[6:7]
	v_mul_lo_u32 v9, s34, v44
	v_mul_lo_u32 v49, s35, v45
	v_add3_u32 v5, v49, v5, v9
	v_mad_u64_u32 v[6:7], s[16:17], s34, v47, v[6:7]
	v_mul_lo_u32 v9, s34, v46
	v_mul_lo_u32 v49, s35, v47
	v_add3_u32 v7, v49, v7, v9
	s_mov_b64 s[54:55], 0
	s_mov_b64 s[60:61], s[20:21]
                                        ; implicit-def: $sgpr56_sgpr57
                                        ; implicit-def: $sgpr58_sgpr59
                                        ; implicit-def: $sgpr16_sgpr17
                                        ; implicit-def: $sgpr62_sgpr63
	s_branch .LBB749_1207
.LBB749_1206:                           ;   in Loop: Header=BB749_1207 Depth=2
	s_or_b64 exec, exec, s[66:67]
	s_and_b64 s[66:67], exec, s[58:59]
	s_or_b64 s[54:55], s[66:67], s[54:55]
	s_andn2_b64 s[62:63], s[62:63], exec
	s_and_b64 s[64:65], s[64:65], exec
	s_or_b64 s[62:63], s[62:63], s[64:65]
	s_andn2_b64 s[56:57], s[56:57], exec
	s_and_b64 s[64:65], s[16:17], exec
	s_or_b64 s[56:57], s[56:57], s[64:65]
	s_andn2_b64 exec, exec, s[54:55]
	s_cbranch_execz .LBB749_1209
.LBB749_1207:                           ;   Parent Loop BB749_1142 Depth=1
                                        ; =>  This Inner Loop Header: Depth=2
	global_load_dwordx2 v[50:51], v[4:5], off
	global_load_dwordx2 v[52:53], v[6:7], off
	s_andn2_b64 s[66:67], s[16:17], exec
	s_or_b64 s[58:59], s[58:59], exec
	s_waitcnt vmcnt(0)
	v_cmp_ngt_f64_e64 s[16:17], v[50:51], v[52:53]
	v_cmp_lt_f64_e32 vcc, v[50:51], v[52:53]
	s_and_b64 s[64:65], s[16:17], s[62:63]
	s_or_b64 s[64:65], vcc, s[64:65]
	s_xor_b64 s[70:71], vcc, s[16:17]
	s_and_b64 s[16:17], s[64:65], exec
	s_or_b64 s[16:17], s[66:67], s[16:17]
	s_and_saveexec_b64 s[66:67], s[70:71]
	s_cbranch_execz .LBB749_1206
; %bb.1208:                             ;   in Loop: Header=BB749_1207 Depth=2
	s_add_u32 s60, s60, -1
	s_addc_u32 s61, s61, -1
	s_cmp_eq_u64 s[60:61], 0
	s_cselect_b64 s[62:63], -1, 0
	s_andn2_b64 s[58:59], s[58:59], exec
	s_and_b64 s[62:63], s[62:63], exec
	v_lshl_add_u64 v[4:5], v[4:5], 0, 8
	v_lshl_add_u64 v[6:7], v[6:7], 0, 8
	s_andn2_b64 s[16:17], s[16:17], exec
	s_or_b64 s[58:59], s[58:59], s[62:63]
                                        ; implicit-def: $sgpr62_sgpr63
	s_branch .LBB749_1206
.LBB749_1209:                           ;   in Loop: Header=BB749_1142 Depth=1
	s_or_b64 exec, exec, s[54:55]
	s_xor_b64 s[16:17], s[56:57], -1
	s_andn2_b64 s[46:47], s[46:47], exec
	s_and_b64 s[16:17], s[16:17], exec
	s_or_b64 s[46:47], s[46:47], s[16:17]
.LBB749_1210:                           ;   in Loop: Header=BB749_1142 Depth=1
	s_or_b64 exec, exec, s[52:53]
	s_orn2_b64 s[46:47], s[46:47], exec
.LBB749_1211:                           ;   in Loop: Header=BB749_1142 Depth=1
	s_or_b64 exec, exec, s[50:51]
	v_cndmask_b32_e64 v4, v48, v8, s[46:47]
	v_cndmask_b32_e64 v5, v33, v32, s[46:47]
	v_add_u32_e32 v9, 1, v4
	v_add_u32_e32 v4, -1, v5
	v_min_u32_e32 v4, v9, v4
	v_lshlrev_b32_e32 v4, 3, v4
	ds_read_b64 v[6:7], v4
	v_cndmask_b32_e64 v48, v9, v48, s[46:47]
	v_cmp_lt_u32_e32 vcc, v48, v33
	s_waitcnt lgkmcnt(0)
	v_cndmask_b32_e64 v5, v46, v7, s[46:47]
	v_cndmask_b32_e64 v4, v47, v6, s[46:47]
	s_and_saveexec_b64 s[50:51], vcc
	s_cbranch_execz .LBB749_1140
; %bb.1212:                             ;   in Loop: Header=BB749_1142 Depth=1
	v_cndmask_b32_e64 v48, v6, v45, s[46:47]
	v_cndmask_b32_e64 v6, v8, v9, s[46:47]
	;; [unrolled: 1-line block ×3, first 2 shown]
	v_cmp_ge_u32_e32 vcc, v6, v32
	s_nor_b64 s[16:17], vcc, s[28:29]
	s_nop 0
	v_cndmask_b32_e32 v7, v5, v33, vcc
	v_cndmask_b32_e32 v6, v4, v48, vcc
	s_and_saveexec_b64 s[52:53], s[16:17]
	s_cbranch_execz .LBB749_1139
; %bb.1213:                             ;   in Loop: Header=BB749_1142 Depth=1
	v_mov_b64_e32 v[8:9], s[22:23]
	v_mad_u64_u32 v[6:7], s[16:17], s34, v48, v[8:9]
	v_mul_lo_u32 v32, s34, v33
	v_mul_lo_u32 v49, s35, v48
	v_add3_u32 v7, v49, v7, v32
	v_mad_u64_u32 v[8:9], s[16:17], s34, v4, v[8:9]
	v_mul_lo_u32 v32, s34, v5
	v_mul_lo_u32 v49, s35, v4
	v_add3_u32 v9, v49, v9, v32
	s_mov_b64 s[54:55], 0
	s_mov_b64 s[60:61], s[20:21]
                                        ; implicit-def: $sgpr56_sgpr57
                                        ; implicit-def: $sgpr58_sgpr59
                                        ; implicit-def: $sgpr16_sgpr17
                                        ; implicit-def: $sgpr62_sgpr63
	s_branch .LBB749_1215
.LBB749_1214:                           ;   in Loop: Header=BB749_1215 Depth=2
	s_or_b64 exec, exec, s[66:67]
	s_and_b64 s[66:67], exec, s[58:59]
	s_or_b64 s[54:55], s[66:67], s[54:55]
	s_andn2_b64 s[62:63], s[62:63], exec
	s_and_b64 s[64:65], s[64:65], exec
	s_or_b64 s[62:63], s[62:63], s[64:65]
	s_andn2_b64 s[56:57], s[56:57], exec
	s_and_b64 s[64:65], s[16:17], exec
	s_or_b64 s[56:57], s[56:57], s[64:65]
	s_andn2_b64 exec, exec, s[54:55]
	s_cbranch_execz .LBB749_1138
.LBB749_1215:                           ;   Parent Loop BB749_1142 Depth=1
                                        ; =>  This Inner Loop Header: Depth=2
	global_load_dwordx2 v[50:51], v[6:7], off
	global_load_dwordx2 v[52:53], v[8:9], off
	s_andn2_b64 s[66:67], s[16:17], exec
	s_or_b64 s[58:59], s[58:59], exec
	s_waitcnt vmcnt(0)
	v_cmp_ngt_f64_e64 s[16:17], v[50:51], v[52:53]
	v_cmp_lt_f64_e32 vcc, v[50:51], v[52:53]
	s_and_b64 s[64:65], s[16:17], s[62:63]
	s_or_b64 s[64:65], vcc, s[64:65]
	s_xor_b64 s[70:71], vcc, s[16:17]
	s_and_b64 s[16:17], s[64:65], exec
	s_or_b64 s[16:17], s[66:67], s[16:17]
	s_and_saveexec_b64 s[66:67], s[70:71]
	s_cbranch_execz .LBB749_1214
; %bb.1216:                             ;   in Loop: Header=BB749_1215 Depth=2
	s_add_u32 s60, s60, -1
	s_addc_u32 s61, s61, -1
	s_cmp_eq_u64 s[60:61], 0
	s_cselect_b64 s[62:63], -1, 0
	s_andn2_b64 s[58:59], s[58:59], exec
	s_and_b64 s[62:63], s[62:63], exec
	v_lshl_add_u64 v[6:7], v[6:7], 0, 8
	v_lshl_add_u64 v[8:9], v[8:9], 0, 8
	s_andn2_b64 s[16:17], s[16:17], exec
	s_or_b64 s[58:59], s[58:59], s[62:63]
                                        ; implicit-def: $sgpr62_sgpr63
	s_branch .LBB749_1214
.LBB749_1217:
	s_barrier
	ds_write2_b64 v30, v[14:15], v[16:17] offset1:1
	ds_write2_b64 v30, v[10:11], v[12:13] offset0:2 offset1:3
	ds_write2_b64 v30, v[6:7], v[8:9] offset0:4 offset1:5
	ds_write2_b64 v30, v[2:3], v[4:5] offset0:6 offset1:7
	s_waitcnt lgkmcnt(0)
	s_barrier
	ds_read_b64 v[12:13], v21 offset:2048
	ds_read_b64 v[10:11], v24 offset:4096
	;; [unrolled: 1-line block ×7, first 2 shown]
	v_mov_b32_e32 v21, 0
	v_lshl_add_u64 v[2:3], s[24:25], 0, v[20:21]
	s_and_saveexec_b64 s[14:15], s[0:1]
	s_cbranch_execnz .LBB749_1229
; %bb.1218:
	s_or_b64 exec, exec, s[14:15]
	s_and_saveexec_b64 s[0:1], s[2:3]
	s_cbranch_execnz .LBB749_1230
.LBB749_1219:
	s_or_b64 exec, exec, s[0:1]
	s_and_saveexec_b64 s[0:1], s[4:5]
	s_cbranch_execnz .LBB749_1231
.LBB749_1220:
	s_or_b64 exec, exec, s[0:1]
	s_and_saveexec_b64 s[0:1], s[6:7]
	s_cbranch_execnz .LBB749_1232
.LBB749_1221:
	s_or_b64 exec, exec, s[0:1]
	s_and_saveexec_b64 s[0:1], s[8:9]
	s_cbranch_execnz .LBB749_1233
.LBB749_1222:
	s_or_b64 exec, exec, s[0:1]
	s_and_saveexec_b64 s[0:1], s[10:11]
	s_cbranch_execnz .LBB749_1234
.LBB749_1223:
	s_or_b64 exec, exec, s[0:1]
	s_and_saveexec_b64 s[0:1], s[12:13]
	s_cbranch_execz .LBB749_1225
.LBB749_1224:
	v_add_co_u32_e32 v2, vcc, 0x3000, v2
	s_nop 1
	v_addc_co_u32_e32 v3, vcc, 0, v3, vcc
	s_waitcnt lgkmcnt(1)
	global_store_dwordx2 v[2:3], v[0:1], off
.LBB749_1225:
	s_or_b64 exec, exec, s[0:1]
	v_mov_b32_e32 v19, v21
.LBB749_1226:
	s_and_saveexec_b64 s[0:1], s[26:27]
	s_cbranch_execz .LBB749_1228
; %bb.1227:
	s_waitcnt lgkmcnt(1)
	v_lshl_add_u64 v[0:1], v[18:19], 3, s[24:25]
	v_add_co_u32_e32 v0, vcc, 0x3000, v0
	s_nop 1
	v_addc_co_u32_e32 v1, vcc, 0, v1, vcc
	s_waitcnt lgkmcnt(0)
	global_store_dwordx2 v[0:1], v[14:15], off offset:2048
.LBB749_1228:
	s_endpgm
.LBB749_1229:
	ds_read_b64 v[16:17], v19
	s_waitcnt lgkmcnt(0)
	global_store_dwordx2 v[2:3], v[16:17], off
	s_or_b64 exec, exec, s[14:15]
	s_and_saveexec_b64 s[0:1], s[2:3]
	s_cbranch_execz .LBB749_1219
.LBB749_1230:
	s_waitcnt lgkmcnt(6)
	global_store_dwordx2 v[2:3], v[12:13], off offset:2048
	s_or_b64 exec, exec, s[0:1]
	s_and_saveexec_b64 s[0:1], s[4:5]
	s_cbranch_execz .LBB749_1220
.LBB749_1231:
	s_waitcnt lgkmcnt(6)
	v_add_co_u32_e32 v12, vcc, 0x1000, v2
	s_nop 1
	v_addc_co_u32_e32 v13, vcc, 0, v3, vcc
	s_waitcnt lgkmcnt(5)
	global_store_dwordx2 v[12:13], v[10:11], off
	s_or_b64 exec, exec, s[0:1]
	s_and_saveexec_b64 s[0:1], s[6:7]
	s_cbranch_execz .LBB749_1221
.LBB749_1232:
	s_waitcnt lgkmcnt(5)
	v_add_co_u32_e32 v10, vcc, 0x1000, v2
	s_nop 1
	v_addc_co_u32_e32 v11, vcc, 0, v3, vcc
	s_waitcnt lgkmcnt(4)
	global_store_dwordx2 v[10:11], v[8:9], off offset:2048
	s_or_b64 exec, exec, s[0:1]
	s_and_saveexec_b64 s[0:1], s[8:9]
	s_cbranch_execz .LBB749_1222
.LBB749_1233:
	s_waitcnt lgkmcnt(4)
	v_add_co_u32_e32 v8, vcc, 0x2000, v2
	s_nop 1
	v_addc_co_u32_e32 v9, vcc, 0, v3, vcc
	s_waitcnt lgkmcnt(3)
	global_store_dwordx2 v[8:9], v[6:7], off
	s_or_b64 exec, exec, s[0:1]
	s_and_saveexec_b64 s[0:1], s[10:11]
	s_cbranch_execz .LBB749_1223
.LBB749_1234:
	s_waitcnt lgkmcnt(3)
	v_add_co_u32_e32 v6, vcc, 0x2000, v2
	s_nop 1
	v_addc_co_u32_e32 v7, vcc, 0, v3, vcc
	s_waitcnt lgkmcnt(2)
	global_store_dwordx2 v[6:7], v[4:5], off offset:2048
	s_or_b64 exec, exec, s[0:1]
	s_and_saveexec_b64 s[0:1], s[12:13]
	s_cbranch_execnz .LBB749_1224
	s_branch .LBB749_1225
	.section	.rodata,"a",@progbits
	.p2align	6, 0x0
	.amdhsa_kernel _ZN7rocprim17ROCPRIM_400000_NS6detail17trampoline_kernelINS0_14default_configENS1_37merge_sort_block_sort_config_selectorIlNS0_10empty_typeEEEZNS1_21merge_sort_block_sortIS3_PlS8_PS5_S9_ZN2at6native12_GLOBAL__N_124unique_dim_cuda_templateIdEESt5tupleIJNSA_6TensorESF_SF_EERKSF_lbbbEUlllE_EE10hipError_tT0_T1_T2_T3_mRjT4_P12ihipStream_tbNS1_7vsmem_tEEUlT_E_NS1_11comp_targetILNS1_3genE0ELNS1_11target_archE4294967295ELNS1_3gpuE0ELNS1_3repE0EEENS1_30default_config_static_selectorELNS0_4arch9wavefront6targetE1EEEvSM_
		.amdhsa_group_segment_fixed_size 16896
		.amdhsa_private_segment_fixed_size 0
		.amdhsa_kernarg_size 328
		.amdhsa_user_sgpr_count 2
		.amdhsa_user_sgpr_dispatch_ptr 0
		.amdhsa_user_sgpr_queue_ptr 0
		.amdhsa_user_sgpr_kernarg_segment_ptr 1
		.amdhsa_user_sgpr_dispatch_id 0
		.amdhsa_user_sgpr_kernarg_preload_length 0
		.amdhsa_user_sgpr_kernarg_preload_offset 0
		.amdhsa_user_sgpr_private_segment_size 0
		.amdhsa_uses_dynamic_stack 0
		.amdhsa_enable_private_segment 0
		.amdhsa_system_sgpr_workgroup_id_x 1
		.amdhsa_system_sgpr_workgroup_id_y 1
		.amdhsa_system_sgpr_workgroup_id_z 1
		.amdhsa_system_sgpr_workgroup_info 0
		.amdhsa_system_vgpr_workitem_id 2
		.amdhsa_next_free_vgpr 58
		.amdhsa_next_free_sgpr 72
		.amdhsa_accum_offset 60
		.amdhsa_reserve_vcc 1
		.amdhsa_float_round_mode_32 0
		.amdhsa_float_round_mode_16_64 0
		.amdhsa_float_denorm_mode_32 3
		.amdhsa_float_denorm_mode_16_64 3
		.amdhsa_dx10_clamp 1
		.amdhsa_ieee_mode 1
		.amdhsa_fp16_overflow 0
		.amdhsa_tg_split 0
		.amdhsa_exception_fp_ieee_invalid_op 0
		.amdhsa_exception_fp_denorm_src 0
		.amdhsa_exception_fp_ieee_div_zero 0
		.amdhsa_exception_fp_ieee_overflow 0
		.amdhsa_exception_fp_ieee_underflow 0
		.amdhsa_exception_fp_ieee_inexact 0
		.amdhsa_exception_int_div_zero 0
	.end_amdhsa_kernel
	.section	.text._ZN7rocprim17ROCPRIM_400000_NS6detail17trampoline_kernelINS0_14default_configENS1_37merge_sort_block_sort_config_selectorIlNS0_10empty_typeEEEZNS1_21merge_sort_block_sortIS3_PlS8_PS5_S9_ZN2at6native12_GLOBAL__N_124unique_dim_cuda_templateIdEESt5tupleIJNSA_6TensorESF_SF_EERKSF_lbbbEUlllE_EE10hipError_tT0_T1_T2_T3_mRjT4_P12ihipStream_tbNS1_7vsmem_tEEUlT_E_NS1_11comp_targetILNS1_3genE0ELNS1_11target_archE4294967295ELNS1_3gpuE0ELNS1_3repE0EEENS1_30default_config_static_selectorELNS0_4arch9wavefront6targetE1EEEvSM_,"axG",@progbits,_ZN7rocprim17ROCPRIM_400000_NS6detail17trampoline_kernelINS0_14default_configENS1_37merge_sort_block_sort_config_selectorIlNS0_10empty_typeEEEZNS1_21merge_sort_block_sortIS3_PlS8_PS5_S9_ZN2at6native12_GLOBAL__N_124unique_dim_cuda_templateIdEESt5tupleIJNSA_6TensorESF_SF_EERKSF_lbbbEUlllE_EE10hipError_tT0_T1_T2_T3_mRjT4_P12ihipStream_tbNS1_7vsmem_tEEUlT_E_NS1_11comp_targetILNS1_3genE0ELNS1_11target_archE4294967295ELNS1_3gpuE0ELNS1_3repE0EEENS1_30default_config_static_selectorELNS0_4arch9wavefront6targetE1EEEvSM_,comdat
.Lfunc_end749:
	.size	_ZN7rocprim17ROCPRIM_400000_NS6detail17trampoline_kernelINS0_14default_configENS1_37merge_sort_block_sort_config_selectorIlNS0_10empty_typeEEEZNS1_21merge_sort_block_sortIS3_PlS8_PS5_S9_ZN2at6native12_GLOBAL__N_124unique_dim_cuda_templateIdEESt5tupleIJNSA_6TensorESF_SF_EERKSF_lbbbEUlllE_EE10hipError_tT0_T1_T2_T3_mRjT4_P12ihipStream_tbNS1_7vsmem_tEEUlT_E_NS1_11comp_targetILNS1_3genE0ELNS1_11target_archE4294967295ELNS1_3gpuE0ELNS1_3repE0EEENS1_30default_config_static_selectorELNS0_4arch9wavefront6targetE1EEEvSM_, .Lfunc_end749-_ZN7rocprim17ROCPRIM_400000_NS6detail17trampoline_kernelINS0_14default_configENS1_37merge_sort_block_sort_config_selectorIlNS0_10empty_typeEEEZNS1_21merge_sort_block_sortIS3_PlS8_PS5_S9_ZN2at6native12_GLOBAL__N_124unique_dim_cuda_templateIdEESt5tupleIJNSA_6TensorESF_SF_EERKSF_lbbbEUlllE_EE10hipError_tT0_T1_T2_T3_mRjT4_P12ihipStream_tbNS1_7vsmem_tEEUlT_E_NS1_11comp_targetILNS1_3genE0ELNS1_11target_archE4294967295ELNS1_3gpuE0ELNS1_3repE0EEENS1_30default_config_static_selectorELNS0_4arch9wavefront6targetE1EEEvSM_
                                        ; -- End function
	.set _ZN7rocprim17ROCPRIM_400000_NS6detail17trampoline_kernelINS0_14default_configENS1_37merge_sort_block_sort_config_selectorIlNS0_10empty_typeEEEZNS1_21merge_sort_block_sortIS3_PlS8_PS5_S9_ZN2at6native12_GLOBAL__N_124unique_dim_cuda_templateIdEESt5tupleIJNSA_6TensorESF_SF_EERKSF_lbbbEUlllE_EE10hipError_tT0_T1_T2_T3_mRjT4_P12ihipStream_tbNS1_7vsmem_tEEUlT_E_NS1_11comp_targetILNS1_3genE0ELNS1_11target_archE4294967295ELNS1_3gpuE0ELNS1_3repE0EEENS1_30default_config_static_selectorELNS0_4arch9wavefront6targetE1EEEvSM_.num_vgpr, 58
	.set _ZN7rocprim17ROCPRIM_400000_NS6detail17trampoline_kernelINS0_14default_configENS1_37merge_sort_block_sort_config_selectorIlNS0_10empty_typeEEEZNS1_21merge_sort_block_sortIS3_PlS8_PS5_S9_ZN2at6native12_GLOBAL__N_124unique_dim_cuda_templateIdEESt5tupleIJNSA_6TensorESF_SF_EERKSF_lbbbEUlllE_EE10hipError_tT0_T1_T2_T3_mRjT4_P12ihipStream_tbNS1_7vsmem_tEEUlT_E_NS1_11comp_targetILNS1_3genE0ELNS1_11target_archE4294967295ELNS1_3gpuE0ELNS1_3repE0EEENS1_30default_config_static_selectorELNS0_4arch9wavefront6targetE1EEEvSM_.num_agpr, 0
	.set _ZN7rocprim17ROCPRIM_400000_NS6detail17trampoline_kernelINS0_14default_configENS1_37merge_sort_block_sort_config_selectorIlNS0_10empty_typeEEEZNS1_21merge_sort_block_sortIS3_PlS8_PS5_S9_ZN2at6native12_GLOBAL__N_124unique_dim_cuda_templateIdEESt5tupleIJNSA_6TensorESF_SF_EERKSF_lbbbEUlllE_EE10hipError_tT0_T1_T2_T3_mRjT4_P12ihipStream_tbNS1_7vsmem_tEEUlT_E_NS1_11comp_targetILNS1_3genE0ELNS1_11target_archE4294967295ELNS1_3gpuE0ELNS1_3repE0EEENS1_30default_config_static_selectorELNS0_4arch9wavefront6targetE1EEEvSM_.numbered_sgpr, 72
	.set _ZN7rocprim17ROCPRIM_400000_NS6detail17trampoline_kernelINS0_14default_configENS1_37merge_sort_block_sort_config_selectorIlNS0_10empty_typeEEEZNS1_21merge_sort_block_sortIS3_PlS8_PS5_S9_ZN2at6native12_GLOBAL__N_124unique_dim_cuda_templateIdEESt5tupleIJNSA_6TensorESF_SF_EERKSF_lbbbEUlllE_EE10hipError_tT0_T1_T2_T3_mRjT4_P12ihipStream_tbNS1_7vsmem_tEEUlT_E_NS1_11comp_targetILNS1_3genE0ELNS1_11target_archE4294967295ELNS1_3gpuE0ELNS1_3repE0EEENS1_30default_config_static_selectorELNS0_4arch9wavefront6targetE1EEEvSM_.num_named_barrier, 0
	.set _ZN7rocprim17ROCPRIM_400000_NS6detail17trampoline_kernelINS0_14default_configENS1_37merge_sort_block_sort_config_selectorIlNS0_10empty_typeEEEZNS1_21merge_sort_block_sortIS3_PlS8_PS5_S9_ZN2at6native12_GLOBAL__N_124unique_dim_cuda_templateIdEESt5tupleIJNSA_6TensorESF_SF_EERKSF_lbbbEUlllE_EE10hipError_tT0_T1_T2_T3_mRjT4_P12ihipStream_tbNS1_7vsmem_tEEUlT_E_NS1_11comp_targetILNS1_3genE0ELNS1_11target_archE4294967295ELNS1_3gpuE0ELNS1_3repE0EEENS1_30default_config_static_selectorELNS0_4arch9wavefront6targetE1EEEvSM_.private_seg_size, 0
	.set _ZN7rocprim17ROCPRIM_400000_NS6detail17trampoline_kernelINS0_14default_configENS1_37merge_sort_block_sort_config_selectorIlNS0_10empty_typeEEEZNS1_21merge_sort_block_sortIS3_PlS8_PS5_S9_ZN2at6native12_GLOBAL__N_124unique_dim_cuda_templateIdEESt5tupleIJNSA_6TensorESF_SF_EERKSF_lbbbEUlllE_EE10hipError_tT0_T1_T2_T3_mRjT4_P12ihipStream_tbNS1_7vsmem_tEEUlT_E_NS1_11comp_targetILNS1_3genE0ELNS1_11target_archE4294967295ELNS1_3gpuE0ELNS1_3repE0EEENS1_30default_config_static_selectorELNS0_4arch9wavefront6targetE1EEEvSM_.uses_vcc, 1
	.set _ZN7rocprim17ROCPRIM_400000_NS6detail17trampoline_kernelINS0_14default_configENS1_37merge_sort_block_sort_config_selectorIlNS0_10empty_typeEEEZNS1_21merge_sort_block_sortIS3_PlS8_PS5_S9_ZN2at6native12_GLOBAL__N_124unique_dim_cuda_templateIdEESt5tupleIJNSA_6TensorESF_SF_EERKSF_lbbbEUlllE_EE10hipError_tT0_T1_T2_T3_mRjT4_P12ihipStream_tbNS1_7vsmem_tEEUlT_E_NS1_11comp_targetILNS1_3genE0ELNS1_11target_archE4294967295ELNS1_3gpuE0ELNS1_3repE0EEENS1_30default_config_static_selectorELNS0_4arch9wavefront6targetE1EEEvSM_.uses_flat_scratch, 0
	.set _ZN7rocprim17ROCPRIM_400000_NS6detail17trampoline_kernelINS0_14default_configENS1_37merge_sort_block_sort_config_selectorIlNS0_10empty_typeEEEZNS1_21merge_sort_block_sortIS3_PlS8_PS5_S9_ZN2at6native12_GLOBAL__N_124unique_dim_cuda_templateIdEESt5tupleIJNSA_6TensorESF_SF_EERKSF_lbbbEUlllE_EE10hipError_tT0_T1_T2_T3_mRjT4_P12ihipStream_tbNS1_7vsmem_tEEUlT_E_NS1_11comp_targetILNS1_3genE0ELNS1_11target_archE4294967295ELNS1_3gpuE0ELNS1_3repE0EEENS1_30default_config_static_selectorELNS0_4arch9wavefront6targetE1EEEvSM_.has_dyn_sized_stack, 0
	.set _ZN7rocprim17ROCPRIM_400000_NS6detail17trampoline_kernelINS0_14default_configENS1_37merge_sort_block_sort_config_selectorIlNS0_10empty_typeEEEZNS1_21merge_sort_block_sortIS3_PlS8_PS5_S9_ZN2at6native12_GLOBAL__N_124unique_dim_cuda_templateIdEESt5tupleIJNSA_6TensorESF_SF_EERKSF_lbbbEUlllE_EE10hipError_tT0_T1_T2_T3_mRjT4_P12ihipStream_tbNS1_7vsmem_tEEUlT_E_NS1_11comp_targetILNS1_3genE0ELNS1_11target_archE4294967295ELNS1_3gpuE0ELNS1_3repE0EEENS1_30default_config_static_selectorELNS0_4arch9wavefront6targetE1EEEvSM_.has_recursion, 0
	.set _ZN7rocprim17ROCPRIM_400000_NS6detail17trampoline_kernelINS0_14default_configENS1_37merge_sort_block_sort_config_selectorIlNS0_10empty_typeEEEZNS1_21merge_sort_block_sortIS3_PlS8_PS5_S9_ZN2at6native12_GLOBAL__N_124unique_dim_cuda_templateIdEESt5tupleIJNSA_6TensorESF_SF_EERKSF_lbbbEUlllE_EE10hipError_tT0_T1_T2_T3_mRjT4_P12ihipStream_tbNS1_7vsmem_tEEUlT_E_NS1_11comp_targetILNS1_3genE0ELNS1_11target_archE4294967295ELNS1_3gpuE0ELNS1_3repE0EEENS1_30default_config_static_selectorELNS0_4arch9wavefront6targetE1EEEvSM_.has_indirect_call, 0
	.section	.AMDGPU.csdata,"",@progbits
; Kernel info:
; codeLenInByte = 60044
; TotalNumSgprs: 78
; NumVgprs: 58
; NumAgprs: 0
; TotalNumVgprs: 58
; ScratchSize: 0
; MemoryBound: 0
; FloatMode: 240
; IeeeMode: 1
; LDSByteSize: 16896 bytes/workgroup (compile time only)
; SGPRBlocks: 9
; VGPRBlocks: 7
; NumSGPRsForWavesPerEU: 78
; NumVGPRsForWavesPerEU: 58
; AccumOffset: 60
; Occupancy: 8
; WaveLimiterHint : 1
; COMPUTE_PGM_RSRC2:SCRATCH_EN: 0
; COMPUTE_PGM_RSRC2:USER_SGPR: 2
; COMPUTE_PGM_RSRC2:TRAP_HANDLER: 0
; COMPUTE_PGM_RSRC2:TGID_X_EN: 1
; COMPUTE_PGM_RSRC2:TGID_Y_EN: 1
; COMPUTE_PGM_RSRC2:TGID_Z_EN: 1
; COMPUTE_PGM_RSRC2:TIDIG_COMP_CNT: 2
; COMPUTE_PGM_RSRC3_GFX90A:ACCUM_OFFSET: 14
; COMPUTE_PGM_RSRC3_GFX90A:TG_SPLIT: 0
	.section	.text._ZN7rocprim17ROCPRIM_400000_NS6detail17trampoline_kernelINS0_14default_configENS1_37merge_sort_block_sort_config_selectorIlNS0_10empty_typeEEEZNS1_21merge_sort_block_sortIS3_PlS8_PS5_S9_ZN2at6native12_GLOBAL__N_124unique_dim_cuda_templateIdEESt5tupleIJNSA_6TensorESF_SF_EERKSF_lbbbEUlllE_EE10hipError_tT0_T1_T2_T3_mRjT4_P12ihipStream_tbNS1_7vsmem_tEEUlT_E_NS1_11comp_targetILNS1_3genE5ELNS1_11target_archE942ELNS1_3gpuE9ELNS1_3repE0EEENS1_30default_config_static_selectorELNS0_4arch9wavefront6targetE1EEEvSM_,"axG",@progbits,_ZN7rocprim17ROCPRIM_400000_NS6detail17trampoline_kernelINS0_14default_configENS1_37merge_sort_block_sort_config_selectorIlNS0_10empty_typeEEEZNS1_21merge_sort_block_sortIS3_PlS8_PS5_S9_ZN2at6native12_GLOBAL__N_124unique_dim_cuda_templateIdEESt5tupleIJNSA_6TensorESF_SF_EERKSF_lbbbEUlllE_EE10hipError_tT0_T1_T2_T3_mRjT4_P12ihipStream_tbNS1_7vsmem_tEEUlT_E_NS1_11comp_targetILNS1_3genE5ELNS1_11target_archE942ELNS1_3gpuE9ELNS1_3repE0EEENS1_30default_config_static_selectorELNS0_4arch9wavefront6targetE1EEEvSM_,comdat
	.globl	_ZN7rocprim17ROCPRIM_400000_NS6detail17trampoline_kernelINS0_14default_configENS1_37merge_sort_block_sort_config_selectorIlNS0_10empty_typeEEEZNS1_21merge_sort_block_sortIS3_PlS8_PS5_S9_ZN2at6native12_GLOBAL__N_124unique_dim_cuda_templateIdEESt5tupleIJNSA_6TensorESF_SF_EERKSF_lbbbEUlllE_EE10hipError_tT0_T1_T2_T3_mRjT4_P12ihipStream_tbNS1_7vsmem_tEEUlT_E_NS1_11comp_targetILNS1_3genE5ELNS1_11target_archE942ELNS1_3gpuE9ELNS1_3repE0EEENS1_30default_config_static_selectorELNS0_4arch9wavefront6targetE1EEEvSM_ ; -- Begin function _ZN7rocprim17ROCPRIM_400000_NS6detail17trampoline_kernelINS0_14default_configENS1_37merge_sort_block_sort_config_selectorIlNS0_10empty_typeEEEZNS1_21merge_sort_block_sortIS3_PlS8_PS5_S9_ZN2at6native12_GLOBAL__N_124unique_dim_cuda_templateIdEESt5tupleIJNSA_6TensorESF_SF_EERKSF_lbbbEUlllE_EE10hipError_tT0_T1_T2_T3_mRjT4_P12ihipStream_tbNS1_7vsmem_tEEUlT_E_NS1_11comp_targetILNS1_3genE5ELNS1_11target_archE942ELNS1_3gpuE9ELNS1_3repE0EEENS1_30default_config_static_selectorELNS0_4arch9wavefront6targetE1EEEvSM_
	.p2align	8
	.type	_ZN7rocprim17ROCPRIM_400000_NS6detail17trampoline_kernelINS0_14default_configENS1_37merge_sort_block_sort_config_selectorIlNS0_10empty_typeEEEZNS1_21merge_sort_block_sortIS3_PlS8_PS5_S9_ZN2at6native12_GLOBAL__N_124unique_dim_cuda_templateIdEESt5tupleIJNSA_6TensorESF_SF_EERKSF_lbbbEUlllE_EE10hipError_tT0_T1_T2_T3_mRjT4_P12ihipStream_tbNS1_7vsmem_tEEUlT_E_NS1_11comp_targetILNS1_3genE5ELNS1_11target_archE942ELNS1_3gpuE9ELNS1_3repE0EEENS1_30default_config_static_selectorELNS0_4arch9wavefront6targetE1EEEvSM_,@function
_ZN7rocprim17ROCPRIM_400000_NS6detail17trampoline_kernelINS0_14default_configENS1_37merge_sort_block_sort_config_selectorIlNS0_10empty_typeEEEZNS1_21merge_sort_block_sortIS3_PlS8_PS5_S9_ZN2at6native12_GLOBAL__N_124unique_dim_cuda_templateIdEESt5tupleIJNSA_6TensorESF_SF_EERKSF_lbbbEUlllE_EE10hipError_tT0_T1_T2_T3_mRjT4_P12ihipStream_tbNS1_7vsmem_tEEUlT_E_NS1_11comp_targetILNS1_3genE5ELNS1_11target_archE942ELNS1_3gpuE9ELNS1_3repE0EEENS1_30default_config_static_selectorELNS0_4arch9wavefront6targetE1EEEvSM_: ; @_ZN7rocprim17ROCPRIM_400000_NS6detail17trampoline_kernelINS0_14default_configENS1_37merge_sort_block_sort_config_selectorIlNS0_10empty_typeEEEZNS1_21merge_sort_block_sortIS3_PlS8_PS5_S9_ZN2at6native12_GLOBAL__N_124unique_dim_cuda_templateIdEESt5tupleIJNSA_6TensorESF_SF_EERKSF_lbbbEUlllE_EE10hipError_tT0_T1_T2_T3_mRjT4_P12ihipStream_tbNS1_7vsmem_tEEUlT_E_NS1_11comp_targetILNS1_3genE5ELNS1_11target_archE942ELNS1_3gpuE9ELNS1_3repE0EEENS1_30default_config_static_selectorELNS0_4arch9wavefront6targetE1EEEvSM_
; %bb.0:
	.section	.rodata,"a",@progbits
	.p2align	6, 0x0
	.amdhsa_kernel _ZN7rocprim17ROCPRIM_400000_NS6detail17trampoline_kernelINS0_14default_configENS1_37merge_sort_block_sort_config_selectorIlNS0_10empty_typeEEEZNS1_21merge_sort_block_sortIS3_PlS8_PS5_S9_ZN2at6native12_GLOBAL__N_124unique_dim_cuda_templateIdEESt5tupleIJNSA_6TensorESF_SF_EERKSF_lbbbEUlllE_EE10hipError_tT0_T1_T2_T3_mRjT4_P12ihipStream_tbNS1_7vsmem_tEEUlT_E_NS1_11comp_targetILNS1_3genE5ELNS1_11target_archE942ELNS1_3gpuE9ELNS1_3repE0EEENS1_30default_config_static_selectorELNS0_4arch9wavefront6targetE1EEEvSM_
		.amdhsa_group_segment_fixed_size 0
		.amdhsa_private_segment_fixed_size 0
		.amdhsa_kernarg_size 72
		.amdhsa_user_sgpr_count 2
		.amdhsa_user_sgpr_dispatch_ptr 0
		.amdhsa_user_sgpr_queue_ptr 0
		.amdhsa_user_sgpr_kernarg_segment_ptr 1
		.amdhsa_user_sgpr_dispatch_id 0
		.amdhsa_user_sgpr_kernarg_preload_length 0
		.amdhsa_user_sgpr_kernarg_preload_offset 0
		.amdhsa_user_sgpr_private_segment_size 0
		.amdhsa_uses_dynamic_stack 0
		.amdhsa_enable_private_segment 0
		.amdhsa_system_sgpr_workgroup_id_x 1
		.amdhsa_system_sgpr_workgroup_id_y 0
		.amdhsa_system_sgpr_workgroup_id_z 0
		.amdhsa_system_sgpr_workgroup_info 0
		.amdhsa_system_vgpr_workitem_id 0
		.amdhsa_next_free_vgpr 1
		.amdhsa_next_free_sgpr 0
		.amdhsa_accum_offset 4
		.amdhsa_reserve_vcc 0
		.amdhsa_float_round_mode_32 0
		.amdhsa_float_round_mode_16_64 0
		.amdhsa_float_denorm_mode_32 3
		.amdhsa_float_denorm_mode_16_64 3
		.amdhsa_dx10_clamp 1
		.amdhsa_ieee_mode 1
		.amdhsa_fp16_overflow 0
		.amdhsa_tg_split 0
		.amdhsa_exception_fp_ieee_invalid_op 0
		.amdhsa_exception_fp_denorm_src 0
		.amdhsa_exception_fp_ieee_div_zero 0
		.amdhsa_exception_fp_ieee_overflow 0
		.amdhsa_exception_fp_ieee_underflow 0
		.amdhsa_exception_fp_ieee_inexact 0
		.amdhsa_exception_int_div_zero 0
	.end_amdhsa_kernel
	.section	.text._ZN7rocprim17ROCPRIM_400000_NS6detail17trampoline_kernelINS0_14default_configENS1_37merge_sort_block_sort_config_selectorIlNS0_10empty_typeEEEZNS1_21merge_sort_block_sortIS3_PlS8_PS5_S9_ZN2at6native12_GLOBAL__N_124unique_dim_cuda_templateIdEESt5tupleIJNSA_6TensorESF_SF_EERKSF_lbbbEUlllE_EE10hipError_tT0_T1_T2_T3_mRjT4_P12ihipStream_tbNS1_7vsmem_tEEUlT_E_NS1_11comp_targetILNS1_3genE5ELNS1_11target_archE942ELNS1_3gpuE9ELNS1_3repE0EEENS1_30default_config_static_selectorELNS0_4arch9wavefront6targetE1EEEvSM_,"axG",@progbits,_ZN7rocprim17ROCPRIM_400000_NS6detail17trampoline_kernelINS0_14default_configENS1_37merge_sort_block_sort_config_selectorIlNS0_10empty_typeEEEZNS1_21merge_sort_block_sortIS3_PlS8_PS5_S9_ZN2at6native12_GLOBAL__N_124unique_dim_cuda_templateIdEESt5tupleIJNSA_6TensorESF_SF_EERKSF_lbbbEUlllE_EE10hipError_tT0_T1_T2_T3_mRjT4_P12ihipStream_tbNS1_7vsmem_tEEUlT_E_NS1_11comp_targetILNS1_3genE5ELNS1_11target_archE942ELNS1_3gpuE9ELNS1_3repE0EEENS1_30default_config_static_selectorELNS0_4arch9wavefront6targetE1EEEvSM_,comdat
.Lfunc_end750:
	.size	_ZN7rocprim17ROCPRIM_400000_NS6detail17trampoline_kernelINS0_14default_configENS1_37merge_sort_block_sort_config_selectorIlNS0_10empty_typeEEEZNS1_21merge_sort_block_sortIS3_PlS8_PS5_S9_ZN2at6native12_GLOBAL__N_124unique_dim_cuda_templateIdEESt5tupleIJNSA_6TensorESF_SF_EERKSF_lbbbEUlllE_EE10hipError_tT0_T1_T2_T3_mRjT4_P12ihipStream_tbNS1_7vsmem_tEEUlT_E_NS1_11comp_targetILNS1_3genE5ELNS1_11target_archE942ELNS1_3gpuE9ELNS1_3repE0EEENS1_30default_config_static_selectorELNS0_4arch9wavefront6targetE1EEEvSM_, .Lfunc_end750-_ZN7rocprim17ROCPRIM_400000_NS6detail17trampoline_kernelINS0_14default_configENS1_37merge_sort_block_sort_config_selectorIlNS0_10empty_typeEEEZNS1_21merge_sort_block_sortIS3_PlS8_PS5_S9_ZN2at6native12_GLOBAL__N_124unique_dim_cuda_templateIdEESt5tupleIJNSA_6TensorESF_SF_EERKSF_lbbbEUlllE_EE10hipError_tT0_T1_T2_T3_mRjT4_P12ihipStream_tbNS1_7vsmem_tEEUlT_E_NS1_11comp_targetILNS1_3genE5ELNS1_11target_archE942ELNS1_3gpuE9ELNS1_3repE0EEENS1_30default_config_static_selectorELNS0_4arch9wavefront6targetE1EEEvSM_
                                        ; -- End function
	.set _ZN7rocprim17ROCPRIM_400000_NS6detail17trampoline_kernelINS0_14default_configENS1_37merge_sort_block_sort_config_selectorIlNS0_10empty_typeEEEZNS1_21merge_sort_block_sortIS3_PlS8_PS5_S9_ZN2at6native12_GLOBAL__N_124unique_dim_cuda_templateIdEESt5tupleIJNSA_6TensorESF_SF_EERKSF_lbbbEUlllE_EE10hipError_tT0_T1_T2_T3_mRjT4_P12ihipStream_tbNS1_7vsmem_tEEUlT_E_NS1_11comp_targetILNS1_3genE5ELNS1_11target_archE942ELNS1_3gpuE9ELNS1_3repE0EEENS1_30default_config_static_selectorELNS0_4arch9wavefront6targetE1EEEvSM_.num_vgpr, 0
	.set _ZN7rocprim17ROCPRIM_400000_NS6detail17trampoline_kernelINS0_14default_configENS1_37merge_sort_block_sort_config_selectorIlNS0_10empty_typeEEEZNS1_21merge_sort_block_sortIS3_PlS8_PS5_S9_ZN2at6native12_GLOBAL__N_124unique_dim_cuda_templateIdEESt5tupleIJNSA_6TensorESF_SF_EERKSF_lbbbEUlllE_EE10hipError_tT0_T1_T2_T3_mRjT4_P12ihipStream_tbNS1_7vsmem_tEEUlT_E_NS1_11comp_targetILNS1_3genE5ELNS1_11target_archE942ELNS1_3gpuE9ELNS1_3repE0EEENS1_30default_config_static_selectorELNS0_4arch9wavefront6targetE1EEEvSM_.num_agpr, 0
	.set _ZN7rocprim17ROCPRIM_400000_NS6detail17trampoline_kernelINS0_14default_configENS1_37merge_sort_block_sort_config_selectorIlNS0_10empty_typeEEEZNS1_21merge_sort_block_sortIS3_PlS8_PS5_S9_ZN2at6native12_GLOBAL__N_124unique_dim_cuda_templateIdEESt5tupleIJNSA_6TensorESF_SF_EERKSF_lbbbEUlllE_EE10hipError_tT0_T1_T2_T3_mRjT4_P12ihipStream_tbNS1_7vsmem_tEEUlT_E_NS1_11comp_targetILNS1_3genE5ELNS1_11target_archE942ELNS1_3gpuE9ELNS1_3repE0EEENS1_30default_config_static_selectorELNS0_4arch9wavefront6targetE1EEEvSM_.numbered_sgpr, 0
	.set _ZN7rocprim17ROCPRIM_400000_NS6detail17trampoline_kernelINS0_14default_configENS1_37merge_sort_block_sort_config_selectorIlNS0_10empty_typeEEEZNS1_21merge_sort_block_sortIS3_PlS8_PS5_S9_ZN2at6native12_GLOBAL__N_124unique_dim_cuda_templateIdEESt5tupleIJNSA_6TensorESF_SF_EERKSF_lbbbEUlllE_EE10hipError_tT0_T1_T2_T3_mRjT4_P12ihipStream_tbNS1_7vsmem_tEEUlT_E_NS1_11comp_targetILNS1_3genE5ELNS1_11target_archE942ELNS1_3gpuE9ELNS1_3repE0EEENS1_30default_config_static_selectorELNS0_4arch9wavefront6targetE1EEEvSM_.num_named_barrier, 0
	.set _ZN7rocprim17ROCPRIM_400000_NS6detail17trampoline_kernelINS0_14default_configENS1_37merge_sort_block_sort_config_selectorIlNS0_10empty_typeEEEZNS1_21merge_sort_block_sortIS3_PlS8_PS5_S9_ZN2at6native12_GLOBAL__N_124unique_dim_cuda_templateIdEESt5tupleIJNSA_6TensorESF_SF_EERKSF_lbbbEUlllE_EE10hipError_tT0_T1_T2_T3_mRjT4_P12ihipStream_tbNS1_7vsmem_tEEUlT_E_NS1_11comp_targetILNS1_3genE5ELNS1_11target_archE942ELNS1_3gpuE9ELNS1_3repE0EEENS1_30default_config_static_selectorELNS0_4arch9wavefront6targetE1EEEvSM_.private_seg_size, 0
	.set _ZN7rocprim17ROCPRIM_400000_NS6detail17trampoline_kernelINS0_14default_configENS1_37merge_sort_block_sort_config_selectorIlNS0_10empty_typeEEEZNS1_21merge_sort_block_sortIS3_PlS8_PS5_S9_ZN2at6native12_GLOBAL__N_124unique_dim_cuda_templateIdEESt5tupleIJNSA_6TensorESF_SF_EERKSF_lbbbEUlllE_EE10hipError_tT0_T1_T2_T3_mRjT4_P12ihipStream_tbNS1_7vsmem_tEEUlT_E_NS1_11comp_targetILNS1_3genE5ELNS1_11target_archE942ELNS1_3gpuE9ELNS1_3repE0EEENS1_30default_config_static_selectorELNS0_4arch9wavefront6targetE1EEEvSM_.uses_vcc, 0
	.set _ZN7rocprim17ROCPRIM_400000_NS6detail17trampoline_kernelINS0_14default_configENS1_37merge_sort_block_sort_config_selectorIlNS0_10empty_typeEEEZNS1_21merge_sort_block_sortIS3_PlS8_PS5_S9_ZN2at6native12_GLOBAL__N_124unique_dim_cuda_templateIdEESt5tupleIJNSA_6TensorESF_SF_EERKSF_lbbbEUlllE_EE10hipError_tT0_T1_T2_T3_mRjT4_P12ihipStream_tbNS1_7vsmem_tEEUlT_E_NS1_11comp_targetILNS1_3genE5ELNS1_11target_archE942ELNS1_3gpuE9ELNS1_3repE0EEENS1_30default_config_static_selectorELNS0_4arch9wavefront6targetE1EEEvSM_.uses_flat_scratch, 0
	.set _ZN7rocprim17ROCPRIM_400000_NS6detail17trampoline_kernelINS0_14default_configENS1_37merge_sort_block_sort_config_selectorIlNS0_10empty_typeEEEZNS1_21merge_sort_block_sortIS3_PlS8_PS5_S9_ZN2at6native12_GLOBAL__N_124unique_dim_cuda_templateIdEESt5tupleIJNSA_6TensorESF_SF_EERKSF_lbbbEUlllE_EE10hipError_tT0_T1_T2_T3_mRjT4_P12ihipStream_tbNS1_7vsmem_tEEUlT_E_NS1_11comp_targetILNS1_3genE5ELNS1_11target_archE942ELNS1_3gpuE9ELNS1_3repE0EEENS1_30default_config_static_selectorELNS0_4arch9wavefront6targetE1EEEvSM_.has_dyn_sized_stack, 0
	.set _ZN7rocprim17ROCPRIM_400000_NS6detail17trampoline_kernelINS0_14default_configENS1_37merge_sort_block_sort_config_selectorIlNS0_10empty_typeEEEZNS1_21merge_sort_block_sortIS3_PlS8_PS5_S9_ZN2at6native12_GLOBAL__N_124unique_dim_cuda_templateIdEESt5tupleIJNSA_6TensorESF_SF_EERKSF_lbbbEUlllE_EE10hipError_tT0_T1_T2_T3_mRjT4_P12ihipStream_tbNS1_7vsmem_tEEUlT_E_NS1_11comp_targetILNS1_3genE5ELNS1_11target_archE942ELNS1_3gpuE9ELNS1_3repE0EEENS1_30default_config_static_selectorELNS0_4arch9wavefront6targetE1EEEvSM_.has_recursion, 0
	.set _ZN7rocprim17ROCPRIM_400000_NS6detail17trampoline_kernelINS0_14default_configENS1_37merge_sort_block_sort_config_selectorIlNS0_10empty_typeEEEZNS1_21merge_sort_block_sortIS3_PlS8_PS5_S9_ZN2at6native12_GLOBAL__N_124unique_dim_cuda_templateIdEESt5tupleIJNSA_6TensorESF_SF_EERKSF_lbbbEUlllE_EE10hipError_tT0_T1_T2_T3_mRjT4_P12ihipStream_tbNS1_7vsmem_tEEUlT_E_NS1_11comp_targetILNS1_3genE5ELNS1_11target_archE942ELNS1_3gpuE9ELNS1_3repE0EEENS1_30default_config_static_selectorELNS0_4arch9wavefront6targetE1EEEvSM_.has_indirect_call, 0
	.section	.AMDGPU.csdata,"",@progbits
; Kernel info:
; codeLenInByte = 0
; TotalNumSgprs: 6
; NumVgprs: 0
; NumAgprs: 0
; TotalNumVgprs: 0
; ScratchSize: 0
; MemoryBound: 0
; FloatMode: 240
; IeeeMode: 1
; LDSByteSize: 0 bytes/workgroup (compile time only)
; SGPRBlocks: 0
; VGPRBlocks: 0
; NumSGPRsForWavesPerEU: 6
; NumVGPRsForWavesPerEU: 1
; AccumOffset: 4
; Occupancy: 8
; WaveLimiterHint : 0
; COMPUTE_PGM_RSRC2:SCRATCH_EN: 0
; COMPUTE_PGM_RSRC2:USER_SGPR: 2
; COMPUTE_PGM_RSRC2:TRAP_HANDLER: 0
; COMPUTE_PGM_RSRC2:TGID_X_EN: 1
; COMPUTE_PGM_RSRC2:TGID_Y_EN: 0
; COMPUTE_PGM_RSRC2:TGID_Z_EN: 0
; COMPUTE_PGM_RSRC2:TIDIG_COMP_CNT: 0
; COMPUTE_PGM_RSRC3_GFX90A:ACCUM_OFFSET: 0
; COMPUTE_PGM_RSRC3_GFX90A:TG_SPLIT: 0
	.section	.text._ZN7rocprim17ROCPRIM_400000_NS6detail17trampoline_kernelINS0_14default_configENS1_37merge_sort_block_sort_config_selectorIlNS0_10empty_typeEEEZNS1_21merge_sort_block_sortIS3_PlS8_PS5_S9_ZN2at6native12_GLOBAL__N_124unique_dim_cuda_templateIdEESt5tupleIJNSA_6TensorESF_SF_EERKSF_lbbbEUlllE_EE10hipError_tT0_T1_T2_T3_mRjT4_P12ihipStream_tbNS1_7vsmem_tEEUlT_E_NS1_11comp_targetILNS1_3genE4ELNS1_11target_archE910ELNS1_3gpuE8ELNS1_3repE0EEENS1_30default_config_static_selectorELNS0_4arch9wavefront6targetE1EEEvSM_,"axG",@progbits,_ZN7rocprim17ROCPRIM_400000_NS6detail17trampoline_kernelINS0_14default_configENS1_37merge_sort_block_sort_config_selectorIlNS0_10empty_typeEEEZNS1_21merge_sort_block_sortIS3_PlS8_PS5_S9_ZN2at6native12_GLOBAL__N_124unique_dim_cuda_templateIdEESt5tupleIJNSA_6TensorESF_SF_EERKSF_lbbbEUlllE_EE10hipError_tT0_T1_T2_T3_mRjT4_P12ihipStream_tbNS1_7vsmem_tEEUlT_E_NS1_11comp_targetILNS1_3genE4ELNS1_11target_archE910ELNS1_3gpuE8ELNS1_3repE0EEENS1_30default_config_static_selectorELNS0_4arch9wavefront6targetE1EEEvSM_,comdat
	.globl	_ZN7rocprim17ROCPRIM_400000_NS6detail17trampoline_kernelINS0_14default_configENS1_37merge_sort_block_sort_config_selectorIlNS0_10empty_typeEEEZNS1_21merge_sort_block_sortIS3_PlS8_PS5_S9_ZN2at6native12_GLOBAL__N_124unique_dim_cuda_templateIdEESt5tupleIJNSA_6TensorESF_SF_EERKSF_lbbbEUlllE_EE10hipError_tT0_T1_T2_T3_mRjT4_P12ihipStream_tbNS1_7vsmem_tEEUlT_E_NS1_11comp_targetILNS1_3genE4ELNS1_11target_archE910ELNS1_3gpuE8ELNS1_3repE0EEENS1_30default_config_static_selectorELNS0_4arch9wavefront6targetE1EEEvSM_ ; -- Begin function _ZN7rocprim17ROCPRIM_400000_NS6detail17trampoline_kernelINS0_14default_configENS1_37merge_sort_block_sort_config_selectorIlNS0_10empty_typeEEEZNS1_21merge_sort_block_sortIS3_PlS8_PS5_S9_ZN2at6native12_GLOBAL__N_124unique_dim_cuda_templateIdEESt5tupleIJNSA_6TensorESF_SF_EERKSF_lbbbEUlllE_EE10hipError_tT0_T1_T2_T3_mRjT4_P12ihipStream_tbNS1_7vsmem_tEEUlT_E_NS1_11comp_targetILNS1_3genE4ELNS1_11target_archE910ELNS1_3gpuE8ELNS1_3repE0EEENS1_30default_config_static_selectorELNS0_4arch9wavefront6targetE1EEEvSM_
	.p2align	8
	.type	_ZN7rocprim17ROCPRIM_400000_NS6detail17trampoline_kernelINS0_14default_configENS1_37merge_sort_block_sort_config_selectorIlNS0_10empty_typeEEEZNS1_21merge_sort_block_sortIS3_PlS8_PS5_S9_ZN2at6native12_GLOBAL__N_124unique_dim_cuda_templateIdEESt5tupleIJNSA_6TensorESF_SF_EERKSF_lbbbEUlllE_EE10hipError_tT0_T1_T2_T3_mRjT4_P12ihipStream_tbNS1_7vsmem_tEEUlT_E_NS1_11comp_targetILNS1_3genE4ELNS1_11target_archE910ELNS1_3gpuE8ELNS1_3repE0EEENS1_30default_config_static_selectorELNS0_4arch9wavefront6targetE1EEEvSM_,@function
_ZN7rocprim17ROCPRIM_400000_NS6detail17trampoline_kernelINS0_14default_configENS1_37merge_sort_block_sort_config_selectorIlNS0_10empty_typeEEEZNS1_21merge_sort_block_sortIS3_PlS8_PS5_S9_ZN2at6native12_GLOBAL__N_124unique_dim_cuda_templateIdEESt5tupleIJNSA_6TensorESF_SF_EERKSF_lbbbEUlllE_EE10hipError_tT0_T1_T2_T3_mRjT4_P12ihipStream_tbNS1_7vsmem_tEEUlT_E_NS1_11comp_targetILNS1_3genE4ELNS1_11target_archE910ELNS1_3gpuE8ELNS1_3repE0EEENS1_30default_config_static_selectorELNS0_4arch9wavefront6targetE1EEEvSM_: ; @_ZN7rocprim17ROCPRIM_400000_NS6detail17trampoline_kernelINS0_14default_configENS1_37merge_sort_block_sort_config_selectorIlNS0_10empty_typeEEEZNS1_21merge_sort_block_sortIS3_PlS8_PS5_S9_ZN2at6native12_GLOBAL__N_124unique_dim_cuda_templateIdEESt5tupleIJNSA_6TensorESF_SF_EERKSF_lbbbEUlllE_EE10hipError_tT0_T1_T2_T3_mRjT4_P12ihipStream_tbNS1_7vsmem_tEEUlT_E_NS1_11comp_targetILNS1_3genE4ELNS1_11target_archE910ELNS1_3gpuE8ELNS1_3repE0EEENS1_30default_config_static_selectorELNS0_4arch9wavefront6targetE1EEEvSM_
; %bb.0:
	.section	.rodata,"a",@progbits
	.p2align	6, 0x0
	.amdhsa_kernel _ZN7rocprim17ROCPRIM_400000_NS6detail17trampoline_kernelINS0_14default_configENS1_37merge_sort_block_sort_config_selectorIlNS0_10empty_typeEEEZNS1_21merge_sort_block_sortIS3_PlS8_PS5_S9_ZN2at6native12_GLOBAL__N_124unique_dim_cuda_templateIdEESt5tupleIJNSA_6TensorESF_SF_EERKSF_lbbbEUlllE_EE10hipError_tT0_T1_T2_T3_mRjT4_P12ihipStream_tbNS1_7vsmem_tEEUlT_E_NS1_11comp_targetILNS1_3genE4ELNS1_11target_archE910ELNS1_3gpuE8ELNS1_3repE0EEENS1_30default_config_static_selectorELNS0_4arch9wavefront6targetE1EEEvSM_
		.amdhsa_group_segment_fixed_size 0
		.amdhsa_private_segment_fixed_size 0
		.amdhsa_kernarg_size 72
		.amdhsa_user_sgpr_count 2
		.amdhsa_user_sgpr_dispatch_ptr 0
		.amdhsa_user_sgpr_queue_ptr 0
		.amdhsa_user_sgpr_kernarg_segment_ptr 1
		.amdhsa_user_sgpr_dispatch_id 0
		.amdhsa_user_sgpr_kernarg_preload_length 0
		.amdhsa_user_sgpr_kernarg_preload_offset 0
		.amdhsa_user_sgpr_private_segment_size 0
		.amdhsa_uses_dynamic_stack 0
		.amdhsa_enable_private_segment 0
		.amdhsa_system_sgpr_workgroup_id_x 1
		.amdhsa_system_sgpr_workgroup_id_y 0
		.amdhsa_system_sgpr_workgroup_id_z 0
		.amdhsa_system_sgpr_workgroup_info 0
		.amdhsa_system_vgpr_workitem_id 0
		.amdhsa_next_free_vgpr 1
		.amdhsa_next_free_sgpr 0
		.amdhsa_accum_offset 4
		.amdhsa_reserve_vcc 0
		.amdhsa_float_round_mode_32 0
		.amdhsa_float_round_mode_16_64 0
		.amdhsa_float_denorm_mode_32 3
		.amdhsa_float_denorm_mode_16_64 3
		.amdhsa_dx10_clamp 1
		.amdhsa_ieee_mode 1
		.amdhsa_fp16_overflow 0
		.amdhsa_tg_split 0
		.amdhsa_exception_fp_ieee_invalid_op 0
		.amdhsa_exception_fp_denorm_src 0
		.amdhsa_exception_fp_ieee_div_zero 0
		.amdhsa_exception_fp_ieee_overflow 0
		.amdhsa_exception_fp_ieee_underflow 0
		.amdhsa_exception_fp_ieee_inexact 0
		.amdhsa_exception_int_div_zero 0
	.end_amdhsa_kernel
	.section	.text._ZN7rocprim17ROCPRIM_400000_NS6detail17trampoline_kernelINS0_14default_configENS1_37merge_sort_block_sort_config_selectorIlNS0_10empty_typeEEEZNS1_21merge_sort_block_sortIS3_PlS8_PS5_S9_ZN2at6native12_GLOBAL__N_124unique_dim_cuda_templateIdEESt5tupleIJNSA_6TensorESF_SF_EERKSF_lbbbEUlllE_EE10hipError_tT0_T1_T2_T3_mRjT4_P12ihipStream_tbNS1_7vsmem_tEEUlT_E_NS1_11comp_targetILNS1_3genE4ELNS1_11target_archE910ELNS1_3gpuE8ELNS1_3repE0EEENS1_30default_config_static_selectorELNS0_4arch9wavefront6targetE1EEEvSM_,"axG",@progbits,_ZN7rocprim17ROCPRIM_400000_NS6detail17trampoline_kernelINS0_14default_configENS1_37merge_sort_block_sort_config_selectorIlNS0_10empty_typeEEEZNS1_21merge_sort_block_sortIS3_PlS8_PS5_S9_ZN2at6native12_GLOBAL__N_124unique_dim_cuda_templateIdEESt5tupleIJNSA_6TensorESF_SF_EERKSF_lbbbEUlllE_EE10hipError_tT0_T1_T2_T3_mRjT4_P12ihipStream_tbNS1_7vsmem_tEEUlT_E_NS1_11comp_targetILNS1_3genE4ELNS1_11target_archE910ELNS1_3gpuE8ELNS1_3repE0EEENS1_30default_config_static_selectorELNS0_4arch9wavefront6targetE1EEEvSM_,comdat
.Lfunc_end751:
	.size	_ZN7rocprim17ROCPRIM_400000_NS6detail17trampoline_kernelINS0_14default_configENS1_37merge_sort_block_sort_config_selectorIlNS0_10empty_typeEEEZNS1_21merge_sort_block_sortIS3_PlS8_PS5_S9_ZN2at6native12_GLOBAL__N_124unique_dim_cuda_templateIdEESt5tupleIJNSA_6TensorESF_SF_EERKSF_lbbbEUlllE_EE10hipError_tT0_T1_T2_T3_mRjT4_P12ihipStream_tbNS1_7vsmem_tEEUlT_E_NS1_11comp_targetILNS1_3genE4ELNS1_11target_archE910ELNS1_3gpuE8ELNS1_3repE0EEENS1_30default_config_static_selectorELNS0_4arch9wavefront6targetE1EEEvSM_, .Lfunc_end751-_ZN7rocprim17ROCPRIM_400000_NS6detail17trampoline_kernelINS0_14default_configENS1_37merge_sort_block_sort_config_selectorIlNS0_10empty_typeEEEZNS1_21merge_sort_block_sortIS3_PlS8_PS5_S9_ZN2at6native12_GLOBAL__N_124unique_dim_cuda_templateIdEESt5tupleIJNSA_6TensorESF_SF_EERKSF_lbbbEUlllE_EE10hipError_tT0_T1_T2_T3_mRjT4_P12ihipStream_tbNS1_7vsmem_tEEUlT_E_NS1_11comp_targetILNS1_3genE4ELNS1_11target_archE910ELNS1_3gpuE8ELNS1_3repE0EEENS1_30default_config_static_selectorELNS0_4arch9wavefront6targetE1EEEvSM_
                                        ; -- End function
	.set _ZN7rocprim17ROCPRIM_400000_NS6detail17trampoline_kernelINS0_14default_configENS1_37merge_sort_block_sort_config_selectorIlNS0_10empty_typeEEEZNS1_21merge_sort_block_sortIS3_PlS8_PS5_S9_ZN2at6native12_GLOBAL__N_124unique_dim_cuda_templateIdEESt5tupleIJNSA_6TensorESF_SF_EERKSF_lbbbEUlllE_EE10hipError_tT0_T1_T2_T3_mRjT4_P12ihipStream_tbNS1_7vsmem_tEEUlT_E_NS1_11comp_targetILNS1_3genE4ELNS1_11target_archE910ELNS1_3gpuE8ELNS1_3repE0EEENS1_30default_config_static_selectorELNS0_4arch9wavefront6targetE1EEEvSM_.num_vgpr, 0
	.set _ZN7rocprim17ROCPRIM_400000_NS6detail17trampoline_kernelINS0_14default_configENS1_37merge_sort_block_sort_config_selectorIlNS0_10empty_typeEEEZNS1_21merge_sort_block_sortIS3_PlS8_PS5_S9_ZN2at6native12_GLOBAL__N_124unique_dim_cuda_templateIdEESt5tupleIJNSA_6TensorESF_SF_EERKSF_lbbbEUlllE_EE10hipError_tT0_T1_T2_T3_mRjT4_P12ihipStream_tbNS1_7vsmem_tEEUlT_E_NS1_11comp_targetILNS1_3genE4ELNS1_11target_archE910ELNS1_3gpuE8ELNS1_3repE0EEENS1_30default_config_static_selectorELNS0_4arch9wavefront6targetE1EEEvSM_.num_agpr, 0
	.set _ZN7rocprim17ROCPRIM_400000_NS6detail17trampoline_kernelINS0_14default_configENS1_37merge_sort_block_sort_config_selectorIlNS0_10empty_typeEEEZNS1_21merge_sort_block_sortIS3_PlS8_PS5_S9_ZN2at6native12_GLOBAL__N_124unique_dim_cuda_templateIdEESt5tupleIJNSA_6TensorESF_SF_EERKSF_lbbbEUlllE_EE10hipError_tT0_T1_T2_T3_mRjT4_P12ihipStream_tbNS1_7vsmem_tEEUlT_E_NS1_11comp_targetILNS1_3genE4ELNS1_11target_archE910ELNS1_3gpuE8ELNS1_3repE0EEENS1_30default_config_static_selectorELNS0_4arch9wavefront6targetE1EEEvSM_.numbered_sgpr, 0
	.set _ZN7rocprim17ROCPRIM_400000_NS6detail17trampoline_kernelINS0_14default_configENS1_37merge_sort_block_sort_config_selectorIlNS0_10empty_typeEEEZNS1_21merge_sort_block_sortIS3_PlS8_PS5_S9_ZN2at6native12_GLOBAL__N_124unique_dim_cuda_templateIdEESt5tupleIJNSA_6TensorESF_SF_EERKSF_lbbbEUlllE_EE10hipError_tT0_T1_T2_T3_mRjT4_P12ihipStream_tbNS1_7vsmem_tEEUlT_E_NS1_11comp_targetILNS1_3genE4ELNS1_11target_archE910ELNS1_3gpuE8ELNS1_3repE0EEENS1_30default_config_static_selectorELNS0_4arch9wavefront6targetE1EEEvSM_.num_named_barrier, 0
	.set _ZN7rocprim17ROCPRIM_400000_NS6detail17trampoline_kernelINS0_14default_configENS1_37merge_sort_block_sort_config_selectorIlNS0_10empty_typeEEEZNS1_21merge_sort_block_sortIS3_PlS8_PS5_S9_ZN2at6native12_GLOBAL__N_124unique_dim_cuda_templateIdEESt5tupleIJNSA_6TensorESF_SF_EERKSF_lbbbEUlllE_EE10hipError_tT0_T1_T2_T3_mRjT4_P12ihipStream_tbNS1_7vsmem_tEEUlT_E_NS1_11comp_targetILNS1_3genE4ELNS1_11target_archE910ELNS1_3gpuE8ELNS1_3repE0EEENS1_30default_config_static_selectorELNS0_4arch9wavefront6targetE1EEEvSM_.private_seg_size, 0
	.set _ZN7rocprim17ROCPRIM_400000_NS6detail17trampoline_kernelINS0_14default_configENS1_37merge_sort_block_sort_config_selectorIlNS0_10empty_typeEEEZNS1_21merge_sort_block_sortIS3_PlS8_PS5_S9_ZN2at6native12_GLOBAL__N_124unique_dim_cuda_templateIdEESt5tupleIJNSA_6TensorESF_SF_EERKSF_lbbbEUlllE_EE10hipError_tT0_T1_T2_T3_mRjT4_P12ihipStream_tbNS1_7vsmem_tEEUlT_E_NS1_11comp_targetILNS1_3genE4ELNS1_11target_archE910ELNS1_3gpuE8ELNS1_3repE0EEENS1_30default_config_static_selectorELNS0_4arch9wavefront6targetE1EEEvSM_.uses_vcc, 0
	.set _ZN7rocprim17ROCPRIM_400000_NS6detail17trampoline_kernelINS0_14default_configENS1_37merge_sort_block_sort_config_selectorIlNS0_10empty_typeEEEZNS1_21merge_sort_block_sortIS3_PlS8_PS5_S9_ZN2at6native12_GLOBAL__N_124unique_dim_cuda_templateIdEESt5tupleIJNSA_6TensorESF_SF_EERKSF_lbbbEUlllE_EE10hipError_tT0_T1_T2_T3_mRjT4_P12ihipStream_tbNS1_7vsmem_tEEUlT_E_NS1_11comp_targetILNS1_3genE4ELNS1_11target_archE910ELNS1_3gpuE8ELNS1_3repE0EEENS1_30default_config_static_selectorELNS0_4arch9wavefront6targetE1EEEvSM_.uses_flat_scratch, 0
	.set _ZN7rocprim17ROCPRIM_400000_NS6detail17trampoline_kernelINS0_14default_configENS1_37merge_sort_block_sort_config_selectorIlNS0_10empty_typeEEEZNS1_21merge_sort_block_sortIS3_PlS8_PS5_S9_ZN2at6native12_GLOBAL__N_124unique_dim_cuda_templateIdEESt5tupleIJNSA_6TensorESF_SF_EERKSF_lbbbEUlllE_EE10hipError_tT0_T1_T2_T3_mRjT4_P12ihipStream_tbNS1_7vsmem_tEEUlT_E_NS1_11comp_targetILNS1_3genE4ELNS1_11target_archE910ELNS1_3gpuE8ELNS1_3repE0EEENS1_30default_config_static_selectorELNS0_4arch9wavefront6targetE1EEEvSM_.has_dyn_sized_stack, 0
	.set _ZN7rocprim17ROCPRIM_400000_NS6detail17trampoline_kernelINS0_14default_configENS1_37merge_sort_block_sort_config_selectorIlNS0_10empty_typeEEEZNS1_21merge_sort_block_sortIS3_PlS8_PS5_S9_ZN2at6native12_GLOBAL__N_124unique_dim_cuda_templateIdEESt5tupleIJNSA_6TensorESF_SF_EERKSF_lbbbEUlllE_EE10hipError_tT0_T1_T2_T3_mRjT4_P12ihipStream_tbNS1_7vsmem_tEEUlT_E_NS1_11comp_targetILNS1_3genE4ELNS1_11target_archE910ELNS1_3gpuE8ELNS1_3repE0EEENS1_30default_config_static_selectorELNS0_4arch9wavefront6targetE1EEEvSM_.has_recursion, 0
	.set _ZN7rocprim17ROCPRIM_400000_NS6detail17trampoline_kernelINS0_14default_configENS1_37merge_sort_block_sort_config_selectorIlNS0_10empty_typeEEEZNS1_21merge_sort_block_sortIS3_PlS8_PS5_S9_ZN2at6native12_GLOBAL__N_124unique_dim_cuda_templateIdEESt5tupleIJNSA_6TensorESF_SF_EERKSF_lbbbEUlllE_EE10hipError_tT0_T1_T2_T3_mRjT4_P12ihipStream_tbNS1_7vsmem_tEEUlT_E_NS1_11comp_targetILNS1_3genE4ELNS1_11target_archE910ELNS1_3gpuE8ELNS1_3repE0EEENS1_30default_config_static_selectorELNS0_4arch9wavefront6targetE1EEEvSM_.has_indirect_call, 0
	.section	.AMDGPU.csdata,"",@progbits
; Kernel info:
; codeLenInByte = 0
; TotalNumSgprs: 6
; NumVgprs: 0
; NumAgprs: 0
; TotalNumVgprs: 0
; ScratchSize: 0
; MemoryBound: 0
; FloatMode: 240
; IeeeMode: 1
; LDSByteSize: 0 bytes/workgroup (compile time only)
; SGPRBlocks: 0
; VGPRBlocks: 0
; NumSGPRsForWavesPerEU: 6
; NumVGPRsForWavesPerEU: 1
; AccumOffset: 4
; Occupancy: 8
; WaveLimiterHint : 0
; COMPUTE_PGM_RSRC2:SCRATCH_EN: 0
; COMPUTE_PGM_RSRC2:USER_SGPR: 2
; COMPUTE_PGM_RSRC2:TRAP_HANDLER: 0
; COMPUTE_PGM_RSRC2:TGID_X_EN: 1
; COMPUTE_PGM_RSRC2:TGID_Y_EN: 0
; COMPUTE_PGM_RSRC2:TGID_Z_EN: 0
; COMPUTE_PGM_RSRC2:TIDIG_COMP_CNT: 0
; COMPUTE_PGM_RSRC3_GFX90A:ACCUM_OFFSET: 0
; COMPUTE_PGM_RSRC3_GFX90A:TG_SPLIT: 0
	.section	.text._ZN7rocprim17ROCPRIM_400000_NS6detail17trampoline_kernelINS0_14default_configENS1_37merge_sort_block_sort_config_selectorIlNS0_10empty_typeEEEZNS1_21merge_sort_block_sortIS3_PlS8_PS5_S9_ZN2at6native12_GLOBAL__N_124unique_dim_cuda_templateIdEESt5tupleIJNSA_6TensorESF_SF_EERKSF_lbbbEUlllE_EE10hipError_tT0_T1_T2_T3_mRjT4_P12ihipStream_tbNS1_7vsmem_tEEUlT_E_NS1_11comp_targetILNS1_3genE3ELNS1_11target_archE908ELNS1_3gpuE7ELNS1_3repE0EEENS1_30default_config_static_selectorELNS0_4arch9wavefront6targetE1EEEvSM_,"axG",@progbits,_ZN7rocprim17ROCPRIM_400000_NS6detail17trampoline_kernelINS0_14default_configENS1_37merge_sort_block_sort_config_selectorIlNS0_10empty_typeEEEZNS1_21merge_sort_block_sortIS3_PlS8_PS5_S9_ZN2at6native12_GLOBAL__N_124unique_dim_cuda_templateIdEESt5tupleIJNSA_6TensorESF_SF_EERKSF_lbbbEUlllE_EE10hipError_tT0_T1_T2_T3_mRjT4_P12ihipStream_tbNS1_7vsmem_tEEUlT_E_NS1_11comp_targetILNS1_3genE3ELNS1_11target_archE908ELNS1_3gpuE7ELNS1_3repE0EEENS1_30default_config_static_selectorELNS0_4arch9wavefront6targetE1EEEvSM_,comdat
	.globl	_ZN7rocprim17ROCPRIM_400000_NS6detail17trampoline_kernelINS0_14default_configENS1_37merge_sort_block_sort_config_selectorIlNS0_10empty_typeEEEZNS1_21merge_sort_block_sortIS3_PlS8_PS5_S9_ZN2at6native12_GLOBAL__N_124unique_dim_cuda_templateIdEESt5tupleIJNSA_6TensorESF_SF_EERKSF_lbbbEUlllE_EE10hipError_tT0_T1_T2_T3_mRjT4_P12ihipStream_tbNS1_7vsmem_tEEUlT_E_NS1_11comp_targetILNS1_3genE3ELNS1_11target_archE908ELNS1_3gpuE7ELNS1_3repE0EEENS1_30default_config_static_selectorELNS0_4arch9wavefront6targetE1EEEvSM_ ; -- Begin function _ZN7rocprim17ROCPRIM_400000_NS6detail17trampoline_kernelINS0_14default_configENS1_37merge_sort_block_sort_config_selectorIlNS0_10empty_typeEEEZNS1_21merge_sort_block_sortIS3_PlS8_PS5_S9_ZN2at6native12_GLOBAL__N_124unique_dim_cuda_templateIdEESt5tupleIJNSA_6TensorESF_SF_EERKSF_lbbbEUlllE_EE10hipError_tT0_T1_T2_T3_mRjT4_P12ihipStream_tbNS1_7vsmem_tEEUlT_E_NS1_11comp_targetILNS1_3genE3ELNS1_11target_archE908ELNS1_3gpuE7ELNS1_3repE0EEENS1_30default_config_static_selectorELNS0_4arch9wavefront6targetE1EEEvSM_
	.p2align	8
	.type	_ZN7rocprim17ROCPRIM_400000_NS6detail17trampoline_kernelINS0_14default_configENS1_37merge_sort_block_sort_config_selectorIlNS0_10empty_typeEEEZNS1_21merge_sort_block_sortIS3_PlS8_PS5_S9_ZN2at6native12_GLOBAL__N_124unique_dim_cuda_templateIdEESt5tupleIJNSA_6TensorESF_SF_EERKSF_lbbbEUlllE_EE10hipError_tT0_T1_T2_T3_mRjT4_P12ihipStream_tbNS1_7vsmem_tEEUlT_E_NS1_11comp_targetILNS1_3genE3ELNS1_11target_archE908ELNS1_3gpuE7ELNS1_3repE0EEENS1_30default_config_static_selectorELNS0_4arch9wavefront6targetE1EEEvSM_,@function
_ZN7rocprim17ROCPRIM_400000_NS6detail17trampoline_kernelINS0_14default_configENS1_37merge_sort_block_sort_config_selectorIlNS0_10empty_typeEEEZNS1_21merge_sort_block_sortIS3_PlS8_PS5_S9_ZN2at6native12_GLOBAL__N_124unique_dim_cuda_templateIdEESt5tupleIJNSA_6TensorESF_SF_EERKSF_lbbbEUlllE_EE10hipError_tT0_T1_T2_T3_mRjT4_P12ihipStream_tbNS1_7vsmem_tEEUlT_E_NS1_11comp_targetILNS1_3genE3ELNS1_11target_archE908ELNS1_3gpuE7ELNS1_3repE0EEENS1_30default_config_static_selectorELNS0_4arch9wavefront6targetE1EEEvSM_: ; @_ZN7rocprim17ROCPRIM_400000_NS6detail17trampoline_kernelINS0_14default_configENS1_37merge_sort_block_sort_config_selectorIlNS0_10empty_typeEEEZNS1_21merge_sort_block_sortIS3_PlS8_PS5_S9_ZN2at6native12_GLOBAL__N_124unique_dim_cuda_templateIdEESt5tupleIJNSA_6TensorESF_SF_EERKSF_lbbbEUlllE_EE10hipError_tT0_T1_T2_T3_mRjT4_P12ihipStream_tbNS1_7vsmem_tEEUlT_E_NS1_11comp_targetILNS1_3genE3ELNS1_11target_archE908ELNS1_3gpuE7ELNS1_3repE0EEENS1_30default_config_static_selectorELNS0_4arch9wavefront6targetE1EEEvSM_
; %bb.0:
	.section	.rodata,"a",@progbits
	.p2align	6, 0x0
	.amdhsa_kernel _ZN7rocprim17ROCPRIM_400000_NS6detail17trampoline_kernelINS0_14default_configENS1_37merge_sort_block_sort_config_selectorIlNS0_10empty_typeEEEZNS1_21merge_sort_block_sortIS3_PlS8_PS5_S9_ZN2at6native12_GLOBAL__N_124unique_dim_cuda_templateIdEESt5tupleIJNSA_6TensorESF_SF_EERKSF_lbbbEUlllE_EE10hipError_tT0_T1_T2_T3_mRjT4_P12ihipStream_tbNS1_7vsmem_tEEUlT_E_NS1_11comp_targetILNS1_3genE3ELNS1_11target_archE908ELNS1_3gpuE7ELNS1_3repE0EEENS1_30default_config_static_selectorELNS0_4arch9wavefront6targetE1EEEvSM_
		.amdhsa_group_segment_fixed_size 0
		.amdhsa_private_segment_fixed_size 0
		.amdhsa_kernarg_size 72
		.amdhsa_user_sgpr_count 2
		.amdhsa_user_sgpr_dispatch_ptr 0
		.amdhsa_user_sgpr_queue_ptr 0
		.amdhsa_user_sgpr_kernarg_segment_ptr 1
		.amdhsa_user_sgpr_dispatch_id 0
		.amdhsa_user_sgpr_kernarg_preload_length 0
		.amdhsa_user_sgpr_kernarg_preload_offset 0
		.amdhsa_user_sgpr_private_segment_size 0
		.amdhsa_uses_dynamic_stack 0
		.amdhsa_enable_private_segment 0
		.amdhsa_system_sgpr_workgroup_id_x 1
		.amdhsa_system_sgpr_workgroup_id_y 0
		.amdhsa_system_sgpr_workgroup_id_z 0
		.amdhsa_system_sgpr_workgroup_info 0
		.amdhsa_system_vgpr_workitem_id 0
		.amdhsa_next_free_vgpr 1
		.amdhsa_next_free_sgpr 0
		.amdhsa_accum_offset 4
		.amdhsa_reserve_vcc 0
		.amdhsa_float_round_mode_32 0
		.amdhsa_float_round_mode_16_64 0
		.amdhsa_float_denorm_mode_32 3
		.amdhsa_float_denorm_mode_16_64 3
		.amdhsa_dx10_clamp 1
		.amdhsa_ieee_mode 1
		.amdhsa_fp16_overflow 0
		.amdhsa_tg_split 0
		.amdhsa_exception_fp_ieee_invalid_op 0
		.amdhsa_exception_fp_denorm_src 0
		.amdhsa_exception_fp_ieee_div_zero 0
		.amdhsa_exception_fp_ieee_overflow 0
		.amdhsa_exception_fp_ieee_underflow 0
		.amdhsa_exception_fp_ieee_inexact 0
		.amdhsa_exception_int_div_zero 0
	.end_amdhsa_kernel
	.section	.text._ZN7rocprim17ROCPRIM_400000_NS6detail17trampoline_kernelINS0_14default_configENS1_37merge_sort_block_sort_config_selectorIlNS0_10empty_typeEEEZNS1_21merge_sort_block_sortIS3_PlS8_PS5_S9_ZN2at6native12_GLOBAL__N_124unique_dim_cuda_templateIdEESt5tupleIJNSA_6TensorESF_SF_EERKSF_lbbbEUlllE_EE10hipError_tT0_T1_T2_T3_mRjT4_P12ihipStream_tbNS1_7vsmem_tEEUlT_E_NS1_11comp_targetILNS1_3genE3ELNS1_11target_archE908ELNS1_3gpuE7ELNS1_3repE0EEENS1_30default_config_static_selectorELNS0_4arch9wavefront6targetE1EEEvSM_,"axG",@progbits,_ZN7rocprim17ROCPRIM_400000_NS6detail17trampoline_kernelINS0_14default_configENS1_37merge_sort_block_sort_config_selectorIlNS0_10empty_typeEEEZNS1_21merge_sort_block_sortIS3_PlS8_PS5_S9_ZN2at6native12_GLOBAL__N_124unique_dim_cuda_templateIdEESt5tupleIJNSA_6TensorESF_SF_EERKSF_lbbbEUlllE_EE10hipError_tT0_T1_T2_T3_mRjT4_P12ihipStream_tbNS1_7vsmem_tEEUlT_E_NS1_11comp_targetILNS1_3genE3ELNS1_11target_archE908ELNS1_3gpuE7ELNS1_3repE0EEENS1_30default_config_static_selectorELNS0_4arch9wavefront6targetE1EEEvSM_,comdat
.Lfunc_end752:
	.size	_ZN7rocprim17ROCPRIM_400000_NS6detail17trampoline_kernelINS0_14default_configENS1_37merge_sort_block_sort_config_selectorIlNS0_10empty_typeEEEZNS1_21merge_sort_block_sortIS3_PlS8_PS5_S9_ZN2at6native12_GLOBAL__N_124unique_dim_cuda_templateIdEESt5tupleIJNSA_6TensorESF_SF_EERKSF_lbbbEUlllE_EE10hipError_tT0_T1_T2_T3_mRjT4_P12ihipStream_tbNS1_7vsmem_tEEUlT_E_NS1_11comp_targetILNS1_3genE3ELNS1_11target_archE908ELNS1_3gpuE7ELNS1_3repE0EEENS1_30default_config_static_selectorELNS0_4arch9wavefront6targetE1EEEvSM_, .Lfunc_end752-_ZN7rocprim17ROCPRIM_400000_NS6detail17trampoline_kernelINS0_14default_configENS1_37merge_sort_block_sort_config_selectorIlNS0_10empty_typeEEEZNS1_21merge_sort_block_sortIS3_PlS8_PS5_S9_ZN2at6native12_GLOBAL__N_124unique_dim_cuda_templateIdEESt5tupleIJNSA_6TensorESF_SF_EERKSF_lbbbEUlllE_EE10hipError_tT0_T1_T2_T3_mRjT4_P12ihipStream_tbNS1_7vsmem_tEEUlT_E_NS1_11comp_targetILNS1_3genE3ELNS1_11target_archE908ELNS1_3gpuE7ELNS1_3repE0EEENS1_30default_config_static_selectorELNS0_4arch9wavefront6targetE1EEEvSM_
                                        ; -- End function
	.set _ZN7rocprim17ROCPRIM_400000_NS6detail17trampoline_kernelINS0_14default_configENS1_37merge_sort_block_sort_config_selectorIlNS0_10empty_typeEEEZNS1_21merge_sort_block_sortIS3_PlS8_PS5_S9_ZN2at6native12_GLOBAL__N_124unique_dim_cuda_templateIdEESt5tupleIJNSA_6TensorESF_SF_EERKSF_lbbbEUlllE_EE10hipError_tT0_T1_T2_T3_mRjT4_P12ihipStream_tbNS1_7vsmem_tEEUlT_E_NS1_11comp_targetILNS1_3genE3ELNS1_11target_archE908ELNS1_3gpuE7ELNS1_3repE0EEENS1_30default_config_static_selectorELNS0_4arch9wavefront6targetE1EEEvSM_.num_vgpr, 0
	.set _ZN7rocprim17ROCPRIM_400000_NS6detail17trampoline_kernelINS0_14default_configENS1_37merge_sort_block_sort_config_selectorIlNS0_10empty_typeEEEZNS1_21merge_sort_block_sortIS3_PlS8_PS5_S9_ZN2at6native12_GLOBAL__N_124unique_dim_cuda_templateIdEESt5tupleIJNSA_6TensorESF_SF_EERKSF_lbbbEUlllE_EE10hipError_tT0_T1_T2_T3_mRjT4_P12ihipStream_tbNS1_7vsmem_tEEUlT_E_NS1_11comp_targetILNS1_3genE3ELNS1_11target_archE908ELNS1_3gpuE7ELNS1_3repE0EEENS1_30default_config_static_selectorELNS0_4arch9wavefront6targetE1EEEvSM_.num_agpr, 0
	.set _ZN7rocprim17ROCPRIM_400000_NS6detail17trampoline_kernelINS0_14default_configENS1_37merge_sort_block_sort_config_selectorIlNS0_10empty_typeEEEZNS1_21merge_sort_block_sortIS3_PlS8_PS5_S9_ZN2at6native12_GLOBAL__N_124unique_dim_cuda_templateIdEESt5tupleIJNSA_6TensorESF_SF_EERKSF_lbbbEUlllE_EE10hipError_tT0_T1_T2_T3_mRjT4_P12ihipStream_tbNS1_7vsmem_tEEUlT_E_NS1_11comp_targetILNS1_3genE3ELNS1_11target_archE908ELNS1_3gpuE7ELNS1_3repE0EEENS1_30default_config_static_selectorELNS0_4arch9wavefront6targetE1EEEvSM_.numbered_sgpr, 0
	.set _ZN7rocprim17ROCPRIM_400000_NS6detail17trampoline_kernelINS0_14default_configENS1_37merge_sort_block_sort_config_selectorIlNS0_10empty_typeEEEZNS1_21merge_sort_block_sortIS3_PlS8_PS5_S9_ZN2at6native12_GLOBAL__N_124unique_dim_cuda_templateIdEESt5tupleIJNSA_6TensorESF_SF_EERKSF_lbbbEUlllE_EE10hipError_tT0_T1_T2_T3_mRjT4_P12ihipStream_tbNS1_7vsmem_tEEUlT_E_NS1_11comp_targetILNS1_3genE3ELNS1_11target_archE908ELNS1_3gpuE7ELNS1_3repE0EEENS1_30default_config_static_selectorELNS0_4arch9wavefront6targetE1EEEvSM_.num_named_barrier, 0
	.set _ZN7rocprim17ROCPRIM_400000_NS6detail17trampoline_kernelINS0_14default_configENS1_37merge_sort_block_sort_config_selectorIlNS0_10empty_typeEEEZNS1_21merge_sort_block_sortIS3_PlS8_PS5_S9_ZN2at6native12_GLOBAL__N_124unique_dim_cuda_templateIdEESt5tupleIJNSA_6TensorESF_SF_EERKSF_lbbbEUlllE_EE10hipError_tT0_T1_T2_T3_mRjT4_P12ihipStream_tbNS1_7vsmem_tEEUlT_E_NS1_11comp_targetILNS1_3genE3ELNS1_11target_archE908ELNS1_3gpuE7ELNS1_3repE0EEENS1_30default_config_static_selectorELNS0_4arch9wavefront6targetE1EEEvSM_.private_seg_size, 0
	.set _ZN7rocprim17ROCPRIM_400000_NS6detail17trampoline_kernelINS0_14default_configENS1_37merge_sort_block_sort_config_selectorIlNS0_10empty_typeEEEZNS1_21merge_sort_block_sortIS3_PlS8_PS5_S9_ZN2at6native12_GLOBAL__N_124unique_dim_cuda_templateIdEESt5tupleIJNSA_6TensorESF_SF_EERKSF_lbbbEUlllE_EE10hipError_tT0_T1_T2_T3_mRjT4_P12ihipStream_tbNS1_7vsmem_tEEUlT_E_NS1_11comp_targetILNS1_3genE3ELNS1_11target_archE908ELNS1_3gpuE7ELNS1_3repE0EEENS1_30default_config_static_selectorELNS0_4arch9wavefront6targetE1EEEvSM_.uses_vcc, 0
	.set _ZN7rocprim17ROCPRIM_400000_NS6detail17trampoline_kernelINS0_14default_configENS1_37merge_sort_block_sort_config_selectorIlNS0_10empty_typeEEEZNS1_21merge_sort_block_sortIS3_PlS8_PS5_S9_ZN2at6native12_GLOBAL__N_124unique_dim_cuda_templateIdEESt5tupleIJNSA_6TensorESF_SF_EERKSF_lbbbEUlllE_EE10hipError_tT0_T1_T2_T3_mRjT4_P12ihipStream_tbNS1_7vsmem_tEEUlT_E_NS1_11comp_targetILNS1_3genE3ELNS1_11target_archE908ELNS1_3gpuE7ELNS1_3repE0EEENS1_30default_config_static_selectorELNS0_4arch9wavefront6targetE1EEEvSM_.uses_flat_scratch, 0
	.set _ZN7rocprim17ROCPRIM_400000_NS6detail17trampoline_kernelINS0_14default_configENS1_37merge_sort_block_sort_config_selectorIlNS0_10empty_typeEEEZNS1_21merge_sort_block_sortIS3_PlS8_PS5_S9_ZN2at6native12_GLOBAL__N_124unique_dim_cuda_templateIdEESt5tupleIJNSA_6TensorESF_SF_EERKSF_lbbbEUlllE_EE10hipError_tT0_T1_T2_T3_mRjT4_P12ihipStream_tbNS1_7vsmem_tEEUlT_E_NS1_11comp_targetILNS1_3genE3ELNS1_11target_archE908ELNS1_3gpuE7ELNS1_3repE0EEENS1_30default_config_static_selectorELNS0_4arch9wavefront6targetE1EEEvSM_.has_dyn_sized_stack, 0
	.set _ZN7rocprim17ROCPRIM_400000_NS6detail17trampoline_kernelINS0_14default_configENS1_37merge_sort_block_sort_config_selectorIlNS0_10empty_typeEEEZNS1_21merge_sort_block_sortIS3_PlS8_PS5_S9_ZN2at6native12_GLOBAL__N_124unique_dim_cuda_templateIdEESt5tupleIJNSA_6TensorESF_SF_EERKSF_lbbbEUlllE_EE10hipError_tT0_T1_T2_T3_mRjT4_P12ihipStream_tbNS1_7vsmem_tEEUlT_E_NS1_11comp_targetILNS1_3genE3ELNS1_11target_archE908ELNS1_3gpuE7ELNS1_3repE0EEENS1_30default_config_static_selectorELNS0_4arch9wavefront6targetE1EEEvSM_.has_recursion, 0
	.set _ZN7rocprim17ROCPRIM_400000_NS6detail17trampoline_kernelINS0_14default_configENS1_37merge_sort_block_sort_config_selectorIlNS0_10empty_typeEEEZNS1_21merge_sort_block_sortIS3_PlS8_PS5_S9_ZN2at6native12_GLOBAL__N_124unique_dim_cuda_templateIdEESt5tupleIJNSA_6TensorESF_SF_EERKSF_lbbbEUlllE_EE10hipError_tT0_T1_T2_T3_mRjT4_P12ihipStream_tbNS1_7vsmem_tEEUlT_E_NS1_11comp_targetILNS1_3genE3ELNS1_11target_archE908ELNS1_3gpuE7ELNS1_3repE0EEENS1_30default_config_static_selectorELNS0_4arch9wavefront6targetE1EEEvSM_.has_indirect_call, 0
	.section	.AMDGPU.csdata,"",@progbits
; Kernel info:
; codeLenInByte = 0
; TotalNumSgprs: 6
; NumVgprs: 0
; NumAgprs: 0
; TotalNumVgprs: 0
; ScratchSize: 0
; MemoryBound: 0
; FloatMode: 240
; IeeeMode: 1
; LDSByteSize: 0 bytes/workgroup (compile time only)
; SGPRBlocks: 0
; VGPRBlocks: 0
; NumSGPRsForWavesPerEU: 6
; NumVGPRsForWavesPerEU: 1
; AccumOffset: 4
; Occupancy: 8
; WaveLimiterHint : 0
; COMPUTE_PGM_RSRC2:SCRATCH_EN: 0
; COMPUTE_PGM_RSRC2:USER_SGPR: 2
; COMPUTE_PGM_RSRC2:TRAP_HANDLER: 0
; COMPUTE_PGM_RSRC2:TGID_X_EN: 1
; COMPUTE_PGM_RSRC2:TGID_Y_EN: 0
; COMPUTE_PGM_RSRC2:TGID_Z_EN: 0
; COMPUTE_PGM_RSRC2:TIDIG_COMP_CNT: 0
; COMPUTE_PGM_RSRC3_GFX90A:ACCUM_OFFSET: 0
; COMPUTE_PGM_RSRC3_GFX90A:TG_SPLIT: 0
	.section	.text._ZN7rocprim17ROCPRIM_400000_NS6detail17trampoline_kernelINS0_14default_configENS1_37merge_sort_block_sort_config_selectorIlNS0_10empty_typeEEEZNS1_21merge_sort_block_sortIS3_PlS8_PS5_S9_ZN2at6native12_GLOBAL__N_124unique_dim_cuda_templateIdEESt5tupleIJNSA_6TensorESF_SF_EERKSF_lbbbEUlllE_EE10hipError_tT0_T1_T2_T3_mRjT4_P12ihipStream_tbNS1_7vsmem_tEEUlT_E_NS1_11comp_targetILNS1_3genE2ELNS1_11target_archE906ELNS1_3gpuE6ELNS1_3repE0EEENS1_30default_config_static_selectorELNS0_4arch9wavefront6targetE1EEEvSM_,"axG",@progbits,_ZN7rocprim17ROCPRIM_400000_NS6detail17trampoline_kernelINS0_14default_configENS1_37merge_sort_block_sort_config_selectorIlNS0_10empty_typeEEEZNS1_21merge_sort_block_sortIS3_PlS8_PS5_S9_ZN2at6native12_GLOBAL__N_124unique_dim_cuda_templateIdEESt5tupleIJNSA_6TensorESF_SF_EERKSF_lbbbEUlllE_EE10hipError_tT0_T1_T2_T3_mRjT4_P12ihipStream_tbNS1_7vsmem_tEEUlT_E_NS1_11comp_targetILNS1_3genE2ELNS1_11target_archE906ELNS1_3gpuE6ELNS1_3repE0EEENS1_30default_config_static_selectorELNS0_4arch9wavefront6targetE1EEEvSM_,comdat
	.globl	_ZN7rocprim17ROCPRIM_400000_NS6detail17trampoline_kernelINS0_14default_configENS1_37merge_sort_block_sort_config_selectorIlNS0_10empty_typeEEEZNS1_21merge_sort_block_sortIS3_PlS8_PS5_S9_ZN2at6native12_GLOBAL__N_124unique_dim_cuda_templateIdEESt5tupleIJNSA_6TensorESF_SF_EERKSF_lbbbEUlllE_EE10hipError_tT0_T1_T2_T3_mRjT4_P12ihipStream_tbNS1_7vsmem_tEEUlT_E_NS1_11comp_targetILNS1_3genE2ELNS1_11target_archE906ELNS1_3gpuE6ELNS1_3repE0EEENS1_30default_config_static_selectorELNS0_4arch9wavefront6targetE1EEEvSM_ ; -- Begin function _ZN7rocprim17ROCPRIM_400000_NS6detail17trampoline_kernelINS0_14default_configENS1_37merge_sort_block_sort_config_selectorIlNS0_10empty_typeEEEZNS1_21merge_sort_block_sortIS3_PlS8_PS5_S9_ZN2at6native12_GLOBAL__N_124unique_dim_cuda_templateIdEESt5tupleIJNSA_6TensorESF_SF_EERKSF_lbbbEUlllE_EE10hipError_tT0_T1_T2_T3_mRjT4_P12ihipStream_tbNS1_7vsmem_tEEUlT_E_NS1_11comp_targetILNS1_3genE2ELNS1_11target_archE906ELNS1_3gpuE6ELNS1_3repE0EEENS1_30default_config_static_selectorELNS0_4arch9wavefront6targetE1EEEvSM_
	.p2align	8
	.type	_ZN7rocprim17ROCPRIM_400000_NS6detail17trampoline_kernelINS0_14default_configENS1_37merge_sort_block_sort_config_selectorIlNS0_10empty_typeEEEZNS1_21merge_sort_block_sortIS3_PlS8_PS5_S9_ZN2at6native12_GLOBAL__N_124unique_dim_cuda_templateIdEESt5tupleIJNSA_6TensorESF_SF_EERKSF_lbbbEUlllE_EE10hipError_tT0_T1_T2_T3_mRjT4_P12ihipStream_tbNS1_7vsmem_tEEUlT_E_NS1_11comp_targetILNS1_3genE2ELNS1_11target_archE906ELNS1_3gpuE6ELNS1_3repE0EEENS1_30default_config_static_selectorELNS0_4arch9wavefront6targetE1EEEvSM_,@function
_ZN7rocprim17ROCPRIM_400000_NS6detail17trampoline_kernelINS0_14default_configENS1_37merge_sort_block_sort_config_selectorIlNS0_10empty_typeEEEZNS1_21merge_sort_block_sortIS3_PlS8_PS5_S9_ZN2at6native12_GLOBAL__N_124unique_dim_cuda_templateIdEESt5tupleIJNSA_6TensorESF_SF_EERKSF_lbbbEUlllE_EE10hipError_tT0_T1_T2_T3_mRjT4_P12ihipStream_tbNS1_7vsmem_tEEUlT_E_NS1_11comp_targetILNS1_3genE2ELNS1_11target_archE906ELNS1_3gpuE6ELNS1_3repE0EEENS1_30default_config_static_selectorELNS0_4arch9wavefront6targetE1EEEvSM_: ; @_ZN7rocprim17ROCPRIM_400000_NS6detail17trampoline_kernelINS0_14default_configENS1_37merge_sort_block_sort_config_selectorIlNS0_10empty_typeEEEZNS1_21merge_sort_block_sortIS3_PlS8_PS5_S9_ZN2at6native12_GLOBAL__N_124unique_dim_cuda_templateIdEESt5tupleIJNSA_6TensorESF_SF_EERKSF_lbbbEUlllE_EE10hipError_tT0_T1_T2_T3_mRjT4_P12ihipStream_tbNS1_7vsmem_tEEUlT_E_NS1_11comp_targetILNS1_3genE2ELNS1_11target_archE906ELNS1_3gpuE6ELNS1_3repE0EEENS1_30default_config_static_selectorELNS0_4arch9wavefront6targetE1EEEvSM_
; %bb.0:
	.section	.rodata,"a",@progbits
	.p2align	6, 0x0
	.amdhsa_kernel _ZN7rocprim17ROCPRIM_400000_NS6detail17trampoline_kernelINS0_14default_configENS1_37merge_sort_block_sort_config_selectorIlNS0_10empty_typeEEEZNS1_21merge_sort_block_sortIS3_PlS8_PS5_S9_ZN2at6native12_GLOBAL__N_124unique_dim_cuda_templateIdEESt5tupleIJNSA_6TensorESF_SF_EERKSF_lbbbEUlllE_EE10hipError_tT0_T1_T2_T3_mRjT4_P12ihipStream_tbNS1_7vsmem_tEEUlT_E_NS1_11comp_targetILNS1_3genE2ELNS1_11target_archE906ELNS1_3gpuE6ELNS1_3repE0EEENS1_30default_config_static_selectorELNS0_4arch9wavefront6targetE1EEEvSM_
		.amdhsa_group_segment_fixed_size 0
		.amdhsa_private_segment_fixed_size 0
		.amdhsa_kernarg_size 72
		.amdhsa_user_sgpr_count 2
		.amdhsa_user_sgpr_dispatch_ptr 0
		.amdhsa_user_sgpr_queue_ptr 0
		.amdhsa_user_sgpr_kernarg_segment_ptr 1
		.amdhsa_user_sgpr_dispatch_id 0
		.amdhsa_user_sgpr_kernarg_preload_length 0
		.amdhsa_user_sgpr_kernarg_preload_offset 0
		.amdhsa_user_sgpr_private_segment_size 0
		.amdhsa_uses_dynamic_stack 0
		.amdhsa_enable_private_segment 0
		.amdhsa_system_sgpr_workgroup_id_x 1
		.amdhsa_system_sgpr_workgroup_id_y 0
		.amdhsa_system_sgpr_workgroup_id_z 0
		.amdhsa_system_sgpr_workgroup_info 0
		.amdhsa_system_vgpr_workitem_id 0
		.amdhsa_next_free_vgpr 1
		.amdhsa_next_free_sgpr 0
		.amdhsa_accum_offset 4
		.amdhsa_reserve_vcc 0
		.amdhsa_float_round_mode_32 0
		.amdhsa_float_round_mode_16_64 0
		.amdhsa_float_denorm_mode_32 3
		.amdhsa_float_denorm_mode_16_64 3
		.amdhsa_dx10_clamp 1
		.amdhsa_ieee_mode 1
		.amdhsa_fp16_overflow 0
		.amdhsa_tg_split 0
		.amdhsa_exception_fp_ieee_invalid_op 0
		.amdhsa_exception_fp_denorm_src 0
		.amdhsa_exception_fp_ieee_div_zero 0
		.amdhsa_exception_fp_ieee_overflow 0
		.amdhsa_exception_fp_ieee_underflow 0
		.amdhsa_exception_fp_ieee_inexact 0
		.amdhsa_exception_int_div_zero 0
	.end_amdhsa_kernel
	.section	.text._ZN7rocprim17ROCPRIM_400000_NS6detail17trampoline_kernelINS0_14default_configENS1_37merge_sort_block_sort_config_selectorIlNS0_10empty_typeEEEZNS1_21merge_sort_block_sortIS3_PlS8_PS5_S9_ZN2at6native12_GLOBAL__N_124unique_dim_cuda_templateIdEESt5tupleIJNSA_6TensorESF_SF_EERKSF_lbbbEUlllE_EE10hipError_tT0_T1_T2_T3_mRjT4_P12ihipStream_tbNS1_7vsmem_tEEUlT_E_NS1_11comp_targetILNS1_3genE2ELNS1_11target_archE906ELNS1_3gpuE6ELNS1_3repE0EEENS1_30default_config_static_selectorELNS0_4arch9wavefront6targetE1EEEvSM_,"axG",@progbits,_ZN7rocprim17ROCPRIM_400000_NS6detail17trampoline_kernelINS0_14default_configENS1_37merge_sort_block_sort_config_selectorIlNS0_10empty_typeEEEZNS1_21merge_sort_block_sortIS3_PlS8_PS5_S9_ZN2at6native12_GLOBAL__N_124unique_dim_cuda_templateIdEESt5tupleIJNSA_6TensorESF_SF_EERKSF_lbbbEUlllE_EE10hipError_tT0_T1_T2_T3_mRjT4_P12ihipStream_tbNS1_7vsmem_tEEUlT_E_NS1_11comp_targetILNS1_3genE2ELNS1_11target_archE906ELNS1_3gpuE6ELNS1_3repE0EEENS1_30default_config_static_selectorELNS0_4arch9wavefront6targetE1EEEvSM_,comdat
.Lfunc_end753:
	.size	_ZN7rocprim17ROCPRIM_400000_NS6detail17trampoline_kernelINS0_14default_configENS1_37merge_sort_block_sort_config_selectorIlNS0_10empty_typeEEEZNS1_21merge_sort_block_sortIS3_PlS8_PS5_S9_ZN2at6native12_GLOBAL__N_124unique_dim_cuda_templateIdEESt5tupleIJNSA_6TensorESF_SF_EERKSF_lbbbEUlllE_EE10hipError_tT0_T1_T2_T3_mRjT4_P12ihipStream_tbNS1_7vsmem_tEEUlT_E_NS1_11comp_targetILNS1_3genE2ELNS1_11target_archE906ELNS1_3gpuE6ELNS1_3repE0EEENS1_30default_config_static_selectorELNS0_4arch9wavefront6targetE1EEEvSM_, .Lfunc_end753-_ZN7rocprim17ROCPRIM_400000_NS6detail17trampoline_kernelINS0_14default_configENS1_37merge_sort_block_sort_config_selectorIlNS0_10empty_typeEEEZNS1_21merge_sort_block_sortIS3_PlS8_PS5_S9_ZN2at6native12_GLOBAL__N_124unique_dim_cuda_templateIdEESt5tupleIJNSA_6TensorESF_SF_EERKSF_lbbbEUlllE_EE10hipError_tT0_T1_T2_T3_mRjT4_P12ihipStream_tbNS1_7vsmem_tEEUlT_E_NS1_11comp_targetILNS1_3genE2ELNS1_11target_archE906ELNS1_3gpuE6ELNS1_3repE0EEENS1_30default_config_static_selectorELNS0_4arch9wavefront6targetE1EEEvSM_
                                        ; -- End function
	.set _ZN7rocprim17ROCPRIM_400000_NS6detail17trampoline_kernelINS0_14default_configENS1_37merge_sort_block_sort_config_selectorIlNS0_10empty_typeEEEZNS1_21merge_sort_block_sortIS3_PlS8_PS5_S9_ZN2at6native12_GLOBAL__N_124unique_dim_cuda_templateIdEESt5tupleIJNSA_6TensorESF_SF_EERKSF_lbbbEUlllE_EE10hipError_tT0_T1_T2_T3_mRjT4_P12ihipStream_tbNS1_7vsmem_tEEUlT_E_NS1_11comp_targetILNS1_3genE2ELNS1_11target_archE906ELNS1_3gpuE6ELNS1_3repE0EEENS1_30default_config_static_selectorELNS0_4arch9wavefront6targetE1EEEvSM_.num_vgpr, 0
	.set _ZN7rocprim17ROCPRIM_400000_NS6detail17trampoline_kernelINS0_14default_configENS1_37merge_sort_block_sort_config_selectorIlNS0_10empty_typeEEEZNS1_21merge_sort_block_sortIS3_PlS8_PS5_S9_ZN2at6native12_GLOBAL__N_124unique_dim_cuda_templateIdEESt5tupleIJNSA_6TensorESF_SF_EERKSF_lbbbEUlllE_EE10hipError_tT0_T1_T2_T3_mRjT4_P12ihipStream_tbNS1_7vsmem_tEEUlT_E_NS1_11comp_targetILNS1_3genE2ELNS1_11target_archE906ELNS1_3gpuE6ELNS1_3repE0EEENS1_30default_config_static_selectorELNS0_4arch9wavefront6targetE1EEEvSM_.num_agpr, 0
	.set _ZN7rocprim17ROCPRIM_400000_NS6detail17trampoline_kernelINS0_14default_configENS1_37merge_sort_block_sort_config_selectorIlNS0_10empty_typeEEEZNS1_21merge_sort_block_sortIS3_PlS8_PS5_S9_ZN2at6native12_GLOBAL__N_124unique_dim_cuda_templateIdEESt5tupleIJNSA_6TensorESF_SF_EERKSF_lbbbEUlllE_EE10hipError_tT0_T1_T2_T3_mRjT4_P12ihipStream_tbNS1_7vsmem_tEEUlT_E_NS1_11comp_targetILNS1_3genE2ELNS1_11target_archE906ELNS1_3gpuE6ELNS1_3repE0EEENS1_30default_config_static_selectorELNS0_4arch9wavefront6targetE1EEEvSM_.numbered_sgpr, 0
	.set _ZN7rocprim17ROCPRIM_400000_NS6detail17trampoline_kernelINS0_14default_configENS1_37merge_sort_block_sort_config_selectorIlNS0_10empty_typeEEEZNS1_21merge_sort_block_sortIS3_PlS8_PS5_S9_ZN2at6native12_GLOBAL__N_124unique_dim_cuda_templateIdEESt5tupleIJNSA_6TensorESF_SF_EERKSF_lbbbEUlllE_EE10hipError_tT0_T1_T2_T3_mRjT4_P12ihipStream_tbNS1_7vsmem_tEEUlT_E_NS1_11comp_targetILNS1_3genE2ELNS1_11target_archE906ELNS1_3gpuE6ELNS1_3repE0EEENS1_30default_config_static_selectorELNS0_4arch9wavefront6targetE1EEEvSM_.num_named_barrier, 0
	.set _ZN7rocprim17ROCPRIM_400000_NS6detail17trampoline_kernelINS0_14default_configENS1_37merge_sort_block_sort_config_selectorIlNS0_10empty_typeEEEZNS1_21merge_sort_block_sortIS3_PlS8_PS5_S9_ZN2at6native12_GLOBAL__N_124unique_dim_cuda_templateIdEESt5tupleIJNSA_6TensorESF_SF_EERKSF_lbbbEUlllE_EE10hipError_tT0_T1_T2_T3_mRjT4_P12ihipStream_tbNS1_7vsmem_tEEUlT_E_NS1_11comp_targetILNS1_3genE2ELNS1_11target_archE906ELNS1_3gpuE6ELNS1_3repE0EEENS1_30default_config_static_selectorELNS0_4arch9wavefront6targetE1EEEvSM_.private_seg_size, 0
	.set _ZN7rocprim17ROCPRIM_400000_NS6detail17trampoline_kernelINS0_14default_configENS1_37merge_sort_block_sort_config_selectorIlNS0_10empty_typeEEEZNS1_21merge_sort_block_sortIS3_PlS8_PS5_S9_ZN2at6native12_GLOBAL__N_124unique_dim_cuda_templateIdEESt5tupleIJNSA_6TensorESF_SF_EERKSF_lbbbEUlllE_EE10hipError_tT0_T1_T2_T3_mRjT4_P12ihipStream_tbNS1_7vsmem_tEEUlT_E_NS1_11comp_targetILNS1_3genE2ELNS1_11target_archE906ELNS1_3gpuE6ELNS1_3repE0EEENS1_30default_config_static_selectorELNS0_4arch9wavefront6targetE1EEEvSM_.uses_vcc, 0
	.set _ZN7rocprim17ROCPRIM_400000_NS6detail17trampoline_kernelINS0_14default_configENS1_37merge_sort_block_sort_config_selectorIlNS0_10empty_typeEEEZNS1_21merge_sort_block_sortIS3_PlS8_PS5_S9_ZN2at6native12_GLOBAL__N_124unique_dim_cuda_templateIdEESt5tupleIJNSA_6TensorESF_SF_EERKSF_lbbbEUlllE_EE10hipError_tT0_T1_T2_T3_mRjT4_P12ihipStream_tbNS1_7vsmem_tEEUlT_E_NS1_11comp_targetILNS1_3genE2ELNS1_11target_archE906ELNS1_3gpuE6ELNS1_3repE0EEENS1_30default_config_static_selectorELNS0_4arch9wavefront6targetE1EEEvSM_.uses_flat_scratch, 0
	.set _ZN7rocprim17ROCPRIM_400000_NS6detail17trampoline_kernelINS0_14default_configENS1_37merge_sort_block_sort_config_selectorIlNS0_10empty_typeEEEZNS1_21merge_sort_block_sortIS3_PlS8_PS5_S9_ZN2at6native12_GLOBAL__N_124unique_dim_cuda_templateIdEESt5tupleIJNSA_6TensorESF_SF_EERKSF_lbbbEUlllE_EE10hipError_tT0_T1_T2_T3_mRjT4_P12ihipStream_tbNS1_7vsmem_tEEUlT_E_NS1_11comp_targetILNS1_3genE2ELNS1_11target_archE906ELNS1_3gpuE6ELNS1_3repE0EEENS1_30default_config_static_selectorELNS0_4arch9wavefront6targetE1EEEvSM_.has_dyn_sized_stack, 0
	.set _ZN7rocprim17ROCPRIM_400000_NS6detail17trampoline_kernelINS0_14default_configENS1_37merge_sort_block_sort_config_selectorIlNS0_10empty_typeEEEZNS1_21merge_sort_block_sortIS3_PlS8_PS5_S9_ZN2at6native12_GLOBAL__N_124unique_dim_cuda_templateIdEESt5tupleIJNSA_6TensorESF_SF_EERKSF_lbbbEUlllE_EE10hipError_tT0_T1_T2_T3_mRjT4_P12ihipStream_tbNS1_7vsmem_tEEUlT_E_NS1_11comp_targetILNS1_3genE2ELNS1_11target_archE906ELNS1_3gpuE6ELNS1_3repE0EEENS1_30default_config_static_selectorELNS0_4arch9wavefront6targetE1EEEvSM_.has_recursion, 0
	.set _ZN7rocprim17ROCPRIM_400000_NS6detail17trampoline_kernelINS0_14default_configENS1_37merge_sort_block_sort_config_selectorIlNS0_10empty_typeEEEZNS1_21merge_sort_block_sortIS3_PlS8_PS5_S9_ZN2at6native12_GLOBAL__N_124unique_dim_cuda_templateIdEESt5tupleIJNSA_6TensorESF_SF_EERKSF_lbbbEUlllE_EE10hipError_tT0_T1_T2_T3_mRjT4_P12ihipStream_tbNS1_7vsmem_tEEUlT_E_NS1_11comp_targetILNS1_3genE2ELNS1_11target_archE906ELNS1_3gpuE6ELNS1_3repE0EEENS1_30default_config_static_selectorELNS0_4arch9wavefront6targetE1EEEvSM_.has_indirect_call, 0
	.section	.AMDGPU.csdata,"",@progbits
; Kernel info:
; codeLenInByte = 0
; TotalNumSgprs: 6
; NumVgprs: 0
; NumAgprs: 0
; TotalNumVgprs: 0
; ScratchSize: 0
; MemoryBound: 0
; FloatMode: 240
; IeeeMode: 1
; LDSByteSize: 0 bytes/workgroup (compile time only)
; SGPRBlocks: 0
; VGPRBlocks: 0
; NumSGPRsForWavesPerEU: 6
; NumVGPRsForWavesPerEU: 1
; AccumOffset: 4
; Occupancy: 8
; WaveLimiterHint : 0
; COMPUTE_PGM_RSRC2:SCRATCH_EN: 0
; COMPUTE_PGM_RSRC2:USER_SGPR: 2
; COMPUTE_PGM_RSRC2:TRAP_HANDLER: 0
; COMPUTE_PGM_RSRC2:TGID_X_EN: 1
; COMPUTE_PGM_RSRC2:TGID_Y_EN: 0
; COMPUTE_PGM_RSRC2:TGID_Z_EN: 0
; COMPUTE_PGM_RSRC2:TIDIG_COMP_CNT: 0
; COMPUTE_PGM_RSRC3_GFX90A:ACCUM_OFFSET: 0
; COMPUTE_PGM_RSRC3_GFX90A:TG_SPLIT: 0
	.section	.text._ZN7rocprim17ROCPRIM_400000_NS6detail17trampoline_kernelINS0_14default_configENS1_37merge_sort_block_sort_config_selectorIlNS0_10empty_typeEEEZNS1_21merge_sort_block_sortIS3_PlS8_PS5_S9_ZN2at6native12_GLOBAL__N_124unique_dim_cuda_templateIdEESt5tupleIJNSA_6TensorESF_SF_EERKSF_lbbbEUlllE_EE10hipError_tT0_T1_T2_T3_mRjT4_P12ihipStream_tbNS1_7vsmem_tEEUlT_E_NS1_11comp_targetILNS1_3genE10ELNS1_11target_archE1201ELNS1_3gpuE5ELNS1_3repE0EEENS1_30default_config_static_selectorELNS0_4arch9wavefront6targetE1EEEvSM_,"axG",@progbits,_ZN7rocprim17ROCPRIM_400000_NS6detail17trampoline_kernelINS0_14default_configENS1_37merge_sort_block_sort_config_selectorIlNS0_10empty_typeEEEZNS1_21merge_sort_block_sortIS3_PlS8_PS5_S9_ZN2at6native12_GLOBAL__N_124unique_dim_cuda_templateIdEESt5tupleIJNSA_6TensorESF_SF_EERKSF_lbbbEUlllE_EE10hipError_tT0_T1_T2_T3_mRjT4_P12ihipStream_tbNS1_7vsmem_tEEUlT_E_NS1_11comp_targetILNS1_3genE10ELNS1_11target_archE1201ELNS1_3gpuE5ELNS1_3repE0EEENS1_30default_config_static_selectorELNS0_4arch9wavefront6targetE1EEEvSM_,comdat
	.globl	_ZN7rocprim17ROCPRIM_400000_NS6detail17trampoline_kernelINS0_14default_configENS1_37merge_sort_block_sort_config_selectorIlNS0_10empty_typeEEEZNS1_21merge_sort_block_sortIS3_PlS8_PS5_S9_ZN2at6native12_GLOBAL__N_124unique_dim_cuda_templateIdEESt5tupleIJNSA_6TensorESF_SF_EERKSF_lbbbEUlllE_EE10hipError_tT0_T1_T2_T3_mRjT4_P12ihipStream_tbNS1_7vsmem_tEEUlT_E_NS1_11comp_targetILNS1_3genE10ELNS1_11target_archE1201ELNS1_3gpuE5ELNS1_3repE0EEENS1_30default_config_static_selectorELNS0_4arch9wavefront6targetE1EEEvSM_ ; -- Begin function _ZN7rocprim17ROCPRIM_400000_NS6detail17trampoline_kernelINS0_14default_configENS1_37merge_sort_block_sort_config_selectorIlNS0_10empty_typeEEEZNS1_21merge_sort_block_sortIS3_PlS8_PS5_S9_ZN2at6native12_GLOBAL__N_124unique_dim_cuda_templateIdEESt5tupleIJNSA_6TensorESF_SF_EERKSF_lbbbEUlllE_EE10hipError_tT0_T1_T2_T3_mRjT4_P12ihipStream_tbNS1_7vsmem_tEEUlT_E_NS1_11comp_targetILNS1_3genE10ELNS1_11target_archE1201ELNS1_3gpuE5ELNS1_3repE0EEENS1_30default_config_static_selectorELNS0_4arch9wavefront6targetE1EEEvSM_
	.p2align	8
	.type	_ZN7rocprim17ROCPRIM_400000_NS6detail17trampoline_kernelINS0_14default_configENS1_37merge_sort_block_sort_config_selectorIlNS0_10empty_typeEEEZNS1_21merge_sort_block_sortIS3_PlS8_PS5_S9_ZN2at6native12_GLOBAL__N_124unique_dim_cuda_templateIdEESt5tupleIJNSA_6TensorESF_SF_EERKSF_lbbbEUlllE_EE10hipError_tT0_T1_T2_T3_mRjT4_P12ihipStream_tbNS1_7vsmem_tEEUlT_E_NS1_11comp_targetILNS1_3genE10ELNS1_11target_archE1201ELNS1_3gpuE5ELNS1_3repE0EEENS1_30default_config_static_selectorELNS0_4arch9wavefront6targetE1EEEvSM_,@function
_ZN7rocprim17ROCPRIM_400000_NS6detail17trampoline_kernelINS0_14default_configENS1_37merge_sort_block_sort_config_selectorIlNS0_10empty_typeEEEZNS1_21merge_sort_block_sortIS3_PlS8_PS5_S9_ZN2at6native12_GLOBAL__N_124unique_dim_cuda_templateIdEESt5tupleIJNSA_6TensorESF_SF_EERKSF_lbbbEUlllE_EE10hipError_tT0_T1_T2_T3_mRjT4_P12ihipStream_tbNS1_7vsmem_tEEUlT_E_NS1_11comp_targetILNS1_3genE10ELNS1_11target_archE1201ELNS1_3gpuE5ELNS1_3repE0EEENS1_30default_config_static_selectorELNS0_4arch9wavefront6targetE1EEEvSM_: ; @_ZN7rocprim17ROCPRIM_400000_NS6detail17trampoline_kernelINS0_14default_configENS1_37merge_sort_block_sort_config_selectorIlNS0_10empty_typeEEEZNS1_21merge_sort_block_sortIS3_PlS8_PS5_S9_ZN2at6native12_GLOBAL__N_124unique_dim_cuda_templateIdEESt5tupleIJNSA_6TensorESF_SF_EERKSF_lbbbEUlllE_EE10hipError_tT0_T1_T2_T3_mRjT4_P12ihipStream_tbNS1_7vsmem_tEEUlT_E_NS1_11comp_targetILNS1_3genE10ELNS1_11target_archE1201ELNS1_3gpuE5ELNS1_3repE0EEENS1_30default_config_static_selectorELNS0_4arch9wavefront6targetE1EEEvSM_
; %bb.0:
	.section	.rodata,"a",@progbits
	.p2align	6, 0x0
	.amdhsa_kernel _ZN7rocprim17ROCPRIM_400000_NS6detail17trampoline_kernelINS0_14default_configENS1_37merge_sort_block_sort_config_selectorIlNS0_10empty_typeEEEZNS1_21merge_sort_block_sortIS3_PlS8_PS5_S9_ZN2at6native12_GLOBAL__N_124unique_dim_cuda_templateIdEESt5tupleIJNSA_6TensorESF_SF_EERKSF_lbbbEUlllE_EE10hipError_tT0_T1_T2_T3_mRjT4_P12ihipStream_tbNS1_7vsmem_tEEUlT_E_NS1_11comp_targetILNS1_3genE10ELNS1_11target_archE1201ELNS1_3gpuE5ELNS1_3repE0EEENS1_30default_config_static_selectorELNS0_4arch9wavefront6targetE1EEEvSM_
		.amdhsa_group_segment_fixed_size 0
		.amdhsa_private_segment_fixed_size 0
		.amdhsa_kernarg_size 72
		.amdhsa_user_sgpr_count 2
		.amdhsa_user_sgpr_dispatch_ptr 0
		.amdhsa_user_sgpr_queue_ptr 0
		.amdhsa_user_sgpr_kernarg_segment_ptr 1
		.amdhsa_user_sgpr_dispatch_id 0
		.amdhsa_user_sgpr_kernarg_preload_length 0
		.amdhsa_user_sgpr_kernarg_preload_offset 0
		.amdhsa_user_sgpr_private_segment_size 0
		.amdhsa_uses_dynamic_stack 0
		.amdhsa_enable_private_segment 0
		.amdhsa_system_sgpr_workgroup_id_x 1
		.amdhsa_system_sgpr_workgroup_id_y 0
		.amdhsa_system_sgpr_workgroup_id_z 0
		.amdhsa_system_sgpr_workgroup_info 0
		.amdhsa_system_vgpr_workitem_id 0
		.amdhsa_next_free_vgpr 1
		.amdhsa_next_free_sgpr 0
		.amdhsa_accum_offset 4
		.amdhsa_reserve_vcc 0
		.amdhsa_float_round_mode_32 0
		.amdhsa_float_round_mode_16_64 0
		.amdhsa_float_denorm_mode_32 3
		.amdhsa_float_denorm_mode_16_64 3
		.amdhsa_dx10_clamp 1
		.amdhsa_ieee_mode 1
		.amdhsa_fp16_overflow 0
		.amdhsa_tg_split 0
		.amdhsa_exception_fp_ieee_invalid_op 0
		.amdhsa_exception_fp_denorm_src 0
		.amdhsa_exception_fp_ieee_div_zero 0
		.amdhsa_exception_fp_ieee_overflow 0
		.amdhsa_exception_fp_ieee_underflow 0
		.amdhsa_exception_fp_ieee_inexact 0
		.amdhsa_exception_int_div_zero 0
	.end_amdhsa_kernel
	.section	.text._ZN7rocprim17ROCPRIM_400000_NS6detail17trampoline_kernelINS0_14default_configENS1_37merge_sort_block_sort_config_selectorIlNS0_10empty_typeEEEZNS1_21merge_sort_block_sortIS3_PlS8_PS5_S9_ZN2at6native12_GLOBAL__N_124unique_dim_cuda_templateIdEESt5tupleIJNSA_6TensorESF_SF_EERKSF_lbbbEUlllE_EE10hipError_tT0_T1_T2_T3_mRjT4_P12ihipStream_tbNS1_7vsmem_tEEUlT_E_NS1_11comp_targetILNS1_3genE10ELNS1_11target_archE1201ELNS1_3gpuE5ELNS1_3repE0EEENS1_30default_config_static_selectorELNS0_4arch9wavefront6targetE1EEEvSM_,"axG",@progbits,_ZN7rocprim17ROCPRIM_400000_NS6detail17trampoline_kernelINS0_14default_configENS1_37merge_sort_block_sort_config_selectorIlNS0_10empty_typeEEEZNS1_21merge_sort_block_sortIS3_PlS8_PS5_S9_ZN2at6native12_GLOBAL__N_124unique_dim_cuda_templateIdEESt5tupleIJNSA_6TensorESF_SF_EERKSF_lbbbEUlllE_EE10hipError_tT0_T1_T2_T3_mRjT4_P12ihipStream_tbNS1_7vsmem_tEEUlT_E_NS1_11comp_targetILNS1_3genE10ELNS1_11target_archE1201ELNS1_3gpuE5ELNS1_3repE0EEENS1_30default_config_static_selectorELNS0_4arch9wavefront6targetE1EEEvSM_,comdat
.Lfunc_end754:
	.size	_ZN7rocprim17ROCPRIM_400000_NS6detail17trampoline_kernelINS0_14default_configENS1_37merge_sort_block_sort_config_selectorIlNS0_10empty_typeEEEZNS1_21merge_sort_block_sortIS3_PlS8_PS5_S9_ZN2at6native12_GLOBAL__N_124unique_dim_cuda_templateIdEESt5tupleIJNSA_6TensorESF_SF_EERKSF_lbbbEUlllE_EE10hipError_tT0_T1_T2_T3_mRjT4_P12ihipStream_tbNS1_7vsmem_tEEUlT_E_NS1_11comp_targetILNS1_3genE10ELNS1_11target_archE1201ELNS1_3gpuE5ELNS1_3repE0EEENS1_30default_config_static_selectorELNS0_4arch9wavefront6targetE1EEEvSM_, .Lfunc_end754-_ZN7rocprim17ROCPRIM_400000_NS6detail17trampoline_kernelINS0_14default_configENS1_37merge_sort_block_sort_config_selectorIlNS0_10empty_typeEEEZNS1_21merge_sort_block_sortIS3_PlS8_PS5_S9_ZN2at6native12_GLOBAL__N_124unique_dim_cuda_templateIdEESt5tupleIJNSA_6TensorESF_SF_EERKSF_lbbbEUlllE_EE10hipError_tT0_T1_T2_T3_mRjT4_P12ihipStream_tbNS1_7vsmem_tEEUlT_E_NS1_11comp_targetILNS1_3genE10ELNS1_11target_archE1201ELNS1_3gpuE5ELNS1_3repE0EEENS1_30default_config_static_selectorELNS0_4arch9wavefront6targetE1EEEvSM_
                                        ; -- End function
	.set _ZN7rocprim17ROCPRIM_400000_NS6detail17trampoline_kernelINS0_14default_configENS1_37merge_sort_block_sort_config_selectorIlNS0_10empty_typeEEEZNS1_21merge_sort_block_sortIS3_PlS8_PS5_S9_ZN2at6native12_GLOBAL__N_124unique_dim_cuda_templateIdEESt5tupleIJNSA_6TensorESF_SF_EERKSF_lbbbEUlllE_EE10hipError_tT0_T1_T2_T3_mRjT4_P12ihipStream_tbNS1_7vsmem_tEEUlT_E_NS1_11comp_targetILNS1_3genE10ELNS1_11target_archE1201ELNS1_3gpuE5ELNS1_3repE0EEENS1_30default_config_static_selectorELNS0_4arch9wavefront6targetE1EEEvSM_.num_vgpr, 0
	.set _ZN7rocprim17ROCPRIM_400000_NS6detail17trampoline_kernelINS0_14default_configENS1_37merge_sort_block_sort_config_selectorIlNS0_10empty_typeEEEZNS1_21merge_sort_block_sortIS3_PlS8_PS5_S9_ZN2at6native12_GLOBAL__N_124unique_dim_cuda_templateIdEESt5tupleIJNSA_6TensorESF_SF_EERKSF_lbbbEUlllE_EE10hipError_tT0_T1_T2_T3_mRjT4_P12ihipStream_tbNS1_7vsmem_tEEUlT_E_NS1_11comp_targetILNS1_3genE10ELNS1_11target_archE1201ELNS1_3gpuE5ELNS1_3repE0EEENS1_30default_config_static_selectorELNS0_4arch9wavefront6targetE1EEEvSM_.num_agpr, 0
	.set _ZN7rocprim17ROCPRIM_400000_NS6detail17trampoline_kernelINS0_14default_configENS1_37merge_sort_block_sort_config_selectorIlNS0_10empty_typeEEEZNS1_21merge_sort_block_sortIS3_PlS8_PS5_S9_ZN2at6native12_GLOBAL__N_124unique_dim_cuda_templateIdEESt5tupleIJNSA_6TensorESF_SF_EERKSF_lbbbEUlllE_EE10hipError_tT0_T1_T2_T3_mRjT4_P12ihipStream_tbNS1_7vsmem_tEEUlT_E_NS1_11comp_targetILNS1_3genE10ELNS1_11target_archE1201ELNS1_3gpuE5ELNS1_3repE0EEENS1_30default_config_static_selectorELNS0_4arch9wavefront6targetE1EEEvSM_.numbered_sgpr, 0
	.set _ZN7rocprim17ROCPRIM_400000_NS6detail17trampoline_kernelINS0_14default_configENS1_37merge_sort_block_sort_config_selectorIlNS0_10empty_typeEEEZNS1_21merge_sort_block_sortIS3_PlS8_PS5_S9_ZN2at6native12_GLOBAL__N_124unique_dim_cuda_templateIdEESt5tupleIJNSA_6TensorESF_SF_EERKSF_lbbbEUlllE_EE10hipError_tT0_T1_T2_T3_mRjT4_P12ihipStream_tbNS1_7vsmem_tEEUlT_E_NS1_11comp_targetILNS1_3genE10ELNS1_11target_archE1201ELNS1_3gpuE5ELNS1_3repE0EEENS1_30default_config_static_selectorELNS0_4arch9wavefront6targetE1EEEvSM_.num_named_barrier, 0
	.set _ZN7rocprim17ROCPRIM_400000_NS6detail17trampoline_kernelINS0_14default_configENS1_37merge_sort_block_sort_config_selectorIlNS0_10empty_typeEEEZNS1_21merge_sort_block_sortIS3_PlS8_PS5_S9_ZN2at6native12_GLOBAL__N_124unique_dim_cuda_templateIdEESt5tupleIJNSA_6TensorESF_SF_EERKSF_lbbbEUlllE_EE10hipError_tT0_T1_T2_T3_mRjT4_P12ihipStream_tbNS1_7vsmem_tEEUlT_E_NS1_11comp_targetILNS1_3genE10ELNS1_11target_archE1201ELNS1_3gpuE5ELNS1_3repE0EEENS1_30default_config_static_selectorELNS0_4arch9wavefront6targetE1EEEvSM_.private_seg_size, 0
	.set _ZN7rocprim17ROCPRIM_400000_NS6detail17trampoline_kernelINS0_14default_configENS1_37merge_sort_block_sort_config_selectorIlNS0_10empty_typeEEEZNS1_21merge_sort_block_sortIS3_PlS8_PS5_S9_ZN2at6native12_GLOBAL__N_124unique_dim_cuda_templateIdEESt5tupleIJNSA_6TensorESF_SF_EERKSF_lbbbEUlllE_EE10hipError_tT0_T1_T2_T3_mRjT4_P12ihipStream_tbNS1_7vsmem_tEEUlT_E_NS1_11comp_targetILNS1_3genE10ELNS1_11target_archE1201ELNS1_3gpuE5ELNS1_3repE0EEENS1_30default_config_static_selectorELNS0_4arch9wavefront6targetE1EEEvSM_.uses_vcc, 0
	.set _ZN7rocprim17ROCPRIM_400000_NS6detail17trampoline_kernelINS0_14default_configENS1_37merge_sort_block_sort_config_selectorIlNS0_10empty_typeEEEZNS1_21merge_sort_block_sortIS3_PlS8_PS5_S9_ZN2at6native12_GLOBAL__N_124unique_dim_cuda_templateIdEESt5tupleIJNSA_6TensorESF_SF_EERKSF_lbbbEUlllE_EE10hipError_tT0_T1_T2_T3_mRjT4_P12ihipStream_tbNS1_7vsmem_tEEUlT_E_NS1_11comp_targetILNS1_3genE10ELNS1_11target_archE1201ELNS1_3gpuE5ELNS1_3repE0EEENS1_30default_config_static_selectorELNS0_4arch9wavefront6targetE1EEEvSM_.uses_flat_scratch, 0
	.set _ZN7rocprim17ROCPRIM_400000_NS6detail17trampoline_kernelINS0_14default_configENS1_37merge_sort_block_sort_config_selectorIlNS0_10empty_typeEEEZNS1_21merge_sort_block_sortIS3_PlS8_PS5_S9_ZN2at6native12_GLOBAL__N_124unique_dim_cuda_templateIdEESt5tupleIJNSA_6TensorESF_SF_EERKSF_lbbbEUlllE_EE10hipError_tT0_T1_T2_T3_mRjT4_P12ihipStream_tbNS1_7vsmem_tEEUlT_E_NS1_11comp_targetILNS1_3genE10ELNS1_11target_archE1201ELNS1_3gpuE5ELNS1_3repE0EEENS1_30default_config_static_selectorELNS0_4arch9wavefront6targetE1EEEvSM_.has_dyn_sized_stack, 0
	.set _ZN7rocprim17ROCPRIM_400000_NS6detail17trampoline_kernelINS0_14default_configENS1_37merge_sort_block_sort_config_selectorIlNS0_10empty_typeEEEZNS1_21merge_sort_block_sortIS3_PlS8_PS5_S9_ZN2at6native12_GLOBAL__N_124unique_dim_cuda_templateIdEESt5tupleIJNSA_6TensorESF_SF_EERKSF_lbbbEUlllE_EE10hipError_tT0_T1_T2_T3_mRjT4_P12ihipStream_tbNS1_7vsmem_tEEUlT_E_NS1_11comp_targetILNS1_3genE10ELNS1_11target_archE1201ELNS1_3gpuE5ELNS1_3repE0EEENS1_30default_config_static_selectorELNS0_4arch9wavefront6targetE1EEEvSM_.has_recursion, 0
	.set _ZN7rocprim17ROCPRIM_400000_NS6detail17trampoline_kernelINS0_14default_configENS1_37merge_sort_block_sort_config_selectorIlNS0_10empty_typeEEEZNS1_21merge_sort_block_sortIS3_PlS8_PS5_S9_ZN2at6native12_GLOBAL__N_124unique_dim_cuda_templateIdEESt5tupleIJNSA_6TensorESF_SF_EERKSF_lbbbEUlllE_EE10hipError_tT0_T1_T2_T3_mRjT4_P12ihipStream_tbNS1_7vsmem_tEEUlT_E_NS1_11comp_targetILNS1_3genE10ELNS1_11target_archE1201ELNS1_3gpuE5ELNS1_3repE0EEENS1_30default_config_static_selectorELNS0_4arch9wavefront6targetE1EEEvSM_.has_indirect_call, 0
	.section	.AMDGPU.csdata,"",@progbits
; Kernel info:
; codeLenInByte = 0
; TotalNumSgprs: 6
; NumVgprs: 0
; NumAgprs: 0
; TotalNumVgprs: 0
; ScratchSize: 0
; MemoryBound: 0
; FloatMode: 240
; IeeeMode: 1
; LDSByteSize: 0 bytes/workgroup (compile time only)
; SGPRBlocks: 0
; VGPRBlocks: 0
; NumSGPRsForWavesPerEU: 6
; NumVGPRsForWavesPerEU: 1
; AccumOffset: 4
; Occupancy: 8
; WaveLimiterHint : 0
; COMPUTE_PGM_RSRC2:SCRATCH_EN: 0
; COMPUTE_PGM_RSRC2:USER_SGPR: 2
; COMPUTE_PGM_RSRC2:TRAP_HANDLER: 0
; COMPUTE_PGM_RSRC2:TGID_X_EN: 1
; COMPUTE_PGM_RSRC2:TGID_Y_EN: 0
; COMPUTE_PGM_RSRC2:TGID_Z_EN: 0
; COMPUTE_PGM_RSRC2:TIDIG_COMP_CNT: 0
; COMPUTE_PGM_RSRC3_GFX90A:ACCUM_OFFSET: 0
; COMPUTE_PGM_RSRC3_GFX90A:TG_SPLIT: 0
	.section	.text._ZN7rocprim17ROCPRIM_400000_NS6detail17trampoline_kernelINS0_14default_configENS1_37merge_sort_block_sort_config_selectorIlNS0_10empty_typeEEEZNS1_21merge_sort_block_sortIS3_PlS8_PS5_S9_ZN2at6native12_GLOBAL__N_124unique_dim_cuda_templateIdEESt5tupleIJNSA_6TensorESF_SF_EERKSF_lbbbEUlllE_EE10hipError_tT0_T1_T2_T3_mRjT4_P12ihipStream_tbNS1_7vsmem_tEEUlT_E_NS1_11comp_targetILNS1_3genE10ELNS1_11target_archE1200ELNS1_3gpuE4ELNS1_3repE0EEENS1_30default_config_static_selectorELNS0_4arch9wavefront6targetE1EEEvSM_,"axG",@progbits,_ZN7rocprim17ROCPRIM_400000_NS6detail17trampoline_kernelINS0_14default_configENS1_37merge_sort_block_sort_config_selectorIlNS0_10empty_typeEEEZNS1_21merge_sort_block_sortIS3_PlS8_PS5_S9_ZN2at6native12_GLOBAL__N_124unique_dim_cuda_templateIdEESt5tupleIJNSA_6TensorESF_SF_EERKSF_lbbbEUlllE_EE10hipError_tT0_T1_T2_T3_mRjT4_P12ihipStream_tbNS1_7vsmem_tEEUlT_E_NS1_11comp_targetILNS1_3genE10ELNS1_11target_archE1200ELNS1_3gpuE4ELNS1_3repE0EEENS1_30default_config_static_selectorELNS0_4arch9wavefront6targetE1EEEvSM_,comdat
	.globl	_ZN7rocprim17ROCPRIM_400000_NS6detail17trampoline_kernelINS0_14default_configENS1_37merge_sort_block_sort_config_selectorIlNS0_10empty_typeEEEZNS1_21merge_sort_block_sortIS3_PlS8_PS5_S9_ZN2at6native12_GLOBAL__N_124unique_dim_cuda_templateIdEESt5tupleIJNSA_6TensorESF_SF_EERKSF_lbbbEUlllE_EE10hipError_tT0_T1_T2_T3_mRjT4_P12ihipStream_tbNS1_7vsmem_tEEUlT_E_NS1_11comp_targetILNS1_3genE10ELNS1_11target_archE1200ELNS1_3gpuE4ELNS1_3repE0EEENS1_30default_config_static_selectorELNS0_4arch9wavefront6targetE1EEEvSM_ ; -- Begin function _ZN7rocprim17ROCPRIM_400000_NS6detail17trampoline_kernelINS0_14default_configENS1_37merge_sort_block_sort_config_selectorIlNS0_10empty_typeEEEZNS1_21merge_sort_block_sortIS3_PlS8_PS5_S9_ZN2at6native12_GLOBAL__N_124unique_dim_cuda_templateIdEESt5tupleIJNSA_6TensorESF_SF_EERKSF_lbbbEUlllE_EE10hipError_tT0_T1_T2_T3_mRjT4_P12ihipStream_tbNS1_7vsmem_tEEUlT_E_NS1_11comp_targetILNS1_3genE10ELNS1_11target_archE1200ELNS1_3gpuE4ELNS1_3repE0EEENS1_30default_config_static_selectorELNS0_4arch9wavefront6targetE1EEEvSM_
	.p2align	8
	.type	_ZN7rocprim17ROCPRIM_400000_NS6detail17trampoline_kernelINS0_14default_configENS1_37merge_sort_block_sort_config_selectorIlNS0_10empty_typeEEEZNS1_21merge_sort_block_sortIS3_PlS8_PS5_S9_ZN2at6native12_GLOBAL__N_124unique_dim_cuda_templateIdEESt5tupleIJNSA_6TensorESF_SF_EERKSF_lbbbEUlllE_EE10hipError_tT0_T1_T2_T3_mRjT4_P12ihipStream_tbNS1_7vsmem_tEEUlT_E_NS1_11comp_targetILNS1_3genE10ELNS1_11target_archE1200ELNS1_3gpuE4ELNS1_3repE0EEENS1_30default_config_static_selectorELNS0_4arch9wavefront6targetE1EEEvSM_,@function
_ZN7rocprim17ROCPRIM_400000_NS6detail17trampoline_kernelINS0_14default_configENS1_37merge_sort_block_sort_config_selectorIlNS0_10empty_typeEEEZNS1_21merge_sort_block_sortIS3_PlS8_PS5_S9_ZN2at6native12_GLOBAL__N_124unique_dim_cuda_templateIdEESt5tupleIJNSA_6TensorESF_SF_EERKSF_lbbbEUlllE_EE10hipError_tT0_T1_T2_T3_mRjT4_P12ihipStream_tbNS1_7vsmem_tEEUlT_E_NS1_11comp_targetILNS1_3genE10ELNS1_11target_archE1200ELNS1_3gpuE4ELNS1_3repE0EEENS1_30default_config_static_selectorELNS0_4arch9wavefront6targetE1EEEvSM_: ; @_ZN7rocprim17ROCPRIM_400000_NS6detail17trampoline_kernelINS0_14default_configENS1_37merge_sort_block_sort_config_selectorIlNS0_10empty_typeEEEZNS1_21merge_sort_block_sortIS3_PlS8_PS5_S9_ZN2at6native12_GLOBAL__N_124unique_dim_cuda_templateIdEESt5tupleIJNSA_6TensorESF_SF_EERKSF_lbbbEUlllE_EE10hipError_tT0_T1_T2_T3_mRjT4_P12ihipStream_tbNS1_7vsmem_tEEUlT_E_NS1_11comp_targetILNS1_3genE10ELNS1_11target_archE1200ELNS1_3gpuE4ELNS1_3repE0EEENS1_30default_config_static_selectorELNS0_4arch9wavefront6targetE1EEEvSM_
; %bb.0:
	.section	.rodata,"a",@progbits
	.p2align	6, 0x0
	.amdhsa_kernel _ZN7rocprim17ROCPRIM_400000_NS6detail17trampoline_kernelINS0_14default_configENS1_37merge_sort_block_sort_config_selectorIlNS0_10empty_typeEEEZNS1_21merge_sort_block_sortIS3_PlS8_PS5_S9_ZN2at6native12_GLOBAL__N_124unique_dim_cuda_templateIdEESt5tupleIJNSA_6TensorESF_SF_EERKSF_lbbbEUlllE_EE10hipError_tT0_T1_T2_T3_mRjT4_P12ihipStream_tbNS1_7vsmem_tEEUlT_E_NS1_11comp_targetILNS1_3genE10ELNS1_11target_archE1200ELNS1_3gpuE4ELNS1_3repE0EEENS1_30default_config_static_selectorELNS0_4arch9wavefront6targetE1EEEvSM_
		.amdhsa_group_segment_fixed_size 0
		.amdhsa_private_segment_fixed_size 0
		.amdhsa_kernarg_size 72
		.amdhsa_user_sgpr_count 2
		.amdhsa_user_sgpr_dispatch_ptr 0
		.amdhsa_user_sgpr_queue_ptr 0
		.amdhsa_user_sgpr_kernarg_segment_ptr 1
		.amdhsa_user_sgpr_dispatch_id 0
		.amdhsa_user_sgpr_kernarg_preload_length 0
		.amdhsa_user_sgpr_kernarg_preload_offset 0
		.amdhsa_user_sgpr_private_segment_size 0
		.amdhsa_uses_dynamic_stack 0
		.amdhsa_enable_private_segment 0
		.amdhsa_system_sgpr_workgroup_id_x 1
		.amdhsa_system_sgpr_workgroup_id_y 0
		.amdhsa_system_sgpr_workgroup_id_z 0
		.amdhsa_system_sgpr_workgroup_info 0
		.amdhsa_system_vgpr_workitem_id 0
		.amdhsa_next_free_vgpr 1
		.amdhsa_next_free_sgpr 0
		.amdhsa_accum_offset 4
		.amdhsa_reserve_vcc 0
		.amdhsa_float_round_mode_32 0
		.amdhsa_float_round_mode_16_64 0
		.amdhsa_float_denorm_mode_32 3
		.amdhsa_float_denorm_mode_16_64 3
		.amdhsa_dx10_clamp 1
		.amdhsa_ieee_mode 1
		.amdhsa_fp16_overflow 0
		.amdhsa_tg_split 0
		.amdhsa_exception_fp_ieee_invalid_op 0
		.amdhsa_exception_fp_denorm_src 0
		.amdhsa_exception_fp_ieee_div_zero 0
		.amdhsa_exception_fp_ieee_overflow 0
		.amdhsa_exception_fp_ieee_underflow 0
		.amdhsa_exception_fp_ieee_inexact 0
		.amdhsa_exception_int_div_zero 0
	.end_amdhsa_kernel
	.section	.text._ZN7rocprim17ROCPRIM_400000_NS6detail17trampoline_kernelINS0_14default_configENS1_37merge_sort_block_sort_config_selectorIlNS0_10empty_typeEEEZNS1_21merge_sort_block_sortIS3_PlS8_PS5_S9_ZN2at6native12_GLOBAL__N_124unique_dim_cuda_templateIdEESt5tupleIJNSA_6TensorESF_SF_EERKSF_lbbbEUlllE_EE10hipError_tT0_T1_T2_T3_mRjT4_P12ihipStream_tbNS1_7vsmem_tEEUlT_E_NS1_11comp_targetILNS1_3genE10ELNS1_11target_archE1200ELNS1_3gpuE4ELNS1_3repE0EEENS1_30default_config_static_selectorELNS0_4arch9wavefront6targetE1EEEvSM_,"axG",@progbits,_ZN7rocprim17ROCPRIM_400000_NS6detail17trampoline_kernelINS0_14default_configENS1_37merge_sort_block_sort_config_selectorIlNS0_10empty_typeEEEZNS1_21merge_sort_block_sortIS3_PlS8_PS5_S9_ZN2at6native12_GLOBAL__N_124unique_dim_cuda_templateIdEESt5tupleIJNSA_6TensorESF_SF_EERKSF_lbbbEUlllE_EE10hipError_tT0_T1_T2_T3_mRjT4_P12ihipStream_tbNS1_7vsmem_tEEUlT_E_NS1_11comp_targetILNS1_3genE10ELNS1_11target_archE1200ELNS1_3gpuE4ELNS1_3repE0EEENS1_30default_config_static_selectorELNS0_4arch9wavefront6targetE1EEEvSM_,comdat
.Lfunc_end755:
	.size	_ZN7rocprim17ROCPRIM_400000_NS6detail17trampoline_kernelINS0_14default_configENS1_37merge_sort_block_sort_config_selectorIlNS0_10empty_typeEEEZNS1_21merge_sort_block_sortIS3_PlS8_PS5_S9_ZN2at6native12_GLOBAL__N_124unique_dim_cuda_templateIdEESt5tupleIJNSA_6TensorESF_SF_EERKSF_lbbbEUlllE_EE10hipError_tT0_T1_T2_T3_mRjT4_P12ihipStream_tbNS1_7vsmem_tEEUlT_E_NS1_11comp_targetILNS1_3genE10ELNS1_11target_archE1200ELNS1_3gpuE4ELNS1_3repE0EEENS1_30default_config_static_selectorELNS0_4arch9wavefront6targetE1EEEvSM_, .Lfunc_end755-_ZN7rocprim17ROCPRIM_400000_NS6detail17trampoline_kernelINS0_14default_configENS1_37merge_sort_block_sort_config_selectorIlNS0_10empty_typeEEEZNS1_21merge_sort_block_sortIS3_PlS8_PS5_S9_ZN2at6native12_GLOBAL__N_124unique_dim_cuda_templateIdEESt5tupleIJNSA_6TensorESF_SF_EERKSF_lbbbEUlllE_EE10hipError_tT0_T1_T2_T3_mRjT4_P12ihipStream_tbNS1_7vsmem_tEEUlT_E_NS1_11comp_targetILNS1_3genE10ELNS1_11target_archE1200ELNS1_3gpuE4ELNS1_3repE0EEENS1_30default_config_static_selectorELNS0_4arch9wavefront6targetE1EEEvSM_
                                        ; -- End function
	.set _ZN7rocprim17ROCPRIM_400000_NS6detail17trampoline_kernelINS0_14default_configENS1_37merge_sort_block_sort_config_selectorIlNS0_10empty_typeEEEZNS1_21merge_sort_block_sortIS3_PlS8_PS5_S9_ZN2at6native12_GLOBAL__N_124unique_dim_cuda_templateIdEESt5tupleIJNSA_6TensorESF_SF_EERKSF_lbbbEUlllE_EE10hipError_tT0_T1_T2_T3_mRjT4_P12ihipStream_tbNS1_7vsmem_tEEUlT_E_NS1_11comp_targetILNS1_3genE10ELNS1_11target_archE1200ELNS1_3gpuE4ELNS1_3repE0EEENS1_30default_config_static_selectorELNS0_4arch9wavefront6targetE1EEEvSM_.num_vgpr, 0
	.set _ZN7rocprim17ROCPRIM_400000_NS6detail17trampoline_kernelINS0_14default_configENS1_37merge_sort_block_sort_config_selectorIlNS0_10empty_typeEEEZNS1_21merge_sort_block_sortIS3_PlS8_PS5_S9_ZN2at6native12_GLOBAL__N_124unique_dim_cuda_templateIdEESt5tupleIJNSA_6TensorESF_SF_EERKSF_lbbbEUlllE_EE10hipError_tT0_T1_T2_T3_mRjT4_P12ihipStream_tbNS1_7vsmem_tEEUlT_E_NS1_11comp_targetILNS1_3genE10ELNS1_11target_archE1200ELNS1_3gpuE4ELNS1_3repE0EEENS1_30default_config_static_selectorELNS0_4arch9wavefront6targetE1EEEvSM_.num_agpr, 0
	.set _ZN7rocprim17ROCPRIM_400000_NS6detail17trampoline_kernelINS0_14default_configENS1_37merge_sort_block_sort_config_selectorIlNS0_10empty_typeEEEZNS1_21merge_sort_block_sortIS3_PlS8_PS5_S9_ZN2at6native12_GLOBAL__N_124unique_dim_cuda_templateIdEESt5tupleIJNSA_6TensorESF_SF_EERKSF_lbbbEUlllE_EE10hipError_tT0_T1_T2_T3_mRjT4_P12ihipStream_tbNS1_7vsmem_tEEUlT_E_NS1_11comp_targetILNS1_3genE10ELNS1_11target_archE1200ELNS1_3gpuE4ELNS1_3repE0EEENS1_30default_config_static_selectorELNS0_4arch9wavefront6targetE1EEEvSM_.numbered_sgpr, 0
	.set _ZN7rocprim17ROCPRIM_400000_NS6detail17trampoline_kernelINS0_14default_configENS1_37merge_sort_block_sort_config_selectorIlNS0_10empty_typeEEEZNS1_21merge_sort_block_sortIS3_PlS8_PS5_S9_ZN2at6native12_GLOBAL__N_124unique_dim_cuda_templateIdEESt5tupleIJNSA_6TensorESF_SF_EERKSF_lbbbEUlllE_EE10hipError_tT0_T1_T2_T3_mRjT4_P12ihipStream_tbNS1_7vsmem_tEEUlT_E_NS1_11comp_targetILNS1_3genE10ELNS1_11target_archE1200ELNS1_3gpuE4ELNS1_3repE0EEENS1_30default_config_static_selectorELNS0_4arch9wavefront6targetE1EEEvSM_.num_named_barrier, 0
	.set _ZN7rocprim17ROCPRIM_400000_NS6detail17trampoline_kernelINS0_14default_configENS1_37merge_sort_block_sort_config_selectorIlNS0_10empty_typeEEEZNS1_21merge_sort_block_sortIS3_PlS8_PS5_S9_ZN2at6native12_GLOBAL__N_124unique_dim_cuda_templateIdEESt5tupleIJNSA_6TensorESF_SF_EERKSF_lbbbEUlllE_EE10hipError_tT0_T1_T2_T3_mRjT4_P12ihipStream_tbNS1_7vsmem_tEEUlT_E_NS1_11comp_targetILNS1_3genE10ELNS1_11target_archE1200ELNS1_3gpuE4ELNS1_3repE0EEENS1_30default_config_static_selectorELNS0_4arch9wavefront6targetE1EEEvSM_.private_seg_size, 0
	.set _ZN7rocprim17ROCPRIM_400000_NS6detail17trampoline_kernelINS0_14default_configENS1_37merge_sort_block_sort_config_selectorIlNS0_10empty_typeEEEZNS1_21merge_sort_block_sortIS3_PlS8_PS5_S9_ZN2at6native12_GLOBAL__N_124unique_dim_cuda_templateIdEESt5tupleIJNSA_6TensorESF_SF_EERKSF_lbbbEUlllE_EE10hipError_tT0_T1_T2_T3_mRjT4_P12ihipStream_tbNS1_7vsmem_tEEUlT_E_NS1_11comp_targetILNS1_3genE10ELNS1_11target_archE1200ELNS1_3gpuE4ELNS1_3repE0EEENS1_30default_config_static_selectorELNS0_4arch9wavefront6targetE1EEEvSM_.uses_vcc, 0
	.set _ZN7rocprim17ROCPRIM_400000_NS6detail17trampoline_kernelINS0_14default_configENS1_37merge_sort_block_sort_config_selectorIlNS0_10empty_typeEEEZNS1_21merge_sort_block_sortIS3_PlS8_PS5_S9_ZN2at6native12_GLOBAL__N_124unique_dim_cuda_templateIdEESt5tupleIJNSA_6TensorESF_SF_EERKSF_lbbbEUlllE_EE10hipError_tT0_T1_T2_T3_mRjT4_P12ihipStream_tbNS1_7vsmem_tEEUlT_E_NS1_11comp_targetILNS1_3genE10ELNS1_11target_archE1200ELNS1_3gpuE4ELNS1_3repE0EEENS1_30default_config_static_selectorELNS0_4arch9wavefront6targetE1EEEvSM_.uses_flat_scratch, 0
	.set _ZN7rocprim17ROCPRIM_400000_NS6detail17trampoline_kernelINS0_14default_configENS1_37merge_sort_block_sort_config_selectorIlNS0_10empty_typeEEEZNS1_21merge_sort_block_sortIS3_PlS8_PS5_S9_ZN2at6native12_GLOBAL__N_124unique_dim_cuda_templateIdEESt5tupleIJNSA_6TensorESF_SF_EERKSF_lbbbEUlllE_EE10hipError_tT0_T1_T2_T3_mRjT4_P12ihipStream_tbNS1_7vsmem_tEEUlT_E_NS1_11comp_targetILNS1_3genE10ELNS1_11target_archE1200ELNS1_3gpuE4ELNS1_3repE0EEENS1_30default_config_static_selectorELNS0_4arch9wavefront6targetE1EEEvSM_.has_dyn_sized_stack, 0
	.set _ZN7rocprim17ROCPRIM_400000_NS6detail17trampoline_kernelINS0_14default_configENS1_37merge_sort_block_sort_config_selectorIlNS0_10empty_typeEEEZNS1_21merge_sort_block_sortIS3_PlS8_PS5_S9_ZN2at6native12_GLOBAL__N_124unique_dim_cuda_templateIdEESt5tupleIJNSA_6TensorESF_SF_EERKSF_lbbbEUlllE_EE10hipError_tT0_T1_T2_T3_mRjT4_P12ihipStream_tbNS1_7vsmem_tEEUlT_E_NS1_11comp_targetILNS1_3genE10ELNS1_11target_archE1200ELNS1_3gpuE4ELNS1_3repE0EEENS1_30default_config_static_selectorELNS0_4arch9wavefront6targetE1EEEvSM_.has_recursion, 0
	.set _ZN7rocprim17ROCPRIM_400000_NS6detail17trampoline_kernelINS0_14default_configENS1_37merge_sort_block_sort_config_selectorIlNS0_10empty_typeEEEZNS1_21merge_sort_block_sortIS3_PlS8_PS5_S9_ZN2at6native12_GLOBAL__N_124unique_dim_cuda_templateIdEESt5tupleIJNSA_6TensorESF_SF_EERKSF_lbbbEUlllE_EE10hipError_tT0_T1_T2_T3_mRjT4_P12ihipStream_tbNS1_7vsmem_tEEUlT_E_NS1_11comp_targetILNS1_3genE10ELNS1_11target_archE1200ELNS1_3gpuE4ELNS1_3repE0EEENS1_30default_config_static_selectorELNS0_4arch9wavefront6targetE1EEEvSM_.has_indirect_call, 0
	.section	.AMDGPU.csdata,"",@progbits
; Kernel info:
; codeLenInByte = 0
; TotalNumSgprs: 6
; NumVgprs: 0
; NumAgprs: 0
; TotalNumVgprs: 0
; ScratchSize: 0
; MemoryBound: 0
; FloatMode: 240
; IeeeMode: 1
; LDSByteSize: 0 bytes/workgroup (compile time only)
; SGPRBlocks: 0
; VGPRBlocks: 0
; NumSGPRsForWavesPerEU: 6
; NumVGPRsForWavesPerEU: 1
; AccumOffset: 4
; Occupancy: 8
; WaveLimiterHint : 0
; COMPUTE_PGM_RSRC2:SCRATCH_EN: 0
; COMPUTE_PGM_RSRC2:USER_SGPR: 2
; COMPUTE_PGM_RSRC2:TRAP_HANDLER: 0
; COMPUTE_PGM_RSRC2:TGID_X_EN: 1
; COMPUTE_PGM_RSRC2:TGID_Y_EN: 0
; COMPUTE_PGM_RSRC2:TGID_Z_EN: 0
; COMPUTE_PGM_RSRC2:TIDIG_COMP_CNT: 0
; COMPUTE_PGM_RSRC3_GFX90A:ACCUM_OFFSET: 0
; COMPUTE_PGM_RSRC3_GFX90A:TG_SPLIT: 0
	.section	.text._ZN7rocprim17ROCPRIM_400000_NS6detail17trampoline_kernelINS0_14default_configENS1_37merge_sort_block_sort_config_selectorIlNS0_10empty_typeEEEZNS1_21merge_sort_block_sortIS3_PlS8_PS5_S9_ZN2at6native12_GLOBAL__N_124unique_dim_cuda_templateIdEESt5tupleIJNSA_6TensorESF_SF_EERKSF_lbbbEUlllE_EE10hipError_tT0_T1_T2_T3_mRjT4_P12ihipStream_tbNS1_7vsmem_tEEUlT_E_NS1_11comp_targetILNS1_3genE9ELNS1_11target_archE1100ELNS1_3gpuE3ELNS1_3repE0EEENS1_30default_config_static_selectorELNS0_4arch9wavefront6targetE1EEEvSM_,"axG",@progbits,_ZN7rocprim17ROCPRIM_400000_NS6detail17trampoline_kernelINS0_14default_configENS1_37merge_sort_block_sort_config_selectorIlNS0_10empty_typeEEEZNS1_21merge_sort_block_sortIS3_PlS8_PS5_S9_ZN2at6native12_GLOBAL__N_124unique_dim_cuda_templateIdEESt5tupleIJNSA_6TensorESF_SF_EERKSF_lbbbEUlllE_EE10hipError_tT0_T1_T2_T3_mRjT4_P12ihipStream_tbNS1_7vsmem_tEEUlT_E_NS1_11comp_targetILNS1_3genE9ELNS1_11target_archE1100ELNS1_3gpuE3ELNS1_3repE0EEENS1_30default_config_static_selectorELNS0_4arch9wavefront6targetE1EEEvSM_,comdat
	.globl	_ZN7rocprim17ROCPRIM_400000_NS6detail17trampoline_kernelINS0_14default_configENS1_37merge_sort_block_sort_config_selectorIlNS0_10empty_typeEEEZNS1_21merge_sort_block_sortIS3_PlS8_PS5_S9_ZN2at6native12_GLOBAL__N_124unique_dim_cuda_templateIdEESt5tupleIJNSA_6TensorESF_SF_EERKSF_lbbbEUlllE_EE10hipError_tT0_T1_T2_T3_mRjT4_P12ihipStream_tbNS1_7vsmem_tEEUlT_E_NS1_11comp_targetILNS1_3genE9ELNS1_11target_archE1100ELNS1_3gpuE3ELNS1_3repE0EEENS1_30default_config_static_selectorELNS0_4arch9wavefront6targetE1EEEvSM_ ; -- Begin function _ZN7rocprim17ROCPRIM_400000_NS6detail17trampoline_kernelINS0_14default_configENS1_37merge_sort_block_sort_config_selectorIlNS0_10empty_typeEEEZNS1_21merge_sort_block_sortIS3_PlS8_PS5_S9_ZN2at6native12_GLOBAL__N_124unique_dim_cuda_templateIdEESt5tupleIJNSA_6TensorESF_SF_EERKSF_lbbbEUlllE_EE10hipError_tT0_T1_T2_T3_mRjT4_P12ihipStream_tbNS1_7vsmem_tEEUlT_E_NS1_11comp_targetILNS1_3genE9ELNS1_11target_archE1100ELNS1_3gpuE3ELNS1_3repE0EEENS1_30default_config_static_selectorELNS0_4arch9wavefront6targetE1EEEvSM_
	.p2align	8
	.type	_ZN7rocprim17ROCPRIM_400000_NS6detail17trampoline_kernelINS0_14default_configENS1_37merge_sort_block_sort_config_selectorIlNS0_10empty_typeEEEZNS1_21merge_sort_block_sortIS3_PlS8_PS5_S9_ZN2at6native12_GLOBAL__N_124unique_dim_cuda_templateIdEESt5tupleIJNSA_6TensorESF_SF_EERKSF_lbbbEUlllE_EE10hipError_tT0_T1_T2_T3_mRjT4_P12ihipStream_tbNS1_7vsmem_tEEUlT_E_NS1_11comp_targetILNS1_3genE9ELNS1_11target_archE1100ELNS1_3gpuE3ELNS1_3repE0EEENS1_30default_config_static_selectorELNS0_4arch9wavefront6targetE1EEEvSM_,@function
_ZN7rocprim17ROCPRIM_400000_NS6detail17trampoline_kernelINS0_14default_configENS1_37merge_sort_block_sort_config_selectorIlNS0_10empty_typeEEEZNS1_21merge_sort_block_sortIS3_PlS8_PS5_S9_ZN2at6native12_GLOBAL__N_124unique_dim_cuda_templateIdEESt5tupleIJNSA_6TensorESF_SF_EERKSF_lbbbEUlllE_EE10hipError_tT0_T1_T2_T3_mRjT4_P12ihipStream_tbNS1_7vsmem_tEEUlT_E_NS1_11comp_targetILNS1_3genE9ELNS1_11target_archE1100ELNS1_3gpuE3ELNS1_3repE0EEENS1_30default_config_static_selectorELNS0_4arch9wavefront6targetE1EEEvSM_: ; @_ZN7rocprim17ROCPRIM_400000_NS6detail17trampoline_kernelINS0_14default_configENS1_37merge_sort_block_sort_config_selectorIlNS0_10empty_typeEEEZNS1_21merge_sort_block_sortIS3_PlS8_PS5_S9_ZN2at6native12_GLOBAL__N_124unique_dim_cuda_templateIdEESt5tupleIJNSA_6TensorESF_SF_EERKSF_lbbbEUlllE_EE10hipError_tT0_T1_T2_T3_mRjT4_P12ihipStream_tbNS1_7vsmem_tEEUlT_E_NS1_11comp_targetILNS1_3genE9ELNS1_11target_archE1100ELNS1_3gpuE3ELNS1_3repE0EEENS1_30default_config_static_selectorELNS0_4arch9wavefront6targetE1EEEvSM_
; %bb.0:
	.section	.rodata,"a",@progbits
	.p2align	6, 0x0
	.amdhsa_kernel _ZN7rocprim17ROCPRIM_400000_NS6detail17trampoline_kernelINS0_14default_configENS1_37merge_sort_block_sort_config_selectorIlNS0_10empty_typeEEEZNS1_21merge_sort_block_sortIS3_PlS8_PS5_S9_ZN2at6native12_GLOBAL__N_124unique_dim_cuda_templateIdEESt5tupleIJNSA_6TensorESF_SF_EERKSF_lbbbEUlllE_EE10hipError_tT0_T1_T2_T3_mRjT4_P12ihipStream_tbNS1_7vsmem_tEEUlT_E_NS1_11comp_targetILNS1_3genE9ELNS1_11target_archE1100ELNS1_3gpuE3ELNS1_3repE0EEENS1_30default_config_static_selectorELNS0_4arch9wavefront6targetE1EEEvSM_
		.amdhsa_group_segment_fixed_size 0
		.amdhsa_private_segment_fixed_size 0
		.amdhsa_kernarg_size 72
		.amdhsa_user_sgpr_count 2
		.amdhsa_user_sgpr_dispatch_ptr 0
		.amdhsa_user_sgpr_queue_ptr 0
		.amdhsa_user_sgpr_kernarg_segment_ptr 1
		.amdhsa_user_sgpr_dispatch_id 0
		.amdhsa_user_sgpr_kernarg_preload_length 0
		.amdhsa_user_sgpr_kernarg_preload_offset 0
		.amdhsa_user_sgpr_private_segment_size 0
		.amdhsa_uses_dynamic_stack 0
		.amdhsa_enable_private_segment 0
		.amdhsa_system_sgpr_workgroup_id_x 1
		.amdhsa_system_sgpr_workgroup_id_y 0
		.amdhsa_system_sgpr_workgroup_id_z 0
		.amdhsa_system_sgpr_workgroup_info 0
		.amdhsa_system_vgpr_workitem_id 0
		.amdhsa_next_free_vgpr 1
		.amdhsa_next_free_sgpr 0
		.amdhsa_accum_offset 4
		.amdhsa_reserve_vcc 0
		.amdhsa_float_round_mode_32 0
		.amdhsa_float_round_mode_16_64 0
		.amdhsa_float_denorm_mode_32 3
		.amdhsa_float_denorm_mode_16_64 3
		.amdhsa_dx10_clamp 1
		.amdhsa_ieee_mode 1
		.amdhsa_fp16_overflow 0
		.amdhsa_tg_split 0
		.amdhsa_exception_fp_ieee_invalid_op 0
		.amdhsa_exception_fp_denorm_src 0
		.amdhsa_exception_fp_ieee_div_zero 0
		.amdhsa_exception_fp_ieee_overflow 0
		.amdhsa_exception_fp_ieee_underflow 0
		.amdhsa_exception_fp_ieee_inexact 0
		.amdhsa_exception_int_div_zero 0
	.end_amdhsa_kernel
	.section	.text._ZN7rocprim17ROCPRIM_400000_NS6detail17trampoline_kernelINS0_14default_configENS1_37merge_sort_block_sort_config_selectorIlNS0_10empty_typeEEEZNS1_21merge_sort_block_sortIS3_PlS8_PS5_S9_ZN2at6native12_GLOBAL__N_124unique_dim_cuda_templateIdEESt5tupleIJNSA_6TensorESF_SF_EERKSF_lbbbEUlllE_EE10hipError_tT0_T1_T2_T3_mRjT4_P12ihipStream_tbNS1_7vsmem_tEEUlT_E_NS1_11comp_targetILNS1_3genE9ELNS1_11target_archE1100ELNS1_3gpuE3ELNS1_3repE0EEENS1_30default_config_static_selectorELNS0_4arch9wavefront6targetE1EEEvSM_,"axG",@progbits,_ZN7rocprim17ROCPRIM_400000_NS6detail17trampoline_kernelINS0_14default_configENS1_37merge_sort_block_sort_config_selectorIlNS0_10empty_typeEEEZNS1_21merge_sort_block_sortIS3_PlS8_PS5_S9_ZN2at6native12_GLOBAL__N_124unique_dim_cuda_templateIdEESt5tupleIJNSA_6TensorESF_SF_EERKSF_lbbbEUlllE_EE10hipError_tT0_T1_T2_T3_mRjT4_P12ihipStream_tbNS1_7vsmem_tEEUlT_E_NS1_11comp_targetILNS1_3genE9ELNS1_11target_archE1100ELNS1_3gpuE3ELNS1_3repE0EEENS1_30default_config_static_selectorELNS0_4arch9wavefront6targetE1EEEvSM_,comdat
.Lfunc_end756:
	.size	_ZN7rocprim17ROCPRIM_400000_NS6detail17trampoline_kernelINS0_14default_configENS1_37merge_sort_block_sort_config_selectorIlNS0_10empty_typeEEEZNS1_21merge_sort_block_sortIS3_PlS8_PS5_S9_ZN2at6native12_GLOBAL__N_124unique_dim_cuda_templateIdEESt5tupleIJNSA_6TensorESF_SF_EERKSF_lbbbEUlllE_EE10hipError_tT0_T1_T2_T3_mRjT4_P12ihipStream_tbNS1_7vsmem_tEEUlT_E_NS1_11comp_targetILNS1_3genE9ELNS1_11target_archE1100ELNS1_3gpuE3ELNS1_3repE0EEENS1_30default_config_static_selectorELNS0_4arch9wavefront6targetE1EEEvSM_, .Lfunc_end756-_ZN7rocprim17ROCPRIM_400000_NS6detail17trampoline_kernelINS0_14default_configENS1_37merge_sort_block_sort_config_selectorIlNS0_10empty_typeEEEZNS1_21merge_sort_block_sortIS3_PlS8_PS5_S9_ZN2at6native12_GLOBAL__N_124unique_dim_cuda_templateIdEESt5tupleIJNSA_6TensorESF_SF_EERKSF_lbbbEUlllE_EE10hipError_tT0_T1_T2_T3_mRjT4_P12ihipStream_tbNS1_7vsmem_tEEUlT_E_NS1_11comp_targetILNS1_3genE9ELNS1_11target_archE1100ELNS1_3gpuE3ELNS1_3repE0EEENS1_30default_config_static_selectorELNS0_4arch9wavefront6targetE1EEEvSM_
                                        ; -- End function
	.set _ZN7rocprim17ROCPRIM_400000_NS6detail17trampoline_kernelINS0_14default_configENS1_37merge_sort_block_sort_config_selectorIlNS0_10empty_typeEEEZNS1_21merge_sort_block_sortIS3_PlS8_PS5_S9_ZN2at6native12_GLOBAL__N_124unique_dim_cuda_templateIdEESt5tupleIJNSA_6TensorESF_SF_EERKSF_lbbbEUlllE_EE10hipError_tT0_T1_T2_T3_mRjT4_P12ihipStream_tbNS1_7vsmem_tEEUlT_E_NS1_11comp_targetILNS1_3genE9ELNS1_11target_archE1100ELNS1_3gpuE3ELNS1_3repE0EEENS1_30default_config_static_selectorELNS0_4arch9wavefront6targetE1EEEvSM_.num_vgpr, 0
	.set _ZN7rocprim17ROCPRIM_400000_NS6detail17trampoline_kernelINS0_14default_configENS1_37merge_sort_block_sort_config_selectorIlNS0_10empty_typeEEEZNS1_21merge_sort_block_sortIS3_PlS8_PS5_S9_ZN2at6native12_GLOBAL__N_124unique_dim_cuda_templateIdEESt5tupleIJNSA_6TensorESF_SF_EERKSF_lbbbEUlllE_EE10hipError_tT0_T1_T2_T3_mRjT4_P12ihipStream_tbNS1_7vsmem_tEEUlT_E_NS1_11comp_targetILNS1_3genE9ELNS1_11target_archE1100ELNS1_3gpuE3ELNS1_3repE0EEENS1_30default_config_static_selectorELNS0_4arch9wavefront6targetE1EEEvSM_.num_agpr, 0
	.set _ZN7rocprim17ROCPRIM_400000_NS6detail17trampoline_kernelINS0_14default_configENS1_37merge_sort_block_sort_config_selectorIlNS0_10empty_typeEEEZNS1_21merge_sort_block_sortIS3_PlS8_PS5_S9_ZN2at6native12_GLOBAL__N_124unique_dim_cuda_templateIdEESt5tupleIJNSA_6TensorESF_SF_EERKSF_lbbbEUlllE_EE10hipError_tT0_T1_T2_T3_mRjT4_P12ihipStream_tbNS1_7vsmem_tEEUlT_E_NS1_11comp_targetILNS1_3genE9ELNS1_11target_archE1100ELNS1_3gpuE3ELNS1_3repE0EEENS1_30default_config_static_selectorELNS0_4arch9wavefront6targetE1EEEvSM_.numbered_sgpr, 0
	.set _ZN7rocprim17ROCPRIM_400000_NS6detail17trampoline_kernelINS0_14default_configENS1_37merge_sort_block_sort_config_selectorIlNS0_10empty_typeEEEZNS1_21merge_sort_block_sortIS3_PlS8_PS5_S9_ZN2at6native12_GLOBAL__N_124unique_dim_cuda_templateIdEESt5tupleIJNSA_6TensorESF_SF_EERKSF_lbbbEUlllE_EE10hipError_tT0_T1_T2_T3_mRjT4_P12ihipStream_tbNS1_7vsmem_tEEUlT_E_NS1_11comp_targetILNS1_3genE9ELNS1_11target_archE1100ELNS1_3gpuE3ELNS1_3repE0EEENS1_30default_config_static_selectorELNS0_4arch9wavefront6targetE1EEEvSM_.num_named_barrier, 0
	.set _ZN7rocprim17ROCPRIM_400000_NS6detail17trampoline_kernelINS0_14default_configENS1_37merge_sort_block_sort_config_selectorIlNS0_10empty_typeEEEZNS1_21merge_sort_block_sortIS3_PlS8_PS5_S9_ZN2at6native12_GLOBAL__N_124unique_dim_cuda_templateIdEESt5tupleIJNSA_6TensorESF_SF_EERKSF_lbbbEUlllE_EE10hipError_tT0_T1_T2_T3_mRjT4_P12ihipStream_tbNS1_7vsmem_tEEUlT_E_NS1_11comp_targetILNS1_3genE9ELNS1_11target_archE1100ELNS1_3gpuE3ELNS1_3repE0EEENS1_30default_config_static_selectorELNS0_4arch9wavefront6targetE1EEEvSM_.private_seg_size, 0
	.set _ZN7rocprim17ROCPRIM_400000_NS6detail17trampoline_kernelINS0_14default_configENS1_37merge_sort_block_sort_config_selectorIlNS0_10empty_typeEEEZNS1_21merge_sort_block_sortIS3_PlS8_PS5_S9_ZN2at6native12_GLOBAL__N_124unique_dim_cuda_templateIdEESt5tupleIJNSA_6TensorESF_SF_EERKSF_lbbbEUlllE_EE10hipError_tT0_T1_T2_T3_mRjT4_P12ihipStream_tbNS1_7vsmem_tEEUlT_E_NS1_11comp_targetILNS1_3genE9ELNS1_11target_archE1100ELNS1_3gpuE3ELNS1_3repE0EEENS1_30default_config_static_selectorELNS0_4arch9wavefront6targetE1EEEvSM_.uses_vcc, 0
	.set _ZN7rocprim17ROCPRIM_400000_NS6detail17trampoline_kernelINS0_14default_configENS1_37merge_sort_block_sort_config_selectorIlNS0_10empty_typeEEEZNS1_21merge_sort_block_sortIS3_PlS8_PS5_S9_ZN2at6native12_GLOBAL__N_124unique_dim_cuda_templateIdEESt5tupleIJNSA_6TensorESF_SF_EERKSF_lbbbEUlllE_EE10hipError_tT0_T1_T2_T3_mRjT4_P12ihipStream_tbNS1_7vsmem_tEEUlT_E_NS1_11comp_targetILNS1_3genE9ELNS1_11target_archE1100ELNS1_3gpuE3ELNS1_3repE0EEENS1_30default_config_static_selectorELNS0_4arch9wavefront6targetE1EEEvSM_.uses_flat_scratch, 0
	.set _ZN7rocprim17ROCPRIM_400000_NS6detail17trampoline_kernelINS0_14default_configENS1_37merge_sort_block_sort_config_selectorIlNS0_10empty_typeEEEZNS1_21merge_sort_block_sortIS3_PlS8_PS5_S9_ZN2at6native12_GLOBAL__N_124unique_dim_cuda_templateIdEESt5tupleIJNSA_6TensorESF_SF_EERKSF_lbbbEUlllE_EE10hipError_tT0_T1_T2_T3_mRjT4_P12ihipStream_tbNS1_7vsmem_tEEUlT_E_NS1_11comp_targetILNS1_3genE9ELNS1_11target_archE1100ELNS1_3gpuE3ELNS1_3repE0EEENS1_30default_config_static_selectorELNS0_4arch9wavefront6targetE1EEEvSM_.has_dyn_sized_stack, 0
	.set _ZN7rocprim17ROCPRIM_400000_NS6detail17trampoline_kernelINS0_14default_configENS1_37merge_sort_block_sort_config_selectorIlNS0_10empty_typeEEEZNS1_21merge_sort_block_sortIS3_PlS8_PS5_S9_ZN2at6native12_GLOBAL__N_124unique_dim_cuda_templateIdEESt5tupleIJNSA_6TensorESF_SF_EERKSF_lbbbEUlllE_EE10hipError_tT0_T1_T2_T3_mRjT4_P12ihipStream_tbNS1_7vsmem_tEEUlT_E_NS1_11comp_targetILNS1_3genE9ELNS1_11target_archE1100ELNS1_3gpuE3ELNS1_3repE0EEENS1_30default_config_static_selectorELNS0_4arch9wavefront6targetE1EEEvSM_.has_recursion, 0
	.set _ZN7rocprim17ROCPRIM_400000_NS6detail17trampoline_kernelINS0_14default_configENS1_37merge_sort_block_sort_config_selectorIlNS0_10empty_typeEEEZNS1_21merge_sort_block_sortIS3_PlS8_PS5_S9_ZN2at6native12_GLOBAL__N_124unique_dim_cuda_templateIdEESt5tupleIJNSA_6TensorESF_SF_EERKSF_lbbbEUlllE_EE10hipError_tT0_T1_T2_T3_mRjT4_P12ihipStream_tbNS1_7vsmem_tEEUlT_E_NS1_11comp_targetILNS1_3genE9ELNS1_11target_archE1100ELNS1_3gpuE3ELNS1_3repE0EEENS1_30default_config_static_selectorELNS0_4arch9wavefront6targetE1EEEvSM_.has_indirect_call, 0
	.section	.AMDGPU.csdata,"",@progbits
; Kernel info:
; codeLenInByte = 0
; TotalNumSgprs: 6
; NumVgprs: 0
; NumAgprs: 0
; TotalNumVgprs: 0
; ScratchSize: 0
; MemoryBound: 0
; FloatMode: 240
; IeeeMode: 1
; LDSByteSize: 0 bytes/workgroup (compile time only)
; SGPRBlocks: 0
; VGPRBlocks: 0
; NumSGPRsForWavesPerEU: 6
; NumVGPRsForWavesPerEU: 1
; AccumOffset: 4
; Occupancy: 8
; WaveLimiterHint : 0
; COMPUTE_PGM_RSRC2:SCRATCH_EN: 0
; COMPUTE_PGM_RSRC2:USER_SGPR: 2
; COMPUTE_PGM_RSRC2:TRAP_HANDLER: 0
; COMPUTE_PGM_RSRC2:TGID_X_EN: 1
; COMPUTE_PGM_RSRC2:TGID_Y_EN: 0
; COMPUTE_PGM_RSRC2:TGID_Z_EN: 0
; COMPUTE_PGM_RSRC2:TIDIG_COMP_CNT: 0
; COMPUTE_PGM_RSRC3_GFX90A:ACCUM_OFFSET: 0
; COMPUTE_PGM_RSRC3_GFX90A:TG_SPLIT: 0
	.section	.text._ZN7rocprim17ROCPRIM_400000_NS6detail17trampoline_kernelINS0_14default_configENS1_37merge_sort_block_sort_config_selectorIlNS0_10empty_typeEEEZNS1_21merge_sort_block_sortIS3_PlS8_PS5_S9_ZN2at6native12_GLOBAL__N_124unique_dim_cuda_templateIdEESt5tupleIJNSA_6TensorESF_SF_EERKSF_lbbbEUlllE_EE10hipError_tT0_T1_T2_T3_mRjT4_P12ihipStream_tbNS1_7vsmem_tEEUlT_E_NS1_11comp_targetILNS1_3genE8ELNS1_11target_archE1030ELNS1_3gpuE2ELNS1_3repE0EEENS1_30default_config_static_selectorELNS0_4arch9wavefront6targetE1EEEvSM_,"axG",@progbits,_ZN7rocprim17ROCPRIM_400000_NS6detail17trampoline_kernelINS0_14default_configENS1_37merge_sort_block_sort_config_selectorIlNS0_10empty_typeEEEZNS1_21merge_sort_block_sortIS3_PlS8_PS5_S9_ZN2at6native12_GLOBAL__N_124unique_dim_cuda_templateIdEESt5tupleIJNSA_6TensorESF_SF_EERKSF_lbbbEUlllE_EE10hipError_tT0_T1_T2_T3_mRjT4_P12ihipStream_tbNS1_7vsmem_tEEUlT_E_NS1_11comp_targetILNS1_3genE8ELNS1_11target_archE1030ELNS1_3gpuE2ELNS1_3repE0EEENS1_30default_config_static_selectorELNS0_4arch9wavefront6targetE1EEEvSM_,comdat
	.globl	_ZN7rocprim17ROCPRIM_400000_NS6detail17trampoline_kernelINS0_14default_configENS1_37merge_sort_block_sort_config_selectorIlNS0_10empty_typeEEEZNS1_21merge_sort_block_sortIS3_PlS8_PS5_S9_ZN2at6native12_GLOBAL__N_124unique_dim_cuda_templateIdEESt5tupleIJNSA_6TensorESF_SF_EERKSF_lbbbEUlllE_EE10hipError_tT0_T1_T2_T3_mRjT4_P12ihipStream_tbNS1_7vsmem_tEEUlT_E_NS1_11comp_targetILNS1_3genE8ELNS1_11target_archE1030ELNS1_3gpuE2ELNS1_3repE0EEENS1_30default_config_static_selectorELNS0_4arch9wavefront6targetE1EEEvSM_ ; -- Begin function _ZN7rocprim17ROCPRIM_400000_NS6detail17trampoline_kernelINS0_14default_configENS1_37merge_sort_block_sort_config_selectorIlNS0_10empty_typeEEEZNS1_21merge_sort_block_sortIS3_PlS8_PS5_S9_ZN2at6native12_GLOBAL__N_124unique_dim_cuda_templateIdEESt5tupleIJNSA_6TensorESF_SF_EERKSF_lbbbEUlllE_EE10hipError_tT0_T1_T2_T3_mRjT4_P12ihipStream_tbNS1_7vsmem_tEEUlT_E_NS1_11comp_targetILNS1_3genE8ELNS1_11target_archE1030ELNS1_3gpuE2ELNS1_3repE0EEENS1_30default_config_static_selectorELNS0_4arch9wavefront6targetE1EEEvSM_
	.p2align	8
	.type	_ZN7rocprim17ROCPRIM_400000_NS6detail17trampoline_kernelINS0_14default_configENS1_37merge_sort_block_sort_config_selectorIlNS0_10empty_typeEEEZNS1_21merge_sort_block_sortIS3_PlS8_PS5_S9_ZN2at6native12_GLOBAL__N_124unique_dim_cuda_templateIdEESt5tupleIJNSA_6TensorESF_SF_EERKSF_lbbbEUlllE_EE10hipError_tT0_T1_T2_T3_mRjT4_P12ihipStream_tbNS1_7vsmem_tEEUlT_E_NS1_11comp_targetILNS1_3genE8ELNS1_11target_archE1030ELNS1_3gpuE2ELNS1_3repE0EEENS1_30default_config_static_selectorELNS0_4arch9wavefront6targetE1EEEvSM_,@function
_ZN7rocprim17ROCPRIM_400000_NS6detail17trampoline_kernelINS0_14default_configENS1_37merge_sort_block_sort_config_selectorIlNS0_10empty_typeEEEZNS1_21merge_sort_block_sortIS3_PlS8_PS5_S9_ZN2at6native12_GLOBAL__N_124unique_dim_cuda_templateIdEESt5tupleIJNSA_6TensorESF_SF_EERKSF_lbbbEUlllE_EE10hipError_tT0_T1_T2_T3_mRjT4_P12ihipStream_tbNS1_7vsmem_tEEUlT_E_NS1_11comp_targetILNS1_3genE8ELNS1_11target_archE1030ELNS1_3gpuE2ELNS1_3repE0EEENS1_30default_config_static_selectorELNS0_4arch9wavefront6targetE1EEEvSM_: ; @_ZN7rocprim17ROCPRIM_400000_NS6detail17trampoline_kernelINS0_14default_configENS1_37merge_sort_block_sort_config_selectorIlNS0_10empty_typeEEEZNS1_21merge_sort_block_sortIS3_PlS8_PS5_S9_ZN2at6native12_GLOBAL__N_124unique_dim_cuda_templateIdEESt5tupleIJNSA_6TensorESF_SF_EERKSF_lbbbEUlllE_EE10hipError_tT0_T1_T2_T3_mRjT4_P12ihipStream_tbNS1_7vsmem_tEEUlT_E_NS1_11comp_targetILNS1_3genE8ELNS1_11target_archE1030ELNS1_3gpuE2ELNS1_3repE0EEENS1_30default_config_static_selectorELNS0_4arch9wavefront6targetE1EEEvSM_
; %bb.0:
	.section	.rodata,"a",@progbits
	.p2align	6, 0x0
	.amdhsa_kernel _ZN7rocprim17ROCPRIM_400000_NS6detail17trampoline_kernelINS0_14default_configENS1_37merge_sort_block_sort_config_selectorIlNS0_10empty_typeEEEZNS1_21merge_sort_block_sortIS3_PlS8_PS5_S9_ZN2at6native12_GLOBAL__N_124unique_dim_cuda_templateIdEESt5tupleIJNSA_6TensorESF_SF_EERKSF_lbbbEUlllE_EE10hipError_tT0_T1_T2_T3_mRjT4_P12ihipStream_tbNS1_7vsmem_tEEUlT_E_NS1_11comp_targetILNS1_3genE8ELNS1_11target_archE1030ELNS1_3gpuE2ELNS1_3repE0EEENS1_30default_config_static_selectorELNS0_4arch9wavefront6targetE1EEEvSM_
		.amdhsa_group_segment_fixed_size 0
		.amdhsa_private_segment_fixed_size 0
		.amdhsa_kernarg_size 72
		.amdhsa_user_sgpr_count 2
		.amdhsa_user_sgpr_dispatch_ptr 0
		.amdhsa_user_sgpr_queue_ptr 0
		.amdhsa_user_sgpr_kernarg_segment_ptr 1
		.amdhsa_user_sgpr_dispatch_id 0
		.amdhsa_user_sgpr_kernarg_preload_length 0
		.amdhsa_user_sgpr_kernarg_preload_offset 0
		.amdhsa_user_sgpr_private_segment_size 0
		.amdhsa_uses_dynamic_stack 0
		.amdhsa_enable_private_segment 0
		.amdhsa_system_sgpr_workgroup_id_x 1
		.amdhsa_system_sgpr_workgroup_id_y 0
		.amdhsa_system_sgpr_workgroup_id_z 0
		.amdhsa_system_sgpr_workgroup_info 0
		.amdhsa_system_vgpr_workitem_id 0
		.amdhsa_next_free_vgpr 1
		.amdhsa_next_free_sgpr 0
		.amdhsa_accum_offset 4
		.amdhsa_reserve_vcc 0
		.amdhsa_float_round_mode_32 0
		.amdhsa_float_round_mode_16_64 0
		.amdhsa_float_denorm_mode_32 3
		.amdhsa_float_denorm_mode_16_64 3
		.amdhsa_dx10_clamp 1
		.amdhsa_ieee_mode 1
		.amdhsa_fp16_overflow 0
		.amdhsa_tg_split 0
		.amdhsa_exception_fp_ieee_invalid_op 0
		.amdhsa_exception_fp_denorm_src 0
		.amdhsa_exception_fp_ieee_div_zero 0
		.amdhsa_exception_fp_ieee_overflow 0
		.amdhsa_exception_fp_ieee_underflow 0
		.amdhsa_exception_fp_ieee_inexact 0
		.amdhsa_exception_int_div_zero 0
	.end_amdhsa_kernel
	.section	.text._ZN7rocprim17ROCPRIM_400000_NS6detail17trampoline_kernelINS0_14default_configENS1_37merge_sort_block_sort_config_selectorIlNS0_10empty_typeEEEZNS1_21merge_sort_block_sortIS3_PlS8_PS5_S9_ZN2at6native12_GLOBAL__N_124unique_dim_cuda_templateIdEESt5tupleIJNSA_6TensorESF_SF_EERKSF_lbbbEUlllE_EE10hipError_tT0_T1_T2_T3_mRjT4_P12ihipStream_tbNS1_7vsmem_tEEUlT_E_NS1_11comp_targetILNS1_3genE8ELNS1_11target_archE1030ELNS1_3gpuE2ELNS1_3repE0EEENS1_30default_config_static_selectorELNS0_4arch9wavefront6targetE1EEEvSM_,"axG",@progbits,_ZN7rocprim17ROCPRIM_400000_NS6detail17trampoline_kernelINS0_14default_configENS1_37merge_sort_block_sort_config_selectorIlNS0_10empty_typeEEEZNS1_21merge_sort_block_sortIS3_PlS8_PS5_S9_ZN2at6native12_GLOBAL__N_124unique_dim_cuda_templateIdEESt5tupleIJNSA_6TensorESF_SF_EERKSF_lbbbEUlllE_EE10hipError_tT0_T1_T2_T3_mRjT4_P12ihipStream_tbNS1_7vsmem_tEEUlT_E_NS1_11comp_targetILNS1_3genE8ELNS1_11target_archE1030ELNS1_3gpuE2ELNS1_3repE0EEENS1_30default_config_static_selectorELNS0_4arch9wavefront6targetE1EEEvSM_,comdat
.Lfunc_end757:
	.size	_ZN7rocprim17ROCPRIM_400000_NS6detail17trampoline_kernelINS0_14default_configENS1_37merge_sort_block_sort_config_selectorIlNS0_10empty_typeEEEZNS1_21merge_sort_block_sortIS3_PlS8_PS5_S9_ZN2at6native12_GLOBAL__N_124unique_dim_cuda_templateIdEESt5tupleIJNSA_6TensorESF_SF_EERKSF_lbbbEUlllE_EE10hipError_tT0_T1_T2_T3_mRjT4_P12ihipStream_tbNS1_7vsmem_tEEUlT_E_NS1_11comp_targetILNS1_3genE8ELNS1_11target_archE1030ELNS1_3gpuE2ELNS1_3repE0EEENS1_30default_config_static_selectorELNS0_4arch9wavefront6targetE1EEEvSM_, .Lfunc_end757-_ZN7rocprim17ROCPRIM_400000_NS6detail17trampoline_kernelINS0_14default_configENS1_37merge_sort_block_sort_config_selectorIlNS0_10empty_typeEEEZNS1_21merge_sort_block_sortIS3_PlS8_PS5_S9_ZN2at6native12_GLOBAL__N_124unique_dim_cuda_templateIdEESt5tupleIJNSA_6TensorESF_SF_EERKSF_lbbbEUlllE_EE10hipError_tT0_T1_T2_T3_mRjT4_P12ihipStream_tbNS1_7vsmem_tEEUlT_E_NS1_11comp_targetILNS1_3genE8ELNS1_11target_archE1030ELNS1_3gpuE2ELNS1_3repE0EEENS1_30default_config_static_selectorELNS0_4arch9wavefront6targetE1EEEvSM_
                                        ; -- End function
	.set _ZN7rocprim17ROCPRIM_400000_NS6detail17trampoline_kernelINS0_14default_configENS1_37merge_sort_block_sort_config_selectorIlNS0_10empty_typeEEEZNS1_21merge_sort_block_sortIS3_PlS8_PS5_S9_ZN2at6native12_GLOBAL__N_124unique_dim_cuda_templateIdEESt5tupleIJNSA_6TensorESF_SF_EERKSF_lbbbEUlllE_EE10hipError_tT0_T1_T2_T3_mRjT4_P12ihipStream_tbNS1_7vsmem_tEEUlT_E_NS1_11comp_targetILNS1_3genE8ELNS1_11target_archE1030ELNS1_3gpuE2ELNS1_3repE0EEENS1_30default_config_static_selectorELNS0_4arch9wavefront6targetE1EEEvSM_.num_vgpr, 0
	.set _ZN7rocprim17ROCPRIM_400000_NS6detail17trampoline_kernelINS0_14default_configENS1_37merge_sort_block_sort_config_selectorIlNS0_10empty_typeEEEZNS1_21merge_sort_block_sortIS3_PlS8_PS5_S9_ZN2at6native12_GLOBAL__N_124unique_dim_cuda_templateIdEESt5tupleIJNSA_6TensorESF_SF_EERKSF_lbbbEUlllE_EE10hipError_tT0_T1_T2_T3_mRjT4_P12ihipStream_tbNS1_7vsmem_tEEUlT_E_NS1_11comp_targetILNS1_3genE8ELNS1_11target_archE1030ELNS1_3gpuE2ELNS1_3repE0EEENS1_30default_config_static_selectorELNS0_4arch9wavefront6targetE1EEEvSM_.num_agpr, 0
	.set _ZN7rocprim17ROCPRIM_400000_NS6detail17trampoline_kernelINS0_14default_configENS1_37merge_sort_block_sort_config_selectorIlNS0_10empty_typeEEEZNS1_21merge_sort_block_sortIS3_PlS8_PS5_S9_ZN2at6native12_GLOBAL__N_124unique_dim_cuda_templateIdEESt5tupleIJNSA_6TensorESF_SF_EERKSF_lbbbEUlllE_EE10hipError_tT0_T1_T2_T3_mRjT4_P12ihipStream_tbNS1_7vsmem_tEEUlT_E_NS1_11comp_targetILNS1_3genE8ELNS1_11target_archE1030ELNS1_3gpuE2ELNS1_3repE0EEENS1_30default_config_static_selectorELNS0_4arch9wavefront6targetE1EEEvSM_.numbered_sgpr, 0
	.set _ZN7rocprim17ROCPRIM_400000_NS6detail17trampoline_kernelINS0_14default_configENS1_37merge_sort_block_sort_config_selectorIlNS0_10empty_typeEEEZNS1_21merge_sort_block_sortIS3_PlS8_PS5_S9_ZN2at6native12_GLOBAL__N_124unique_dim_cuda_templateIdEESt5tupleIJNSA_6TensorESF_SF_EERKSF_lbbbEUlllE_EE10hipError_tT0_T1_T2_T3_mRjT4_P12ihipStream_tbNS1_7vsmem_tEEUlT_E_NS1_11comp_targetILNS1_3genE8ELNS1_11target_archE1030ELNS1_3gpuE2ELNS1_3repE0EEENS1_30default_config_static_selectorELNS0_4arch9wavefront6targetE1EEEvSM_.num_named_barrier, 0
	.set _ZN7rocprim17ROCPRIM_400000_NS6detail17trampoline_kernelINS0_14default_configENS1_37merge_sort_block_sort_config_selectorIlNS0_10empty_typeEEEZNS1_21merge_sort_block_sortIS3_PlS8_PS5_S9_ZN2at6native12_GLOBAL__N_124unique_dim_cuda_templateIdEESt5tupleIJNSA_6TensorESF_SF_EERKSF_lbbbEUlllE_EE10hipError_tT0_T1_T2_T3_mRjT4_P12ihipStream_tbNS1_7vsmem_tEEUlT_E_NS1_11comp_targetILNS1_3genE8ELNS1_11target_archE1030ELNS1_3gpuE2ELNS1_3repE0EEENS1_30default_config_static_selectorELNS0_4arch9wavefront6targetE1EEEvSM_.private_seg_size, 0
	.set _ZN7rocprim17ROCPRIM_400000_NS6detail17trampoline_kernelINS0_14default_configENS1_37merge_sort_block_sort_config_selectorIlNS0_10empty_typeEEEZNS1_21merge_sort_block_sortIS3_PlS8_PS5_S9_ZN2at6native12_GLOBAL__N_124unique_dim_cuda_templateIdEESt5tupleIJNSA_6TensorESF_SF_EERKSF_lbbbEUlllE_EE10hipError_tT0_T1_T2_T3_mRjT4_P12ihipStream_tbNS1_7vsmem_tEEUlT_E_NS1_11comp_targetILNS1_3genE8ELNS1_11target_archE1030ELNS1_3gpuE2ELNS1_3repE0EEENS1_30default_config_static_selectorELNS0_4arch9wavefront6targetE1EEEvSM_.uses_vcc, 0
	.set _ZN7rocprim17ROCPRIM_400000_NS6detail17trampoline_kernelINS0_14default_configENS1_37merge_sort_block_sort_config_selectorIlNS0_10empty_typeEEEZNS1_21merge_sort_block_sortIS3_PlS8_PS5_S9_ZN2at6native12_GLOBAL__N_124unique_dim_cuda_templateIdEESt5tupleIJNSA_6TensorESF_SF_EERKSF_lbbbEUlllE_EE10hipError_tT0_T1_T2_T3_mRjT4_P12ihipStream_tbNS1_7vsmem_tEEUlT_E_NS1_11comp_targetILNS1_3genE8ELNS1_11target_archE1030ELNS1_3gpuE2ELNS1_3repE0EEENS1_30default_config_static_selectorELNS0_4arch9wavefront6targetE1EEEvSM_.uses_flat_scratch, 0
	.set _ZN7rocprim17ROCPRIM_400000_NS6detail17trampoline_kernelINS0_14default_configENS1_37merge_sort_block_sort_config_selectorIlNS0_10empty_typeEEEZNS1_21merge_sort_block_sortIS3_PlS8_PS5_S9_ZN2at6native12_GLOBAL__N_124unique_dim_cuda_templateIdEESt5tupleIJNSA_6TensorESF_SF_EERKSF_lbbbEUlllE_EE10hipError_tT0_T1_T2_T3_mRjT4_P12ihipStream_tbNS1_7vsmem_tEEUlT_E_NS1_11comp_targetILNS1_3genE8ELNS1_11target_archE1030ELNS1_3gpuE2ELNS1_3repE0EEENS1_30default_config_static_selectorELNS0_4arch9wavefront6targetE1EEEvSM_.has_dyn_sized_stack, 0
	.set _ZN7rocprim17ROCPRIM_400000_NS6detail17trampoline_kernelINS0_14default_configENS1_37merge_sort_block_sort_config_selectorIlNS0_10empty_typeEEEZNS1_21merge_sort_block_sortIS3_PlS8_PS5_S9_ZN2at6native12_GLOBAL__N_124unique_dim_cuda_templateIdEESt5tupleIJNSA_6TensorESF_SF_EERKSF_lbbbEUlllE_EE10hipError_tT0_T1_T2_T3_mRjT4_P12ihipStream_tbNS1_7vsmem_tEEUlT_E_NS1_11comp_targetILNS1_3genE8ELNS1_11target_archE1030ELNS1_3gpuE2ELNS1_3repE0EEENS1_30default_config_static_selectorELNS0_4arch9wavefront6targetE1EEEvSM_.has_recursion, 0
	.set _ZN7rocprim17ROCPRIM_400000_NS6detail17trampoline_kernelINS0_14default_configENS1_37merge_sort_block_sort_config_selectorIlNS0_10empty_typeEEEZNS1_21merge_sort_block_sortIS3_PlS8_PS5_S9_ZN2at6native12_GLOBAL__N_124unique_dim_cuda_templateIdEESt5tupleIJNSA_6TensorESF_SF_EERKSF_lbbbEUlllE_EE10hipError_tT0_T1_T2_T3_mRjT4_P12ihipStream_tbNS1_7vsmem_tEEUlT_E_NS1_11comp_targetILNS1_3genE8ELNS1_11target_archE1030ELNS1_3gpuE2ELNS1_3repE0EEENS1_30default_config_static_selectorELNS0_4arch9wavefront6targetE1EEEvSM_.has_indirect_call, 0
	.section	.AMDGPU.csdata,"",@progbits
; Kernel info:
; codeLenInByte = 0
; TotalNumSgprs: 6
; NumVgprs: 0
; NumAgprs: 0
; TotalNumVgprs: 0
; ScratchSize: 0
; MemoryBound: 0
; FloatMode: 240
; IeeeMode: 1
; LDSByteSize: 0 bytes/workgroup (compile time only)
; SGPRBlocks: 0
; VGPRBlocks: 0
; NumSGPRsForWavesPerEU: 6
; NumVGPRsForWavesPerEU: 1
; AccumOffset: 4
; Occupancy: 8
; WaveLimiterHint : 0
; COMPUTE_PGM_RSRC2:SCRATCH_EN: 0
; COMPUTE_PGM_RSRC2:USER_SGPR: 2
; COMPUTE_PGM_RSRC2:TRAP_HANDLER: 0
; COMPUTE_PGM_RSRC2:TGID_X_EN: 1
; COMPUTE_PGM_RSRC2:TGID_Y_EN: 0
; COMPUTE_PGM_RSRC2:TGID_Z_EN: 0
; COMPUTE_PGM_RSRC2:TIDIG_COMP_CNT: 0
; COMPUTE_PGM_RSRC3_GFX90A:ACCUM_OFFSET: 0
; COMPUTE_PGM_RSRC3_GFX90A:TG_SPLIT: 0
	.section	.text._ZN7rocprim17ROCPRIM_400000_NS6detail17trampoline_kernelINS0_14default_configENS1_38merge_sort_block_merge_config_selectorIlNS0_10empty_typeEEEZZNS1_27merge_sort_block_merge_implIS3_PlPS5_mZN2at6native12_GLOBAL__N_124unique_dim_cuda_templateIdEESt5tupleIJNSA_6TensorESF_SF_EERKSF_lbbbEUlllE_EE10hipError_tT0_T1_T2_jT3_P12ihipStream_tbPNSt15iterator_traitsISL_E10value_typeEPNSR_ISM_E10value_typeEPSN_NS1_7vsmem_tEENKUlT_SL_SM_SN_E_clIS8_S8_S9_S9_EESK_S10_SL_SM_SN_EUlS10_E_NS1_11comp_targetILNS1_3genE0ELNS1_11target_archE4294967295ELNS1_3gpuE0ELNS1_3repE0EEENS1_48merge_mergepath_partition_config_static_selectorELNS0_4arch9wavefront6targetE1EEEvSM_,"axG",@progbits,_ZN7rocprim17ROCPRIM_400000_NS6detail17trampoline_kernelINS0_14default_configENS1_38merge_sort_block_merge_config_selectorIlNS0_10empty_typeEEEZZNS1_27merge_sort_block_merge_implIS3_PlPS5_mZN2at6native12_GLOBAL__N_124unique_dim_cuda_templateIdEESt5tupleIJNSA_6TensorESF_SF_EERKSF_lbbbEUlllE_EE10hipError_tT0_T1_T2_jT3_P12ihipStream_tbPNSt15iterator_traitsISL_E10value_typeEPNSR_ISM_E10value_typeEPSN_NS1_7vsmem_tEENKUlT_SL_SM_SN_E_clIS8_S8_S9_S9_EESK_S10_SL_SM_SN_EUlS10_E_NS1_11comp_targetILNS1_3genE0ELNS1_11target_archE4294967295ELNS1_3gpuE0ELNS1_3repE0EEENS1_48merge_mergepath_partition_config_static_selectorELNS0_4arch9wavefront6targetE1EEEvSM_,comdat
	.globl	_ZN7rocprim17ROCPRIM_400000_NS6detail17trampoline_kernelINS0_14default_configENS1_38merge_sort_block_merge_config_selectorIlNS0_10empty_typeEEEZZNS1_27merge_sort_block_merge_implIS3_PlPS5_mZN2at6native12_GLOBAL__N_124unique_dim_cuda_templateIdEESt5tupleIJNSA_6TensorESF_SF_EERKSF_lbbbEUlllE_EE10hipError_tT0_T1_T2_jT3_P12ihipStream_tbPNSt15iterator_traitsISL_E10value_typeEPNSR_ISM_E10value_typeEPSN_NS1_7vsmem_tEENKUlT_SL_SM_SN_E_clIS8_S8_S9_S9_EESK_S10_SL_SM_SN_EUlS10_E_NS1_11comp_targetILNS1_3genE0ELNS1_11target_archE4294967295ELNS1_3gpuE0ELNS1_3repE0EEENS1_48merge_mergepath_partition_config_static_selectorELNS0_4arch9wavefront6targetE1EEEvSM_ ; -- Begin function _ZN7rocprim17ROCPRIM_400000_NS6detail17trampoline_kernelINS0_14default_configENS1_38merge_sort_block_merge_config_selectorIlNS0_10empty_typeEEEZZNS1_27merge_sort_block_merge_implIS3_PlPS5_mZN2at6native12_GLOBAL__N_124unique_dim_cuda_templateIdEESt5tupleIJNSA_6TensorESF_SF_EERKSF_lbbbEUlllE_EE10hipError_tT0_T1_T2_jT3_P12ihipStream_tbPNSt15iterator_traitsISL_E10value_typeEPNSR_ISM_E10value_typeEPSN_NS1_7vsmem_tEENKUlT_SL_SM_SN_E_clIS8_S8_S9_S9_EESK_S10_SL_SM_SN_EUlS10_E_NS1_11comp_targetILNS1_3genE0ELNS1_11target_archE4294967295ELNS1_3gpuE0ELNS1_3repE0EEENS1_48merge_mergepath_partition_config_static_selectorELNS0_4arch9wavefront6targetE1EEEvSM_
	.p2align	8
	.type	_ZN7rocprim17ROCPRIM_400000_NS6detail17trampoline_kernelINS0_14default_configENS1_38merge_sort_block_merge_config_selectorIlNS0_10empty_typeEEEZZNS1_27merge_sort_block_merge_implIS3_PlPS5_mZN2at6native12_GLOBAL__N_124unique_dim_cuda_templateIdEESt5tupleIJNSA_6TensorESF_SF_EERKSF_lbbbEUlllE_EE10hipError_tT0_T1_T2_jT3_P12ihipStream_tbPNSt15iterator_traitsISL_E10value_typeEPNSR_ISM_E10value_typeEPSN_NS1_7vsmem_tEENKUlT_SL_SM_SN_E_clIS8_S8_S9_S9_EESK_S10_SL_SM_SN_EUlS10_E_NS1_11comp_targetILNS1_3genE0ELNS1_11target_archE4294967295ELNS1_3gpuE0ELNS1_3repE0EEENS1_48merge_mergepath_partition_config_static_selectorELNS0_4arch9wavefront6targetE1EEEvSM_,@function
_ZN7rocprim17ROCPRIM_400000_NS6detail17trampoline_kernelINS0_14default_configENS1_38merge_sort_block_merge_config_selectorIlNS0_10empty_typeEEEZZNS1_27merge_sort_block_merge_implIS3_PlPS5_mZN2at6native12_GLOBAL__N_124unique_dim_cuda_templateIdEESt5tupleIJNSA_6TensorESF_SF_EERKSF_lbbbEUlllE_EE10hipError_tT0_T1_T2_jT3_P12ihipStream_tbPNSt15iterator_traitsISL_E10value_typeEPNSR_ISM_E10value_typeEPSN_NS1_7vsmem_tEENKUlT_SL_SM_SN_E_clIS8_S8_S9_S9_EESK_S10_SL_SM_SN_EUlS10_E_NS1_11comp_targetILNS1_3genE0ELNS1_11target_archE4294967295ELNS1_3gpuE0ELNS1_3repE0EEENS1_48merge_mergepath_partition_config_static_selectorELNS0_4arch9wavefront6targetE1EEEvSM_: ; @_ZN7rocprim17ROCPRIM_400000_NS6detail17trampoline_kernelINS0_14default_configENS1_38merge_sort_block_merge_config_selectorIlNS0_10empty_typeEEEZZNS1_27merge_sort_block_merge_implIS3_PlPS5_mZN2at6native12_GLOBAL__N_124unique_dim_cuda_templateIdEESt5tupleIJNSA_6TensorESF_SF_EERKSF_lbbbEUlllE_EE10hipError_tT0_T1_T2_jT3_P12ihipStream_tbPNSt15iterator_traitsISL_E10value_typeEPNSR_ISM_E10value_typeEPSN_NS1_7vsmem_tEENKUlT_SL_SM_SN_E_clIS8_S8_S9_S9_EESK_S10_SL_SM_SN_EUlS10_E_NS1_11comp_targetILNS1_3genE0ELNS1_11target_archE4294967295ELNS1_3gpuE0ELNS1_3repE0EEENS1_48merge_mergepath_partition_config_static_selectorELNS0_4arch9wavefront6targetE1EEEvSM_
; %bb.0:
	s_load_dword s3, s[0:1], 0x0
	v_lshl_or_b32 v0, s2, 7, v0
	s_waitcnt lgkmcnt(0)
	v_cmp_gt_u32_e32 vcc, s3, v0
	s_and_saveexec_b64 s[2:3], vcc
	s_cbranch_execz .LBB758_12
; %bb.1:
	s_load_dwordx4 s[12:15], s[0:1], 0x8
	s_load_dwordx8 s[4:11], s[0:1], 0x18
	v_mov_b32_e32 v5, 0
	v_mov_b32_e32 v7, v5
	s_waitcnt lgkmcnt(0)
	s_lshr_b64 s[0:1], s[12:13], 9
	s_and_b32 s0, s0, -2
	s_add_i32 s1, s0, -1
	s_sub_i32 s0, 0, s0
	v_and_b32_e32 v4, s0, v0
	v_lshlrev_b64 v[8:9], 10, v[4:5]
	v_mov_b32_e32 v1, s15
	v_cmp_lt_u64_e32 vcc, s[14:15], v[8:9]
	v_mov_b32_e32 v4, s14
	v_and_b32_e32 v6, s1, v0
	v_cndmask_b32_e32 v3, v9, v1, vcc
	v_cndmask_b32_e32 v2, v8, v4, vcc
	v_lshl_add_u64 v[8:9], v[8:9], 0, s[12:13]
	v_cmp_lt_u64_e32 vcc, s[14:15], v[8:9]
	s_nop 1
	v_cndmask_b32_e32 v11, v9, v1, vcc
	v_cndmask_b32_e32 v10, v8, v4, vcc
	v_lshl_add_u64 v[8:9], v[10:11], 0, s[12:13]
	v_cmp_lt_u64_e32 vcc, s[14:15], v[8:9]
	s_nop 1
	v_cndmask_b32_e32 v14, v8, v4, vcc
	v_cndmask_b32_e32 v1, v9, v1, vcc
	v_sub_co_u32_e32 v8, vcc, v14, v2
	v_lshlrev_b64 v[4:5], 10, v[6:7]
	s_nop 0
	v_subb_co_u32_e32 v9, vcc, v1, v3, vcc
	v_cmp_lt_u64_e32 vcc, v[8:9], v[4:5]
	s_nop 1
	v_cndmask_b32_e32 v13, v5, v9, vcc
	v_cndmask_b32_e32 v12, v4, v8, vcc
	v_sub_co_u32_e32 v6, vcc, v10, v2
	s_nop 1
	v_subb_co_u32_e32 v7, vcc, v11, v3, vcc
	v_sub_co_u32_e32 v4, vcc, v10, v14
	s_nop 1
	v_subb_co_u32_e32 v5, vcc, v11, v1, vcc
	v_lshl_add_u64 v[4:5], v[12:13], 0, v[4:5]
	v_cmp_gt_u64_e32 vcc, v[4:5], v[12:13]
	s_nop 1
	v_cndmask_b32_e64 v5, v5, 0, vcc
	v_cndmask_b32_e64 v4, v4, 0, vcc
	v_cmp_lt_u64_e32 vcc, v[12:13], v[6:7]
	s_nop 1
	v_cndmask_b32_e32 v7, v7, v13, vcc
	v_cndmask_b32_e32 v6, v6, v12, vcc
	v_cmp_lt_u64_e32 vcc, v[4:5], v[6:7]
	s_and_saveexec_b64 s[12:13], vcc
	s_cbranch_execz .LBB758_11
; %bb.2:
	v_cmp_gt_i64_e64 s[0:1], s[6:7], 0
	v_lshl_add_u64 v[10:11], v[10:11], 3, s[4:5]
	v_lshl_add_u64 v[8:9], v[2:3], 3, s[4:5]
	v_cndmask_b32_e64 v1, 0, 1, s[0:1]
	s_mov_b64 s[4:5], 0
	v_lshl_add_u64 v[10:11], v[12:13], 3, v[10:11]
	s_lshl_b64 s[14:15], s[6:7], 3
	v_cmp_ne_u32_e64 s[0:1], 1, v1
	s_branch .LBB758_5
.LBB758_3:                              ;   in Loop: Header=BB758_5 Depth=1
	s_or_b64 exec, exec, s[18:19]
.LBB758_4:                              ;   in Loop: Header=BB758_5 Depth=1
	v_lshl_add_u64 v[14:15], v[12:13], 0, 1
	v_cndmask_b32_e64 v7, v7, v13, s[16:17]
	v_cndmask_b32_e64 v6, v6, v12, s[16:17]
	;; [unrolled: 1-line block ×4, first 2 shown]
	v_cmp_ge_u64_e32 vcc, v[4:5], v[6:7]
	s_or_b64 s[4:5], vcc, s[4:5]
	s_andn2_b64 exec, exec, s[4:5]
	s_cbranch_execz .LBB758_10
.LBB758_5:                              ; =>This Loop Header: Depth=1
                                        ;     Child Loop BB758_8 Depth 2
	v_lshl_add_u64 v[12:13], v[6:7], 0, v[4:5]
	v_lshrrev_b64 v[12:13], 1, v[12:13]
	s_and_b64 vcc, exec, s[0:1]
	s_mov_b64 s[16:17], 0
	s_cbranch_vccnz .LBB758_4
; %bb.6:                                ;   in Loop: Header=BB758_5 Depth=1
	v_not_b32_e32 v15, v13
	v_not_b32_e32 v14, v12
	v_lshl_add_u64 v[14:15], v[14:15], 3, v[10:11]
	v_lshl_add_u64 v[16:17], v[12:13], 3, v[8:9]
	global_load_dwordx2 v[14:15], v[14:15], off
	v_mov_b64_e32 v[18:19], s[8:9]
	global_load_dwordx2 v[16:17], v[16:17], off
	s_mov_b64 s[18:19], 0
                                        ; implicit-def: $sgpr16_sgpr17
                                        ; implicit-def: $sgpr20_sgpr21
                                        ; implicit-def: $sgpr2_sgpr3
                                        ; implicit-def: $sgpr24_sgpr25
	s_waitcnt vmcnt(1)
	v_mul_lo_u32 v1, s14, v15
	v_mul_lo_u32 v20, s15, v14
	v_mad_u64_u32 v[14:15], s[22:23], s14, v14, v[18:19]
	s_waitcnt vmcnt(0)
	v_mul_lo_u32 v21, s14, v17
	v_mul_lo_u32 v22, s15, v16
	v_mad_u64_u32 v[16:17], s[22:23], s14, v16, v[18:19]
	v_add3_u32 v15, v20, v15, v1
	v_add3_u32 v17, v22, v17, v21
	s_mov_b64 s[22:23], s[6:7]
	s_branch .LBB758_8
.LBB758_7:                              ;   in Loop: Header=BB758_8 Depth=2
	s_or_b64 exec, exec, s[28:29]
	s_and_b64 s[28:29], exec, s[20:21]
	s_or_b64 s[18:19], s[28:29], s[18:19]
	s_andn2_b64 s[24:25], s[24:25], exec
	s_and_b64 s[26:27], s[26:27], exec
	s_or_b64 s[24:25], s[24:25], s[26:27]
	s_andn2_b64 s[16:17], s[16:17], exec
	s_and_b64 s[26:27], s[2:3], exec
	s_or_b64 s[16:17], s[16:17], s[26:27]
	s_andn2_b64 exec, exec, s[18:19]
	s_cbranch_execz .LBB758_3
.LBB758_8:                              ;   Parent Loop BB758_5 Depth=1
                                        ; =>  This Inner Loop Header: Depth=2
	global_load_dwordx2 v[18:19], v[14:15], off
	global_load_dwordx2 v[20:21], v[16:17], off
	s_andn2_b64 s[28:29], s[2:3], exec
	s_or_b64 s[20:21], s[20:21], exec
	s_waitcnt vmcnt(0)
	v_cmp_ngt_f64_e64 s[2:3], v[18:19], v[20:21]
	v_cmp_lt_f64_e32 vcc, v[18:19], v[20:21]
	s_and_b64 s[26:27], s[2:3], s[24:25]
	s_or_b64 s[26:27], vcc, s[26:27]
	s_xor_b64 s[30:31], vcc, s[2:3]
	s_and_b64 s[2:3], s[26:27], exec
	s_or_b64 s[2:3], s[28:29], s[2:3]
	s_and_saveexec_b64 s[28:29], s[30:31]
	s_cbranch_execz .LBB758_7
; %bb.9:                                ;   in Loop: Header=BB758_8 Depth=2
	s_add_u32 s22, s22, -1
	s_addc_u32 s23, s23, -1
	s_cmp_eq_u64 s[22:23], 0
	s_cselect_b64 s[24:25], -1, 0
	s_andn2_b64 s[20:21], s[20:21], exec
	s_and_b64 s[24:25], s[24:25], exec
	v_lshl_add_u64 v[14:15], v[14:15], 0, 8
	v_lshl_add_u64 v[16:17], v[16:17], 0, 8
	s_andn2_b64 s[2:3], s[2:3], exec
	s_or_b64 s[20:21], s[20:21], s[24:25]
                                        ; implicit-def: $sgpr24_sgpr25
	s_branch .LBB758_7
.LBB758_10:
	s_or_b64 exec, exec, s[4:5]
.LBB758_11:
	s_or_b64 exec, exec, s[12:13]
	v_mov_b32_e32 v6, s10
	v_mov_b32_e32 v7, s11
	;; [unrolled: 1-line block ×3, first 2 shown]
	v_lshl_add_u64 v[2:3], v[4:5], 0, v[2:3]
	v_lshl_add_u64 v[0:1], v[0:1], 3, v[6:7]
	global_store_dwordx2 v[0:1], v[2:3], off
.LBB758_12:
	s_endpgm
	.section	.rodata,"a",@progbits
	.p2align	6, 0x0
	.amdhsa_kernel _ZN7rocprim17ROCPRIM_400000_NS6detail17trampoline_kernelINS0_14default_configENS1_38merge_sort_block_merge_config_selectorIlNS0_10empty_typeEEEZZNS1_27merge_sort_block_merge_implIS3_PlPS5_mZN2at6native12_GLOBAL__N_124unique_dim_cuda_templateIdEESt5tupleIJNSA_6TensorESF_SF_EERKSF_lbbbEUlllE_EE10hipError_tT0_T1_T2_jT3_P12ihipStream_tbPNSt15iterator_traitsISL_E10value_typeEPNSR_ISM_E10value_typeEPSN_NS1_7vsmem_tEENKUlT_SL_SM_SN_E_clIS8_S8_S9_S9_EESK_S10_SL_SM_SN_EUlS10_E_NS1_11comp_targetILNS1_3genE0ELNS1_11target_archE4294967295ELNS1_3gpuE0ELNS1_3repE0EEENS1_48merge_mergepath_partition_config_static_selectorELNS0_4arch9wavefront6targetE1EEEvSM_
		.amdhsa_group_segment_fixed_size 0
		.amdhsa_private_segment_fixed_size 0
		.amdhsa_kernarg_size 56
		.amdhsa_user_sgpr_count 2
		.amdhsa_user_sgpr_dispatch_ptr 0
		.amdhsa_user_sgpr_queue_ptr 0
		.amdhsa_user_sgpr_kernarg_segment_ptr 1
		.amdhsa_user_sgpr_dispatch_id 0
		.amdhsa_user_sgpr_kernarg_preload_length 0
		.amdhsa_user_sgpr_kernarg_preload_offset 0
		.amdhsa_user_sgpr_private_segment_size 0
		.amdhsa_uses_dynamic_stack 0
		.amdhsa_enable_private_segment 0
		.amdhsa_system_sgpr_workgroup_id_x 1
		.amdhsa_system_sgpr_workgroup_id_y 0
		.amdhsa_system_sgpr_workgroup_id_z 0
		.amdhsa_system_sgpr_workgroup_info 0
		.amdhsa_system_vgpr_workitem_id 0
		.amdhsa_next_free_vgpr 23
		.amdhsa_next_free_sgpr 32
		.amdhsa_accum_offset 24
		.amdhsa_reserve_vcc 1
		.amdhsa_float_round_mode_32 0
		.amdhsa_float_round_mode_16_64 0
		.amdhsa_float_denorm_mode_32 3
		.amdhsa_float_denorm_mode_16_64 3
		.amdhsa_dx10_clamp 1
		.amdhsa_ieee_mode 1
		.amdhsa_fp16_overflow 0
		.amdhsa_tg_split 0
		.amdhsa_exception_fp_ieee_invalid_op 0
		.amdhsa_exception_fp_denorm_src 0
		.amdhsa_exception_fp_ieee_div_zero 0
		.amdhsa_exception_fp_ieee_overflow 0
		.amdhsa_exception_fp_ieee_underflow 0
		.amdhsa_exception_fp_ieee_inexact 0
		.amdhsa_exception_int_div_zero 0
	.end_amdhsa_kernel
	.section	.text._ZN7rocprim17ROCPRIM_400000_NS6detail17trampoline_kernelINS0_14default_configENS1_38merge_sort_block_merge_config_selectorIlNS0_10empty_typeEEEZZNS1_27merge_sort_block_merge_implIS3_PlPS5_mZN2at6native12_GLOBAL__N_124unique_dim_cuda_templateIdEESt5tupleIJNSA_6TensorESF_SF_EERKSF_lbbbEUlllE_EE10hipError_tT0_T1_T2_jT3_P12ihipStream_tbPNSt15iterator_traitsISL_E10value_typeEPNSR_ISM_E10value_typeEPSN_NS1_7vsmem_tEENKUlT_SL_SM_SN_E_clIS8_S8_S9_S9_EESK_S10_SL_SM_SN_EUlS10_E_NS1_11comp_targetILNS1_3genE0ELNS1_11target_archE4294967295ELNS1_3gpuE0ELNS1_3repE0EEENS1_48merge_mergepath_partition_config_static_selectorELNS0_4arch9wavefront6targetE1EEEvSM_,"axG",@progbits,_ZN7rocprim17ROCPRIM_400000_NS6detail17trampoline_kernelINS0_14default_configENS1_38merge_sort_block_merge_config_selectorIlNS0_10empty_typeEEEZZNS1_27merge_sort_block_merge_implIS3_PlPS5_mZN2at6native12_GLOBAL__N_124unique_dim_cuda_templateIdEESt5tupleIJNSA_6TensorESF_SF_EERKSF_lbbbEUlllE_EE10hipError_tT0_T1_T2_jT3_P12ihipStream_tbPNSt15iterator_traitsISL_E10value_typeEPNSR_ISM_E10value_typeEPSN_NS1_7vsmem_tEENKUlT_SL_SM_SN_E_clIS8_S8_S9_S9_EESK_S10_SL_SM_SN_EUlS10_E_NS1_11comp_targetILNS1_3genE0ELNS1_11target_archE4294967295ELNS1_3gpuE0ELNS1_3repE0EEENS1_48merge_mergepath_partition_config_static_selectorELNS0_4arch9wavefront6targetE1EEEvSM_,comdat
.Lfunc_end758:
	.size	_ZN7rocprim17ROCPRIM_400000_NS6detail17trampoline_kernelINS0_14default_configENS1_38merge_sort_block_merge_config_selectorIlNS0_10empty_typeEEEZZNS1_27merge_sort_block_merge_implIS3_PlPS5_mZN2at6native12_GLOBAL__N_124unique_dim_cuda_templateIdEESt5tupleIJNSA_6TensorESF_SF_EERKSF_lbbbEUlllE_EE10hipError_tT0_T1_T2_jT3_P12ihipStream_tbPNSt15iterator_traitsISL_E10value_typeEPNSR_ISM_E10value_typeEPSN_NS1_7vsmem_tEENKUlT_SL_SM_SN_E_clIS8_S8_S9_S9_EESK_S10_SL_SM_SN_EUlS10_E_NS1_11comp_targetILNS1_3genE0ELNS1_11target_archE4294967295ELNS1_3gpuE0ELNS1_3repE0EEENS1_48merge_mergepath_partition_config_static_selectorELNS0_4arch9wavefront6targetE1EEEvSM_, .Lfunc_end758-_ZN7rocprim17ROCPRIM_400000_NS6detail17trampoline_kernelINS0_14default_configENS1_38merge_sort_block_merge_config_selectorIlNS0_10empty_typeEEEZZNS1_27merge_sort_block_merge_implIS3_PlPS5_mZN2at6native12_GLOBAL__N_124unique_dim_cuda_templateIdEESt5tupleIJNSA_6TensorESF_SF_EERKSF_lbbbEUlllE_EE10hipError_tT0_T1_T2_jT3_P12ihipStream_tbPNSt15iterator_traitsISL_E10value_typeEPNSR_ISM_E10value_typeEPSN_NS1_7vsmem_tEENKUlT_SL_SM_SN_E_clIS8_S8_S9_S9_EESK_S10_SL_SM_SN_EUlS10_E_NS1_11comp_targetILNS1_3genE0ELNS1_11target_archE4294967295ELNS1_3gpuE0ELNS1_3repE0EEENS1_48merge_mergepath_partition_config_static_selectorELNS0_4arch9wavefront6targetE1EEEvSM_
                                        ; -- End function
	.set _ZN7rocprim17ROCPRIM_400000_NS6detail17trampoline_kernelINS0_14default_configENS1_38merge_sort_block_merge_config_selectorIlNS0_10empty_typeEEEZZNS1_27merge_sort_block_merge_implIS3_PlPS5_mZN2at6native12_GLOBAL__N_124unique_dim_cuda_templateIdEESt5tupleIJNSA_6TensorESF_SF_EERKSF_lbbbEUlllE_EE10hipError_tT0_T1_T2_jT3_P12ihipStream_tbPNSt15iterator_traitsISL_E10value_typeEPNSR_ISM_E10value_typeEPSN_NS1_7vsmem_tEENKUlT_SL_SM_SN_E_clIS8_S8_S9_S9_EESK_S10_SL_SM_SN_EUlS10_E_NS1_11comp_targetILNS1_3genE0ELNS1_11target_archE4294967295ELNS1_3gpuE0ELNS1_3repE0EEENS1_48merge_mergepath_partition_config_static_selectorELNS0_4arch9wavefront6targetE1EEEvSM_.num_vgpr, 23
	.set _ZN7rocprim17ROCPRIM_400000_NS6detail17trampoline_kernelINS0_14default_configENS1_38merge_sort_block_merge_config_selectorIlNS0_10empty_typeEEEZZNS1_27merge_sort_block_merge_implIS3_PlPS5_mZN2at6native12_GLOBAL__N_124unique_dim_cuda_templateIdEESt5tupleIJNSA_6TensorESF_SF_EERKSF_lbbbEUlllE_EE10hipError_tT0_T1_T2_jT3_P12ihipStream_tbPNSt15iterator_traitsISL_E10value_typeEPNSR_ISM_E10value_typeEPSN_NS1_7vsmem_tEENKUlT_SL_SM_SN_E_clIS8_S8_S9_S9_EESK_S10_SL_SM_SN_EUlS10_E_NS1_11comp_targetILNS1_3genE0ELNS1_11target_archE4294967295ELNS1_3gpuE0ELNS1_3repE0EEENS1_48merge_mergepath_partition_config_static_selectorELNS0_4arch9wavefront6targetE1EEEvSM_.num_agpr, 0
	.set _ZN7rocprim17ROCPRIM_400000_NS6detail17trampoline_kernelINS0_14default_configENS1_38merge_sort_block_merge_config_selectorIlNS0_10empty_typeEEEZZNS1_27merge_sort_block_merge_implIS3_PlPS5_mZN2at6native12_GLOBAL__N_124unique_dim_cuda_templateIdEESt5tupleIJNSA_6TensorESF_SF_EERKSF_lbbbEUlllE_EE10hipError_tT0_T1_T2_jT3_P12ihipStream_tbPNSt15iterator_traitsISL_E10value_typeEPNSR_ISM_E10value_typeEPSN_NS1_7vsmem_tEENKUlT_SL_SM_SN_E_clIS8_S8_S9_S9_EESK_S10_SL_SM_SN_EUlS10_E_NS1_11comp_targetILNS1_3genE0ELNS1_11target_archE4294967295ELNS1_3gpuE0ELNS1_3repE0EEENS1_48merge_mergepath_partition_config_static_selectorELNS0_4arch9wavefront6targetE1EEEvSM_.numbered_sgpr, 32
	.set _ZN7rocprim17ROCPRIM_400000_NS6detail17trampoline_kernelINS0_14default_configENS1_38merge_sort_block_merge_config_selectorIlNS0_10empty_typeEEEZZNS1_27merge_sort_block_merge_implIS3_PlPS5_mZN2at6native12_GLOBAL__N_124unique_dim_cuda_templateIdEESt5tupleIJNSA_6TensorESF_SF_EERKSF_lbbbEUlllE_EE10hipError_tT0_T1_T2_jT3_P12ihipStream_tbPNSt15iterator_traitsISL_E10value_typeEPNSR_ISM_E10value_typeEPSN_NS1_7vsmem_tEENKUlT_SL_SM_SN_E_clIS8_S8_S9_S9_EESK_S10_SL_SM_SN_EUlS10_E_NS1_11comp_targetILNS1_3genE0ELNS1_11target_archE4294967295ELNS1_3gpuE0ELNS1_3repE0EEENS1_48merge_mergepath_partition_config_static_selectorELNS0_4arch9wavefront6targetE1EEEvSM_.num_named_barrier, 0
	.set _ZN7rocprim17ROCPRIM_400000_NS6detail17trampoline_kernelINS0_14default_configENS1_38merge_sort_block_merge_config_selectorIlNS0_10empty_typeEEEZZNS1_27merge_sort_block_merge_implIS3_PlPS5_mZN2at6native12_GLOBAL__N_124unique_dim_cuda_templateIdEESt5tupleIJNSA_6TensorESF_SF_EERKSF_lbbbEUlllE_EE10hipError_tT0_T1_T2_jT3_P12ihipStream_tbPNSt15iterator_traitsISL_E10value_typeEPNSR_ISM_E10value_typeEPSN_NS1_7vsmem_tEENKUlT_SL_SM_SN_E_clIS8_S8_S9_S9_EESK_S10_SL_SM_SN_EUlS10_E_NS1_11comp_targetILNS1_3genE0ELNS1_11target_archE4294967295ELNS1_3gpuE0ELNS1_3repE0EEENS1_48merge_mergepath_partition_config_static_selectorELNS0_4arch9wavefront6targetE1EEEvSM_.private_seg_size, 0
	.set _ZN7rocprim17ROCPRIM_400000_NS6detail17trampoline_kernelINS0_14default_configENS1_38merge_sort_block_merge_config_selectorIlNS0_10empty_typeEEEZZNS1_27merge_sort_block_merge_implIS3_PlPS5_mZN2at6native12_GLOBAL__N_124unique_dim_cuda_templateIdEESt5tupleIJNSA_6TensorESF_SF_EERKSF_lbbbEUlllE_EE10hipError_tT0_T1_T2_jT3_P12ihipStream_tbPNSt15iterator_traitsISL_E10value_typeEPNSR_ISM_E10value_typeEPSN_NS1_7vsmem_tEENKUlT_SL_SM_SN_E_clIS8_S8_S9_S9_EESK_S10_SL_SM_SN_EUlS10_E_NS1_11comp_targetILNS1_3genE0ELNS1_11target_archE4294967295ELNS1_3gpuE0ELNS1_3repE0EEENS1_48merge_mergepath_partition_config_static_selectorELNS0_4arch9wavefront6targetE1EEEvSM_.uses_vcc, 1
	.set _ZN7rocprim17ROCPRIM_400000_NS6detail17trampoline_kernelINS0_14default_configENS1_38merge_sort_block_merge_config_selectorIlNS0_10empty_typeEEEZZNS1_27merge_sort_block_merge_implIS3_PlPS5_mZN2at6native12_GLOBAL__N_124unique_dim_cuda_templateIdEESt5tupleIJNSA_6TensorESF_SF_EERKSF_lbbbEUlllE_EE10hipError_tT0_T1_T2_jT3_P12ihipStream_tbPNSt15iterator_traitsISL_E10value_typeEPNSR_ISM_E10value_typeEPSN_NS1_7vsmem_tEENKUlT_SL_SM_SN_E_clIS8_S8_S9_S9_EESK_S10_SL_SM_SN_EUlS10_E_NS1_11comp_targetILNS1_3genE0ELNS1_11target_archE4294967295ELNS1_3gpuE0ELNS1_3repE0EEENS1_48merge_mergepath_partition_config_static_selectorELNS0_4arch9wavefront6targetE1EEEvSM_.uses_flat_scratch, 0
	.set _ZN7rocprim17ROCPRIM_400000_NS6detail17trampoline_kernelINS0_14default_configENS1_38merge_sort_block_merge_config_selectorIlNS0_10empty_typeEEEZZNS1_27merge_sort_block_merge_implIS3_PlPS5_mZN2at6native12_GLOBAL__N_124unique_dim_cuda_templateIdEESt5tupleIJNSA_6TensorESF_SF_EERKSF_lbbbEUlllE_EE10hipError_tT0_T1_T2_jT3_P12ihipStream_tbPNSt15iterator_traitsISL_E10value_typeEPNSR_ISM_E10value_typeEPSN_NS1_7vsmem_tEENKUlT_SL_SM_SN_E_clIS8_S8_S9_S9_EESK_S10_SL_SM_SN_EUlS10_E_NS1_11comp_targetILNS1_3genE0ELNS1_11target_archE4294967295ELNS1_3gpuE0ELNS1_3repE0EEENS1_48merge_mergepath_partition_config_static_selectorELNS0_4arch9wavefront6targetE1EEEvSM_.has_dyn_sized_stack, 0
	.set _ZN7rocprim17ROCPRIM_400000_NS6detail17trampoline_kernelINS0_14default_configENS1_38merge_sort_block_merge_config_selectorIlNS0_10empty_typeEEEZZNS1_27merge_sort_block_merge_implIS3_PlPS5_mZN2at6native12_GLOBAL__N_124unique_dim_cuda_templateIdEESt5tupleIJNSA_6TensorESF_SF_EERKSF_lbbbEUlllE_EE10hipError_tT0_T1_T2_jT3_P12ihipStream_tbPNSt15iterator_traitsISL_E10value_typeEPNSR_ISM_E10value_typeEPSN_NS1_7vsmem_tEENKUlT_SL_SM_SN_E_clIS8_S8_S9_S9_EESK_S10_SL_SM_SN_EUlS10_E_NS1_11comp_targetILNS1_3genE0ELNS1_11target_archE4294967295ELNS1_3gpuE0ELNS1_3repE0EEENS1_48merge_mergepath_partition_config_static_selectorELNS0_4arch9wavefront6targetE1EEEvSM_.has_recursion, 0
	.set _ZN7rocprim17ROCPRIM_400000_NS6detail17trampoline_kernelINS0_14default_configENS1_38merge_sort_block_merge_config_selectorIlNS0_10empty_typeEEEZZNS1_27merge_sort_block_merge_implIS3_PlPS5_mZN2at6native12_GLOBAL__N_124unique_dim_cuda_templateIdEESt5tupleIJNSA_6TensorESF_SF_EERKSF_lbbbEUlllE_EE10hipError_tT0_T1_T2_jT3_P12ihipStream_tbPNSt15iterator_traitsISL_E10value_typeEPNSR_ISM_E10value_typeEPSN_NS1_7vsmem_tEENKUlT_SL_SM_SN_E_clIS8_S8_S9_S9_EESK_S10_SL_SM_SN_EUlS10_E_NS1_11comp_targetILNS1_3genE0ELNS1_11target_archE4294967295ELNS1_3gpuE0ELNS1_3repE0EEENS1_48merge_mergepath_partition_config_static_selectorELNS0_4arch9wavefront6targetE1EEEvSM_.has_indirect_call, 0
	.section	.AMDGPU.csdata,"",@progbits
; Kernel info:
; codeLenInByte = 768
; TotalNumSgprs: 38
; NumVgprs: 23
; NumAgprs: 0
; TotalNumVgprs: 23
; ScratchSize: 0
; MemoryBound: 0
; FloatMode: 240
; IeeeMode: 1
; LDSByteSize: 0 bytes/workgroup (compile time only)
; SGPRBlocks: 4
; VGPRBlocks: 2
; NumSGPRsForWavesPerEU: 38
; NumVGPRsForWavesPerEU: 23
; AccumOffset: 24
; Occupancy: 8
; WaveLimiterHint : 0
; COMPUTE_PGM_RSRC2:SCRATCH_EN: 0
; COMPUTE_PGM_RSRC2:USER_SGPR: 2
; COMPUTE_PGM_RSRC2:TRAP_HANDLER: 0
; COMPUTE_PGM_RSRC2:TGID_X_EN: 1
; COMPUTE_PGM_RSRC2:TGID_Y_EN: 0
; COMPUTE_PGM_RSRC2:TGID_Z_EN: 0
; COMPUTE_PGM_RSRC2:TIDIG_COMP_CNT: 0
; COMPUTE_PGM_RSRC3_GFX90A:ACCUM_OFFSET: 5
; COMPUTE_PGM_RSRC3_GFX90A:TG_SPLIT: 0
	.section	.text._ZN7rocprim17ROCPRIM_400000_NS6detail17trampoline_kernelINS0_14default_configENS1_38merge_sort_block_merge_config_selectorIlNS0_10empty_typeEEEZZNS1_27merge_sort_block_merge_implIS3_PlPS5_mZN2at6native12_GLOBAL__N_124unique_dim_cuda_templateIdEESt5tupleIJNSA_6TensorESF_SF_EERKSF_lbbbEUlllE_EE10hipError_tT0_T1_T2_jT3_P12ihipStream_tbPNSt15iterator_traitsISL_E10value_typeEPNSR_ISM_E10value_typeEPSN_NS1_7vsmem_tEENKUlT_SL_SM_SN_E_clIS8_S8_S9_S9_EESK_S10_SL_SM_SN_EUlS10_E_NS1_11comp_targetILNS1_3genE10ELNS1_11target_archE1201ELNS1_3gpuE5ELNS1_3repE0EEENS1_48merge_mergepath_partition_config_static_selectorELNS0_4arch9wavefront6targetE1EEEvSM_,"axG",@progbits,_ZN7rocprim17ROCPRIM_400000_NS6detail17trampoline_kernelINS0_14default_configENS1_38merge_sort_block_merge_config_selectorIlNS0_10empty_typeEEEZZNS1_27merge_sort_block_merge_implIS3_PlPS5_mZN2at6native12_GLOBAL__N_124unique_dim_cuda_templateIdEESt5tupleIJNSA_6TensorESF_SF_EERKSF_lbbbEUlllE_EE10hipError_tT0_T1_T2_jT3_P12ihipStream_tbPNSt15iterator_traitsISL_E10value_typeEPNSR_ISM_E10value_typeEPSN_NS1_7vsmem_tEENKUlT_SL_SM_SN_E_clIS8_S8_S9_S9_EESK_S10_SL_SM_SN_EUlS10_E_NS1_11comp_targetILNS1_3genE10ELNS1_11target_archE1201ELNS1_3gpuE5ELNS1_3repE0EEENS1_48merge_mergepath_partition_config_static_selectorELNS0_4arch9wavefront6targetE1EEEvSM_,comdat
	.globl	_ZN7rocprim17ROCPRIM_400000_NS6detail17trampoline_kernelINS0_14default_configENS1_38merge_sort_block_merge_config_selectorIlNS0_10empty_typeEEEZZNS1_27merge_sort_block_merge_implIS3_PlPS5_mZN2at6native12_GLOBAL__N_124unique_dim_cuda_templateIdEESt5tupleIJNSA_6TensorESF_SF_EERKSF_lbbbEUlllE_EE10hipError_tT0_T1_T2_jT3_P12ihipStream_tbPNSt15iterator_traitsISL_E10value_typeEPNSR_ISM_E10value_typeEPSN_NS1_7vsmem_tEENKUlT_SL_SM_SN_E_clIS8_S8_S9_S9_EESK_S10_SL_SM_SN_EUlS10_E_NS1_11comp_targetILNS1_3genE10ELNS1_11target_archE1201ELNS1_3gpuE5ELNS1_3repE0EEENS1_48merge_mergepath_partition_config_static_selectorELNS0_4arch9wavefront6targetE1EEEvSM_ ; -- Begin function _ZN7rocprim17ROCPRIM_400000_NS6detail17trampoline_kernelINS0_14default_configENS1_38merge_sort_block_merge_config_selectorIlNS0_10empty_typeEEEZZNS1_27merge_sort_block_merge_implIS3_PlPS5_mZN2at6native12_GLOBAL__N_124unique_dim_cuda_templateIdEESt5tupleIJNSA_6TensorESF_SF_EERKSF_lbbbEUlllE_EE10hipError_tT0_T1_T2_jT3_P12ihipStream_tbPNSt15iterator_traitsISL_E10value_typeEPNSR_ISM_E10value_typeEPSN_NS1_7vsmem_tEENKUlT_SL_SM_SN_E_clIS8_S8_S9_S9_EESK_S10_SL_SM_SN_EUlS10_E_NS1_11comp_targetILNS1_3genE10ELNS1_11target_archE1201ELNS1_3gpuE5ELNS1_3repE0EEENS1_48merge_mergepath_partition_config_static_selectorELNS0_4arch9wavefront6targetE1EEEvSM_
	.p2align	8
	.type	_ZN7rocprim17ROCPRIM_400000_NS6detail17trampoline_kernelINS0_14default_configENS1_38merge_sort_block_merge_config_selectorIlNS0_10empty_typeEEEZZNS1_27merge_sort_block_merge_implIS3_PlPS5_mZN2at6native12_GLOBAL__N_124unique_dim_cuda_templateIdEESt5tupleIJNSA_6TensorESF_SF_EERKSF_lbbbEUlllE_EE10hipError_tT0_T1_T2_jT3_P12ihipStream_tbPNSt15iterator_traitsISL_E10value_typeEPNSR_ISM_E10value_typeEPSN_NS1_7vsmem_tEENKUlT_SL_SM_SN_E_clIS8_S8_S9_S9_EESK_S10_SL_SM_SN_EUlS10_E_NS1_11comp_targetILNS1_3genE10ELNS1_11target_archE1201ELNS1_3gpuE5ELNS1_3repE0EEENS1_48merge_mergepath_partition_config_static_selectorELNS0_4arch9wavefront6targetE1EEEvSM_,@function
_ZN7rocprim17ROCPRIM_400000_NS6detail17trampoline_kernelINS0_14default_configENS1_38merge_sort_block_merge_config_selectorIlNS0_10empty_typeEEEZZNS1_27merge_sort_block_merge_implIS3_PlPS5_mZN2at6native12_GLOBAL__N_124unique_dim_cuda_templateIdEESt5tupleIJNSA_6TensorESF_SF_EERKSF_lbbbEUlllE_EE10hipError_tT0_T1_T2_jT3_P12ihipStream_tbPNSt15iterator_traitsISL_E10value_typeEPNSR_ISM_E10value_typeEPSN_NS1_7vsmem_tEENKUlT_SL_SM_SN_E_clIS8_S8_S9_S9_EESK_S10_SL_SM_SN_EUlS10_E_NS1_11comp_targetILNS1_3genE10ELNS1_11target_archE1201ELNS1_3gpuE5ELNS1_3repE0EEENS1_48merge_mergepath_partition_config_static_selectorELNS0_4arch9wavefront6targetE1EEEvSM_: ; @_ZN7rocprim17ROCPRIM_400000_NS6detail17trampoline_kernelINS0_14default_configENS1_38merge_sort_block_merge_config_selectorIlNS0_10empty_typeEEEZZNS1_27merge_sort_block_merge_implIS3_PlPS5_mZN2at6native12_GLOBAL__N_124unique_dim_cuda_templateIdEESt5tupleIJNSA_6TensorESF_SF_EERKSF_lbbbEUlllE_EE10hipError_tT0_T1_T2_jT3_P12ihipStream_tbPNSt15iterator_traitsISL_E10value_typeEPNSR_ISM_E10value_typeEPSN_NS1_7vsmem_tEENKUlT_SL_SM_SN_E_clIS8_S8_S9_S9_EESK_S10_SL_SM_SN_EUlS10_E_NS1_11comp_targetILNS1_3genE10ELNS1_11target_archE1201ELNS1_3gpuE5ELNS1_3repE0EEENS1_48merge_mergepath_partition_config_static_selectorELNS0_4arch9wavefront6targetE1EEEvSM_
; %bb.0:
	.section	.rodata,"a",@progbits
	.p2align	6, 0x0
	.amdhsa_kernel _ZN7rocprim17ROCPRIM_400000_NS6detail17trampoline_kernelINS0_14default_configENS1_38merge_sort_block_merge_config_selectorIlNS0_10empty_typeEEEZZNS1_27merge_sort_block_merge_implIS3_PlPS5_mZN2at6native12_GLOBAL__N_124unique_dim_cuda_templateIdEESt5tupleIJNSA_6TensorESF_SF_EERKSF_lbbbEUlllE_EE10hipError_tT0_T1_T2_jT3_P12ihipStream_tbPNSt15iterator_traitsISL_E10value_typeEPNSR_ISM_E10value_typeEPSN_NS1_7vsmem_tEENKUlT_SL_SM_SN_E_clIS8_S8_S9_S9_EESK_S10_SL_SM_SN_EUlS10_E_NS1_11comp_targetILNS1_3genE10ELNS1_11target_archE1201ELNS1_3gpuE5ELNS1_3repE0EEENS1_48merge_mergepath_partition_config_static_selectorELNS0_4arch9wavefront6targetE1EEEvSM_
		.amdhsa_group_segment_fixed_size 0
		.amdhsa_private_segment_fixed_size 0
		.amdhsa_kernarg_size 56
		.amdhsa_user_sgpr_count 2
		.amdhsa_user_sgpr_dispatch_ptr 0
		.amdhsa_user_sgpr_queue_ptr 0
		.amdhsa_user_sgpr_kernarg_segment_ptr 1
		.amdhsa_user_sgpr_dispatch_id 0
		.amdhsa_user_sgpr_kernarg_preload_length 0
		.amdhsa_user_sgpr_kernarg_preload_offset 0
		.amdhsa_user_sgpr_private_segment_size 0
		.amdhsa_uses_dynamic_stack 0
		.amdhsa_enable_private_segment 0
		.amdhsa_system_sgpr_workgroup_id_x 1
		.amdhsa_system_sgpr_workgroup_id_y 0
		.amdhsa_system_sgpr_workgroup_id_z 0
		.amdhsa_system_sgpr_workgroup_info 0
		.amdhsa_system_vgpr_workitem_id 0
		.amdhsa_next_free_vgpr 1
		.amdhsa_next_free_sgpr 0
		.amdhsa_accum_offset 4
		.amdhsa_reserve_vcc 0
		.amdhsa_float_round_mode_32 0
		.amdhsa_float_round_mode_16_64 0
		.amdhsa_float_denorm_mode_32 3
		.amdhsa_float_denorm_mode_16_64 3
		.amdhsa_dx10_clamp 1
		.amdhsa_ieee_mode 1
		.amdhsa_fp16_overflow 0
		.amdhsa_tg_split 0
		.amdhsa_exception_fp_ieee_invalid_op 0
		.amdhsa_exception_fp_denorm_src 0
		.amdhsa_exception_fp_ieee_div_zero 0
		.amdhsa_exception_fp_ieee_overflow 0
		.amdhsa_exception_fp_ieee_underflow 0
		.amdhsa_exception_fp_ieee_inexact 0
		.amdhsa_exception_int_div_zero 0
	.end_amdhsa_kernel
	.section	.text._ZN7rocprim17ROCPRIM_400000_NS6detail17trampoline_kernelINS0_14default_configENS1_38merge_sort_block_merge_config_selectorIlNS0_10empty_typeEEEZZNS1_27merge_sort_block_merge_implIS3_PlPS5_mZN2at6native12_GLOBAL__N_124unique_dim_cuda_templateIdEESt5tupleIJNSA_6TensorESF_SF_EERKSF_lbbbEUlllE_EE10hipError_tT0_T1_T2_jT3_P12ihipStream_tbPNSt15iterator_traitsISL_E10value_typeEPNSR_ISM_E10value_typeEPSN_NS1_7vsmem_tEENKUlT_SL_SM_SN_E_clIS8_S8_S9_S9_EESK_S10_SL_SM_SN_EUlS10_E_NS1_11comp_targetILNS1_3genE10ELNS1_11target_archE1201ELNS1_3gpuE5ELNS1_3repE0EEENS1_48merge_mergepath_partition_config_static_selectorELNS0_4arch9wavefront6targetE1EEEvSM_,"axG",@progbits,_ZN7rocprim17ROCPRIM_400000_NS6detail17trampoline_kernelINS0_14default_configENS1_38merge_sort_block_merge_config_selectorIlNS0_10empty_typeEEEZZNS1_27merge_sort_block_merge_implIS3_PlPS5_mZN2at6native12_GLOBAL__N_124unique_dim_cuda_templateIdEESt5tupleIJNSA_6TensorESF_SF_EERKSF_lbbbEUlllE_EE10hipError_tT0_T1_T2_jT3_P12ihipStream_tbPNSt15iterator_traitsISL_E10value_typeEPNSR_ISM_E10value_typeEPSN_NS1_7vsmem_tEENKUlT_SL_SM_SN_E_clIS8_S8_S9_S9_EESK_S10_SL_SM_SN_EUlS10_E_NS1_11comp_targetILNS1_3genE10ELNS1_11target_archE1201ELNS1_3gpuE5ELNS1_3repE0EEENS1_48merge_mergepath_partition_config_static_selectorELNS0_4arch9wavefront6targetE1EEEvSM_,comdat
.Lfunc_end759:
	.size	_ZN7rocprim17ROCPRIM_400000_NS6detail17trampoline_kernelINS0_14default_configENS1_38merge_sort_block_merge_config_selectorIlNS0_10empty_typeEEEZZNS1_27merge_sort_block_merge_implIS3_PlPS5_mZN2at6native12_GLOBAL__N_124unique_dim_cuda_templateIdEESt5tupleIJNSA_6TensorESF_SF_EERKSF_lbbbEUlllE_EE10hipError_tT0_T1_T2_jT3_P12ihipStream_tbPNSt15iterator_traitsISL_E10value_typeEPNSR_ISM_E10value_typeEPSN_NS1_7vsmem_tEENKUlT_SL_SM_SN_E_clIS8_S8_S9_S9_EESK_S10_SL_SM_SN_EUlS10_E_NS1_11comp_targetILNS1_3genE10ELNS1_11target_archE1201ELNS1_3gpuE5ELNS1_3repE0EEENS1_48merge_mergepath_partition_config_static_selectorELNS0_4arch9wavefront6targetE1EEEvSM_, .Lfunc_end759-_ZN7rocprim17ROCPRIM_400000_NS6detail17trampoline_kernelINS0_14default_configENS1_38merge_sort_block_merge_config_selectorIlNS0_10empty_typeEEEZZNS1_27merge_sort_block_merge_implIS3_PlPS5_mZN2at6native12_GLOBAL__N_124unique_dim_cuda_templateIdEESt5tupleIJNSA_6TensorESF_SF_EERKSF_lbbbEUlllE_EE10hipError_tT0_T1_T2_jT3_P12ihipStream_tbPNSt15iterator_traitsISL_E10value_typeEPNSR_ISM_E10value_typeEPSN_NS1_7vsmem_tEENKUlT_SL_SM_SN_E_clIS8_S8_S9_S9_EESK_S10_SL_SM_SN_EUlS10_E_NS1_11comp_targetILNS1_3genE10ELNS1_11target_archE1201ELNS1_3gpuE5ELNS1_3repE0EEENS1_48merge_mergepath_partition_config_static_selectorELNS0_4arch9wavefront6targetE1EEEvSM_
                                        ; -- End function
	.set _ZN7rocprim17ROCPRIM_400000_NS6detail17trampoline_kernelINS0_14default_configENS1_38merge_sort_block_merge_config_selectorIlNS0_10empty_typeEEEZZNS1_27merge_sort_block_merge_implIS3_PlPS5_mZN2at6native12_GLOBAL__N_124unique_dim_cuda_templateIdEESt5tupleIJNSA_6TensorESF_SF_EERKSF_lbbbEUlllE_EE10hipError_tT0_T1_T2_jT3_P12ihipStream_tbPNSt15iterator_traitsISL_E10value_typeEPNSR_ISM_E10value_typeEPSN_NS1_7vsmem_tEENKUlT_SL_SM_SN_E_clIS8_S8_S9_S9_EESK_S10_SL_SM_SN_EUlS10_E_NS1_11comp_targetILNS1_3genE10ELNS1_11target_archE1201ELNS1_3gpuE5ELNS1_3repE0EEENS1_48merge_mergepath_partition_config_static_selectorELNS0_4arch9wavefront6targetE1EEEvSM_.num_vgpr, 0
	.set _ZN7rocprim17ROCPRIM_400000_NS6detail17trampoline_kernelINS0_14default_configENS1_38merge_sort_block_merge_config_selectorIlNS0_10empty_typeEEEZZNS1_27merge_sort_block_merge_implIS3_PlPS5_mZN2at6native12_GLOBAL__N_124unique_dim_cuda_templateIdEESt5tupleIJNSA_6TensorESF_SF_EERKSF_lbbbEUlllE_EE10hipError_tT0_T1_T2_jT3_P12ihipStream_tbPNSt15iterator_traitsISL_E10value_typeEPNSR_ISM_E10value_typeEPSN_NS1_7vsmem_tEENKUlT_SL_SM_SN_E_clIS8_S8_S9_S9_EESK_S10_SL_SM_SN_EUlS10_E_NS1_11comp_targetILNS1_3genE10ELNS1_11target_archE1201ELNS1_3gpuE5ELNS1_3repE0EEENS1_48merge_mergepath_partition_config_static_selectorELNS0_4arch9wavefront6targetE1EEEvSM_.num_agpr, 0
	.set _ZN7rocprim17ROCPRIM_400000_NS6detail17trampoline_kernelINS0_14default_configENS1_38merge_sort_block_merge_config_selectorIlNS0_10empty_typeEEEZZNS1_27merge_sort_block_merge_implIS3_PlPS5_mZN2at6native12_GLOBAL__N_124unique_dim_cuda_templateIdEESt5tupleIJNSA_6TensorESF_SF_EERKSF_lbbbEUlllE_EE10hipError_tT0_T1_T2_jT3_P12ihipStream_tbPNSt15iterator_traitsISL_E10value_typeEPNSR_ISM_E10value_typeEPSN_NS1_7vsmem_tEENKUlT_SL_SM_SN_E_clIS8_S8_S9_S9_EESK_S10_SL_SM_SN_EUlS10_E_NS1_11comp_targetILNS1_3genE10ELNS1_11target_archE1201ELNS1_3gpuE5ELNS1_3repE0EEENS1_48merge_mergepath_partition_config_static_selectorELNS0_4arch9wavefront6targetE1EEEvSM_.numbered_sgpr, 0
	.set _ZN7rocprim17ROCPRIM_400000_NS6detail17trampoline_kernelINS0_14default_configENS1_38merge_sort_block_merge_config_selectorIlNS0_10empty_typeEEEZZNS1_27merge_sort_block_merge_implIS3_PlPS5_mZN2at6native12_GLOBAL__N_124unique_dim_cuda_templateIdEESt5tupleIJNSA_6TensorESF_SF_EERKSF_lbbbEUlllE_EE10hipError_tT0_T1_T2_jT3_P12ihipStream_tbPNSt15iterator_traitsISL_E10value_typeEPNSR_ISM_E10value_typeEPSN_NS1_7vsmem_tEENKUlT_SL_SM_SN_E_clIS8_S8_S9_S9_EESK_S10_SL_SM_SN_EUlS10_E_NS1_11comp_targetILNS1_3genE10ELNS1_11target_archE1201ELNS1_3gpuE5ELNS1_3repE0EEENS1_48merge_mergepath_partition_config_static_selectorELNS0_4arch9wavefront6targetE1EEEvSM_.num_named_barrier, 0
	.set _ZN7rocprim17ROCPRIM_400000_NS6detail17trampoline_kernelINS0_14default_configENS1_38merge_sort_block_merge_config_selectorIlNS0_10empty_typeEEEZZNS1_27merge_sort_block_merge_implIS3_PlPS5_mZN2at6native12_GLOBAL__N_124unique_dim_cuda_templateIdEESt5tupleIJNSA_6TensorESF_SF_EERKSF_lbbbEUlllE_EE10hipError_tT0_T1_T2_jT3_P12ihipStream_tbPNSt15iterator_traitsISL_E10value_typeEPNSR_ISM_E10value_typeEPSN_NS1_7vsmem_tEENKUlT_SL_SM_SN_E_clIS8_S8_S9_S9_EESK_S10_SL_SM_SN_EUlS10_E_NS1_11comp_targetILNS1_3genE10ELNS1_11target_archE1201ELNS1_3gpuE5ELNS1_3repE0EEENS1_48merge_mergepath_partition_config_static_selectorELNS0_4arch9wavefront6targetE1EEEvSM_.private_seg_size, 0
	.set _ZN7rocprim17ROCPRIM_400000_NS6detail17trampoline_kernelINS0_14default_configENS1_38merge_sort_block_merge_config_selectorIlNS0_10empty_typeEEEZZNS1_27merge_sort_block_merge_implIS3_PlPS5_mZN2at6native12_GLOBAL__N_124unique_dim_cuda_templateIdEESt5tupleIJNSA_6TensorESF_SF_EERKSF_lbbbEUlllE_EE10hipError_tT0_T1_T2_jT3_P12ihipStream_tbPNSt15iterator_traitsISL_E10value_typeEPNSR_ISM_E10value_typeEPSN_NS1_7vsmem_tEENKUlT_SL_SM_SN_E_clIS8_S8_S9_S9_EESK_S10_SL_SM_SN_EUlS10_E_NS1_11comp_targetILNS1_3genE10ELNS1_11target_archE1201ELNS1_3gpuE5ELNS1_3repE0EEENS1_48merge_mergepath_partition_config_static_selectorELNS0_4arch9wavefront6targetE1EEEvSM_.uses_vcc, 0
	.set _ZN7rocprim17ROCPRIM_400000_NS6detail17trampoline_kernelINS0_14default_configENS1_38merge_sort_block_merge_config_selectorIlNS0_10empty_typeEEEZZNS1_27merge_sort_block_merge_implIS3_PlPS5_mZN2at6native12_GLOBAL__N_124unique_dim_cuda_templateIdEESt5tupleIJNSA_6TensorESF_SF_EERKSF_lbbbEUlllE_EE10hipError_tT0_T1_T2_jT3_P12ihipStream_tbPNSt15iterator_traitsISL_E10value_typeEPNSR_ISM_E10value_typeEPSN_NS1_7vsmem_tEENKUlT_SL_SM_SN_E_clIS8_S8_S9_S9_EESK_S10_SL_SM_SN_EUlS10_E_NS1_11comp_targetILNS1_3genE10ELNS1_11target_archE1201ELNS1_3gpuE5ELNS1_3repE0EEENS1_48merge_mergepath_partition_config_static_selectorELNS0_4arch9wavefront6targetE1EEEvSM_.uses_flat_scratch, 0
	.set _ZN7rocprim17ROCPRIM_400000_NS6detail17trampoline_kernelINS0_14default_configENS1_38merge_sort_block_merge_config_selectorIlNS0_10empty_typeEEEZZNS1_27merge_sort_block_merge_implIS3_PlPS5_mZN2at6native12_GLOBAL__N_124unique_dim_cuda_templateIdEESt5tupleIJNSA_6TensorESF_SF_EERKSF_lbbbEUlllE_EE10hipError_tT0_T1_T2_jT3_P12ihipStream_tbPNSt15iterator_traitsISL_E10value_typeEPNSR_ISM_E10value_typeEPSN_NS1_7vsmem_tEENKUlT_SL_SM_SN_E_clIS8_S8_S9_S9_EESK_S10_SL_SM_SN_EUlS10_E_NS1_11comp_targetILNS1_3genE10ELNS1_11target_archE1201ELNS1_3gpuE5ELNS1_3repE0EEENS1_48merge_mergepath_partition_config_static_selectorELNS0_4arch9wavefront6targetE1EEEvSM_.has_dyn_sized_stack, 0
	.set _ZN7rocprim17ROCPRIM_400000_NS6detail17trampoline_kernelINS0_14default_configENS1_38merge_sort_block_merge_config_selectorIlNS0_10empty_typeEEEZZNS1_27merge_sort_block_merge_implIS3_PlPS5_mZN2at6native12_GLOBAL__N_124unique_dim_cuda_templateIdEESt5tupleIJNSA_6TensorESF_SF_EERKSF_lbbbEUlllE_EE10hipError_tT0_T1_T2_jT3_P12ihipStream_tbPNSt15iterator_traitsISL_E10value_typeEPNSR_ISM_E10value_typeEPSN_NS1_7vsmem_tEENKUlT_SL_SM_SN_E_clIS8_S8_S9_S9_EESK_S10_SL_SM_SN_EUlS10_E_NS1_11comp_targetILNS1_3genE10ELNS1_11target_archE1201ELNS1_3gpuE5ELNS1_3repE0EEENS1_48merge_mergepath_partition_config_static_selectorELNS0_4arch9wavefront6targetE1EEEvSM_.has_recursion, 0
	.set _ZN7rocprim17ROCPRIM_400000_NS6detail17trampoline_kernelINS0_14default_configENS1_38merge_sort_block_merge_config_selectorIlNS0_10empty_typeEEEZZNS1_27merge_sort_block_merge_implIS3_PlPS5_mZN2at6native12_GLOBAL__N_124unique_dim_cuda_templateIdEESt5tupleIJNSA_6TensorESF_SF_EERKSF_lbbbEUlllE_EE10hipError_tT0_T1_T2_jT3_P12ihipStream_tbPNSt15iterator_traitsISL_E10value_typeEPNSR_ISM_E10value_typeEPSN_NS1_7vsmem_tEENKUlT_SL_SM_SN_E_clIS8_S8_S9_S9_EESK_S10_SL_SM_SN_EUlS10_E_NS1_11comp_targetILNS1_3genE10ELNS1_11target_archE1201ELNS1_3gpuE5ELNS1_3repE0EEENS1_48merge_mergepath_partition_config_static_selectorELNS0_4arch9wavefront6targetE1EEEvSM_.has_indirect_call, 0
	.section	.AMDGPU.csdata,"",@progbits
; Kernel info:
; codeLenInByte = 0
; TotalNumSgprs: 6
; NumVgprs: 0
; NumAgprs: 0
; TotalNumVgprs: 0
; ScratchSize: 0
; MemoryBound: 0
; FloatMode: 240
; IeeeMode: 1
; LDSByteSize: 0 bytes/workgroup (compile time only)
; SGPRBlocks: 0
; VGPRBlocks: 0
; NumSGPRsForWavesPerEU: 6
; NumVGPRsForWavesPerEU: 1
; AccumOffset: 4
; Occupancy: 8
; WaveLimiterHint : 0
; COMPUTE_PGM_RSRC2:SCRATCH_EN: 0
; COMPUTE_PGM_RSRC2:USER_SGPR: 2
; COMPUTE_PGM_RSRC2:TRAP_HANDLER: 0
; COMPUTE_PGM_RSRC2:TGID_X_EN: 1
; COMPUTE_PGM_RSRC2:TGID_Y_EN: 0
; COMPUTE_PGM_RSRC2:TGID_Z_EN: 0
; COMPUTE_PGM_RSRC2:TIDIG_COMP_CNT: 0
; COMPUTE_PGM_RSRC3_GFX90A:ACCUM_OFFSET: 0
; COMPUTE_PGM_RSRC3_GFX90A:TG_SPLIT: 0
	.section	.text._ZN7rocprim17ROCPRIM_400000_NS6detail17trampoline_kernelINS0_14default_configENS1_38merge_sort_block_merge_config_selectorIlNS0_10empty_typeEEEZZNS1_27merge_sort_block_merge_implIS3_PlPS5_mZN2at6native12_GLOBAL__N_124unique_dim_cuda_templateIdEESt5tupleIJNSA_6TensorESF_SF_EERKSF_lbbbEUlllE_EE10hipError_tT0_T1_T2_jT3_P12ihipStream_tbPNSt15iterator_traitsISL_E10value_typeEPNSR_ISM_E10value_typeEPSN_NS1_7vsmem_tEENKUlT_SL_SM_SN_E_clIS8_S8_S9_S9_EESK_S10_SL_SM_SN_EUlS10_E_NS1_11comp_targetILNS1_3genE5ELNS1_11target_archE942ELNS1_3gpuE9ELNS1_3repE0EEENS1_48merge_mergepath_partition_config_static_selectorELNS0_4arch9wavefront6targetE1EEEvSM_,"axG",@progbits,_ZN7rocprim17ROCPRIM_400000_NS6detail17trampoline_kernelINS0_14default_configENS1_38merge_sort_block_merge_config_selectorIlNS0_10empty_typeEEEZZNS1_27merge_sort_block_merge_implIS3_PlPS5_mZN2at6native12_GLOBAL__N_124unique_dim_cuda_templateIdEESt5tupleIJNSA_6TensorESF_SF_EERKSF_lbbbEUlllE_EE10hipError_tT0_T1_T2_jT3_P12ihipStream_tbPNSt15iterator_traitsISL_E10value_typeEPNSR_ISM_E10value_typeEPSN_NS1_7vsmem_tEENKUlT_SL_SM_SN_E_clIS8_S8_S9_S9_EESK_S10_SL_SM_SN_EUlS10_E_NS1_11comp_targetILNS1_3genE5ELNS1_11target_archE942ELNS1_3gpuE9ELNS1_3repE0EEENS1_48merge_mergepath_partition_config_static_selectorELNS0_4arch9wavefront6targetE1EEEvSM_,comdat
	.globl	_ZN7rocprim17ROCPRIM_400000_NS6detail17trampoline_kernelINS0_14default_configENS1_38merge_sort_block_merge_config_selectorIlNS0_10empty_typeEEEZZNS1_27merge_sort_block_merge_implIS3_PlPS5_mZN2at6native12_GLOBAL__N_124unique_dim_cuda_templateIdEESt5tupleIJNSA_6TensorESF_SF_EERKSF_lbbbEUlllE_EE10hipError_tT0_T1_T2_jT3_P12ihipStream_tbPNSt15iterator_traitsISL_E10value_typeEPNSR_ISM_E10value_typeEPSN_NS1_7vsmem_tEENKUlT_SL_SM_SN_E_clIS8_S8_S9_S9_EESK_S10_SL_SM_SN_EUlS10_E_NS1_11comp_targetILNS1_3genE5ELNS1_11target_archE942ELNS1_3gpuE9ELNS1_3repE0EEENS1_48merge_mergepath_partition_config_static_selectorELNS0_4arch9wavefront6targetE1EEEvSM_ ; -- Begin function _ZN7rocprim17ROCPRIM_400000_NS6detail17trampoline_kernelINS0_14default_configENS1_38merge_sort_block_merge_config_selectorIlNS0_10empty_typeEEEZZNS1_27merge_sort_block_merge_implIS3_PlPS5_mZN2at6native12_GLOBAL__N_124unique_dim_cuda_templateIdEESt5tupleIJNSA_6TensorESF_SF_EERKSF_lbbbEUlllE_EE10hipError_tT0_T1_T2_jT3_P12ihipStream_tbPNSt15iterator_traitsISL_E10value_typeEPNSR_ISM_E10value_typeEPSN_NS1_7vsmem_tEENKUlT_SL_SM_SN_E_clIS8_S8_S9_S9_EESK_S10_SL_SM_SN_EUlS10_E_NS1_11comp_targetILNS1_3genE5ELNS1_11target_archE942ELNS1_3gpuE9ELNS1_3repE0EEENS1_48merge_mergepath_partition_config_static_selectorELNS0_4arch9wavefront6targetE1EEEvSM_
	.p2align	8
	.type	_ZN7rocprim17ROCPRIM_400000_NS6detail17trampoline_kernelINS0_14default_configENS1_38merge_sort_block_merge_config_selectorIlNS0_10empty_typeEEEZZNS1_27merge_sort_block_merge_implIS3_PlPS5_mZN2at6native12_GLOBAL__N_124unique_dim_cuda_templateIdEESt5tupleIJNSA_6TensorESF_SF_EERKSF_lbbbEUlllE_EE10hipError_tT0_T1_T2_jT3_P12ihipStream_tbPNSt15iterator_traitsISL_E10value_typeEPNSR_ISM_E10value_typeEPSN_NS1_7vsmem_tEENKUlT_SL_SM_SN_E_clIS8_S8_S9_S9_EESK_S10_SL_SM_SN_EUlS10_E_NS1_11comp_targetILNS1_3genE5ELNS1_11target_archE942ELNS1_3gpuE9ELNS1_3repE0EEENS1_48merge_mergepath_partition_config_static_selectorELNS0_4arch9wavefront6targetE1EEEvSM_,@function
_ZN7rocprim17ROCPRIM_400000_NS6detail17trampoline_kernelINS0_14default_configENS1_38merge_sort_block_merge_config_selectorIlNS0_10empty_typeEEEZZNS1_27merge_sort_block_merge_implIS3_PlPS5_mZN2at6native12_GLOBAL__N_124unique_dim_cuda_templateIdEESt5tupleIJNSA_6TensorESF_SF_EERKSF_lbbbEUlllE_EE10hipError_tT0_T1_T2_jT3_P12ihipStream_tbPNSt15iterator_traitsISL_E10value_typeEPNSR_ISM_E10value_typeEPSN_NS1_7vsmem_tEENKUlT_SL_SM_SN_E_clIS8_S8_S9_S9_EESK_S10_SL_SM_SN_EUlS10_E_NS1_11comp_targetILNS1_3genE5ELNS1_11target_archE942ELNS1_3gpuE9ELNS1_3repE0EEENS1_48merge_mergepath_partition_config_static_selectorELNS0_4arch9wavefront6targetE1EEEvSM_: ; @_ZN7rocprim17ROCPRIM_400000_NS6detail17trampoline_kernelINS0_14default_configENS1_38merge_sort_block_merge_config_selectorIlNS0_10empty_typeEEEZZNS1_27merge_sort_block_merge_implIS3_PlPS5_mZN2at6native12_GLOBAL__N_124unique_dim_cuda_templateIdEESt5tupleIJNSA_6TensorESF_SF_EERKSF_lbbbEUlllE_EE10hipError_tT0_T1_T2_jT3_P12ihipStream_tbPNSt15iterator_traitsISL_E10value_typeEPNSR_ISM_E10value_typeEPSN_NS1_7vsmem_tEENKUlT_SL_SM_SN_E_clIS8_S8_S9_S9_EESK_S10_SL_SM_SN_EUlS10_E_NS1_11comp_targetILNS1_3genE5ELNS1_11target_archE942ELNS1_3gpuE9ELNS1_3repE0EEENS1_48merge_mergepath_partition_config_static_selectorELNS0_4arch9wavefront6targetE1EEEvSM_
; %bb.0:
	.section	.rodata,"a",@progbits
	.p2align	6, 0x0
	.amdhsa_kernel _ZN7rocprim17ROCPRIM_400000_NS6detail17trampoline_kernelINS0_14default_configENS1_38merge_sort_block_merge_config_selectorIlNS0_10empty_typeEEEZZNS1_27merge_sort_block_merge_implIS3_PlPS5_mZN2at6native12_GLOBAL__N_124unique_dim_cuda_templateIdEESt5tupleIJNSA_6TensorESF_SF_EERKSF_lbbbEUlllE_EE10hipError_tT0_T1_T2_jT3_P12ihipStream_tbPNSt15iterator_traitsISL_E10value_typeEPNSR_ISM_E10value_typeEPSN_NS1_7vsmem_tEENKUlT_SL_SM_SN_E_clIS8_S8_S9_S9_EESK_S10_SL_SM_SN_EUlS10_E_NS1_11comp_targetILNS1_3genE5ELNS1_11target_archE942ELNS1_3gpuE9ELNS1_3repE0EEENS1_48merge_mergepath_partition_config_static_selectorELNS0_4arch9wavefront6targetE1EEEvSM_
		.amdhsa_group_segment_fixed_size 0
		.amdhsa_private_segment_fixed_size 0
		.amdhsa_kernarg_size 56
		.amdhsa_user_sgpr_count 2
		.amdhsa_user_sgpr_dispatch_ptr 0
		.amdhsa_user_sgpr_queue_ptr 0
		.amdhsa_user_sgpr_kernarg_segment_ptr 1
		.amdhsa_user_sgpr_dispatch_id 0
		.amdhsa_user_sgpr_kernarg_preload_length 0
		.amdhsa_user_sgpr_kernarg_preload_offset 0
		.amdhsa_user_sgpr_private_segment_size 0
		.amdhsa_uses_dynamic_stack 0
		.amdhsa_enable_private_segment 0
		.amdhsa_system_sgpr_workgroup_id_x 1
		.amdhsa_system_sgpr_workgroup_id_y 0
		.amdhsa_system_sgpr_workgroup_id_z 0
		.amdhsa_system_sgpr_workgroup_info 0
		.amdhsa_system_vgpr_workitem_id 0
		.amdhsa_next_free_vgpr 1
		.amdhsa_next_free_sgpr 0
		.amdhsa_accum_offset 4
		.amdhsa_reserve_vcc 0
		.amdhsa_float_round_mode_32 0
		.amdhsa_float_round_mode_16_64 0
		.amdhsa_float_denorm_mode_32 3
		.amdhsa_float_denorm_mode_16_64 3
		.amdhsa_dx10_clamp 1
		.amdhsa_ieee_mode 1
		.amdhsa_fp16_overflow 0
		.amdhsa_tg_split 0
		.amdhsa_exception_fp_ieee_invalid_op 0
		.amdhsa_exception_fp_denorm_src 0
		.amdhsa_exception_fp_ieee_div_zero 0
		.amdhsa_exception_fp_ieee_overflow 0
		.amdhsa_exception_fp_ieee_underflow 0
		.amdhsa_exception_fp_ieee_inexact 0
		.amdhsa_exception_int_div_zero 0
	.end_amdhsa_kernel
	.section	.text._ZN7rocprim17ROCPRIM_400000_NS6detail17trampoline_kernelINS0_14default_configENS1_38merge_sort_block_merge_config_selectorIlNS0_10empty_typeEEEZZNS1_27merge_sort_block_merge_implIS3_PlPS5_mZN2at6native12_GLOBAL__N_124unique_dim_cuda_templateIdEESt5tupleIJNSA_6TensorESF_SF_EERKSF_lbbbEUlllE_EE10hipError_tT0_T1_T2_jT3_P12ihipStream_tbPNSt15iterator_traitsISL_E10value_typeEPNSR_ISM_E10value_typeEPSN_NS1_7vsmem_tEENKUlT_SL_SM_SN_E_clIS8_S8_S9_S9_EESK_S10_SL_SM_SN_EUlS10_E_NS1_11comp_targetILNS1_3genE5ELNS1_11target_archE942ELNS1_3gpuE9ELNS1_3repE0EEENS1_48merge_mergepath_partition_config_static_selectorELNS0_4arch9wavefront6targetE1EEEvSM_,"axG",@progbits,_ZN7rocprim17ROCPRIM_400000_NS6detail17trampoline_kernelINS0_14default_configENS1_38merge_sort_block_merge_config_selectorIlNS0_10empty_typeEEEZZNS1_27merge_sort_block_merge_implIS3_PlPS5_mZN2at6native12_GLOBAL__N_124unique_dim_cuda_templateIdEESt5tupleIJNSA_6TensorESF_SF_EERKSF_lbbbEUlllE_EE10hipError_tT0_T1_T2_jT3_P12ihipStream_tbPNSt15iterator_traitsISL_E10value_typeEPNSR_ISM_E10value_typeEPSN_NS1_7vsmem_tEENKUlT_SL_SM_SN_E_clIS8_S8_S9_S9_EESK_S10_SL_SM_SN_EUlS10_E_NS1_11comp_targetILNS1_3genE5ELNS1_11target_archE942ELNS1_3gpuE9ELNS1_3repE0EEENS1_48merge_mergepath_partition_config_static_selectorELNS0_4arch9wavefront6targetE1EEEvSM_,comdat
.Lfunc_end760:
	.size	_ZN7rocprim17ROCPRIM_400000_NS6detail17trampoline_kernelINS0_14default_configENS1_38merge_sort_block_merge_config_selectorIlNS0_10empty_typeEEEZZNS1_27merge_sort_block_merge_implIS3_PlPS5_mZN2at6native12_GLOBAL__N_124unique_dim_cuda_templateIdEESt5tupleIJNSA_6TensorESF_SF_EERKSF_lbbbEUlllE_EE10hipError_tT0_T1_T2_jT3_P12ihipStream_tbPNSt15iterator_traitsISL_E10value_typeEPNSR_ISM_E10value_typeEPSN_NS1_7vsmem_tEENKUlT_SL_SM_SN_E_clIS8_S8_S9_S9_EESK_S10_SL_SM_SN_EUlS10_E_NS1_11comp_targetILNS1_3genE5ELNS1_11target_archE942ELNS1_3gpuE9ELNS1_3repE0EEENS1_48merge_mergepath_partition_config_static_selectorELNS0_4arch9wavefront6targetE1EEEvSM_, .Lfunc_end760-_ZN7rocprim17ROCPRIM_400000_NS6detail17trampoline_kernelINS0_14default_configENS1_38merge_sort_block_merge_config_selectorIlNS0_10empty_typeEEEZZNS1_27merge_sort_block_merge_implIS3_PlPS5_mZN2at6native12_GLOBAL__N_124unique_dim_cuda_templateIdEESt5tupleIJNSA_6TensorESF_SF_EERKSF_lbbbEUlllE_EE10hipError_tT0_T1_T2_jT3_P12ihipStream_tbPNSt15iterator_traitsISL_E10value_typeEPNSR_ISM_E10value_typeEPSN_NS1_7vsmem_tEENKUlT_SL_SM_SN_E_clIS8_S8_S9_S9_EESK_S10_SL_SM_SN_EUlS10_E_NS1_11comp_targetILNS1_3genE5ELNS1_11target_archE942ELNS1_3gpuE9ELNS1_3repE0EEENS1_48merge_mergepath_partition_config_static_selectorELNS0_4arch9wavefront6targetE1EEEvSM_
                                        ; -- End function
	.set _ZN7rocprim17ROCPRIM_400000_NS6detail17trampoline_kernelINS0_14default_configENS1_38merge_sort_block_merge_config_selectorIlNS0_10empty_typeEEEZZNS1_27merge_sort_block_merge_implIS3_PlPS5_mZN2at6native12_GLOBAL__N_124unique_dim_cuda_templateIdEESt5tupleIJNSA_6TensorESF_SF_EERKSF_lbbbEUlllE_EE10hipError_tT0_T1_T2_jT3_P12ihipStream_tbPNSt15iterator_traitsISL_E10value_typeEPNSR_ISM_E10value_typeEPSN_NS1_7vsmem_tEENKUlT_SL_SM_SN_E_clIS8_S8_S9_S9_EESK_S10_SL_SM_SN_EUlS10_E_NS1_11comp_targetILNS1_3genE5ELNS1_11target_archE942ELNS1_3gpuE9ELNS1_3repE0EEENS1_48merge_mergepath_partition_config_static_selectorELNS0_4arch9wavefront6targetE1EEEvSM_.num_vgpr, 0
	.set _ZN7rocprim17ROCPRIM_400000_NS6detail17trampoline_kernelINS0_14default_configENS1_38merge_sort_block_merge_config_selectorIlNS0_10empty_typeEEEZZNS1_27merge_sort_block_merge_implIS3_PlPS5_mZN2at6native12_GLOBAL__N_124unique_dim_cuda_templateIdEESt5tupleIJNSA_6TensorESF_SF_EERKSF_lbbbEUlllE_EE10hipError_tT0_T1_T2_jT3_P12ihipStream_tbPNSt15iterator_traitsISL_E10value_typeEPNSR_ISM_E10value_typeEPSN_NS1_7vsmem_tEENKUlT_SL_SM_SN_E_clIS8_S8_S9_S9_EESK_S10_SL_SM_SN_EUlS10_E_NS1_11comp_targetILNS1_3genE5ELNS1_11target_archE942ELNS1_3gpuE9ELNS1_3repE0EEENS1_48merge_mergepath_partition_config_static_selectorELNS0_4arch9wavefront6targetE1EEEvSM_.num_agpr, 0
	.set _ZN7rocprim17ROCPRIM_400000_NS6detail17trampoline_kernelINS0_14default_configENS1_38merge_sort_block_merge_config_selectorIlNS0_10empty_typeEEEZZNS1_27merge_sort_block_merge_implIS3_PlPS5_mZN2at6native12_GLOBAL__N_124unique_dim_cuda_templateIdEESt5tupleIJNSA_6TensorESF_SF_EERKSF_lbbbEUlllE_EE10hipError_tT0_T1_T2_jT3_P12ihipStream_tbPNSt15iterator_traitsISL_E10value_typeEPNSR_ISM_E10value_typeEPSN_NS1_7vsmem_tEENKUlT_SL_SM_SN_E_clIS8_S8_S9_S9_EESK_S10_SL_SM_SN_EUlS10_E_NS1_11comp_targetILNS1_3genE5ELNS1_11target_archE942ELNS1_3gpuE9ELNS1_3repE0EEENS1_48merge_mergepath_partition_config_static_selectorELNS0_4arch9wavefront6targetE1EEEvSM_.numbered_sgpr, 0
	.set _ZN7rocprim17ROCPRIM_400000_NS6detail17trampoline_kernelINS0_14default_configENS1_38merge_sort_block_merge_config_selectorIlNS0_10empty_typeEEEZZNS1_27merge_sort_block_merge_implIS3_PlPS5_mZN2at6native12_GLOBAL__N_124unique_dim_cuda_templateIdEESt5tupleIJNSA_6TensorESF_SF_EERKSF_lbbbEUlllE_EE10hipError_tT0_T1_T2_jT3_P12ihipStream_tbPNSt15iterator_traitsISL_E10value_typeEPNSR_ISM_E10value_typeEPSN_NS1_7vsmem_tEENKUlT_SL_SM_SN_E_clIS8_S8_S9_S9_EESK_S10_SL_SM_SN_EUlS10_E_NS1_11comp_targetILNS1_3genE5ELNS1_11target_archE942ELNS1_3gpuE9ELNS1_3repE0EEENS1_48merge_mergepath_partition_config_static_selectorELNS0_4arch9wavefront6targetE1EEEvSM_.num_named_barrier, 0
	.set _ZN7rocprim17ROCPRIM_400000_NS6detail17trampoline_kernelINS0_14default_configENS1_38merge_sort_block_merge_config_selectorIlNS0_10empty_typeEEEZZNS1_27merge_sort_block_merge_implIS3_PlPS5_mZN2at6native12_GLOBAL__N_124unique_dim_cuda_templateIdEESt5tupleIJNSA_6TensorESF_SF_EERKSF_lbbbEUlllE_EE10hipError_tT0_T1_T2_jT3_P12ihipStream_tbPNSt15iterator_traitsISL_E10value_typeEPNSR_ISM_E10value_typeEPSN_NS1_7vsmem_tEENKUlT_SL_SM_SN_E_clIS8_S8_S9_S9_EESK_S10_SL_SM_SN_EUlS10_E_NS1_11comp_targetILNS1_3genE5ELNS1_11target_archE942ELNS1_3gpuE9ELNS1_3repE0EEENS1_48merge_mergepath_partition_config_static_selectorELNS0_4arch9wavefront6targetE1EEEvSM_.private_seg_size, 0
	.set _ZN7rocprim17ROCPRIM_400000_NS6detail17trampoline_kernelINS0_14default_configENS1_38merge_sort_block_merge_config_selectorIlNS0_10empty_typeEEEZZNS1_27merge_sort_block_merge_implIS3_PlPS5_mZN2at6native12_GLOBAL__N_124unique_dim_cuda_templateIdEESt5tupleIJNSA_6TensorESF_SF_EERKSF_lbbbEUlllE_EE10hipError_tT0_T1_T2_jT3_P12ihipStream_tbPNSt15iterator_traitsISL_E10value_typeEPNSR_ISM_E10value_typeEPSN_NS1_7vsmem_tEENKUlT_SL_SM_SN_E_clIS8_S8_S9_S9_EESK_S10_SL_SM_SN_EUlS10_E_NS1_11comp_targetILNS1_3genE5ELNS1_11target_archE942ELNS1_3gpuE9ELNS1_3repE0EEENS1_48merge_mergepath_partition_config_static_selectorELNS0_4arch9wavefront6targetE1EEEvSM_.uses_vcc, 0
	.set _ZN7rocprim17ROCPRIM_400000_NS6detail17trampoline_kernelINS0_14default_configENS1_38merge_sort_block_merge_config_selectorIlNS0_10empty_typeEEEZZNS1_27merge_sort_block_merge_implIS3_PlPS5_mZN2at6native12_GLOBAL__N_124unique_dim_cuda_templateIdEESt5tupleIJNSA_6TensorESF_SF_EERKSF_lbbbEUlllE_EE10hipError_tT0_T1_T2_jT3_P12ihipStream_tbPNSt15iterator_traitsISL_E10value_typeEPNSR_ISM_E10value_typeEPSN_NS1_7vsmem_tEENKUlT_SL_SM_SN_E_clIS8_S8_S9_S9_EESK_S10_SL_SM_SN_EUlS10_E_NS1_11comp_targetILNS1_3genE5ELNS1_11target_archE942ELNS1_3gpuE9ELNS1_3repE0EEENS1_48merge_mergepath_partition_config_static_selectorELNS0_4arch9wavefront6targetE1EEEvSM_.uses_flat_scratch, 0
	.set _ZN7rocprim17ROCPRIM_400000_NS6detail17trampoline_kernelINS0_14default_configENS1_38merge_sort_block_merge_config_selectorIlNS0_10empty_typeEEEZZNS1_27merge_sort_block_merge_implIS3_PlPS5_mZN2at6native12_GLOBAL__N_124unique_dim_cuda_templateIdEESt5tupleIJNSA_6TensorESF_SF_EERKSF_lbbbEUlllE_EE10hipError_tT0_T1_T2_jT3_P12ihipStream_tbPNSt15iterator_traitsISL_E10value_typeEPNSR_ISM_E10value_typeEPSN_NS1_7vsmem_tEENKUlT_SL_SM_SN_E_clIS8_S8_S9_S9_EESK_S10_SL_SM_SN_EUlS10_E_NS1_11comp_targetILNS1_3genE5ELNS1_11target_archE942ELNS1_3gpuE9ELNS1_3repE0EEENS1_48merge_mergepath_partition_config_static_selectorELNS0_4arch9wavefront6targetE1EEEvSM_.has_dyn_sized_stack, 0
	.set _ZN7rocprim17ROCPRIM_400000_NS6detail17trampoline_kernelINS0_14default_configENS1_38merge_sort_block_merge_config_selectorIlNS0_10empty_typeEEEZZNS1_27merge_sort_block_merge_implIS3_PlPS5_mZN2at6native12_GLOBAL__N_124unique_dim_cuda_templateIdEESt5tupleIJNSA_6TensorESF_SF_EERKSF_lbbbEUlllE_EE10hipError_tT0_T1_T2_jT3_P12ihipStream_tbPNSt15iterator_traitsISL_E10value_typeEPNSR_ISM_E10value_typeEPSN_NS1_7vsmem_tEENKUlT_SL_SM_SN_E_clIS8_S8_S9_S9_EESK_S10_SL_SM_SN_EUlS10_E_NS1_11comp_targetILNS1_3genE5ELNS1_11target_archE942ELNS1_3gpuE9ELNS1_3repE0EEENS1_48merge_mergepath_partition_config_static_selectorELNS0_4arch9wavefront6targetE1EEEvSM_.has_recursion, 0
	.set _ZN7rocprim17ROCPRIM_400000_NS6detail17trampoline_kernelINS0_14default_configENS1_38merge_sort_block_merge_config_selectorIlNS0_10empty_typeEEEZZNS1_27merge_sort_block_merge_implIS3_PlPS5_mZN2at6native12_GLOBAL__N_124unique_dim_cuda_templateIdEESt5tupleIJNSA_6TensorESF_SF_EERKSF_lbbbEUlllE_EE10hipError_tT0_T1_T2_jT3_P12ihipStream_tbPNSt15iterator_traitsISL_E10value_typeEPNSR_ISM_E10value_typeEPSN_NS1_7vsmem_tEENKUlT_SL_SM_SN_E_clIS8_S8_S9_S9_EESK_S10_SL_SM_SN_EUlS10_E_NS1_11comp_targetILNS1_3genE5ELNS1_11target_archE942ELNS1_3gpuE9ELNS1_3repE0EEENS1_48merge_mergepath_partition_config_static_selectorELNS0_4arch9wavefront6targetE1EEEvSM_.has_indirect_call, 0
	.section	.AMDGPU.csdata,"",@progbits
; Kernel info:
; codeLenInByte = 0
; TotalNumSgprs: 6
; NumVgprs: 0
; NumAgprs: 0
; TotalNumVgprs: 0
; ScratchSize: 0
; MemoryBound: 0
; FloatMode: 240
; IeeeMode: 1
; LDSByteSize: 0 bytes/workgroup (compile time only)
; SGPRBlocks: 0
; VGPRBlocks: 0
; NumSGPRsForWavesPerEU: 6
; NumVGPRsForWavesPerEU: 1
; AccumOffset: 4
; Occupancy: 8
; WaveLimiterHint : 0
; COMPUTE_PGM_RSRC2:SCRATCH_EN: 0
; COMPUTE_PGM_RSRC2:USER_SGPR: 2
; COMPUTE_PGM_RSRC2:TRAP_HANDLER: 0
; COMPUTE_PGM_RSRC2:TGID_X_EN: 1
; COMPUTE_PGM_RSRC2:TGID_Y_EN: 0
; COMPUTE_PGM_RSRC2:TGID_Z_EN: 0
; COMPUTE_PGM_RSRC2:TIDIG_COMP_CNT: 0
; COMPUTE_PGM_RSRC3_GFX90A:ACCUM_OFFSET: 0
; COMPUTE_PGM_RSRC3_GFX90A:TG_SPLIT: 0
	.section	.text._ZN7rocprim17ROCPRIM_400000_NS6detail17trampoline_kernelINS0_14default_configENS1_38merge_sort_block_merge_config_selectorIlNS0_10empty_typeEEEZZNS1_27merge_sort_block_merge_implIS3_PlPS5_mZN2at6native12_GLOBAL__N_124unique_dim_cuda_templateIdEESt5tupleIJNSA_6TensorESF_SF_EERKSF_lbbbEUlllE_EE10hipError_tT0_T1_T2_jT3_P12ihipStream_tbPNSt15iterator_traitsISL_E10value_typeEPNSR_ISM_E10value_typeEPSN_NS1_7vsmem_tEENKUlT_SL_SM_SN_E_clIS8_S8_S9_S9_EESK_S10_SL_SM_SN_EUlS10_E_NS1_11comp_targetILNS1_3genE4ELNS1_11target_archE910ELNS1_3gpuE8ELNS1_3repE0EEENS1_48merge_mergepath_partition_config_static_selectorELNS0_4arch9wavefront6targetE1EEEvSM_,"axG",@progbits,_ZN7rocprim17ROCPRIM_400000_NS6detail17trampoline_kernelINS0_14default_configENS1_38merge_sort_block_merge_config_selectorIlNS0_10empty_typeEEEZZNS1_27merge_sort_block_merge_implIS3_PlPS5_mZN2at6native12_GLOBAL__N_124unique_dim_cuda_templateIdEESt5tupleIJNSA_6TensorESF_SF_EERKSF_lbbbEUlllE_EE10hipError_tT0_T1_T2_jT3_P12ihipStream_tbPNSt15iterator_traitsISL_E10value_typeEPNSR_ISM_E10value_typeEPSN_NS1_7vsmem_tEENKUlT_SL_SM_SN_E_clIS8_S8_S9_S9_EESK_S10_SL_SM_SN_EUlS10_E_NS1_11comp_targetILNS1_3genE4ELNS1_11target_archE910ELNS1_3gpuE8ELNS1_3repE0EEENS1_48merge_mergepath_partition_config_static_selectorELNS0_4arch9wavefront6targetE1EEEvSM_,comdat
	.globl	_ZN7rocprim17ROCPRIM_400000_NS6detail17trampoline_kernelINS0_14default_configENS1_38merge_sort_block_merge_config_selectorIlNS0_10empty_typeEEEZZNS1_27merge_sort_block_merge_implIS3_PlPS5_mZN2at6native12_GLOBAL__N_124unique_dim_cuda_templateIdEESt5tupleIJNSA_6TensorESF_SF_EERKSF_lbbbEUlllE_EE10hipError_tT0_T1_T2_jT3_P12ihipStream_tbPNSt15iterator_traitsISL_E10value_typeEPNSR_ISM_E10value_typeEPSN_NS1_7vsmem_tEENKUlT_SL_SM_SN_E_clIS8_S8_S9_S9_EESK_S10_SL_SM_SN_EUlS10_E_NS1_11comp_targetILNS1_3genE4ELNS1_11target_archE910ELNS1_3gpuE8ELNS1_3repE0EEENS1_48merge_mergepath_partition_config_static_selectorELNS0_4arch9wavefront6targetE1EEEvSM_ ; -- Begin function _ZN7rocprim17ROCPRIM_400000_NS6detail17trampoline_kernelINS0_14default_configENS1_38merge_sort_block_merge_config_selectorIlNS0_10empty_typeEEEZZNS1_27merge_sort_block_merge_implIS3_PlPS5_mZN2at6native12_GLOBAL__N_124unique_dim_cuda_templateIdEESt5tupleIJNSA_6TensorESF_SF_EERKSF_lbbbEUlllE_EE10hipError_tT0_T1_T2_jT3_P12ihipStream_tbPNSt15iterator_traitsISL_E10value_typeEPNSR_ISM_E10value_typeEPSN_NS1_7vsmem_tEENKUlT_SL_SM_SN_E_clIS8_S8_S9_S9_EESK_S10_SL_SM_SN_EUlS10_E_NS1_11comp_targetILNS1_3genE4ELNS1_11target_archE910ELNS1_3gpuE8ELNS1_3repE0EEENS1_48merge_mergepath_partition_config_static_selectorELNS0_4arch9wavefront6targetE1EEEvSM_
	.p2align	8
	.type	_ZN7rocprim17ROCPRIM_400000_NS6detail17trampoline_kernelINS0_14default_configENS1_38merge_sort_block_merge_config_selectorIlNS0_10empty_typeEEEZZNS1_27merge_sort_block_merge_implIS3_PlPS5_mZN2at6native12_GLOBAL__N_124unique_dim_cuda_templateIdEESt5tupleIJNSA_6TensorESF_SF_EERKSF_lbbbEUlllE_EE10hipError_tT0_T1_T2_jT3_P12ihipStream_tbPNSt15iterator_traitsISL_E10value_typeEPNSR_ISM_E10value_typeEPSN_NS1_7vsmem_tEENKUlT_SL_SM_SN_E_clIS8_S8_S9_S9_EESK_S10_SL_SM_SN_EUlS10_E_NS1_11comp_targetILNS1_3genE4ELNS1_11target_archE910ELNS1_3gpuE8ELNS1_3repE0EEENS1_48merge_mergepath_partition_config_static_selectorELNS0_4arch9wavefront6targetE1EEEvSM_,@function
_ZN7rocprim17ROCPRIM_400000_NS6detail17trampoline_kernelINS0_14default_configENS1_38merge_sort_block_merge_config_selectorIlNS0_10empty_typeEEEZZNS1_27merge_sort_block_merge_implIS3_PlPS5_mZN2at6native12_GLOBAL__N_124unique_dim_cuda_templateIdEESt5tupleIJNSA_6TensorESF_SF_EERKSF_lbbbEUlllE_EE10hipError_tT0_T1_T2_jT3_P12ihipStream_tbPNSt15iterator_traitsISL_E10value_typeEPNSR_ISM_E10value_typeEPSN_NS1_7vsmem_tEENKUlT_SL_SM_SN_E_clIS8_S8_S9_S9_EESK_S10_SL_SM_SN_EUlS10_E_NS1_11comp_targetILNS1_3genE4ELNS1_11target_archE910ELNS1_3gpuE8ELNS1_3repE0EEENS1_48merge_mergepath_partition_config_static_selectorELNS0_4arch9wavefront6targetE1EEEvSM_: ; @_ZN7rocprim17ROCPRIM_400000_NS6detail17trampoline_kernelINS0_14default_configENS1_38merge_sort_block_merge_config_selectorIlNS0_10empty_typeEEEZZNS1_27merge_sort_block_merge_implIS3_PlPS5_mZN2at6native12_GLOBAL__N_124unique_dim_cuda_templateIdEESt5tupleIJNSA_6TensorESF_SF_EERKSF_lbbbEUlllE_EE10hipError_tT0_T1_T2_jT3_P12ihipStream_tbPNSt15iterator_traitsISL_E10value_typeEPNSR_ISM_E10value_typeEPSN_NS1_7vsmem_tEENKUlT_SL_SM_SN_E_clIS8_S8_S9_S9_EESK_S10_SL_SM_SN_EUlS10_E_NS1_11comp_targetILNS1_3genE4ELNS1_11target_archE910ELNS1_3gpuE8ELNS1_3repE0EEENS1_48merge_mergepath_partition_config_static_selectorELNS0_4arch9wavefront6targetE1EEEvSM_
; %bb.0:
	.section	.rodata,"a",@progbits
	.p2align	6, 0x0
	.amdhsa_kernel _ZN7rocprim17ROCPRIM_400000_NS6detail17trampoline_kernelINS0_14default_configENS1_38merge_sort_block_merge_config_selectorIlNS0_10empty_typeEEEZZNS1_27merge_sort_block_merge_implIS3_PlPS5_mZN2at6native12_GLOBAL__N_124unique_dim_cuda_templateIdEESt5tupleIJNSA_6TensorESF_SF_EERKSF_lbbbEUlllE_EE10hipError_tT0_T1_T2_jT3_P12ihipStream_tbPNSt15iterator_traitsISL_E10value_typeEPNSR_ISM_E10value_typeEPSN_NS1_7vsmem_tEENKUlT_SL_SM_SN_E_clIS8_S8_S9_S9_EESK_S10_SL_SM_SN_EUlS10_E_NS1_11comp_targetILNS1_3genE4ELNS1_11target_archE910ELNS1_3gpuE8ELNS1_3repE0EEENS1_48merge_mergepath_partition_config_static_selectorELNS0_4arch9wavefront6targetE1EEEvSM_
		.amdhsa_group_segment_fixed_size 0
		.amdhsa_private_segment_fixed_size 0
		.amdhsa_kernarg_size 56
		.amdhsa_user_sgpr_count 2
		.amdhsa_user_sgpr_dispatch_ptr 0
		.amdhsa_user_sgpr_queue_ptr 0
		.amdhsa_user_sgpr_kernarg_segment_ptr 1
		.amdhsa_user_sgpr_dispatch_id 0
		.amdhsa_user_sgpr_kernarg_preload_length 0
		.amdhsa_user_sgpr_kernarg_preload_offset 0
		.amdhsa_user_sgpr_private_segment_size 0
		.amdhsa_uses_dynamic_stack 0
		.amdhsa_enable_private_segment 0
		.amdhsa_system_sgpr_workgroup_id_x 1
		.amdhsa_system_sgpr_workgroup_id_y 0
		.amdhsa_system_sgpr_workgroup_id_z 0
		.amdhsa_system_sgpr_workgroup_info 0
		.amdhsa_system_vgpr_workitem_id 0
		.amdhsa_next_free_vgpr 1
		.amdhsa_next_free_sgpr 0
		.amdhsa_accum_offset 4
		.amdhsa_reserve_vcc 0
		.amdhsa_float_round_mode_32 0
		.amdhsa_float_round_mode_16_64 0
		.amdhsa_float_denorm_mode_32 3
		.amdhsa_float_denorm_mode_16_64 3
		.amdhsa_dx10_clamp 1
		.amdhsa_ieee_mode 1
		.amdhsa_fp16_overflow 0
		.amdhsa_tg_split 0
		.amdhsa_exception_fp_ieee_invalid_op 0
		.amdhsa_exception_fp_denorm_src 0
		.amdhsa_exception_fp_ieee_div_zero 0
		.amdhsa_exception_fp_ieee_overflow 0
		.amdhsa_exception_fp_ieee_underflow 0
		.amdhsa_exception_fp_ieee_inexact 0
		.amdhsa_exception_int_div_zero 0
	.end_amdhsa_kernel
	.section	.text._ZN7rocprim17ROCPRIM_400000_NS6detail17trampoline_kernelINS0_14default_configENS1_38merge_sort_block_merge_config_selectorIlNS0_10empty_typeEEEZZNS1_27merge_sort_block_merge_implIS3_PlPS5_mZN2at6native12_GLOBAL__N_124unique_dim_cuda_templateIdEESt5tupleIJNSA_6TensorESF_SF_EERKSF_lbbbEUlllE_EE10hipError_tT0_T1_T2_jT3_P12ihipStream_tbPNSt15iterator_traitsISL_E10value_typeEPNSR_ISM_E10value_typeEPSN_NS1_7vsmem_tEENKUlT_SL_SM_SN_E_clIS8_S8_S9_S9_EESK_S10_SL_SM_SN_EUlS10_E_NS1_11comp_targetILNS1_3genE4ELNS1_11target_archE910ELNS1_3gpuE8ELNS1_3repE0EEENS1_48merge_mergepath_partition_config_static_selectorELNS0_4arch9wavefront6targetE1EEEvSM_,"axG",@progbits,_ZN7rocprim17ROCPRIM_400000_NS6detail17trampoline_kernelINS0_14default_configENS1_38merge_sort_block_merge_config_selectorIlNS0_10empty_typeEEEZZNS1_27merge_sort_block_merge_implIS3_PlPS5_mZN2at6native12_GLOBAL__N_124unique_dim_cuda_templateIdEESt5tupleIJNSA_6TensorESF_SF_EERKSF_lbbbEUlllE_EE10hipError_tT0_T1_T2_jT3_P12ihipStream_tbPNSt15iterator_traitsISL_E10value_typeEPNSR_ISM_E10value_typeEPSN_NS1_7vsmem_tEENKUlT_SL_SM_SN_E_clIS8_S8_S9_S9_EESK_S10_SL_SM_SN_EUlS10_E_NS1_11comp_targetILNS1_3genE4ELNS1_11target_archE910ELNS1_3gpuE8ELNS1_3repE0EEENS1_48merge_mergepath_partition_config_static_selectorELNS0_4arch9wavefront6targetE1EEEvSM_,comdat
.Lfunc_end761:
	.size	_ZN7rocprim17ROCPRIM_400000_NS6detail17trampoline_kernelINS0_14default_configENS1_38merge_sort_block_merge_config_selectorIlNS0_10empty_typeEEEZZNS1_27merge_sort_block_merge_implIS3_PlPS5_mZN2at6native12_GLOBAL__N_124unique_dim_cuda_templateIdEESt5tupleIJNSA_6TensorESF_SF_EERKSF_lbbbEUlllE_EE10hipError_tT0_T1_T2_jT3_P12ihipStream_tbPNSt15iterator_traitsISL_E10value_typeEPNSR_ISM_E10value_typeEPSN_NS1_7vsmem_tEENKUlT_SL_SM_SN_E_clIS8_S8_S9_S9_EESK_S10_SL_SM_SN_EUlS10_E_NS1_11comp_targetILNS1_3genE4ELNS1_11target_archE910ELNS1_3gpuE8ELNS1_3repE0EEENS1_48merge_mergepath_partition_config_static_selectorELNS0_4arch9wavefront6targetE1EEEvSM_, .Lfunc_end761-_ZN7rocprim17ROCPRIM_400000_NS6detail17trampoline_kernelINS0_14default_configENS1_38merge_sort_block_merge_config_selectorIlNS0_10empty_typeEEEZZNS1_27merge_sort_block_merge_implIS3_PlPS5_mZN2at6native12_GLOBAL__N_124unique_dim_cuda_templateIdEESt5tupleIJNSA_6TensorESF_SF_EERKSF_lbbbEUlllE_EE10hipError_tT0_T1_T2_jT3_P12ihipStream_tbPNSt15iterator_traitsISL_E10value_typeEPNSR_ISM_E10value_typeEPSN_NS1_7vsmem_tEENKUlT_SL_SM_SN_E_clIS8_S8_S9_S9_EESK_S10_SL_SM_SN_EUlS10_E_NS1_11comp_targetILNS1_3genE4ELNS1_11target_archE910ELNS1_3gpuE8ELNS1_3repE0EEENS1_48merge_mergepath_partition_config_static_selectorELNS0_4arch9wavefront6targetE1EEEvSM_
                                        ; -- End function
	.set _ZN7rocprim17ROCPRIM_400000_NS6detail17trampoline_kernelINS0_14default_configENS1_38merge_sort_block_merge_config_selectorIlNS0_10empty_typeEEEZZNS1_27merge_sort_block_merge_implIS3_PlPS5_mZN2at6native12_GLOBAL__N_124unique_dim_cuda_templateIdEESt5tupleIJNSA_6TensorESF_SF_EERKSF_lbbbEUlllE_EE10hipError_tT0_T1_T2_jT3_P12ihipStream_tbPNSt15iterator_traitsISL_E10value_typeEPNSR_ISM_E10value_typeEPSN_NS1_7vsmem_tEENKUlT_SL_SM_SN_E_clIS8_S8_S9_S9_EESK_S10_SL_SM_SN_EUlS10_E_NS1_11comp_targetILNS1_3genE4ELNS1_11target_archE910ELNS1_3gpuE8ELNS1_3repE0EEENS1_48merge_mergepath_partition_config_static_selectorELNS0_4arch9wavefront6targetE1EEEvSM_.num_vgpr, 0
	.set _ZN7rocprim17ROCPRIM_400000_NS6detail17trampoline_kernelINS0_14default_configENS1_38merge_sort_block_merge_config_selectorIlNS0_10empty_typeEEEZZNS1_27merge_sort_block_merge_implIS3_PlPS5_mZN2at6native12_GLOBAL__N_124unique_dim_cuda_templateIdEESt5tupleIJNSA_6TensorESF_SF_EERKSF_lbbbEUlllE_EE10hipError_tT0_T1_T2_jT3_P12ihipStream_tbPNSt15iterator_traitsISL_E10value_typeEPNSR_ISM_E10value_typeEPSN_NS1_7vsmem_tEENKUlT_SL_SM_SN_E_clIS8_S8_S9_S9_EESK_S10_SL_SM_SN_EUlS10_E_NS1_11comp_targetILNS1_3genE4ELNS1_11target_archE910ELNS1_3gpuE8ELNS1_3repE0EEENS1_48merge_mergepath_partition_config_static_selectorELNS0_4arch9wavefront6targetE1EEEvSM_.num_agpr, 0
	.set _ZN7rocprim17ROCPRIM_400000_NS6detail17trampoline_kernelINS0_14default_configENS1_38merge_sort_block_merge_config_selectorIlNS0_10empty_typeEEEZZNS1_27merge_sort_block_merge_implIS3_PlPS5_mZN2at6native12_GLOBAL__N_124unique_dim_cuda_templateIdEESt5tupleIJNSA_6TensorESF_SF_EERKSF_lbbbEUlllE_EE10hipError_tT0_T1_T2_jT3_P12ihipStream_tbPNSt15iterator_traitsISL_E10value_typeEPNSR_ISM_E10value_typeEPSN_NS1_7vsmem_tEENKUlT_SL_SM_SN_E_clIS8_S8_S9_S9_EESK_S10_SL_SM_SN_EUlS10_E_NS1_11comp_targetILNS1_3genE4ELNS1_11target_archE910ELNS1_3gpuE8ELNS1_3repE0EEENS1_48merge_mergepath_partition_config_static_selectorELNS0_4arch9wavefront6targetE1EEEvSM_.numbered_sgpr, 0
	.set _ZN7rocprim17ROCPRIM_400000_NS6detail17trampoline_kernelINS0_14default_configENS1_38merge_sort_block_merge_config_selectorIlNS0_10empty_typeEEEZZNS1_27merge_sort_block_merge_implIS3_PlPS5_mZN2at6native12_GLOBAL__N_124unique_dim_cuda_templateIdEESt5tupleIJNSA_6TensorESF_SF_EERKSF_lbbbEUlllE_EE10hipError_tT0_T1_T2_jT3_P12ihipStream_tbPNSt15iterator_traitsISL_E10value_typeEPNSR_ISM_E10value_typeEPSN_NS1_7vsmem_tEENKUlT_SL_SM_SN_E_clIS8_S8_S9_S9_EESK_S10_SL_SM_SN_EUlS10_E_NS1_11comp_targetILNS1_3genE4ELNS1_11target_archE910ELNS1_3gpuE8ELNS1_3repE0EEENS1_48merge_mergepath_partition_config_static_selectorELNS0_4arch9wavefront6targetE1EEEvSM_.num_named_barrier, 0
	.set _ZN7rocprim17ROCPRIM_400000_NS6detail17trampoline_kernelINS0_14default_configENS1_38merge_sort_block_merge_config_selectorIlNS0_10empty_typeEEEZZNS1_27merge_sort_block_merge_implIS3_PlPS5_mZN2at6native12_GLOBAL__N_124unique_dim_cuda_templateIdEESt5tupleIJNSA_6TensorESF_SF_EERKSF_lbbbEUlllE_EE10hipError_tT0_T1_T2_jT3_P12ihipStream_tbPNSt15iterator_traitsISL_E10value_typeEPNSR_ISM_E10value_typeEPSN_NS1_7vsmem_tEENKUlT_SL_SM_SN_E_clIS8_S8_S9_S9_EESK_S10_SL_SM_SN_EUlS10_E_NS1_11comp_targetILNS1_3genE4ELNS1_11target_archE910ELNS1_3gpuE8ELNS1_3repE0EEENS1_48merge_mergepath_partition_config_static_selectorELNS0_4arch9wavefront6targetE1EEEvSM_.private_seg_size, 0
	.set _ZN7rocprim17ROCPRIM_400000_NS6detail17trampoline_kernelINS0_14default_configENS1_38merge_sort_block_merge_config_selectorIlNS0_10empty_typeEEEZZNS1_27merge_sort_block_merge_implIS3_PlPS5_mZN2at6native12_GLOBAL__N_124unique_dim_cuda_templateIdEESt5tupleIJNSA_6TensorESF_SF_EERKSF_lbbbEUlllE_EE10hipError_tT0_T1_T2_jT3_P12ihipStream_tbPNSt15iterator_traitsISL_E10value_typeEPNSR_ISM_E10value_typeEPSN_NS1_7vsmem_tEENKUlT_SL_SM_SN_E_clIS8_S8_S9_S9_EESK_S10_SL_SM_SN_EUlS10_E_NS1_11comp_targetILNS1_3genE4ELNS1_11target_archE910ELNS1_3gpuE8ELNS1_3repE0EEENS1_48merge_mergepath_partition_config_static_selectorELNS0_4arch9wavefront6targetE1EEEvSM_.uses_vcc, 0
	.set _ZN7rocprim17ROCPRIM_400000_NS6detail17trampoline_kernelINS0_14default_configENS1_38merge_sort_block_merge_config_selectorIlNS0_10empty_typeEEEZZNS1_27merge_sort_block_merge_implIS3_PlPS5_mZN2at6native12_GLOBAL__N_124unique_dim_cuda_templateIdEESt5tupleIJNSA_6TensorESF_SF_EERKSF_lbbbEUlllE_EE10hipError_tT0_T1_T2_jT3_P12ihipStream_tbPNSt15iterator_traitsISL_E10value_typeEPNSR_ISM_E10value_typeEPSN_NS1_7vsmem_tEENKUlT_SL_SM_SN_E_clIS8_S8_S9_S9_EESK_S10_SL_SM_SN_EUlS10_E_NS1_11comp_targetILNS1_3genE4ELNS1_11target_archE910ELNS1_3gpuE8ELNS1_3repE0EEENS1_48merge_mergepath_partition_config_static_selectorELNS0_4arch9wavefront6targetE1EEEvSM_.uses_flat_scratch, 0
	.set _ZN7rocprim17ROCPRIM_400000_NS6detail17trampoline_kernelINS0_14default_configENS1_38merge_sort_block_merge_config_selectorIlNS0_10empty_typeEEEZZNS1_27merge_sort_block_merge_implIS3_PlPS5_mZN2at6native12_GLOBAL__N_124unique_dim_cuda_templateIdEESt5tupleIJNSA_6TensorESF_SF_EERKSF_lbbbEUlllE_EE10hipError_tT0_T1_T2_jT3_P12ihipStream_tbPNSt15iterator_traitsISL_E10value_typeEPNSR_ISM_E10value_typeEPSN_NS1_7vsmem_tEENKUlT_SL_SM_SN_E_clIS8_S8_S9_S9_EESK_S10_SL_SM_SN_EUlS10_E_NS1_11comp_targetILNS1_3genE4ELNS1_11target_archE910ELNS1_3gpuE8ELNS1_3repE0EEENS1_48merge_mergepath_partition_config_static_selectorELNS0_4arch9wavefront6targetE1EEEvSM_.has_dyn_sized_stack, 0
	.set _ZN7rocprim17ROCPRIM_400000_NS6detail17trampoline_kernelINS0_14default_configENS1_38merge_sort_block_merge_config_selectorIlNS0_10empty_typeEEEZZNS1_27merge_sort_block_merge_implIS3_PlPS5_mZN2at6native12_GLOBAL__N_124unique_dim_cuda_templateIdEESt5tupleIJNSA_6TensorESF_SF_EERKSF_lbbbEUlllE_EE10hipError_tT0_T1_T2_jT3_P12ihipStream_tbPNSt15iterator_traitsISL_E10value_typeEPNSR_ISM_E10value_typeEPSN_NS1_7vsmem_tEENKUlT_SL_SM_SN_E_clIS8_S8_S9_S9_EESK_S10_SL_SM_SN_EUlS10_E_NS1_11comp_targetILNS1_3genE4ELNS1_11target_archE910ELNS1_3gpuE8ELNS1_3repE0EEENS1_48merge_mergepath_partition_config_static_selectorELNS0_4arch9wavefront6targetE1EEEvSM_.has_recursion, 0
	.set _ZN7rocprim17ROCPRIM_400000_NS6detail17trampoline_kernelINS0_14default_configENS1_38merge_sort_block_merge_config_selectorIlNS0_10empty_typeEEEZZNS1_27merge_sort_block_merge_implIS3_PlPS5_mZN2at6native12_GLOBAL__N_124unique_dim_cuda_templateIdEESt5tupleIJNSA_6TensorESF_SF_EERKSF_lbbbEUlllE_EE10hipError_tT0_T1_T2_jT3_P12ihipStream_tbPNSt15iterator_traitsISL_E10value_typeEPNSR_ISM_E10value_typeEPSN_NS1_7vsmem_tEENKUlT_SL_SM_SN_E_clIS8_S8_S9_S9_EESK_S10_SL_SM_SN_EUlS10_E_NS1_11comp_targetILNS1_3genE4ELNS1_11target_archE910ELNS1_3gpuE8ELNS1_3repE0EEENS1_48merge_mergepath_partition_config_static_selectorELNS0_4arch9wavefront6targetE1EEEvSM_.has_indirect_call, 0
	.section	.AMDGPU.csdata,"",@progbits
; Kernel info:
; codeLenInByte = 0
; TotalNumSgprs: 6
; NumVgprs: 0
; NumAgprs: 0
; TotalNumVgprs: 0
; ScratchSize: 0
; MemoryBound: 0
; FloatMode: 240
; IeeeMode: 1
; LDSByteSize: 0 bytes/workgroup (compile time only)
; SGPRBlocks: 0
; VGPRBlocks: 0
; NumSGPRsForWavesPerEU: 6
; NumVGPRsForWavesPerEU: 1
; AccumOffset: 4
; Occupancy: 8
; WaveLimiterHint : 0
; COMPUTE_PGM_RSRC2:SCRATCH_EN: 0
; COMPUTE_PGM_RSRC2:USER_SGPR: 2
; COMPUTE_PGM_RSRC2:TRAP_HANDLER: 0
; COMPUTE_PGM_RSRC2:TGID_X_EN: 1
; COMPUTE_PGM_RSRC2:TGID_Y_EN: 0
; COMPUTE_PGM_RSRC2:TGID_Z_EN: 0
; COMPUTE_PGM_RSRC2:TIDIG_COMP_CNT: 0
; COMPUTE_PGM_RSRC3_GFX90A:ACCUM_OFFSET: 0
; COMPUTE_PGM_RSRC3_GFX90A:TG_SPLIT: 0
	.section	.text._ZN7rocprim17ROCPRIM_400000_NS6detail17trampoline_kernelINS0_14default_configENS1_38merge_sort_block_merge_config_selectorIlNS0_10empty_typeEEEZZNS1_27merge_sort_block_merge_implIS3_PlPS5_mZN2at6native12_GLOBAL__N_124unique_dim_cuda_templateIdEESt5tupleIJNSA_6TensorESF_SF_EERKSF_lbbbEUlllE_EE10hipError_tT0_T1_T2_jT3_P12ihipStream_tbPNSt15iterator_traitsISL_E10value_typeEPNSR_ISM_E10value_typeEPSN_NS1_7vsmem_tEENKUlT_SL_SM_SN_E_clIS8_S8_S9_S9_EESK_S10_SL_SM_SN_EUlS10_E_NS1_11comp_targetILNS1_3genE3ELNS1_11target_archE908ELNS1_3gpuE7ELNS1_3repE0EEENS1_48merge_mergepath_partition_config_static_selectorELNS0_4arch9wavefront6targetE1EEEvSM_,"axG",@progbits,_ZN7rocprim17ROCPRIM_400000_NS6detail17trampoline_kernelINS0_14default_configENS1_38merge_sort_block_merge_config_selectorIlNS0_10empty_typeEEEZZNS1_27merge_sort_block_merge_implIS3_PlPS5_mZN2at6native12_GLOBAL__N_124unique_dim_cuda_templateIdEESt5tupleIJNSA_6TensorESF_SF_EERKSF_lbbbEUlllE_EE10hipError_tT0_T1_T2_jT3_P12ihipStream_tbPNSt15iterator_traitsISL_E10value_typeEPNSR_ISM_E10value_typeEPSN_NS1_7vsmem_tEENKUlT_SL_SM_SN_E_clIS8_S8_S9_S9_EESK_S10_SL_SM_SN_EUlS10_E_NS1_11comp_targetILNS1_3genE3ELNS1_11target_archE908ELNS1_3gpuE7ELNS1_3repE0EEENS1_48merge_mergepath_partition_config_static_selectorELNS0_4arch9wavefront6targetE1EEEvSM_,comdat
	.globl	_ZN7rocprim17ROCPRIM_400000_NS6detail17trampoline_kernelINS0_14default_configENS1_38merge_sort_block_merge_config_selectorIlNS0_10empty_typeEEEZZNS1_27merge_sort_block_merge_implIS3_PlPS5_mZN2at6native12_GLOBAL__N_124unique_dim_cuda_templateIdEESt5tupleIJNSA_6TensorESF_SF_EERKSF_lbbbEUlllE_EE10hipError_tT0_T1_T2_jT3_P12ihipStream_tbPNSt15iterator_traitsISL_E10value_typeEPNSR_ISM_E10value_typeEPSN_NS1_7vsmem_tEENKUlT_SL_SM_SN_E_clIS8_S8_S9_S9_EESK_S10_SL_SM_SN_EUlS10_E_NS1_11comp_targetILNS1_3genE3ELNS1_11target_archE908ELNS1_3gpuE7ELNS1_3repE0EEENS1_48merge_mergepath_partition_config_static_selectorELNS0_4arch9wavefront6targetE1EEEvSM_ ; -- Begin function _ZN7rocprim17ROCPRIM_400000_NS6detail17trampoline_kernelINS0_14default_configENS1_38merge_sort_block_merge_config_selectorIlNS0_10empty_typeEEEZZNS1_27merge_sort_block_merge_implIS3_PlPS5_mZN2at6native12_GLOBAL__N_124unique_dim_cuda_templateIdEESt5tupleIJNSA_6TensorESF_SF_EERKSF_lbbbEUlllE_EE10hipError_tT0_T1_T2_jT3_P12ihipStream_tbPNSt15iterator_traitsISL_E10value_typeEPNSR_ISM_E10value_typeEPSN_NS1_7vsmem_tEENKUlT_SL_SM_SN_E_clIS8_S8_S9_S9_EESK_S10_SL_SM_SN_EUlS10_E_NS1_11comp_targetILNS1_3genE3ELNS1_11target_archE908ELNS1_3gpuE7ELNS1_3repE0EEENS1_48merge_mergepath_partition_config_static_selectorELNS0_4arch9wavefront6targetE1EEEvSM_
	.p2align	8
	.type	_ZN7rocprim17ROCPRIM_400000_NS6detail17trampoline_kernelINS0_14default_configENS1_38merge_sort_block_merge_config_selectorIlNS0_10empty_typeEEEZZNS1_27merge_sort_block_merge_implIS3_PlPS5_mZN2at6native12_GLOBAL__N_124unique_dim_cuda_templateIdEESt5tupleIJNSA_6TensorESF_SF_EERKSF_lbbbEUlllE_EE10hipError_tT0_T1_T2_jT3_P12ihipStream_tbPNSt15iterator_traitsISL_E10value_typeEPNSR_ISM_E10value_typeEPSN_NS1_7vsmem_tEENKUlT_SL_SM_SN_E_clIS8_S8_S9_S9_EESK_S10_SL_SM_SN_EUlS10_E_NS1_11comp_targetILNS1_3genE3ELNS1_11target_archE908ELNS1_3gpuE7ELNS1_3repE0EEENS1_48merge_mergepath_partition_config_static_selectorELNS0_4arch9wavefront6targetE1EEEvSM_,@function
_ZN7rocprim17ROCPRIM_400000_NS6detail17trampoline_kernelINS0_14default_configENS1_38merge_sort_block_merge_config_selectorIlNS0_10empty_typeEEEZZNS1_27merge_sort_block_merge_implIS3_PlPS5_mZN2at6native12_GLOBAL__N_124unique_dim_cuda_templateIdEESt5tupleIJNSA_6TensorESF_SF_EERKSF_lbbbEUlllE_EE10hipError_tT0_T1_T2_jT3_P12ihipStream_tbPNSt15iterator_traitsISL_E10value_typeEPNSR_ISM_E10value_typeEPSN_NS1_7vsmem_tEENKUlT_SL_SM_SN_E_clIS8_S8_S9_S9_EESK_S10_SL_SM_SN_EUlS10_E_NS1_11comp_targetILNS1_3genE3ELNS1_11target_archE908ELNS1_3gpuE7ELNS1_3repE0EEENS1_48merge_mergepath_partition_config_static_selectorELNS0_4arch9wavefront6targetE1EEEvSM_: ; @_ZN7rocprim17ROCPRIM_400000_NS6detail17trampoline_kernelINS0_14default_configENS1_38merge_sort_block_merge_config_selectorIlNS0_10empty_typeEEEZZNS1_27merge_sort_block_merge_implIS3_PlPS5_mZN2at6native12_GLOBAL__N_124unique_dim_cuda_templateIdEESt5tupleIJNSA_6TensorESF_SF_EERKSF_lbbbEUlllE_EE10hipError_tT0_T1_T2_jT3_P12ihipStream_tbPNSt15iterator_traitsISL_E10value_typeEPNSR_ISM_E10value_typeEPSN_NS1_7vsmem_tEENKUlT_SL_SM_SN_E_clIS8_S8_S9_S9_EESK_S10_SL_SM_SN_EUlS10_E_NS1_11comp_targetILNS1_3genE3ELNS1_11target_archE908ELNS1_3gpuE7ELNS1_3repE0EEENS1_48merge_mergepath_partition_config_static_selectorELNS0_4arch9wavefront6targetE1EEEvSM_
; %bb.0:
	.section	.rodata,"a",@progbits
	.p2align	6, 0x0
	.amdhsa_kernel _ZN7rocprim17ROCPRIM_400000_NS6detail17trampoline_kernelINS0_14default_configENS1_38merge_sort_block_merge_config_selectorIlNS0_10empty_typeEEEZZNS1_27merge_sort_block_merge_implIS3_PlPS5_mZN2at6native12_GLOBAL__N_124unique_dim_cuda_templateIdEESt5tupleIJNSA_6TensorESF_SF_EERKSF_lbbbEUlllE_EE10hipError_tT0_T1_T2_jT3_P12ihipStream_tbPNSt15iterator_traitsISL_E10value_typeEPNSR_ISM_E10value_typeEPSN_NS1_7vsmem_tEENKUlT_SL_SM_SN_E_clIS8_S8_S9_S9_EESK_S10_SL_SM_SN_EUlS10_E_NS1_11comp_targetILNS1_3genE3ELNS1_11target_archE908ELNS1_3gpuE7ELNS1_3repE0EEENS1_48merge_mergepath_partition_config_static_selectorELNS0_4arch9wavefront6targetE1EEEvSM_
		.amdhsa_group_segment_fixed_size 0
		.amdhsa_private_segment_fixed_size 0
		.amdhsa_kernarg_size 56
		.amdhsa_user_sgpr_count 2
		.amdhsa_user_sgpr_dispatch_ptr 0
		.amdhsa_user_sgpr_queue_ptr 0
		.amdhsa_user_sgpr_kernarg_segment_ptr 1
		.amdhsa_user_sgpr_dispatch_id 0
		.amdhsa_user_sgpr_kernarg_preload_length 0
		.amdhsa_user_sgpr_kernarg_preload_offset 0
		.amdhsa_user_sgpr_private_segment_size 0
		.amdhsa_uses_dynamic_stack 0
		.amdhsa_enable_private_segment 0
		.amdhsa_system_sgpr_workgroup_id_x 1
		.amdhsa_system_sgpr_workgroup_id_y 0
		.amdhsa_system_sgpr_workgroup_id_z 0
		.amdhsa_system_sgpr_workgroup_info 0
		.amdhsa_system_vgpr_workitem_id 0
		.amdhsa_next_free_vgpr 1
		.amdhsa_next_free_sgpr 0
		.amdhsa_accum_offset 4
		.amdhsa_reserve_vcc 0
		.amdhsa_float_round_mode_32 0
		.amdhsa_float_round_mode_16_64 0
		.amdhsa_float_denorm_mode_32 3
		.amdhsa_float_denorm_mode_16_64 3
		.amdhsa_dx10_clamp 1
		.amdhsa_ieee_mode 1
		.amdhsa_fp16_overflow 0
		.amdhsa_tg_split 0
		.amdhsa_exception_fp_ieee_invalid_op 0
		.amdhsa_exception_fp_denorm_src 0
		.amdhsa_exception_fp_ieee_div_zero 0
		.amdhsa_exception_fp_ieee_overflow 0
		.amdhsa_exception_fp_ieee_underflow 0
		.amdhsa_exception_fp_ieee_inexact 0
		.amdhsa_exception_int_div_zero 0
	.end_amdhsa_kernel
	.section	.text._ZN7rocprim17ROCPRIM_400000_NS6detail17trampoline_kernelINS0_14default_configENS1_38merge_sort_block_merge_config_selectorIlNS0_10empty_typeEEEZZNS1_27merge_sort_block_merge_implIS3_PlPS5_mZN2at6native12_GLOBAL__N_124unique_dim_cuda_templateIdEESt5tupleIJNSA_6TensorESF_SF_EERKSF_lbbbEUlllE_EE10hipError_tT0_T1_T2_jT3_P12ihipStream_tbPNSt15iterator_traitsISL_E10value_typeEPNSR_ISM_E10value_typeEPSN_NS1_7vsmem_tEENKUlT_SL_SM_SN_E_clIS8_S8_S9_S9_EESK_S10_SL_SM_SN_EUlS10_E_NS1_11comp_targetILNS1_3genE3ELNS1_11target_archE908ELNS1_3gpuE7ELNS1_3repE0EEENS1_48merge_mergepath_partition_config_static_selectorELNS0_4arch9wavefront6targetE1EEEvSM_,"axG",@progbits,_ZN7rocprim17ROCPRIM_400000_NS6detail17trampoline_kernelINS0_14default_configENS1_38merge_sort_block_merge_config_selectorIlNS0_10empty_typeEEEZZNS1_27merge_sort_block_merge_implIS3_PlPS5_mZN2at6native12_GLOBAL__N_124unique_dim_cuda_templateIdEESt5tupleIJNSA_6TensorESF_SF_EERKSF_lbbbEUlllE_EE10hipError_tT0_T1_T2_jT3_P12ihipStream_tbPNSt15iterator_traitsISL_E10value_typeEPNSR_ISM_E10value_typeEPSN_NS1_7vsmem_tEENKUlT_SL_SM_SN_E_clIS8_S8_S9_S9_EESK_S10_SL_SM_SN_EUlS10_E_NS1_11comp_targetILNS1_3genE3ELNS1_11target_archE908ELNS1_3gpuE7ELNS1_3repE0EEENS1_48merge_mergepath_partition_config_static_selectorELNS0_4arch9wavefront6targetE1EEEvSM_,comdat
.Lfunc_end762:
	.size	_ZN7rocprim17ROCPRIM_400000_NS6detail17trampoline_kernelINS0_14default_configENS1_38merge_sort_block_merge_config_selectorIlNS0_10empty_typeEEEZZNS1_27merge_sort_block_merge_implIS3_PlPS5_mZN2at6native12_GLOBAL__N_124unique_dim_cuda_templateIdEESt5tupleIJNSA_6TensorESF_SF_EERKSF_lbbbEUlllE_EE10hipError_tT0_T1_T2_jT3_P12ihipStream_tbPNSt15iterator_traitsISL_E10value_typeEPNSR_ISM_E10value_typeEPSN_NS1_7vsmem_tEENKUlT_SL_SM_SN_E_clIS8_S8_S9_S9_EESK_S10_SL_SM_SN_EUlS10_E_NS1_11comp_targetILNS1_3genE3ELNS1_11target_archE908ELNS1_3gpuE7ELNS1_3repE0EEENS1_48merge_mergepath_partition_config_static_selectorELNS0_4arch9wavefront6targetE1EEEvSM_, .Lfunc_end762-_ZN7rocprim17ROCPRIM_400000_NS6detail17trampoline_kernelINS0_14default_configENS1_38merge_sort_block_merge_config_selectorIlNS0_10empty_typeEEEZZNS1_27merge_sort_block_merge_implIS3_PlPS5_mZN2at6native12_GLOBAL__N_124unique_dim_cuda_templateIdEESt5tupleIJNSA_6TensorESF_SF_EERKSF_lbbbEUlllE_EE10hipError_tT0_T1_T2_jT3_P12ihipStream_tbPNSt15iterator_traitsISL_E10value_typeEPNSR_ISM_E10value_typeEPSN_NS1_7vsmem_tEENKUlT_SL_SM_SN_E_clIS8_S8_S9_S9_EESK_S10_SL_SM_SN_EUlS10_E_NS1_11comp_targetILNS1_3genE3ELNS1_11target_archE908ELNS1_3gpuE7ELNS1_3repE0EEENS1_48merge_mergepath_partition_config_static_selectorELNS0_4arch9wavefront6targetE1EEEvSM_
                                        ; -- End function
	.set _ZN7rocprim17ROCPRIM_400000_NS6detail17trampoline_kernelINS0_14default_configENS1_38merge_sort_block_merge_config_selectorIlNS0_10empty_typeEEEZZNS1_27merge_sort_block_merge_implIS3_PlPS5_mZN2at6native12_GLOBAL__N_124unique_dim_cuda_templateIdEESt5tupleIJNSA_6TensorESF_SF_EERKSF_lbbbEUlllE_EE10hipError_tT0_T1_T2_jT3_P12ihipStream_tbPNSt15iterator_traitsISL_E10value_typeEPNSR_ISM_E10value_typeEPSN_NS1_7vsmem_tEENKUlT_SL_SM_SN_E_clIS8_S8_S9_S9_EESK_S10_SL_SM_SN_EUlS10_E_NS1_11comp_targetILNS1_3genE3ELNS1_11target_archE908ELNS1_3gpuE7ELNS1_3repE0EEENS1_48merge_mergepath_partition_config_static_selectorELNS0_4arch9wavefront6targetE1EEEvSM_.num_vgpr, 0
	.set _ZN7rocprim17ROCPRIM_400000_NS6detail17trampoline_kernelINS0_14default_configENS1_38merge_sort_block_merge_config_selectorIlNS0_10empty_typeEEEZZNS1_27merge_sort_block_merge_implIS3_PlPS5_mZN2at6native12_GLOBAL__N_124unique_dim_cuda_templateIdEESt5tupleIJNSA_6TensorESF_SF_EERKSF_lbbbEUlllE_EE10hipError_tT0_T1_T2_jT3_P12ihipStream_tbPNSt15iterator_traitsISL_E10value_typeEPNSR_ISM_E10value_typeEPSN_NS1_7vsmem_tEENKUlT_SL_SM_SN_E_clIS8_S8_S9_S9_EESK_S10_SL_SM_SN_EUlS10_E_NS1_11comp_targetILNS1_3genE3ELNS1_11target_archE908ELNS1_3gpuE7ELNS1_3repE0EEENS1_48merge_mergepath_partition_config_static_selectorELNS0_4arch9wavefront6targetE1EEEvSM_.num_agpr, 0
	.set _ZN7rocprim17ROCPRIM_400000_NS6detail17trampoline_kernelINS0_14default_configENS1_38merge_sort_block_merge_config_selectorIlNS0_10empty_typeEEEZZNS1_27merge_sort_block_merge_implIS3_PlPS5_mZN2at6native12_GLOBAL__N_124unique_dim_cuda_templateIdEESt5tupleIJNSA_6TensorESF_SF_EERKSF_lbbbEUlllE_EE10hipError_tT0_T1_T2_jT3_P12ihipStream_tbPNSt15iterator_traitsISL_E10value_typeEPNSR_ISM_E10value_typeEPSN_NS1_7vsmem_tEENKUlT_SL_SM_SN_E_clIS8_S8_S9_S9_EESK_S10_SL_SM_SN_EUlS10_E_NS1_11comp_targetILNS1_3genE3ELNS1_11target_archE908ELNS1_3gpuE7ELNS1_3repE0EEENS1_48merge_mergepath_partition_config_static_selectorELNS0_4arch9wavefront6targetE1EEEvSM_.numbered_sgpr, 0
	.set _ZN7rocprim17ROCPRIM_400000_NS6detail17trampoline_kernelINS0_14default_configENS1_38merge_sort_block_merge_config_selectorIlNS0_10empty_typeEEEZZNS1_27merge_sort_block_merge_implIS3_PlPS5_mZN2at6native12_GLOBAL__N_124unique_dim_cuda_templateIdEESt5tupleIJNSA_6TensorESF_SF_EERKSF_lbbbEUlllE_EE10hipError_tT0_T1_T2_jT3_P12ihipStream_tbPNSt15iterator_traitsISL_E10value_typeEPNSR_ISM_E10value_typeEPSN_NS1_7vsmem_tEENKUlT_SL_SM_SN_E_clIS8_S8_S9_S9_EESK_S10_SL_SM_SN_EUlS10_E_NS1_11comp_targetILNS1_3genE3ELNS1_11target_archE908ELNS1_3gpuE7ELNS1_3repE0EEENS1_48merge_mergepath_partition_config_static_selectorELNS0_4arch9wavefront6targetE1EEEvSM_.num_named_barrier, 0
	.set _ZN7rocprim17ROCPRIM_400000_NS6detail17trampoline_kernelINS0_14default_configENS1_38merge_sort_block_merge_config_selectorIlNS0_10empty_typeEEEZZNS1_27merge_sort_block_merge_implIS3_PlPS5_mZN2at6native12_GLOBAL__N_124unique_dim_cuda_templateIdEESt5tupleIJNSA_6TensorESF_SF_EERKSF_lbbbEUlllE_EE10hipError_tT0_T1_T2_jT3_P12ihipStream_tbPNSt15iterator_traitsISL_E10value_typeEPNSR_ISM_E10value_typeEPSN_NS1_7vsmem_tEENKUlT_SL_SM_SN_E_clIS8_S8_S9_S9_EESK_S10_SL_SM_SN_EUlS10_E_NS1_11comp_targetILNS1_3genE3ELNS1_11target_archE908ELNS1_3gpuE7ELNS1_3repE0EEENS1_48merge_mergepath_partition_config_static_selectorELNS0_4arch9wavefront6targetE1EEEvSM_.private_seg_size, 0
	.set _ZN7rocprim17ROCPRIM_400000_NS6detail17trampoline_kernelINS0_14default_configENS1_38merge_sort_block_merge_config_selectorIlNS0_10empty_typeEEEZZNS1_27merge_sort_block_merge_implIS3_PlPS5_mZN2at6native12_GLOBAL__N_124unique_dim_cuda_templateIdEESt5tupleIJNSA_6TensorESF_SF_EERKSF_lbbbEUlllE_EE10hipError_tT0_T1_T2_jT3_P12ihipStream_tbPNSt15iterator_traitsISL_E10value_typeEPNSR_ISM_E10value_typeEPSN_NS1_7vsmem_tEENKUlT_SL_SM_SN_E_clIS8_S8_S9_S9_EESK_S10_SL_SM_SN_EUlS10_E_NS1_11comp_targetILNS1_3genE3ELNS1_11target_archE908ELNS1_3gpuE7ELNS1_3repE0EEENS1_48merge_mergepath_partition_config_static_selectorELNS0_4arch9wavefront6targetE1EEEvSM_.uses_vcc, 0
	.set _ZN7rocprim17ROCPRIM_400000_NS6detail17trampoline_kernelINS0_14default_configENS1_38merge_sort_block_merge_config_selectorIlNS0_10empty_typeEEEZZNS1_27merge_sort_block_merge_implIS3_PlPS5_mZN2at6native12_GLOBAL__N_124unique_dim_cuda_templateIdEESt5tupleIJNSA_6TensorESF_SF_EERKSF_lbbbEUlllE_EE10hipError_tT0_T1_T2_jT3_P12ihipStream_tbPNSt15iterator_traitsISL_E10value_typeEPNSR_ISM_E10value_typeEPSN_NS1_7vsmem_tEENKUlT_SL_SM_SN_E_clIS8_S8_S9_S9_EESK_S10_SL_SM_SN_EUlS10_E_NS1_11comp_targetILNS1_3genE3ELNS1_11target_archE908ELNS1_3gpuE7ELNS1_3repE0EEENS1_48merge_mergepath_partition_config_static_selectorELNS0_4arch9wavefront6targetE1EEEvSM_.uses_flat_scratch, 0
	.set _ZN7rocprim17ROCPRIM_400000_NS6detail17trampoline_kernelINS0_14default_configENS1_38merge_sort_block_merge_config_selectorIlNS0_10empty_typeEEEZZNS1_27merge_sort_block_merge_implIS3_PlPS5_mZN2at6native12_GLOBAL__N_124unique_dim_cuda_templateIdEESt5tupleIJNSA_6TensorESF_SF_EERKSF_lbbbEUlllE_EE10hipError_tT0_T1_T2_jT3_P12ihipStream_tbPNSt15iterator_traitsISL_E10value_typeEPNSR_ISM_E10value_typeEPSN_NS1_7vsmem_tEENKUlT_SL_SM_SN_E_clIS8_S8_S9_S9_EESK_S10_SL_SM_SN_EUlS10_E_NS1_11comp_targetILNS1_3genE3ELNS1_11target_archE908ELNS1_3gpuE7ELNS1_3repE0EEENS1_48merge_mergepath_partition_config_static_selectorELNS0_4arch9wavefront6targetE1EEEvSM_.has_dyn_sized_stack, 0
	.set _ZN7rocprim17ROCPRIM_400000_NS6detail17trampoline_kernelINS0_14default_configENS1_38merge_sort_block_merge_config_selectorIlNS0_10empty_typeEEEZZNS1_27merge_sort_block_merge_implIS3_PlPS5_mZN2at6native12_GLOBAL__N_124unique_dim_cuda_templateIdEESt5tupleIJNSA_6TensorESF_SF_EERKSF_lbbbEUlllE_EE10hipError_tT0_T1_T2_jT3_P12ihipStream_tbPNSt15iterator_traitsISL_E10value_typeEPNSR_ISM_E10value_typeEPSN_NS1_7vsmem_tEENKUlT_SL_SM_SN_E_clIS8_S8_S9_S9_EESK_S10_SL_SM_SN_EUlS10_E_NS1_11comp_targetILNS1_3genE3ELNS1_11target_archE908ELNS1_3gpuE7ELNS1_3repE0EEENS1_48merge_mergepath_partition_config_static_selectorELNS0_4arch9wavefront6targetE1EEEvSM_.has_recursion, 0
	.set _ZN7rocprim17ROCPRIM_400000_NS6detail17trampoline_kernelINS0_14default_configENS1_38merge_sort_block_merge_config_selectorIlNS0_10empty_typeEEEZZNS1_27merge_sort_block_merge_implIS3_PlPS5_mZN2at6native12_GLOBAL__N_124unique_dim_cuda_templateIdEESt5tupleIJNSA_6TensorESF_SF_EERKSF_lbbbEUlllE_EE10hipError_tT0_T1_T2_jT3_P12ihipStream_tbPNSt15iterator_traitsISL_E10value_typeEPNSR_ISM_E10value_typeEPSN_NS1_7vsmem_tEENKUlT_SL_SM_SN_E_clIS8_S8_S9_S9_EESK_S10_SL_SM_SN_EUlS10_E_NS1_11comp_targetILNS1_3genE3ELNS1_11target_archE908ELNS1_3gpuE7ELNS1_3repE0EEENS1_48merge_mergepath_partition_config_static_selectorELNS0_4arch9wavefront6targetE1EEEvSM_.has_indirect_call, 0
	.section	.AMDGPU.csdata,"",@progbits
; Kernel info:
; codeLenInByte = 0
; TotalNumSgprs: 6
; NumVgprs: 0
; NumAgprs: 0
; TotalNumVgprs: 0
; ScratchSize: 0
; MemoryBound: 0
; FloatMode: 240
; IeeeMode: 1
; LDSByteSize: 0 bytes/workgroup (compile time only)
; SGPRBlocks: 0
; VGPRBlocks: 0
; NumSGPRsForWavesPerEU: 6
; NumVGPRsForWavesPerEU: 1
; AccumOffset: 4
; Occupancy: 8
; WaveLimiterHint : 0
; COMPUTE_PGM_RSRC2:SCRATCH_EN: 0
; COMPUTE_PGM_RSRC2:USER_SGPR: 2
; COMPUTE_PGM_RSRC2:TRAP_HANDLER: 0
; COMPUTE_PGM_RSRC2:TGID_X_EN: 1
; COMPUTE_PGM_RSRC2:TGID_Y_EN: 0
; COMPUTE_PGM_RSRC2:TGID_Z_EN: 0
; COMPUTE_PGM_RSRC2:TIDIG_COMP_CNT: 0
; COMPUTE_PGM_RSRC3_GFX90A:ACCUM_OFFSET: 0
; COMPUTE_PGM_RSRC3_GFX90A:TG_SPLIT: 0
	.section	.text._ZN7rocprim17ROCPRIM_400000_NS6detail17trampoline_kernelINS0_14default_configENS1_38merge_sort_block_merge_config_selectorIlNS0_10empty_typeEEEZZNS1_27merge_sort_block_merge_implIS3_PlPS5_mZN2at6native12_GLOBAL__N_124unique_dim_cuda_templateIdEESt5tupleIJNSA_6TensorESF_SF_EERKSF_lbbbEUlllE_EE10hipError_tT0_T1_T2_jT3_P12ihipStream_tbPNSt15iterator_traitsISL_E10value_typeEPNSR_ISM_E10value_typeEPSN_NS1_7vsmem_tEENKUlT_SL_SM_SN_E_clIS8_S8_S9_S9_EESK_S10_SL_SM_SN_EUlS10_E_NS1_11comp_targetILNS1_3genE2ELNS1_11target_archE906ELNS1_3gpuE6ELNS1_3repE0EEENS1_48merge_mergepath_partition_config_static_selectorELNS0_4arch9wavefront6targetE1EEEvSM_,"axG",@progbits,_ZN7rocprim17ROCPRIM_400000_NS6detail17trampoline_kernelINS0_14default_configENS1_38merge_sort_block_merge_config_selectorIlNS0_10empty_typeEEEZZNS1_27merge_sort_block_merge_implIS3_PlPS5_mZN2at6native12_GLOBAL__N_124unique_dim_cuda_templateIdEESt5tupleIJNSA_6TensorESF_SF_EERKSF_lbbbEUlllE_EE10hipError_tT0_T1_T2_jT3_P12ihipStream_tbPNSt15iterator_traitsISL_E10value_typeEPNSR_ISM_E10value_typeEPSN_NS1_7vsmem_tEENKUlT_SL_SM_SN_E_clIS8_S8_S9_S9_EESK_S10_SL_SM_SN_EUlS10_E_NS1_11comp_targetILNS1_3genE2ELNS1_11target_archE906ELNS1_3gpuE6ELNS1_3repE0EEENS1_48merge_mergepath_partition_config_static_selectorELNS0_4arch9wavefront6targetE1EEEvSM_,comdat
	.globl	_ZN7rocprim17ROCPRIM_400000_NS6detail17trampoline_kernelINS0_14default_configENS1_38merge_sort_block_merge_config_selectorIlNS0_10empty_typeEEEZZNS1_27merge_sort_block_merge_implIS3_PlPS5_mZN2at6native12_GLOBAL__N_124unique_dim_cuda_templateIdEESt5tupleIJNSA_6TensorESF_SF_EERKSF_lbbbEUlllE_EE10hipError_tT0_T1_T2_jT3_P12ihipStream_tbPNSt15iterator_traitsISL_E10value_typeEPNSR_ISM_E10value_typeEPSN_NS1_7vsmem_tEENKUlT_SL_SM_SN_E_clIS8_S8_S9_S9_EESK_S10_SL_SM_SN_EUlS10_E_NS1_11comp_targetILNS1_3genE2ELNS1_11target_archE906ELNS1_3gpuE6ELNS1_3repE0EEENS1_48merge_mergepath_partition_config_static_selectorELNS0_4arch9wavefront6targetE1EEEvSM_ ; -- Begin function _ZN7rocprim17ROCPRIM_400000_NS6detail17trampoline_kernelINS0_14default_configENS1_38merge_sort_block_merge_config_selectorIlNS0_10empty_typeEEEZZNS1_27merge_sort_block_merge_implIS3_PlPS5_mZN2at6native12_GLOBAL__N_124unique_dim_cuda_templateIdEESt5tupleIJNSA_6TensorESF_SF_EERKSF_lbbbEUlllE_EE10hipError_tT0_T1_T2_jT3_P12ihipStream_tbPNSt15iterator_traitsISL_E10value_typeEPNSR_ISM_E10value_typeEPSN_NS1_7vsmem_tEENKUlT_SL_SM_SN_E_clIS8_S8_S9_S9_EESK_S10_SL_SM_SN_EUlS10_E_NS1_11comp_targetILNS1_3genE2ELNS1_11target_archE906ELNS1_3gpuE6ELNS1_3repE0EEENS1_48merge_mergepath_partition_config_static_selectorELNS0_4arch9wavefront6targetE1EEEvSM_
	.p2align	8
	.type	_ZN7rocprim17ROCPRIM_400000_NS6detail17trampoline_kernelINS0_14default_configENS1_38merge_sort_block_merge_config_selectorIlNS0_10empty_typeEEEZZNS1_27merge_sort_block_merge_implIS3_PlPS5_mZN2at6native12_GLOBAL__N_124unique_dim_cuda_templateIdEESt5tupleIJNSA_6TensorESF_SF_EERKSF_lbbbEUlllE_EE10hipError_tT0_T1_T2_jT3_P12ihipStream_tbPNSt15iterator_traitsISL_E10value_typeEPNSR_ISM_E10value_typeEPSN_NS1_7vsmem_tEENKUlT_SL_SM_SN_E_clIS8_S8_S9_S9_EESK_S10_SL_SM_SN_EUlS10_E_NS1_11comp_targetILNS1_3genE2ELNS1_11target_archE906ELNS1_3gpuE6ELNS1_3repE0EEENS1_48merge_mergepath_partition_config_static_selectorELNS0_4arch9wavefront6targetE1EEEvSM_,@function
_ZN7rocprim17ROCPRIM_400000_NS6detail17trampoline_kernelINS0_14default_configENS1_38merge_sort_block_merge_config_selectorIlNS0_10empty_typeEEEZZNS1_27merge_sort_block_merge_implIS3_PlPS5_mZN2at6native12_GLOBAL__N_124unique_dim_cuda_templateIdEESt5tupleIJNSA_6TensorESF_SF_EERKSF_lbbbEUlllE_EE10hipError_tT0_T1_T2_jT3_P12ihipStream_tbPNSt15iterator_traitsISL_E10value_typeEPNSR_ISM_E10value_typeEPSN_NS1_7vsmem_tEENKUlT_SL_SM_SN_E_clIS8_S8_S9_S9_EESK_S10_SL_SM_SN_EUlS10_E_NS1_11comp_targetILNS1_3genE2ELNS1_11target_archE906ELNS1_3gpuE6ELNS1_3repE0EEENS1_48merge_mergepath_partition_config_static_selectorELNS0_4arch9wavefront6targetE1EEEvSM_: ; @_ZN7rocprim17ROCPRIM_400000_NS6detail17trampoline_kernelINS0_14default_configENS1_38merge_sort_block_merge_config_selectorIlNS0_10empty_typeEEEZZNS1_27merge_sort_block_merge_implIS3_PlPS5_mZN2at6native12_GLOBAL__N_124unique_dim_cuda_templateIdEESt5tupleIJNSA_6TensorESF_SF_EERKSF_lbbbEUlllE_EE10hipError_tT0_T1_T2_jT3_P12ihipStream_tbPNSt15iterator_traitsISL_E10value_typeEPNSR_ISM_E10value_typeEPSN_NS1_7vsmem_tEENKUlT_SL_SM_SN_E_clIS8_S8_S9_S9_EESK_S10_SL_SM_SN_EUlS10_E_NS1_11comp_targetILNS1_3genE2ELNS1_11target_archE906ELNS1_3gpuE6ELNS1_3repE0EEENS1_48merge_mergepath_partition_config_static_selectorELNS0_4arch9wavefront6targetE1EEEvSM_
; %bb.0:
	.section	.rodata,"a",@progbits
	.p2align	6, 0x0
	.amdhsa_kernel _ZN7rocprim17ROCPRIM_400000_NS6detail17trampoline_kernelINS0_14default_configENS1_38merge_sort_block_merge_config_selectorIlNS0_10empty_typeEEEZZNS1_27merge_sort_block_merge_implIS3_PlPS5_mZN2at6native12_GLOBAL__N_124unique_dim_cuda_templateIdEESt5tupleIJNSA_6TensorESF_SF_EERKSF_lbbbEUlllE_EE10hipError_tT0_T1_T2_jT3_P12ihipStream_tbPNSt15iterator_traitsISL_E10value_typeEPNSR_ISM_E10value_typeEPSN_NS1_7vsmem_tEENKUlT_SL_SM_SN_E_clIS8_S8_S9_S9_EESK_S10_SL_SM_SN_EUlS10_E_NS1_11comp_targetILNS1_3genE2ELNS1_11target_archE906ELNS1_3gpuE6ELNS1_3repE0EEENS1_48merge_mergepath_partition_config_static_selectorELNS0_4arch9wavefront6targetE1EEEvSM_
		.amdhsa_group_segment_fixed_size 0
		.amdhsa_private_segment_fixed_size 0
		.amdhsa_kernarg_size 56
		.amdhsa_user_sgpr_count 2
		.amdhsa_user_sgpr_dispatch_ptr 0
		.amdhsa_user_sgpr_queue_ptr 0
		.amdhsa_user_sgpr_kernarg_segment_ptr 1
		.amdhsa_user_sgpr_dispatch_id 0
		.amdhsa_user_sgpr_kernarg_preload_length 0
		.amdhsa_user_sgpr_kernarg_preload_offset 0
		.amdhsa_user_sgpr_private_segment_size 0
		.amdhsa_uses_dynamic_stack 0
		.amdhsa_enable_private_segment 0
		.amdhsa_system_sgpr_workgroup_id_x 1
		.amdhsa_system_sgpr_workgroup_id_y 0
		.amdhsa_system_sgpr_workgroup_id_z 0
		.amdhsa_system_sgpr_workgroup_info 0
		.amdhsa_system_vgpr_workitem_id 0
		.amdhsa_next_free_vgpr 1
		.amdhsa_next_free_sgpr 0
		.amdhsa_accum_offset 4
		.amdhsa_reserve_vcc 0
		.amdhsa_float_round_mode_32 0
		.amdhsa_float_round_mode_16_64 0
		.amdhsa_float_denorm_mode_32 3
		.amdhsa_float_denorm_mode_16_64 3
		.amdhsa_dx10_clamp 1
		.amdhsa_ieee_mode 1
		.amdhsa_fp16_overflow 0
		.amdhsa_tg_split 0
		.amdhsa_exception_fp_ieee_invalid_op 0
		.amdhsa_exception_fp_denorm_src 0
		.amdhsa_exception_fp_ieee_div_zero 0
		.amdhsa_exception_fp_ieee_overflow 0
		.amdhsa_exception_fp_ieee_underflow 0
		.amdhsa_exception_fp_ieee_inexact 0
		.amdhsa_exception_int_div_zero 0
	.end_amdhsa_kernel
	.section	.text._ZN7rocprim17ROCPRIM_400000_NS6detail17trampoline_kernelINS0_14default_configENS1_38merge_sort_block_merge_config_selectorIlNS0_10empty_typeEEEZZNS1_27merge_sort_block_merge_implIS3_PlPS5_mZN2at6native12_GLOBAL__N_124unique_dim_cuda_templateIdEESt5tupleIJNSA_6TensorESF_SF_EERKSF_lbbbEUlllE_EE10hipError_tT0_T1_T2_jT3_P12ihipStream_tbPNSt15iterator_traitsISL_E10value_typeEPNSR_ISM_E10value_typeEPSN_NS1_7vsmem_tEENKUlT_SL_SM_SN_E_clIS8_S8_S9_S9_EESK_S10_SL_SM_SN_EUlS10_E_NS1_11comp_targetILNS1_3genE2ELNS1_11target_archE906ELNS1_3gpuE6ELNS1_3repE0EEENS1_48merge_mergepath_partition_config_static_selectorELNS0_4arch9wavefront6targetE1EEEvSM_,"axG",@progbits,_ZN7rocprim17ROCPRIM_400000_NS6detail17trampoline_kernelINS0_14default_configENS1_38merge_sort_block_merge_config_selectorIlNS0_10empty_typeEEEZZNS1_27merge_sort_block_merge_implIS3_PlPS5_mZN2at6native12_GLOBAL__N_124unique_dim_cuda_templateIdEESt5tupleIJNSA_6TensorESF_SF_EERKSF_lbbbEUlllE_EE10hipError_tT0_T1_T2_jT3_P12ihipStream_tbPNSt15iterator_traitsISL_E10value_typeEPNSR_ISM_E10value_typeEPSN_NS1_7vsmem_tEENKUlT_SL_SM_SN_E_clIS8_S8_S9_S9_EESK_S10_SL_SM_SN_EUlS10_E_NS1_11comp_targetILNS1_3genE2ELNS1_11target_archE906ELNS1_3gpuE6ELNS1_3repE0EEENS1_48merge_mergepath_partition_config_static_selectorELNS0_4arch9wavefront6targetE1EEEvSM_,comdat
.Lfunc_end763:
	.size	_ZN7rocprim17ROCPRIM_400000_NS6detail17trampoline_kernelINS0_14default_configENS1_38merge_sort_block_merge_config_selectorIlNS0_10empty_typeEEEZZNS1_27merge_sort_block_merge_implIS3_PlPS5_mZN2at6native12_GLOBAL__N_124unique_dim_cuda_templateIdEESt5tupleIJNSA_6TensorESF_SF_EERKSF_lbbbEUlllE_EE10hipError_tT0_T1_T2_jT3_P12ihipStream_tbPNSt15iterator_traitsISL_E10value_typeEPNSR_ISM_E10value_typeEPSN_NS1_7vsmem_tEENKUlT_SL_SM_SN_E_clIS8_S8_S9_S9_EESK_S10_SL_SM_SN_EUlS10_E_NS1_11comp_targetILNS1_3genE2ELNS1_11target_archE906ELNS1_3gpuE6ELNS1_3repE0EEENS1_48merge_mergepath_partition_config_static_selectorELNS0_4arch9wavefront6targetE1EEEvSM_, .Lfunc_end763-_ZN7rocprim17ROCPRIM_400000_NS6detail17trampoline_kernelINS0_14default_configENS1_38merge_sort_block_merge_config_selectorIlNS0_10empty_typeEEEZZNS1_27merge_sort_block_merge_implIS3_PlPS5_mZN2at6native12_GLOBAL__N_124unique_dim_cuda_templateIdEESt5tupleIJNSA_6TensorESF_SF_EERKSF_lbbbEUlllE_EE10hipError_tT0_T1_T2_jT3_P12ihipStream_tbPNSt15iterator_traitsISL_E10value_typeEPNSR_ISM_E10value_typeEPSN_NS1_7vsmem_tEENKUlT_SL_SM_SN_E_clIS8_S8_S9_S9_EESK_S10_SL_SM_SN_EUlS10_E_NS1_11comp_targetILNS1_3genE2ELNS1_11target_archE906ELNS1_3gpuE6ELNS1_3repE0EEENS1_48merge_mergepath_partition_config_static_selectorELNS0_4arch9wavefront6targetE1EEEvSM_
                                        ; -- End function
	.set _ZN7rocprim17ROCPRIM_400000_NS6detail17trampoline_kernelINS0_14default_configENS1_38merge_sort_block_merge_config_selectorIlNS0_10empty_typeEEEZZNS1_27merge_sort_block_merge_implIS3_PlPS5_mZN2at6native12_GLOBAL__N_124unique_dim_cuda_templateIdEESt5tupleIJNSA_6TensorESF_SF_EERKSF_lbbbEUlllE_EE10hipError_tT0_T1_T2_jT3_P12ihipStream_tbPNSt15iterator_traitsISL_E10value_typeEPNSR_ISM_E10value_typeEPSN_NS1_7vsmem_tEENKUlT_SL_SM_SN_E_clIS8_S8_S9_S9_EESK_S10_SL_SM_SN_EUlS10_E_NS1_11comp_targetILNS1_3genE2ELNS1_11target_archE906ELNS1_3gpuE6ELNS1_3repE0EEENS1_48merge_mergepath_partition_config_static_selectorELNS0_4arch9wavefront6targetE1EEEvSM_.num_vgpr, 0
	.set _ZN7rocprim17ROCPRIM_400000_NS6detail17trampoline_kernelINS0_14default_configENS1_38merge_sort_block_merge_config_selectorIlNS0_10empty_typeEEEZZNS1_27merge_sort_block_merge_implIS3_PlPS5_mZN2at6native12_GLOBAL__N_124unique_dim_cuda_templateIdEESt5tupleIJNSA_6TensorESF_SF_EERKSF_lbbbEUlllE_EE10hipError_tT0_T1_T2_jT3_P12ihipStream_tbPNSt15iterator_traitsISL_E10value_typeEPNSR_ISM_E10value_typeEPSN_NS1_7vsmem_tEENKUlT_SL_SM_SN_E_clIS8_S8_S9_S9_EESK_S10_SL_SM_SN_EUlS10_E_NS1_11comp_targetILNS1_3genE2ELNS1_11target_archE906ELNS1_3gpuE6ELNS1_3repE0EEENS1_48merge_mergepath_partition_config_static_selectorELNS0_4arch9wavefront6targetE1EEEvSM_.num_agpr, 0
	.set _ZN7rocprim17ROCPRIM_400000_NS6detail17trampoline_kernelINS0_14default_configENS1_38merge_sort_block_merge_config_selectorIlNS0_10empty_typeEEEZZNS1_27merge_sort_block_merge_implIS3_PlPS5_mZN2at6native12_GLOBAL__N_124unique_dim_cuda_templateIdEESt5tupleIJNSA_6TensorESF_SF_EERKSF_lbbbEUlllE_EE10hipError_tT0_T1_T2_jT3_P12ihipStream_tbPNSt15iterator_traitsISL_E10value_typeEPNSR_ISM_E10value_typeEPSN_NS1_7vsmem_tEENKUlT_SL_SM_SN_E_clIS8_S8_S9_S9_EESK_S10_SL_SM_SN_EUlS10_E_NS1_11comp_targetILNS1_3genE2ELNS1_11target_archE906ELNS1_3gpuE6ELNS1_3repE0EEENS1_48merge_mergepath_partition_config_static_selectorELNS0_4arch9wavefront6targetE1EEEvSM_.numbered_sgpr, 0
	.set _ZN7rocprim17ROCPRIM_400000_NS6detail17trampoline_kernelINS0_14default_configENS1_38merge_sort_block_merge_config_selectorIlNS0_10empty_typeEEEZZNS1_27merge_sort_block_merge_implIS3_PlPS5_mZN2at6native12_GLOBAL__N_124unique_dim_cuda_templateIdEESt5tupleIJNSA_6TensorESF_SF_EERKSF_lbbbEUlllE_EE10hipError_tT0_T1_T2_jT3_P12ihipStream_tbPNSt15iterator_traitsISL_E10value_typeEPNSR_ISM_E10value_typeEPSN_NS1_7vsmem_tEENKUlT_SL_SM_SN_E_clIS8_S8_S9_S9_EESK_S10_SL_SM_SN_EUlS10_E_NS1_11comp_targetILNS1_3genE2ELNS1_11target_archE906ELNS1_3gpuE6ELNS1_3repE0EEENS1_48merge_mergepath_partition_config_static_selectorELNS0_4arch9wavefront6targetE1EEEvSM_.num_named_barrier, 0
	.set _ZN7rocprim17ROCPRIM_400000_NS6detail17trampoline_kernelINS0_14default_configENS1_38merge_sort_block_merge_config_selectorIlNS0_10empty_typeEEEZZNS1_27merge_sort_block_merge_implIS3_PlPS5_mZN2at6native12_GLOBAL__N_124unique_dim_cuda_templateIdEESt5tupleIJNSA_6TensorESF_SF_EERKSF_lbbbEUlllE_EE10hipError_tT0_T1_T2_jT3_P12ihipStream_tbPNSt15iterator_traitsISL_E10value_typeEPNSR_ISM_E10value_typeEPSN_NS1_7vsmem_tEENKUlT_SL_SM_SN_E_clIS8_S8_S9_S9_EESK_S10_SL_SM_SN_EUlS10_E_NS1_11comp_targetILNS1_3genE2ELNS1_11target_archE906ELNS1_3gpuE6ELNS1_3repE0EEENS1_48merge_mergepath_partition_config_static_selectorELNS0_4arch9wavefront6targetE1EEEvSM_.private_seg_size, 0
	.set _ZN7rocprim17ROCPRIM_400000_NS6detail17trampoline_kernelINS0_14default_configENS1_38merge_sort_block_merge_config_selectorIlNS0_10empty_typeEEEZZNS1_27merge_sort_block_merge_implIS3_PlPS5_mZN2at6native12_GLOBAL__N_124unique_dim_cuda_templateIdEESt5tupleIJNSA_6TensorESF_SF_EERKSF_lbbbEUlllE_EE10hipError_tT0_T1_T2_jT3_P12ihipStream_tbPNSt15iterator_traitsISL_E10value_typeEPNSR_ISM_E10value_typeEPSN_NS1_7vsmem_tEENKUlT_SL_SM_SN_E_clIS8_S8_S9_S9_EESK_S10_SL_SM_SN_EUlS10_E_NS1_11comp_targetILNS1_3genE2ELNS1_11target_archE906ELNS1_3gpuE6ELNS1_3repE0EEENS1_48merge_mergepath_partition_config_static_selectorELNS0_4arch9wavefront6targetE1EEEvSM_.uses_vcc, 0
	.set _ZN7rocprim17ROCPRIM_400000_NS6detail17trampoline_kernelINS0_14default_configENS1_38merge_sort_block_merge_config_selectorIlNS0_10empty_typeEEEZZNS1_27merge_sort_block_merge_implIS3_PlPS5_mZN2at6native12_GLOBAL__N_124unique_dim_cuda_templateIdEESt5tupleIJNSA_6TensorESF_SF_EERKSF_lbbbEUlllE_EE10hipError_tT0_T1_T2_jT3_P12ihipStream_tbPNSt15iterator_traitsISL_E10value_typeEPNSR_ISM_E10value_typeEPSN_NS1_7vsmem_tEENKUlT_SL_SM_SN_E_clIS8_S8_S9_S9_EESK_S10_SL_SM_SN_EUlS10_E_NS1_11comp_targetILNS1_3genE2ELNS1_11target_archE906ELNS1_3gpuE6ELNS1_3repE0EEENS1_48merge_mergepath_partition_config_static_selectorELNS0_4arch9wavefront6targetE1EEEvSM_.uses_flat_scratch, 0
	.set _ZN7rocprim17ROCPRIM_400000_NS6detail17trampoline_kernelINS0_14default_configENS1_38merge_sort_block_merge_config_selectorIlNS0_10empty_typeEEEZZNS1_27merge_sort_block_merge_implIS3_PlPS5_mZN2at6native12_GLOBAL__N_124unique_dim_cuda_templateIdEESt5tupleIJNSA_6TensorESF_SF_EERKSF_lbbbEUlllE_EE10hipError_tT0_T1_T2_jT3_P12ihipStream_tbPNSt15iterator_traitsISL_E10value_typeEPNSR_ISM_E10value_typeEPSN_NS1_7vsmem_tEENKUlT_SL_SM_SN_E_clIS8_S8_S9_S9_EESK_S10_SL_SM_SN_EUlS10_E_NS1_11comp_targetILNS1_3genE2ELNS1_11target_archE906ELNS1_3gpuE6ELNS1_3repE0EEENS1_48merge_mergepath_partition_config_static_selectorELNS0_4arch9wavefront6targetE1EEEvSM_.has_dyn_sized_stack, 0
	.set _ZN7rocprim17ROCPRIM_400000_NS6detail17trampoline_kernelINS0_14default_configENS1_38merge_sort_block_merge_config_selectorIlNS0_10empty_typeEEEZZNS1_27merge_sort_block_merge_implIS3_PlPS5_mZN2at6native12_GLOBAL__N_124unique_dim_cuda_templateIdEESt5tupleIJNSA_6TensorESF_SF_EERKSF_lbbbEUlllE_EE10hipError_tT0_T1_T2_jT3_P12ihipStream_tbPNSt15iterator_traitsISL_E10value_typeEPNSR_ISM_E10value_typeEPSN_NS1_7vsmem_tEENKUlT_SL_SM_SN_E_clIS8_S8_S9_S9_EESK_S10_SL_SM_SN_EUlS10_E_NS1_11comp_targetILNS1_3genE2ELNS1_11target_archE906ELNS1_3gpuE6ELNS1_3repE0EEENS1_48merge_mergepath_partition_config_static_selectorELNS0_4arch9wavefront6targetE1EEEvSM_.has_recursion, 0
	.set _ZN7rocprim17ROCPRIM_400000_NS6detail17trampoline_kernelINS0_14default_configENS1_38merge_sort_block_merge_config_selectorIlNS0_10empty_typeEEEZZNS1_27merge_sort_block_merge_implIS3_PlPS5_mZN2at6native12_GLOBAL__N_124unique_dim_cuda_templateIdEESt5tupleIJNSA_6TensorESF_SF_EERKSF_lbbbEUlllE_EE10hipError_tT0_T1_T2_jT3_P12ihipStream_tbPNSt15iterator_traitsISL_E10value_typeEPNSR_ISM_E10value_typeEPSN_NS1_7vsmem_tEENKUlT_SL_SM_SN_E_clIS8_S8_S9_S9_EESK_S10_SL_SM_SN_EUlS10_E_NS1_11comp_targetILNS1_3genE2ELNS1_11target_archE906ELNS1_3gpuE6ELNS1_3repE0EEENS1_48merge_mergepath_partition_config_static_selectorELNS0_4arch9wavefront6targetE1EEEvSM_.has_indirect_call, 0
	.section	.AMDGPU.csdata,"",@progbits
; Kernel info:
; codeLenInByte = 0
; TotalNumSgprs: 6
; NumVgprs: 0
; NumAgprs: 0
; TotalNumVgprs: 0
; ScratchSize: 0
; MemoryBound: 0
; FloatMode: 240
; IeeeMode: 1
; LDSByteSize: 0 bytes/workgroup (compile time only)
; SGPRBlocks: 0
; VGPRBlocks: 0
; NumSGPRsForWavesPerEU: 6
; NumVGPRsForWavesPerEU: 1
; AccumOffset: 4
; Occupancy: 8
; WaveLimiterHint : 0
; COMPUTE_PGM_RSRC2:SCRATCH_EN: 0
; COMPUTE_PGM_RSRC2:USER_SGPR: 2
; COMPUTE_PGM_RSRC2:TRAP_HANDLER: 0
; COMPUTE_PGM_RSRC2:TGID_X_EN: 1
; COMPUTE_PGM_RSRC2:TGID_Y_EN: 0
; COMPUTE_PGM_RSRC2:TGID_Z_EN: 0
; COMPUTE_PGM_RSRC2:TIDIG_COMP_CNT: 0
; COMPUTE_PGM_RSRC3_GFX90A:ACCUM_OFFSET: 0
; COMPUTE_PGM_RSRC3_GFX90A:TG_SPLIT: 0
	.section	.text._ZN7rocprim17ROCPRIM_400000_NS6detail17trampoline_kernelINS0_14default_configENS1_38merge_sort_block_merge_config_selectorIlNS0_10empty_typeEEEZZNS1_27merge_sort_block_merge_implIS3_PlPS5_mZN2at6native12_GLOBAL__N_124unique_dim_cuda_templateIdEESt5tupleIJNSA_6TensorESF_SF_EERKSF_lbbbEUlllE_EE10hipError_tT0_T1_T2_jT3_P12ihipStream_tbPNSt15iterator_traitsISL_E10value_typeEPNSR_ISM_E10value_typeEPSN_NS1_7vsmem_tEENKUlT_SL_SM_SN_E_clIS8_S8_S9_S9_EESK_S10_SL_SM_SN_EUlS10_E_NS1_11comp_targetILNS1_3genE9ELNS1_11target_archE1100ELNS1_3gpuE3ELNS1_3repE0EEENS1_48merge_mergepath_partition_config_static_selectorELNS0_4arch9wavefront6targetE1EEEvSM_,"axG",@progbits,_ZN7rocprim17ROCPRIM_400000_NS6detail17trampoline_kernelINS0_14default_configENS1_38merge_sort_block_merge_config_selectorIlNS0_10empty_typeEEEZZNS1_27merge_sort_block_merge_implIS3_PlPS5_mZN2at6native12_GLOBAL__N_124unique_dim_cuda_templateIdEESt5tupleIJNSA_6TensorESF_SF_EERKSF_lbbbEUlllE_EE10hipError_tT0_T1_T2_jT3_P12ihipStream_tbPNSt15iterator_traitsISL_E10value_typeEPNSR_ISM_E10value_typeEPSN_NS1_7vsmem_tEENKUlT_SL_SM_SN_E_clIS8_S8_S9_S9_EESK_S10_SL_SM_SN_EUlS10_E_NS1_11comp_targetILNS1_3genE9ELNS1_11target_archE1100ELNS1_3gpuE3ELNS1_3repE0EEENS1_48merge_mergepath_partition_config_static_selectorELNS0_4arch9wavefront6targetE1EEEvSM_,comdat
	.globl	_ZN7rocprim17ROCPRIM_400000_NS6detail17trampoline_kernelINS0_14default_configENS1_38merge_sort_block_merge_config_selectorIlNS0_10empty_typeEEEZZNS1_27merge_sort_block_merge_implIS3_PlPS5_mZN2at6native12_GLOBAL__N_124unique_dim_cuda_templateIdEESt5tupleIJNSA_6TensorESF_SF_EERKSF_lbbbEUlllE_EE10hipError_tT0_T1_T2_jT3_P12ihipStream_tbPNSt15iterator_traitsISL_E10value_typeEPNSR_ISM_E10value_typeEPSN_NS1_7vsmem_tEENKUlT_SL_SM_SN_E_clIS8_S8_S9_S9_EESK_S10_SL_SM_SN_EUlS10_E_NS1_11comp_targetILNS1_3genE9ELNS1_11target_archE1100ELNS1_3gpuE3ELNS1_3repE0EEENS1_48merge_mergepath_partition_config_static_selectorELNS0_4arch9wavefront6targetE1EEEvSM_ ; -- Begin function _ZN7rocprim17ROCPRIM_400000_NS6detail17trampoline_kernelINS0_14default_configENS1_38merge_sort_block_merge_config_selectorIlNS0_10empty_typeEEEZZNS1_27merge_sort_block_merge_implIS3_PlPS5_mZN2at6native12_GLOBAL__N_124unique_dim_cuda_templateIdEESt5tupleIJNSA_6TensorESF_SF_EERKSF_lbbbEUlllE_EE10hipError_tT0_T1_T2_jT3_P12ihipStream_tbPNSt15iterator_traitsISL_E10value_typeEPNSR_ISM_E10value_typeEPSN_NS1_7vsmem_tEENKUlT_SL_SM_SN_E_clIS8_S8_S9_S9_EESK_S10_SL_SM_SN_EUlS10_E_NS1_11comp_targetILNS1_3genE9ELNS1_11target_archE1100ELNS1_3gpuE3ELNS1_3repE0EEENS1_48merge_mergepath_partition_config_static_selectorELNS0_4arch9wavefront6targetE1EEEvSM_
	.p2align	8
	.type	_ZN7rocprim17ROCPRIM_400000_NS6detail17trampoline_kernelINS0_14default_configENS1_38merge_sort_block_merge_config_selectorIlNS0_10empty_typeEEEZZNS1_27merge_sort_block_merge_implIS3_PlPS5_mZN2at6native12_GLOBAL__N_124unique_dim_cuda_templateIdEESt5tupleIJNSA_6TensorESF_SF_EERKSF_lbbbEUlllE_EE10hipError_tT0_T1_T2_jT3_P12ihipStream_tbPNSt15iterator_traitsISL_E10value_typeEPNSR_ISM_E10value_typeEPSN_NS1_7vsmem_tEENKUlT_SL_SM_SN_E_clIS8_S8_S9_S9_EESK_S10_SL_SM_SN_EUlS10_E_NS1_11comp_targetILNS1_3genE9ELNS1_11target_archE1100ELNS1_3gpuE3ELNS1_3repE0EEENS1_48merge_mergepath_partition_config_static_selectorELNS0_4arch9wavefront6targetE1EEEvSM_,@function
_ZN7rocprim17ROCPRIM_400000_NS6detail17trampoline_kernelINS0_14default_configENS1_38merge_sort_block_merge_config_selectorIlNS0_10empty_typeEEEZZNS1_27merge_sort_block_merge_implIS3_PlPS5_mZN2at6native12_GLOBAL__N_124unique_dim_cuda_templateIdEESt5tupleIJNSA_6TensorESF_SF_EERKSF_lbbbEUlllE_EE10hipError_tT0_T1_T2_jT3_P12ihipStream_tbPNSt15iterator_traitsISL_E10value_typeEPNSR_ISM_E10value_typeEPSN_NS1_7vsmem_tEENKUlT_SL_SM_SN_E_clIS8_S8_S9_S9_EESK_S10_SL_SM_SN_EUlS10_E_NS1_11comp_targetILNS1_3genE9ELNS1_11target_archE1100ELNS1_3gpuE3ELNS1_3repE0EEENS1_48merge_mergepath_partition_config_static_selectorELNS0_4arch9wavefront6targetE1EEEvSM_: ; @_ZN7rocprim17ROCPRIM_400000_NS6detail17trampoline_kernelINS0_14default_configENS1_38merge_sort_block_merge_config_selectorIlNS0_10empty_typeEEEZZNS1_27merge_sort_block_merge_implIS3_PlPS5_mZN2at6native12_GLOBAL__N_124unique_dim_cuda_templateIdEESt5tupleIJNSA_6TensorESF_SF_EERKSF_lbbbEUlllE_EE10hipError_tT0_T1_T2_jT3_P12ihipStream_tbPNSt15iterator_traitsISL_E10value_typeEPNSR_ISM_E10value_typeEPSN_NS1_7vsmem_tEENKUlT_SL_SM_SN_E_clIS8_S8_S9_S9_EESK_S10_SL_SM_SN_EUlS10_E_NS1_11comp_targetILNS1_3genE9ELNS1_11target_archE1100ELNS1_3gpuE3ELNS1_3repE0EEENS1_48merge_mergepath_partition_config_static_selectorELNS0_4arch9wavefront6targetE1EEEvSM_
; %bb.0:
	.section	.rodata,"a",@progbits
	.p2align	6, 0x0
	.amdhsa_kernel _ZN7rocprim17ROCPRIM_400000_NS6detail17trampoline_kernelINS0_14default_configENS1_38merge_sort_block_merge_config_selectorIlNS0_10empty_typeEEEZZNS1_27merge_sort_block_merge_implIS3_PlPS5_mZN2at6native12_GLOBAL__N_124unique_dim_cuda_templateIdEESt5tupleIJNSA_6TensorESF_SF_EERKSF_lbbbEUlllE_EE10hipError_tT0_T1_T2_jT3_P12ihipStream_tbPNSt15iterator_traitsISL_E10value_typeEPNSR_ISM_E10value_typeEPSN_NS1_7vsmem_tEENKUlT_SL_SM_SN_E_clIS8_S8_S9_S9_EESK_S10_SL_SM_SN_EUlS10_E_NS1_11comp_targetILNS1_3genE9ELNS1_11target_archE1100ELNS1_3gpuE3ELNS1_3repE0EEENS1_48merge_mergepath_partition_config_static_selectorELNS0_4arch9wavefront6targetE1EEEvSM_
		.amdhsa_group_segment_fixed_size 0
		.amdhsa_private_segment_fixed_size 0
		.amdhsa_kernarg_size 56
		.amdhsa_user_sgpr_count 2
		.amdhsa_user_sgpr_dispatch_ptr 0
		.amdhsa_user_sgpr_queue_ptr 0
		.amdhsa_user_sgpr_kernarg_segment_ptr 1
		.amdhsa_user_sgpr_dispatch_id 0
		.amdhsa_user_sgpr_kernarg_preload_length 0
		.amdhsa_user_sgpr_kernarg_preload_offset 0
		.amdhsa_user_sgpr_private_segment_size 0
		.amdhsa_uses_dynamic_stack 0
		.amdhsa_enable_private_segment 0
		.amdhsa_system_sgpr_workgroup_id_x 1
		.amdhsa_system_sgpr_workgroup_id_y 0
		.amdhsa_system_sgpr_workgroup_id_z 0
		.amdhsa_system_sgpr_workgroup_info 0
		.amdhsa_system_vgpr_workitem_id 0
		.amdhsa_next_free_vgpr 1
		.amdhsa_next_free_sgpr 0
		.amdhsa_accum_offset 4
		.amdhsa_reserve_vcc 0
		.amdhsa_float_round_mode_32 0
		.amdhsa_float_round_mode_16_64 0
		.amdhsa_float_denorm_mode_32 3
		.amdhsa_float_denorm_mode_16_64 3
		.amdhsa_dx10_clamp 1
		.amdhsa_ieee_mode 1
		.amdhsa_fp16_overflow 0
		.amdhsa_tg_split 0
		.amdhsa_exception_fp_ieee_invalid_op 0
		.amdhsa_exception_fp_denorm_src 0
		.amdhsa_exception_fp_ieee_div_zero 0
		.amdhsa_exception_fp_ieee_overflow 0
		.amdhsa_exception_fp_ieee_underflow 0
		.amdhsa_exception_fp_ieee_inexact 0
		.amdhsa_exception_int_div_zero 0
	.end_amdhsa_kernel
	.section	.text._ZN7rocprim17ROCPRIM_400000_NS6detail17trampoline_kernelINS0_14default_configENS1_38merge_sort_block_merge_config_selectorIlNS0_10empty_typeEEEZZNS1_27merge_sort_block_merge_implIS3_PlPS5_mZN2at6native12_GLOBAL__N_124unique_dim_cuda_templateIdEESt5tupleIJNSA_6TensorESF_SF_EERKSF_lbbbEUlllE_EE10hipError_tT0_T1_T2_jT3_P12ihipStream_tbPNSt15iterator_traitsISL_E10value_typeEPNSR_ISM_E10value_typeEPSN_NS1_7vsmem_tEENKUlT_SL_SM_SN_E_clIS8_S8_S9_S9_EESK_S10_SL_SM_SN_EUlS10_E_NS1_11comp_targetILNS1_3genE9ELNS1_11target_archE1100ELNS1_3gpuE3ELNS1_3repE0EEENS1_48merge_mergepath_partition_config_static_selectorELNS0_4arch9wavefront6targetE1EEEvSM_,"axG",@progbits,_ZN7rocprim17ROCPRIM_400000_NS6detail17trampoline_kernelINS0_14default_configENS1_38merge_sort_block_merge_config_selectorIlNS0_10empty_typeEEEZZNS1_27merge_sort_block_merge_implIS3_PlPS5_mZN2at6native12_GLOBAL__N_124unique_dim_cuda_templateIdEESt5tupleIJNSA_6TensorESF_SF_EERKSF_lbbbEUlllE_EE10hipError_tT0_T1_T2_jT3_P12ihipStream_tbPNSt15iterator_traitsISL_E10value_typeEPNSR_ISM_E10value_typeEPSN_NS1_7vsmem_tEENKUlT_SL_SM_SN_E_clIS8_S8_S9_S9_EESK_S10_SL_SM_SN_EUlS10_E_NS1_11comp_targetILNS1_3genE9ELNS1_11target_archE1100ELNS1_3gpuE3ELNS1_3repE0EEENS1_48merge_mergepath_partition_config_static_selectorELNS0_4arch9wavefront6targetE1EEEvSM_,comdat
.Lfunc_end764:
	.size	_ZN7rocprim17ROCPRIM_400000_NS6detail17trampoline_kernelINS0_14default_configENS1_38merge_sort_block_merge_config_selectorIlNS0_10empty_typeEEEZZNS1_27merge_sort_block_merge_implIS3_PlPS5_mZN2at6native12_GLOBAL__N_124unique_dim_cuda_templateIdEESt5tupleIJNSA_6TensorESF_SF_EERKSF_lbbbEUlllE_EE10hipError_tT0_T1_T2_jT3_P12ihipStream_tbPNSt15iterator_traitsISL_E10value_typeEPNSR_ISM_E10value_typeEPSN_NS1_7vsmem_tEENKUlT_SL_SM_SN_E_clIS8_S8_S9_S9_EESK_S10_SL_SM_SN_EUlS10_E_NS1_11comp_targetILNS1_3genE9ELNS1_11target_archE1100ELNS1_3gpuE3ELNS1_3repE0EEENS1_48merge_mergepath_partition_config_static_selectorELNS0_4arch9wavefront6targetE1EEEvSM_, .Lfunc_end764-_ZN7rocprim17ROCPRIM_400000_NS6detail17trampoline_kernelINS0_14default_configENS1_38merge_sort_block_merge_config_selectorIlNS0_10empty_typeEEEZZNS1_27merge_sort_block_merge_implIS3_PlPS5_mZN2at6native12_GLOBAL__N_124unique_dim_cuda_templateIdEESt5tupleIJNSA_6TensorESF_SF_EERKSF_lbbbEUlllE_EE10hipError_tT0_T1_T2_jT3_P12ihipStream_tbPNSt15iterator_traitsISL_E10value_typeEPNSR_ISM_E10value_typeEPSN_NS1_7vsmem_tEENKUlT_SL_SM_SN_E_clIS8_S8_S9_S9_EESK_S10_SL_SM_SN_EUlS10_E_NS1_11comp_targetILNS1_3genE9ELNS1_11target_archE1100ELNS1_3gpuE3ELNS1_3repE0EEENS1_48merge_mergepath_partition_config_static_selectorELNS0_4arch9wavefront6targetE1EEEvSM_
                                        ; -- End function
	.set _ZN7rocprim17ROCPRIM_400000_NS6detail17trampoline_kernelINS0_14default_configENS1_38merge_sort_block_merge_config_selectorIlNS0_10empty_typeEEEZZNS1_27merge_sort_block_merge_implIS3_PlPS5_mZN2at6native12_GLOBAL__N_124unique_dim_cuda_templateIdEESt5tupleIJNSA_6TensorESF_SF_EERKSF_lbbbEUlllE_EE10hipError_tT0_T1_T2_jT3_P12ihipStream_tbPNSt15iterator_traitsISL_E10value_typeEPNSR_ISM_E10value_typeEPSN_NS1_7vsmem_tEENKUlT_SL_SM_SN_E_clIS8_S8_S9_S9_EESK_S10_SL_SM_SN_EUlS10_E_NS1_11comp_targetILNS1_3genE9ELNS1_11target_archE1100ELNS1_3gpuE3ELNS1_3repE0EEENS1_48merge_mergepath_partition_config_static_selectorELNS0_4arch9wavefront6targetE1EEEvSM_.num_vgpr, 0
	.set _ZN7rocprim17ROCPRIM_400000_NS6detail17trampoline_kernelINS0_14default_configENS1_38merge_sort_block_merge_config_selectorIlNS0_10empty_typeEEEZZNS1_27merge_sort_block_merge_implIS3_PlPS5_mZN2at6native12_GLOBAL__N_124unique_dim_cuda_templateIdEESt5tupleIJNSA_6TensorESF_SF_EERKSF_lbbbEUlllE_EE10hipError_tT0_T1_T2_jT3_P12ihipStream_tbPNSt15iterator_traitsISL_E10value_typeEPNSR_ISM_E10value_typeEPSN_NS1_7vsmem_tEENKUlT_SL_SM_SN_E_clIS8_S8_S9_S9_EESK_S10_SL_SM_SN_EUlS10_E_NS1_11comp_targetILNS1_3genE9ELNS1_11target_archE1100ELNS1_3gpuE3ELNS1_3repE0EEENS1_48merge_mergepath_partition_config_static_selectorELNS0_4arch9wavefront6targetE1EEEvSM_.num_agpr, 0
	.set _ZN7rocprim17ROCPRIM_400000_NS6detail17trampoline_kernelINS0_14default_configENS1_38merge_sort_block_merge_config_selectorIlNS0_10empty_typeEEEZZNS1_27merge_sort_block_merge_implIS3_PlPS5_mZN2at6native12_GLOBAL__N_124unique_dim_cuda_templateIdEESt5tupleIJNSA_6TensorESF_SF_EERKSF_lbbbEUlllE_EE10hipError_tT0_T1_T2_jT3_P12ihipStream_tbPNSt15iterator_traitsISL_E10value_typeEPNSR_ISM_E10value_typeEPSN_NS1_7vsmem_tEENKUlT_SL_SM_SN_E_clIS8_S8_S9_S9_EESK_S10_SL_SM_SN_EUlS10_E_NS1_11comp_targetILNS1_3genE9ELNS1_11target_archE1100ELNS1_3gpuE3ELNS1_3repE0EEENS1_48merge_mergepath_partition_config_static_selectorELNS0_4arch9wavefront6targetE1EEEvSM_.numbered_sgpr, 0
	.set _ZN7rocprim17ROCPRIM_400000_NS6detail17trampoline_kernelINS0_14default_configENS1_38merge_sort_block_merge_config_selectorIlNS0_10empty_typeEEEZZNS1_27merge_sort_block_merge_implIS3_PlPS5_mZN2at6native12_GLOBAL__N_124unique_dim_cuda_templateIdEESt5tupleIJNSA_6TensorESF_SF_EERKSF_lbbbEUlllE_EE10hipError_tT0_T1_T2_jT3_P12ihipStream_tbPNSt15iterator_traitsISL_E10value_typeEPNSR_ISM_E10value_typeEPSN_NS1_7vsmem_tEENKUlT_SL_SM_SN_E_clIS8_S8_S9_S9_EESK_S10_SL_SM_SN_EUlS10_E_NS1_11comp_targetILNS1_3genE9ELNS1_11target_archE1100ELNS1_3gpuE3ELNS1_3repE0EEENS1_48merge_mergepath_partition_config_static_selectorELNS0_4arch9wavefront6targetE1EEEvSM_.num_named_barrier, 0
	.set _ZN7rocprim17ROCPRIM_400000_NS6detail17trampoline_kernelINS0_14default_configENS1_38merge_sort_block_merge_config_selectorIlNS0_10empty_typeEEEZZNS1_27merge_sort_block_merge_implIS3_PlPS5_mZN2at6native12_GLOBAL__N_124unique_dim_cuda_templateIdEESt5tupleIJNSA_6TensorESF_SF_EERKSF_lbbbEUlllE_EE10hipError_tT0_T1_T2_jT3_P12ihipStream_tbPNSt15iterator_traitsISL_E10value_typeEPNSR_ISM_E10value_typeEPSN_NS1_7vsmem_tEENKUlT_SL_SM_SN_E_clIS8_S8_S9_S9_EESK_S10_SL_SM_SN_EUlS10_E_NS1_11comp_targetILNS1_3genE9ELNS1_11target_archE1100ELNS1_3gpuE3ELNS1_3repE0EEENS1_48merge_mergepath_partition_config_static_selectorELNS0_4arch9wavefront6targetE1EEEvSM_.private_seg_size, 0
	.set _ZN7rocprim17ROCPRIM_400000_NS6detail17trampoline_kernelINS0_14default_configENS1_38merge_sort_block_merge_config_selectorIlNS0_10empty_typeEEEZZNS1_27merge_sort_block_merge_implIS3_PlPS5_mZN2at6native12_GLOBAL__N_124unique_dim_cuda_templateIdEESt5tupleIJNSA_6TensorESF_SF_EERKSF_lbbbEUlllE_EE10hipError_tT0_T1_T2_jT3_P12ihipStream_tbPNSt15iterator_traitsISL_E10value_typeEPNSR_ISM_E10value_typeEPSN_NS1_7vsmem_tEENKUlT_SL_SM_SN_E_clIS8_S8_S9_S9_EESK_S10_SL_SM_SN_EUlS10_E_NS1_11comp_targetILNS1_3genE9ELNS1_11target_archE1100ELNS1_3gpuE3ELNS1_3repE0EEENS1_48merge_mergepath_partition_config_static_selectorELNS0_4arch9wavefront6targetE1EEEvSM_.uses_vcc, 0
	.set _ZN7rocprim17ROCPRIM_400000_NS6detail17trampoline_kernelINS0_14default_configENS1_38merge_sort_block_merge_config_selectorIlNS0_10empty_typeEEEZZNS1_27merge_sort_block_merge_implIS3_PlPS5_mZN2at6native12_GLOBAL__N_124unique_dim_cuda_templateIdEESt5tupleIJNSA_6TensorESF_SF_EERKSF_lbbbEUlllE_EE10hipError_tT0_T1_T2_jT3_P12ihipStream_tbPNSt15iterator_traitsISL_E10value_typeEPNSR_ISM_E10value_typeEPSN_NS1_7vsmem_tEENKUlT_SL_SM_SN_E_clIS8_S8_S9_S9_EESK_S10_SL_SM_SN_EUlS10_E_NS1_11comp_targetILNS1_3genE9ELNS1_11target_archE1100ELNS1_3gpuE3ELNS1_3repE0EEENS1_48merge_mergepath_partition_config_static_selectorELNS0_4arch9wavefront6targetE1EEEvSM_.uses_flat_scratch, 0
	.set _ZN7rocprim17ROCPRIM_400000_NS6detail17trampoline_kernelINS0_14default_configENS1_38merge_sort_block_merge_config_selectorIlNS0_10empty_typeEEEZZNS1_27merge_sort_block_merge_implIS3_PlPS5_mZN2at6native12_GLOBAL__N_124unique_dim_cuda_templateIdEESt5tupleIJNSA_6TensorESF_SF_EERKSF_lbbbEUlllE_EE10hipError_tT0_T1_T2_jT3_P12ihipStream_tbPNSt15iterator_traitsISL_E10value_typeEPNSR_ISM_E10value_typeEPSN_NS1_7vsmem_tEENKUlT_SL_SM_SN_E_clIS8_S8_S9_S9_EESK_S10_SL_SM_SN_EUlS10_E_NS1_11comp_targetILNS1_3genE9ELNS1_11target_archE1100ELNS1_3gpuE3ELNS1_3repE0EEENS1_48merge_mergepath_partition_config_static_selectorELNS0_4arch9wavefront6targetE1EEEvSM_.has_dyn_sized_stack, 0
	.set _ZN7rocprim17ROCPRIM_400000_NS6detail17trampoline_kernelINS0_14default_configENS1_38merge_sort_block_merge_config_selectorIlNS0_10empty_typeEEEZZNS1_27merge_sort_block_merge_implIS3_PlPS5_mZN2at6native12_GLOBAL__N_124unique_dim_cuda_templateIdEESt5tupleIJNSA_6TensorESF_SF_EERKSF_lbbbEUlllE_EE10hipError_tT0_T1_T2_jT3_P12ihipStream_tbPNSt15iterator_traitsISL_E10value_typeEPNSR_ISM_E10value_typeEPSN_NS1_7vsmem_tEENKUlT_SL_SM_SN_E_clIS8_S8_S9_S9_EESK_S10_SL_SM_SN_EUlS10_E_NS1_11comp_targetILNS1_3genE9ELNS1_11target_archE1100ELNS1_3gpuE3ELNS1_3repE0EEENS1_48merge_mergepath_partition_config_static_selectorELNS0_4arch9wavefront6targetE1EEEvSM_.has_recursion, 0
	.set _ZN7rocprim17ROCPRIM_400000_NS6detail17trampoline_kernelINS0_14default_configENS1_38merge_sort_block_merge_config_selectorIlNS0_10empty_typeEEEZZNS1_27merge_sort_block_merge_implIS3_PlPS5_mZN2at6native12_GLOBAL__N_124unique_dim_cuda_templateIdEESt5tupleIJNSA_6TensorESF_SF_EERKSF_lbbbEUlllE_EE10hipError_tT0_T1_T2_jT3_P12ihipStream_tbPNSt15iterator_traitsISL_E10value_typeEPNSR_ISM_E10value_typeEPSN_NS1_7vsmem_tEENKUlT_SL_SM_SN_E_clIS8_S8_S9_S9_EESK_S10_SL_SM_SN_EUlS10_E_NS1_11comp_targetILNS1_3genE9ELNS1_11target_archE1100ELNS1_3gpuE3ELNS1_3repE0EEENS1_48merge_mergepath_partition_config_static_selectorELNS0_4arch9wavefront6targetE1EEEvSM_.has_indirect_call, 0
	.section	.AMDGPU.csdata,"",@progbits
; Kernel info:
; codeLenInByte = 0
; TotalNumSgprs: 6
; NumVgprs: 0
; NumAgprs: 0
; TotalNumVgprs: 0
; ScratchSize: 0
; MemoryBound: 0
; FloatMode: 240
; IeeeMode: 1
; LDSByteSize: 0 bytes/workgroup (compile time only)
; SGPRBlocks: 0
; VGPRBlocks: 0
; NumSGPRsForWavesPerEU: 6
; NumVGPRsForWavesPerEU: 1
; AccumOffset: 4
; Occupancy: 8
; WaveLimiterHint : 0
; COMPUTE_PGM_RSRC2:SCRATCH_EN: 0
; COMPUTE_PGM_RSRC2:USER_SGPR: 2
; COMPUTE_PGM_RSRC2:TRAP_HANDLER: 0
; COMPUTE_PGM_RSRC2:TGID_X_EN: 1
; COMPUTE_PGM_RSRC2:TGID_Y_EN: 0
; COMPUTE_PGM_RSRC2:TGID_Z_EN: 0
; COMPUTE_PGM_RSRC2:TIDIG_COMP_CNT: 0
; COMPUTE_PGM_RSRC3_GFX90A:ACCUM_OFFSET: 0
; COMPUTE_PGM_RSRC3_GFX90A:TG_SPLIT: 0
	.section	.text._ZN7rocprim17ROCPRIM_400000_NS6detail17trampoline_kernelINS0_14default_configENS1_38merge_sort_block_merge_config_selectorIlNS0_10empty_typeEEEZZNS1_27merge_sort_block_merge_implIS3_PlPS5_mZN2at6native12_GLOBAL__N_124unique_dim_cuda_templateIdEESt5tupleIJNSA_6TensorESF_SF_EERKSF_lbbbEUlllE_EE10hipError_tT0_T1_T2_jT3_P12ihipStream_tbPNSt15iterator_traitsISL_E10value_typeEPNSR_ISM_E10value_typeEPSN_NS1_7vsmem_tEENKUlT_SL_SM_SN_E_clIS8_S8_S9_S9_EESK_S10_SL_SM_SN_EUlS10_E_NS1_11comp_targetILNS1_3genE8ELNS1_11target_archE1030ELNS1_3gpuE2ELNS1_3repE0EEENS1_48merge_mergepath_partition_config_static_selectorELNS0_4arch9wavefront6targetE1EEEvSM_,"axG",@progbits,_ZN7rocprim17ROCPRIM_400000_NS6detail17trampoline_kernelINS0_14default_configENS1_38merge_sort_block_merge_config_selectorIlNS0_10empty_typeEEEZZNS1_27merge_sort_block_merge_implIS3_PlPS5_mZN2at6native12_GLOBAL__N_124unique_dim_cuda_templateIdEESt5tupleIJNSA_6TensorESF_SF_EERKSF_lbbbEUlllE_EE10hipError_tT0_T1_T2_jT3_P12ihipStream_tbPNSt15iterator_traitsISL_E10value_typeEPNSR_ISM_E10value_typeEPSN_NS1_7vsmem_tEENKUlT_SL_SM_SN_E_clIS8_S8_S9_S9_EESK_S10_SL_SM_SN_EUlS10_E_NS1_11comp_targetILNS1_3genE8ELNS1_11target_archE1030ELNS1_3gpuE2ELNS1_3repE0EEENS1_48merge_mergepath_partition_config_static_selectorELNS0_4arch9wavefront6targetE1EEEvSM_,comdat
	.globl	_ZN7rocprim17ROCPRIM_400000_NS6detail17trampoline_kernelINS0_14default_configENS1_38merge_sort_block_merge_config_selectorIlNS0_10empty_typeEEEZZNS1_27merge_sort_block_merge_implIS3_PlPS5_mZN2at6native12_GLOBAL__N_124unique_dim_cuda_templateIdEESt5tupleIJNSA_6TensorESF_SF_EERKSF_lbbbEUlllE_EE10hipError_tT0_T1_T2_jT3_P12ihipStream_tbPNSt15iterator_traitsISL_E10value_typeEPNSR_ISM_E10value_typeEPSN_NS1_7vsmem_tEENKUlT_SL_SM_SN_E_clIS8_S8_S9_S9_EESK_S10_SL_SM_SN_EUlS10_E_NS1_11comp_targetILNS1_3genE8ELNS1_11target_archE1030ELNS1_3gpuE2ELNS1_3repE0EEENS1_48merge_mergepath_partition_config_static_selectorELNS0_4arch9wavefront6targetE1EEEvSM_ ; -- Begin function _ZN7rocprim17ROCPRIM_400000_NS6detail17trampoline_kernelINS0_14default_configENS1_38merge_sort_block_merge_config_selectorIlNS0_10empty_typeEEEZZNS1_27merge_sort_block_merge_implIS3_PlPS5_mZN2at6native12_GLOBAL__N_124unique_dim_cuda_templateIdEESt5tupleIJNSA_6TensorESF_SF_EERKSF_lbbbEUlllE_EE10hipError_tT0_T1_T2_jT3_P12ihipStream_tbPNSt15iterator_traitsISL_E10value_typeEPNSR_ISM_E10value_typeEPSN_NS1_7vsmem_tEENKUlT_SL_SM_SN_E_clIS8_S8_S9_S9_EESK_S10_SL_SM_SN_EUlS10_E_NS1_11comp_targetILNS1_3genE8ELNS1_11target_archE1030ELNS1_3gpuE2ELNS1_3repE0EEENS1_48merge_mergepath_partition_config_static_selectorELNS0_4arch9wavefront6targetE1EEEvSM_
	.p2align	8
	.type	_ZN7rocprim17ROCPRIM_400000_NS6detail17trampoline_kernelINS0_14default_configENS1_38merge_sort_block_merge_config_selectorIlNS0_10empty_typeEEEZZNS1_27merge_sort_block_merge_implIS3_PlPS5_mZN2at6native12_GLOBAL__N_124unique_dim_cuda_templateIdEESt5tupleIJNSA_6TensorESF_SF_EERKSF_lbbbEUlllE_EE10hipError_tT0_T1_T2_jT3_P12ihipStream_tbPNSt15iterator_traitsISL_E10value_typeEPNSR_ISM_E10value_typeEPSN_NS1_7vsmem_tEENKUlT_SL_SM_SN_E_clIS8_S8_S9_S9_EESK_S10_SL_SM_SN_EUlS10_E_NS1_11comp_targetILNS1_3genE8ELNS1_11target_archE1030ELNS1_3gpuE2ELNS1_3repE0EEENS1_48merge_mergepath_partition_config_static_selectorELNS0_4arch9wavefront6targetE1EEEvSM_,@function
_ZN7rocprim17ROCPRIM_400000_NS6detail17trampoline_kernelINS0_14default_configENS1_38merge_sort_block_merge_config_selectorIlNS0_10empty_typeEEEZZNS1_27merge_sort_block_merge_implIS3_PlPS5_mZN2at6native12_GLOBAL__N_124unique_dim_cuda_templateIdEESt5tupleIJNSA_6TensorESF_SF_EERKSF_lbbbEUlllE_EE10hipError_tT0_T1_T2_jT3_P12ihipStream_tbPNSt15iterator_traitsISL_E10value_typeEPNSR_ISM_E10value_typeEPSN_NS1_7vsmem_tEENKUlT_SL_SM_SN_E_clIS8_S8_S9_S9_EESK_S10_SL_SM_SN_EUlS10_E_NS1_11comp_targetILNS1_3genE8ELNS1_11target_archE1030ELNS1_3gpuE2ELNS1_3repE0EEENS1_48merge_mergepath_partition_config_static_selectorELNS0_4arch9wavefront6targetE1EEEvSM_: ; @_ZN7rocprim17ROCPRIM_400000_NS6detail17trampoline_kernelINS0_14default_configENS1_38merge_sort_block_merge_config_selectorIlNS0_10empty_typeEEEZZNS1_27merge_sort_block_merge_implIS3_PlPS5_mZN2at6native12_GLOBAL__N_124unique_dim_cuda_templateIdEESt5tupleIJNSA_6TensorESF_SF_EERKSF_lbbbEUlllE_EE10hipError_tT0_T1_T2_jT3_P12ihipStream_tbPNSt15iterator_traitsISL_E10value_typeEPNSR_ISM_E10value_typeEPSN_NS1_7vsmem_tEENKUlT_SL_SM_SN_E_clIS8_S8_S9_S9_EESK_S10_SL_SM_SN_EUlS10_E_NS1_11comp_targetILNS1_3genE8ELNS1_11target_archE1030ELNS1_3gpuE2ELNS1_3repE0EEENS1_48merge_mergepath_partition_config_static_selectorELNS0_4arch9wavefront6targetE1EEEvSM_
; %bb.0:
	.section	.rodata,"a",@progbits
	.p2align	6, 0x0
	.amdhsa_kernel _ZN7rocprim17ROCPRIM_400000_NS6detail17trampoline_kernelINS0_14default_configENS1_38merge_sort_block_merge_config_selectorIlNS0_10empty_typeEEEZZNS1_27merge_sort_block_merge_implIS3_PlPS5_mZN2at6native12_GLOBAL__N_124unique_dim_cuda_templateIdEESt5tupleIJNSA_6TensorESF_SF_EERKSF_lbbbEUlllE_EE10hipError_tT0_T1_T2_jT3_P12ihipStream_tbPNSt15iterator_traitsISL_E10value_typeEPNSR_ISM_E10value_typeEPSN_NS1_7vsmem_tEENKUlT_SL_SM_SN_E_clIS8_S8_S9_S9_EESK_S10_SL_SM_SN_EUlS10_E_NS1_11comp_targetILNS1_3genE8ELNS1_11target_archE1030ELNS1_3gpuE2ELNS1_3repE0EEENS1_48merge_mergepath_partition_config_static_selectorELNS0_4arch9wavefront6targetE1EEEvSM_
		.amdhsa_group_segment_fixed_size 0
		.amdhsa_private_segment_fixed_size 0
		.amdhsa_kernarg_size 56
		.amdhsa_user_sgpr_count 2
		.amdhsa_user_sgpr_dispatch_ptr 0
		.amdhsa_user_sgpr_queue_ptr 0
		.amdhsa_user_sgpr_kernarg_segment_ptr 1
		.amdhsa_user_sgpr_dispatch_id 0
		.amdhsa_user_sgpr_kernarg_preload_length 0
		.amdhsa_user_sgpr_kernarg_preload_offset 0
		.amdhsa_user_sgpr_private_segment_size 0
		.amdhsa_uses_dynamic_stack 0
		.amdhsa_enable_private_segment 0
		.amdhsa_system_sgpr_workgroup_id_x 1
		.amdhsa_system_sgpr_workgroup_id_y 0
		.amdhsa_system_sgpr_workgroup_id_z 0
		.amdhsa_system_sgpr_workgroup_info 0
		.amdhsa_system_vgpr_workitem_id 0
		.amdhsa_next_free_vgpr 1
		.amdhsa_next_free_sgpr 0
		.amdhsa_accum_offset 4
		.amdhsa_reserve_vcc 0
		.amdhsa_float_round_mode_32 0
		.amdhsa_float_round_mode_16_64 0
		.amdhsa_float_denorm_mode_32 3
		.amdhsa_float_denorm_mode_16_64 3
		.amdhsa_dx10_clamp 1
		.amdhsa_ieee_mode 1
		.amdhsa_fp16_overflow 0
		.amdhsa_tg_split 0
		.amdhsa_exception_fp_ieee_invalid_op 0
		.amdhsa_exception_fp_denorm_src 0
		.amdhsa_exception_fp_ieee_div_zero 0
		.amdhsa_exception_fp_ieee_overflow 0
		.amdhsa_exception_fp_ieee_underflow 0
		.amdhsa_exception_fp_ieee_inexact 0
		.amdhsa_exception_int_div_zero 0
	.end_amdhsa_kernel
	.section	.text._ZN7rocprim17ROCPRIM_400000_NS6detail17trampoline_kernelINS0_14default_configENS1_38merge_sort_block_merge_config_selectorIlNS0_10empty_typeEEEZZNS1_27merge_sort_block_merge_implIS3_PlPS5_mZN2at6native12_GLOBAL__N_124unique_dim_cuda_templateIdEESt5tupleIJNSA_6TensorESF_SF_EERKSF_lbbbEUlllE_EE10hipError_tT0_T1_T2_jT3_P12ihipStream_tbPNSt15iterator_traitsISL_E10value_typeEPNSR_ISM_E10value_typeEPSN_NS1_7vsmem_tEENKUlT_SL_SM_SN_E_clIS8_S8_S9_S9_EESK_S10_SL_SM_SN_EUlS10_E_NS1_11comp_targetILNS1_3genE8ELNS1_11target_archE1030ELNS1_3gpuE2ELNS1_3repE0EEENS1_48merge_mergepath_partition_config_static_selectorELNS0_4arch9wavefront6targetE1EEEvSM_,"axG",@progbits,_ZN7rocprim17ROCPRIM_400000_NS6detail17trampoline_kernelINS0_14default_configENS1_38merge_sort_block_merge_config_selectorIlNS0_10empty_typeEEEZZNS1_27merge_sort_block_merge_implIS3_PlPS5_mZN2at6native12_GLOBAL__N_124unique_dim_cuda_templateIdEESt5tupleIJNSA_6TensorESF_SF_EERKSF_lbbbEUlllE_EE10hipError_tT0_T1_T2_jT3_P12ihipStream_tbPNSt15iterator_traitsISL_E10value_typeEPNSR_ISM_E10value_typeEPSN_NS1_7vsmem_tEENKUlT_SL_SM_SN_E_clIS8_S8_S9_S9_EESK_S10_SL_SM_SN_EUlS10_E_NS1_11comp_targetILNS1_3genE8ELNS1_11target_archE1030ELNS1_3gpuE2ELNS1_3repE0EEENS1_48merge_mergepath_partition_config_static_selectorELNS0_4arch9wavefront6targetE1EEEvSM_,comdat
.Lfunc_end765:
	.size	_ZN7rocprim17ROCPRIM_400000_NS6detail17trampoline_kernelINS0_14default_configENS1_38merge_sort_block_merge_config_selectorIlNS0_10empty_typeEEEZZNS1_27merge_sort_block_merge_implIS3_PlPS5_mZN2at6native12_GLOBAL__N_124unique_dim_cuda_templateIdEESt5tupleIJNSA_6TensorESF_SF_EERKSF_lbbbEUlllE_EE10hipError_tT0_T1_T2_jT3_P12ihipStream_tbPNSt15iterator_traitsISL_E10value_typeEPNSR_ISM_E10value_typeEPSN_NS1_7vsmem_tEENKUlT_SL_SM_SN_E_clIS8_S8_S9_S9_EESK_S10_SL_SM_SN_EUlS10_E_NS1_11comp_targetILNS1_3genE8ELNS1_11target_archE1030ELNS1_3gpuE2ELNS1_3repE0EEENS1_48merge_mergepath_partition_config_static_selectorELNS0_4arch9wavefront6targetE1EEEvSM_, .Lfunc_end765-_ZN7rocprim17ROCPRIM_400000_NS6detail17trampoline_kernelINS0_14default_configENS1_38merge_sort_block_merge_config_selectorIlNS0_10empty_typeEEEZZNS1_27merge_sort_block_merge_implIS3_PlPS5_mZN2at6native12_GLOBAL__N_124unique_dim_cuda_templateIdEESt5tupleIJNSA_6TensorESF_SF_EERKSF_lbbbEUlllE_EE10hipError_tT0_T1_T2_jT3_P12ihipStream_tbPNSt15iterator_traitsISL_E10value_typeEPNSR_ISM_E10value_typeEPSN_NS1_7vsmem_tEENKUlT_SL_SM_SN_E_clIS8_S8_S9_S9_EESK_S10_SL_SM_SN_EUlS10_E_NS1_11comp_targetILNS1_3genE8ELNS1_11target_archE1030ELNS1_3gpuE2ELNS1_3repE0EEENS1_48merge_mergepath_partition_config_static_selectorELNS0_4arch9wavefront6targetE1EEEvSM_
                                        ; -- End function
	.set _ZN7rocprim17ROCPRIM_400000_NS6detail17trampoline_kernelINS0_14default_configENS1_38merge_sort_block_merge_config_selectorIlNS0_10empty_typeEEEZZNS1_27merge_sort_block_merge_implIS3_PlPS5_mZN2at6native12_GLOBAL__N_124unique_dim_cuda_templateIdEESt5tupleIJNSA_6TensorESF_SF_EERKSF_lbbbEUlllE_EE10hipError_tT0_T1_T2_jT3_P12ihipStream_tbPNSt15iterator_traitsISL_E10value_typeEPNSR_ISM_E10value_typeEPSN_NS1_7vsmem_tEENKUlT_SL_SM_SN_E_clIS8_S8_S9_S9_EESK_S10_SL_SM_SN_EUlS10_E_NS1_11comp_targetILNS1_3genE8ELNS1_11target_archE1030ELNS1_3gpuE2ELNS1_3repE0EEENS1_48merge_mergepath_partition_config_static_selectorELNS0_4arch9wavefront6targetE1EEEvSM_.num_vgpr, 0
	.set _ZN7rocprim17ROCPRIM_400000_NS6detail17trampoline_kernelINS0_14default_configENS1_38merge_sort_block_merge_config_selectorIlNS0_10empty_typeEEEZZNS1_27merge_sort_block_merge_implIS3_PlPS5_mZN2at6native12_GLOBAL__N_124unique_dim_cuda_templateIdEESt5tupleIJNSA_6TensorESF_SF_EERKSF_lbbbEUlllE_EE10hipError_tT0_T1_T2_jT3_P12ihipStream_tbPNSt15iterator_traitsISL_E10value_typeEPNSR_ISM_E10value_typeEPSN_NS1_7vsmem_tEENKUlT_SL_SM_SN_E_clIS8_S8_S9_S9_EESK_S10_SL_SM_SN_EUlS10_E_NS1_11comp_targetILNS1_3genE8ELNS1_11target_archE1030ELNS1_3gpuE2ELNS1_3repE0EEENS1_48merge_mergepath_partition_config_static_selectorELNS0_4arch9wavefront6targetE1EEEvSM_.num_agpr, 0
	.set _ZN7rocprim17ROCPRIM_400000_NS6detail17trampoline_kernelINS0_14default_configENS1_38merge_sort_block_merge_config_selectorIlNS0_10empty_typeEEEZZNS1_27merge_sort_block_merge_implIS3_PlPS5_mZN2at6native12_GLOBAL__N_124unique_dim_cuda_templateIdEESt5tupleIJNSA_6TensorESF_SF_EERKSF_lbbbEUlllE_EE10hipError_tT0_T1_T2_jT3_P12ihipStream_tbPNSt15iterator_traitsISL_E10value_typeEPNSR_ISM_E10value_typeEPSN_NS1_7vsmem_tEENKUlT_SL_SM_SN_E_clIS8_S8_S9_S9_EESK_S10_SL_SM_SN_EUlS10_E_NS1_11comp_targetILNS1_3genE8ELNS1_11target_archE1030ELNS1_3gpuE2ELNS1_3repE0EEENS1_48merge_mergepath_partition_config_static_selectorELNS0_4arch9wavefront6targetE1EEEvSM_.numbered_sgpr, 0
	.set _ZN7rocprim17ROCPRIM_400000_NS6detail17trampoline_kernelINS0_14default_configENS1_38merge_sort_block_merge_config_selectorIlNS0_10empty_typeEEEZZNS1_27merge_sort_block_merge_implIS3_PlPS5_mZN2at6native12_GLOBAL__N_124unique_dim_cuda_templateIdEESt5tupleIJNSA_6TensorESF_SF_EERKSF_lbbbEUlllE_EE10hipError_tT0_T1_T2_jT3_P12ihipStream_tbPNSt15iterator_traitsISL_E10value_typeEPNSR_ISM_E10value_typeEPSN_NS1_7vsmem_tEENKUlT_SL_SM_SN_E_clIS8_S8_S9_S9_EESK_S10_SL_SM_SN_EUlS10_E_NS1_11comp_targetILNS1_3genE8ELNS1_11target_archE1030ELNS1_3gpuE2ELNS1_3repE0EEENS1_48merge_mergepath_partition_config_static_selectorELNS0_4arch9wavefront6targetE1EEEvSM_.num_named_barrier, 0
	.set _ZN7rocprim17ROCPRIM_400000_NS6detail17trampoline_kernelINS0_14default_configENS1_38merge_sort_block_merge_config_selectorIlNS0_10empty_typeEEEZZNS1_27merge_sort_block_merge_implIS3_PlPS5_mZN2at6native12_GLOBAL__N_124unique_dim_cuda_templateIdEESt5tupleIJNSA_6TensorESF_SF_EERKSF_lbbbEUlllE_EE10hipError_tT0_T1_T2_jT3_P12ihipStream_tbPNSt15iterator_traitsISL_E10value_typeEPNSR_ISM_E10value_typeEPSN_NS1_7vsmem_tEENKUlT_SL_SM_SN_E_clIS8_S8_S9_S9_EESK_S10_SL_SM_SN_EUlS10_E_NS1_11comp_targetILNS1_3genE8ELNS1_11target_archE1030ELNS1_3gpuE2ELNS1_3repE0EEENS1_48merge_mergepath_partition_config_static_selectorELNS0_4arch9wavefront6targetE1EEEvSM_.private_seg_size, 0
	.set _ZN7rocprim17ROCPRIM_400000_NS6detail17trampoline_kernelINS0_14default_configENS1_38merge_sort_block_merge_config_selectorIlNS0_10empty_typeEEEZZNS1_27merge_sort_block_merge_implIS3_PlPS5_mZN2at6native12_GLOBAL__N_124unique_dim_cuda_templateIdEESt5tupleIJNSA_6TensorESF_SF_EERKSF_lbbbEUlllE_EE10hipError_tT0_T1_T2_jT3_P12ihipStream_tbPNSt15iterator_traitsISL_E10value_typeEPNSR_ISM_E10value_typeEPSN_NS1_7vsmem_tEENKUlT_SL_SM_SN_E_clIS8_S8_S9_S9_EESK_S10_SL_SM_SN_EUlS10_E_NS1_11comp_targetILNS1_3genE8ELNS1_11target_archE1030ELNS1_3gpuE2ELNS1_3repE0EEENS1_48merge_mergepath_partition_config_static_selectorELNS0_4arch9wavefront6targetE1EEEvSM_.uses_vcc, 0
	.set _ZN7rocprim17ROCPRIM_400000_NS6detail17trampoline_kernelINS0_14default_configENS1_38merge_sort_block_merge_config_selectorIlNS0_10empty_typeEEEZZNS1_27merge_sort_block_merge_implIS3_PlPS5_mZN2at6native12_GLOBAL__N_124unique_dim_cuda_templateIdEESt5tupleIJNSA_6TensorESF_SF_EERKSF_lbbbEUlllE_EE10hipError_tT0_T1_T2_jT3_P12ihipStream_tbPNSt15iterator_traitsISL_E10value_typeEPNSR_ISM_E10value_typeEPSN_NS1_7vsmem_tEENKUlT_SL_SM_SN_E_clIS8_S8_S9_S9_EESK_S10_SL_SM_SN_EUlS10_E_NS1_11comp_targetILNS1_3genE8ELNS1_11target_archE1030ELNS1_3gpuE2ELNS1_3repE0EEENS1_48merge_mergepath_partition_config_static_selectorELNS0_4arch9wavefront6targetE1EEEvSM_.uses_flat_scratch, 0
	.set _ZN7rocprim17ROCPRIM_400000_NS6detail17trampoline_kernelINS0_14default_configENS1_38merge_sort_block_merge_config_selectorIlNS0_10empty_typeEEEZZNS1_27merge_sort_block_merge_implIS3_PlPS5_mZN2at6native12_GLOBAL__N_124unique_dim_cuda_templateIdEESt5tupleIJNSA_6TensorESF_SF_EERKSF_lbbbEUlllE_EE10hipError_tT0_T1_T2_jT3_P12ihipStream_tbPNSt15iterator_traitsISL_E10value_typeEPNSR_ISM_E10value_typeEPSN_NS1_7vsmem_tEENKUlT_SL_SM_SN_E_clIS8_S8_S9_S9_EESK_S10_SL_SM_SN_EUlS10_E_NS1_11comp_targetILNS1_3genE8ELNS1_11target_archE1030ELNS1_3gpuE2ELNS1_3repE0EEENS1_48merge_mergepath_partition_config_static_selectorELNS0_4arch9wavefront6targetE1EEEvSM_.has_dyn_sized_stack, 0
	.set _ZN7rocprim17ROCPRIM_400000_NS6detail17trampoline_kernelINS0_14default_configENS1_38merge_sort_block_merge_config_selectorIlNS0_10empty_typeEEEZZNS1_27merge_sort_block_merge_implIS3_PlPS5_mZN2at6native12_GLOBAL__N_124unique_dim_cuda_templateIdEESt5tupleIJNSA_6TensorESF_SF_EERKSF_lbbbEUlllE_EE10hipError_tT0_T1_T2_jT3_P12ihipStream_tbPNSt15iterator_traitsISL_E10value_typeEPNSR_ISM_E10value_typeEPSN_NS1_7vsmem_tEENKUlT_SL_SM_SN_E_clIS8_S8_S9_S9_EESK_S10_SL_SM_SN_EUlS10_E_NS1_11comp_targetILNS1_3genE8ELNS1_11target_archE1030ELNS1_3gpuE2ELNS1_3repE0EEENS1_48merge_mergepath_partition_config_static_selectorELNS0_4arch9wavefront6targetE1EEEvSM_.has_recursion, 0
	.set _ZN7rocprim17ROCPRIM_400000_NS6detail17trampoline_kernelINS0_14default_configENS1_38merge_sort_block_merge_config_selectorIlNS0_10empty_typeEEEZZNS1_27merge_sort_block_merge_implIS3_PlPS5_mZN2at6native12_GLOBAL__N_124unique_dim_cuda_templateIdEESt5tupleIJNSA_6TensorESF_SF_EERKSF_lbbbEUlllE_EE10hipError_tT0_T1_T2_jT3_P12ihipStream_tbPNSt15iterator_traitsISL_E10value_typeEPNSR_ISM_E10value_typeEPSN_NS1_7vsmem_tEENKUlT_SL_SM_SN_E_clIS8_S8_S9_S9_EESK_S10_SL_SM_SN_EUlS10_E_NS1_11comp_targetILNS1_3genE8ELNS1_11target_archE1030ELNS1_3gpuE2ELNS1_3repE0EEENS1_48merge_mergepath_partition_config_static_selectorELNS0_4arch9wavefront6targetE1EEEvSM_.has_indirect_call, 0
	.section	.AMDGPU.csdata,"",@progbits
; Kernel info:
; codeLenInByte = 0
; TotalNumSgprs: 6
; NumVgprs: 0
; NumAgprs: 0
; TotalNumVgprs: 0
; ScratchSize: 0
; MemoryBound: 0
; FloatMode: 240
; IeeeMode: 1
; LDSByteSize: 0 bytes/workgroup (compile time only)
; SGPRBlocks: 0
; VGPRBlocks: 0
; NumSGPRsForWavesPerEU: 6
; NumVGPRsForWavesPerEU: 1
; AccumOffset: 4
; Occupancy: 8
; WaveLimiterHint : 0
; COMPUTE_PGM_RSRC2:SCRATCH_EN: 0
; COMPUTE_PGM_RSRC2:USER_SGPR: 2
; COMPUTE_PGM_RSRC2:TRAP_HANDLER: 0
; COMPUTE_PGM_RSRC2:TGID_X_EN: 1
; COMPUTE_PGM_RSRC2:TGID_Y_EN: 0
; COMPUTE_PGM_RSRC2:TGID_Z_EN: 0
; COMPUTE_PGM_RSRC2:TIDIG_COMP_CNT: 0
; COMPUTE_PGM_RSRC3_GFX90A:ACCUM_OFFSET: 0
; COMPUTE_PGM_RSRC3_GFX90A:TG_SPLIT: 0
	.section	.text._ZN7rocprim17ROCPRIM_400000_NS6detail17trampoline_kernelINS0_14default_configENS1_38merge_sort_block_merge_config_selectorIlNS0_10empty_typeEEEZZNS1_27merge_sort_block_merge_implIS3_PlPS5_mZN2at6native12_GLOBAL__N_124unique_dim_cuda_templateIdEESt5tupleIJNSA_6TensorESF_SF_EERKSF_lbbbEUlllE_EE10hipError_tT0_T1_T2_jT3_P12ihipStream_tbPNSt15iterator_traitsISL_E10value_typeEPNSR_ISM_E10value_typeEPSN_NS1_7vsmem_tEENKUlT_SL_SM_SN_E_clIS8_S8_S9_S9_EESK_S10_SL_SM_SN_EUlS10_E0_NS1_11comp_targetILNS1_3genE0ELNS1_11target_archE4294967295ELNS1_3gpuE0ELNS1_3repE0EEENS1_38merge_mergepath_config_static_selectorELNS0_4arch9wavefront6targetE1EEEvSM_,"axG",@progbits,_ZN7rocprim17ROCPRIM_400000_NS6detail17trampoline_kernelINS0_14default_configENS1_38merge_sort_block_merge_config_selectorIlNS0_10empty_typeEEEZZNS1_27merge_sort_block_merge_implIS3_PlPS5_mZN2at6native12_GLOBAL__N_124unique_dim_cuda_templateIdEESt5tupleIJNSA_6TensorESF_SF_EERKSF_lbbbEUlllE_EE10hipError_tT0_T1_T2_jT3_P12ihipStream_tbPNSt15iterator_traitsISL_E10value_typeEPNSR_ISM_E10value_typeEPSN_NS1_7vsmem_tEENKUlT_SL_SM_SN_E_clIS8_S8_S9_S9_EESK_S10_SL_SM_SN_EUlS10_E0_NS1_11comp_targetILNS1_3genE0ELNS1_11target_archE4294967295ELNS1_3gpuE0ELNS1_3repE0EEENS1_38merge_mergepath_config_static_selectorELNS0_4arch9wavefront6targetE1EEEvSM_,comdat
	.globl	_ZN7rocprim17ROCPRIM_400000_NS6detail17trampoline_kernelINS0_14default_configENS1_38merge_sort_block_merge_config_selectorIlNS0_10empty_typeEEEZZNS1_27merge_sort_block_merge_implIS3_PlPS5_mZN2at6native12_GLOBAL__N_124unique_dim_cuda_templateIdEESt5tupleIJNSA_6TensorESF_SF_EERKSF_lbbbEUlllE_EE10hipError_tT0_T1_T2_jT3_P12ihipStream_tbPNSt15iterator_traitsISL_E10value_typeEPNSR_ISM_E10value_typeEPSN_NS1_7vsmem_tEENKUlT_SL_SM_SN_E_clIS8_S8_S9_S9_EESK_S10_SL_SM_SN_EUlS10_E0_NS1_11comp_targetILNS1_3genE0ELNS1_11target_archE4294967295ELNS1_3gpuE0ELNS1_3repE0EEENS1_38merge_mergepath_config_static_selectorELNS0_4arch9wavefront6targetE1EEEvSM_ ; -- Begin function _ZN7rocprim17ROCPRIM_400000_NS6detail17trampoline_kernelINS0_14default_configENS1_38merge_sort_block_merge_config_selectorIlNS0_10empty_typeEEEZZNS1_27merge_sort_block_merge_implIS3_PlPS5_mZN2at6native12_GLOBAL__N_124unique_dim_cuda_templateIdEESt5tupleIJNSA_6TensorESF_SF_EERKSF_lbbbEUlllE_EE10hipError_tT0_T1_T2_jT3_P12ihipStream_tbPNSt15iterator_traitsISL_E10value_typeEPNSR_ISM_E10value_typeEPSN_NS1_7vsmem_tEENKUlT_SL_SM_SN_E_clIS8_S8_S9_S9_EESK_S10_SL_SM_SN_EUlS10_E0_NS1_11comp_targetILNS1_3genE0ELNS1_11target_archE4294967295ELNS1_3gpuE0ELNS1_3repE0EEENS1_38merge_mergepath_config_static_selectorELNS0_4arch9wavefront6targetE1EEEvSM_
	.p2align	8
	.type	_ZN7rocprim17ROCPRIM_400000_NS6detail17trampoline_kernelINS0_14default_configENS1_38merge_sort_block_merge_config_selectorIlNS0_10empty_typeEEEZZNS1_27merge_sort_block_merge_implIS3_PlPS5_mZN2at6native12_GLOBAL__N_124unique_dim_cuda_templateIdEESt5tupleIJNSA_6TensorESF_SF_EERKSF_lbbbEUlllE_EE10hipError_tT0_T1_T2_jT3_P12ihipStream_tbPNSt15iterator_traitsISL_E10value_typeEPNSR_ISM_E10value_typeEPSN_NS1_7vsmem_tEENKUlT_SL_SM_SN_E_clIS8_S8_S9_S9_EESK_S10_SL_SM_SN_EUlS10_E0_NS1_11comp_targetILNS1_3genE0ELNS1_11target_archE4294967295ELNS1_3gpuE0ELNS1_3repE0EEENS1_38merge_mergepath_config_static_selectorELNS0_4arch9wavefront6targetE1EEEvSM_,@function
_ZN7rocprim17ROCPRIM_400000_NS6detail17trampoline_kernelINS0_14default_configENS1_38merge_sort_block_merge_config_selectorIlNS0_10empty_typeEEEZZNS1_27merge_sort_block_merge_implIS3_PlPS5_mZN2at6native12_GLOBAL__N_124unique_dim_cuda_templateIdEESt5tupleIJNSA_6TensorESF_SF_EERKSF_lbbbEUlllE_EE10hipError_tT0_T1_T2_jT3_P12ihipStream_tbPNSt15iterator_traitsISL_E10value_typeEPNSR_ISM_E10value_typeEPSN_NS1_7vsmem_tEENKUlT_SL_SM_SN_E_clIS8_S8_S9_S9_EESK_S10_SL_SM_SN_EUlS10_E0_NS1_11comp_targetILNS1_3genE0ELNS1_11target_archE4294967295ELNS1_3gpuE0ELNS1_3repE0EEENS1_38merge_mergepath_config_static_selectorELNS0_4arch9wavefront6targetE1EEEvSM_: ; @_ZN7rocprim17ROCPRIM_400000_NS6detail17trampoline_kernelINS0_14default_configENS1_38merge_sort_block_merge_config_selectorIlNS0_10empty_typeEEEZZNS1_27merge_sort_block_merge_implIS3_PlPS5_mZN2at6native12_GLOBAL__N_124unique_dim_cuda_templateIdEESt5tupleIJNSA_6TensorESF_SF_EERKSF_lbbbEUlllE_EE10hipError_tT0_T1_T2_jT3_P12ihipStream_tbPNSt15iterator_traitsISL_E10value_typeEPNSR_ISM_E10value_typeEPSN_NS1_7vsmem_tEENKUlT_SL_SM_SN_E_clIS8_S8_S9_S9_EESK_S10_SL_SM_SN_EUlS10_E0_NS1_11comp_targetILNS1_3genE0ELNS1_11target_archE4294967295ELNS1_3gpuE0ELNS1_3repE0EEENS1_38merge_mergepath_config_static_selectorELNS0_4arch9wavefront6targetE1EEEvSM_
; %bb.0:
	s_load_dwordx2 s[22:23], s[0:1], 0x58
	s_load_dword s5, s[0:1], 0x38
	s_add_u32 s18, s0, 0x58
	s_addc_u32 s19, s1, 0
	s_waitcnt lgkmcnt(0)
	s_mul_i32 s4, s23, s4
	s_add_i32 s3, s4, s3
	s_mul_i32 s3, s3, s22
	s_add_i32 s20, s3, s2
	s_cmp_ge_u32 s20, s5
	s_cbranch_scc1 .LBB766_115
; %bb.1:
	s_load_dwordx2 s[12:13], s[0:1], 0x50
	s_load_dwordx4 s[8:11], s[0:1], 0x8
	s_load_dwordx4 s[4:7], s[0:1], 0x28
	s_mov_b32 s21, 0
	s_lshl_b64 s[14:15], s[20:21], 3
	s_waitcnt lgkmcnt(0)
	s_add_u32 s16, s12, s14
	s_addc_u32 s17, s13, s15
	s_load_dwordx4 s[12:15], s[16:17], 0x0
	s_lshr_b64 s[16:17], s[6:7], 9
	s_and_b32 s3, s16, -2
	s_sub_i32 s33, 0, s3
	s_and_b32 s26, s20, s33
	s_mov_b32 s27, s21
	s_lshl_b64 s[24:25], s[26:27], 10
	s_lshl_b64 s[16:17], s[20:21], 10
	s_sub_u32 s3, s16, s24
	s_subb_u32 s23, s17, s25
	s_lshl_b64 s[26:27], s[26:27], 11
	s_add_u32 s26, s26, s6
	s_addc_u32 s27, s27, s7
	s_add_u32 s3, s26, s3
	s_addc_u32 s23, s27, s23
	s_waitcnt lgkmcnt(0)
	s_sub_u32 s28, s3, s14
	s_subb_u32 s15, s23, s15
	s_add_u32 s28, s28, 0x400
	s_addc_u32 s29, s15, 0
	v_mov_b64_e32 v[2:3], s[28:29]
	v_cmp_lt_u64_e32 vcc, s[4:5], v[2:3]
	s_and_b64 s[30:31], vcc, exec
	s_cselect_b32 s15, s4, s28
	s_or_b32 s28, s20, s33
	s_cmp_lg_u32 s28, -1
	s_cbranch_scc1 .LBB766_3
; %bb.2:
	s_sub_u32 s24, s26, s24
	s_subb_u32 s25, s27, s25
	v_mov_b64_e32 v[2:3], s[24:25]
	v_cmp_lt_u64_e32 vcc, s[4:5], v[2:3]
	s_and_b64 s[14:15], vcc, exec
	s_cselect_b32 s14, s4, s24
	s_add_u32 s6, s24, s6
	s_addc_u32 s7, s25, s7
	v_mov_b64_e32 v[2:3], s[6:7]
	v_cmp_lt_u64_e32 vcc, s[4:5], v[2:3]
	s_and_b64 s[24:25], vcc, exec
	s_cselect_b32 s15, s4, s6
.LBB766_3:
	s_lshr_b64 s[24:25], s[4:5], 10
	s_cmp_lg_u64 s[24:25], s[20:21]
	s_cselect_b64 s[6:7], -1, 0
	s_sub_u32 s26, s3, s12
	s_subb_u32 s27, s23, s13
	v_mov_b64_e32 v[2:3], s[26:27]
	v_cmp_lt_u64_e32 vcc, s[4:5], v[2:3]
	s_and_b64 s[28:29], vcc, exec
	s_cselect_b32 s26, s4, s26
	s_cselect_b32 s27, s5, s27
	s_sub_i32 s5, s14, s12
	s_sub_i32 s23, s15, s26
	s_lshl_b64 s[12:13], s[12:13], 3
	s_add_u32 s12, s8, s12
	s_addc_u32 s13, s9, s13
	s_lshl_b64 s[14:15], s[26:27], 3
	s_add_u32 s8, s8, s14
	s_addc_u32 s9, s9, s15
	s_cmp_lt_u32 s2, s22
	v_mov_b32_e32 v19, 0
	s_cselect_b32 s2, 12, 18
	global_load_dword v1, v19, s[18:19] offset:14
	s_add_u32 s2, s18, s2
	s_addc_u32 s3, s19, 0
	global_load_ushort v2, v19, s[2:3]
	s_cmp_eq_u64 s[24:25], s[20:21]
	v_lshlrev_b32_e32 v18, 3, v0
	s_waitcnt vmcnt(1)
	v_lshrrev_b32_e32 v3, 16, v1
	v_and_b32_e32 v1, 0xffff, v1
	v_mul_lo_u32 v1, v1, v3
	s_waitcnt vmcnt(0)
	v_mul_lo_u32 v1, v1, v2
	s_cbranch_scc1 .LBB766_5
; %bb.4:
	v_subrev_co_u32_e32 v4, vcc, s5, v0
	v_mov_b32_e32 v5, v19
	v_lshl_add_u64 v[2:3], s[12:13], 0, v[18:19]
	v_lshl_add_u64 v[4:5], v[4:5], 3, s[8:9]
	v_add_u32_e32 v6, v1, v0
	v_cndmask_b32_e32 v3, v5, v3, vcc
	v_cndmask_b32_e32 v2, v4, v2, vcc
	v_mov_b32_e32 v7, v19
	v_subrev_co_u32_e32 v8, vcc, s5, v6
	v_mov_b32_e32 v9, v19
	v_lshl_add_u64 v[4:5], v[6:7], 3, s[12:13]
	v_lshl_add_u64 v[8:9], v[8:9], 3, s[8:9]
	v_cndmask_b32_e32 v4, v8, v4, vcc
	v_add_u32_e32 v8, v6, v1
	v_cndmask_b32_e32 v5, v9, v5, vcc
	v_mov_b32_e32 v9, v19
	v_subrev_co_u32_e32 v10, vcc, s5, v8
	v_mov_b32_e32 v11, v19
	v_lshl_add_u64 v[6:7], v[8:9], 3, s[12:13]
	v_lshl_add_u64 v[10:11], v[10:11], 3, s[8:9]
	v_cndmask_b32_e32 v6, v10, v6, vcc
	v_add_u32_e32 v10, v8, v1
	;; [unrolled: 8-line block ×5, first 2 shown]
	v_cndmask_b32_e32 v13, v17, v13, vcc
	v_mov_b32_e32 v17, v19
	v_subrev_co_u32_e32 v20, vcc, s5, v16
	v_mov_b32_e32 v21, v19
	v_lshl_add_u64 v[14:15], v[16:17], 3, s[12:13]
	v_lshl_add_u64 v[20:21], v[20:21], 3, s[8:9]
	v_add_u32_e32 v16, v16, v1
	v_cndmask_b32_e32 v15, v21, v15, vcc
	v_cndmask_b32_e32 v14, v20, v14, vcc
	v_lshl_add_u64 v[20:21], v[16:17], 3, s[12:13]
	v_subrev_co_u32_e32 v16, vcc, s5, v16
	v_lshl_add_u64 v[16:17], v[16:17], 3, s[8:9]
	s_nop 0
	v_cndmask_b32_e32 v17, v17, v21, vcc
	v_cndmask_b32_e32 v16, v16, v20, vcc
	global_load_dwordx2 v[2:3], v[2:3], off
	s_add_i32 s33, s5, s23
	global_load_dwordx2 v[4:5], v[4:5], off
	s_nop 0
	global_load_dwordx2 v[6:7], v[6:7], off
	s_nop 0
	;; [unrolled: 2-line block ×6, first 2 shown]
	global_load_dwordx2 v[16:17], v[16:17], off
	s_cbranch_execz .LBB766_6
	s_branch .LBB766_23
.LBB766_5:
                                        ; implicit-def: $vgpr2_vgpr3_vgpr4_vgpr5_vgpr6_vgpr7_vgpr8_vgpr9_vgpr10_vgpr11_vgpr12_vgpr13_vgpr14_vgpr15_vgpr16_vgpr17
                                        ; implicit-def: $sgpr33
.LBB766_6:
	s_add_i32 s33, s5, s23
	s_waitcnt vmcnt(7)
	v_mov_b32_e32 v2, 0
	v_cmp_gt_u32_e32 vcc, s33, v0
	v_mov_b32_e32 v3, v2
	s_waitcnt vmcnt(6)
	v_mov_b32_e32 v4, v2
	v_mov_b32_e32 v5, v2
	s_waitcnt vmcnt(5)
	v_mov_b32_e32 v6, v2
	;; [unrolled: 3-line block ×7, first 2 shown]
	v_mov_b32_e32 v17, v2
	s_and_saveexec_b64 s[2:3], vcc
	s_cbranch_execz .LBB766_8
; %bb.7:
	v_mov_b32_e32 v19, v2
	v_subrev_co_u32_e32 v6, vcc, s5, v0
	v_mov_b32_e32 v7, v2
	v_lshl_add_u64 v[4:5], s[12:13], 0, v[18:19]
	v_lshl_add_u64 v[6:7], v[6:7], 3, s[8:9]
	v_cndmask_b32_e32 v5, v7, v5, vcc
	v_cndmask_b32_e32 v4, v6, v4, vcc
	global_load_dwordx2 v[20:21], v[4:5], off
	v_mov_b32_e32 v22, v2
	v_mov_b32_e32 v23, v2
	;; [unrolled: 1-line block ×14, first 2 shown]
	s_waitcnt vmcnt(0)
	v_mov_b64_e32 v[2:3], v[20:21]
	v_mov_b64_e32 v[4:5], v[22:23]
	v_mov_b64_e32 v[6:7], v[24:25]
	v_mov_b64_e32 v[8:9], v[26:27]
	v_mov_b64_e32 v[10:11], v[28:29]
	v_mov_b64_e32 v[12:13], v[30:31]
	v_mov_b64_e32 v[14:15], v[32:33]
	v_mov_b64_e32 v[16:17], v[34:35]
.LBB766_8:
	s_or_b64 exec, exec, s[2:3]
	v_add_u32_e32 v20, v1, v0
	v_cmp_gt_u32_e32 vcc, s33, v20
	s_and_saveexec_b64 s[2:3], vcc
	s_cbranch_execz .LBB766_10
; %bb.9:
	v_mov_b32_e32 v21, 0
	v_subrev_co_u32_e32 v22, vcc, s5, v20
	v_mov_b32_e32 v23, v21
	v_lshl_add_u64 v[4:5], v[20:21], 3, s[12:13]
	v_lshl_add_u64 v[22:23], v[22:23], 3, s[8:9]
	v_cndmask_b32_e32 v5, v23, v5, vcc
	v_cndmask_b32_e32 v4, v22, v4, vcc
	global_load_dwordx2 v[4:5], v[4:5], off
.LBB766_10:
	s_or_b64 exec, exec, s[2:3]
	v_add_u32_e32 v20, v20, v1
	v_cmp_gt_u32_e32 vcc, s33, v20
	s_and_saveexec_b64 s[2:3], vcc
	s_cbranch_execz .LBB766_12
; %bb.11:
	v_mov_b32_e32 v21, 0
	v_subrev_co_u32_e32 v22, vcc, s5, v20
	v_mov_b32_e32 v23, v21
	v_lshl_add_u64 v[6:7], v[20:21], 3, s[12:13]
	v_lshl_add_u64 v[22:23], v[22:23], 3, s[8:9]
	v_cndmask_b32_e32 v7, v23, v7, vcc
	v_cndmask_b32_e32 v6, v22, v6, vcc
	global_load_dwordx2 v[6:7], v[6:7], off
.LBB766_12:
	;; [unrolled: 15-line block ×6, first 2 shown]
	s_or_b64 exec, exec, s[2:3]
	v_add_u32_e32 v20, v20, v1
	v_cmp_gt_u32_e32 vcc, s33, v20
	s_and_saveexec_b64 s[2:3], vcc
	s_cbranch_execz .LBB766_22
; %bb.21:
	v_mov_b32_e32 v21, 0
	v_lshl_add_u64 v[16:17], v[20:21], 3, s[12:13]
	v_subrev_co_u32_e32 v20, vcc, s5, v20
	v_lshl_add_u64 v[20:21], v[20:21], 3, s[8:9]
	s_nop 0
	v_cndmask_b32_e32 v17, v21, v17, vcc
	v_cndmask_b32_e32 v16, v20, v16, vcc
	global_load_dwordx2 v[16:17], v[16:17], off
.LBB766_22:
	s_or_b64 exec, exec, s[2:3]
.LBB766_23:
	s_load_dwordx4 s[12:15], s[0:1], 0x40
	v_min_u32_e32 v1, s33, v18
	v_sub_u32_e64 v24, v1, s23 clamp
	v_min_u32_e32 v19, s5, v1
	v_cmp_lt_u32_e32 vcc, v24, v19
	s_waitcnt vmcnt(0)
	ds_write2st64_b64 v18, v[2:3], v[4:5] offset1:2
	ds_write2st64_b64 v18, v[6:7], v[8:9] offset0:4 offset1:6
	ds_write2st64_b64 v18, v[10:11], v[12:13] offset0:8 offset1:10
	;; [unrolled: 1-line block ×3, first 2 shown]
	s_waitcnt lgkmcnt(0)
	s_barrier
	s_and_saveexec_b64 s[8:9], vcc
	s_cbranch_execz .LBB766_33
; %bb.24:
	v_lshlrev_b32_e32 v20, 3, v1
	v_cmp_gt_i64_e64 s[0:1], s[12:13], 0
	v_lshl_add_u32 v25, s5, 3, v20
	s_mov_b64 s[18:19], 0
	v_cndmask_b32_e64 v20, 0, 1, s[0:1]
	s_lshl_b64 s[20:21], s[12:13], 3
	v_cmp_ne_u32_e64 s[0:1], 1, v20
	s_branch .LBB766_27
.LBB766_25:                             ;   in Loop: Header=BB766_27 Depth=1
	s_or_b64 exec, exec, s[24:25]
.LBB766_26:                             ;   in Loop: Header=BB766_27 Depth=1
	v_add_u32_e32 v20, 1, v26
	v_cndmask_b32_e64 v19, v19, v26, s[22:23]
	v_cndmask_b32_e64 v24, v20, v24, s[22:23]
	v_cmp_ge_u32_e32 vcc, v24, v19
	s_or_b64 s[18:19], vcc, s[18:19]
	s_andn2_b64 exec, exec, s[18:19]
	s_cbranch_execz .LBB766_32
.LBB766_27:                             ; =>This Loop Header: Depth=1
                                        ;     Child Loop BB766_30 Depth 2
	v_add_u32_e32 v20, v19, v24
	v_lshrrev_b32_e32 v26, 1, v20
	s_and_b64 vcc, exec, s[0:1]
	s_mov_b64 s[22:23], 0
	s_cbranch_vccnz .LBB766_26
; %bb.28:                               ;   in Loop: Header=BB766_27 Depth=1
	v_not_b32_e32 v20, v26
	v_lshl_add_u32 v20, v20, 3, v25
	ds_read_b64 v[20:21], v20
	v_lshlrev_b32_e32 v27, 3, v26
	ds_read_b64 v[28:29], v27
	v_mov_b64_e32 v[22:23], s[14:15]
	s_mov_b64 s[24:25], 0
	s_waitcnt lgkmcnt(1)
	v_mul_lo_u32 v27, s20, v21
	v_mul_lo_u32 v30, s21, v20
	v_mad_u64_u32 v[20:21], s[2:3], s20, v20, v[22:23]
	v_add3_u32 v21, v30, v21, v27
	s_waitcnt lgkmcnt(0)
	v_mul_lo_u32 v27, s20, v29
	v_mul_lo_u32 v29, s21, v28
	v_mad_u64_u32 v[22:23], s[2:3], s20, v28, v[22:23]
	v_add3_u32 v23, v29, v23, v27
	s_mov_b64 s[28:29], s[12:13]
                                        ; implicit-def: $sgpr22_sgpr23
                                        ; implicit-def: $sgpr26_sgpr27
                                        ; implicit-def: $sgpr2_sgpr3
                                        ; implicit-def: $sgpr30_sgpr31
	s_branch .LBB766_30
.LBB766_29:                             ;   in Loop: Header=BB766_30 Depth=2
	s_or_b64 exec, exec, s[36:37]
	s_and_b64 s[36:37], exec, s[26:27]
	s_or_b64 s[24:25], s[36:37], s[24:25]
	s_andn2_b64 s[30:31], s[30:31], exec
	s_and_b64 s[34:35], s[34:35], exec
	s_or_b64 s[30:31], s[30:31], s[34:35]
	s_andn2_b64 s[22:23], s[22:23], exec
	s_and_b64 s[34:35], s[2:3], exec
	s_or_b64 s[22:23], s[22:23], s[34:35]
	s_andn2_b64 exec, exec, s[24:25]
	s_cbranch_execz .LBB766_25
.LBB766_30:                             ;   Parent Loop BB766_27 Depth=1
                                        ; =>  This Inner Loop Header: Depth=2
	global_load_dwordx2 v[28:29], v[20:21], off
	global_load_dwordx2 v[30:31], v[22:23], off
	s_andn2_b64 s[36:37], s[2:3], exec
	s_or_b64 s[26:27], s[26:27], exec
	s_waitcnt vmcnt(0)
	v_cmp_ngt_f64_e64 s[2:3], v[28:29], v[30:31]
	v_cmp_lt_f64_e32 vcc, v[28:29], v[30:31]
	s_and_b64 s[34:35], s[2:3], s[30:31]
	s_or_b64 s[34:35], vcc, s[34:35]
	s_xor_b64 s[38:39], vcc, s[2:3]
	s_and_b64 s[2:3], s[34:35], exec
	s_or_b64 s[2:3], s[36:37], s[2:3]
	s_and_saveexec_b64 s[36:37], s[38:39]
	s_cbranch_execz .LBB766_29
; %bb.31:                               ;   in Loop: Header=BB766_30 Depth=2
	s_add_u32 s28, s28, -1
	s_addc_u32 s29, s29, -1
	s_cmp_eq_u64 s[28:29], 0
	s_cselect_b64 s[30:31], -1, 0
	s_andn2_b64 s[26:27], s[26:27], exec
	s_and_b64 s[30:31], s[30:31], exec
	v_lshl_add_u64 v[20:21], v[20:21], 0, 8
	v_lshl_add_u64 v[22:23], v[22:23], 0, 8
	s_andn2_b64 s[2:3], s[2:3], exec
	s_or_b64 s[26:27], s[26:27], s[30:31]
                                        ; implicit-def: $sgpr30_sgpr31
	s_branch .LBB766_29
.LBB766_32:
	s_or_b64 exec, exec, s[18:19]
.LBB766_33:
	s_or_b64 exec, exec, s[8:9]
	v_sub_u32_e32 v1, v1, v24
	v_add_u32_e32 v22, s5, v1
	v_cmp_ge_u32_e32 vcc, s5, v24
	v_cmp_ge_u32_e64 s[0:1], s33, v22
	s_or_b64 s[0:1], vcc, s[0:1]
	s_and_saveexec_b64 s[8:9], s[0:1]
	s_cbranch_execz .LBB766_101
; %bb.34:
	v_cmp_le_u32_e32 vcc, s5, v24
	v_cmp_gt_u32_e64 s[0:1], s5, v24
                                        ; implicit-def: $vgpr2_vgpr3
	s_and_saveexec_b64 s[2:3], s[0:1]
; %bb.35:
	v_lshlrev_b32_e32 v1, 3, v24
	ds_read_b64 v[2:3], v1
; %bb.36:
	s_or_b64 exec, exec, s[2:3]
	v_cmp_le_u32_e64 s[0:1], s33, v22
	v_cmp_gt_u32_e64 s[2:3], s33, v22
                                        ; implicit-def: $vgpr16_vgpr17
	s_and_saveexec_b64 s[18:19], s[2:3]
; %bb.37:
	v_lshlrev_b32_e32 v1, 3, v22
	ds_read_b64 v[16:17], v1
; %bb.38:
	s_or_b64 exec, exec, s[18:19]
	v_cmp_lt_i64_e64 s[18:19], s[12:13], 1
	s_or_b64 s[2:3], vcc, s[0:1]
	s_nor_b64 s[22:23], s[2:3], s[18:19]
	s_xor_b64 s[2:3], vcc, -1
	s_or_b64 s[2:3], s[0:1], s[2:3]
	s_and_saveexec_b64 s[20:21], s[22:23]
	s_cbranch_execz .LBB766_44
; %bb.39:
	s_waitcnt lgkmcnt(0)
	v_mul_lo_u32 v1, v17, s12
	v_mul_lo_u32 v6, v16, s13
	v_mad_u64_u32 v[4:5], s[0:1], v16, s12, 0
	v_add3_u32 v5, v5, v6, v1
	v_mul_lo_u32 v1, v3, s12
	v_mul_lo_u32 v8, v2, s13
	v_mad_u64_u32 v[6:7], s[0:1], v2, s12, 0
	v_add3_u32 v7, v7, v8, v1
	v_lshl_add_u64 v[4:5], v[4:5], 3, s[14:15]
	v_lshl_add_u64 v[6:7], v[6:7], 3, s[14:15]
	s_mov_b64 s[22:23], 0
	s_mov_b64 s[28:29], s[12:13]
                                        ; implicit-def: $sgpr24_sgpr25
                                        ; implicit-def: $sgpr26_sgpr27
                                        ; implicit-def: $sgpr0_sgpr1
                                        ; implicit-def: $sgpr30_sgpr31
	s_branch .LBB766_41
.LBB766_40:                             ;   in Loop: Header=BB766_41 Depth=1
	s_or_b64 exec, exec, s[36:37]
	s_and_b64 s[36:37], exec, s[26:27]
	s_or_b64 s[22:23], s[36:37], s[22:23]
	s_andn2_b64 s[30:31], s[30:31], exec
	s_and_b64 s[34:35], s[34:35], exec
	s_or_b64 s[30:31], s[30:31], s[34:35]
	s_andn2_b64 s[24:25], s[24:25], exec
	s_and_b64 s[34:35], s[0:1], exec
	s_or_b64 s[24:25], s[24:25], s[34:35]
	s_andn2_b64 exec, exec, s[22:23]
	s_cbranch_execz .LBB766_43
.LBB766_41:                             ; =>This Inner Loop Header: Depth=1
	global_load_dwordx2 v[8:9], v[4:5], off
	global_load_dwordx2 v[10:11], v[6:7], off
	s_andn2_b64 s[36:37], s[0:1], exec
	s_or_b64 s[26:27], s[26:27], exec
	s_waitcnt vmcnt(0)
	v_cmp_ngt_f64_e64 s[0:1], v[8:9], v[10:11]
	v_cmp_lt_f64_e32 vcc, v[8:9], v[10:11]
	s_and_b64 s[34:35], s[0:1], s[30:31]
	s_or_b64 s[34:35], vcc, s[34:35]
	s_xor_b64 s[38:39], vcc, s[0:1]
	s_and_b64 s[0:1], s[34:35], exec
	s_or_b64 s[0:1], s[36:37], s[0:1]
	s_and_saveexec_b64 s[36:37], s[38:39]
	s_cbranch_execz .LBB766_40
; %bb.42:                               ;   in Loop: Header=BB766_41 Depth=1
	s_add_u32 s28, s28, -1
	s_addc_u32 s29, s29, -1
	s_cmp_eq_u64 s[28:29], 0
	s_cselect_b64 s[30:31], -1, 0
	s_andn2_b64 s[26:27], s[26:27], exec
	s_and_b64 s[30:31], s[30:31], exec
	v_lshl_add_u64 v[4:5], v[4:5], 0, 8
	v_lshl_add_u64 v[6:7], v[6:7], 0, 8
	s_andn2_b64 s[0:1], s[0:1], exec
	s_or_b64 s[26:27], s[26:27], s[30:31]
                                        ; implicit-def: $sgpr30_sgpr31
	s_branch .LBB766_40
.LBB766_43:
	s_or_b64 exec, exec, s[22:23]
	s_xor_b64 s[0:1], s[24:25], -1
	s_andn2_b64 s[2:3], s[2:3], exec
	s_and_b64 s[0:1], s[0:1], exec
	s_or_b64 s[2:3], s[2:3], s[0:1]
.LBB766_44:
	s_or_b64 exec, exec, s[20:21]
	v_mov_b32_e32 v4, s33
	v_mov_b32_e32 v5, s5
	v_cndmask_b32_e64 v1, v22, v24, s[2:3]
	v_cndmask_b32_e64 v4, v4, v5, s[2:3]
	v_add_u32_e32 v6, 1, v1
	v_add_u32_e32 v1, -1, v4
	v_min_u32_e32 v1, v6, v1
	v_lshlrev_b32_e32 v1, 3, v1
	ds_read_b64 v[4:5], v1
	v_cndmask_b32_e64 v8, v6, v22, s[2:3]
	v_cndmask_b32_e64 v9, v24, v6, s[2:3]
	v_cmp_gt_u32_e32 vcc, s33, v8
	s_mov_b64 s[22:23], -1
	s_waitcnt lgkmcnt(0)
	v_cndmask_b32_e64 v1, v5, v17, s[2:3]
	v_cndmask_b32_e64 v19, v4, v16, s[2:3]
	;; [unrolled: 1-line block ×4, first 2 shown]
	s_mov_b64 s[20:21], -1
	s_and_saveexec_b64 s[24:25], vcc
	s_cbranch_execz .LBB766_52
; %bb.45:
	v_cmp_gt_u32_e64 s[20:21], s5, v9
	s_xor_b64 s[0:1], s[18:19], -1
	s_and_b64 s[0:1], s[20:21], s[0:1]
	s_and_saveexec_b64 s[26:27], s[0:1]
	s_cbranch_execz .LBB766_51
; %bb.46:
	v_mul_lo_u32 v6, v1, s12
	v_mul_lo_u32 v7, v19, s13
	v_mad_u64_u32 v[4:5], s[0:1], v19, s12, 0
	v_add3_u32 v5, v5, v7, v6
	v_mul_lo_u32 v10, v20, s12
	v_mul_lo_u32 v11, v21, s13
	v_mad_u64_u32 v[6:7], s[0:1], v21, s12, 0
	v_add3_u32 v7, v7, v11, v10
	v_lshl_add_u64 v[4:5], v[4:5], 3, s[14:15]
	v_lshl_add_u64 v[6:7], v[6:7], 3, s[14:15]
	s_mov_b64 s[28:29], 0
	s_mov_b64 s[36:37], s[12:13]
                                        ; implicit-def: $sgpr30_sgpr31
                                        ; implicit-def: $sgpr34_sgpr35
                                        ; implicit-def: $sgpr0_sgpr1
                                        ; implicit-def: $sgpr38_sgpr39
	s_branch .LBB766_48
.LBB766_47:                             ;   in Loop: Header=BB766_48 Depth=1
	s_or_b64 exec, exec, s[42:43]
	s_and_b64 s[42:43], exec, s[34:35]
	s_or_b64 s[28:29], s[42:43], s[28:29]
	s_andn2_b64 s[38:39], s[38:39], exec
	s_and_b64 s[40:41], s[40:41], exec
	s_or_b64 s[38:39], s[38:39], s[40:41]
	s_andn2_b64 s[30:31], s[30:31], exec
	s_and_b64 s[40:41], s[0:1], exec
	s_or_b64 s[30:31], s[30:31], s[40:41]
	s_andn2_b64 exec, exec, s[28:29]
	s_cbranch_execz .LBB766_50
.LBB766_48:                             ; =>This Inner Loop Header: Depth=1
	global_load_dwordx2 v[10:11], v[4:5], off
	global_load_dwordx2 v[12:13], v[6:7], off
	s_andn2_b64 s[42:43], s[0:1], exec
	s_or_b64 s[34:35], s[34:35], exec
	s_waitcnt vmcnt(0)
	v_cmp_ngt_f64_e64 s[0:1], v[10:11], v[12:13]
	v_cmp_lt_f64_e32 vcc, v[10:11], v[12:13]
	s_and_b64 s[40:41], s[0:1], s[38:39]
	s_or_b64 s[40:41], vcc, s[40:41]
	s_xor_b64 s[44:45], vcc, s[0:1]
	s_and_b64 s[0:1], s[40:41], exec
	s_or_b64 s[0:1], s[42:43], s[0:1]
	s_and_saveexec_b64 s[42:43], s[44:45]
	s_cbranch_execz .LBB766_47
; %bb.49:                               ;   in Loop: Header=BB766_48 Depth=1
	s_add_u32 s36, s36, -1
	s_addc_u32 s37, s37, -1
	s_cmp_eq_u64 s[36:37], 0
	s_cselect_b64 s[38:39], -1, 0
	s_andn2_b64 s[34:35], s[34:35], exec
	s_and_b64 s[38:39], s[38:39], exec
	v_lshl_add_u64 v[4:5], v[4:5], 0, 8
	v_lshl_add_u64 v[6:7], v[6:7], 0, 8
	s_andn2_b64 s[0:1], s[0:1], exec
	s_or_b64 s[34:35], s[34:35], s[38:39]
                                        ; implicit-def: $sgpr38_sgpr39
	s_branch .LBB766_47
.LBB766_50:
	s_or_b64 exec, exec, s[28:29]
	s_xor_b64 s[0:1], s[30:31], -1
	s_andn2_b64 s[20:21], s[20:21], exec
	s_and_b64 s[0:1], s[0:1], exec
	s_or_b64 s[20:21], s[20:21], s[0:1]
.LBB766_51:
	s_or_b64 exec, exec, s[26:27]
	s_orn2_b64 s[20:21], s[20:21], exec
.LBB766_52:
	s_or_b64 exec, exec, s[24:25]
	v_mov_b32_e32 v5, s33
	v_mov_b32_e32 v6, s5
	v_cndmask_b32_e64 v4, v8, v9, s[20:21]
	v_cndmask_b32_e64 v5, v5, v6, s[20:21]
	v_add_u32_e32 v6, 1, v4
	v_add_u32_e32 v4, -1, v5
	v_min_u32_e32 v4, v6, v4
	v_lshlrev_b32_e32 v4, 3, v4
	ds_read_b64 v[4:5], v4
	v_cndmask_b32_e64 v10, v6, v8, s[20:21]
	v_cndmask_b32_e64 v11, v9, v6, s[20:21]
	v_cmp_gt_u32_e32 vcc, s33, v10
	s_waitcnt lgkmcnt(0)
	v_cndmask_b32_e64 v22, v5, v1, s[20:21]
	v_cndmask_b32_e64 v23, v4, v19, s[20:21]
	;; [unrolled: 1-line block ×4, first 2 shown]
	s_and_saveexec_b64 s[24:25], vcc
	s_cbranch_execz .LBB766_60
; %bb.53:
	v_cmp_gt_u32_e64 s[22:23], s5, v11
	s_xor_b64 s[0:1], s[18:19], -1
	s_and_b64 s[0:1], s[22:23], s[0:1]
	s_and_saveexec_b64 s[26:27], s[0:1]
	s_cbranch_execz .LBB766_59
; %bb.54:
	v_mul_lo_u32 v6, v22, s12
	v_mul_lo_u32 v7, v23, s13
	v_mad_u64_u32 v[4:5], s[0:1], v23, s12, 0
	v_add3_u32 v5, v5, v7, v6
	v_mul_lo_u32 v8, v24, s12
	v_mul_lo_u32 v9, v25, s13
	v_mad_u64_u32 v[6:7], s[0:1], v25, s12, 0
	v_add3_u32 v7, v7, v9, v8
	v_lshl_add_u64 v[4:5], v[4:5], 3, s[14:15]
	v_lshl_add_u64 v[6:7], v[6:7], 3, s[14:15]
	s_mov_b64 s[28:29], 0
	s_mov_b64 s[36:37], s[12:13]
                                        ; implicit-def: $sgpr30_sgpr31
                                        ; implicit-def: $sgpr34_sgpr35
                                        ; implicit-def: $sgpr0_sgpr1
                                        ; implicit-def: $sgpr38_sgpr39
	s_branch .LBB766_56
.LBB766_55:                             ;   in Loop: Header=BB766_56 Depth=1
	s_or_b64 exec, exec, s[42:43]
	s_and_b64 s[42:43], exec, s[34:35]
	s_or_b64 s[28:29], s[42:43], s[28:29]
	s_andn2_b64 s[38:39], s[38:39], exec
	s_and_b64 s[40:41], s[40:41], exec
	s_or_b64 s[38:39], s[38:39], s[40:41]
	s_andn2_b64 s[30:31], s[30:31], exec
	s_and_b64 s[40:41], s[0:1], exec
	s_or_b64 s[30:31], s[30:31], s[40:41]
	s_andn2_b64 exec, exec, s[28:29]
	s_cbranch_execz .LBB766_58
.LBB766_56:                             ; =>This Inner Loop Header: Depth=1
	global_load_dwordx2 v[8:9], v[4:5], off
	global_load_dwordx2 v[12:13], v[6:7], off
	s_andn2_b64 s[42:43], s[0:1], exec
	s_or_b64 s[34:35], s[34:35], exec
	s_waitcnt vmcnt(0)
	v_cmp_ngt_f64_e64 s[0:1], v[8:9], v[12:13]
	v_cmp_lt_f64_e32 vcc, v[8:9], v[12:13]
	s_and_b64 s[40:41], s[0:1], s[38:39]
	s_or_b64 s[40:41], vcc, s[40:41]
	s_xor_b64 s[44:45], vcc, s[0:1]
	s_and_b64 s[0:1], s[40:41], exec
	s_or_b64 s[0:1], s[42:43], s[0:1]
	s_and_saveexec_b64 s[42:43], s[44:45]
	s_cbranch_execz .LBB766_55
; %bb.57:                               ;   in Loop: Header=BB766_56 Depth=1
	s_add_u32 s36, s36, -1
	s_addc_u32 s37, s37, -1
	s_cmp_eq_u64 s[36:37], 0
	s_cselect_b64 s[38:39], -1, 0
	s_andn2_b64 s[34:35], s[34:35], exec
	s_and_b64 s[38:39], s[38:39], exec
	v_lshl_add_u64 v[4:5], v[4:5], 0, 8
	v_lshl_add_u64 v[6:7], v[6:7], 0, 8
	s_andn2_b64 s[0:1], s[0:1], exec
	s_or_b64 s[34:35], s[34:35], s[38:39]
                                        ; implicit-def: $sgpr38_sgpr39
	s_branch .LBB766_55
.LBB766_58:
	s_or_b64 exec, exec, s[28:29]
	s_xor_b64 s[0:1], s[30:31], -1
	s_andn2_b64 s[22:23], s[22:23], exec
	s_and_b64 s[0:1], s[0:1], exec
	s_or_b64 s[22:23], s[22:23], s[0:1]
.LBB766_59:
	s_or_b64 exec, exec, s[26:27]
	s_orn2_b64 s[22:23], s[22:23], exec
.LBB766_60:
	s_or_b64 exec, exec, s[24:25]
	v_mov_b32_e32 v5, s33
	v_mov_b32_e32 v6, s5
	v_cndmask_b32_e64 v4, v10, v11, s[22:23]
	v_cndmask_b32_e64 v5, v5, v6, s[22:23]
	v_add_u32_e32 v6, 1, v4
	v_add_u32_e32 v4, -1, v5
	v_min_u32_e32 v4, v6, v4
	v_lshlrev_b32_e32 v4, 3, v4
	ds_read_b64 v[4:5], v4
	v_cndmask_b32_e64 v12, v6, v10, s[22:23]
	v_cndmask_b32_e64 v13, v11, v6, s[22:23]
	v_cmp_gt_u32_e32 vcc, s33, v12
	s_mov_b64 s[26:27], -1
	s_waitcnt lgkmcnt(0)
	v_cndmask_b32_e64 v8, v5, v22, s[22:23]
	v_cndmask_b32_e64 v26, v4, v23, s[22:23]
	;; [unrolled: 1-line block ×4, first 2 shown]
	s_mov_b64 s[24:25], -1
	s_and_saveexec_b64 s[28:29], vcc
	s_cbranch_execz .LBB766_68
; %bb.61:
	v_cmp_gt_u32_e64 s[24:25], s5, v13
	s_xor_b64 s[0:1], s[18:19], -1
	s_and_b64 s[0:1], s[24:25], s[0:1]
	s_and_saveexec_b64 s[30:31], s[0:1]
	s_cbranch_execz .LBB766_67
; %bb.62:
	v_mul_lo_u32 v6, v8, s12
	v_mul_lo_u32 v7, v26, s13
	v_mad_u64_u32 v[4:5], s[0:1], v26, s12, 0
	v_add3_u32 v5, v5, v7, v6
	v_mul_lo_u32 v10, v9, s12
	v_mul_lo_u32 v11, v27, s13
	v_mad_u64_u32 v[6:7], s[0:1], v27, s12, 0
	v_add3_u32 v7, v7, v11, v10
	v_lshl_add_u64 v[4:5], v[4:5], 3, s[14:15]
	v_lshl_add_u64 v[6:7], v[6:7], 3, s[14:15]
	s_mov_b64 s[34:35], 0
	s_mov_b64 s[40:41], s[12:13]
                                        ; implicit-def: $sgpr36_sgpr37
                                        ; implicit-def: $sgpr38_sgpr39
                                        ; implicit-def: $sgpr0_sgpr1
                                        ; implicit-def: $sgpr42_sgpr43
	s_branch .LBB766_64
.LBB766_63:                             ;   in Loop: Header=BB766_64 Depth=1
	s_or_b64 exec, exec, s[46:47]
	s_and_b64 s[46:47], exec, s[38:39]
	s_or_b64 s[34:35], s[46:47], s[34:35]
	s_andn2_b64 s[42:43], s[42:43], exec
	s_and_b64 s[44:45], s[44:45], exec
	s_or_b64 s[42:43], s[42:43], s[44:45]
	s_andn2_b64 s[36:37], s[36:37], exec
	s_and_b64 s[44:45], s[0:1], exec
	s_or_b64 s[36:37], s[36:37], s[44:45]
	s_andn2_b64 exec, exec, s[34:35]
	s_cbranch_execz .LBB766_66
.LBB766_64:                             ; =>This Inner Loop Header: Depth=1
	global_load_dwordx2 v[10:11], v[4:5], off
	global_load_dwordx2 v[14:15], v[6:7], off
	s_andn2_b64 s[46:47], s[0:1], exec
	s_or_b64 s[38:39], s[38:39], exec
	s_waitcnt vmcnt(0)
	v_cmp_ngt_f64_e64 s[0:1], v[10:11], v[14:15]
	v_cmp_lt_f64_e32 vcc, v[10:11], v[14:15]
	s_and_b64 s[44:45], s[0:1], s[42:43]
	s_or_b64 s[44:45], vcc, s[44:45]
	s_xor_b64 s[48:49], vcc, s[0:1]
	s_and_b64 s[0:1], s[44:45], exec
	s_or_b64 s[0:1], s[46:47], s[0:1]
	s_and_saveexec_b64 s[46:47], s[48:49]
	s_cbranch_execz .LBB766_63
; %bb.65:                               ;   in Loop: Header=BB766_64 Depth=1
	s_add_u32 s40, s40, -1
	s_addc_u32 s41, s41, -1
	s_cmp_eq_u64 s[40:41], 0
	s_cselect_b64 s[42:43], -1, 0
	s_andn2_b64 s[38:39], s[38:39], exec
	s_and_b64 s[42:43], s[42:43], exec
	v_lshl_add_u64 v[4:5], v[4:5], 0, 8
	v_lshl_add_u64 v[6:7], v[6:7], 0, 8
	s_andn2_b64 s[0:1], s[0:1], exec
	s_or_b64 s[38:39], s[38:39], s[42:43]
                                        ; implicit-def: $sgpr42_sgpr43
	s_branch .LBB766_63
.LBB766_66:
	s_or_b64 exec, exec, s[34:35]
	s_xor_b64 s[0:1], s[36:37], -1
	s_andn2_b64 s[24:25], s[24:25], exec
	s_and_b64 s[0:1], s[0:1], exec
	s_or_b64 s[24:25], s[24:25], s[0:1]
.LBB766_67:
	s_or_b64 exec, exec, s[30:31]
	s_orn2_b64 s[24:25], s[24:25], exec
.LBB766_68:
	s_or_b64 exec, exec, s[28:29]
	v_mov_b32_e32 v5, s33
	v_mov_b32_e32 v6, s5
	v_cndmask_b32_e64 v4, v12, v13, s[24:25]
	v_cndmask_b32_e64 v5, v5, v6, s[24:25]
	v_add_u32_e32 v6, 1, v4
	v_add_u32_e32 v4, -1, v5
	v_min_u32_e32 v4, v6, v4
	v_lshlrev_b32_e32 v4, 3, v4
	ds_read_b64 v[4:5], v4
	v_cndmask_b32_e64 v14, v6, v12, s[24:25]
	v_cndmask_b32_e64 v15, v13, v6, s[24:25]
	v_cmp_gt_u32_e32 vcc, s33, v14
	s_waitcnt lgkmcnt(0)
	v_cndmask_b32_e64 v10, v5, v8, s[24:25]
	v_cndmask_b32_e64 v28, v4, v26, s[24:25]
	;; [unrolled: 1-line block ×4, first 2 shown]
	s_and_saveexec_b64 s[28:29], vcc
	s_cbranch_execz .LBB766_76
; %bb.69:
	v_cmp_gt_u32_e64 s[26:27], s5, v15
	s_xor_b64 s[0:1], s[18:19], -1
	s_and_b64 s[0:1], s[26:27], s[0:1]
	s_and_saveexec_b64 s[30:31], s[0:1]
	s_cbranch_execz .LBB766_75
; %bb.70:
	v_mul_lo_u32 v6, v10, s12
	v_mul_lo_u32 v7, v28, s13
	v_mad_u64_u32 v[4:5], s[0:1], v28, s12, 0
	v_add3_u32 v5, v5, v7, v6
	v_mul_lo_u32 v12, v11, s12
	v_mul_lo_u32 v13, v29, s13
	v_mad_u64_u32 v[6:7], s[0:1], v29, s12, 0
	v_add3_u32 v7, v7, v13, v12
	v_lshl_add_u64 v[4:5], v[4:5], 3, s[14:15]
	v_lshl_add_u64 v[6:7], v[6:7], 3, s[14:15]
	s_mov_b64 s[34:35], 0
	s_mov_b64 s[40:41], s[12:13]
                                        ; implicit-def: $sgpr36_sgpr37
                                        ; implicit-def: $sgpr38_sgpr39
                                        ; implicit-def: $sgpr0_sgpr1
                                        ; implicit-def: $sgpr42_sgpr43
	s_branch .LBB766_72
.LBB766_71:                             ;   in Loop: Header=BB766_72 Depth=1
	s_or_b64 exec, exec, s[46:47]
	s_and_b64 s[46:47], exec, s[38:39]
	s_or_b64 s[34:35], s[46:47], s[34:35]
	s_andn2_b64 s[42:43], s[42:43], exec
	s_and_b64 s[44:45], s[44:45], exec
	s_or_b64 s[42:43], s[42:43], s[44:45]
	s_andn2_b64 s[36:37], s[36:37], exec
	s_and_b64 s[44:45], s[0:1], exec
	s_or_b64 s[36:37], s[36:37], s[44:45]
	s_andn2_b64 exec, exec, s[34:35]
	s_cbranch_execz .LBB766_74
.LBB766_72:                             ; =>This Inner Loop Header: Depth=1
	global_load_dwordx2 v[12:13], v[4:5], off
	global_load_dwordx2 v[30:31], v[6:7], off
	s_andn2_b64 s[46:47], s[0:1], exec
	s_or_b64 s[38:39], s[38:39], exec
	s_waitcnt vmcnt(0)
	v_cmp_ngt_f64_e64 s[0:1], v[12:13], v[30:31]
	v_cmp_lt_f64_e32 vcc, v[12:13], v[30:31]
	s_and_b64 s[44:45], s[0:1], s[42:43]
	s_or_b64 s[44:45], vcc, s[44:45]
	s_xor_b64 s[48:49], vcc, s[0:1]
	s_and_b64 s[0:1], s[44:45], exec
	s_or_b64 s[0:1], s[46:47], s[0:1]
	s_and_saveexec_b64 s[46:47], s[48:49]
	s_cbranch_execz .LBB766_71
; %bb.73:                               ;   in Loop: Header=BB766_72 Depth=1
	s_add_u32 s40, s40, -1
	s_addc_u32 s41, s41, -1
	s_cmp_eq_u64 s[40:41], 0
	s_cselect_b64 s[42:43], -1, 0
	s_andn2_b64 s[38:39], s[38:39], exec
	s_and_b64 s[42:43], s[42:43], exec
	v_lshl_add_u64 v[4:5], v[4:5], 0, 8
	v_lshl_add_u64 v[6:7], v[6:7], 0, 8
	s_andn2_b64 s[0:1], s[0:1], exec
	s_or_b64 s[38:39], s[38:39], s[42:43]
                                        ; implicit-def: $sgpr42_sgpr43
	s_branch .LBB766_71
.LBB766_74:
	s_or_b64 exec, exec, s[34:35]
	s_xor_b64 s[0:1], s[36:37], -1
	s_andn2_b64 s[26:27], s[26:27], exec
	s_and_b64 s[0:1], s[0:1], exec
	s_or_b64 s[26:27], s[26:27], s[0:1]
.LBB766_75:
	s_or_b64 exec, exec, s[30:31]
	s_orn2_b64 s[26:27], s[26:27], exec
.LBB766_76:
	s_or_b64 exec, exec, s[28:29]
	v_mov_b32_e32 v5, s33
	v_mov_b32_e32 v6, s5
	v_cndmask_b32_e64 v4, v14, v15, s[26:27]
	v_cndmask_b32_e64 v5, v5, v6, s[26:27]
	v_add_u32_e32 v6, 1, v4
	v_add_u32_e32 v4, -1, v5
	v_min_u32_e32 v4, v6, v4
	v_lshlrev_b32_e32 v4, 3, v4
	ds_read_b64 v[4:5], v4
	v_cndmask_b32_e64 v34, v6, v14, s[26:27]
	v_cndmask_b32_e64 v35, v15, v6, s[26:27]
	v_cmp_gt_u32_e32 vcc, s33, v34
	s_mov_b64 s[30:31], -1
	s_waitcnt lgkmcnt(0)
	v_cndmask_b32_e64 v12, v5, v10, s[26:27]
	v_cndmask_b32_e64 v30, v4, v28, s[26:27]
	;; [unrolled: 1-line block ×4, first 2 shown]
	s_mov_b64 s[28:29], -1
	s_and_saveexec_b64 s[34:35], vcc
	s_cbranch_execz .LBB766_84
; %bb.77:
	v_cmp_gt_u32_e64 s[28:29], s5, v35
	s_xor_b64 s[0:1], s[18:19], -1
	s_and_b64 s[0:1], s[28:29], s[0:1]
	s_and_saveexec_b64 s[36:37], s[0:1]
	s_cbranch_execz .LBB766_83
; %bb.78:
	v_mul_lo_u32 v6, v12, s12
	v_mul_lo_u32 v7, v30, s13
	v_mad_u64_u32 v[4:5], s[0:1], v30, s12, 0
	v_add3_u32 v5, v5, v7, v6
	v_mul_lo_u32 v14, v13, s12
	v_mul_lo_u32 v15, v31, s13
	v_mad_u64_u32 v[6:7], s[0:1], v31, s12, 0
	v_add3_u32 v7, v7, v15, v14
	v_lshl_add_u64 v[4:5], v[4:5], 3, s[14:15]
	v_lshl_add_u64 v[6:7], v[6:7], 3, s[14:15]
	s_mov_b64 s[38:39], 0
	s_mov_b64 s[44:45], s[12:13]
                                        ; implicit-def: $sgpr40_sgpr41
                                        ; implicit-def: $sgpr42_sgpr43
                                        ; implicit-def: $sgpr0_sgpr1
                                        ; implicit-def: $sgpr46_sgpr47
	s_branch .LBB766_80
.LBB766_79:                             ;   in Loop: Header=BB766_80 Depth=1
	s_or_b64 exec, exec, s[50:51]
	s_and_b64 s[50:51], exec, s[42:43]
	s_or_b64 s[38:39], s[50:51], s[38:39]
	s_andn2_b64 s[46:47], s[46:47], exec
	s_and_b64 s[48:49], s[48:49], exec
	s_or_b64 s[46:47], s[46:47], s[48:49]
	s_andn2_b64 s[40:41], s[40:41], exec
	s_and_b64 s[48:49], s[0:1], exec
	s_or_b64 s[40:41], s[40:41], s[48:49]
	s_andn2_b64 exec, exec, s[38:39]
	s_cbranch_execz .LBB766_82
.LBB766_80:                             ; =>This Inner Loop Header: Depth=1
	global_load_dwordx2 v[14:15], v[4:5], off
	global_load_dwordx2 v[32:33], v[6:7], off
	s_andn2_b64 s[50:51], s[0:1], exec
	s_or_b64 s[42:43], s[42:43], exec
	s_waitcnt vmcnt(0)
	v_cmp_ngt_f64_e64 s[0:1], v[14:15], v[32:33]
	v_cmp_lt_f64_e32 vcc, v[14:15], v[32:33]
	s_and_b64 s[48:49], s[0:1], s[46:47]
	s_or_b64 s[48:49], vcc, s[48:49]
	s_xor_b64 s[52:53], vcc, s[0:1]
	s_and_b64 s[0:1], s[48:49], exec
	s_or_b64 s[0:1], s[50:51], s[0:1]
	s_and_saveexec_b64 s[50:51], s[52:53]
	s_cbranch_execz .LBB766_79
; %bb.81:                               ;   in Loop: Header=BB766_80 Depth=1
	s_add_u32 s44, s44, -1
	s_addc_u32 s45, s45, -1
	s_cmp_eq_u64 s[44:45], 0
	s_cselect_b64 s[46:47], -1, 0
	s_andn2_b64 s[42:43], s[42:43], exec
	s_and_b64 s[46:47], s[46:47], exec
	v_lshl_add_u64 v[4:5], v[4:5], 0, 8
	v_lshl_add_u64 v[6:7], v[6:7], 0, 8
	s_andn2_b64 s[0:1], s[0:1], exec
	s_or_b64 s[42:43], s[42:43], s[46:47]
                                        ; implicit-def: $sgpr46_sgpr47
	s_branch .LBB766_79
.LBB766_82:
	s_or_b64 exec, exec, s[38:39]
	s_xor_b64 s[0:1], s[40:41], -1
	s_andn2_b64 s[28:29], s[28:29], exec
	s_and_b64 s[0:1], s[0:1], exec
	s_or_b64 s[28:29], s[28:29], s[0:1]
.LBB766_83:
	s_or_b64 exec, exec, s[36:37]
	s_orn2_b64 s[28:29], s[28:29], exec
.LBB766_84:
	s_or_b64 exec, exec, s[34:35]
	v_mov_b32_e32 v5, s33
	v_mov_b32_e32 v6, s5
	v_cndmask_b32_e64 v4, v34, v35, s[28:29]
	v_cndmask_b32_e64 v5, v5, v6, s[28:29]
	v_add_u32_e32 v6, 1, v4
	v_add_u32_e32 v4, -1, v5
	v_min_u32_e32 v4, v6, v4
	v_lshlrev_b32_e32 v4, 3, v4
	ds_read_b64 v[4:5], v4
	v_cndmask_b32_e64 v39, v6, v34, s[28:29]
	v_cndmask_b32_e64 v38, v35, v6, s[28:29]
	v_cmp_gt_u32_e32 vcc, s33, v39
	s_waitcnt lgkmcnt(0)
	v_cndmask_b32_e64 v14, v5, v12, s[28:29]
	v_cndmask_b32_e64 v32, v4, v30, s[28:29]
	;; [unrolled: 1-line block ×4, first 2 shown]
	s_and_saveexec_b64 s[34:35], vcc
	s_cbranch_execz .LBB766_92
; %bb.85:
	v_cmp_gt_u32_e64 s[30:31], s5, v38
	s_xor_b64 s[0:1], s[18:19], -1
	s_and_b64 s[0:1], s[30:31], s[0:1]
	s_and_saveexec_b64 s[36:37], s[0:1]
	s_cbranch_execz .LBB766_91
; %bb.86:
	v_mul_lo_u32 v6, v14, s12
	v_mul_lo_u32 v7, v32, s13
	v_mad_u64_u32 v[4:5], s[0:1], v32, s12, 0
	v_add3_u32 v5, v5, v7, v6
	v_mul_lo_u32 v34, v15, s12
	v_mul_lo_u32 v35, v33, s13
	v_mad_u64_u32 v[6:7], s[0:1], v33, s12, 0
	v_add3_u32 v7, v7, v35, v34
	v_lshl_add_u64 v[4:5], v[4:5], 3, s[14:15]
	v_lshl_add_u64 v[6:7], v[6:7], 3, s[14:15]
	s_mov_b64 s[38:39], 0
	s_mov_b64 s[44:45], s[12:13]
                                        ; implicit-def: $sgpr40_sgpr41
                                        ; implicit-def: $sgpr42_sgpr43
                                        ; implicit-def: $sgpr0_sgpr1
                                        ; implicit-def: $sgpr46_sgpr47
	s_branch .LBB766_88
.LBB766_87:                             ;   in Loop: Header=BB766_88 Depth=1
	s_or_b64 exec, exec, s[50:51]
	s_and_b64 s[50:51], exec, s[42:43]
	s_or_b64 s[38:39], s[50:51], s[38:39]
	s_andn2_b64 s[46:47], s[46:47], exec
	s_and_b64 s[48:49], s[48:49], exec
	s_or_b64 s[46:47], s[46:47], s[48:49]
	s_andn2_b64 s[40:41], s[40:41], exec
	s_and_b64 s[48:49], s[0:1], exec
	s_or_b64 s[40:41], s[40:41], s[48:49]
	s_andn2_b64 exec, exec, s[38:39]
	s_cbranch_execz .LBB766_90
.LBB766_88:                             ; =>This Inner Loop Header: Depth=1
	global_load_dwordx2 v[34:35], v[4:5], off
	global_load_dwordx2 v[36:37], v[6:7], off
	s_andn2_b64 s[50:51], s[0:1], exec
	s_or_b64 s[42:43], s[42:43], exec
	s_waitcnt vmcnt(0)
	v_cmp_ngt_f64_e64 s[0:1], v[34:35], v[36:37]
	v_cmp_lt_f64_e32 vcc, v[34:35], v[36:37]
	s_and_b64 s[48:49], s[0:1], s[46:47]
	s_or_b64 s[48:49], vcc, s[48:49]
	s_xor_b64 s[52:53], vcc, s[0:1]
	s_and_b64 s[0:1], s[48:49], exec
	s_or_b64 s[0:1], s[50:51], s[0:1]
	s_and_saveexec_b64 s[50:51], s[52:53]
	s_cbranch_execz .LBB766_87
; %bb.89:                               ;   in Loop: Header=BB766_88 Depth=1
	s_add_u32 s44, s44, -1
	s_addc_u32 s45, s45, -1
	s_cmp_eq_u64 s[44:45], 0
	s_cselect_b64 s[46:47], -1, 0
	s_andn2_b64 s[42:43], s[42:43], exec
	s_and_b64 s[46:47], s[46:47], exec
	v_lshl_add_u64 v[4:5], v[4:5], 0, 8
	v_lshl_add_u64 v[6:7], v[6:7], 0, 8
	s_andn2_b64 s[0:1], s[0:1], exec
	s_or_b64 s[42:43], s[42:43], s[46:47]
                                        ; implicit-def: $sgpr46_sgpr47
	s_branch .LBB766_87
.LBB766_90:
	s_or_b64 exec, exec, s[38:39]
	s_xor_b64 s[0:1], s[40:41], -1
	s_andn2_b64 s[30:31], s[30:31], exec
	s_and_b64 s[0:1], s[0:1], exec
	s_or_b64 s[30:31], s[30:31], s[0:1]
.LBB766_91:
	s_or_b64 exec, exec, s[36:37]
	s_orn2_b64 s[30:31], s[30:31], exec
.LBB766_92:
	s_or_b64 exec, exec, s[34:35]
	v_mov_b32_e32 v5, s33
	v_mov_b32_e32 v6, s5
	v_cndmask_b32_e64 v4, v39, v38, s[30:31]
	v_cndmask_b32_e64 v5, v5, v6, s[30:31]
	v_add_u32_e32 v4, 1, v4
	v_add_u32_e32 v5, -1, v5
	v_min_u32_e32 v5, v4, v5
	v_lshlrev_b32_e32 v5, 3, v5
	ds_read_b64 v[6:7], v5
	v_cndmask_b32_e64 v5, v4, v39, s[30:31]
	v_cmp_gt_u32_e32 vcc, s33, v5
	s_mov_b64 s[0:1], -1
	s_waitcnt lgkmcnt(0)
	v_cndmask_b32_e64 v34, v7, v14, s[30:31]
	v_cndmask_b32_e64 v35, v6, v32, s[30:31]
	;; [unrolled: 1-line block ×4, first 2 shown]
	s_and_saveexec_b64 s[34:35], vcc
	s_cbranch_execz .LBB766_100
; %bb.93:
	v_cndmask_b32_e64 v4, v38, v4, s[30:31]
	v_cmp_gt_u32_e64 s[36:37], s5, v4
	s_xor_b64 s[0:1], s[18:19], -1
	s_and_b64 s[0:1], s[36:37], s[0:1]
	s_and_saveexec_b64 s[18:19], s[0:1]
	s_cbranch_execz .LBB766_99
; %bb.94:
	v_mul_lo_u32 v6, v34, s12
	v_mul_lo_u32 v7, v35, s13
	v_mad_u64_u32 v[4:5], s[0:1], v35, s12, 0
	v_add3_u32 v5, v5, v7, v6
	v_mul_lo_u32 v38, v36, s12
	v_mul_lo_u32 v39, v37, s13
	v_mad_u64_u32 v[6:7], s[0:1], v37, s12, 0
	v_add3_u32 v7, v7, v39, v38
	v_lshl_add_u64 v[4:5], v[4:5], 3, s[14:15]
	v_lshl_add_u64 v[6:7], v[6:7], 3, s[14:15]
	s_mov_b64 s[14:15], 0
                                        ; implicit-def: $sgpr38_sgpr39
                                        ; implicit-def: $sgpr40_sgpr41
                                        ; implicit-def: $sgpr0_sgpr1
                                        ; implicit-def: $sgpr42_sgpr43
	s_branch .LBB766_96
.LBB766_95:                             ;   in Loop: Header=BB766_96 Depth=1
	s_or_b64 exec, exec, s[46:47]
	s_and_b64 s[46:47], exec, s[40:41]
	s_or_b64 s[14:15], s[46:47], s[14:15]
	s_andn2_b64 s[42:43], s[42:43], exec
	s_and_b64 s[44:45], s[44:45], exec
	s_or_b64 s[42:43], s[42:43], s[44:45]
	s_andn2_b64 s[38:39], s[38:39], exec
	s_and_b64 s[44:45], s[0:1], exec
	s_or_b64 s[38:39], s[38:39], s[44:45]
	s_andn2_b64 exec, exec, s[14:15]
	s_cbranch_execz .LBB766_98
.LBB766_96:                             ; =>This Inner Loop Header: Depth=1
	global_load_dwordx2 v[38:39], v[4:5], off
	global_load_dwordx2 v[40:41], v[6:7], off
	s_andn2_b64 s[46:47], s[0:1], exec
	s_or_b64 s[40:41], s[40:41], exec
	s_waitcnt vmcnt(0)
	v_cmp_ngt_f64_e64 s[0:1], v[38:39], v[40:41]
	v_cmp_lt_f64_e32 vcc, v[38:39], v[40:41]
	s_and_b64 s[44:45], s[0:1], s[42:43]
	s_or_b64 s[44:45], vcc, s[44:45]
	s_xor_b64 s[48:49], vcc, s[0:1]
	s_and_b64 s[0:1], s[44:45], exec
	s_or_b64 s[0:1], s[46:47], s[0:1]
	s_and_saveexec_b64 s[46:47], s[48:49]
	s_cbranch_execz .LBB766_95
; %bb.97:                               ;   in Loop: Header=BB766_96 Depth=1
	s_add_u32 s12, s12, -1
	s_addc_u32 s13, s13, -1
	s_cmp_eq_u64 s[12:13], 0
	s_cselect_b64 s[42:43], -1, 0
	s_andn2_b64 s[40:41], s[40:41], exec
	s_and_b64 s[42:43], s[42:43], exec
	v_lshl_add_u64 v[4:5], v[4:5], 0, 8
	v_lshl_add_u64 v[6:7], v[6:7], 0, 8
	s_andn2_b64 s[0:1], s[0:1], exec
	s_or_b64 s[40:41], s[40:41], s[42:43]
                                        ; implicit-def: $sgpr42_sgpr43
	s_branch .LBB766_95
.LBB766_98:
	s_or_b64 exec, exec, s[14:15]
	s_xor_b64 s[0:1], s[38:39], -1
	s_andn2_b64 s[12:13], s[36:37], exec
	s_and_b64 s[0:1], s[0:1], exec
	s_or_b64 s[36:37], s[12:13], s[0:1]
.LBB766_99:
	s_or_b64 exec, exec, s[18:19]
	s_orn2_b64 s[0:1], s[36:37], exec
.LBB766_100:
	s_or_b64 exec, exec, s[34:35]
	v_cndmask_b32_e64 v15, v14, v15, s[30:31]
	v_cndmask_b32_e64 v14, v32, v33, s[30:31]
	;; [unrolled: 1-line block ×16, first 2 shown]
.LBB766_101:
	s_or_b64 exec, exec, s[8:9]
	v_lshrrev_b32_e32 v1, 2, v0
	v_lshlrev_b32_e32 v19, 3, v18
	v_lshl_add_u32 v19, v1, 3, v19
	v_and_b32_e32 v1, 24, v1
	v_or_b32_e32 v23, 0x80, v0
	v_add_u32_e32 v24, v1, v18
	v_lshrrev_b32_e32 v1, 2, v23
	v_and_b32_e32 v1, 56, v1
	v_or_b32_e32 v22, 0x100, v0
	s_barrier
	s_barrier
	ds_write2_b64 v19, v[2:3], v[4:5] offset1:1
	ds_write2_b64 v19, v[6:7], v[8:9] offset0:2 offset1:3
	ds_write2_b64 v19, v[10:11], v[12:13] offset0:4 offset1:5
	;; [unrolled: 1-line block ×3, first 2 shown]
	v_add_u32_e32 v4, v1, v18
	v_lshrrev_b32_e32 v1, 2, v22
	v_and_b32_e32 v1, 0x58, v1
	v_or_b32_e32 v21, 0x180, v0
	v_add_u32_e32 v5, v1, v18
	v_lshrrev_b32_e32 v1, 2, v21
	v_and_b32_e32 v1, 0x78, v1
	v_or_b32_e32 v20, 0x200, v0
	;; [unrolled: 4-line block ×4, first 2 shown]
	v_add_u32_e32 v25, v1, v18
	v_lshrrev_b32_e32 v1, 2, v16
	v_and_b32_e32 v1, 0xd8, v1
	s_lshl_b64 s[0:1], s[16:17], 3
	v_add_u32_e32 v26, v1, v18
	v_or_b32_e32 v1, 0x380, v0
	s_add_u32 s0, s10, s0
	v_lshrrev_b32_e32 v2, 2, v1
	s_addc_u32 s1, s11, s1
	v_and_b32_e32 v2, 0xf8, v2
	v_mov_b32_e32 v19, 0
	v_add_u32_e32 v27, v2, v18
	v_lshl_add_u64 v[2:3], s[0:1], 0, v[18:19]
	s_and_b64 vcc, exec, s[6:7]
	s_waitcnt lgkmcnt(0)
	s_cbranch_vccz .LBB766_103
; %bb.102:
	s_barrier
	ds_read_b64 v[8:9], v24
	ds_read_b64 v[10:11], v4 offset:1024
	ds_read_b64 v[12:13], v5 offset:2048
	;; [unrolled: 1-line block ×7, first 2 shown]
	s_waitcnt lgkmcnt(7)
	global_store_dwordx2 v[2:3], v[8:9], off
	s_waitcnt lgkmcnt(6)
	global_store_dwordx2 v[2:3], v[10:11], off offset:1024
	s_waitcnt lgkmcnt(5)
	global_store_dwordx2 v[2:3], v[12:13], off offset:2048
	;; [unrolled: 2-line block ×3, first 2 shown]
	v_add_co_u32_e32 v8, vcc, 0x1000, v2
	s_nop 1
	v_addc_co_u32_e32 v9, vcc, 0, v3, vcc
	s_waitcnt lgkmcnt(3)
	global_store_dwordx2 v[8:9], v[28:29], off
	s_waitcnt lgkmcnt(2)
	global_store_dwordx2 v[8:9], v[30:31], off offset:1024
	s_waitcnt lgkmcnt(1)
	global_store_dwordx2 v[8:9], v[32:33], off offset:2048
	s_mov_b64 s[0:1], -1
	s_cbranch_execz .LBB766_104
	s_branch .LBB766_113
.LBB766_103:
	s_mov_b64 s[0:1], 0
                                        ; implicit-def: $vgpr18_vgpr19
.LBB766_104:
	s_barrier
	s_waitcnt lgkmcnt(0)
	ds_read_b64 v[14:15], v4 offset:1024
	ds_read_b64 v[12:13], v5 offset:2048
	;; [unrolled: 1-line block ×7, first 2 shown]
	s_sub_i32 s2, s4, s16
	v_cmp_gt_u32_e32 vcc, s2, v0
	s_and_saveexec_b64 s[0:1], vcc
	s_cbranch_execnz .LBB766_116
; %bb.105:
	s_or_b64 exec, exec, s[0:1]
	v_cmp_gt_u32_e32 vcc, s2, v23
	s_and_saveexec_b64 s[0:1], vcc
	s_cbranch_execnz .LBB766_117
.LBB766_106:
	s_or_b64 exec, exec, s[0:1]
	v_cmp_gt_u32_e32 vcc, s2, v22
	s_and_saveexec_b64 s[0:1], vcc
	s_cbranch_execnz .LBB766_118
.LBB766_107:
	s_or_b64 exec, exec, s[0:1]
	v_cmp_gt_u32_e32 vcc, s2, v21
	s_and_saveexec_b64 s[0:1], vcc
	s_cbranch_execnz .LBB766_119
.LBB766_108:
	s_or_b64 exec, exec, s[0:1]
	v_cmp_gt_u32_e32 vcc, s2, v20
	s_and_saveexec_b64 s[0:1], vcc
	s_cbranch_execnz .LBB766_120
.LBB766_109:
	s_or_b64 exec, exec, s[0:1]
	v_cmp_gt_u32_e32 vcc, s2, v17
	s_and_saveexec_b64 s[0:1], vcc
	s_cbranch_execnz .LBB766_121
.LBB766_110:
	s_or_b64 exec, exec, s[0:1]
	v_cmp_gt_u32_e32 vcc, s2, v16
	s_and_saveexec_b64 s[0:1], vcc
	s_cbranch_execz .LBB766_112
.LBB766_111:
	s_waitcnt lgkmcnt(2)
	v_add_co_u32_e32 v6, vcc, 0x1000, v2
	s_nop 1
	v_addc_co_u32_e32 v7, vcc, 0, v3, vcc
	s_waitcnt lgkmcnt(1)
	global_store_dwordx2 v[6:7], v[4:5], off offset:2048
.LBB766_112:
	s_or_b64 exec, exec, s[0:1]
	v_cmp_gt_u32_e64 s[0:1], s2, v1
.LBB766_113:
	s_and_saveexec_b64 s[2:3], s[0:1]
	s_cbranch_execz .LBB766_115
; %bb.114:
	v_add_co_u32_e32 v0, vcc, 0x1000, v2
	s_nop 1
	v_addc_co_u32_e32 v1, vcc, 0, v3, vcc
	s_waitcnt lgkmcnt(0)
	global_store_dwordx2 v[0:1], v[18:19], off offset:3072
.LBB766_115:
	s_endpgm
.LBB766_116:
	ds_read_b64 v[24:25], v24
	s_waitcnt lgkmcnt(0)
	global_store_dwordx2 v[2:3], v[24:25], off
	s_or_b64 exec, exec, s[0:1]
	v_cmp_gt_u32_e32 vcc, s2, v23
	s_and_saveexec_b64 s[0:1], vcc
	s_cbranch_execz .LBB766_106
.LBB766_117:
	s_waitcnt lgkmcnt(6)
	global_store_dwordx2 v[2:3], v[14:15], off offset:1024
	s_or_b64 exec, exec, s[0:1]
	v_cmp_gt_u32_e32 vcc, s2, v22
	s_and_saveexec_b64 s[0:1], vcc
	s_cbranch_execz .LBB766_107
.LBB766_118:
	s_waitcnt lgkmcnt(5)
	global_store_dwordx2 v[2:3], v[12:13], off offset:2048
	s_or_b64 exec, exec, s[0:1]
	v_cmp_gt_u32_e32 vcc, s2, v21
	s_and_saveexec_b64 s[0:1], vcc
	s_cbranch_execz .LBB766_108
.LBB766_119:
	s_waitcnt lgkmcnt(4)
	global_store_dwordx2 v[2:3], v[10:11], off offset:3072
	s_or_b64 exec, exec, s[0:1]
	v_cmp_gt_u32_e32 vcc, s2, v20
	s_and_saveexec_b64 s[0:1], vcc
	s_cbranch_execz .LBB766_109
.LBB766_120:
	s_waitcnt lgkmcnt(4)
	v_add_co_u32_e32 v10, vcc, 0x1000, v2
	s_nop 1
	v_addc_co_u32_e32 v11, vcc, 0, v3, vcc
	s_waitcnt lgkmcnt(3)
	global_store_dwordx2 v[10:11], v[8:9], off
	s_or_b64 exec, exec, s[0:1]
	v_cmp_gt_u32_e32 vcc, s2, v17
	s_and_saveexec_b64 s[0:1], vcc
	s_cbranch_execz .LBB766_110
.LBB766_121:
	s_waitcnt lgkmcnt(3)
	v_add_co_u32_e32 v8, vcc, 0x1000, v2
	s_nop 1
	v_addc_co_u32_e32 v9, vcc, 0, v3, vcc
	s_waitcnt lgkmcnt(2)
	global_store_dwordx2 v[8:9], v[6:7], off offset:1024
	s_or_b64 exec, exec, s[0:1]
	v_cmp_gt_u32_e32 vcc, s2, v16
	s_and_saveexec_b64 s[0:1], vcc
	s_cbranch_execnz .LBB766_111
	s_branch .LBB766_112
	.section	.rodata,"a",@progbits
	.p2align	6, 0x0
	.amdhsa_kernel _ZN7rocprim17ROCPRIM_400000_NS6detail17trampoline_kernelINS0_14default_configENS1_38merge_sort_block_merge_config_selectorIlNS0_10empty_typeEEEZZNS1_27merge_sort_block_merge_implIS3_PlPS5_mZN2at6native12_GLOBAL__N_124unique_dim_cuda_templateIdEESt5tupleIJNSA_6TensorESF_SF_EERKSF_lbbbEUlllE_EE10hipError_tT0_T1_T2_jT3_P12ihipStream_tbPNSt15iterator_traitsISL_E10value_typeEPNSR_ISM_E10value_typeEPSN_NS1_7vsmem_tEENKUlT_SL_SM_SN_E_clIS8_S8_S9_S9_EESK_S10_SL_SM_SN_EUlS10_E0_NS1_11comp_targetILNS1_3genE0ELNS1_11target_archE4294967295ELNS1_3gpuE0ELNS1_3repE0EEENS1_38merge_mergepath_config_static_selectorELNS0_4arch9wavefront6targetE1EEEvSM_
		.amdhsa_group_segment_fixed_size 8448
		.amdhsa_private_segment_fixed_size 0
		.amdhsa_kernarg_size 344
		.amdhsa_user_sgpr_count 2
		.amdhsa_user_sgpr_dispatch_ptr 0
		.amdhsa_user_sgpr_queue_ptr 0
		.amdhsa_user_sgpr_kernarg_segment_ptr 1
		.amdhsa_user_sgpr_dispatch_id 0
		.amdhsa_user_sgpr_kernarg_preload_length 0
		.amdhsa_user_sgpr_kernarg_preload_offset 0
		.amdhsa_user_sgpr_private_segment_size 0
		.amdhsa_uses_dynamic_stack 0
		.amdhsa_enable_private_segment 0
		.amdhsa_system_sgpr_workgroup_id_x 1
		.amdhsa_system_sgpr_workgroup_id_y 1
		.amdhsa_system_sgpr_workgroup_id_z 1
		.amdhsa_system_sgpr_workgroup_info 0
		.amdhsa_system_vgpr_workitem_id 0
		.amdhsa_next_free_vgpr 42
		.amdhsa_next_free_sgpr 54
		.amdhsa_accum_offset 44
		.amdhsa_reserve_vcc 1
		.amdhsa_float_round_mode_32 0
		.amdhsa_float_round_mode_16_64 0
		.amdhsa_float_denorm_mode_32 3
		.amdhsa_float_denorm_mode_16_64 3
		.amdhsa_dx10_clamp 1
		.amdhsa_ieee_mode 1
		.amdhsa_fp16_overflow 0
		.amdhsa_tg_split 0
		.amdhsa_exception_fp_ieee_invalid_op 0
		.amdhsa_exception_fp_denorm_src 0
		.amdhsa_exception_fp_ieee_div_zero 0
		.amdhsa_exception_fp_ieee_overflow 0
		.amdhsa_exception_fp_ieee_underflow 0
		.amdhsa_exception_fp_ieee_inexact 0
		.amdhsa_exception_int_div_zero 0
	.end_amdhsa_kernel
	.section	.text._ZN7rocprim17ROCPRIM_400000_NS6detail17trampoline_kernelINS0_14default_configENS1_38merge_sort_block_merge_config_selectorIlNS0_10empty_typeEEEZZNS1_27merge_sort_block_merge_implIS3_PlPS5_mZN2at6native12_GLOBAL__N_124unique_dim_cuda_templateIdEESt5tupleIJNSA_6TensorESF_SF_EERKSF_lbbbEUlllE_EE10hipError_tT0_T1_T2_jT3_P12ihipStream_tbPNSt15iterator_traitsISL_E10value_typeEPNSR_ISM_E10value_typeEPSN_NS1_7vsmem_tEENKUlT_SL_SM_SN_E_clIS8_S8_S9_S9_EESK_S10_SL_SM_SN_EUlS10_E0_NS1_11comp_targetILNS1_3genE0ELNS1_11target_archE4294967295ELNS1_3gpuE0ELNS1_3repE0EEENS1_38merge_mergepath_config_static_selectorELNS0_4arch9wavefront6targetE1EEEvSM_,"axG",@progbits,_ZN7rocprim17ROCPRIM_400000_NS6detail17trampoline_kernelINS0_14default_configENS1_38merge_sort_block_merge_config_selectorIlNS0_10empty_typeEEEZZNS1_27merge_sort_block_merge_implIS3_PlPS5_mZN2at6native12_GLOBAL__N_124unique_dim_cuda_templateIdEESt5tupleIJNSA_6TensorESF_SF_EERKSF_lbbbEUlllE_EE10hipError_tT0_T1_T2_jT3_P12ihipStream_tbPNSt15iterator_traitsISL_E10value_typeEPNSR_ISM_E10value_typeEPSN_NS1_7vsmem_tEENKUlT_SL_SM_SN_E_clIS8_S8_S9_S9_EESK_S10_SL_SM_SN_EUlS10_E0_NS1_11comp_targetILNS1_3genE0ELNS1_11target_archE4294967295ELNS1_3gpuE0ELNS1_3repE0EEENS1_38merge_mergepath_config_static_selectorELNS0_4arch9wavefront6targetE1EEEvSM_,comdat
.Lfunc_end766:
	.size	_ZN7rocprim17ROCPRIM_400000_NS6detail17trampoline_kernelINS0_14default_configENS1_38merge_sort_block_merge_config_selectorIlNS0_10empty_typeEEEZZNS1_27merge_sort_block_merge_implIS3_PlPS5_mZN2at6native12_GLOBAL__N_124unique_dim_cuda_templateIdEESt5tupleIJNSA_6TensorESF_SF_EERKSF_lbbbEUlllE_EE10hipError_tT0_T1_T2_jT3_P12ihipStream_tbPNSt15iterator_traitsISL_E10value_typeEPNSR_ISM_E10value_typeEPSN_NS1_7vsmem_tEENKUlT_SL_SM_SN_E_clIS8_S8_S9_S9_EESK_S10_SL_SM_SN_EUlS10_E0_NS1_11comp_targetILNS1_3genE0ELNS1_11target_archE4294967295ELNS1_3gpuE0ELNS1_3repE0EEENS1_38merge_mergepath_config_static_selectorELNS0_4arch9wavefront6targetE1EEEvSM_, .Lfunc_end766-_ZN7rocprim17ROCPRIM_400000_NS6detail17trampoline_kernelINS0_14default_configENS1_38merge_sort_block_merge_config_selectorIlNS0_10empty_typeEEEZZNS1_27merge_sort_block_merge_implIS3_PlPS5_mZN2at6native12_GLOBAL__N_124unique_dim_cuda_templateIdEESt5tupleIJNSA_6TensorESF_SF_EERKSF_lbbbEUlllE_EE10hipError_tT0_T1_T2_jT3_P12ihipStream_tbPNSt15iterator_traitsISL_E10value_typeEPNSR_ISM_E10value_typeEPSN_NS1_7vsmem_tEENKUlT_SL_SM_SN_E_clIS8_S8_S9_S9_EESK_S10_SL_SM_SN_EUlS10_E0_NS1_11comp_targetILNS1_3genE0ELNS1_11target_archE4294967295ELNS1_3gpuE0ELNS1_3repE0EEENS1_38merge_mergepath_config_static_selectorELNS0_4arch9wavefront6targetE1EEEvSM_
                                        ; -- End function
	.set _ZN7rocprim17ROCPRIM_400000_NS6detail17trampoline_kernelINS0_14default_configENS1_38merge_sort_block_merge_config_selectorIlNS0_10empty_typeEEEZZNS1_27merge_sort_block_merge_implIS3_PlPS5_mZN2at6native12_GLOBAL__N_124unique_dim_cuda_templateIdEESt5tupleIJNSA_6TensorESF_SF_EERKSF_lbbbEUlllE_EE10hipError_tT0_T1_T2_jT3_P12ihipStream_tbPNSt15iterator_traitsISL_E10value_typeEPNSR_ISM_E10value_typeEPSN_NS1_7vsmem_tEENKUlT_SL_SM_SN_E_clIS8_S8_S9_S9_EESK_S10_SL_SM_SN_EUlS10_E0_NS1_11comp_targetILNS1_3genE0ELNS1_11target_archE4294967295ELNS1_3gpuE0ELNS1_3repE0EEENS1_38merge_mergepath_config_static_selectorELNS0_4arch9wavefront6targetE1EEEvSM_.num_vgpr, 42
	.set _ZN7rocprim17ROCPRIM_400000_NS6detail17trampoline_kernelINS0_14default_configENS1_38merge_sort_block_merge_config_selectorIlNS0_10empty_typeEEEZZNS1_27merge_sort_block_merge_implIS3_PlPS5_mZN2at6native12_GLOBAL__N_124unique_dim_cuda_templateIdEESt5tupleIJNSA_6TensorESF_SF_EERKSF_lbbbEUlllE_EE10hipError_tT0_T1_T2_jT3_P12ihipStream_tbPNSt15iterator_traitsISL_E10value_typeEPNSR_ISM_E10value_typeEPSN_NS1_7vsmem_tEENKUlT_SL_SM_SN_E_clIS8_S8_S9_S9_EESK_S10_SL_SM_SN_EUlS10_E0_NS1_11comp_targetILNS1_3genE0ELNS1_11target_archE4294967295ELNS1_3gpuE0ELNS1_3repE0EEENS1_38merge_mergepath_config_static_selectorELNS0_4arch9wavefront6targetE1EEEvSM_.num_agpr, 0
	.set _ZN7rocprim17ROCPRIM_400000_NS6detail17trampoline_kernelINS0_14default_configENS1_38merge_sort_block_merge_config_selectorIlNS0_10empty_typeEEEZZNS1_27merge_sort_block_merge_implIS3_PlPS5_mZN2at6native12_GLOBAL__N_124unique_dim_cuda_templateIdEESt5tupleIJNSA_6TensorESF_SF_EERKSF_lbbbEUlllE_EE10hipError_tT0_T1_T2_jT3_P12ihipStream_tbPNSt15iterator_traitsISL_E10value_typeEPNSR_ISM_E10value_typeEPSN_NS1_7vsmem_tEENKUlT_SL_SM_SN_E_clIS8_S8_S9_S9_EESK_S10_SL_SM_SN_EUlS10_E0_NS1_11comp_targetILNS1_3genE0ELNS1_11target_archE4294967295ELNS1_3gpuE0ELNS1_3repE0EEENS1_38merge_mergepath_config_static_selectorELNS0_4arch9wavefront6targetE1EEEvSM_.numbered_sgpr, 54
	.set _ZN7rocprim17ROCPRIM_400000_NS6detail17trampoline_kernelINS0_14default_configENS1_38merge_sort_block_merge_config_selectorIlNS0_10empty_typeEEEZZNS1_27merge_sort_block_merge_implIS3_PlPS5_mZN2at6native12_GLOBAL__N_124unique_dim_cuda_templateIdEESt5tupleIJNSA_6TensorESF_SF_EERKSF_lbbbEUlllE_EE10hipError_tT0_T1_T2_jT3_P12ihipStream_tbPNSt15iterator_traitsISL_E10value_typeEPNSR_ISM_E10value_typeEPSN_NS1_7vsmem_tEENKUlT_SL_SM_SN_E_clIS8_S8_S9_S9_EESK_S10_SL_SM_SN_EUlS10_E0_NS1_11comp_targetILNS1_3genE0ELNS1_11target_archE4294967295ELNS1_3gpuE0ELNS1_3repE0EEENS1_38merge_mergepath_config_static_selectorELNS0_4arch9wavefront6targetE1EEEvSM_.num_named_barrier, 0
	.set _ZN7rocprim17ROCPRIM_400000_NS6detail17trampoline_kernelINS0_14default_configENS1_38merge_sort_block_merge_config_selectorIlNS0_10empty_typeEEEZZNS1_27merge_sort_block_merge_implIS3_PlPS5_mZN2at6native12_GLOBAL__N_124unique_dim_cuda_templateIdEESt5tupleIJNSA_6TensorESF_SF_EERKSF_lbbbEUlllE_EE10hipError_tT0_T1_T2_jT3_P12ihipStream_tbPNSt15iterator_traitsISL_E10value_typeEPNSR_ISM_E10value_typeEPSN_NS1_7vsmem_tEENKUlT_SL_SM_SN_E_clIS8_S8_S9_S9_EESK_S10_SL_SM_SN_EUlS10_E0_NS1_11comp_targetILNS1_3genE0ELNS1_11target_archE4294967295ELNS1_3gpuE0ELNS1_3repE0EEENS1_38merge_mergepath_config_static_selectorELNS0_4arch9wavefront6targetE1EEEvSM_.private_seg_size, 0
	.set _ZN7rocprim17ROCPRIM_400000_NS6detail17trampoline_kernelINS0_14default_configENS1_38merge_sort_block_merge_config_selectorIlNS0_10empty_typeEEEZZNS1_27merge_sort_block_merge_implIS3_PlPS5_mZN2at6native12_GLOBAL__N_124unique_dim_cuda_templateIdEESt5tupleIJNSA_6TensorESF_SF_EERKSF_lbbbEUlllE_EE10hipError_tT0_T1_T2_jT3_P12ihipStream_tbPNSt15iterator_traitsISL_E10value_typeEPNSR_ISM_E10value_typeEPSN_NS1_7vsmem_tEENKUlT_SL_SM_SN_E_clIS8_S8_S9_S9_EESK_S10_SL_SM_SN_EUlS10_E0_NS1_11comp_targetILNS1_3genE0ELNS1_11target_archE4294967295ELNS1_3gpuE0ELNS1_3repE0EEENS1_38merge_mergepath_config_static_selectorELNS0_4arch9wavefront6targetE1EEEvSM_.uses_vcc, 1
	.set _ZN7rocprim17ROCPRIM_400000_NS6detail17trampoline_kernelINS0_14default_configENS1_38merge_sort_block_merge_config_selectorIlNS0_10empty_typeEEEZZNS1_27merge_sort_block_merge_implIS3_PlPS5_mZN2at6native12_GLOBAL__N_124unique_dim_cuda_templateIdEESt5tupleIJNSA_6TensorESF_SF_EERKSF_lbbbEUlllE_EE10hipError_tT0_T1_T2_jT3_P12ihipStream_tbPNSt15iterator_traitsISL_E10value_typeEPNSR_ISM_E10value_typeEPSN_NS1_7vsmem_tEENKUlT_SL_SM_SN_E_clIS8_S8_S9_S9_EESK_S10_SL_SM_SN_EUlS10_E0_NS1_11comp_targetILNS1_3genE0ELNS1_11target_archE4294967295ELNS1_3gpuE0ELNS1_3repE0EEENS1_38merge_mergepath_config_static_selectorELNS0_4arch9wavefront6targetE1EEEvSM_.uses_flat_scratch, 0
	.set _ZN7rocprim17ROCPRIM_400000_NS6detail17trampoline_kernelINS0_14default_configENS1_38merge_sort_block_merge_config_selectorIlNS0_10empty_typeEEEZZNS1_27merge_sort_block_merge_implIS3_PlPS5_mZN2at6native12_GLOBAL__N_124unique_dim_cuda_templateIdEESt5tupleIJNSA_6TensorESF_SF_EERKSF_lbbbEUlllE_EE10hipError_tT0_T1_T2_jT3_P12ihipStream_tbPNSt15iterator_traitsISL_E10value_typeEPNSR_ISM_E10value_typeEPSN_NS1_7vsmem_tEENKUlT_SL_SM_SN_E_clIS8_S8_S9_S9_EESK_S10_SL_SM_SN_EUlS10_E0_NS1_11comp_targetILNS1_3genE0ELNS1_11target_archE4294967295ELNS1_3gpuE0ELNS1_3repE0EEENS1_38merge_mergepath_config_static_selectorELNS0_4arch9wavefront6targetE1EEEvSM_.has_dyn_sized_stack, 0
	.set _ZN7rocprim17ROCPRIM_400000_NS6detail17trampoline_kernelINS0_14default_configENS1_38merge_sort_block_merge_config_selectorIlNS0_10empty_typeEEEZZNS1_27merge_sort_block_merge_implIS3_PlPS5_mZN2at6native12_GLOBAL__N_124unique_dim_cuda_templateIdEESt5tupleIJNSA_6TensorESF_SF_EERKSF_lbbbEUlllE_EE10hipError_tT0_T1_T2_jT3_P12ihipStream_tbPNSt15iterator_traitsISL_E10value_typeEPNSR_ISM_E10value_typeEPSN_NS1_7vsmem_tEENKUlT_SL_SM_SN_E_clIS8_S8_S9_S9_EESK_S10_SL_SM_SN_EUlS10_E0_NS1_11comp_targetILNS1_3genE0ELNS1_11target_archE4294967295ELNS1_3gpuE0ELNS1_3repE0EEENS1_38merge_mergepath_config_static_selectorELNS0_4arch9wavefront6targetE1EEEvSM_.has_recursion, 0
	.set _ZN7rocprim17ROCPRIM_400000_NS6detail17trampoline_kernelINS0_14default_configENS1_38merge_sort_block_merge_config_selectorIlNS0_10empty_typeEEEZZNS1_27merge_sort_block_merge_implIS3_PlPS5_mZN2at6native12_GLOBAL__N_124unique_dim_cuda_templateIdEESt5tupleIJNSA_6TensorESF_SF_EERKSF_lbbbEUlllE_EE10hipError_tT0_T1_T2_jT3_P12ihipStream_tbPNSt15iterator_traitsISL_E10value_typeEPNSR_ISM_E10value_typeEPSN_NS1_7vsmem_tEENKUlT_SL_SM_SN_E_clIS8_S8_S9_S9_EESK_S10_SL_SM_SN_EUlS10_E0_NS1_11comp_targetILNS1_3genE0ELNS1_11target_archE4294967295ELNS1_3gpuE0ELNS1_3repE0EEENS1_38merge_mergepath_config_static_selectorELNS0_4arch9wavefront6targetE1EEEvSM_.has_indirect_call, 0
	.section	.AMDGPU.csdata,"",@progbits
; Kernel info:
; codeLenInByte = 6476
; TotalNumSgprs: 60
; NumVgprs: 42
; NumAgprs: 0
; TotalNumVgprs: 42
; ScratchSize: 0
; MemoryBound: 0
; FloatMode: 240
; IeeeMode: 1
; LDSByteSize: 8448 bytes/workgroup (compile time only)
; SGPRBlocks: 7
; VGPRBlocks: 5
; NumSGPRsForWavesPerEU: 60
; NumVGPRsForWavesPerEU: 42
; AccumOffset: 44
; Occupancy: 8
; WaveLimiterHint : 1
; COMPUTE_PGM_RSRC2:SCRATCH_EN: 0
; COMPUTE_PGM_RSRC2:USER_SGPR: 2
; COMPUTE_PGM_RSRC2:TRAP_HANDLER: 0
; COMPUTE_PGM_RSRC2:TGID_X_EN: 1
; COMPUTE_PGM_RSRC2:TGID_Y_EN: 1
; COMPUTE_PGM_RSRC2:TGID_Z_EN: 1
; COMPUTE_PGM_RSRC2:TIDIG_COMP_CNT: 0
; COMPUTE_PGM_RSRC3_GFX90A:ACCUM_OFFSET: 10
; COMPUTE_PGM_RSRC3_GFX90A:TG_SPLIT: 0
	.section	.text._ZN7rocprim17ROCPRIM_400000_NS6detail17trampoline_kernelINS0_14default_configENS1_38merge_sort_block_merge_config_selectorIlNS0_10empty_typeEEEZZNS1_27merge_sort_block_merge_implIS3_PlPS5_mZN2at6native12_GLOBAL__N_124unique_dim_cuda_templateIdEESt5tupleIJNSA_6TensorESF_SF_EERKSF_lbbbEUlllE_EE10hipError_tT0_T1_T2_jT3_P12ihipStream_tbPNSt15iterator_traitsISL_E10value_typeEPNSR_ISM_E10value_typeEPSN_NS1_7vsmem_tEENKUlT_SL_SM_SN_E_clIS8_S8_S9_S9_EESK_S10_SL_SM_SN_EUlS10_E0_NS1_11comp_targetILNS1_3genE10ELNS1_11target_archE1201ELNS1_3gpuE5ELNS1_3repE0EEENS1_38merge_mergepath_config_static_selectorELNS0_4arch9wavefront6targetE1EEEvSM_,"axG",@progbits,_ZN7rocprim17ROCPRIM_400000_NS6detail17trampoline_kernelINS0_14default_configENS1_38merge_sort_block_merge_config_selectorIlNS0_10empty_typeEEEZZNS1_27merge_sort_block_merge_implIS3_PlPS5_mZN2at6native12_GLOBAL__N_124unique_dim_cuda_templateIdEESt5tupleIJNSA_6TensorESF_SF_EERKSF_lbbbEUlllE_EE10hipError_tT0_T1_T2_jT3_P12ihipStream_tbPNSt15iterator_traitsISL_E10value_typeEPNSR_ISM_E10value_typeEPSN_NS1_7vsmem_tEENKUlT_SL_SM_SN_E_clIS8_S8_S9_S9_EESK_S10_SL_SM_SN_EUlS10_E0_NS1_11comp_targetILNS1_3genE10ELNS1_11target_archE1201ELNS1_3gpuE5ELNS1_3repE0EEENS1_38merge_mergepath_config_static_selectorELNS0_4arch9wavefront6targetE1EEEvSM_,comdat
	.globl	_ZN7rocprim17ROCPRIM_400000_NS6detail17trampoline_kernelINS0_14default_configENS1_38merge_sort_block_merge_config_selectorIlNS0_10empty_typeEEEZZNS1_27merge_sort_block_merge_implIS3_PlPS5_mZN2at6native12_GLOBAL__N_124unique_dim_cuda_templateIdEESt5tupleIJNSA_6TensorESF_SF_EERKSF_lbbbEUlllE_EE10hipError_tT0_T1_T2_jT3_P12ihipStream_tbPNSt15iterator_traitsISL_E10value_typeEPNSR_ISM_E10value_typeEPSN_NS1_7vsmem_tEENKUlT_SL_SM_SN_E_clIS8_S8_S9_S9_EESK_S10_SL_SM_SN_EUlS10_E0_NS1_11comp_targetILNS1_3genE10ELNS1_11target_archE1201ELNS1_3gpuE5ELNS1_3repE0EEENS1_38merge_mergepath_config_static_selectorELNS0_4arch9wavefront6targetE1EEEvSM_ ; -- Begin function _ZN7rocprim17ROCPRIM_400000_NS6detail17trampoline_kernelINS0_14default_configENS1_38merge_sort_block_merge_config_selectorIlNS0_10empty_typeEEEZZNS1_27merge_sort_block_merge_implIS3_PlPS5_mZN2at6native12_GLOBAL__N_124unique_dim_cuda_templateIdEESt5tupleIJNSA_6TensorESF_SF_EERKSF_lbbbEUlllE_EE10hipError_tT0_T1_T2_jT3_P12ihipStream_tbPNSt15iterator_traitsISL_E10value_typeEPNSR_ISM_E10value_typeEPSN_NS1_7vsmem_tEENKUlT_SL_SM_SN_E_clIS8_S8_S9_S9_EESK_S10_SL_SM_SN_EUlS10_E0_NS1_11comp_targetILNS1_3genE10ELNS1_11target_archE1201ELNS1_3gpuE5ELNS1_3repE0EEENS1_38merge_mergepath_config_static_selectorELNS0_4arch9wavefront6targetE1EEEvSM_
	.p2align	8
	.type	_ZN7rocprim17ROCPRIM_400000_NS6detail17trampoline_kernelINS0_14default_configENS1_38merge_sort_block_merge_config_selectorIlNS0_10empty_typeEEEZZNS1_27merge_sort_block_merge_implIS3_PlPS5_mZN2at6native12_GLOBAL__N_124unique_dim_cuda_templateIdEESt5tupleIJNSA_6TensorESF_SF_EERKSF_lbbbEUlllE_EE10hipError_tT0_T1_T2_jT3_P12ihipStream_tbPNSt15iterator_traitsISL_E10value_typeEPNSR_ISM_E10value_typeEPSN_NS1_7vsmem_tEENKUlT_SL_SM_SN_E_clIS8_S8_S9_S9_EESK_S10_SL_SM_SN_EUlS10_E0_NS1_11comp_targetILNS1_3genE10ELNS1_11target_archE1201ELNS1_3gpuE5ELNS1_3repE0EEENS1_38merge_mergepath_config_static_selectorELNS0_4arch9wavefront6targetE1EEEvSM_,@function
_ZN7rocprim17ROCPRIM_400000_NS6detail17trampoline_kernelINS0_14default_configENS1_38merge_sort_block_merge_config_selectorIlNS0_10empty_typeEEEZZNS1_27merge_sort_block_merge_implIS3_PlPS5_mZN2at6native12_GLOBAL__N_124unique_dim_cuda_templateIdEESt5tupleIJNSA_6TensorESF_SF_EERKSF_lbbbEUlllE_EE10hipError_tT0_T1_T2_jT3_P12ihipStream_tbPNSt15iterator_traitsISL_E10value_typeEPNSR_ISM_E10value_typeEPSN_NS1_7vsmem_tEENKUlT_SL_SM_SN_E_clIS8_S8_S9_S9_EESK_S10_SL_SM_SN_EUlS10_E0_NS1_11comp_targetILNS1_3genE10ELNS1_11target_archE1201ELNS1_3gpuE5ELNS1_3repE0EEENS1_38merge_mergepath_config_static_selectorELNS0_4arch9wavefront6targetE1EEEvSM_: ; @_ZN7rocprim17ROCPRIM_400000_NS6detail17trampoline_kernelINS0_14default_configENS1_38merge_sort_block_merge_config_selectorIlNS0_10empty_typeEEEZZNS1_27merge_sort_block_merge_implIS3_PlPS5_mZN2at6native12_GLOBAL__N_124unique_dim_cuda_templateIdEESt5tupleIJNSA_6TensorESF_SF_EERKSF_lbbbEUlllE_EE10hipError_tT0_T1_T2_jT3_P12ihipStream_tbPNSt15iterator_traitsISL_E10value_typeEPNSR_ISM_E10value_typeEPSN_NS1_7vsmem_tEENKUlT_SL_SM_SN_E_clIS8_S8_S9_S9_EESK_S10_SL_SM_SN_EUlS10_E0_NS1_11comp_targetILNS1_3genE10ELNS1_11target_archE1201ELNS1_3gpuE5ELNS1_3repE0EEENS1_38merge_mergepath_config_static_selectorELNS0_4arch9wavefront6targetE1EEEvSM_
; %bb.0:
	.section	.rodata,"a",@progbits
	.p2align	6, 0x0
	.amdhsa_kernel _ZN7rocprim17ROCPRIM_400000_NS6detail17trampoline_kernelINS0_14default_configENS1_38merge_sort_block_merge_config_selectorIlNS0_10empty_typeEEEZZNS1_27merge_sort_block_merge_implIS3_PlPS5_mZN2at6native12_GLOBAL__N_124unique_dim_cuda_templateIdEESt5tupleIJNSA_6TensorESF_SF_EERKSF_lbbbEUlllE_EE10hipError_tT0_T1_T2_jT3_P12ihipStream_tbPNSt15iterator_traitsISL_E10value_typeEPNSR_ISM_E10value_typeEPSN_NS1_7vsmem_tEENKUlT_SL_SM_SN_E_clIS8_S8_S9_S9_EESK_S10_SL_SM_SN_EUlS10_E0_NS1_11comp_targetILNS1_3genE10ELNS1_11target_archE1201ELNS1_3gpuE5ELNS1_3repE0EEENS1_38merge_mergepath_config_static_selectorELNS0_4arch9wavefront6targetE1EEEvSM_
		.amdhsa_group_segment_fixed_size 0
		.amdhsa_private_segment_fixed_size 0
		.amdhsa_kernarg_size 88
		.amdhsa_user_sgpr_count 2
		.amdhsa_user_sgpr_dispatch_ptr 0
		.amdhsa_user_sgpr_queue_ptr 0
		.amdhsa_user_sgpr_kernarg_segment_ptr 1
		.amdhsa_user_sgpr_dispatch_id 0
		.amdhsa_user_sgpr_kernarg_preload_length 0
		.amdhsa_user_sgpr_kernarg_preload_offset 0
		.amdhsa_user_sgpr_private_segment_size 0
		.amdhsa_uses_dynamic_stack 0
		.amdhsa_enable_private_segment 0
		.amdhsa_system_sgpr_workgroup_id_x 1
		.amdhsa_system_sgpr_workgroup_id_y 0
		.amdhsa_system_sgpr_workgroup_id_z 0
		.amdhsa_system_sgpr_workgroup_info 0
		.amdhsa_system_vgpr_workitem_id 0
		.amdhsa_next_free_vgpr 1
		.amdhsa_next_free_sgpr 0
		.amdhsa_accum_offset 4
		.amdhsa_reserve_vcc 0
		.amdhsa_float_round_mode_32 0
		.amdhsa_float_round_mode_16_64 0
		.amdhsa_float_denorm_mode_32 3
		.amdhsa_float_denorm_mode_16_64 3
		.amdhsa_dx10_clamp 1
		.amdhsa_ieee_mode 1
		.amdhsa_fp16_overflow 0
		.amdhsa_tg_split 0
		.amdhsa_exception_fp_ieee_invalid_op 0
		.amdhsa_exception_fp_denorm_src 0
		.amdhsa_exception_fp_ieee_div_zero 0
		.amdhsa_exception_fp_ieee_overflow 0
		.amdhsa_exception_fp_ieee_underflow 0
		.amdhsa_exception_fp_ieee_inexact 0
		.amdhsa_exception_int_div_zero 0
	.end_amdhsa_kernel
	.section	.text._ZN7rocprim17ROCPRIM_400000_NS6detail17trampoline_kernelINS0_14default_configENS1_38merge_sort_block_merge_config_selectorIlNS0_10empty_typeEEEZZNS1_27merge_sort_block_merge_implIS3_PlPS5_mZN2at6native12_GLOBAL__N_124unique_dim_cuda_templateIdEESt5tupleIJNSA_6TensorESF_SF_EERKSF_lbbbEUlllE_EE10hipError_tT0_T1_T2_jT3_P12ihipStream_tbPNSt15iterator_traitsISL_E10value_typeEPNSR_ISM_E10value_typeEPSN_NS1_7vsmem_tEENKUlT_SL_SM_SN_E_clIS8_S8_S9_S9_EESK_S10_SL_SM_SN_EUlS10_E0_NS1_11comp_targetILNS1_3genE10ELNS1_11target_archE1201ELNS1_3gpuE5ELNS1_3repE0EEENS1_38merge_mergepath_config_static_selectorELNS0_4arch9wavefront6targetE1EEEvSM_,"axG",@progbits,_ZN7rocprim17ROCPRIM_400000_NS6detail17trampoline_kernelINS0_14default_configENS1_38merge_sort_block_merge_config_selectorIlNS0_10empty_typeEEEZZNS1_27merge_sort_block_merge_implIS3_PlPS5_mZN2at6native12_GLOBAL__N_124unique_dim_cuda_templateIdEESt5tupleIJNSA_6TensorESF_SF_EERKSF_lbbbEUlllE_EE10hipError_tT0_T1_T2_jT3_P12ihipStream_tbPNSt15iterator_traitsISL_E10value_typeEPNSR_ISM_E10value_typeEPSN_NS1_7vsmem_tEENKUlT_SL_SM_SN_E_clIS8_S8_S9_S9_EESK_S10_SL_SM_SN_EUlS10_E0_NS1_11comp_targetILNS1_3genE10ELNS1_11target_archE1201ELNS1_3gpuE5ELNS1_3repE0EEENS1_38merge_mergepath_config_static_selectorELNS0_4arch9wavefront6targetE1EEEvSM_,comdat
.Lfunc_end767:
	.size	_ZN7rocprim17ROCPRIM_400000_NS6detail17trampoline_kernelINS0_14default_configENS1_38merge_sort_block_merge_config_selectorIlNS0_10empty_typeEEEZZNS1_27merge_sort_block_merge_implIS3_PlPS5_mZN2at6native12_GLOBAL__N_124unique_dim_cuda_templateIdEESt5tupleIJNSA_6TensorESF_SF_EERKSF_lbbbEUlllE_EE10hipError_tT0_T1_T2_jT3_P12ihipStream_tbPNSt15iterator_traitsISL_E10value_typeEPNSR_ISM_E10value_typeEPSN_NS1_7vsmem_tEENKUlT_SL_SM_SN_E_clIS8_S8_S9_S9_EESK_S10_SL_SM_SN_EUlS10_E0_NS1_11comp_targetILNS1_3genE10ELNS1_11target_archE1201ELNS1_3gpuE5ELNS1_3repE0EEENS1_38merge_mergepath_config_static_selectorELNS0_4arch9wavefront6targetE1EEEvSM_, .Lfunc_end767-_ZN7rocprim17ROCPRIM_400000_NS6detail17trampoline_kernelINS0_14default_configENS1_38merge_sort_block_merge_config_selectorIlNS0_10empty_typeEEEZZNS1_27merge_sort_block_merge_implIS3_PlPS5_mZN2at6native12_GLOBAL__N_124unique_dim_cuda_templateIdEESt5tupleIJNSA_6TensorESF_SF_EERKSF_lbbbEUlllE_EE10hipError_tT0_T1_T2_jT3_P12ihipStream_tbPNSt15iterator_traitsISL_E10value_typeEPNSR_ISM_E10value_typeEPSN_NS1_7vsmem_tEENKUlT_SL_SM_SN_E_clIS8_S8_S9_S9_EESK_S10_SL_SM_SN_EUlS10_E0_NS1_11comp_targetILNS1_3genE10ELNS1_11target_archE1201ELNS1_3gpuE5ELNS1_3repE0EEENS1_38merge_mergepath_config_static_selectorELNS0_4arch9wavefront6targetE1EEEvSM_
                                        ; -- End function
	.set _ZN7rocprim17ROCPRIM_400000_NS6detail17trampoline_kernelINS0_14default_configENS1_38merge_sort_block_merge_config_selectorIlNS0_10empty_typeEEEZZNS1_27merge_sort_block_merge_implIS3_PlPS5_mZN2at6native12_GLOBAL__N_124unique_dim_cuda_templateIdEESt5tupleIJNSA_6TensorESF_SF_EERKSF_lbbbEUlllE_EE10hipError_tT0_T1_T2_jT3_P12ihipStream_tbPNSt15iterator_traitsISL_E10value_typeEPNSR_ISM_E10value_typeEPSN_NS1_7vsmem_tEENKUlT_SL_SM_SN_E_clIS8_S8_S9_S9_EESK_S10_SL_SM_SN_EUlS10_E0_NS1_11comp_targetILNS1_3genE10ELNS1_11target_archE1201ELNS1_3gpuE5ELNS1_3repE0EEENS1_38merge_mergepath_config_static_selectorELNS0_4arch9wavefront6targetE1EEEvSM_.num_vgpr, 0
	.set _ZN7rocprim17ROCPRIM_400000_NS6detail17trampoline_kernelINS0_14default_configENS1_38merge_sort_block_merge_config_selectorIlNS0_10empty_typeEEEZZNS1_27merge_sort_block_merge_implIS3_PlPS5_mZN2at6native12_GLOBAL__N_124unique_dim_cuda_templateIdEESt5tupleIJNSA_6TensorESF_SF_EERKSF_lbbbEUlllE_EE10hipError_tT0_T1_T2_jT3_P12ihipStream_tbPNSt15iterator_traitsISL_E10value_typeEPNSR_ISM_E10value_typeEPSN_NS1_7vsmem_tEENKUlT_SL_SM_SN_E_clIS8_S8_S9_S9_EESK_S10_SL_SM_SN_EUlS10_E0_NS1_11comp_targetILNS1_3genE10ELNS1_11target_archE1201ELNS1_3gpuE5ELNS1_3repE0EEENS1_38merge_mergepath_config_static_selectorELNS0_4arch9wavefront6targetE1EEEvSM_.num_agpr, 0
	.set _ZN7rocprim17ROCPRIM_400000_NS6detail17trampoline_kernelINS0_14default_configENS1_38merge_sort_block_merge_config_selectorIlNS0_10empty_typeEEEZZNS1_27merge_sort_block_merge_implIS3_PlPS5_mZN2at6native12_GLOBAL__N_124unique_dim_cuda_templateIdEESt5tupleIJNSA_6TensorESF_SF_EERKSF_lbbbEUlllE_EE10hipError_tT0_T1_T2_jT3_P12ihipStream_tbPNSt15iterator_traitsISL_E10value_typeEPNSR_ISM_E10value_typeEPSN_NS1_7vsmem_tEENKUlT_SL_SM_SN_E_clIS8_S8_S9_S9_EESK_S10_SL_SM_SN_EUlS10_E0_NS1_11comp_targetILNS1_3genE10ELNS1_11target_archE1201ELNS1_3gpuE5ELNS1_3repE0EEENS1_38merge_mergepath_config_static_selectorELNS0_4arch9wavefront6targetE1EEEvSM_.numbered_sgpr, 0
	.set _ZN7rocprim17ROCPRIM_400000_NS6detail17trampoline_kernelINS0_14default_configENS1_38merge_sort_block_merge_config_selectorIlNS0_10empty_typeEEEZZNS1_27merge_sort_block_merge_implIS3_PlPS5_mZN2at6native12_GLOBAL__N_124unique_dim_cuda_templateIdEESt5tupleIJNSA_6TensorESF_SF_EERKSF_lbbbEUlllE_EE10hipError_tT0_T1_T2_jT3_P12ihipStream_tbPNSt15iterator_traitsISL_E10value_typeEPNSR_ISM_E10value_typeEPSN_NS1_7vsmem_tEENKUlT_SL_SM_SN_E_clIS8_S8_S9_S9_EESK_S10_SL_SM_SN_EUlS10_E0_NS1_11comp_targetILNS1_3genE10ELNS1_11target_archE1201ELNS1_3gpuE5ELNS1_3repE0EEENS1_38merge_mergepath_config_static_selectorELNS0_4arch9wavefront6targetE1EEEvSM_.num_named_barrier, 0
	.set _ZN7rocprim17ROCPRIM_400000_NS6detail17trampoline_kernelINS0_14default_configENS1_38merge_sort_block_merge_config_selectorIlNS0_10empty_typeEEEZZNS1_27merge_sort_block_merge_implIS3_PlPS5_mZN2at6native12_GLOBAL__N_124unique_dim_cuda_templateIdEESt5tupleIJNSA_6TensorESF_SF_EERKSF_lbbbEUlllE_EE10hipError_tT0_T1_T2_jT3_P12ihipStream_tbPNSt15iterator_traitsISL_E10value_typeEPNSR_ISM_E10value_typeEPSN_NS1_7vsmem_tEENKUlT_SL_SM_SN_E_clIS8_S8_S9_S9_EESK_S10_SL_SM_SN_EUlS10_E0_NS1_11comp_targetILNS1_3genE10ELNS1_11target_archE1201ELNS1_3gpuE5ELNS1_3repE0EEENS1_38merge_mergepath_config_static_selectorELNS0_4arch9wavefront6targetE1EEEvSM_.private_seg_size, 0
	.set _ZN7rocprim17ROCPRIM_400000_NS6detail17trampoline_kernelINS0_14default_configENS1_38merge_sort_block_merge_config_selectorIlNS0_10empty_typeEEEZZNS1_27merge_sort_block_merge_implIS3_PlPS5_mZN2at6native12_GLOBAL__N_124unique_dim_cuda_templateIdEESt5tupleIJNSA_6TensorESF_SF_EERKSF_lbbbEUlllE_EE10hipError_tT0_T1_T2_jT3_P12ihipStream_tbPNSt15iterator_traitsISL_E10value_typeEPNSR_ISM_E10value_typeEPSN_NS1_7vsmem_tEENKUlT_SL_SM_SN_E_clIS8_S8_S9_S9_EESK_S10_SL_SM_SN_EUlS10_E0_NS1_11comp_targetILNS1_3genE10ELNS1_11target_archE1201ELNS1_3gpuE5ELNS1_3repE0EEENS1_38merge_mergepath_config_static_selectorELNS0_4arch9wavefront6targetE1EEEvSM_.uses_vcc, 0
	.set _ZN7rocprim17ROCPRIM_400000_NS6detail17trampoline_kernelINS0_14default_configENS1_38merge_sort_block_merge_config_selectorIlNS0_10empty_typeEEEZZNS1_27merge_sort_block_merge_implIS3_PlPS5_mZN2at6native12_GLOBAL__N_124unique_dim_cuda_templateIdEESt5tupleIJNSA_6TensorESF_SF_EERKSF_lbbbEUlllE_EE10hipError_tT0_T1_T2_jT3_P12ihipStream_tbPNSt15iterator_traitsISL_E10value_typeEPNSR_ISM_E10value_typeEPSN_NS1_7vsmem_tEENKUlT_SL_SM_SN_E_clIS8_S8_S9_S9_EESK_S10_SL_SM_SN_EUlS10_E0_NS1_11comp_targetILNS1_3genE10ELNS1_11target_archE1201ELNS1_3gpuE5ELNS1_3repE0EEENS1_38merge_mergepath_config_static_selectorELNS0_4arch9wavefront6targetE1EEEvSM_.uses_flat_scratch, 0
	.set _ZN7rocprim17ROCPRIM_400000_NS6detail17trampoline_kernelINS0_14default_configENS1_38merge_sort_block_merge_config_selectorIlNS0_10empty_typeEEEZZNS1_27merge_sort_block_merge_implIS3_PlPS5_mZN2at6native12_GLOBAL__N_124unique_dim_cuda_templateIdEESt5tupleIJNSA_6TensorESF_SF_EERKSF_lbbbEUlllE_EE10hipError_tT0_T1_T2_jT3_P12ihipStream_tbPNSt15iterator_traitsISL_E10value_typeEPNSR_ISM_E10value_typeEPSN_NS1_7vsmem_tEENKUlT_SL_SM_SN_E_clIS8_S8_S9_S9_EESK_S10_SL_SM_SN_EUlS10_E0_NS1_11comp_targetILNS1_3genE10ELNS1_11target_archE1201ELNS1_3gpuE5ELNS1_3repE0EEENS1_38merge_mergepath_config_static_selectorELNS0_4arch9wavefront6targetE1EEEvSM_.has_dyn_sized_stack, 0
	.set _ZN7rocprim17ROCPRIM_400000_NS6detail17trampoline_kernelINS0_14default_configENS1_38merge_sort_block_merge_config_selectorIlNS0_10empty_typeEEEZZNS1_27merge_sort_block_merge_implIS3_PlPS5_mZN2at6native12_GLOBAL__N_124unique_dim_cuda_templateIdEESt5tupleIJNSA_6TensorESF_SF_EERKSF_lbbbEUlllE_EE10hipError_tT0_T1_T2_jT3_P12ihipStream_tbPNSt15iterator_traitsISL_E10value_typeEPNSR_ISM_E10value_typeEPSN_NS1_7vsmem_tEENKUlT_SL_SM_SN_E_clIS8_S8_S9_S9_EESK_S10_SL_SM_SN_EUlS10_E0_NS1_11comp_targetILNS1_3genE10ELNS1_11target_archE1201ELNS1_3gpuE5ELNS1_3repE0EEENS1_38merge_mergepath_config_static_selectorELNS0_4arch9wavefront6targetE1EEEvSM_.has_recursion, 0
	.set _ZN7rocprim17ROCPRIM_400000_NS6detail17trampoline_kernelINS0_14default_configENS1_38merge_sort_block_merge_config_selectorIlNS0_10empty_typeEEEZZNS1_27merge_sort_block_merge_implIS3_PlPS5_mZN2at6native12_GLOBAL__N_124unique_dim_cuda_templateIdEESt5tupleIJNSA_6TensorESF_SF_EERKSF_lbbbEUlllE_EE10hipError_tT0_T1_T2_jT3_P12ihipStream_tbPNSt15iterator_traitsISL_E10value_typeEPNSR_ISM_E10value_typeEPSN_NS1_7vsmem_tEENKUlT_SL_SM_SN_E_clIS8_S8_S9_S9_EESK_S10_SL_SM_SN_EUlS10_E0_NS1_11comp_targetILNS1_3genE10ELNS1_11target_archE1201ELNS1_3gpuE5ELNS1_3repE0EEENS1_38merge_mergepath_config_static_selectorELNS0_4arch9wavefront6targetE1EEEvSM_.has_indirect_call, 0
	.section	.AMDGPU.csdata,"",@progbits
; Kernel info:
; codeLenInByte = 0
; TotalNumSgprs: 6
; NumVgprs: 0
; NumAgprs: 0
; TotalNumVgprs: 0
; ScratchSize: 0
; MemoryBound: 0
; FloatMode: 240
; IeeeMode: 1
; LDSByteSize: 0 bytes/workgroup (compile time only)
; SGPRBlocks: 0
; VGPRBlocks: 0
; NumSGPRsForWavesPerEU: 6
; NumVGPRsForWavesPerEU: 1
; AccumOffset: 4
; Occupancy: 8
; WaveLimiterHint : 0
; COMPUTE_PGM_RSRC2:SCRATCH_EN: 0
; COMPUTE_PGM_RSRC2:USER_SGPR: 2
; COMPUTE_PGM_RSRC2:TRAP_HANDLER: 0
; COMPUTE_PGM_RSRC2:TGID_X_EN: 1
; COMPUTE_PGM_RSRC2:TGID_Y_EN: 0
; COMPUTE_PGM_RSRC2:TGID_Z_EN: 0
; COMPUTE_PGM_RSRC2:TIDIG_COMP_CNT: 0
; COMPUTE_PGM_RSRC3_GFX90A:ACCUM_OFFSET: 0
; COMPUTE_PGM_RSRC3_GFX90A:TG_SPLIT: 0
	.section	.text._ZN7rocprim17ROCPRIM_400000_NS6detail17trampoline_kernelINS0_14default_configENS1_38merge_sort_block_merge_config_selectorIlNS0_10empty_typeEEEZZNS1_27merge_sort_block_merge_implIS3_PlPS5_mZN2at6native12_GLOBAL__N_124unique_dim_cuda_templateIdEESt5tupleIJNSA_6TensorESF_SF_EERKSF_lbbbEUlllE_EE10hipError_tT0_T1_T2_jT3_P12ihipStream_tbPNSt15iterator_traitsISL_E10value_typeEPNSR_ISM_E10value_typeEPSN_NS1_7vsmem_tEENKUlT_SL_SM_SN_E_clIS8_S8_S9_S9_EESK_S10_SL_SM_SN_EUlS10_E0_NS1_11comp_targetILNS1_3genE5ELNS1_11target_archE942ELNS1_3gpuE9ELNS1_3repE0EEENS1_38merge_mergepath_config_static_selectorELNS0_4arch9wavefront6targetE1EEEvSM_,"axG",@progbits,_ZN7rocprim17ROCPRIM_400000_NS6detail17trampoline_kernelINS0_14default_configENS1_38merge_sort_block_merge_config_selectorIlNS0_10empty_typeEEEZZNS1_27merge_sort_block_merge_implIS3_PlPS5_mZN2at6native12_GLOBAL__N_124unique_dim_cuda_templateIdEESt5tupleIJNSA_6TensorESF_SF_EERKSF_lbbbEUlllE_EE10hipError_tT0_T1_T2_jT3_P12ihipStream_tbPNSt15iterator_traitsISL_E10value_typeEPNSR_ISM_E10value_typeEPSN_NS1_7vsmem_tEENKUlT_SL_SM_SN_E_clIS8_S8_S9_S9_EESK_S10_SL_SM_SN_EUlS10_E0_NS1_11comp_targetILNS1_3genE5ELNS1_11target_archE942ELNS1_3gpuE9ELNS1_3repE0EEENS1_38merge_mergepath_config_static_selectorELNS0_4arch9wavefront6targetE1EEEvSM_,comdat
	.globl	_ZN7rocprim17ROCPRIM_400000_NS6detail17trampoline_kernelINS0_14default_configENS1_38merge_sort_block_merge_config_selectorIlNS0_10empty_typeEEEZZNS1_27merge_sort_block_merge_implIS3_PlPS5_mZN2at6native12_GLOBAL__N_124unique_dim_cuda_templateIdEESt5tupleIJNSA_6TensorESF_SF_EERKSF_lbbbEUlllE_EE10hipError_tT0_T1_T2_jT3_P12ihipStream_tbPNSt15iterator_traitsISL_E10value_typeEPNSR_ISM_E10value_typeEPSN_NS1_7vsmem_tEENKUlT_SL_SM_SN_E_clIS8_S8_S9_S9_EESK_S10_SL_SM_SN_EUlS10_E0_NS1_11comp_targetILNS1_3genE5ELNS1_11target_archE942ELNS1_3gpuE9ELNS1_3repE0EEENS1_38merge_mergepath_config_static_selectorELNS0_4arch9wavefront6targetE1EEEvSM_ ; -- Begin function _ZN7rocprim17ROCPRIM_400000_NS6detail17trampoline_kernelINS0_14default_configENS1_38merge_sort_block_merge_config_selectorIlNS0_10empty_typeEEEZZNS1_27merge_sort_block_merge_implIS3_PlPS5_mZN2at6native12_GLOBAL__N_124unique_dim_cuda_templateIdEESt5tupleIJNSA_6TensorESF_SF_EERKSF_lbbbEUlllE_EE10hipError_tT0_T1_T2_jT3_P12ihipStream_tbPNSt15iterator_traitsISL_E10value_typeEPNSR_ISM_E10value_typeEPSN_NS1_7vsmem_tEENKUlT_SL_SM_SN_E_clIS8_S8_S9_S9_EESK_S10_SL_SM_SN_EUlS10_E0_NS1_11comp_targetILNS1_3genE5ELNS1_11target_archE942ELNS1_3gpuE9ELNS1_3repE0EEENS1_38merge_mergepath_config_static_selectorELNS0_4arch9wavefront6targetE1EEEvSM_
	.p2align	8
	.type	_ZN7rocprim17ROCPRIM_400000_NS6detail17trampoline_kernelINS0_14default_configENS1_38merge_sort_block_merge_config_selectorIlNS0_10empty_typeEEEZZNS1_27merge_sort_block_merge_implIS3_PlPS5_mZN2at6native12_GLOBAL__N_124unique_dim_cuda_templateIdEESt5tupleIJNSA_6TensorESF_SF_EERKSF_lbbbEUlllE_EE10hipError_tT0_T1_T2_jT3_P12ihipStream_tbPNSt15iterator_traitsISL_E10value_typeEPNSR_ISM_E10value_typeEPSN_NS1_7vsmem_tEENKUlT_SL_SM_SN_E_clIS8_S8_S9_S9_EESK_S10_SL_SM_SN_EUlS10_E0_NS1_11comp_targetILNS1_3genE5ELNS1_11target_archE942ELNS1_3gpuE9ELNS1_3repE0EEENS1_38merge_mergepath_config_static_selectorELNS0_4arch9wavefront6targetE1EEEvSM_,@function
_ZN7rocprim17ROCPRIM_400000_NS6detail17trampoline_kernelINS0_14default_configENS1_38merge_sort_block_merge_config_selectorIlNS0_10empty_typeEEEZZNS1_27merge_sort_block_merge_implIS3_PlPS5_mZN2at6native12_GLOBAL__N_124unique_dim_cuda_templateIdEESt5tupleIJNSA_6TensorESF_SF_EERKSF_lbbbEUlllE_EE10hipError_tT0_T1_T2_jT3_P12ihipStream_tbPNSt15iterator_traitsISL_E10value_typeEPNSR_ISM_E10value_typeEPSN_NS1_7vsmem_tEENKUlT_SL_SM_SN_E_clIS8_S8_S9_S9_EESK_S10_SL_SM_SN_EUlS10_E0_NS1_11comp_targetILNS1_3genE5ELNS1_11target_archE942ELNS1_3gpuE9ELNS1_3repE0EEENS1_38merge_mergepath_config_static_selectorELNS0_4arch9wavefront6targetE1EEEvSM_: ; @_ZN7rocprim17ROCPRIM_400000_NS6detail17trampoline_kernelINS0_14default_configENS1_38merge_sort_block_merge_config_selectorIlNS0_10empty_typeEEEZZNS1_27merge_sort_block_merge_implIS3_PlPS5_mZN2at6native12_GLOBAL__N_124unique_dim_cuda_templateIdEESt5tupleIJNSA_6TensorESF_SF_EERKSF_lbbbEUlllE_EE10hipError_tT0_T1_T2_jT3_P12ihipStream_tbPNSt15iterator_traitsISL_E10value_typeEPNSR_ISM_E10value_typeEPSN_NS1_7vsmem_tEENKUlT_SL_SM_SN_E_clIS8_S8_S9_S9_EESK_S10_SL_SM_SN_EUlS10_E0_NS1_11comp_targetILNS1_3genE5ELNS1_11target_archE942ELNS1_3gpuE9ELNS1_3repE0EEENS1_38merge_mergepath_config_static_selectorELNS0_4arch9wavefront6targetE1EEEvSM_
; %bb.0:
	.section	.rodata,"a",@progbits
	.p2align	6, 0x0
	.amdhsa_kernel _ZN7rocprim17ROCPRIM_400000_NS6detail17trampoline_kernelINS0_14default_configENS1_38merge_sort_block_merge_config_selectorIlNS0_10empty_typeEEEZZNS1_27merge_sort_block_merge_implIS3_PlPS5_mZN2at6native12_GLOBAL__N_124unique_dim_cuda_templateIdEESt5tupleIJNSA_6TensorESF_SF_EERKSF_lbbbEUlllE_EE10hipError_tT0_T1_T2_jT3_P12ihipStream_tbPNSt15iterator_traitsISL_E10value_typeEPNSR_ISM_E10value_typeEPSN_NS1_7vsmem_tEENKUlT_SL_SM_SN_E_clIS8_S8_S9_S9_EESK_S10_SL_SM_SN_EUlS10_E0_NS1_11comp_targetILNS1_3genE5ELNS1_11target_archE942ELNS1_3gpuE9ELNS1_3repE0EEENS1_38merge_mergepath_config_static_selectorELNS0_4arch9wavefront6targetE1EEEvSM_
		.amdhsa_group_segment_fixed_size 0
		.amdhsa_private_segment_fixed_size 0
		.amdhsa_kernarg_size 88
		.amdhsa_user_sgpr_count 2
		.amdhsa_user_sgpr_dispatch_ptr 0
		.amdhsa_user_sgpr_queue_ptr 0
		.amdhsa_user_sgpr_kernarg_segment_ptr 1
		.amdhsa_user_sgpr_dispatch_id 0
		.amdhsa_user_sgpr_kernarg_preload_length 0
		.amdhsa_user_sgpr_kernarg_preload_offset 0
		.amdhsa_user_sgpr_private_segment_size 0
		.amdhsa_uses_dynamic_stack 0
		.amdhsa_enable_private_segment 0
		.amdhsa_system_sgpr_workgroup_id_x 1
		.amdhsa_system_sgpr_workgroup_id_y 0
		.amdhsa_system_sgpr_workgroup_id_z 0
		.amdhsa_system_sgpr_workgroup_info 0
		.amdhsa_system_vgpr_workitem_id 0
		.amdhsa_next_free_vgpr 1
		.amdhsa_next_free_sgpr 0
		.amdhsa_accum_offset 4
		.amdhsa_reserve_vcc 0
		.amdhsa_float_round_mode_32 0
		.amdhsa_float_round_mode_16_64 0
		.amdhsa_float_denorm_mode_32 3
		.amdhsa_float_denorm_mode_16_64 3
		.amdhsa_dx10_clamp 1
		.amdhsa_ieee_mode 1
		.amdhsa_fp16_overflow 0
		.amdhsa_tg_split 0
		.amdhsa_exception_fp_ieee_invalid_op 0
		.amdhsa_exception_fp_denorm_src 0
		.amdhsa_exception_fp_ieee_div_zero 0
		.amdhsa_exception_fp_ieee_overflow 0
		.amdhsa_exception_fp_ieee_underflow 0
		.amdhsa_exception_fp_ieee_inexact 0
		.amdhsa_exception_int_div_zero 0
	.end_amdhsa_kernel
	.section	.text._ZN7rocprim17ROCPRIM_400000_NS6detail17trampoline_kernelINS0_14default_configENS1_38merge_sort_block_merge_config_selectorIlNS0_10empty_typeEEEZZNS1_27merge_sort_block_merge_implIS3_PlPS5_mZN2at6native12_GLOBAL__N_124unique_dim_cuda_templateIdEESt5tupleIJNSA_6TensorESF_SF_EERKSF_lbbbEUlllE_EE10hipError_tT0_T1_T2_jT3_P12ihipStream_tbPNSt15iterator_traitsISL_E10value_typeEPNSR_ISM_E10value_typeEPSN_NS1_7vsmem_tEENKUlT_SL_SM_SN_E_clIS8_S8_S9_S9_EESK_S10_SL_SM_SN_EUlS10_E0_NS1_11comp_targetILNS1_3genE5ELNS1_11target_archE942ELNS1_3gpuE9ELNS1_3repE0EEENS1_38merge_mergepath_config_static_selectorELNS0_4arch9wavefront6targetE1EEEvSM_,"axG",@progbits,_ZN7rocprim17ROCPRIM_400000_NS6detail17trampoline_kernelINS0_14default_configENS1_38merge_sort_block_merge_config_selectorIlNS0_10empty_typeEEEZZNS1_27merge_sort_block_merge_implIS3_PlPS5_mZN2at6native12_GLOBAL__N_124unique_dim_cuda_templateIdEESt5tupleIJNSA_6TensorESF_SF_EERKSF_lbbbEUlllE_EE10hipError_tT0_T1_T2_jT3_P12ihipStream_tbPNSt15iterator_traitsISL_E10value_typeEPNSR_ISM_E10value_typeEPSN_NS1_7vsmem_tEENKUlT_SL_SM_SN_E_clIS8_S8_S9_S9_EESK_S10_SL_SM_SN_EUlS10_E0_NS1_11comp_targetILNS1_3genE5ELNS1_11target_archE942ELNS1_3gpuE9ELNS1_3repE0EEENS1_38merge_mergepath_config_static_selectorELNS0_4arch9wavefront6targetE1EEEvSM_,comdat
.Lfunc_end768:
	.size	_ZN7rocprim17ROCPRIM_400000_NS6detail17trampoline_kernelINS0_14default_configENS1_38merge_sort_block_merge_config_selectorIlNS0_10empty_typeEEEZZNS1_27merge_sort_block_merge_implIS3_PlPS5_mZN2at6native12_GLOBAL__N_124unique_dim_cuda_templateIdEESt5tupleIJNSA_6TensorESF_SF_EERKSF_lbbbEUlllE_EE10hipError_tT0_T1_T2_jT3_P12ihipStream_tbPNSt15iterator_traitsISL_E10value_typeEPNSR_ISM_E10value_typeEPSN_NS1_7vsmem_tEENKUlT_SL_SM_SN_E_clIS8_S8_S9_S9_EESK_S10_SL_SM_SN_EUlS10_E0_NS1_11comp_targetILNS1_3genE5ELNS1_11target_archE942ELNS1_3gpuE9ELNS1_3repE0EEENS1_38merge_mergepath_config_static_selectorELNS0_4arch9wavefront6targetE1EEEvSM_, .Lfunc_end768-_ZN7rocprim17ROCPRIM_400000_NS6detail17trampoline_kernelINS0_14default_configENS1_38merge_sort_block_merge_config_selectorIlNS0_10empty_typeEEEZZNS1_27merge_sort_block_merge_implIS3_PlPS5_mZN2at6native12_GLOBAL__N_124unique_dim_cuda_templateIdEESt5tupleIJNSA_6TensorESF_SF_EERKSF_lbbbEUlllE_EE10hipError_tT0_T1_T2_jT3_P12ihipStream_tbPNSt15iterator_traitsISL_E10value_typeEPNSR_ISM_E10value_typeEPSN_NS1_7vsmem_tEENKUlT_SL_SM_SN_E_clIS8_S8_S9_S9_EESK_S10_SL_SM_SN_EUlS10_E0_NS1_11comp_targetILNS1_3genE5ELNS1_11target_archE942ELNS1_3gpuE9ELNS1_3repE0EEENS1_38merge_mergepath_config_static_selectorELNS0_4arch9wavefront6targetE1EEEvSM_
                                        ; -- End function
	.set _ZN7rocprim17ROCPRIM_400000_NS6detail17trampoline_kernelINS0_14default_configENS1_38merge_sort_block_merge_config_selectorIlNS0_10empty_typeEEEZZNS1_27merge_sort_block_merge_implIS3_PlPS5_mZN2at6native12_GLOBAL__N_124unique_dim_cuda_templateIdEESt5tupleIJNSA_6TensorESF_SF_EERKSF_lbbbEUlllE_EE10hipError_tT0_T1_T2_jT3_P12ihipStream_tbPNSt15iterator_traitsISL_E10value_typeEPNSR_ISM_E10value_typeEPSN_NS1_7vsmem_tEENKUlT_SL_SM_SN_E_clIS8_S8_S9_S9_EESK_S10_SL_SM_SN_EUlS10_E0_NS1_11comp_targetILNS1_3genE5ELNS1_11target_archE942ELNS1_3gpuE9ELNS1_3repE0EEENS1_38merge_mergepath_config_static_selectorELNS0_4arch9wavefront6targetE1EEEvSM_.num_vgpr, 0
	.set _ZN7rocprim17ROCPRIM_400000_NS6detail17trampoline_kernelINS0_14default_configENS1_38merge_sort_block_merge_config_selectorIlNS0_10empty_typeEEEZZNS1_27merge_sort_block_merge_implIS3_PlPS5_mZN2at6native12_GLOBAL__N_124unique_dim_cuda_templateIdEESt5tupleIJNSA_6TensorESF_SF_EERKSF_lbbbEUlllE_EE10hipError_tT0_T1_T2_jT3_P12ihipStream_tbPNSt15iterator_traitsISL_E10value_typeEPNSR_ISM_E10value_typeEPSN_NS1_7vsmem_tEENKUlT_SL_SM_SN_E_clIS8_S8_S9_S9_EESK_S10_SL_SM_SN_EUlS10_E0_NS1_11comp_targetILNS1_3genE5ELNS1_11target_archE942ELNS1_3gpuE9ELNS1_3repE0EEENS1_38merge_mergepath_config_static_selectorELNS0_4arch9wavefront6targetE1EEEvSM_.num_agpr, 0
	.set _ZN7rocprim17ROCPRIM_400000_NS6detail17trampoline_kernelINS0_14default_configENS1_38merge_sort_block_merge_config_selectorIlNS0_10empty_typeEEEZZNS1_27merge_sort_block_merge_implIS3_PlPS5_mZN2at6native12_GLOBAL__N_124unique_dim_cuda_templateIdEESt5tupleIJNSA_6TensorESF_SF_EERKSF_lbbbEUlllE_EE10hipError_tT0_T1_T2_jT3_P12ihipStream_tbPNSt15iterator_traitsISL_E10value_typeEPNSR_ISM_E10value_typeEPSN_NS1_7vsmem_tEENKUlT_SL_SM_SN_E_clIS8_S8_S9_S9_EESK_S10_SL_SM_SN_EUlS10_E0_NS1_11comp_targetILNS1_3genE5ELNS1_11target_archE942ELNS1_3gpuE9ELNS1_3repE0EEENS1_38merge_mergepath_config_static_selectorELNS0_4arch9wavefront6targetE1EEEvSM_.numbered_sgpr, 0
	.set _ZN7rocprim17ROCPRIM_400000_NS6detail17trampoline_kernelINS0_14default_configENS1_38merge_sort_block_merge_config_selectorIlNS0_10empty_typeEEEZZNS1_27merge_sort_block_merge_implIS3_PlPS5_mZN2at6native12_GLOBAL__N_124unique_dim_cuda_templateIdEESt5tupleIJNSA_6TensorESF_SF_EERKSF_lbbbEUlllE_EE10hipError_tT0_T1_T2_jT3_P12ihipStream_tbPNSt15iterator_traitsISL_E10value_typeEPNSR_ISM_E10value_typeEPSN_NS1_7vsmem_tEENKUlT_SL_SM_SN_E_clIS8_S8_S9_S9_EESK_S10_SL_SM_SN_EUlS10_E0_NS1_11comp_targetILNS1_3genE5ELNS1_11target_archE942ELNS1_3gpuE9ELNS1_3repE0EEENS1_38merge_mergepath_config_static_selectorELNS0_4arch9wavefront6targetE1EEEvSM_.num_named_barrier, 0
	.set _ZN7rocprim17ROCPRIM_400000_NS6detail17trampoline_kernelINS0_14default_configENS1_38merge_sort_block_merge_config_selectorIlNS0_10empty_typeEEEZZNS1_27merge_sort_block_merge_implIS3_PlPS5_mZN2at6native12_GLOBAL__N_124unique_dim_cuda_templateIdEESt5tupleIJNSA_6TensorESF_SF_EERKSF_lbbbEUlllE_EE10hipError_tT0_T1_T2_jT3_P12ihipStream_tbPNSt15iterator_traitsISL_E10value_typeEPNSR_ISM_E10value_typeEPSN_NS1_7vsmem_tEENKUlT_SL_SM_SN_E_clIS8_S8_S9_S9_EESK_S10_SL_SM_SN_EUlS10_E0_NS1_11comp_targetILNS1_3genE5ELNS1_11target_archE942ELNS1_3gpuE9ELNS1_3repE0EEENS1_38merge_mergepath_config_static_selectorELNS0_4arch9wavefront6targetE1EEEvSM_.private_seg_size, 0
	.set _ZN7rocprim17ROCPRIM_400000_NS6detail17trampoline_kernelINS0_14default_configENS1_38merge_sort_block_merge_config_selectorIlNS0_10empty_typeEEEZZNS1_27merge_sort_block_merge_implIS3_PlPS5_mZN2at6native12_GLOBAL__N_124unique_dim_cuda_templateIdEESt5tupleIJNSA_6TensorESF_SF_EERKSF_lbbbEUlllE_EE10hipError_tT0_T1_T2_jT3_P12ihipStream_tbPNSt15iterator_traitsISL_E10value_typeEPNSR_ISM_E10value_typeEPSN_NS1_7vsmem_tEENKUlT_SL_SM_SN_E_clIS8_S8_S9_S9_EESK_S10_SL_SM_SN_EUlS10_E0_NS1_11comp_targetILNS1_3genE5ELNS1_11target_archE942ELNS1_3gpuE9ELNS1_3repE0EEENS1_38merge_mergepath_config_static_selectorELNS0_4arch9wavefront6targetE1EEEvSM_.uses_vcc, 0
	.set _ZN7rocprim17ROCPRIM_400000_NS6detail17trampoline_kernelINS0_14default_configENS1_38merge_sort_block_merge_config_selectorIlNS0_10empty_typeEEEZZNS1_27merge_sort_block_merge_implIS3_PlPS5_mZN2at6native12_GLOBAL__N_124unique_dim_cuda_templateIdEESt5tupleIJNSA_6TensorESF_SF_EERKSF_lbbbEUlllE_EE10hipError_tT0_T1_T2_jT3_P12ihipStream_tbPNSt15iterator_traitsISL_E10value_typeEPNSR_ISM_E10value_typeEPSN_NS1_7vsmem_tEENKUlT_SL_SM_SN_E_clIS8_S8_S9_S9_EESK_S10_SL_SM_SN_EUlS10_E0_NS1_11comp_targetILNS1_3genE5ELNS1_11target_archE942ELNS1_3gpuE9ELNS1_3repE0EEENS1_38merge_mergepath_config_static_selectorELNS0_4arch9wavefront6targetE1EEEvSM_.uses_flat_scratch, 0
	.set _ZN7rocprim17ROCPRIM_400000_NS6detail17trampoline_kernelINS0_14default_configENS1_38merge_sort_block_merge_config_selectorIlNS0_10empty_typeEEEZZNS1_27merge_sort_block_merge_implIS3_PlPS5_mZN2at6native12_GLOBAL__N_124unique_dim_cuda_templateIdEESt5tupleIJNSA_6TensorESF_SF_EERKSF_lbbbEUlllE_EE10hipError_tT0_T1_T2_jT3_P12ihipStream_tbPNSt15iterator_traitsISL_E10value_typeEPNSR_ISM_E10value_typeEPSN_NS1_7vsmem_tEENKUlT_SL_SM_SN_E_clIS8_S8_S9_S9_EESK_S10_SL_SM_SN_EUlS10_E0_NS1_11comp_targetILNS1_3genE5ELNS1_11target_archE942ELNS1_3gpuE9ELNS1_3repE0EEENS1_38merge_mergepath_config_static_selectorELNS0_4arch9wavefront6targetE1EEEvSM_.has_dyn_sized_stack, 0
	.set _ZN7rocprim17ROCPRIM_400000_NS6detail17trampoline_kernelINS0_14default_configENS1_38merge_sort_block_merge_config_selectorIlNS0_10empty_typeEEEZZNS1_27merge_sort_block_merge_implIS3_PlPS5_mZN2at6native12_GLOBAL__N_124unique_dim_cuda_templateIdEESt5tupleIJNSA_6TensorESF_SF_EERKSF_lbbbEUlllE_EE10hipError_tT0_T1_T2_jT3_P12ihipStream_tbPNSt15iterator_traitsISL_E10value_typeEPNSR_ISM_E10value_typeEPSN_NS1_7vsmem_tEENKUlT_SL_SM_SN_E_clIS8_S8_S9_S9_EESK_S10_SL_SM_SN_EUlS10_E0_NS1_11comp_targetILNS1_3genE5ELNS1_11target_archE942ELNS1_3gpuE9ELNS1_3repE0EEENS1_38merge_mergepath_config_static_selectorELNS0_4arch9wavefront6targetE1EEEvSM_.has_recursion, 0
	.set _ZN7rocprim17ROCPRIM_400000_NS6detail17trampoline_kernelINS0_14default_configENS1_38merge_sort_block_merge_config_selectorIlNS0_10empty_typeEEEZZNS1_27merge_sort_block_merge_implIS3_PlPS5_mZN2at6native12_GLOBAL__N_124unique_dim_cuda_templateIdEESt5tupleIJNSA_6TensorESF_SF_EERKSF_lbbbEUlllE_EE10hipError_tT0_T1_T2_jT3_P12ihipStream_tbPNSt15iterator_traitsISL_E10value_typeEPNSR_ISM_E10value_typeEPSN_NS1_7vsmem_tEENKUlT_SL_SM_SN_E_clIS8_S8_S9_S9_EESK_S10_SL_SM_SN_EUlS10_E0_NS1_11comp_targetILNS1_3genE5ELNS1_11target_archE942ELNS1_3gpuE9ELNS1_3repE0EEENS1_38merge_mergepath_config_static_selectorELNS0_4arch9wavefront6targetE1EEEvSM_.has_indirect_call, 0
	.section	.AMDGPU.csdata,"",@progbits
; Kernel info:
; codeLenInByte = 0
; TotalNumSgprs: 6
; NumVgprs: 0
; NumAgprs: 0
; TotalNumVgprs: 0
; ScratchSize: 0
; MemoryBound: 0
; FloatMode: 240
; IeeeMode: 1
; LDSByteSize: 0 bytes/workgroup (compile time only)
; SGPRBlocks: 0
; VGPRBlocks: 0
; NumSGPRsForWavesPerEU: 6
; NumVGPRsForWavesPerEU: 1
; AccumOffset: 4
; Occupancy: 8
; WaveLimiterHint : 0
; COMPUTE_PGM_RSRC2:SCRATCH_EN: 0
; COMPUTE_PGM_RSRC2:USER_SGPR: 2
; COMPUTE_PGM_RSRC2:TRAP_HANDLER: 0
; COMPUTE_PGM_RSRC2:TGID_X_EN: 1
; COMPUTE_PGM_RSRC2:TGID_Y_EN: 0
; COMPUTE_PGM_RSRC2:TGID_Z_EN: 0
; COMPUTE_PGM_RSRC2:TIDIG_COMP_CNT: 0
; COMPUTE_PGM_RSRC3_GFX90A:ACCUM_OFFSET: 0
; COMPUTE_PGM_RSRC3_GFX90A:TG_SPLIT: 0
	.section	.text._ZN7rocprim17ROCPRIM_400000_NS6detail17trampoline_kernelINS0_14default_configENS1_38merge_sort_block_merge_config_selectorIlNS0_10empty_typeEEEZZNS1_27merge_sort_block_merge_implIS3_PlPS5_mZN2at6native12_GLOBAL__N_124unique_dim_cuda_templateIdEESt5tupleIJNSA_6TensorESF_SF_EERKSF_lbbbEUlllE_EE10hipError_tT0_T1_T2_jT3_P12ihipStream_tbPNSt15iterator_traitsISL_E10value_typeEPNSR_ISM_E10value_typeEPSN_NS1_7vsmem_tEENKUlT_SL_SM_SN_E_clIS8_S8_S9_S9_EESK_S10_SL_SM_SN_EUlS10_E0_NS1_11comp_targetILNS1_3genE4ELNS1_11target_archE910ELNS1_3gpuE8ELNS1_3repE0EEENS1_38merge_mergepath_config_static_selectorELNS0_4arch9wavefront6targetE1EEEvSM_,"axG",@progbits,_ZN7rocprim17ROCPRIM_400000_NS6detail17trampoline_kernelINS0_14default_configENS1_38merge_sort_block_merge_config_selectorIlNS0_10empty_typeEEEZZNS1_27merge_sort_block_merge_implIS3_PlPS5_mZN2at6native12_GLOBAL__N_124unique_dim_cuda_templateIdEESt5tupleIJNSA_6TensorESF_SF_EERKSF_lbbbEUlllE_EE10hipError_tT0_T1_T2_jT3_P12ihipStream_tbPNSt15iterator_traitsISL_E10value_typeEPNSR_ISM_E10value_typeEPSN_NS1_7vsmem_tEENKUlT_SL_SM_SN_E_clIS8_S8_S9_S9_EESK_S10_SL_SM_SN_EUlS10_E0_NS1_11comp_targetILNS1_3genE4ELNS1_11target_archE910ELNS1_3gpuE8ELNS1_3repE0EEENS1_38merge_mergepath_config_static_selectorELNS0_4arch9wavefront6targetE1EEEvSM_,comdat
	.globl	_ZN7rocprim17ROCPRIM_400000_NS6detail17trampoline_kernelINS0_14default_configENS1_38merge_sort_block_merge_config_selectorIlNS0_10empty_typeEEEZZNS1_27merge_sort_block_merge_implIS3_PlPS5_mZN2at6native12_GLOBAL__N_124unique_dim_cuda_templateIdEESt5tupleIJNSA_6TensorESF_SF_EERKSF_lbbbEUlllE_EE10hipError_tT0_T1_T2_jT3_P12ihipStream_tbPNSt15iterator_traitsISL_E10value_typeEPNSR_ISM_E10value_typeEPSN_NS1_7vsmem_tEENKUlT_SL_SM_SN_E_clIS8_S8_S9_S9_EESK_S10_SL_SM_SN_EUlS10_E0_NS1_11comp_targetILNS1_3genE4ELNS1_11target_archE910ELNS1_3gpuE8ELNS1_3repE0EEENS1_38merge_mergepath_config_static_selectorELNS0_4arch9wavefront6targetE1EEEvSM_ ; -- Begin function _ZN7rocprim17ROCPRIM_400000_NS6detail17trampoline_kernelINS0_14default_configENS1_38merge_sort_block_merge_config_selectorIlNS0_10empty_typeEEEZZNS1_27merge_sort_block_merge_implIS3_PlPS5_mZN2at6native12_GLOBAL__N_124unique_dim_cuda_templateIdEESt5tupleIJNSA_6TensorESF_SF_EERKSF_lbbbEUlllE_EE10hipError_tT0_T1_T2_jT3_P12ihipStream_tbPNSt15iterator_traitsISL_E10value_typeEPNSR_ISM_E10value_typeEPSN_NS1_7vsmem_tEENKUlT_SL_SM_SN_E_clIS8_S8_S9_S9_EESK_S10_SL_SM_SN_EUlS10_E0_NS1_11comp_targetILNS1_3genE4ELNS1_11target_archE910ELNS1_3gpuE8ELNS1_3repE0EEENS1_38merge_mergepath_config_static_selectorELNS0_4arch9wavefront6targetE1EEEvSM_
	.p2align	8
	.type	_ZN7rocprim17ROCPRIM_400000_NS6detail17trampoline_kernelINS0_14default_configENS1_38merge_sort_block_merge_config_selectorIlNS0_10empty_typeEEEZZNS1_27merge_sort_block_merge_implIS3_PlPS5_mZN2at6native12_GLOBAL__N_124unique_dim_cuda_templateIdEESt5tupleIJNSA_6TensorESF_SF_EERKSF_lbbbEUlllE_EE10hipError_tT0_T1_T2_jT3_P12ihipStream_tbPNSt15iterator_traitsISL_E10value_typeEPNSR_ISM_E10value_typeEPSN_NS1_7vsmem_tEENKUlT_SL_SM_SN_E_clIS8_S8_S9_S9_EESK_S10_SL_SM_SN_EUlS10_E0_NS1_11comp_targetILNS1_3genE4ELNS1_11target_archE910ELNS1_3gpuE8ELNS1_3repE0EEENS1_38merge_mergepath_config_static_selectorELNS0_4arch9wavefront6targetE1EEEvSM_,@function
_ZN7rocprim17ROCPRIM_400000_NS6detail17trampoline_kernelINS0_14default_configENS1_38merge_sort_block_merge_config_selectorIlNS0_10empty_typeEEEZZNS1_27merge_sort_block_merge_implIS3_PlPS5_mZN2at6native12_GLOBAL__N_124unique_dim_cuda_templateIdEESt5tupleIJNSA_6TensorESF_SF_EERKSF_lbbbEUlllE_EE10hipError_tT0_T1_T2_jT3_P12ihipStream_tbPNSt15iterator_traitsISL_E10value_typeEPNSR_ISM_E10value_typeEPSN_NS1_7vsmem_tEENKUlT_SL_SM_SN_E_clIS8_S8_S9_S9_EESK_S10_SL_SM_SN_EUlS10_E0_NS1_11comp_targetILNS1_3genE4ELNS1_11target_archE910ELNS1_3gpuE8ELNS1_3repE0EEENS1_38merge_mergepath_config_static_selectorELNS0_4arch9wavefront6targetE1EEEvSM_: ; @_ZN7rocprim17ROCPRIM_400000_NS6detail17trampoline_kernelINS0_14default_configENS1_38merge_sort_block_merge_config_selectorIlNS0_10empty_typeEEEZZNS1_27merge_sort_block_merge_implIS3_PlPS5_mZN2at6native12_GLOBAL__N_124unique_dim_cuda_templateIdEESt5tupleIJNSA_6TensorESF_SF_EERKSF_lbbbEUlllE_EE10hipError_tT0_T1_T2_jT3_P12ihipStream_tbPNSt15iterator_traitsISL_E10value_typeEPNSR_ISM_E10value_typeEPSN_NS1_7vsmem_tEENKUlT_SL_SM_SN_E_clIS8_S8_S9_S9_EESK_S10_SL_SM_SN_EUlS10_E0_NS1_11comp_targetILNS1_3genE4ELNS1_11target_archE910ELNS1_3gpuE8ELNS1_3repE0EEENS1_38merge_mergepath_config_static_selectorELNS0_4arch9wavefront6targetE1EEEvSM_
; %bb.0:
	.section	.rodata,"a",@progbits
	.p2align	6, 0x0
	.amdhsa_kernel _ZN7rocprim17ROCPRIM_400000_NS6detail17trampoline_kernelINS0_14default_configENS1_38merge_sort_block_merge_config_selectorIlNS0_10empty_typeEEEZZNS1_27merge_sort_block_merge_implIS3_PlPS5_mZN2at6native12_GLOBAL__N_124unique_dim_cuda_templateIdEESt5tupleIJNSA_6TensorESF_SF_EERKSF_lbbbEUlllE_EE10hipError_tT0_T1_T2_jT3_P12ihipStream_tbPNSt15iterator_traitsISL_E10value_typeEPNSR_ISM_E10value_typeEPSN_NS1_7vsmem_tEENKUlT_SL_SM_SN_E_clIS8_S8_S9_S9_EESK_S10_SL_SM_SN_EUlS10_E0_NS1_11comp_targetILNS1_3genE4ELNS1_11target_archE910ELNS1_3gpuE8ELNS1_3repE0EEENS1_38merge_mergepath_config_static_selectorELNS0_4arch9wavefront6targetE1EEEvSM_
		.amdhsa_group_segment_fixed_size 0
		.amdhsa_private_segment_fixed_size 0
		.amdhsa_kernarg_size 88
		.amdhsa_user_sgpr_count 2
		.amdhsa_user_sgpr_dispatch_ptr 0
		.amdhsa_user_sgpr_queue_ptr 0
		.amdhsa_user_sgpr_kernarg_segment_ptr 1
		.amdhsa_user_sgpr_dispatch_id 0
		.amdhsa_user_sgpr_kernarg_preload_length 0
		.amdhsa_user_sgpr_kernarg_preload_offset 0
		.amdhsa_user_sgpr_private_segment_size 0
		.amdhsa_uses_dynamic_stack 0
		.amdhsa_enable_private_segment 0
		.amdhsa_system_sgpr_workgroup_id_x 1
		.amdhsa_system_sgpr_workgroup_id_y 0
		.amdhsa_system_sgpr_workgroup_id_z 0
		.amdhsa_system_sgpr_workgroup_info 0
		.amdhsa_system_vgpr_workitem_id 0
		.amdhsa_next_free_vgpr 1
		.amdhsa_next_free_sgpr 0
		.amdhsa_accum_offset 4
		.amdhsa_reserve_vcc 0
		.amdhsa_float_round_mode_32 0
		.amdhsa_float_round_mode_16_64 0
		.amdhsa_float_denorm_mode_32 3
		.amdhsa_float_denorm_mode_16_64 3
		.amdhsa_dx10_clamp 1
		.amdhsa_ieee_mode 1
		.amdhsa_fp16_overflow 0
		.amdhsa_tg_split 0
		.amdhsa_exception_fp_ieee_invalid_op 0
		.amdhsa_exception_fp_denorm_src 0
		.amdhsa_exception_fp_ieee_div_zero 0
		.amdhsa_exception_fp_ieee_overflow 0
		.amdhsa_exception_fp_ieee_underflow 0
		.amdhsa_exception_fp_ieee_inexact 0
		.amdhsa_exception_int_div_zero 0
	.end_amdhsa_kernel
	.section	.text._ZN7rocprim17ROCPRIM_400000_NS6detail17trampoline_kernelINS0_14default_configENS1_38merge_sort_block_merge_config_selectorIlNS0_10empty_typeEEEZZNS1_27merge_sort_block_merge_implIS3_PlPS5_mZN2at6native12_GLOBAL__N_124unique_dim_cuda_templateIdEESt5tupleIJNSA_6TensorESF_SF_EERKSF_lbbbEUlllE_EE10hipError_tT0_T1_T2_jT3_P12ihipStream_tbPNSt15iterator_traitsISL_E10value_typeEPNSR_ISM_E10value_typeEPSN_NS1_7vsmem_tEENKUlT_SL_SM_SN_E_clIS8_S8_S9_S9_EESK_S10_SL_SM_SN_EUlS10_E0_NS1_11comp_targetILNS1_3genE4ELNS1_11target_archE910ELNS1_3gpuE8ELNS1_3repE0EEENS1_38merge_mergepath_config_static_selectorELNS0_4arch9wavefront6targetE1EEEvSM_,"axG",@progbits,_ZN7rocprim17ROCPRIM_400000_NS6detail17trampoline_kernelINS0_14default_configENS1_38merge_sort_block_merge_config_selectorIlNS0_10empty_typeEEEZZNS1_27merge_sort_block_merge_implIS3_PlPS5_mZN2at6native12_GLOBAL__N_124unique_dim_cuda_templateIdEESt5tupleIJNSA_6TensorESF_SF_EERKSF_lbbbEUlllE_EE10hipError_tT0_T1_T2_jT3_P12ihipStream_tbPNSt15iterator_traitsISL_E10value_typeEPNSR_ISM_E10value_typeEPSN_NS1_7vsmem_tEENKUlT_SL_SM_SN_E_clIS8_S8_S9_S9_EESK_S10_SL_SM_SN_EUlS10_E0_NS1_11comp_targetILNS1_3genE4ELNS1_11target_archE910ELNS1_3gpuE8ELNS1_3repE0EEENS1_38merge_mergepath_config_static_selectorELNS0_4arch9wavefront6targetE1EEEvSM_,comdat
.Lfunc_end769:
	.size	_ZN7rocprim17ROCPRIM_400000_NS6detail17trampoline_kernelINS0_14default_configENS1_38merge_sort_block_merge_config_selectorIlNS0_10empty_typeEEEZZNS1_27merge_sort_block_merge_implIS3_PlPS5_mZN2at6native12_GLOBAL__N_124unique_dim_cuda_templateIdEESt5tupleIJNSA_6TensorESF_SF_EERKSF_lbbbEUlllE_EE10hipError_tT0_T1_T2_jT3_P12ihipStream_tbPNSt15iterator_traitsISL_E10value_typeEPNSR_ISM_E10value_typeEPSN_NS1_7vsmem_tEENKUlT_SL_SM_SN_E_clIS8_S8_S9_S9_EESK_S10_SL_SM_SN_EUlS10_E0_NS1_11comp_targetILNS1_3genE4ELNS1_11target_archE910ELNS1_3gpuE8ELNS1_3repE0EEENS1_38merge_mergepath_config_static_selectorELNS0_4arch9wavefront6targetE1EEEvSM_, .Lfunc_end769-_ZN7rocprim17ROCPRIM_400000_NS6detail17trampoline_kernelINS0_14default_configENS1_38merge_sort_block_merge_config_selectorIlNS0_10empty_typeEEEZZNS1_27merge_sort_block_merge_implIS3_PlPS5_mZN2at6native12_GLOBAL__N_124unique_dim_cuda_templateIdEESt5tupleIJNSA_6TensorESF_SF_EERKSF_lbbbEUlllE_EE10hipError_tT0_T1_T2_jT3_P12ihipStream_tbPNSt15iterator_traitsISL_E10value_typeEPNSR_ISM_E10value_typeEPSN_NS1_7vsmem_tEENKUlT_SL_SM_SN_E_clIS8_S8_S9_S9_EESK_S10_SL_SM_SN_EUlS10_E0_NS1_11comp_targetILNS1_3genE4ELNS1_11target_archE910ELNS1_3gpuE8ELNS1_3repE0EEENS1_38merge_mergepath_config_static_selectorELNS0_4arch9wavefront6targetE1EEEvSM_
                                        ; -- End function
	.set _ZN7rocprim17ROCPRIM_400000_NS6detail17trampoline_kernelINS0_14default_configENS1_38merge_sort_block_merge_config_selectorIlNS0_10empty_typeEEEZZNS1_27merge_sort_block_merge_implIS3_PlPS5_mZN2at6native12_GLOBAL__N_124unique_dim_cuda_templateIdEESt5tupleIJNSA_6TensorESF_SF_EERKSF_lbbbEUlllE_EE10hipError_tT0_T1_T2_jT3_P12ihipStream_tbPNSt15iterator_traitsISL_E10value_typeEPNSR_ISM_E10value_typeEPSN_NS1_7vsmem_tEENKUlT_SL_SM_SN_E_clIS8_S8_S9_S9_EESK_S10_SL_SM_SN_EUlS10_E0_NS1_11comp_targetILNS1_3genE4ELNS1_11target_archE910ELNS1_3gpuE8ELNS1_3repE0EEENS1_38merge_mergepath_config_static_selectorELNS0_4arch9wavefront6targetE1EEEvSM_.num_vgpr, 0
	.set _ZN7rocprim17ROCPRIM_400000_NS6detail17trampoline_kernelINS0_14default_configENS1_38merge_sort_block_merge_config_selectorIlNS0_10empty_typeEEEZZNS1_27merge_sort_block_merge_implIS3_PlPS5_mZN2at6native12_GLOBAL__N_124unique_dim_cuda_templateIdEESt5tupleIJNSA_6TensorESF_SF_EERKSF_lbbbEUlllE_EE10hipError_tT0_T1_T2_jT3_P12ihipStream_tbPNSt15iterator_traitsISL_E10value_typeEPNSR_ISM_E10value_typeEPSN_NS1_7vsmem_tEENKUlT_SL_SM_SN_E_clIS8_S8_S9_S9_EESK_S10_SL_SM_SN_EUlS10_E0_NS1_11comp_targetILNS1_3genE4ELNS1_11target_archE910ELNS1_3gpuE8ELNS1_3repE0EEENS1_38merge_mergepath_config_static_selectorELNS0_4arch9wavefront6targetE1EEEvSM_.num_agpr, 0
	.set _ZN7rocprim17ROCPRIM_400000_NS6detail17trampoline_kernelINS0_14default_configENS1_38merge_sort_block_merge_config_selectorIlNS0_10empty_typeEEEZZNS1_27merge_sort_block_merge_implIS3_PlPS5_mZN2at6native12_GLOBAL__N_124unique_dim_cuda_templateIdEESt5tupleIJNSA_6TensorESF_SF_EERKSF_lbbbEUlllE_EE10hipError_tT0_T1_T2_jT3_P12ihipStream_tbPNSt15iterator_traitsISL_E10value_typeEPNSR_ISM_E10value_typeEPSN_NS1_7vsmem_tEENKUlT_SL_SM_SN_E_clIS8_S8_S9_S9_EESK_S10_SL_SM_SN_EUlS10_E0_NS1_11comp_targetILNS1_3genE4ELNS1_11target_archE910ELNS1_3gpuE8ELNS1_3repE0EEENS1_38merge_mergepath_config_static_selectorELNS0_4arch9wavefront6targetE1EEEvSM_.numbered_sgpr, 0
	.set _ZN7rocprim17ROCPRIM_400000_NS6detail17trampoline_kernelINS0_14default_configENS1_38merge_sort_block_merge_config_selectorIlNS0_10empty_typeEEEZZNS1_27merge_sort_block_merge_implIS3_PlPS5_mZN2at6native12_GLOBAL__N_124unique_dim_cuda_templateIdEESt5tupleIJNSA_6TensorESF_SF_EERKSF_lbbbEUlllE_EE10hipError_tT0_T1_T2_jT3_P12ihipStream_tbPNSt15iterator_traitsISL_E10value_typeEPNSR_ISM_E10value_typeEPSN_NS1_7vsmem_tEENKUlT_SL_SM_SN_E_clIS8_S8_S9_S9_EESK_S10_SL_SM_SN_EUlS10_E0_NS1_11comp_targetILNS1_3genE4ELNS1_11target_archE910ELNS1_3gpuE8ELNS1_3repE0EEENS1_38merge_mergepath_config_static_selectorELNS0_4arch9wavefront6targetE1EEEvSM_.num_named_barrier, 0
	.set _ZN7rocprim17ROCPRIM_400000_NS6detail17trampoline_kernelINS0_14default_configENS1_38merge_sort_block_merge_config_selectorIlNS0_10empty_typeEEEZZNS1_27merge_sort_block_merge_implIS3_PlPS5_mZN2at6native12_GLOBAL__N_124unique_dim_cuda_templateIdEESt5tupleIJNSA_6TensorESF_SF_EERKSF_lbbbEUlllE_EE10hipError_tT0_T1_T2_jT3_P12ihipStream_tbPNSt15iterator_traitsISL_E10value_typeEPNSR_ISM_E10value_typeEPSN_NS1_7vsmem_tEENKUlT_SL_SM_SN_E_clIS8_S8_S9_S9_EESK_S10_SL_SM_SN_EUlS10_E0_NS1_11comp_targetILNS1_3genE4ELNS1_11target_archE910ELNS1_3gpuE8ELNS1_3repE0EEENS1_38merge_mergepath_config_static_selectorELNS0_4arch9wavefront6targetE1EEEvSM_.private_seg_size, 0
	.set _ZN7rocprim17ROCPRIM_400000_NS6detail17trampoline_kernelINS0_14default_configENS1_38merge_sort_block_merge_config_selectorIlNS0_10empty_typeEEEZZNS1_27merge_sort_block_merge_implIS3_PlPS5_mZN2at6native12_GLOBAL__N_124unique_dim_cuda_templateIdEESt5tupleIJNSA_6TensorESF_SF_EERKSF_lbbbEUlllE_EE10hipError_tT0_T1_T2_jT3_P12ihipStream_tbPNSt15iterator_traitsISL_E10value_typeEPNSR_ISM_E10value_typeEPSN_NS1_7vsmem_tEENKUlT_SL_SM_SN_E_clIS8_S8_S9_S9_EESK_S10_SL_SM_SN_EUlS10_E0_NS1_11comp_targetILNS1_3genE4ELNS1_11target_archE910ELNS1_3gpuE8ELNS1_3repE0EEENS1_38merge_mergepath_config_static_selectorELNS0_4arch9wavefront6targetE1EEEvSM_.uses_vcc, 0
	.set _ZN7rocprim17ROCPRIM_400000_NS6detail17trampoline_kernelINS0_14default_configENS1_38merge_sort_block_merge_config_selectorIlNS0_10empty_typeEEEZZNS1_27merge_sort_block_merge_implIS3_PlPS5_mZN2at6native12_GLOBAL__N_124unique_dim_cuda_templateIdEESt5tupleIJNSA_6TensorESF_SF_EERKSF_lbbbEUlllE_EE10hipError_tT0_T1_T2_jT3_P12ihipStream_tbPNSt15iterator_traitsISL_E10value_typeEPNSR_ISM_E10value_typeEPSN_NS1_7vsmem_tEENKUlT_SL_SM_SN_E_clIS8_S8_S9_S9_EESK_S10_SL_SM_SN_EUlS10_E0_NS1_11comp_targetILNS1_3genE4ELNS1_11target_archE910ELNS1_3gpuE8ELNS1_3repE0EEENS1_38merge_mergepath_config_static_selectorELNS0_4arch9wavefront6targetE1EEEvSM_.uses_flat_scratch, 0
	.set _ZN7rocprim17ROCPRIM_400000_NS6detail17trampoline_kernelINS0_14default_configENS1_38merge_sort_block_merge_config_selectorIlNS0_10empty_typeEEEZZNS1_27merge_sort_block_merge_implIS3_PlPS5_mZN2at6native12_GLOBAL__N_124unique_dim_cuda_templateIdEESt5tupleIJNSA_6TensorESF_SF_EERKSF_lbbbEUlllE_EE10hipError_tT0_T1_T2_jT3_P12ihipStream_tbPNSt15iterator_traitsISL_E10value_typeEPNSR_ISM_E10value_typeEPSN_NS1_7vsmem_tEENKUlT_SL_SM_SN_E_clIS8_S8_S9_S9_EESK_S10_SL_SM_SN_EUlS10_E0_NS1_11comp_targetILNS1_3genE4ELNS1_11target_archE910ELNS1_3gpuE8ELNS1_3repE0EEENS1_38merge_mergepath_config_static_selectorELNS0_4arch9wavefront6targetE1EEEvSM_.has_dyn_sized_stack, 0
	.set _ZN7rocprim17ROCPRIM_400000_NS6detail17trampoline_kernelINS0_14default_configENS1_38merge_sort_block_merge_config_selectorIlNS0_10empty_typeEEEZZNS1_27merge_sort_block_merge_implIS3_PlPS5_mZN2at6native12_GLOBAL__N_124unique_dim_cuda_templateIdEESt5tupleIJNSA_6TensorESF_SF_EERKSF_lbbbEUlllE_EE10hipError_tT0_T1_T2_jT3_P12ihipStream_tbPNSt15iterator_traitsISL_E10value_typeEPNSR_ISM_E10value_typeEPSN_NS1_7vsmem_tEENKUlT_SL_SM_SN_E_clIS8_S8_S9_S9_EESK_S10_SL_SM_SN_EUlS10_E0_NS1_11comp_targetILNS1_3genE4ELNS1_11target_archE910ELNS1_3gpuE8ELNS1_3repE0EEENS1_38merge_mergepath_config_static_selectorELNS0_4arch9wavefront6targetE1EEEvSM_.has_recursion, 0
	.set _ZN7rocprim17ROCPRIM_400000_NS6detail17trampoline_kernelINS0_14default_configENS1_38merge_sort_block_merge_config_selectorIlNS0_10empty_typeEEEZZNS1_27merge_sort_block_merge_implIS3_PlPS5_mZN2at6native12_GLOBAL__N_124unique_dim_cuda_templateIdEESt5tupleIJNSA_6TensorESF_SF_EERKSF_lbbbEUlllE_EE10hipError_tT0_T1_T2_jT3_P12ihipStream_tbPNSt15iterator_traitsISL_E10value_typeEPNSR_ISM_E10value_typeEPSN_NS1_7vsmem_tEENKUlT_SL_SM_SN_E_clIS8_S8_S9_S9_EESK_S10_SL_SM_SN_EUlS10_E0_NS1_11comp_targetILNS1_3genE4ELNS1_11target_archE910ELNS1_3gpuE8ELNS1_3repE0EEENS1_38merge_mergepath_config_static_selectorELNS0_4arch9wavefront6targetE1EEEvSM_.has_indirect_call, 0
	.section	.AMDGPU.csdata,"",@progbits
; Kernel info:
; codeLenInByte = 0
; TotalNumSgprs: 6
; NumVgprs: 0
; NumAgprs: 0
; TotalNumVgprs: 0
; ScratchSize: 0
; MemoryBound: 0
; FloatMode: 240
; IeeeMode: 1
; LDSByteSize: 0 bytes/workgroup (compile time only)
; SGPRBlocks: 0
; VGPRBlocks: 0
; NumSGPRsForWavesPerEU: 6
; NumVGPRsForWavesPerEU: 1
; AccumOffset: 4
; Occupancy: 8
; WaveLimiterHint : 0
; COMPUTE_PGM_RSRC2:SCRATCH_EN: 0
; COMPUTE_PGM_RSRC2:USER_SGPR: 2
; COMPUTE_PGM_RSRC2:TRAP_HANDLER: 0
; COMPUTE_PGM_RSRC2:TGID_X_EN: 1
; COMPUTE_PGM_RSRC2:TGID_Y_EN: 0
; COMPUTE_PGM_RSRC2:TGID_Z_EN: 0
; COMPUTE_PGM_RSRC2:TIDIG_COMP_CNT: 0
; COMPUTE_PGM_RSRC3_GFX90A:ACCUM_OFFSET: 0
; COMPUTE_PGM_RSRC3_GFX90A:TG_SPLIT: 0
	.section	.text._ZN7rocprim17ROCPRIM_400000_NS6detail17trampoline_kernelINS0_14default_configENS1_38merge_sort_block_merge_config_selectorIlNS0_10empty_typeEEEZZNS1_27merge_sort_block_merge_implIS3_PlPS5_mZN2at6native12_GLOBAL__N_124unique_dim_cuda_templateIdEESt5tupleIJNSA_6TensorESF_SF_EERKSF_lbbbEUlllE_EE10hipError_tT0_T1_T2_jT3_P12ihipStream_tbPNSt15iterator_traitsISL_E10value_typeEPNSR_ISM_E10value_typeEPSN_NS1_7vsmem_tEENKUlT_SL_SM_SN_E_clIS8_S8_S9_S9_EESK_S10_SL_SM_SN_EUlS10_E0_NS1_11comp_targetILNS1_3genE3ELNS1_11target_archE908ELNS1_3gpuE7ELNS1_3repE0EEENS1_38merge_mergepath_config_static_selectorELNS0_4arch9wavefront6targetE1EEEvSM_,"axG",@progbits,_ZN7rocprim17ROCPRIM_400000_NS6detail17trampoline_kernelINS0_14default_configENS1_38merge_sort_block_merge_config_selectorIlNS0_10empty_typeEEEZZNS1_27merge_sort_block_merge_implIS3_PlPS5_mZN2at6native12_GLOBAL__N_124unique_dim_cuda_templateIdEESt5tupleIJNSA_6TensorESF_SF_EERKSF_lbbbEUlllE_EE10hipError_tT0_T1_T2_jT3_P12ihipStream_tbPNSt15iterator_traitsISL_E10value_typeEPNSR_ISM_E10value_typeEPSN_NS1_7vsmem_tEENKUlT_SL_SM_SN_E_clIS8_S8_S9_S9_EESK_S10_SL_SM_SN_EUlS10_E0_NS1_11comp_targetILNS1_3genE3ELNS1_11target_archE908ELNS1_3gpuE7ELNS1_3repE0EEENS1_38merge_mergepath_config_static_selectorELNS0_4arch9wavefront6targetE1EEEvSM_,comdat
	.globl	_ZN7rocprim17ROCPRIM_400000_NS6detail17trampoline_kernelINS0_14default_configENS1_38merge_sort_block_merge_config_selectorIlNS0_10empty_typeEEEZZNS1_27merge_sort_block_merge_implIS3_PlPS5_mZN2at6native12_GLOBAL__N_124unique_dim_cuda_templateIdEESt5tupleIJNSA_6TensorESF_SF_EERKSF_lbbbEUlllE_EE10hipError_tT0_T1_T2_jT3_P12ihipStream_tbPNSt15iterator_traitsISL_E10value_typeEPNSR_ISM_E10value_typeEPSN_NS1_7vsmem_tEENKUlT_SL_SM_SN_E_clIS8_S8_S9_S9_EESK_S10_SL_SM_SN_EUlS10_E0_NS1_11comp_targetILNS1_3genE3ELNS1_11target_archE908ELNS1_3gpuE7ELNS1_3repE0EEENS1_38merge_mergepath_config_static_selectorELNS0_4arch9wavefront6targetE1EEEvSM_ ; -- Begin function _ZN7rocprim17ROCPRIM_400000_NS6detail17trampoline_kernelINS0_14default_configENS1_38merge_sort_block_merge_config_selectorIlNS0_10empty_typeEEEZZNS1_27merge_sort_block_merge_implIS3_PlPS5_mZN2at6native12_GLOBAL__N_124unique_dim_cuda_templateIdEESt5tupleIJNSA_6TensorESF_SF_EERKSF_lbbbEUlllE_EE10hipError_tT0_T1_T2_jT3_P12ihipStream_tbPNSt15iterator_traitsISL_E10value_typeEPNSR_ISM_E10value_typeEPSN_NS1_7vsmem_tEENKUlT_SL_SM_SN_E_clIS8_S8_S9_S9_EESK_S10_SL_SM_SN_EUlS10_E0_NS1_11comp_targetILNS1_3genE3ELNS1_11target_archE908ELNS1_3gpuE7ELNS1_3repE0EEENS1_38merge_mergepath_config_static_selectorELNS0_4arch9wavefront6targetE1EEEvSM_
	.p2align	8
	.type	_ZN7rocprim17ROCPRIM_400000_NS6detail17trampoline_kernelINS0_14default_configENS1_38merge_sort_block_merge_config_selectorIlNS0_10empty_typeEEEZZNS1_27merge_sort_block_merge_implIS3_PlPS5_mZN2at6native12_GLOBAL__N_124unique_dim_cuda_templateIdEESt5tupleIJNSA_6TensorESF_SF_EERKSF_lbbbEUlllE_EE10hipError_tT0_T1_T2_jT3_P12ihipStream_tbPNSt15iterator_traitsISL_E10value_typeEPNSR_ISM_E10value_typeEPSN_NS1_7vsmem_tEENKUlT_SL_SM_SN_E_clIS8_S8_S9_S9_EESK_S10_SL_SM_SN_EUlS10_E0_NS1_11comp_targetILNS1_3genE3ELNS1_11target_archE908ELNS1_3gpuE7ELNS1_3repE0EEENS1_38merge_mergepath_config_static_selectorELNS0_4arch9wavefront6targetE1EEEvSM_,@function
_ZN7rocprim17ROCPRIM_400000_NS6detail17trampoline_kernelINS0_14default_configENS1_38merge_sort_block_merge_config_selectorIlNS0_10empty_typeEEEZZNS1_27merge_sort_block_merge_implIS3_PlPS5_mZN2at6native12_GLOBAL__N_124unique_dim_cuda_templateIdEESt5tupleIJNSA_6TensorESF_SF_EERKSF_lbbbEUlllE_EE10hipError_tT0_T1_T2_jT3_P12ihipStream_tbPNSt15iterator_traitsISL_E10value_typeEPNSR_ISM_E10value_typeEPSN_NS1_7vsmem_tEENKUlT_SL_SM_SN_E_clIS8_S8_S9_S9_EESK_S10_SL_SM_SN_EUlS10_E0_NS1_11comp_targetILNS1_3genE3ELNS1_11target_archE908ELNS1_3gpuE7ELNS1_3repE0EEENS1_38merge_mergepath_config_static_selectorELNS0_4arch9wavefront6targetE1EEEvSM_: ; @_ZN7rocprim17ROCPRIM_400000_NS6detail17trampoline_kernelINS0_14default_configENS1_38merge_sort_block_merge_config_selectorIlNS0_10empty_typeEEEZZNS1_27merge_sort_block_merge_implIS3_PlPS5_mZN2at6native12_GLOBAL__N_124unique_dim_cuda_templateIdEESt5tupleIJNSA_6TensorESF_SF_EERKSF_lbbbEUlllE_EE10hipError_tT0_T1_T2_jT3_P12ihipStream_tbPNSt15iterator_traitsISL_E10value_typeEPNSR_ISM_E10value_typeEPSN_NS1_7vsmem_tEENKUlT_SL_SM_SN_E_clIS8_S8_S9_S9_EESK_S10_SL_SM_SN_EUlS10_E0_NS1_11comp_targetILNS1_3genE3ELNS1_11target_archE908ELNS1_3gpuE7ELNS1_3repE0EEENS1_38merge_mergepath_config_static_selectorELNS0_4arch9wavefront6targetE1EEEvSM_
; %bb.0:
	.section	.rodata,"a",@progbits
	.p2align	6, 0x0
	.amdhsa_kernel _ZN7rocprim17ROCPRIM_400000_NS6detail17trampoline_kernelINS0_14default_configENS1_38merge_sort_block_merge_config_selectorIlNS0_10empty_typeEEEZZNS1_27merge_sort_block_merge_implIS3_PlPS5_mZN2at6native12_GLOBAL__N_124unique_dim_cuda_templateIdEESt5tupleIJNSA_6TensorESF_SF_EERKSF_lbbbEUlllE_EE10hipError_tT0_T1_T2_jT3_P12ihipStream_tbPNSt15iterator_traitsISL_E10value_typeEPNSR_ISM_E10value_typeEPSN_NS1_7vsmem_tEENKUlT_SL_SM_SN_E_clIS8_S8_S9_S9_EESK_S10_SL_SM_SN_EUlS10_E0_NS1_11comp_targetILNS1_3genE3ELNS1_11target_archE908ELNS1_3gpuE7ELNS1_3repE0EEENS1_38merge_mergepath_config_static_selectorELNS0_4arch9wavefront6targetE1EEEvSM_
		.amdhsa_group_segment_fixed_size 0
		.amdhsa_private_segment_fixed_size 0
		.amdhsa_kernarg_size 88
		.amdhsa_user_sgpr_count 2
		.amdhsa_user_sgpr_dispatch_ptr 0
		.amdhsa_user_sgpr_queue_ptr 0
		.amdhsa_user_sgpr_kernarg_segment_ptr 1
		.amdhsa_user_sgpr_dispatch_id 0
		.amdhsa_user_sgpr_kernarg_preload_length 0
		.amdhsa_user_sgpr_kernarg_preload_offset 0
		.amdhsa_user_sgpr_private_segment_size 0
		.amdhsa_uses_dynamic_stack 0
		.amdhsa_enable_private_segment 0
		.amdhsa_system_sgpr_workgroup_id_x 1
		.amdhsa_system_sgpr_workgroup_id_y 0
		.amdhsa_system_sgpr_workgroup_id_z 0
		.amdhsa_system_sgpr_workgroup_info 0
		.amdhsa_system_vgpr_workitem_id 0
		.amdhsa_next_free_vgpr 1
		.amdhsa_next_free_sgpr 0
		.amdhsa_accum_offset 4
		.amdhsa_reserve_vcc 0
		.amdhsa_float_round_mode_32 0
		.amdhsa_float_round_mode_16_64 0
		.amdhsa_float_denorm_mode_32 3
		.amdhsa_float_denorm_mode_16_64 3
		.amdhsa_dx10_clamp 1
		.amdhsa_ieee_mode 1
		.amdhsa_fp16_overflow 0
		.amdhsa_tg_split 0
		.amdhsa_exception_fp_ieee_invalid_op 0
		.amdhsa_exception_fp_denorm_src 0
		.amdhsa_exception_fp_ieee_div_zero 0
		.amdhsa_exception_fp_ieee_overflow 0
		.amdhsa_exception_fp_ieee_underflow 0
		.amdhsa_exception_fp_ieee_inexact 0
		.amdhsa_exception_int_div_zero 0
	.end_amdhsa_kernel
	.section	.text._ZN7rocprim17ROCPRIM_400000_NS6detail17trampoline_kernelINS0_14default_configENS1_38merge_sort_block_merge_config_selectorIlNS0_10empty_typeEEEZZNS1_27merge_sort_block_merge_implIS3_PlPS5_mZN2at6native12_GLOBAL__N_124unique_dim_cuda_templateIdEESt5tupleIJNSA_6TensorESF_SF_EERKSF_lbbbEUlllE_EE10hipError_tT0_T1_T2_jT3_P12ihipStream_tbPNSt15iterator_traitsISL_E10value_typeEPNSR_ISM_E10value_typeEPSN_NS1_7vsmem_tEENKUlT_SL_SM_SN_E_clIS8_S8_S9_S9_EESK_S10_SL_SM_SN_EUlS10_E0_NS1_11comp_targetILNS1_3genE3ELNS1_11target_archE908ELNS1_3gpuE7ELNS1_3repE0EEENS1_38merge_mergepath_config_static_selectorELNS0_4arch9wavefront6targetE1EEEvSM_,"axG",@progbits,_ZN7rocprim17ROCPRIM_400000_NS6detail17trampoline_kernelINS0_14default_configENS1_38merge_sort_block_merge_config_selectorIlNS0_10empty_typeEEEZZNS1_27merge_sort_block_merge_implIS3_PlPS5_mZN2at6native12_GLOBAL__N_124unique_dim_cuda_templateIdEESt5tupleIJNSA_6TensorESF_SF_EERKSF_lbbbEUlllE_EE10hipError_tT0_T1_T2_jT3_P12ihipStream_tbPNSt15iterator_traitsISL_E10value_typeEPNSR_ISM_E10value_typeEPSN_NS1_7vsmem_tEENKUlT_SL_SM_SN_E_clIS8_S8_S9_S9_EESK_S10_SL_SM_SN_EUlS10_E0_NS1_11comp_targetILNS1_3genE3ELNS1_11target_archE908ELNS1_3gpuE7ELNS1_3repE0EEENS1_38merge_mergepath_config_static_selectorELNS0_4arch9wavefront6targetE1EEEvSM_,comdat
.Lfunc_end770:
	.size	_ZN7rocprim17ROCPRIM_400000_NS6detail17trampoline_kernelINS0_14default_configENS1_38merge_sort_block_merge_config_selectorIlNS0_10empty_typeEEEZZNS1_27merge_sort_block_merge_implIS3_PlPS5_mZN2at6native12_GLOBAL__N_124unique_dim_cuda_templateIdEESt5tupleIJNSA_6TensorESF_SF_EERKSF_lbbbEUlllE_EE10hipError_tT0_T1_T2_jT3_P12ihipStream_tbPNSt15iterator_traitsISL_E10value_typeEPNSR_ISM_E10value_typeEPSN_NS1_7vsmem_tEENKUlT_SL_SM_SN_E_clIS8_S8_S9_S9_EESK_S10_SL_SM_SN_EUlS10_E0_NS1_11comp_targetILNS1_3genE3ELNS1_11target_archE908ELNS1_3gpuE7ELNS1_3repE0EEENS1_38merge_mergepath_config_static_selectorELNS0_4arch9wavefront6targetE1EEEvSM_, .Lfunc_end770-_ZN7rocprim17ROCPRIM_400000_NS6detail17trampoline_kernelINS0_14default_configENS1_38merge_sort_block_merge_config_selectorIlNS0_10empty_typeEEEZZNS1_27merge_sort_block_merge_implIS3_PlPS5_mZN2at6native12_GLOBAL__N_124unique_dim_cuda_templateIdEESt5tupleIJNSA_6TensorESF_SF_EERKSF_lbbbEUlllE_EE10hipError_tT0_T1_T2_jT3_P12ihipStream_tbPNSt15iterator_traitsISL_E10value_typeEPNSR_ISM_E10value_typeEPSN_NS1_7vsmem_tEENKUlT_SL_SM_SN_E_clIS8_S8_S9_S9_EESK_S10_SL_SM_SN_EUlS10_E0_NS1_11comp_targetILNS1_3genE3ELNS1_11target_archE908ELNS1_3gpuE7ELNS1_3repE0EEENS1_38merge_mergepath_config_static_selectorELNS0_4arch9wavefront6targetE1EEEvSM_
                                        ; -- End function
	.set _ZN7rocprim17ROCPRIM_400000_NS6detail17trampoline_kernelINS0_14default_configENS1_38merge_sort_block_merge_config_selectorIlNS0_10empty_typeEEEZZNS1_27merge_sort_block_merge_implIS3_PlPS5_mZN2at6native12_GLOBAL__N_124unique_dim_cuda_templateIdEESt5tupleIJNSA_6TensorESF_SF_EERKSF_lbbbEUlllE_EE10hipError_tT0_T1_T2_jT3_P12ihipStream_tbPNSt15iterator_traitsISL_E10value_typeEPNSR_ISM_E10value_typeEPSN_NS1_7vsmem_tEENKUlT_SL_SM_SN_E_clIS8_S8_S9_S9_EESK_S10_SL_SM_SN_EUlS10_E0_NS1_11comp_targetILNS1_3genE3ELNS1_11target_archE908ELNS1_3gpuE7ELNS1_3repE0EEENS1_38merge_mergepath_config_static_selectorELNS0_4arch9wavefront6targetE1EEEvSM_.num_vgpr, 0
	.set _ZN7rocprim17ROCPRIM_400000_NS6detail17trampoline_kernelINS0_14default_configENS1_38merge_sort_block_merge_config_selectorIlNS0_10empty_typeEEEZZNS1_27merge_sort_block_merge_implIS3_PlPS5_mZN2at6native12_GLOBAL__N_124unique_dim_cuda_templateIdEESt5tupleIJNSA_6TensorESF_SF_EERKSF_lbbbEUlllE_EE10hipError_tT0_T1_T2_jT3_P12ihipStream_tbPNSt15iterator_traitsISL_E10value_typeEPNSR_ISM_E10value_typeEPSN_NS1_7vsmem_tEENKUlT_SL_SM_SN_E_clIS8_S8_S9_S9_EESK_S10_SL_SM_SN_EUlS10_E0_NS1_11comp_targetILNS1_3genE3ELNS1_11target_archE908ELNS1_3gpuE7ELNS1_3repE0EEENS1_38merge_mergepath_config_static_selectorELNS0_4arch9wavefront6targetE1EEEvSM_.num_agpr, 0
	.set _ZN7rocprim17ROCPRIM_400000_NS6detail17trampoline_kernelINS0_14default_configENS1_38merge_sort_block_merge_config_selectorIlNS0_10empty_typeEEEZZNS1_27merge_sort_block_merge_implIS3_PlPS5_mZN2at6native12_GLOBAL__N_124unique_dim_cuda_templateIdEESt5tupleIJNSA_6TensorESF_SF_EERKSF_lbbbEUlllE_EE10hipError_tT0_T1_T2_jT3_P12ihipStream_tbPNSt15iterator_traitsISL_E10value_typeEPNSR_ISM_E10value_typeEPSN_NS1_7vsmem_tEENKUlT_SL_SM_SN_E_clIS8_S8_S9_S9_EESK_S10_SL_SM_SN_EUlS10_E0_NS1_11comp_targetILNS1_3genE3ELNS1_11target_archE908ELNS1_3gpuE7ELNS1_3repE0EEENS1_38merge_mergepath_config_static_selectorELNS0_4arch9wavefront6targetE1EEEvSM_.numbered_sgpr, 0
	.set _ZN7rocprim17ROCPRIM_400000_NS6detail17trampoline_kernelINS0_14default_configENS1_38merge_sort_block_merge_config_selectorIlNS0_10empty_typeEEEZZNS1_27merge_sort_block_merge_implIS3_PlPS5_mZN2at6native12_GLOBAL__N_124unique_dim_cuda_templateIdEESt5tupleIJNSA_6TensorESF_SF_EERKSF_lbbbEUlllE_EE10hipError_tT0_T1_T2_jT3_P12ihipStream_tbPNSt15iterator_traitsISL_E10value_typeEPNSR_ISM_E10value_typeEPSN_NS1_7vsmem_tEENKUlT_SL_SM_SN_E_clIS8_S8_S9_S9_EESK_S10_SL_SM_SN_EUlS10_E0_NS1_11comp_targetILNS1_3genE3ELNS1_11target_archE908ELNS1_3gpuE7ELNS1_3repE0EEENS1_38merge_mergepath_config_static_selectorELNS0_4arch9wavefront6targetE1EEEvSM_.num_named_barrier, 0
	.set _ZN7rocprim17ROCPRIM_400000_NS6detail17trampoline_kernelINS0_14default_configENS1_38merge_sort_block_merge_config_selectorIlNS0_10empty_typeEEEZZNS1_27merge_sort_block_merge_implIS3_PlPS5_mZN2at6native12_GLOBAL__N_124unique_dim_cuda_templateIdEESt5tupleIJNSA_6TensorESF_SF_EERKSF_lbbbEUlllE_EE10hipError_tT0_T1_T2_jT3_P12ihipStream_tbPNSt15iterator_traitsISL_E10value_typeEPNSR_ISM_E10value_typeEPSN_NS1_7vsmem_tEENKUlT_SL_SM_SN_E_clIS8_S8_S9_S9_EESK_S10_SL_SM_SN_EUlS10_E0_NS1_11comp_targetILNS1_3genE3ELNS1_11target_archE908ELNS1_3gpuE7ELNS1_3repE0EEENS1_38merge_mergepath_config_static_selectorELNS0_4arch9wavefront6targetE1EEEvSM_.private_seg_size, 0
	.set _ZN7rocprim17ROCPRIM_400000_NS6detail17trampoline_kernelINS0_14default_configENS1_38merge_sort_block_merge_config_selectorIlNS0_10empty_typeEEEZZNS1_27merge_sort_block_merge_implIS3_PlPS5_mZN2at6native12_GLOBAL__N_124unique_dim_cuda_templateIdEESt5tupleIJNSA_6TensorESF_SF_EERKSF_lbbbEUlllE_EE10hipError_tT0_T1_T2_jT3_P12ihipStream_tbPNSt15iterator_traitsISL_E10value_typeEPNSR_ISM_E10value_typeEPSN_NS1_7vsmem_tEENKUlT_SL_SM_SN_E_clIS8_S8_S9_S9_EESK_S10_SL_SM_SN_EUlS10_E0_NS1_11comp_targetILNS1_3genE3ELNS1_11target_archE908ELNS1_3gpuE7ELNS1_3repE0EEENS1_38merge_mergepath_config_static_selectorELNS0_4arch9wavefront6targetE1EEEvSM_.uses_vcc, 0
	.set _ZN7rocprim17ROCPRIM_400000_NS6detail17trampoline_kernelINS0_14default_configENS1_38merge_sort_block_merge_config_selectorIlNS0_10empty_typeEEEZZNS1_27merge_sort_block_merge_implIS3_PlPS5_mZN2at6native12_GLOBAL__N_124unique_dim_cuda_templateIdEESt5tupleIJNSA_6TensorESF_SF_EERKSF_lbbbEUlllE_EE10hipError_tT0_T1_T2_jT3_P12ihipStream_tbPNSt15iterator_traitsISL_E10value_typeEPNSR_ISM_E10value_typeEPSN_NS1_7vsmem_tEENKUlT_SL_SM_SN_E_clIS8_S8_S9_S9_EESK_S10_SL_SM_SN_EUlS10_E0_NS1_11comp_targetILNS1_3genE3ELNS1_11target_archE908ELNS1_3gpuE7ELNS1_3repE0EEENS1_38merge_mergepath_config_static_selectorELNS0_4arch9wavefront6targetE1EEEvSM_.uses_flat_scratch, 0
	.set _ZN7rocprim17ROCPRIM_400000_NS6detail17trampoline_kernelINS0_14default_configENS1_38merge_sort_block_merge_config_selectorIlNS0_10empty_typeEEEZZNS1_27merge_sort_block_merge_implIS3_PlPS5_mZN2at6native12_GLOBAL__N_124unique_dim_cuda_templateIdEESt5tupleIJNSA_6TensorESF_SF_EERKSF_lbbbEUlllE_EE10hipError_tT0_T1_T2_jT3_P12ihipStream_tbPNSt15iterator_traitsISL_E10value_typeEPNSR_ISM_E10value_typeEPSN_NS1_7vsmem_tEENKUlT_SL_SM_SN_E_clIS8_S8_S9_S9_EESK_S10_SL_SM_SN_EUlS10_E0_NS1_11comp_targetILNS1_3genE3ELNS1_11target_archE908ELNS1_3gpuE7ELNS1_3repE0EEENS1_38merge_mergepath_config_static_selectorELNS0_4arch9wavefront6targetE1EEEvSM_.has_dyn_sized_stack, 0
	.set _ZN7rocprim17ROCPRIM_400000_NS6detail17trampoline_kernelINS0_14default_configENS1_38merge_sort_block_merge_config_selectorIlNS0_10empty_typeEEEZZNS1_27merge_sort_block_merge_implIS3_PlPS5_mZN2at6native12_GLOBAL__N_124unique_dim_cuda_templateIdEESt5tupleIJNSA_6TensorESF_SF_EERKSF_lbbbEUlllE_EE10hipError_tT0_T1_T2_jT3_P12ihipStream_tbPNSt15iterator_traitsISL_E10value_typeEPNSR_ISM_E10value_typeEPSN_NS1_7vsmem_tEENKUlT_SL_SM_SN_E_clIS8_S8_S9_S9_EESK_S10_SL_SM_SN_EUlS10_E0_NS1_11comp_targetILNS1_3genE3ELNS1_11target_archE908ELNS1_3gpuE7ELNS1_3repE0EEENS1_38merge_mergepath_config_static_selectorELNS0_4arch9wavefront6targetE1EEEvSM_.has_recursion, 0
	.set _ZN7rocprim17ROCPRIM_400000_NS6detail17trampoline_kernelINS0_14default_configENS1_38merge_sort_block_merge_config_selectorIlNS0_10empty_typeEEEZZNS1_27merge_sort_block_merge_implIS3_PlPS5_mZN2at6native12_GLOBAL__N_124unique_dim_cuda_templateIdEESt5tupleIJNSA_6TensorESF_SF_EERKSF_lbbbEUlllE_EE10hipError_tT0_T1_T2_jT3_P12ihipStream_tbPNSt15iterator_traitsISL_E10value_typeEPNSR_ISM_E10value_typeEPSN_NS1_7vsmem_tEENKUlT_SL_SM_SN_E_clIS8_S8_S9_S9_EESK_S10_SL_SM_SN_EUlS10_E0_NS1_11comp_targetILNS1_3genE3ELNS1_11target_archE908ELNS1_3gpuE7ELNS1_3repE0EEENS1_38merge_mergepath_config_static_selectorELNS0_4arch9wavefront6targetE1EEEvSM_.has_indirect_call, 0
	.section	.AMDGPU.csdata,"",@progbits
; Kernel info:
; codeLenInByte = 0
; TotalNumSgprs: 6
; NumVgprs: 0
; NumAgprs: 0
; TotalNumVgprs: 0
; ScratchSize: 0
; MemoryBound: 0
; FloatMode: 240
; IeeeMode: 1
; LDSByteSize: 0 bytes/workgroup (compile time only)
; SGPRBlocks: 0
; VGPRBlocks: 0
; NumSGPRsForWavesPerEU: 6
; NumVGPRsForWavesPerEU: 1
; AccumOffset: 4
; Occupancy: 8
; WaveLimiterHint : 0
; COMPUTE_PGM_RSRC2:SCRATCH_EN: 0
; COMPUTE_PGM_RSRC2:USER_SGPR: 2
; COMPUTE_PGM_RSRC2:TRAP_HANDLER: 0
; COMPUTE_PGM_RSRC2:TGID_X_EN: 1
; COMPUTE_PGM_RSRC2:TGID_Y_EN: 0
; COMPUTE_PGM_RSRC2:TGID_Z_EN: 0
; COMPUTE_PGM_RSRC2:TIDIG_COMP_CNT: 0
; COMPUTE_PGM_RSRC3_GFX90A:ACCUM_OFFSET: 0
; COMPUTE_PGM_RSRC3_GFX90A:TG_SPLIT: 0
	.section	.text._ZN7rocprim17ROCPRIM_400000_NS6detail17trampoline_kernelINS0_14default_configENS1_38merge_sort_block_merge_config_selectorIlNS0_10empty_typeEEEZZNS1_27merge_sort_block_merge_implIS3_PlPS5_mZN2at6native12_GLOBAL__N_124unique_dim_cuda_templateIdEESt5tupleIJNSA_6TensorESF_SF_EERKSF_lbbbEUlllE_EE10hipError_tT0_T1_T2_jT3_P12ihipStream_tbPNSt15iterator_traitsISL_E10value_typeEPNSR_ISM_E10value_typeEPSN_NS1_7vsmem_tEENKUlT_SL_SM_SN_E_clIS8_S8_S9_S9_EESK_S10_SL_SM_SN_EUlS10_E0_NS1_11comp_targetILNS1_3genE2ELNS1_11target_archE906ELNS1_3gpuE6ELNS1_3repE0EEENS1_38merge_mergepath_config_static_selectorELNS0_4arch9wavefront6targetE1EEEvSM_,"axG",@progbits,_ZN7rocprim17ROCPRIM_400000_NS6detail17trampoline_kernelINS0_14default_configENS1_38merge_sort_block_merge_config_selectorIlNS0_10empty_typeEEEZZNS1_27merge_sort_block_merge_implIS3_PlPS5_mZN2at6native12_GLOBAL__N_124unique_dim_cuda_templateIdEESt5tupleIJNSA_6TensorESF_SF_EERKSF_lbbbEUlllE_EE10hipError_tT0_T1_T2_jT3_P12ihipStream_tbPNSt15iterator_traitsISL_E10value_typeEPNSR_ISM_E10value_typeEPSN_NS1_7vsmem_tEENKUlT_SL_SM_SN_E_clIS8_S8_S9_S9_EESK_S10_SL_SM_SN_EUlS10_E0_NS1_11comp_targetILNS1_3genE2ELNS1_11target_archE906ELNS1_3gpuE6ELNS1_3repE0EEENS1_38merge_mergepath_config_static_selectorELNS0_4arch9wavefront6targetE1EEEvSM_,comdat
	.globl	_ZN7rocprim17ROCPRIM_400000_NS6detail17trampoline_kernelINS0_14default_configENS1_38merge_sort_block_merge_config_selectorIlNS0_10empty_typeEEEZZNS1_27merge_sort_block_merge_implIS3_PlPS5_mZN2at6native12_GLOBAL__N_124unique_dim_cuda_templateIdEESt5tupleIJNSA_6TensorESF_SF_EERKSF_lbbbEUlllE_EE10hipError_tT0_T1_T2_jT3_P12ihipStream_tbPNSt15iterator_traitsISL_E10value_typeEPNSR_ISM_E10value_typeEPSN_NS1_7vsmem_tEENKUlT_SL_SM_SN_E_clIS8_S8_S9_S9_EESK_S10_SL_SM_SN_EUlS10_E0_NS1_11comp_targetILNS1_3genE2ELNS1_11target_archE906ELNS1_3gpuE6ELNS1_3repE0EEENS1_38merge_mergepath_config_static_selectorELNS0_4arch9wavefront6targetE1EEEvSM_ ; -- Begin function _ZN7rocprim17ROCPRIM_400000_NS6detail17trampoline_kernelINS0_14default_configENS1_38merge_sort_block_merge_config_selectorIlNS0_10empty_typeEEEZZNS1_27merge_sort_block_merge_implIS3_PlPS5_mZN2at6native12_GLOBAL__N_124unique_dim_cuda_templateIdEESt5tupleIJNSA_6TensorESF_SF_EERKSF_lbbbEUlllE_EE10hipError_tT0_T1_T2_jT3_P12ihipStream_tbPNSt15iterator_traitsISL_E10value_typeEPNSR_ISM_E10value_typeEPSN_NS1_7vsmem_tEENKUlT_SL_SM_SN_E_clIS8_S8_S9_S9_EESK_S10_SL_SM_SN_EUlS10_E0_NS1_11comp_targetILNS1_3genE2ELNS1_11target_archE906ELNS1_3gpuE6ELNS1_3repE0EEENS1_38merge_mergepath_config_static_selectorELNS0_4arch9wavefront6targetE1EEEvSM_
	.p2align	8
	.type	_ZN7rocprim17ROCPRIM_400000_NS6detail17trampoline_kernelINS0_14default_configENS1_38merge_sort_block_merge_config_selectorIlNS0_10empty_typeEEEZZNS1_27merge_sort_block_merge_implIS3_PlPS5_mZN2at6native12_GLOBAL__N_124unique_dim_cuda_templateIdEESt5tupleIJNSA_6TensorESF_SF_EERKSF_lbbbEUlllE_EE10hipError_tT0_T1_T2_jT3_P12ihipStream_tbPNSt15iterator_traitsISL_E10value_typeEPNSR_ISM_E10value_typeEPSN_NS1_7vsmem_tEENKUlT_SL_SM_SN_E_clIS8_S8_S9_S9_EESK_S10_SL_SM_SN_EUlS10_E0_NS1_11comp_targetILNS1_3genE2ELNS1_11target_archE906ELNS1_3gpuE6ELNS1_3repE0EEENS1_38merge_mergepath_config_static_selectorELNS0_4arch9wavefront6targetE1EEEvSM_,@function
_ZN7rocprim17ROCPRIM_400000_NS6detail17trampoline_kernelINS0_14default_configENS1_38merge_sort_block_merge_config_selectorIlNS0_10empty_typeEEEZZNS1_27merge_sort_block_merge_implIS3_PlPS5_mZN2at6native12_GLOBAL__N_124unique_dim_cuda_templateIdEESt5tupleIJNSA_6TensorESF_SF_EERKSF_lbbbEUlllE_EE10hipError_tT0_T1_T2_jT3_P12ihipStream_tbPNSt15iterator_traitsISL_E10value_typeEPNSR_ISM_E10value_typeEPSN_NS1_7vsmem_tEENKUlT_SL_SM_SN_E_clIS8_S8_S9_S9_EESK_S10_SL_SM_SN_EUlS10_E0_NS1_11comp_targetILNS1_3genE2ELNS1_11target_archE906ELNS1_3gpuE6ELNS1_3repE0EEENS1_38merge_mergepath_config_static_selectorELNS0_4arch9wavefront6targetE1EEEvSM_: ; @_ZN7rocprim17ROCPRIM_400000_NS6detail17trampoline_kernelINS0_14default_configENS1_38merge_sort_block_merge_config_selectorIlNS0_10empty_typeEEEZZNS1_27merge_sort_block_merge_implIS3_PlPS5_mZN2at6native12_GLOBAL__N_124unique_dim_cuda_templateIdEESt5tupleIJNSA_6TensorESF_SF_EERKSF_lbbbEUlllE_EE10hipError_tT0_T1_T2_jT3_P12ihipStream_tbPNSt15iterator_traitsISL_E10value_typeEPNSR_ISM_E10value_typeEPSN_NS1_7vsmem_tEENKUlT_SL_SM_SN_E_clIS8_S8_S9_S9_EESK_S10_SL_SM_SN_EUlS10_E0_NS1_11comp_targetILNS1_3genE2ELNS1_11target_archE906ELNS1_3gpuE6ELNS1_3repE0EEENS1_38merge_mergepath_config_static_selectorELNS0_4arch9wavefront6targetE1EEEvSM_
; %bb.0:
	.section	.rodata,"a",@progbits
	.p2align	6, 0x0
	.amdhsa_kernel _ZN7rocprim17ROCPRIM_400000_NS6detail17trampoline_kernelINS0_14default_configENS1_38merge_sort_block_merge_config_selectorIlNS0_10empty_typeEEEZZNS1_27merge_sort_block_merge_implIS3_PlPS5_mZN2at6native12_GLOBAL__N_124unique_dim_cuda_templateIdEESt5tupleIJNSA_6TensorESF_SF_EERKSF_lbbbEUlllE_EE10hipError_tT0_T1_T2_jT3_P12ihipStream_tbPNSt15iterator_traitsISL_E10value_typeEPNSR_ISM_E10value_typeEPSN_NS1_7vsmem_tEENKUlT_SL_SM_SN_E_clIS8_S8_S9_S9_EESK_S10_SL_SM_SN_EUlS10_E0_NS1_11comp_targetILNS1_3genE2ELNS1_11target_archE906ELNS1_3gpuE6ELNS1_3repE0EEENS1_38merge_mergepath_config_static_selectorELNS0_4arch9wavefront6targetE1EEEvSM_
		.amdhsa_group_segment_fixed_size 0
		.amdhsa_private_segment_fixed_size 0
		.amdhsa_kernarg_size 88
		.amdhsa_user_sgpr_count 2
		.amdhsa_user_sgpr_dispatch_ptr 0
		.amdhsa_user_sgpr_queue_ptr 0
		.amdhsa_user_sgpr_kernarg_segment_ptr 1
		.amdhsa_user_sgpr_dispatch_id 0
		.amdhsa_user_sgpr_kernarg_preload_length 0
		.amdhsa_user_sgpr_kernarg_preload_offset 0
		.amdhsa_user_sgpr_private_segment_size 0
		.amdhsa_uses_dynamic_stack 0
		.amdhsa_enable_private_segment 0
		.amdhsa_system_sgpr_workgroup_id_x 1
		.amdhsa_system_sgpr_workgroup_id_y 0
		.amdhsa_system_sgpr_workgroup_id_z 0
		.amdhsa_system_sgpr_workgroup_info 0
		.amdhsa_system_vgpr_workitem_id 0
		.amdhsa_next_free_vgpr 1
		.amdhsa_next_free_sgpr 0
		.amdhsa_accum_offset 4
		.amdhsa_reserve_vcc 0
		.amdhsa_float_round_mode_32 0
		.amdhsa_float_round_mode_16_64 0
		.amdhsa_float_denorm_mode_32 3
		.amdhsa_float_denorm_mode_16_64 3
		.amdhsa_dx10_clamp 1
		.amdhsa_ieee_mode 1
		.amdhsa_fp16_overflow 0
		.amdhsa_tg_split 0
		.amdhsa_exception_fp_ieee_invalid_op 0
		.amdhsa_exception_fp_denorm_src 0
		.amdhsa_exception_fp_ieee_div_zero 0
		.amdhsa_exception_fp_ieee_overflow 0
		.amdhsa_exception_fp_ieee_underflow 0
		.amdhsa_exception_fp_ieee_inexact 0
		.amdhsa_exception_int_div_zero 0
	.end_amdhsa_kernel
	.section	.text._ZN7rocprim17ROCPRIM_400000_NS6detail17trampoline_kernelINS0_14default_configENS1_38merge_sort_block_merge_config_selectorIlNS0_10empty_typeEEEZZNS1_27merge_sort_block_merge_implIS3_PlPS5_mZN2at6native12_GLOBAL__N_124unique_dim_cuda_templateIdEESt5tupleIJNSA_6TensorESF_SF_EERKSF_lbbbEUlllE_EE10hipError_tT0_T1_T2_jT3_P12ihipStream_tbPNSt15iterator_traitsISL_E10value_typeEPNSR_ISM_E10value_typeEPSN_NS1_7vsmem_tEENKUlT_SL_SM_SN_E_clIS8_S8_S9_S9_EESK_S10_SL_SM_SN_EUlS10_E0_NS1_11comp_targetILNS1_3genE2ELNS1_11target_archE906ELNS1_3gpuE6ELNS1_3repE0EEENS1_38merge_mergepath_config_static_selectorELNS0_4arch9wavefront6targetE1EEEvSM_,"axG",@progbits,_ZN7rocprim17ROCPRIM_400000_NS6detail17trampoline_kernelINS0_14default_configENS1_38merge_sort_block_merge_config_selectorIlNS0_10empty_typeEEEZZNS1_27merge_sort_block_merge_implIS3_PlPS5_mZN2at6native12_GLOBAL__N_124unique_dim_cuda_templateIdEESt5tupleIJNSA_6TensorESF_SF_EERKSF_lbbbEUlllE_EE10hipError_tT0_T1_T2_jT3_P12ihipStream_tbPNSt15iterator_traitsISL_E10value_typeEPNSR_ISM_E10value_typeEPSN_NS1_7vsmem_tEENKUlT_SL_SM_SN_E_clIS8_S8_S9_S9_EESK_S10_SL_SM_SN_EUlS10_E0_NS1_11comp_targetILNS1_3genE2ELNS1_11target_archE906ELNS1_3gpuE6ELNS1_3repE0EEENS1_38merge_mergepath_config_static_selectorELNS0_4arch9wavefront6targetE1EEEvSM_,comdat
.Lfunc_end771:
	.size	_ZN7rocprim17ROCPRIM_400000_NS6detail17trampoline_kernelINS0_14default_configENS1_38merge_sort_block_merge_config_selectorIlNS0_10empty_typeEEEZZNS1_27merge_sort_block_merge_implIS3_PlPS5_mZN2at6native12_GLOBAL__N_124unique_dim_cuda_templateIdEESt5tupleIJNSA_6TensorESF_SF_EERKSF_lbbbEUlllE_EE10hipError_tT0_T1_T2_jT3_P12ihipStream_tbPNSt15iterator_traitsISL_E10value_typeEPNSR_ISM_E10value_typeEPSN_NS1_7vsmem_tEENKUlT_SL_SM_SN_E_clIS8_S8_S9_S9_EESK_S10_SL_SM_SN_EUlS10_E0_NS1_11comp_targetILNS1_3genE2ELNS1_11target_archE906ELNS1_3gpuE6ELNS1_3repE0EEENS1_38merge_mergepath_config_static_selectorELNS0_4arch9wavefront6targetE1EEEvSM_, .Lfunc_end771-_ZN7rocprim17ROCPRIM_400000_NS6detail17trampoline_kernelINS0_14default_configENS1_38merge_sort_block_merge_config_selectorIlNS0_10empty_typeEEEZZNS1_27merge_sort_block_merge_implIS3_PlPS5_mZN2at6native12_GLOBAL__N_124unique_dim_cuda_templateIdEESt5tupleIJNSA_6TensorESF_SF_EERKSF_lbbbEUlllE_EE10hipError_tT0_T1_T2_jT3_P12ihipStream_tbPNSt15iterator_traitsISL_E10value_typeEPNSR_ISM_E10value_typeEPSN_NS1_7vsmem_tEENKUlT_SL_SM_SN_E_clIS8_S8_S9_S9_EESK_S10_SL_SM_SN_EUlS10_E0_NS1_11comp_targetILNS1_3genE2ELNS1_11target_archE906ELNS1_3gpuE6ELNS1_3repE0EEENS1_38merge_mergepath_config_static_selectorELNS0_4arch9wavefront6targetE1EEEvSM_
                                        ; -- End function
	.set _ZN7rocprim17ROCPRIM_400000_NS6detail17trampoline_kernelINS0_14default_configENS1_38merge_sort_block_merge_config_selectorIlNS0_10empty_typeEEEZZNS1_27merge_sort_block_merge_implIS3_PlPS5_mZN2at6native12_GLOBAL__N_124unique_dim_cuda_templateIdEESt5tupleIJNSA_6TensorESF_SF_EERKSF_lbbbEUlllE_EE10hipError_tT0_T1_T2_jT3_P12ihipStream_tbPNSt15iterator_traitsISL_E10value_typeEPNSR_ISM_E10value_typeEPSN_NS1_7vsmem_tEENKUlT_SL_SM_SN_E_clIS8_S8_S9_S9_EESK_S10_SL_SM_SN_EUlS10_E0_NS1_11comp_targetILNS1_3genE2ELNS1_11target_archE906ELNS1_3gpuE6ELNS1_3repE0EEENS1_38merge_mergepath_config_static_selectorELNS0_4arch9wavefront6targetE1EEEvSM_.num_vgpr, 0
	.set _ZN7rocprim17ROCPRIM_400000_NS6detail17trampoline_kernelINS0_14default_configENS1_38merge_sort_block_merge_config_selectorIlNS0_10empty_typeEEEZZNS1_27merge_sort_block_merge_implIS3_PlPS5_mZN2at6native12_GLOBAL__N_124unique_dim_cuda_templateIdEESt5tupleIJNSA_6TensorESF_SF_EERKSF_lbbbEUlllE_EE10hipError_tT0_T1_T2_jT3_P12ihipStream_tbPNSt15iterator_traitsISL_E10value_typeEPNSR_ISM_E10value_typeEPSN_NS1_7vsmem_tEENKUlT_SL_SM_SN_E_clIS8_S8_S9_S9_EESK_S10_SL_SM_SN_EUlS10_E0_NS1_11comp_targetILNS1_3genE2ELNS1_11target_archE906ELNS1_3gpuE6ELNS1_3repE0EEENS1_38merge_mergepath_config_static_selectorELNS0_4arch9wavefront6targetE1EEEvSM_.num_agpr, 0
	.set _ZN7rocprim17ROCPRIM_400000_NS6detail17trampoline_kernelINS0_14default_configENS1_38merge_sort_block_merge_config_selectorIlNS0_10empty_typeEEEZZNS1_27merge_sort_block_merge_implIS3_PlPS5_mZN2at6native12_GLOBAL__N_124unique_dim_cuda_templateIdEESt5tupleIJNSA_6TensorESF_SF_EERKSF_lbbbEUlllE_EE10hipError_tT0_T1_T2_jT3_P12ihipStream_tbPNSt15iterator_traitsISL_E10value_typeEPNSR_ISM_E10value_typeEPSN_NS1_7vsmem_tEENKUlT_SL_SM_SN_E_clIS8_S8_S9_S9_EESK_S10_SL_SM_SN_EUlS10_E0_NS1_11comp_targetILNS1_3genE2ELNS1_11target_archE906ELNS1_3gpuE6ELNS1_3repE0EEENS1_38merge_mergepath_config_static_selectorELNS0_4arch9wavefront6targetE1EEEvSM_.numbered_sgpr, 0
	.set _ZN7rocprim17ROCPRIM_400000_NS6detail17trampoline_kernelINS0_14default_configENS1_38merge_sort_block_merge_config_selectorIlNS0_10empty_typeEEEZZNS1_27merge_sort_block_merge_implIS3_PlPS5_mZN2at6native12_GLOBAL__N_124unique_dim_cuda_templateIdEESt5tupleIJNSA_6TensorESF_SF_EERKSF_lbbbEUlllE_EE10hipError_tT0_T1_T2_jT3_P12ihipStream_tbPNSt15iterator_traitsISL_E10value_typeEPNSR_ISM_E10value_typeEPSN_NS1_7vsmem_tEENKUlT_SL_SM_SN_E_clIS8_S8_S9_S9_EESK_S10_SL_SM_SN_EUlS10_E0_NS1_11comp_targetILNS1_3genE2ELNS1_11target_archE906ELNS1_3gpuE6ELNS1_3repE0EEENS1_38merge_mergepath_config_static_selectorELNS0_4arch9wavefront6targetE1EEEvSM_.num_named_barrier, 0
	.set _ZN7rocprim17ROCPRIM_400000_NS6detail17trampoline_kernelINS0_14default_configENS1_38merge_sort_block_merge_config_selectorIlNS0_10empty_typeEEEZZNS1_27merge_sort_block_merge_implIS3_PlPS5_mZN2at6native12_GLOBAL__N_124unique_dim_cuda_templateIdEESt5tupleIJNSA_6TensorESF_SF_EERKSF_lbbbEUlllE_EE10hipError_tT0_T1_T2_jT3_P12ihipStream_tbPNSt15iterator_traitsISL_E10value_typeEPNSR_ISM_E10value_typeEPSN_NS1_7vsmem_tEENKUlT_SL_SM_SN_E_clIS8_S8_S9_S9_EESK_S10_SL_SM_SN_EUlS10_E0_NS1_11comp_targetILNS1_3genE2ELNS1_11target_archE906ELNS1_3gpuE6ELNS1_3repE0EEENS1_38merge_mergepath_config_static_selectorELNS0_4arch9wavefront6targetE1EEEvSM_.private_seg_size, 0
	.set _ZN7rocprim17ROCPRIM_400000_NS6detail17trampoline_kernelINS0_14default_configENS1_38merge_sort_block_merge_config_selectorIlNS0_10empty_typeEEEZZNS1_27merge_sort_block_merge_implIS3_PlPS5_mZN2at6native12_GLOBAL__N_124unique_dim_cuda_templateIdEESt5tupleIJNSA_6TensorESF_SF_EERKSF_lbbbEUlllE_EE10hipError_tT0_T1_T2_jT3_P12ihipStream_tbPNSt15iterator_traitsISL_E10value_typeEPNSR_ISM_E10value_typeEPSN_NS1_7vsmem_tEENKUlT_SL_SM_SN_E_clIS8_S8_S9_S9_EESK_S10_SL_SM_SN_EUlS10_E0_NS1_11comp_targetILNS1_3genE2ELNS1_11target_archE906ELNS1_3gpuE6ELNS1_3repE0EEENS1_38merge_mergepath_config_static_selectorELNS0_4arch9wavefront6targetE1EEEvSM_.uses_vcc, 0
	.set _ZN7rocprim17ROCPRIM_400000_NS6detail17trampoline_kernelINS0_14default_configENS1_38merge_sort_block_merge_config_selectorIlNS0_10empty_typeEEEZZNS1_27merge_sort_block_merge_implIS3_PlPS5_mZN2at6native12_GLOBAL__N_124unique_dim_cuda_templateIdEESt5tupleIJNSA_6TensorESF_SF_EERKSF_lbbbEUlllE_EE10hipError_tT0_T1_T2_jT3_P12ihipStream_tbPNSt15iterator_traitsISL_E10value_typeEPNSR_ISM_E10value_typeEPSN_NS1_7vsmem_tEENKUlT_SL_SM_SN_E_clIS8_S8_S9_S9_EESK_S10_SL_SM_SN_EUlS10_E0_NS1_11comp_targetILNS1_3genE2ELNS1_11target_archE906ELNS1_3gpuE6ELNS1_3repE0EEENS1_38merge_mergepath_config_static_selectorELNS0_4arch9wavefront6targetE1EEEvSM_.uses_flat_scratch, 0
	.set _ZN7rocprim17ROCPRIM_400000_NS6detail17trampoline_kernelINS0_14default_configENS1_38merge_sort_block_merge_config_selectorIlNS0_10empty_typeEEEZZNS1_27merge_sort_block_merge_implIS3_PlPS5_mZN2at6native12_GLOBAL__N_124unique_dim_cuda_templateIdEESt5tupleIJNSA_6TensorESF_SF_EERKSF_lbbbEUlllE_EE10hipError_tT0_T1_T2_jT3_P12ihipStream_tbPNSt15iterator_traitsISL_E10value_typeEPNSR_ISM_E10value_typeEPSN_NS1_7vsmem_tEENKUlT_SL_SM_SN_E_clIS8_S8_S9_S9_EESK_S10_SL_SM_SN_EUlS10_E0_NS1_11comp_targetILNS1_3genE2ELNS1_11target_archE906ELNS1_3gpuE6ELNS1_3repE0EEENS1_38merge_mergepath_config_static_selectorELNS0_4arch9wavefront6targetE1EEEvSM_.has_dyn_sized_stack, 0
	.set _ZN7rocprim17ROCPRIM_400000_NS6detail17trampoline_kernelINS0_14default_configENS1_38merge_sort_block_merge_config_selectorIlNS0_10empty_typeEEEZZNS1_27merge_sort_block_merge_implIS3_PlPS5_mZN2at6native12_GLOBAL__N_124unique_dim_cuda_templateIdEESt5tupleIJNSA_6TensorESF_SF_EERKSF_lbbbEUlllE_EE10hipError_tT0_T1_T2_jT3_P12ihipStream_tbPNSt15iterator_traitsISL_E10value_typeEPNSR_ISM_E10value_typeEPSN_NS1_7vsmem_tEENKUlT_SL_SM_SN_E_clIS8_S8_S9_S9_EESK_S10_SL_SM_SN_EUlS10_E0_NS1_11comp_targetILNS1_3genE2ELNS1_11target_archE906ELNS1_3gpuE6ELNS1_3repE0EEENS1_38merge_mergepath_config_static_selectorELNS0_4arch9wavefront6targetE1EEEvSM_.has_recursion, 0
	.set _ZN7rocprim17ROCPRIM_400000_NS6detail17trampoline_kernelINS0_14default_configENS1_38merge_sort_block_merge_config_selectorIlNS0_10empty_typeEEEZZNS1_27merge_sort_block_merge_implIS3_PlPS5_mZN2at6native12_GLOBAL__N_124unique_dim_cuda_templateIdEESt5tupleIJNSA_6TensorESF_SF_EERKSF_lbbbEUlllE_EE10hipError_tT0_T1_T2_jT3_P12ihipStream_tbPNSt15iterator_traitsISL_E10value_typeEPNSR_ISM_E10value_typeEPSN_NS1_7vsmem_tEENKUlT_SL_SM_SN_E_clIS8_S8_S9_S9_EESK_S10_SL_SM_SN_EUlS10_E0_NS1_11comp_targetILNS1_3genE2ELNS1_11target_archE906ELNS1_3gpuE6ELNS1_3repE0EEENS1_38merge_mergepath_config_static_selectorELNS0_4arch9wavefront6targetE1EEEvSM_.has_indirect_call, 0
	.section	.AMDGPU.csdata,"",@progbits
; Kernel info:
; codeLenInByte = 0
; TotalNumSgprs: 6
; NumVgprs: 0
; NumAgprs: 0
; TotalNumVgprs: 0
; ScratchSize: 0
; MemoryBound: 0
; FloatMode: 240
; IeeeMode: 1
; LDSByteSize: 0 bytes/workgroup (compile time only)
; SGPRBlocks: 0
; VGPRBlocks: 0
; NumSGPRsForWavesPerEU: 6
; NumVGPRsForWavesPerEU: 1
; AccumOffset: 4
; Occupancy: 8
; WaveLimiterHint : 0
; COMPUTE_PGM_RSRC2:SCRATCH_EN: 0
; COMPUTE_PGM_RSRC2:USER_SGPR: 2
; COMPUTE_PGM_RSRC2:TRAP_HANDLER: 0
; COMPUTE_PGM_RSRC2:TGID_X_EN: 1
; COMPUTE_PGM_RSRC2:TGID_Y_EN: 0
; COMPUTE_PGM_RSRC2:TGID_Z_EN: 0
; COMPUTE_PGM_RSRC2:TIDIG_COMP_CNT: 0
; COMPUTE_PGM_RSRC3_GFX90A:ACCUM_OFFSET: 0
; COMPUTE_PGM_RSRC3_GFX90A:TG_SPLIT: 0
	.section	.text._ZN7rocprim17ROCPRIM_400000_NS6detail17trampoline_kernelINS0_14default_configENS1_38merge_sort_block_merge_config_selectorIlNS0_10empty_typeEEEZZNS1_27merge_sort_block_merge_implIS3_PlPS5_mZN2at6native12_GLOBAL__N_124unique_dim_cuda_templateIdEESt5tupleIJNSA_6TensorESF_SF_EERKSF_lbbbEUlllE_EE10hipError_tT0_T1_T2_jT3_P12ihipStream_tbPNSt15iterator_traitsISL_E10value_typeEPNSR_ISM_E10value_typeEPSN_NS1_7vsmem_tEENKUlT_SL_SM_SN_E_clIS8_S8_S9_S9_EESK_S10_SL_SM_SN_EUlS10_E0_NS1_11comp_targetILNS1_3genE9ELNS1_11target_archE1100ELNS1_3gpuE3ELNS1_3repE0EEENS1_38merge_mergepath_config_static_selectorELNS0_4arch9wavefront6targetE1EEEvSM_,"axG",@progbits,_ZN7rocprim17ROCPRIM_400000_NS6detail17trampoline_kernelINS0_14default_configENS1_38merge_sort_block_merge_config_selectorIlNS0_10empty_typeEEEZZNS1_27merge_sort_block_merge_implIS3_PlPS5_mZN2at6native12_GLOBAL__N_124unique_dim_cuda_templateIdEESt5tupleIJNSA_6TensorESF_SF_EERKSF_lbbbEUlllE_EE10hipError_tT0_T1_T2_jT3_P12ihipStream_tbPNSt15iterator_traitsISL_E10value_typeEPNSR_ISM_E10value_typeEPSN_NS1_7vsmem_tEENKUlT_SL_SM_SN_E_clIS8_S8_S9_S9_EESK_S10_SL_SM_SN_EUlS10_E0_NS1_11comp_targetILNS1_3genE9ELNS1_11target_archE1100ELNS1_3gpuE3ELNS1_3repE0EEENS1_38merge_mergepath_config_static_selectorELNS0_4arch9wavefront6targetE1EEEvSM_,comdat
	.globl	_ZN7rocprim17ROCPRIM_400000_NS6detail17trampoline_kernelINS0_14default_configENS1_38merge_sort_block_merge_config_selectorIlNS0_10empty_typeEEEZZNS1_27merge_sort_block_merge_implIS3_PlPS5_mZN2at6native12_GLOBAL__N_124unique_dim_cuda_templateIdEESt5tupleIJNSA_6TensorESF_SF_EERKSF_lbbbEUlllE_EE10hipError_tT0_T1_T2_jT3_P12ihipStream_tbPNSt15iterator_traitsISL_E10value_typeEPNSR_ISM_E10value_typeEPSN_NS1_7vsmem_tEENKUlT_SL_SM_SN_E_clIS8_S8_S9_S9_EESK_S10_SL_SM_SN_EUlS10_E0_NS1_11comp_targetILNS1_3genE9ELNS1_11target_archE1100ELNS1_3gpuE3ELNS1_3repE0EEENS1_38merge_mergepath_config_static_selectorELNS0_4arch9wavefront6targetE1EEEvSM_ ; -- Begin function _ZN7rocprim17ROCPRIM_400000_NS6detail17trampoline_kernelINS0_14default_configENS1_38merge_sort_block_merge_config_selectorIlNS0_10empty_typeEEEZZNS1_27merge_sort_block_merge_implIS3_PlPS5_mZN2at6native12_GLOBAL__N_124unique_dim_cuda_templateIdEESt5tupleIJNSA_6TensorESF_SF_EERKSF_lbbbEUlllE_EE10hipError_tT0_T1_T2_jT3_P12ihipStream_tbPNSt15iterator_traitsISL_E10value_typeEPNSR_ISM_E10value_typeEPSN_NS1_7vsmem_tEENKUlT_SL_SM_SN_E_clIS8_S8_S9_S9_EESK_S10_SL_SM_SN_EUlS10_E0_NS1_11comp_targetILNS1_3genE9ELNS1_11target_archE1100ELNS1_3gpuE3ELNS1_3repE0EEENS1_38merge_mergepath_config_static_selectorELNS0_4arch9wavefront6targetE1EEEvSM_
	.p2align	8
	.type	_ZN7rocprim17ROCPRIM_400000_NS6detail17trampoline_kernelINS0_14default_configENS1_38merge_sort_block_merge_config_selectorIlNS0_10empty_typeEEEZZNS1_27merge_sort_block_merge_implIS3_PlPS5_mZN2at6native12_GLOBAL__N_124unique_dim_cuda_templateIdEESt5tupleIJNSA_6TensorESF_SF_EERKSF_lbbbEUlllE_EE10hipError_tT0_T1_T2_jT3_P12ihipStream_tbPNSt15iterator_traitsISL_E10value_typeEPNSR_ISM_E10value_typeEPSN_NS1_7vsmem_tEENKUlT_SL_SM_SN_E_clIS8_S8_S9_S9_EESK_S10_SL_SM_SN_EUlS10_E0_NS1_11comp_targetILNS1_3genE9ELNS1_11target_archE1100ELNS1_3gpuE3ELNS1_3repE0EEENS1_38merge_mergepath_config_static_selectorELNS0_4arch9wavefront6targetE1EEEvSM_,@function
_ZN7rocprim17ROCPRIM_400000_NS6detail17trampoline_kernelINS0_14default_configENS1_38merge_sort_block_merge_config_selectorIlNS0_10empty_typeEEEZZNS1_27merge_sort_block_merge_implIS3_PlPS5_mZN2at6native12_GLOBAL__N_124unique_dim_cuda_templateIdEESt5tupleIJNSA_6TensorESF_SF_EERKSF_lbbbEUlllE_EE10hipError_tT0_T1_T2_jT3_P12ihipStream_tbPNSt15iterator_traitsISL_E10value_typeEPNSR_ISM_E10value_typeEPSN_NS1_7vsmem_tEENKUlT_SL_SM_SN_E_clIS8_S8_S9_S9_EESK_S10_SL_SM_SN_EUlS10_E0_NS1_11comp_targetILNS1_3genE9ELNS1_11target_archE1100ELNS1_3gpuE3ELNS1_3repE0EEENS1_38merge_mergepath_config_static_selectorELNS0_4arch9wavefront6targetE1EEEvSM_: ; @_ZN7rocprim17ROCPRIM_400000_NS6detail17trampoline_kernelINS0_14default_configENS1_38merge_sort_block_merge_config_selectorIlNS0_10empty_typeEEEZZNS1_27merge_sort_block_merge_implIS3_PlPS5_mZN2at6native12_GLOBAL__N_124unique_dim_cuda_templateIdEESt5tupleIJNSA_6TensorESF_SF_EERKSF_lbbbEUlllE_EE10hipError_tT0_T1_T2_jT3_P12ihipStream_tbPNSt15iterator_traitsISL_E10value_typeEPNSR_ISM_E10value_typeEPSN_NS1_7vsmem_tEENKUlT_SL_SM_SN_E_clIS8_S8_S9_S9_EESK_S10_SL_SM_SN_EUlS10_E0_NS1_11comp_targetILNS1_3genE9ELNS1_11target_archE1100ELNS1_3gpuE3ELNS1_3repE0EEENS1_38merge_mergepath_config_static_selectorELNS0_4arch9wavefront6targetE1EEEvSM_
; %bb.0:
	.section	.rodata,"a",@progbits
	.p2align	6, 0x0
	.amdhsa_kernel _ZN7rocprim17ROCPRIM_400000_NS6detail17trampoline_kernelINS0_14default_configENS1_38merge_sort_block_merge_config_selectorIlNS0_10empty_typeEEEZZNS1_27merge_sort_block_merge_implIS3_PlPS5_mZN2at6native12_GLOBAL__N_124unique_dim_cuda_templateIdEESt5tupleIJNSA_6TensorESF_SF_EERKSF_lbbbEUlllE_EE10hipError_tT0_T1_T2_jT3_P12ihipStream_tbPNSt15iterator_traitsISL_E10value_typeEPNSR_ISM_E10value_typeEPSN_NS1_7vsmem_tEENKUlT_SL_SM_SN_E_clIS8_S8_S9_S9_EESK_S10_SL_SM_SN_EUlS10_E0_NS1_11comp_targetILNS1_3genE9ELNS1_11target_archE1100ELNS1_3gpuE3ELNS1_3repE0EEENS1_38merge_mergepath_config_static_selectorELNS0_4arch9wavefront6targetE1EEEvSM_
		.amdhsa_group_segment_fixed_size 0
		.amdhsa_private_segment_fixed_size 0
		.amdhsa_kernarg_size 88
		.amdhsa_user_sgpr_count 2
		.amdhsa_user_sgpr_dispatch_ptr 0
		.amdhsa_user_sgpr_queue_ptr 0
		.amdhsa_user_sgpr_kernarg_segment_ptr 1
		.amdhsa_user_sgpr_dispatch_id 0
		.amdhsa_user_sgpr_kernarg_preload_length 0
		.amdhsa_user_sgpr_kernarg_preload_offset 0
		.amdhsa_user_sgpr_private_segment_size 0
		.amdhsa_uses_dynamic_stack 0
		.amdhsa_enable_private_segment 0
		.amdhsa_system_sgpr_workgroup_id_x 1
		.amdhsa_system_sgpr_workgroup_id_y 0
		.amdhsa_system_sgpr_workgroup_id_z 0
		.amdhsa_system_sgpr_workgroup_info 0
		.amdhsa_system_vgpr_workitem_id 0
		.amdhsa_next_free_vgpr 1
		.amdhsa_next_free_sgpr 0
		.amdhsa_accum_offset 4
		.amdhsa_reserve_vcc 0
		.amdhsa_float_round_mode_32 0
		.amdhsa_float_round_mode_16_64 0
		.amdhsa_float_denorm_mode_32 3
		.amdhsa_float_denorm_mode_16_64 3
		.amdhsa_dx10_clamp 1
		.amdhsa_ieee_mode 1
		.amdhsa_fp16_overflow 0
		.amdhsa_tg_split 0
		.amdhsa_exception_fp_ieee_invalid_op 0
		.amdhsa_exception_fp_denorm_src 0
		.amdhsa_exception_fp_ieee_div_zero 0
		.amdhsa_exception_fp_ieee_overflow 0
		.amdhsa_exception_fp_ieee_underflow 0
		.amdhsa_exception_fp_ieee_inexact 0
		.amdhsa_exception_int_div_zero 0
	.end_amdhsa_kernel
	.section	.text._ZN7rocprim17ROCPRIM_400000_NS6detail17trampoline_kernelINS0_14default_configENS1_38merge_sort_block_merge_config_selectorIlNS0_10empty_typeEEEZZNS1_27merge_sort_block_merge_implIS3_PlPS5_mZN2at6native12_GLOBAL__N_124unique_dim_cuda_templateIdEESt5tupleIJNSA_6TensorESF_SF_EERKSF_lbbbEUlllE_EE10hipError_tT0_T1_T2_jT3_P12ihipStream_tbPNSt15iterator_traitsISL_E10value_typeEPNSR_ISM_E10value_typeEPSN_NS1_7vsmem_tEENKUlT_SL_SM_SN_E_clIS8_S8_S9_S9_EESK_S10_SL_SM_SN_EUlS10_E0_NS1_11comp_targetILNS1_3genE9ELNS1_11target_archE1100ELNS1_3gpuE3ELNS1_3repE0EEENS1_38merge_mergepath_config_static_selectorELNS0_4arch9wavefront6targetE1EEEvSM_,"axG",@progbits,_ZN7rocprim17ROCPRIM_400000_NS6detail17trampoline_kernelINS0_14default_configENS1_38merge_sort_block_merge_config_selectorIlNS0_10empty_typeEEEZZNS1_27merge_sort_block_merge_implIS3_PlPS5_mZN2at6native12_GLOBAL__N_124unique_dim_cuda_templateIdEESt5tupleIJNSA_6TensorESF_SF_EERKSF_lbbbEUlllE_EE10hipError_tT0_T1_T2_jT3_P12ihipStream_tbPNSt15iterator_traitsISL_E10value_typeEPNSR_ISM_E10value_typeEPSN_NS1_7vsmem_tEENKUlT_SL_SM_SN_E_clIS8_S8_S9_S9_EESK_S10_SL_SM_SN_EUlS10_E0_NS1_11comp_targetILNS1_3genE9ELNS1_11target_archE1100ELNS1_3gpuE3ELNS1_3repE0EEENS1_38merge_mergepath_config_static_selectorELNS0_4arch9wavefront6targetE1EEEvSM_,comdat
.Lfunc_end772:
	.size	_ZN7rocprim17ROCPRIM_400000_NS6detail17trampoline_kernelINS0_14default_configENS1_38merge_sort_block_merge_config_selectorIlNS0_10empty_typeEEEZZNS1_27merge_sort_block_merge_implIS3_PlPS5_mZN2at6native12_GLOBAL__N_124unique_dim_cuda_templateIdEESt5tupleIJNSA_6TensorESF_SF_EERKSF_lbbbEUlllE_EE10hipError_tT0_T1_T2_jT3_P12ihipStream_tbPNSt15iterator_traitsISL_E10value_typeEPNSR_ISM_E10value_typeEPSN_NS1_7vsmem_tEENKUlT_SL_SM_SN_E_clIS8_S8_S9_S9_EESK_S10_SL_SM_SN_EUlS10_E0_NS1_11comp_targetILNS1_3genE9ELNS1_11target_archE1100ELNS1_3gpuE3ELNS1_3repE0EEENS1_38merge_mergepath_config_static_selectorELNS0_4arch9wavefront6targetE1EEEvSM_, .Lfunc_end772-_ZN7rocprim17ROCPRIM_400000_NS6detail17trampoline_kernelINS0_14default_configENS1_38merge_sort_block_merge_config_selectorIlNS0_10empty_typeEEEZZNS1_27merge_sort_block_merge_implIS3_PlPS5_mZN2at6native12_GLOBAL__N_124unique_dim_cuda_templateIdEESt5tupleIJNSA_6TensorESF_SF_EERKSF_lbbbEUlllE_EE10hipError_tT0_T1_T2_jT3_P12ihipStream_tbPNSt15iterator_traitsISL_E10value_typeEPNSR_ISM_E10value_typeEPSN_NS1_7vsmem_tEENKUlT_SL_SM_SN_E_clIS8_S8_S9_S9_EESK_S10_SL_SM_SN_EUlS10_E0_NS1_11comp_targetILNS1_3genE9ELNS1_11target_archE1100ELNS1_3gpuE3ELNS1_3repE0EEENS1_38merge_mergepath_config_static_selectorELNS0_4arch9wavefront6targetE1EEEvSM_
                                        ; -- End function
	.set _ZN7rocprim17ROCPRIM_400000_NS6detail17trampoline_kernelINS0_14default_configENS1_38merge_sort_block_merge_config_selectorIlNS0_10empty_typeEEEZZNS1_27merge_sort_block_merge_implIS3_PlPS5_mZN2at6native12_GLOBAL__N_124unique_dim_cuda_templateIdEESt5tupleIJNSA_6TensorESF_SF_EERKSF_lbbbEUlllE_EE10hipError_tT0_T1_T2_jT3_P12ihipStream_tbPNSt15iterator_traitsISL_E10value_typeEPNSR_ISM_E10value_typeEPSN_NS1_7vsmem_tEENKUlT_SL_SM_SN_E_clIS8_S8_S9_S9_EESK_S10_SL_SM_SN_EUlS10_E0_NS1_11comp_targetILNS1_3genE9ELNS1_11target_archE1100ELNS1_3gpuE3ELNS1_3repE0EEENS1_38merge_mergepath_config_static_selectorELNS0_4arch9wavefront6targetE1EEEvSM_.num_vgpr, 0
	.set _ZN7rocprim17ROCPRIM_400000_NS6detail17trampoline_kernelINS0_14default_configENS1_38merge_sort_block_merge_config_selectorIlNS0_10empty_typeEEEZZNS1_27merge_sort_block_merge_implIS3_PlPS5_mZN2at6native12_GLOBAL__N_124unique_dim_cuda_templateIdEESt5tupleIJNSA_6TensorESF_SF_EERKSF_lbbbEUlllE_EE10hipError_tT0_T1_T2_jT3_P12ihipStream_tbPNSt15iterator_traitsISL_E10value_typeEPNSR_ISM_E10value_typeEPSN_NS1_7vsmem_tEENKUlT_SL_SM_SN_E_clIS8_S8_S9_S9_EESK_S10_SL_SM_SN_EUlS10_E0_NS1_11comp_targetILNS1_3genE9ELNS1_11target_archE1100ELNS1_3gpuE3ELNS1_3repE0EEENS1_38merge_mergepath_config_static_selectorELNS0_4arch9wavefront6targetE1EEEvSM_.num_agpr, 0
	.set _ZN7rocprim17ROCPRIM_400000_NS6detail17trampoline_kernelINS0_14default_configENS1_38merge_sort_block_merge_config_selectorIlNS0_10empty_typeEEEZZNS1_27merge_sort_block_merge_implIS3_PlPS5_mZN2at6native12_GLOBAL__N_124unique_dim_cuda_templateIdEESt5tupleIJNSA_6TensorESF_SF_EERKSF_lbbbEUlllE_EE10hipError_tT0_T1_T2_jT3_P12ihipStream_tbPNSt15iterator_traitsISL_E10value_typeEPNSR_ISM_E10value_typeEPSN_NS1_7vsmem_tEENKUlT_SL_SM_SN_E_clIS8_S8_S9_S9_EESK_S10_SL_SM_SN_EUlS10_E0_NS1_11comp_targetILNS1_3genE9ELNS1_11target_archE1100ELNS1_3gpuE3ELNS1_3repE0EEENS1_38merge_mergepath_config_static_selectorELNS0_4arch9wavefront6targetE1EEEvSM_.numbered_sgpr, 0
	.set _ZN7rocprim17ROCPRIM_400000_NS6detail17trampoline_kernelINS0_14default_configENS1_38merge_sort_block_merge_config_selectorIlNS0_10empty_typeEEEZZNS1_27merge_sort_block_merge_implIS3_PlPS5_mZN2at6native12_GLOBAL__N_124unique_dim_cuda_templateIdEESt5tupleIJNSA_6TensorESF_SF_EERKSF_lbbbEUlllE_EE10hipError_tT0_T1_T2_jT3_P12ihipStream_tbPNSt15iterator_traitsISL_E10value_typeEPNSR_ISM_E10value_typeEPSN_NS1_7vsmem_tEENKUlT_SL_SM_SN_E_clIS8_S8_S9_S9_EESK_S10_SL_SM_SN_EUlS10_E0_NS1_11comp_targetILNS1_3genE9ELNS1_11target_archE1100ELNS1_3gpuE3ELNS1_3repE0EEENS1_38merge_mergepath_config_static_selectorELNS0_4arch9wavefront6targetE1EEEvSM_.num_named_barrier, 0
	.set _ZN7rocprim17ROCPRIM_400000_NS6detail17trampoline_kernelINS0_14default_configENS1_38merge_sort_block_merge_config_selectorIlNS0_10empty_typeEEEZZNS1_27merge_sort_block_merge_implIS3_PlPS5_mZN2at6native12_GLOBAL__N_124unique_dim_cuda_templateIdEESt5tupleIJNSA_6TensorESF_SF_EERKSF_lbbbEUlllE_EE10hipError_tT0_T1_T2_jT3_P12ihipStream_tbPNSt15iterator_traitsISL_E10value_typeEPNSR_ISM_E10value_typeEPSN_NS1_7vsmem_tEENKUlT_SL_SM_SN_E_clIS8_S8_S9_S9_EESK_S10_SL_SM_SN_EUlS10_E0_NS1_11comp_targetILNS1_3genE9ELNS1_11target_archE1100ELNS1_3gpuE3ELNS1_3repE0EEENS1_38merge_mergepath_config_static_selectorELNS0_4arch9wavefront6targetE1EEEvSM_.private_seg_size, 0
	.set _ZN7rocprim17ROCPRIM_400000_NS6detail17trampoline_kernelINS0_14default_configENS1_38merge_sort_block_merge_config_selectorIlNS0_10empty_typeEEEZZNS1_27merge_sort_block_merge_implIS3_PlPS5_mZN2at6native12_GLOBAL__N_124unique_dim_cuda_templateIdEESt5tupleIJNSA_6TensorESF_SF_EERKSF_lbbbEUlllE_EE10hipError_tT0_T1_T2_jT3_P12ihipStream_tbPNSt15iterator_traitsISL_E10value_typeEPNSR_ISM_E10value_typeEPSN_NS1_7vsmem_tEENKUlT_SL_SM_SN_E_clIS8_S8_S9_S9_EESK_S10_SL_SM_SN_EUlS10_E0_NS1_11comp_targetILNS1_3genE9ELNS1_11target_archE1100ELNS1_3gpuE3ELNS1_3repE0EEENS1_38merge_mergepath_config_static_selectorELNS0_4arch9wavefront6targetE1EEEvSM_.uses_vcc, 0
	.set _ZN7rocprim17ROCPRIM_400000_NS6detail17trampoline_kernelINS0_14default_configENS1_38merge_sort_block_merge_config_selectorIlNS0_10empty_typeEEEZZNS1_27merge_sort_block_merge_implIS3_PlPS5_mZN2at6native12_GLOBAL__N_124unique_dim_cuda_templateIdEESt5tupleIJNSA_6TensorESF_SF_EERKSF_lbbbEUlllE_EE10hipError_tT0_T1_T2_jT3_P12ihipStream_tbPNSt15iterator_traitsISL_E10value_typeEPNSR_ISM_E10value_typeEPSN_NS1_7vsmem_tEENKUlT_SL_SM_SN_E_clIS8_S8_S9_S9_EESK_S10_SL_SM_SN_EUlS10_E0_NS1_11comp_targetILNS1_3genE9ELNS1_11target_archE1100ELNS1_3gpuE3ELNS1_3repE0EEENS1_38merge_mergepath_config_static_selectorELNS0_4arch9wavefront6targetE1EEEvSM_.uses_flat_scratch, 0
	.set _ZN7rocprim17ROCPRIM_400000_NS6detail17trampoline_kernelINS0_14default_configENS1_38merge_sort_block_merge_config_selectorIlNS0_10empty_typeEEEZZNS1_27merge_sort_block_merge_implIS3_PlPS5_mZN2at6native12_GLOBAL__N_124unique_dim_cuda_templateIdEESt5tupleIJNSA_6TensorESF_SF_EERKSF_lbbbEUlllE_EE10hipError_tT0_T1_T2_jT3_P12ihipStream_tbPNSt15iterator_traitsISL_E10value_typeEPNSR_ISM_E10value_typeEPSN_NS1_7vsmem_tEENKUlT_SL_SM_SN_E_clIS8_S8_S9_S9_EESK_S10_SL_SM_SN_EUlS10_E0_NS1_11comp_targetILNS1_3genE9ELNS1_11target_archE1100ELNS1_3gpuE3ELNS1_3repE0EEENS1_38merge_mergepath_config_static_selectorELNS0_4arch9wavefront6targetE1EEEvSM_.has_dyn_sized_stack, 0
	.set _ZN7rocprim17ROCPRIM_400000_NS6detail17trampoline_kernelINS0_14default_configENS1_38merge_sort_block_merge_config_selectorIlNS0_10empty_typeEEEZZNS1_27merge_sort_block_merge_implIS3_PlPS5_mZN2at6native12_GLOBAL__N_124unique_dim_cuda_templateIdEESt5tupleIJNSA_6TensorESF_SF_EERKSF_lbbbEUlllE_EE10hipError_tT0_T1_T2_jT3_P12ihipStream_tbPNSt15iterator_traitsISL_E10value_typeEPNSR_ISM_E10value_typeEPSN_NS1_7vsmem_tEENKUlT_SL_SM_SN_E_clIS8_S8_S9_S9_EESK_S10_SL_SM_SN_EUlS10_E0_NS1_11comp_targetILNS1_3genE9ELNS1_11target_archE1100ELNS1_3gpuE3ELNS1_3repE0EEENS1_38merge_mergepath_config_static_selectorELNS0_4arch9wavefront6targetE1EEEvSM_.has_recursion, 0
	.set _ZN7rocprim17ROCPRIM_400000_NS6detail17trampoline_kernelINS0_14default_configENS1_38merge_sort_block_merge_config_selectorIlNS0_10empty_typeEEEZZNS1_27merge_sort_block_merge_implIS3_PlPS5_mZN2at6native12_GLOBAL__N_124unique_dim_cuda_templateIdEESt5tupleIJNSA_6TensorESF_SF_EERKSF_lbbbEUlllE_EE10hipError_tT0_T1_T2_jT3_P12ihipStream_tbPNSt15iterator_traitsISL_E10value_typeEPNSR_ISM_E10value_typeEPSN_NS1_7vsmem_tEENKUlT_SL_SM_SN_E_clIS8_S8_S9_S9_EESK_S10_SL_SM_SN_EUlS10_E0_NS1_11comp_targetILNS1_3genE9ELNS1_11target_archE1100ELNS1_3gpuE3ELNS1_3repE0EEENS1_38merge_mergepath_config_static_selectorELNS0_4arch9wavefront6targetE1EEEvSM_.has_indirect_call, 0
	.section	.AMDGPU.csdata,"",@progbits
; Kernel info:
; codeLenInByte = 0
; TotalNumSgprs: 6
; NumVgprs: 0
; NumAgprs: 0
; TotalNumVgprs: 0
; ScratchSize: 0
; MemoryBound: 0
; FloatMode: 240
; IeeeMode: 1
; LDSByteSize: 0 bytes/workgroup (compile time only)
; SGPRBlocks: 0
; VGPRBlocks: 0
; NumSGPRsForWavesPerEU: 6
; NumVGPRsForWavesPerEU: 1
; AccumOffset: 4
; Occupancy: 8
; WaveLimiterHint : 0
; COMPUTE_PGM_RSRC2:SCRATCH_EN: 0
; COMPUTE_PGM_RSRC2:USER_SGPR: 2
; COMPUTE_PGM_RSRC2:TRAP_HANDLER: 0
; COMPUTE_PGM_RSRC2:TGID_X_EN: 1
; COMPUTE_PGM_RSRC2:TGID_Y_EN: 0
; COMPUTE_PGM_RSRC2:TGID_Z_EN: 0
; COMPUTE_PGM_RSRC2:TIDIG_COMP_CNT: 0
; COMPUTE_PGM_RSRC3_GFX90A:ACCUM_OFFSET: 0
; COMPUTE_PGM_RSRC3_GFX90A:TG_SPLIT: 0
	.section	.text._ZN7rocprim17ROCPRIM_400000_NS6detail17trampoline_kernelINS0_14default_configENS1_38merge_sort_block_merge_config_selectorIlNS0_10empty_typeEEEZZNS1_27merge_sort_block_merge_implIS3_PlPS5_mZN2at6native12_GLOBAL__N_124unique_dim_cuda_templateIdEESt5tupleIJNSA_6TensorESF_SF_EERKSF_lbbbEUlllE_EE10hipError_tT0_T1_T2_jT3_P12ihipStream_tbPNSt15iterator_traitsISL_E10value_typeEPNSR_ISM_E10value_typeEPSN_NS1_7vsmem_tEENKUlT_SL_SM_SN_E_clIS8_S8_S9_S9_EESK_S10_SL_SM_SN_EUlS10_E0_NS1_11comp_targetILNS1_3genE8ELNS1_11target_archE1030ELNS1_3gpuE2ELNS1_3repE0EEENS1_38merge_mergepath_config_static_selectorELNS0_4arch9wavefront6targetE1EEEvSM_,"axG",@progbits,_ZN7rocprim17ROCPRIM_400000_NS6detail17trampoline_kernelINS0_14default_configENS1_38merge_sort_block_merge_config_selectorIlNS0_10empty_typeEEEZZNS1_27merge_sort_block_merge_implIS3_PlPS5_mZN2at6native12_GLOBAL__N_124unique_dim_cuda_templateIdEESt5tupleIJNSA_6TensorESF_SF_EERKSF_lbbbEUlllE_EE10hipError_tT0_T1_T2_jT3_P12ihipStream_tbPNSt15iterator_traitsISL_E10value_typeEPNSR_ISM_E10value_typeEPSN_NS1_7vsmem_tEENKUlT_SL_SM_SN_E_clIS8_S8_S9_S9_EESK_S10_SL_SM_SN_EUlS10_E0_NS1_11comp_targetILNS1_3genE8ELNS1_11target_archE1030ELNS1_3gpuE2ELNS1_3repE0EEENS1_38merge_mergepath_config_static_selectorELNS0_4arch9wavefront6targetE1EEEvSM_,comdat
	.globl	_ZN7rocprim17ROCPRIM_400000_NS6detail17trampoline_kernelINS0_14default_configENS1_38merge_sort_block_merge_config_selectorIlNS0_10empty_typeEEEZZNS1_27merge_sort_block_merge_implIS3_PlPS5_mZN2at6native12_GLOBAL__N_124unique_dim_cuda_templateIdEESt5tupleIJNSA_6TensorESF_SF_EERKSF_lbbbEUlllE_EE10hipError_tT0_T1_T2_jT3_P12ihipStream_tbPNSt15iterator_traitsISL_E10value_typeEPNSR_ISM_E10value_typeEPSN_NS1_7vsmem_tEENKUlT_SL_SM_SN_E_clIS8_S8_S9_S9_EESK_S10_SL_SM_SN_EUlS10_E0_NS1_11comp_targetILNS1_3genE8ELNS1_11target_archE1030ELNS1_3gpuE2ELNS1_3repE0EEENS1_38merge_mergepath_config_static_selectorELNS0_4arch9wavefront6targetE1EEEvSM_ ; -- Begin function _ZN7rocprim17ROCPRIM_400000_NS6detail17trampoline_kernelINS0_14default_configENS1_38merge_sort_block_merge_config_selectorIlNS0_10empty_typeEEEZZNS1_27merge_sort_block_merge_implIS3_PlPS5_mZN2at6native12_GLOBAL__N_124unique_dim_cuda_templateIdEESt5tupleIJNSA_6TensorESF_SF_EERKSF_lbbbEUlllE_EE10hipError_tT0_T1_T2_jT3_P12ihipStream_tbPNSt15iterator_traitsISL_E10value_typeEPNSR_ISM_E10value_typeEPSN_NS1_7vsmem_tEENKUlT_SL_SM_SN_E_clIS8_S8_S9_S9_EESK_S10_SL_SM_SN_EUlS10_E0_NS1_11comp_targetILNS1_3genE8ELNS1_11target_archE1030ELNS1_3gpuE2ELNS1_3repE0EEENS1_38merge_mergepath_config_static_selectorELNS0_4arch9wavefront6targetE1EEEvSM_
	.p2align	8
	.type	_ZN7rocprim17ROCPRIM_400000_NS6detail17trampoline_kernelINS0_14default_configENS1_38merge_sort_block_merge_config_selectorIlNS0_10empty_typeEEEZZNS1_27merge_sort_block_merge_implIS3_PlPS5_mZN2at6native12_GLOBAL__N_124unique_dim_cuda_templateIdEESt5tupleIJNSA_6TensorESF_SF_EERKSF_lbbbEUlllE_EE10hipError_tT0_T1_T2_jT3_P12ihipStream_tbPNSt15iterator_traitsISL_E10value_typeEPNSR_ISM_E10value_typeEPSN_NS1_7vsmem_tEENKUlT_SL_SM_SN_E_clIS8_S8_S9_S9_EESK_S10_SL_SM_SN_EUlS10_E0_NS1_11comp_targetILNS1_3genE8ELNS1_11target_archE1030ELNS1_3gpuE2ELNS1_3repE0EEENS1_38merge_mergepath_config_static_selectorELNS0_4arch9wavefront6targetE1EEEvSM_,@function
_ZN7rocprim17ROCPRIM_400000_NS6detail17trampoline_kernelINS0_14default_configENS1_38merge_sort_block_merge_config_selectorIlNS0_10empty_typeEEEZZNS1_27merge_sort_block_merge_implIS3_PlPS5_mZN2at6native12_GLOBAL__N_124unique_dim_cuda_templateIdEESt5tupleIJNSA_6TensorESF_SF_EERKSF_lbbbEUlllE_EE10hipError_tT0_T1_T2_jT3_P12ihipStream_tbPNSt15iterator_traitsISL_E10value_typeEPNSR_ISM_E10value_typeEPSN_NS1_7vsmem_tEENKUlT_SL_SM_SN_E_clIS8_S8_S9_S9_EESK_S10_SL_SM_SN_EUlS10_E0_NS1_11comp_targetILNS1_3genE8ELNS1_11target_archE1030ELNS1_3gpuE2ELNS1_3repE0EEENS1_38merge_mergepath_config_static_selectorELNS0_4arch9wavefront6targetE1EEEvSM_: ; @_ZN7rocprim17ROCPRIM_400000_NS6detail17trampoline_kernelINS0_14default_configENS1_38merge_sort_block_merge_config_selectorIlNS0_10empty_typeEEEZZNS1_27merge_sort_block_merge_implIS3_PlPS5_mZN2at6native12_GLOBAL__N_124unique_dim_cuda_templateIdEESt5tupleIJNSA_6TensorESF_SF_EERKSF_lbbbEUlllE_EE10hipError_tT0_T1_T2_jT3_P12ihipStream_tbPNSt15iterator_traitsISL_E10value_typeEPNSR_ISM_E10value_typeEPSN_NS1_7vsmem_tEENKUlT_SL_SM_SN_E_clIS8_S8_S9_S9_EESK_S10_SL_SM_SN_EUlS10_E0_NS1_11comp_targetILNS1_3genE8ELNS1_11target_archE1030ELNS1_3gpuE2ELNS1_3repE0EEENS1_38merge_mergepath_config_static_selectorELNS0_4arch9wavefront6targetE1EEEvSM_
; %bb.0:
	.section	.rodata,"a",@progbits
	.p2align	6, 0x0
	.amdhsa_kernel _ZN7rocprim17ROCPRIM_400000_NS6detail17trampoline_kernelINS0_14default_configENS1_38merge_sort_block_merge_config_selectorIlNS0_10empty_typeEEEZZNS1_27merge_sort_block_merge_implIS3_PlPS5_mZN2at6native12_GLOBAL__N_124unique_dim_cuda_templateIdEESt5tupleIJNSA_6TensorESF_SF_EERKSF_lbbbEUlllE_EE10hipError_tT0_T1_T2_jT3_P12ihipStream_tbPNSt15iterator_traitsISL_E10value_typeEPNSR_ISM_E10value_typeEPSN_NS1_7vsmem_tEENKUlT_SL_SM_SN_E_clIS8_S8_S9_S9_EESK_S10_SL_SM_SN_EUlS10_E0_NS1_11comp_targetILNS1_3genE8ELNS1_11target_archE1030ELNS1_3gpuE2ELNS1_3repE0EEENS1_38merge_mergepath_config_static_selectorELNS0_4arch9wavefront6targetE1EEEvSM_
		.amdhsa_group_segment_fixed_size 0
		.amdhsa_private_segment_fixed_size 0
		.amdhsa_kernarg_size 88
		.amdhsa_user_sgpr_count 2
		.amdhsa_user_sgpr_dispatch_ptr 0
		.amdhsa_user_sgpr_queue_ptr 0
		.amdhsa_user_sgpr_kernarg_segment_ptr 1
		.amdhsa_user_sgpr_dispatch_id 0
		.amdhsa_user_sgpr_kernarg_preload_length 0
		.amdhsa_user_sgpr_kernarg_preload_offset 0
		.amdhsa_user_sgpr_private_segment_size 0
		.amdhsa_uses_dynamic_stack 0
		.amdhsa_enable_private_segment 0
		.amdhsa_system_sgpr_workgroup_id_x 1
		.amdhsa_system_sgpr_workgroup_id_y 0
		.amdhsa_system_sgpr_workgroup_id_z 0
		.amdhsa_system_sgpr_workgroup_info 0
		.amdhsa_system_vgpr_workitem_id 0
		.amdhsa_next_free_vgpr 1
		.amdhsa_next_free_sgpr 0
		.amdhsa_accum_offset 4
		.amdhsa_reserve_vcc 0
		.amdhsa_float_round_mode_32 0
		.amdhsa_float_round_mode_16_64 0
		.amdhsa_float_denorm_mode_32 3
		.amdhsa_float_denorm_mode_16_64 3
		.amdhsa_dx10_clamp 1
		.amdhsa_ieee_mode 1
		.amdhsa_fp16_overflow 0
		.amdhsa_tg_split 0
		.amdhsa_exception_fp_ieee_invalid_op 0
		.amdhsa_exception_fp_denorm_src 0
		.amdhsa_exception_fp_ieee_div_zero 0
		.amdhsa_exception_fp_ieee_overflow 0
		.amdhsa_exception_fp_ieee_underflow 0
		.amdhsa_exception_fp_ieee_inexact 0
		.amdhsa_exception_int_div_zero 0
	.end_amdhsa_kernel
	.section	.text._ZN7rocprim17ROCPRIM_400000_NS6detail17trampoline_kernelINS0_14default_configENS1_38merge_sort_block_merge_config_selectorIlNS0_10empty_typeEEEZZNS1_27merge_sort_block_merge_implIS3_PlPS5_mZN2at6native12_GLOBAL__N_124unique_dim_cuda_templateIdEESt5tupleIJNSA_6TensorESF_SF_EERKSF_lbbbEUlllE_EE10hipError_tT0_T1_T2_jT3_P12ihipStream_tbPNSt15iterator_traitsISL_E10value_typeEPNSR_ISM_E10value_typeEPSN_NS1_7vsmem_tEENKUlT_SL_SM_SN_E_clIS8_S8_S9_S9_EESK_S10_SL_SM_SN_EUlS10_E0_NS1_11comp_targetILNS1_3genE8ELNS1_11target_archE1030ELNS1_3gpuE2ELNS1_3repE0EEENS1_38merge_mergepath_config_static_selectorELNS0_4arch9wavefront6targetE1EEEvSM_,"axG",@progbits,_ZN7rocprim17ROCPRIM_400000_NS6detail17trampoline_kernelINS0_14default_configENS1_38merge_sort_block_merge_config_selectorIlNS0_10empty_typeEEEZZNS1_27merge_sort_block_merge_implIS3_PlPS5_mZN2at6native12_GLOBAL__N_124unique_dim_cuda_templateIdEESt5tupleIJNSA_6TensorESF_SF_EERKSF_lbbbEUlllE_EE10hipError_tT0_T1_T2_jT3_P12ihipStream_tbPNSt15iterator_traitsISL_E10value_typeEPNSR_ISM_E10value_typeEPSN_NS1_7vsmem_tEENKUlT_SL_SM_SN_E_clIS8_S8_S9_S9_EESK_S10_SL_SM_SN_EUlS10_E0_NS1_11comp_targetILNS1_3genE8ELNS1_11target_archE1030ELNS1_3gpuE2ELNS1_3repE0EEENS1_38merge_mergepath_config_static_selectorELNS0_4arch9wavefront6targetE1EEEvSM_,comdat
.Lfunc_end773:
	.size	_ZN7rocprim17ROCPRIM_400000_NS6detail17trampoline_kernelINS0_14default_configENS1_38merge_sort_block_merge_config_selectorIlNS0_10empty_typeEEEZZNS1_27merge_sort_block_merge_implIS3_PlPS5_mZN2at6native12_GLOBAL__N_124unique_dim_cuda_templateIdEESt5tupleIJNSA_6TensorESF_SF_EERKSF_lbbbEUlllE_EE10hipError_tT0_T1_T2_jT3_P12ihipStream_tbPNSt15iterator_traitsISL_E10value_typeEPNSR_ISM_E10value_typeEPSN_NS1_7vsmem_tEENKUlT_SL_SM_SN_E_clIS8_S8_S9_S9_EESK_S10_SL_SM_SN_EUlS10_E0_NS1_11comp_targetILNS1_3genE8ELNS1_11target_archE1030ELNS1_3gpuE2ELNS1_3repE0EEENS1_38merge_mergepath_config_static_selectorELNS0_4arch9wavefront6targetE1EEEvSM_, .Lfunc_end773-_ZN7rocprim17ROCPRIM_400000_NS6detail17trampoline_kernelINS0_14default_configENS1_38merge_sort_block_merge_config_selectorIlNS0_10empty_typeEEEZZNS1_27merge_sort_block_merge_implIS3_PlPS5_mZN2at6native12_GLOBAL__N_124unique_dim_cuda_templateIdEESt5tupleIJNSA_6TensorESF_SF_EERKSF_lbbbEUlllE_EE10hipError_tT0_T1_T2_jT3_P12ihipStream_tbPNSt15iterator_traitsISL_E10value_typeEPNSR_ISM_E10value_typeEPSN_NS1_7vsmem_tEENKUlT_SL_SM_SN_E_clIS8_S8_S9_S9_EESK_S10_SL_SM_SN_EUlS10_E0_NS1_11comp_targetILNS1_3genE8ELNS1_11target_archE1030ELNS1_3gpuE2ELNS1_3repE0EEENS1_38merge_mergepath_config_static_selectorELNS0_4arch9wavefront6targetE1EEEvSM_
                                        ; -- End function
	.set _ZN7rocprim17ROCPRIM_400000_NS6detail17trampoline_kernelINS0_14default_configENS1_38merge_sort_block_merge_config_selectorIlNS0_10empty_typeEEEZZNS1_27merge_sort_block_merge_implIS3_PlPS5_mZN2at6native12_GLOBAL__N_124unique_dim_cuda_templateIdEESt5tupleIJNSA_6TensorESF_SF_EERKSF_lbbbEUlllE_EE10hipError_tT0_T1_T2_jT3_P12ihipStream_tbPNSt15iterator_traitsISL_E10value_typeEPNSR_ISM_E10value_typeEPSN_NS1_7vsmem_tEENKUlT_SL_SM_SN_E_clIS8_S8_S9_S9_EESK_S10_SL_SM_SN_EUlS10_E0_NS1_11comp_targetILNS1_3genE8ELNS1_11target_archE1030ELNS1_3gpuE2ELNS1_3repE0EEENS1_38merge_mergepath_config_static_selectorELNS0_4arch9wavefront6targetE1EEEvSM_.num_vgpr, 0
	.set _ZN7rocprim17ROCPRIM_400000_NS6detail17trampoline_kernelINS0_14default_configENS1_38merge_sort_block_merge_config_selectorIlNS0_10empty_typeEEEZZNS1_27merge_sort_block_merge_implIS3_PlPS5_mZN2at6native12_GLOBAL__N_124unique_dim_cuda_templateIdEESt5tupleIJNSA_6TensorESF_SF_EERKSF_lbbbEUlllE_EE10hipError_tT0_T1_T2_jT3_P12ihipStream_tbPNSt15iterator_traitsISL_E10value_typeEPNSR_ISM_E10value_typeEPSN_NS1_7vsmem_tEENKUlT_SL_SM_SN_E_clIS8_S8_S9_S9_EESK_S10_SL_SM_SN_EUlS10_E0_NS1_11comp_targetILNS1_3genE8ELNS1_11target_archE1030ELNS1_3gpuE2ELNS1_3repE0EEENS1_38merge_mergepath_config_static_selectorELNS0_4arch9wavefront6targetE1EEEvSM_.num_agpr, 0
	.set _ZN7rocprim17ROCPRIM_400000_NS6detail17trampoline_kernelINS0_14default_configENS1_38merge_sort_block_merge_config_selectorIlNS0_10empty_typeEEEZZNS1_27merge_sort_block_merge_implIS3_PlPS5_mZN2at6native12_GLOBAL__N_124unique_dim_cuda_templateIdEESt5tupleIJNSA_6TensorESF_SF_EERKSF_lbbbEUlllE_EE10hipError_tT0_T1_T2_jT3_P12ihipStream_tbPNSt15iterator_traitsISL_E10value_typeEPNSR_ISM_E10value_typeEPSN_NS1_7vsmem_tEENKUlT_SL_SM_SN_E_clIS8_S8_S9_S9_EESK_S10_SL_SM_SN_EUlS10_E0_NS1_11comp_targetILNS1_3genE8ELNS1_11target_archE1030ELNS1_3gpuE2ELNS1_3repE0EEENS1_38merge_mergepath_config_static_selectorELNS0_4arch9wavefront6targetE1EEEvSM_.numbered_sgpr, 0
	.set _ZN7rocprim17ROCPRIM_400000_NS6detail17trampoline_kernelINS0_14default_configENS1_38merge_sort_block_merge_config_selectorIlNS0_10empty_typeEEEZZNS1_27merge_sort_block_merge_implIS3_PlPS5_mZN2at6native12_GLOBAL__N_124unique_dim_cuda_templateIdEESt5tupleIJNSA_6TensorESF_SF_EERKSF_lbbbEUlllE_EE10hipError_tT0_T1_T2_jT3_P12ihipStream_tbPNSt15iterator_traitsISL_E10value_typeEPNSR_ISM_E10value_typeEPSN_NS1_7vsmem_tEENKUlT_SL_SM_SN_E_clIS8_S8_S9_S9_EESK_S10_SL_SM_SN_EUlS10_E0_NS1_11comp_targetILNS1_3genE8ELNS1_11target_archE1030ELNS1_3gpuE2ELNS1_3repE0EEENS1_38merge_mergepath_config_static_selectorELNS0_4arch9wavefront6targetE1EEEvSM_.num_named_barrier, 0
	.set _ZN7rocprim17ROCPRIM_400000_NS6detail17trampoline_kernelINS0_14default_configENS1_38merge_sort_block_merge_config_selectorIlNS0_10empty_typeEEEZZNS1_27merge_sort_block_merge_implIS3_PlPS5_mZN2at6native12_GLOBAL__N_124unique_dim_cuda_templateIdEESt5tupleIJNSA_6TensorESF_SF_EERKSF_lbbbEUlllE_EE10hipError_tT0_T1_T2_jT3_P12ihipStream_tbPNSt15iterator_traitsISL_E10value_typeEPNSR_ISM_E10value_typeEPSN_NS1_7vsmem_tEENKUlT_SL_SM_SN_E_clIS8_S8_S9_S9_EESK_S10_SL_SM_SN_EUlS10_E0_NS1_11comp_targetILNS1_3genE8ELNS1_11target_archE1030ELNS1_3gpuE2ELNS1_3repE0EEENS1_38merge_mergepath_config_static_selectorELNS0_4arch9wavefront6targetE1EEEvSM_.private_seg_size, 0
	.set _ZN7rocprim17ROCPRIM_400000_NS6detail17trampoline_kernelINS0_14default_configENS1_38merge_sort_block_merge_config_selectorIlNS0_10empty_typeEEEZZNS1_27merge_sort_block_merge_implIS3_PlPS5_mZN2at6native12_GLOBAL__N_124unique_dim_cuda_templateIdEESt5tupleIJNSA_6TensorESF_SF_EERKSF_lbbbEUlllE_EE10hipError_tT0_T1_T2_jT3_P12ihipStream_tbPNSt15iterator_traitsISL_E10value_typeEPNSR_ISM_E10value_typeEPSN_NS1_7vsmem_tEENKUlT_SL_SM_SN_E_clIS8_S8_S9_S9_EESK_S10_SL_SM_SN_EUlS10_E0_NS1_11comp_targetILNS1_3genE8ELNS1_11target_archE1030ELNS1_3gpuE2ELNS1_3repE0EEENS1_38merge_mergepath_config_static_selectorELNS0_4arch9wavefront6targetE1EEEvSM_.uses_vcc, 0
	.set _ZN7rocprim17ROCPRIM_400000_NS6detail17trampoline_kernelINS0_14default_configENS1_38merge_sort_block_merge_config_selectorIlNS0_10empty_typeEEEZZNS1_27merge_sort_block_merge_implIS3_PlPS5_mZN2at6native12_GLOBAL__N_124unique_dim_cuda_templateIdEESt5tupleIJNSA_6TensorESF_SF_EERKSF_lbbbEUlllE_EE10hipError_tT0_T1_T2_jT3_P12ihipStream_tbPNSt15iterator_traitsISL_E10value_typeEPNSR_ISM_E10value_typeEPSN_NS1_7vsmem_tEENKUlT_SL_SM_SN_E_clIS8_S8_S9_S9_EESK_S10_SL_SM_SN_EUlS10_E0_NS1_11comp_targetILNS1_3genE8ELNS1_11target_archE1030ELNS1_3gpuE2ELNS1_3repE0EEENS1_38merge_mergepath_config_static_selectorELNS0_4arch9wavefront6targetE1EEEvSM_.uses_flat_scratch, 0
	.set _ZN7rocprim17ROCPRIM_400000_NS6detail17trampoline_kernelINS0_14default_configENS1_38merge_sort_block_merge_config_selectorIlNS0_10empty_typeEEEZZNS1_27merge_sort_block_merge_implIS3_PlPS5_mZN2at6native12_GLOBAL__N_124unique_dim_cuda_templateIdEESt5tupleIJNSA_6TensorESF_SF_EERKSF_lbbbEUlllE_EE10hipError_tT0_T1_T2_jT3_P12ihipStream_tbPNSt15iterator_traitsISL_E10value_typeEPNSR_ISM_E10value_typeEPSN_NS1_7vsmem_tEENKUlT_SL_SM_SN_E_clIS8_S8_S9_S9_EESK_S10_SL_SM_SN_EUlS10_E0_NS1_11comp_targetILNS1_3genE8ELNS1_11target_archE1030ELNS1_3gpuE2ELNS1_3repE0EEENS1_38merge_mergepath_config_static_selectorELNS0_4arch9wavefront6targetE1EEEvSM_.has_dyn_sized_stack, 0
	.set _ZN7rocprim17ROCPRIM_400000_NS6detail17trampoline_kernelINS0_14default_configENS1_38merge_sort_block_merge_config_selectorIlNS0_10empty_typeEEEZZNS1_27merge_sort_block_merge_implIS3_PlPS5_mZN2at6native12_GLOBAL__N_124unique_dim_cuda_templateIdEESt5tupleIJNSA_6TensorESF_SF_EERKSF_lbbbEUlllE_EE10hipError_tT0_T1_T2_jT3_P12ihipStream_tbPNSt15iterator_traitsISL_E10value_typeEPNSR_ISM_E10value_typeEPSN_NS1_7vsmem_tEENKUlT_SL_SM_SN_E_clIS8_S8_S9_S9_EESK_S10_SL_SM_SN_EUlS10_E0_NS1_11comp_targetILNS1_3genE8ELNS1_11target_archE1030ELNS1_3gpuE2ELNS1_3repE0EEENS1_38merge_mergepath_config_static_selectorELNS0_4arch9wavefront6targetE1EEEvSM_.has_recursion, 0
	.set _ZN7rocprim17ROCPRIM_400000_NS6detail17trampoline_kernelINS0_14default_configENS1_38merge_sort_block_merge_config_selectorIlNS0_10empty_typeEEEZZNS1_27merge_sort_block_merge_implIS3_PlPS5_mZN2at6native12_GLOBAL__N_124unique_dim_cuda_templateIdEESt5tupleIJNSA_6TensorESF_SF_EERKSF_lbbbEUlllE_EE10hipError_tT0_T1_T2_jT3_P12ihipStream_tbPNSt15iterator_traitsISL_E10value_typeEPNSR_ISM_E10value_typeEPSN_NS1_7vsmem_tEENKUlT_SL_SM_SN_E_clIS8_S8_S9_S9_EESK_S10_SL_SM_SN_EUlS10_E0_NS1_11comp_targetILNS1_3genE8ELNS1_11target_archE1030ELNS1_3gpuE2ELNS1_3repE0EEENS1_38merge_mergepath_config_static_selectorELNS0_4arch9wavefront6targetE1EEEvSM_.has_indirect_call, 0
	.section	.AMDGPU.csdata,"",@progbits
; Kernel info:
; codeLenInByte = 0
; TotalNumSgprs: 6
; NumVgprs: 0
; NumAgprs: 0
; TotalNumVgprs: 0
; ScratchSize: 0
; MemoryBound: 0
; FloatMode: 240
; IeeeMode: 1
; LDSByteSize: 0 bytes/workgroup (compile time only)
; SGPRBlocks: 0
; VGPRBlocks: 0
; NumSGPRsForWavesPerEU: 6
; NumVGPRsForWavesPerEU: 1
; AccumOffset: 4
; Occupancy: 8
; WaveLimiterHint : 0
; COMPUTE_PGM_RSRC2:SCRATCH_EN: 0
; COMPUTE_PGM_RSRC2:USER_SGPR: 2
; COMPUTE_PGM_RSRC2:TRAP_HANDLER: 0
; COMPUTE_PGM_RSRC2:TGID_X_EN: 1
; COMPUTE_PGM_RSRC2:TGID_Y_EN: 0
; COMPUTE_PGM_RSRC2:TGID_Z_EN: 0
; COMPUTE_PGM_RSRC2:TIDIG_COMP_CNT: 0
; COMPUTE_PGM_RSRC3_GFX90A:ACCUM_OFFSET: 0
; COMPUTE_PGM_RSRC3_GFX90A:TG_SPLIT: 0
	.section	.text._ZN7rocprim17ROCPRIM_400000_NS6detail17trampoline_kernelINS0_14default_configENS1_38merge_sort_block_merge_config_selectorIlNS0_10empty_typeEEEZZNS1_27merge_sort_block_merge_implIS3_PlPS5_mZN2at6native12_GLOBAL__N_124unique_dim_cuda_templateIdEESt5tupleIJNSA_6TensorESF_SF_EERKSF_lbbbEUlllE_EE10hipError_tT0_T1_T2_jT3_P12ihipStream_tbPNSt15iterator_traitsISL_E10value_typeEPNSR_ISM_E10value_typeEPSN_NS1_7vsmem_tEENKUlT_SL_SM_SN_E_clIS8_S8_S9_S9_EESK_S10_SL_SM_SN_EUlS10_E1_NS1_11comp_targetILNS1_3genE0ELNS1_11target_archE4294967295ELNS1_3gpuE0ELNS1_3repE0EEENS1_36merge_oddeven_config_static_selectorELNS0_4arch9wavefront6targetE1EEEvSM_,"axG",@progbits,_ZN7rocprim17ROCPRIM_400000_NS6detail17trampoline_kernelINS0_14default_configENS1_38merge_sort_block_merge_config_selectorIlNS0_10empty_typeEEEZZNS1_27merge_sort_block_merge_implIS3_PlPS5_mZN2at6native12_GLOBAL__N_124unique_dim_cuda_templateIdEESt5tupleIJNSA_6TensorESF_SF_EERKSF_lbbbEUlllE_EE10hipError_tT0_T1_T2_jT3_P12ihipStream_tbPNSt15iterator_traitsISL_E10value_typeEPNSR_ISM_E10value_typeEPSN_NS1_7vsmem_tEENKUlT_SL_SM_SN_E_clIS8_S8_S9_S9_EESK_S10_SL_SM_SN_EUlS10_E1_NS1_11comp_targetILNS1_3genE0ELNS1_11target_archE4294967295ELNS1_3gpuE0ELNS1_3repE0EEENS1_36merge_oddeven_config_static_selectorELNS0_4arch9wavefront6targetE1EEEvSM_,comdat
	.globl	_ZN7rocprim17ROCPRIM_400000_NS6detail17trampoline_kernelINS0_14default_configENS1_38merge_sort_block_merge_config_selectorIlNS0_10empty_typeEEEZZNS1_27merge_sort_block_merge_implIS3_PlPS5_mZN2at6native12_GLOBAL__N_124unique_dim_cuda_templateIdEESt5tupleIJNSA_6TensorESF_SF_EERKSF_lbbbEUlllE_EE10hipError_tT0_T1_T2_jT3_P12ihipStream_tbPNSt15iterator_traitsISL_E10value_typeEPNSR_ISM_E10value_typeEPSN_NS1_7vsmem_tEENKUlT_SL_SM_SN_E_clIS8_S8_S9_S9_EESK_S10_SL_SM_SN_EUlS10_E1_NS1_11comp_targetILNS1_3genE0ELNS1_11target_archE4294967295ELNS1_3gpuE0ELNS1_3repE0EEENS1_36merge_oddeven_config_static_selectorELNS0_4arch9wavefront6targetE1EEEvSM_ ; -- Begin function _ZN7rocprim17ROCPRIM_400000_NS6detail17trampoline_kernelINS0_14default_configENS1_38merge_sort_block_merge_config_selectorIlNS0_10empty_typeEEEZZNS1_27merge_sort_block_merge_implIS3_PlPS5_mZN2at6native12_GLOBAL__N_124unique_dim_cuda_templateIdEESt5tupleIJNSA_6TensorESF_SF_EERKSF_lbbbEUlllE_EE10hipError_tT0_T1_T2_jT3_P12ihipStream_tbPNSt15iterator_traitsISL_E10value_typeEPNSR_ISM_E10value_typeEPSN_NS1_7vsmem_tEENKUlT_SL_SM_SN_E_clIS8_S8_S9_S9_EESK_S10_SL_SM_SN_EUlS10_E1_NS1_11comp_targetILNS1_3genE0ELNS1_11target_archE4294967295ELNS1_3gpuE0ELNS1_3repE0EEENS1_36merge_oddeven_config_static_selectorELNS0_4arch9wavefront6targetE1EEEvSM_
	.p2align	8
	.type	_ZN7rocprim17ROCPRIM_400000_NS6detail17trampoline_kernelINS0_14default_configENS1_38merge_sort_block_merge_config_selectorIlNS0_10empty_typeEEEZZNS1_27merge_sort_block_merge_implIS3_PlPS5_mZN2at6native12_GLOBAL__N_124unique_dim_cuda_templateIdEESt5tupleIJNSA_6TensorESF_SF_EERKSF_lbbbEUlllE_EE10hipError_tT0_T1_T2_jT3_P12ihipStream_tbPNSt15iterator_traitsISL_E10value_typeEPNSR_ISM_E10value_typeEPSN_NS1_7vsmem_tEENKUlT_SL_SM_SN_E_clIS8_S8_S9_S9_EESK_S10_SL_SM_SN_EUlS10_E1_NS1_11comp_targetILNS1_3genE0ELNS1_11target_archE4294967295ELNS1_3gpuE0ELNS1_3repE0EEENS1_36merge_oddeven_config_static_selectorELNS0_4arch9wavefront6targetE1EEEvSM_,@function
_ZN7rocprim17ROCPRIM_400000_NS6detail17trampoline_kernelINS0_14default_configENS1_38merge_sort_block_merge_config_selectorIlNS0_10empty_typeEEEZZNS1_27merge_sort_block_merge_implIS3_PlPS5_mZN2at6native12_GLOBAL__N_124unique_dim_cuda_templateIdEESt5tupleIJNSA_6TensorESF_SF_EERKSF_lbbbEUlllE_EE10hipError_tT0_T1_T2_jT3_P12ihipStream_tbPNSt15iterator_traitsISL_E10value_typeEPNSR_ISM_E10value_typeEPSN_NS1_7vsmem_tEENKUlT_SL_SM_SN_E_clIS8_S8_S9_S9_EESK_S10_SL_SM_SN_EUlS10_E1_NS1_11comp_targetILNS1_3genE0ELNS1_11target_archE4294967295ELNS1_3gpuE0ELNS1_3repE0EEENS1_36merge_oddeven_config_static_selectorELNS0_4arch9wavefront6targetE1EEEvSM_: ; @_ZN7rocprim17ROCPRIM_400000_NS6detail17trampoline_kernelINS0_14default_configENS1_38merge_sort_block_merge_config_selectorIlNS0_10empty_typeEEEZZNS1_27merge_sort_block_merge_implIS3_PlPS5_mZN2at6native12_GLOBAL__N_124unique_dim_cuda_templateIdEESt5tupleIJNSA_6TensorESF_SF_EERKSF_lbbbEUlllE_EE10hipError_tT0_T1_T2_jT3_P12ihipStream_tbPNSt15iterator_traitsISL_E10value_typeEPNSR_ISM_E10value_typeEPSN_NS1_7vsmem_tEENKUlT_SL_SM_SN_E_clIS8_S8_S9_S9_EESK_S10_SL_SM_SN_EUlS10_E1_NS1_11comp_targetILNS1_3genE0ELNS1_11target_archE4294967295ELNS1_3gpuE0ELNS1_3repE0EEENS1_36merge_oddeven_config_static_selectorELNS0_4arch9wavefront6targetE1EEEvSM_
; %bb.0:
	s_load_dword s22, s[0:1], 0x20
	s_waitcnt lgkmcnt(0)
	s_lshr_b32 s3, s22, 8
	s_cmp_lg_u32 s2, s3
	s_cselect_b64 s[12:13], -1, 0
	s_cmp_eq_u32 s2, s3
	s_cselect_b64 s[20:21], -1, 0
	s_lshl_b32 s18, s2, 8
	s_sub_i32 s3, s22, s18
	v_cmp_gt_u32_e64 s[4:5], s3, v0
	s_or_b64 s[6:7], s[12:13], s[4:5]
	s_and_saveexec_b64 s[8:9], s[6:7]
	s_cbranch_execz .LBB774_54
; %bb.1:
	s_load_dwordx4 s[8:11], s[0:1], 0x0
	s_load_dword s23, s[0:1], 0x28
	s_mov_b32 s19, 0
	s_lshl_b64 s[6:7], s[18:19], 3
	v_lshlrev_b32_e32 v1, 3, v0
	s_waitcnt lgkmcnt(0)
	s_add_u32 s6, s8, s6
	s_addc_u32 s7, s9, s7
	global_load_dwordx2 v[2:3], v1, s[6:7]
	s_lshr_b32 s3, s23, 8
	s_sub_i32 s6, 0, s3
	s_and_b32 s2, s2, s6
	s_and_b32 s3, s2, s3
	s_cmp_lg_u32 s3, 0
	s_cselect_b64 s[6:7], -1, 0
	s_lshl_b32 s19, s2, 8
	s_sub_i32 s2, 0, s23
	s_cmp_eq_u32 s3, 0
	s_cselect_b32 s33, s23, s2
	s_add_i32 s33, s33, s19
	s_cmp_lt_u32 s33, s22
	s_cbranch_scc1 .LBB774_3
; %bb.2:
	v_add_u32_e32 v4, s18, v0
	v_cmp_gt_u32_e32 vcc, s22, v4
	s_or_b64 s[12:13], vcc, s[12:13]
	s_and_b64 s[16:17], s[12:13], exec
	s_cbranch_execz .LBB774_4
	s_branch .LBB774_52
.LBB774_3:
	s_mov_b64 s[16:17], 0
                                        ; implicit-def: $vgpr4
.LBB774_4:
	s_load_dwordx4 s[12:15], s[0:1], 0x30
	s_min_u32 s42, s33, s22
	s_add_i32 s0, s42, s23
	s_min_u32 s43, s0, s22
	s_min_u32 s0, s19, s42
	v_add_u32_e32 v0, s18, v0
	s_add_i32 s19, s19, s42
	v_subrev_u32_e32 v0, s19, v0
	v_add_u32_e32 v14, s0, v0
	s_waitcnt lgkmcnt(0)
	v_cmp_gt_i64_e64 s[18:19], s[12:13], 0
	s_and_b64 vcc, exec, s[20:21]
	s_cbranch_vccz .LBB774_26
; %bb.5:
                                        ; implicit-def: $vgpr4
	s_and_saveexec_b64 s[20:21], s[4:5]
	s_cbranch_execz .LBB774_29
; %bb.6:
	s_cmp_ge_u32 s33, s43
	v_mov_b32_e32 v15, s42
	s_cbranch_scc1 .LBB774_28
; %bb.7:
	s_waitcnt vmcnt(0)
	v_mul_lo_u32 v0, v3, s12
	v_mul_lo_u32 v1, v2, s13
	v_mad_u64_u32 v[4:5], s[0:1], v2, s12, 0
	v_cndmask_b32_e64 v6, 0, 1, s[6:7]
	v_add3_u32 v5, v5, v1, v0
	v_cmp_ne_u32_e64 s[0:1], 1, v6
	v_cndmask_b32_e64 v6, 0, 1, s[18:19]
	v_mov_b64_e32 v[0:1], s[14:15]
	v_lshl_add_u64 v[4:5], v[4:5], 3, s[14:15]
	s_lshl_b64 s[24:25], s[12:13], 3
	s_mov_b64 s[22:23], 0
	v_mov_b32_e32 v16, s43
	v_mov_b32_e32 v15, s42
	;; [unrolled: 1-line block ×3, first 2 shown]
	v_cmp_ne_u32_e64 s[2:3], 1, v6
	s_branch .LBB774_10
.LBB774_8:                              ;   in Loop: Header=BB774_10 Depth=1
	s_or_b64 exec, exec, s[28:29]
.LBB774_9:                              ;   in Loop: Header=BB774_10 Depth=1
	s_waitcnt vmcnt(0)
	v_add_u32_e32 v8, 1, v6
	v_cndmask_b32_e64 v16, v6, v16, s[26:27]
	v_cndmask_b32_e64 v15, v15, v8, s[26:27]
	v_cmp_ge_u32_e32 vcc, v15, v16
	s_or_b64 s[22:23], vcc, s[22:23]
	s_andn2_b64 exec, exec, s[22:23]
	s_cbranch_execz .LBB774_27
.LBB774_10:                             ; =>This Loop Header: Depth=1
                                        ;     Child Loop BB774_14 Depth 2
                                        ;     Child Loop BB774_23 Depth 2
	v_add_u32_e32 v6, v15, v16
	v_lshrrev_b32_e32 v6, 1, v6
	v_lshl_add_u64 v[8:9], v[6:7], 3, s[8:9]
	global_load_dwordx2 v[8:9], v[8:9], off
	s_and_b64 vcc, exec, s[0:1]
	s_mov_b64 s[4:5], -1
                                        ; implicit-def: $sgpr26_sgpr27
	s_cbranch_vccnz .LBB774_19
; %bb.11:                               ;   in Loop: Header=BB774_10 Depth=1
	s_and_b64 vcc, exec, s[2:3]
	s_cbranch_vccnz .LBB774_17
; %bb.12:                               ;   in Loop: Header=BB774_10 Depth=1
	s_waitcnt vmcnt(0)
	v_mad_u64_u32 v[10:11], s[4:5], s24, v8, v[0:1]
	v_mul_lo_u32 v12, s24, v9
	v_mul_lo_u32 v13, s25, v8
	v_add3_u32 v11, v13, v11, v12
	s_mov_b64 s[26:27], 0
	s_mov_b64 s[34:35], s[12:13]
	v_mov_b64_e32 v[12:13], v[4:5]
                                        ; implicit-def: $sgpr28_sgpr29
                                        ; implicit-def: $sgpr30_sgpr31
                                        ; implicit-def: $sgpr4_sgpr5
                                        ; implicit-def: $sgpr36_sgpr37
	s_branch .LBB774_14
.LBB774_13:                             ;   in Loop: Header=BB774_14 Depth=2
	s_or_b64 exec, exec, s[40:41]
	s_and_b64 s[40:41], exec, s[30:31]
	s_or_b64 s[26:27], s[40:41], s[26:27]
	s_andn2_b64 s[36:37], s[36:37], exec
	s_and_b64 s[38:39], s[38:39], exec
	s_or_b64 s[36:37], s[36:37], s[38:39]
	s_andn2_b64 s[28:29], s[28:29], exec
	s_and_b64 s[38:39], s[4:5], exec
	s_or_b64 s[28:29], s[28:29], s[38:39]
	s_andn2_b64 exec, exec, s[26:27]
	s_cbranch_execz .LBB774_16
.LBB774_14:                             ;   Parent Loop BB774_10 Depth=1
                                        ; =>  This Inner Loop Header: Depth=2
	global_load_dwordx2 v[18:19], v[12:13], off
	global_load_dwordx2 v[20:21], v[10:11], off
	s_andn2_b64 s[40:41], s[4:5], exec
	s_or_b64 s[30:31], s[30:31], exec
	s_waitcnt vmcnt(0)
	v_cmp_ngt_f64_e64 s[4:5], v[18:19], v[20:21]
	v_cmp_lt_f64_e32 vcc, v[18:19], v[20:21]
	s_and_b64 s[38:39], s[4:5], s[36:37]
	s_or_b64 s[38:39], vcc, s[38:39]
	s_xor_b64 s[44:45], vcc, s[4:5]
	s_and_b64 s[4:5], s[38:39], exec
	s_or_b64 s[4:5], s[40:41], s[4:5]
	s_and_saveexec_b64 s[40:41], s[44:45]
	s_cbranch_execz .LBB774_13
; %bb.15:                               ;   in Loop: Header=BB774_14 Depth=2
	s_add_u32 s34, s34, -1
	s_addc_u32 s35, s35, -1
	s_cmp_eq_u64 s[34:35], 0
	s_cselect_b64 s[36:37], -1, 0
	s_andn2_b64 s[30:31], s[30:31], exec
	s_and_b64 s[36:37], s[36:37], exec
	v_lshl_add_u64 v[12:13], v[12:13], 0, 8
	v_lshl_add_u64 v[10:11], v[10:11], 0, 8
	s_andn2_b64 s[4:5], s[4:5], exec
	s_or_b64 s[30:31], s[30:31], s[36:37]
                                        ; implicit-def: $sgpr36_sgpr37
	s_branch .LBB774_13
.LBB774_16:                             ;   in Loop: Header=BB774_10 Depth=1
	s_or_b64 exec, exec, s[26:27]
	s_xor_b64 s[26:27], s[28:29], -1
	s_branch .LBB774_18
.LBB774_17:                             ;   in Loop: Header=BB774_10 Depth=1
	s_mov_b64 s[26:27], -1
.LBB774_18:                             ;   in Loop: Header=BB774_10 Depth=1
	s_mov_b64 s[4:5], 0
.LBB774_19:                             ;   in Loop: Header=BB774_10 Depth=1
	s_andn2_b64 vcc, exec, s[4:5]
	s_cbranch_vccnz .LBB774_9
; %bb.20:                               ;   in Loop: Header=BB774_10 Depth=1
	s_and_b64 vcc, exec, s[2:3]
	s_cbranch_vccnz .LBB774_25
; %bb.21:                               ;   in Loop: Header=BB774_10 Depth=1
	s_waitcnt vmcnt(0)
	v_mad_u64_u32 v[10:11], s[4:5], s24, v8, v[0:1]
	v_mul_lo_u32 v9, s24, v9
	v_mul_lo_u32 v8, s25, v8
	v_add3_u32 v11, v8, v11, v9
	s_mov_b64 s[28:29], 0
	s_mov_b64 s[34:35], s[12:13]
	v_mov_b64_e32 v[8:9], v[4:5]
                                        ; implicit-def: $sgpr26_sgpr27
                                        ; implicit-def: $sgpr30_sgpr31
                                        ; implicit-def: $sgpr4_sgpr5
                                        ; implicit-def: $sgpr36_sgpr37
	s_branch .LBB774_23
.LBB774_22:                             ;   in Loop: Header=BB774_23 Depth=2
	s_or_b64 exec, exec, s[40:41]
	s_and_b64 s[40:41], exec, s[30:31]
	s_or_b64 s[28:29], s[40:41], s[28:29]
	s_andn2_b64 s[36:37], s[36:37], exec
	s_and_b64 s[38:39], s[38:39], exec
	s_or_b64 s[36:37], s[36:37], s[38:39]
	s_andn2_b64 s[26:27], s[26:27], exec
	s_and_b64 s[38:39], s[4:5], exec
	s_or_b64 s[26:27], s[26:27], s[38:39]
	s_andn2_b64 exec, exec, s[28:29]
	s_cbranch_execz .LBB774_8
.LBB774_23:                             ;   Parent Loop BB774_10 Depth=1
                                        ; =>  This Inner Loop Header: Depth=2
	global_load_dwordx2 v[12:13], v[10:11], off
	global_load_dwordx2 v[18:19], v[8:9], off
	s_andn2_b64 s[40:41], s[4:5], exec
	s_or_b64 s[30:31], s[30:31], exec
	s_waitcnt vmcnt(0)
	v_cmp_ngt_f64_e64 s[4:5], v[12:13], v[18:19]
	v_cmp_lt_f64_e32 vcc, v[12:13], v[18:19]
	s_and_b64 s[38:39], s[4:5], s[36:37]
	s_or_b64 s[38:39], vcc, s[38:39]
	s_xor_b64 s[44:45], vcc, s[4:5]
	s_and_b64 s[4:5], s[38:39], exec
	s_or_b64 s[4:5], s[40:41], s[4:5]
	s_and_saveexec_b64 s[40:41], s[44:45]
	s_cbranch_execz .LBB774_22
; %bb.24:                               ;   in Loop: Header=BB774_23 Depth=2
	s_add_u32 s34, s34, -1
	s_addc_u32 s35, s35, -1
	s_cmp_eq_u64 s[34:35], 0
	s_cselect_b64 s[36:37], -1, 0
	s_andn2_b64 s[30:31], s[30:31], exec
	s_and_b64 s[36:37], s[36:37], exec
	v_lshl_add_u64 v[10:11], v[10:11], 0, 8
	v_lshl_add_u64 v[8:9], v[8:9], 0, 8
	s_andn2_b64 s[4:5], s[4:5], exec
	s_or_b64 s[30:31], s[30:31], s[36:37]
                                        ; implicit-def: $sgpr36_sgpr37
	s_branch .LBB774_22
.LBB774_25:                             ;   in Loop: Header=BB774_10 Depth=1
	s_mov_b64 s[26:27], 0
	s_branch .LBB774_9
.LBB774_26:
                                        ; implicit-def: $vgpr4
	s_cbranch_execnz .LBB774_30
	s_branch .LBB774_52
.LBB774_27:
	s_or_b64 exec, exec, s[22:23]
.LBB774_28:
	v_add_u32_e32 v4, v15, v14
	s_or_b64 s[16:17], s[16:17], exec
.LBB774_29:
	s_or_b64 exec, exec, s[20:21]
	s_branch .LBB774_52
.LBB774_30:
	s_cmp_ge_u32 s33, s43
	v_mov_b32_e32 v15, s42
	s_cbranch_scc1 .LBB774_51
; %bb.31:
	s_waitcnt vmcnt(0)
	v_mul_lo_u32 v0, v3, s12
	v_mul_lo_u32 v1, v2, s13
	v_mad_u64_u32 v[4:5], s[0:1], v2, s12, 0
	v_cndmask_b32_e64 v6, 0, 1, s[6:7]
	v_add3_u32 v5, v5, v1, v0
	v_cmp_ne_u32_e64 s[0:1], 1, v6
	v_cndmask_b32_e64 v6, 0, 1, s[18:19]
	v_mov_b64_e32 v[0:1], s[14:15]
	v_lshl_add_u64 v[4:5], v[4:5], 3, s[14:15]
	s_lshl_b64 s[16:17], s[12:13], 3
	s_mov_b64 s[14:15], 0
	v_mov_b32_e32 v16, s43
	v_mov_b32_e32 v15, s42
	;; [unrolled: 1-line block ×3, first 2 shown]
	v_cmp_ne_u32_e64 s[2:3], 1, v6
	s_branch .LBB774_34
.LBB774_32:                             ;   in Loop: Header=BB774_34 Depth=1
	s_or_b64 exec, exec, s[18:19]
.LBB774_33:                             ;   in Loop: Header=BB774_34 Depth=1
	s_waitcnt vmcnt(0)
	v_add_u32_e32 v8, 1, v6
	v_cndmask_b32_e64 v16, v6, v16, s[6:7]
	v_cndmask_b32_e64 v15, v15, v8, s[6:7]
	v_cmp_ge_u32_e32 vcc, v15, v16
	s_or_b64 s[14:15], vcc, s[14:15]
	s_andn2_b64 exec, exec, s[14:15]
	s_cbranch_execz .LBB774_50
.LBB774_34:                             ; =>This Loop Header: Depth=1
                                        ;     Child Loop BB774_38 Depth 2
                                        ;     Child Loop BB774_47 Depth 2
	v_add_u32_e32 v6, v15, v16
	v_lshrrev_b32_e32 v6, 1, v6
	v_lshl_add_u64 v[8:9], v[6:7], 3, s[8:9]
	global_load_dwordx2 v[8:9], v[8:9], off
	s_and_b64 vcc, exec, s[0:1]
	s_mov_b64 s[4:5], -1
                                        ; implicit-def: $sgpr6_sgpr7
	s_cbranch_vccnz .LBB774_43
; %bb.35:                               ;   in Loop: Header=BB774_34 Depth=1
	s_and_b64 vcc, exec, s[2:3]
	s_cbranch_vccnz .LBB774_41
; %bb.36:                               ;   in Loop: Header=BB774_34 Depth=1
	s_waitcnt vmcnt(0)
	v_mad_u64_u32 v[10:11], s[4:5], s16, v8, v[0:1]
	v_mul_lo_u32 v12, s16, v9
	v_mul_lo_u32 v13, s17, v8
	v_add3_u32 v11, v13, v11, v12
	s_mov_b64 s[6:7], 0
	s_mov_b64 s[22:23], s[12:13]
	v_mov_b64_e32 v[12:13], v[4:5]
                                        ; implicit-def: $sgpr18_sgpr19
                                        ; implicit-def: $sgpr20_sgpr21
                                        ; implicit-def: $sgpr4_sgpr5
                                        ; implicit-def: $sgpr24_sgpr25
	s_branch .LBB774_38
.LBB774_37:                             ;   in Loop: Header=BB774_38 Depth=2
	s_or_b64 exec, exec, s[28:29]
	s_and_b64 s[28:29], exec, s[20:21]
	s_or_b64 s[6:7], s[28:29], s[6:7]
	s_andn2_b64 s[24:25], s[24:25], exec
	s_and_b64 s[26:27], s[26:27], exec
	s_or_b64 s[24:25], s[24:25], s[26:27]
	s_andn2_b64 s[18:19], s[18:19], exec
	s_and_b64 s[26:27], s[4:5], exec
	s_or_b64 s[18:19], s[18:19], s[26:27]
	s_andn2_b64 exec, exec, s[6:7]
	s_cbranch_execz .LBB774_40
.LBB774_38:                             ;   Parent Loop BB774_34 Depth=1
                                        ; =>  This Inner Loop Header: Depth=2
	global_load_dwordx2 v[18:19], v[12:13], off
	global_load_dwordx2 v[20:21], v[10:11], off
	s_andn2_b64 s[28:29], s[4:5], exec
	s_or_b64 s[20:21], s[20:21], exec
	s_waitcnt vmcnt(0)
	v_cmp_ngt_f64_e64 s[4:5], v[18:19], v[20:21]
	v_cmp_lt_f64_e32 vcc, v[18:19], v[20:21]
	s_and_b64 s[26:27], s[4:5], s[24:25]
	s_or_b64 s[26:27], vcc, s[26:27]
	s_xor_b64 s[30:31], vcc, s[4:5]
	s_and_b64 s[4:5], s[26:27], exec
	s_or_b64 s[4:5], s[28:29], s[4:5]
	s_and_saveexec_b64 s[28:29], s[30:31]
	s_cbranch_execz .LBB774_37
; %bb.39:                               ;   in Loop: Header=BB774_38 Depth=2
	s_add_u32 s22, s22, -1
	s_addc_u32 s23, s23, -1
	s_cmp_eq_u64 s[22:23], 0
	s_cselect_b64 s[24:25], -1, 0
	s_andn2_b64 s[20:21], s[20:21], exec
	s_and_b64 s[24:25], s[24:25], exec
	v_lshl_add_u64 v[12:13], v[12:13], 0, 8
	v_lshl_add_u64 v[10:11], v[10:11], 0, 8
	s_andn2_b64 s[4:5], s[4:5], exec
	s_or_b64 s[20:21], s[20:21], s[24:25]
                                        ; implicit-def: $sgpr24_sgpr25
	s_branch .LBB774_37
.LBB774_40:                             ;   in Loop: Header=BB774_34 Depth=1
	s_or_b64 exec, exec, s[6:7]
	s_xor_b64 s[6:7], s[18:19], -1
	s_branch .LBB774_42
.LBB774_41:                             ;   in Loop: Header=BB774_34 Depth=1
	s_mov_b64 s[6:7], -1
.LBB774_42:                             ;   in Loop: Header=BB774_34 Depth=1
	s_mov_b64 s[4:5], 0
.LBB774_43:                             ;   in Loop: Header=BB774_34 Depth=1
	s_andn2_b64 vcc, exec, s[4:5]
	s_cbranch_vccnz .LBB774_33
; %bb.44:                               ;   in Loop: Header=BB774_34 Depth=1
	s_and_b64 vcc, exec, s[2:3]
	s_cbranch_vccnz .LBB774_49
; %bb.45:                               ;   in Loop: Header=BB774_34 Depth=1
	s_waitcnt vmcnt(0)
	v_mad_u64_u32 v[10:11], s[4:5], s16, v8, v[0:1]
	v_mul_lo_u32 v9, s16, v9
	v_mul_lo_u32 v8, s17, v8
	v_add3_u32 v11, v8, v11, v9
	s_mov_b64 s[18:19], 0
	s_mov_b64 s[22:23], s[12:13]
	v_mov_b64_e32 v[8:9], v[4:5]
                                        ; implicit-def: $sgpr6_sgpr7
                                        ; implicit-def: $sgpr20_sgpr21
                                        ; implicit-def: $sgpr4_sgpr5
                                        ; implicit-def: $sgpr24_sgpr25
	s_branch .LBB774_47
.LBB774_46:                             ;   in Loop: Header=BB774_47 Depth=2
	s_or_b64 exec, exec, s[28:29]
	s_and_b64 s[28:29], exec, s[20:21]
	s_or_b64 s[18:19], s[28:29], s[18:19]
	s_andn2_b64 s[24:25], s[24:25], exec
	s_and_b64 s[26:27], s[26:27], exec
	s_or_b64 s[24:25], s[24:25], s[26:27]
	s_andn2_b64 s[6:7], s[6:7], exec
	s_and_b64 s[26:27], s[4:5], exec
	s_or_b64 s[6:7], s[6:7], s[26:27]
	s_andn2_b64 exec, exec, s[18:19]
	s_cbranch_execz .LBB774_32
.LBB774_47:                             ;   Parent Loop BB774_34 Depth=1
                                        ; =>  This Inner Loop Header: Depth=2
	global_load_dwordx2 v[12:13], v[10:11], off
	global_load_dwordx2 v[18:19], v[8:9], off
	s_andn2_b64 s[28:29], s[4:5], exec
	s_or_b64 s[20:21], s[20:21], exec
	s_waitcnt vmcnt(0)
	v_cmp_ngt_f64_e64 s[4:5], v[12:13], v[18:19]
	v_cmp_lt_f64_e32 vcc, v[12:13], v[18:19]
	s_and_b64 s[26:27], s[4:5], s[24:25]
	s_or_b64 s[26:27], vcc, s[26:27]
	s_xor_b64 s[30:31], vcc, s[4:5]
	s_and_b64 s[4:5], s[26:27], exec
	s_or_b64 s[4:5], s[28:29], s[4:5]
	s_and_saveexec_b64 s[28:29], s[30:31]
	s_cbranch_execz .LBB774_46
; %bb.48:                               ;   in Loop: Header=BB774_47 Depth=2
	s_add_u32 s22, s22, -1
	s_addc_u32 s23, s23, -1
	s_cmp_eq_u64 s[22:23], 0
	s_cselect_b64 s[24:25], -1, 0
	s_andn2_b64 s[20:21], s[20:21], exec
	s_and_b64 s[24:25], s[24:25], exec
	v_lshl_add_u64 v[10:11], v[10:11], 0, 8
	v_lshl_add_u64 v[8:9], v[8:9], 0, 8
	s_andn2_b64 s[4:5], s[4:5], exec
	s_or_b64 s[20:21], s[20:21], s[24:25]
                                        ; implicit-def: $sgpr24_sgpr25
	s_branch .LBB774_46
.LBB774_49:                             ;   in Loop: Header=BB774_34 Depth=1
	s_mov_b64 s[6:7], 0
	s_branch .LBB774_33
.LBB774_50:
	s_or_b64 exec, exec, s[14:15]
.LBB774_51:
	v_add_u32_e32 v4, v15, v14
	s_mov_b64 s[16:17], -1
.LBB774_52:
	s_and_b64 exec, exec, s[16:17]
	s_cbranch_execz .LBB774_54
; %bb.53:
	v_mov_b32_e32 v0, s10
	v_mov_b32_e32 v1, s11
	v_mov_b32_e32 v5, 0
	v_lshl_add_u64 v[0:1], v[4:5], 3, v[0:1]
	s_waitcnt vmcnt(0)
	global_store_dwordx2 v[0:1], v[2:3], off
.LBB774_54:
	s_endpgm
	.section	.rodata,"a",@progbits
	.p2align	6, 0x0
	.amdhsa_kernel _ZN7rocprim17ROCPRIM_400000_NS6detail17trampoline_kernelINS0_14default_configENS1_38merge_sort_block_merge_config_selectorIlNS0_10empty_typeEEEZZNS1_27merge_sort_block_merge_implIS3_PlPS5_mZN2at6native12_GLOBAL__N_124unique_dim_cuda_templateIdEESt5tupleIJNSA_6TensorESF_SF_EERKSF_lbbbEUlllE_EE10hipError_tT0_T1_T2_jT3_P12ihipStream_tbPNSt15iterator_traitsISL_E10value_typeEPNSR_ISM_E10value_typeEPSN_NS1_7vsmem_tEENKUlT_SL_SM_SN_E_clIS8_S8_S9_S9_EESK_S10_SL_SM_SN_EUlS10_E1_NS1_11comp_targetILNS1_3genE0ELNS1_11target_archE4294967295ELNS1_3gpuE0ELNS1_3repE0EEENS1_36merge_oddeven_config_static_selectorELNS0_4arch9wavefront6targetE1EEEvSM_
		.amdhsa_group_segment_fixed_size 0
		.amdhsa_private_segment_fixed_size 0
		.amdhsa_kernarg_size 64
		.amdhsa_user_sgpr_count 2
		.amdhsa_user_sgpr_dispatch_ptr 0
		.amdhsa_user_sgpr_queue_ptr 0
		.amdhsa_user_sgpr_kernarg_segment_ptr 1
		.amdhsa_user_sgpr_dispatch_id 0
		.amdhsa_user_sgpr_kernarg_preload_length 0
		.amdhsa_user_sgpr_kernarg_preload_offset 0
		.amdhsa_user_sgpr_private_segment_size 0
		.amdhsa_uses_dynamic_stack 0
		.amdhsa_enable_private_segment 0
		.amdhsa_system_sgpr_workgroup_id_x 1
		.amdhsa_system_sgpr_workgroup_id_y 0
		.amdhsa_system_sgpr_workgroup_id_z 0
		.amdhsa_system_sgpr_workgroup_info 0
		.amdhsa_system_vgpr_workitem_id 0
		.amdhsa_next_free_vgpr 22
		.amdhsa_next_free_sgpr 46
		.amdhsa_accum_offset 24
		.amdhsa_reserve_vcc 1
		.amdhsa_float_round_mode_32 0
		.amdhsa_float_round_mode_16_64 0
		.amdhsa_float_denorm_mode_32 3
		.amdhsa_float_denorm_mode_16_64 3
		.amdhsa_dx10_clamp 1
		.amdhsa_ieee_mode 1
		.amdhsa_fp16_overflow 0
		.amdhsa_tg_split 0
		.amdhsa_exception_fp_ieee_invalid_op 0
		.amdhsa_exception_fp_denorm_src 0
		.amdhsa_exception_fp_ieee_div_zero 0
		.amdhsa_exception_fp_ieee_overflow 0
		.amdhsa_exception_fp_ieee_underflow 0
		.amdhsa_exception_fp_ieee_inexact 0
		.amdhsa_exception_int_div_zero 0
	.end_amdhsa_kernel
	.section	.text._ZN7rocprim17ROCPRIM_400000_NS6detail17trampoline_kernelINS0_14default_configENS1_38merge_sort_block_merge_config_selectorIlNS0_10empty_typeEEEZZNS1_27merge_sort_block_merge_implIS3_PlPS5_mZN2at6native12_GLOBAL__N_124unique_dim_cuda_templateIdEESt5tupleIJNSA_6TensorESF_SF_EERKSF_lbbbEUlllE_EE10hipError_tT0_T1_T2_jT3_P12ihipStream_tbPNSt15iterator_traitsISL_E10value_typeEPNSR_ISM_E10value_typeEPSN_NS1_7vsmem_tEENKUlT_SL_SM_SN_E_clIS8_S8_S9_S9_EESK_S10_SL_SM_SN_EUlS10_E1_NS1_11comp_targetILNS1_3genE0ELNS1_11target_archE4294967295ELNS1_3gpuE0ELNS1_3repE0EEENS1_36merge_oddeven_config_static_selectorELNS0_4arch9wavefront6targetE1EEEvSM_,"axG",@progbits,_ZN7rocprim17ROCPRIM_400000_NS6detail17trampoline_kernelINS0_14default_configENS1_38merge_sort_block_merge_config_selectorIlNS0_10empty_typeEEEZZNS1_27merge_sort_block_merge_implIS3_PlPS5_mZN2at6native12_GLOBAL__N_124unique_dim_cuda_templateIdEESt5tupleIJNSA_6TensorESF_SF_EERKSF_lbbbEUlllE_EE10hipError_tT0_T1_T2_jT3_P12ihipStream_tbPNSt15iterator_traitsISL_E10value_typeEPNSR_ISM_E10value_typeEPSN_NS1_7vsmem_tEENKUlT_SL_SM_SN_E_clIS8_S8_S9_S9_EESK_S10_SL_SM_SN_EUlS10_E1_NS1_11comp_targetILNS1_3genE0ELNS1_11target_archE4294967295ELNS1_3gpuE0ELNS1_3repE0EEENS1_36merge_oddeven_config_static_selectorELNS0_4arch9wavefront6targetE1EEEvSM_,comdat
.Lfunc_end774:
	.size	_ZN7rocprim17ROCPRIM_400000_NS6detail17trampoline_kernelINS0_14default_configENS1_38merge_sort_block_merge_config_selectorIlNS0_10empty_typeEEEZZNS1_27merge_sort_block_merge_implIS3_PlPS5_mZN2at6native12_GLOBAL__N_124unique_dim_cuda_templateIdEESt5tupleIJNSA_6TensorESF_SF_EERKSF_lbbbEUlllE_EE10hipError_tT0_T1_T2_jT3_P12ihipStream_tbPNSt15iterator_traitsISL_E10value_typeEPNSR_ISM_E10value_typeEPSN_NS1_7vsmem_tEENKUlT_SL_SM_SN_E_clIS8_S8_S9_S9_EESK_S10_SL_SM_SN_EUlS10_E1_NS1_11comp_targetILNS1_3genE0ELNS1_11target_archE4294967295ELNS1_3gpuE0ELNS1_3repE0EEENS1_36merge_oddeven_config_static_selectorELNS0_4arch9wavefront6targetE1EEEvSM_, .Lfunc_end774-_ZN7rocprim17ROCPRIM_400000_NS6detail17trampoline_kernelINS0_14default_configENS1_38merge_sort_block_merge_config_selectorIlNS0_10empty_typeEEEZZNS1_27merge_sort_block_merge_implIS3_PlPS5_mZN2at6native12_GLOBAL__N_124unique_dim_cuda_templateIdEESt5tupleIJNSA_6TensorESF_SF_EERKSF_lbbbEUlllE_EE10hipError_tT0_T1_T2_jT3_P12ihipStream_tbPNSt15iterator_traitsISL_E10value_typeEPNSR_ISM_E10value_typeEPSN_NS1_7vsmem_tEENKUlT_SL_SM_SN_E_clIS8_S8_S9_S9_EESK_S10_SL_SM_SN_EUlS10_E1_NS1_11comp_targetILNS1_3genE0ELNS1_11target_archE4294967295ELNS1_3gpuE0ELNS1_3repE0EEENS1_36merge_oddeven_config_static_selectorELNS0_4arch9wavefront6targetE1EEEvSM_
                                        ; -- End function
	.set _ZN7rocprim17ROCPRIM_400000_NS6detail17trampoline_kernelINS0_14default_configENS1_38merge_sort_block_merge_config_selectorIlNS0_10empty_typeEEEZZNS1_27merge_sort_block_merge_implIS3_PlPS5_mZN2at6native12_GLOBAL__N_124unique_dim_cuda_templateIdEESt5tupleIJNSA_6TensorESF_SF_EERKSF_lbbbEUlllE_EE10hipError_tT0_T1_T2_jT3_P12ihipStream_tbPNSt15iterator_traitsISL_E10value_typeEPNSR_ISM_E10value_typeEPSN_NS1_7vsmem_tEENKUlT_SL_SM_SN_E_clIS8_S8_S9_S9_EESK_S10_SL_SM_SN_EUlS10_E1_NS1_11comp_targetILNS1_3genE0ELNS1_11target_archE4294967295ELNS1_3gpuE0ELNS1_3repE0EEENS1_36merge_oddeven_config_static_selectorELNS0_4arch9wavefront6targetE1EEEvSM_.num_vgpr, 22
	.set _ZN7rocprim17ROCPRIM_400000_NS6detail17trampoline_kernelINS0_14default_configENS1_38merge_sort_block_merge_config_selectorIlNS0_10empty_typeEEEZZNS1_27merge_sort_block_merge_implIS3_PlPS5_mZN2at6native12_GLOBAL__N_124unique_dim_cuda_templateIdEESt5tupleIJNSA_6TensorESF_SF_EERKSF_lbbbEUlllE_EE10hipError_tT0_T1_T2_jT3_P12ihipStream_tbPNSt15iterator_traitsISL_E10value_typeEPNSR_ISM_E10value_typeEPSN_NS1_7vsmem_tEENKUlT_SL_SM_SN_E_clIS8_S8_S9_S9_EESK_S10_SL_SM_SN_EUlS10_E1_NS1_11comp_targetILNS1_3genE0ELNS1_11target_archE4294967295ELNS1_3gpuE0ELNS1_3repE0EEENS1_36merge_oddeven_config_static_selectorELNS0_4arch9wavefront6targetE1EEEvSM_.num_agpr, 0
	.set _ZN7rocprim17ROCPRIM_400000_NS6detail17trampoline_kernelINS0_14default_configENS1_38merge_sort_block_merge_config_selectorIlNS0_10empty_typeEEEZZNS1_27merge_sort_block_merge_implIS3_PlPS5_mZN2at6native12_GLOBAL__N_124unique_dim_cuda_templateIdEESt5tupleIJNSA_6TensorESF_SF_EERKSF_lbbbEUlllE_EE10hipError_tT0_T1_T2_jT3_P12ihipStream_tbPNSt15iterator_traitsISL_E10value_typeEPNSR_ISM_E10value_typeEPSN_NS1_7vsmem_tEENKUlT_SL_SM_SN_E_clIS8_S8_S9_S9_EESK_S10_SL_SM_SN_EUlS10_E1_NS1_11comp_targetILNS1_3genE0ELNS1_11target_archE4294967295ELNS1_3gpuE0ELNS1_3repE0EEENS1_36merge_oddeven_config_static_selectorELNS0_4arch9wavefront6targetE1EEEvSM_.numbered_sgpr, 46
	.set _ZN7rocprim17ROCPRIM_400000_NS6detail17trampoline_kernelINS0_14default_configENS1_38merge_sort_block_merge_config_selectorIlNS0_10empty_typeEEEZZNS1_27merge_sort_block_merge_implIS3_PlPS5_mZN2at6native12_GLOBAL__N_124unique_dim_cuda_templateIdEESt5tupleIJNSA_6TensorESF_SF_EERKSF_lbbbEUlllE_EE10hipError_tT0_T1_T2_jT3_P12ihipStream_tbPNSt15iterator_traitsISL_E10value_typeEPNSR_ISM_E10value_typeEPSN_NS1_7vsmem_tEENKUlT_SL_SM_SN_E_clIS8_S8_S9_S9_EESK_S10_SL_SM_SN_EUlS10_E1_NS1_11comp_targetILNS1_3genE0ELNS1_11target_archE4294967295ELNS1_3gpuE0ELNS1_3repE0EEENS1_36merge_oddeven_config_static_selectorELNS0_4arch9wavefront6targetE1EEEvSM_.num_named_barrier, 0
	.set _ZN7rocprim17ROCPRIM_400000_NS6detail17trampoline_kernelINS0_14default_configENS1_38merge_sort_block_merge_config_selectorIlNS0_10empty_typeEEEZZNS1_27merge_sort_block_merge_implIS3_PlPS5_mZN2at6native12_GLOBAL__N_124unique_dim_cuda_templateIdEESt5tupleIJNSA_6TensorESF_SF_EERKSF_lbbbEUlllE_EE10hipError_tT0_T1_T2_jT3_P12ihipStream_tbPNSt15iterator_traitsISL_E10value_typeEPNSR_ISM_E10value_typeEPSN_NS1_7vsmem_tEENKUlT_SL_SM_SN_E_clIS8_S8_S9_S9_EESK_S10_SL_SM_SN_EUlS10_E1_NS1_11comp_targetILNS1_3genE0ELNS1_11target_archE4294967295ELNS1_3gpuE0ELNS1_3repE0EEENS1_36merge_oddeven_config_static_selectorELNS0_4arch9wavefront6targetE1EEEvSM_.private_seg_size, 0
	.set _ZN7rocprim17ROCPRIM_400000_NS6detail17trampoline_kernelINS0_14default_configENS1_38merge_sort_block_merge_config_selectorIlNS0_10empty_typeEEEZZNS1_27merge_sort_block_merge_implIS3_PlPS5_mZN2at6native12_GLOBAL__N_124unique_dim_cuda_templateIdEESt5tupleIJNSA_6TensorESF_SF_EERKSF_lbbbEUlllE_EE10hipError_tT0_T1_T2_jT3_P12ihipStream_tbPNSt15iterator_traitsISL_E10value_typeEPNSR_ISM_E10value_typeEPSN_NS1_7vsmem_tEENKUlT_SL_SM_SN_E_clIS8_S8_S9_S9_EESK_S10_SL_SM_SN_EUlS10_E1_NS1_11comp_targetILNS1_3genE0ELNS1_11target_archE4294967295ELNS1_3gpuE0ELNS1_3repE0EEENS1_36merge_oddeven_config_static_selectorELNS0_4arch9wavefront6targetE1EEEvSM_.uses_vcc, 1
	.set _ZN7rocprim17ROCPRIM_400000_NS6detail17trampoline_kernelINS0_14default_configENS1_38merge_sort_block_merge_config_selectorIlNS0_10empty_typeEEEZZNS1_27merge_sort_block_merge_implIS3_PlPS5_mZN2at6native12_GLOBAL__N_124unique_dim_cuda_templateIdEESt5tupleIJNSA_6TensorESF_SF_EERKSF_lbbbEUlllE_EE10hipError_tT0_T1_T2_jT3_P12ihipStream_tbPNSt15iterator_traitsISL_E10value_typeEPNSR_ISM_E10value_typeEPSN_NS1_7vsmem_tEENKUlT_SL_SM_SN_E_clIS8_S8_S9_S9_EESK_S10_SL_SM_SN_EUlS10_E1_NS1_11comp_targetILNS1_3genE0ELNS1_11target_archE4294967295ELNS1_3gpuE0ELNS1_3repE0EEENS1_36merge_oddeven_config_static_selectorELNS0_4arch9wavefront6targetE1EEEvSM_.uses_flat_scratch, 0
	.set _ZN7rocprim17ROCPRIM_400000_NS6detail17trampoline_kernelINS0_14default_configENS1_38merge_sort_block_merge_config_selectorIlNS0_10empty_typeEEEZZNS1_27merge_sort_block_merge_implIS3_PlPS5_mZN2at6native12_GLOBAL__N_124unique_dim_cuda_templateIdEESt5tupleIJNSA_6TensorESF_SF_EERKSF_lbbbEUlllE_EE10hipError_tT0_T1_T2_jT3_P12ihipStream_tbPNSt15iterator_traitsISL_E10value_typeEPNSR_ISM_E10value_typeEPSN_NS1_7vsmem_tEENKUlT_SL_SM_SN_E_clIS8_S8_S9_S9_EESK_S10_SL_SM_SN_EUlS10_E1_NS1_11comp_targetILNS1_3genE0ELNS1_11target_archE4294967295ELNS1_3gpuE0ELNS1_3repE0EEENS1_36merge_oddeven_config_static_selectorELNS0_4arch9wavefront6targetE1EEEvSM_.has_dyn_sized_stack, 0
	.set _ZN7rocprim17ROCPRIM_400000_NS6detail17trampoline_kernelINS0_14default_configENS1_38merge_sort_block_merge_config_selectorIlNS0_10empty_typeEEEZZNS1_27merge_sort_block_merge_implIS3_PlPS5_mZN2at6native12_GLOBAL__N_124unique_dim_cuda_templateIdEESt5tupleIJNSA_6TensorESF_SF_EERKSF_lbbbEUlllE_EE10hipError_tT0_T1_T2_jT3_P12ihipStream_tbPNSt15iterator_traitsISL_E10value_typeEPNSR_ISM_E10value_typeEPSN_NS1_7vsmem_tEENKUlT_SL_SM_SN_E_clIS8_S8_S9_S9_EESK_S10_SL_SM_SN_EUlS10_E1_NS1_11comp_targetILNS1_3genE0ELNS1_11target_archE4294967295ELNS1_3gpuE0ELNS1_3repE0EEENS1_36merge_oddeven_config_static_selectorELNS0_4arch9wavefront6targetE1EEEvSM_.has_recursion, 0
	.set _ZN7rocprim17ROCPRIM_400000_NS6detail17trampoline_kernelINS0_14default_configENS1_38merge_sort_block_merge_config_selectorIlNS0_10empty_typeEEEZZNS1_27merge_sort_block_merge_implIS3_PlPS5_mZN2at6native12_GLOBAL__N_124unique_dim_cuda_templateIdEESt5tupleIJNSA_6TensorESF_SF_EERKSF_lbbbEUlllE_EE10hipError_tT0_T1_T2_jT3_P12ihipStream_tbPNSt15iterator_traitsISL_E10value_typeEPNSR_ISM_E10value_typeEPSN_NS1_7vsmem_tEENKUlT_SL_SM_SN_E_clIS8_S8_S9_S9_EESK_S10_SL_SM_SN_EUlS10_E1_NS1_11comp_targetILNS1_3genE0ELNS1_11target_archE4294967295ELNS1_3gpuE0ELNS1_3repE0EEENS1_36merge_oddeven_config_static_selectorELNS0_4arch9wavefront6targetE1EEEvSM_.has_indirect_call, 0
	.section	.AMDGPU.csdata,"",@progbits
; Kernel info:
; codeLenInByte = 1700
; TotalNumSgprs: 52
; NumVgprs: 22
; NumAgprs: 0
; TotalNumVgprs: 22
; ScratchSize: 0
; MemoryBound: 0
; FloatMode: 240
; IeeeMode: 1
; LDSByteSize: 0 bytes/workgroup (compile time only)
; SGPRBlocks: 6
; VGPRBlocks: 2
; NumSGPRsForWavesPerEU: 52
; NumVGPRsForWavesPerEU: 22
; AccumOffset: 24
; Occupancy: 8
; WaveLimiterHint : 0
; COMPUTE_PGM_RSRC2:SCRATCH_EN: 0
; COMPUTE_PGM_RSRC2:USER_SGPR: 2
; COMPUTE_PGM_RSRC2:TRAP_HANDLER: 0
; COMPUTE_PGM_RSRC2:TGID_X_EN: 1
; COMPUTE_PGM_RSRC2:TGID_Y_EN: 0
; COMPUTE_PGM_RSRC2:TGID_Z_EN: 0
; COMPUTE_PGM_RSRC2:TIDIG_COMP_CNT: 0
; COMPUTE_PGM_RSRC3_GFX90A:ACCUM_OFFSET: 5
; COMPUTE_PGM_RSRC3_GFX90A:TG_SPLIT: 0
	.section	.text._ZN7rocprim17ROCPRIM_400000_NS6detail17trampoline_kernelINS0_14default_configENS1_38merge_sort_block_merge_config_selectorIlNS0_10empty_typeEEEZZNS1_27merge_sort_block_merge_implIS3_PlPS5_mZN2at6native12_GLOBAL__N_124unique_dim_cuda_templateIdEESt5tupleIJNSA_6TensorESF_SF_EERKSF_lbbbEUlllE_EE10hipError_tT0_T1_T2_jT3_P12ihipStream_tbPNSt15iterator_traitsISL_E10value_typeEPNSR_ISM_E10value_typeEPSN_NS1_7vsmem_tEENKUlT_SL_SM_SN_E_clIS8_S8_S9_S9_EESK_S10_SL_SM_SN_EUlS10_E1_NS1_11comp_targetILNS1_3genE10ELNS1_11target_archE1201ELNS1_3gpuE5ELNS1_3repE0EEENS1_36merge_oddeven_config_static_selectorELNS0_4arch9wavefront6targetE1EEEvSM_,"axG",@progbits,_ZN7rocprim17ROCPRIM_400000_NS6detail17trampoline_kernelINS0_14default_configENS1_38merge_sort_block_merge_config_selectorIlNS0_10empty_typeEEEZZNS1_27merge_sort_block_merge_implIS3_PlPS5_mZN2at6native12_GLOBAL__N_124unique_dim_cuda_templateIdEESt5tupleIJNSA_6TensorESF_SF_EERKSF_lbbbEUlllE_EE10hipError_tT0_T1_T2_jT3_P12ihipStream_tbPNSt15iterator_traitsISL_E10value_typeEPNSR_ISM_E10value_typeEPSN_NS1_7vsmem_tEENKUlT_SL_SM_SN_E_clIS8_S8_S9_S9_EESK_S10_SL_SM_SN_EUlS10_E1_NS1_11comp_targetILNS1_3genE10ELNS1_11target_archE1201ELNS1_3gpuE5ELNS1_3repE0EEENS1_36merge_oddeven_config_static_selectorELNS0_4arch9wavefront6targetE1EEEvSM_,comdat
	.globl	_ZN7rocprim17ROCPRIM_400000_NS6detail17trampoline_kernelINS0_14default_configENS1_38merge_sort_block_merge_config_selectorIlNS0_10empty_typeEEEZZNS1_27merge_sort_block_merge_implIS3_PlPS5_mZN2at6native12_GLOBAL__N_124unique_dim_cuda_templateIdEESt5tupleIJNSA_6TensorESF_SF_EERKSF_lbbbEUlllE_EE10hipError_tT0_T1_T2_jT3_P12ihipStream_tbPNSt15iterator_traitsISL_E10value_typeEPNSR_ISM_E10value_typeEPSN_NS1_7vsmem_tEENKUlT_SL_SM_SN_E_clIS8_S8_S9_S9_EESK_S10_SL_SM_SN_EUlS10_E1_NS1_11comp_targetILNS1_3genE10ELNS1_11target_archE1201ELNS1_3gpuE5ELNS1_3repE0EEENS1_36merge_oddeven_config_static_selectorELNS0_4arch9wavefront6targetE1EEEvSM_ ; -- Begin function _ZN7rocprim17ROCPRIM_400000_NS6detail17trampoline_kernelINS0_14default_configENS1_38merge_sort_block_merge_config_selectorIlNS0_10empty_typeEEEZZNS1_27merge_sort_block_merge_implIS3_PlPS5_mZN2at6native12_GLOBAL__N_124unique_dim_cuda_templateIdEESt5tupleIJNSA_6TensorESF_SF_EERKSF_lbbbEUlllE_EE10hipError_tT0_T1_T2_jT3_P12ihipStream_tbPNSt15iterator_traitsISL_E10value_typeEPNSR_ISM_E10value_typeEPSN_NS1_7vsmem_tEENKUlT_SL_SM_SN_E_clIS8_S8_S9_S9_EESK_S10_SL_SM_SN_EUlS10_E1_NS1_11comp_targetILNS1_3genE10ELNS1_11target_archE1201ELNS1_3gpuE5ELNS1_3repE0EEENS1_36merge_oddeven_config_static_selectorELNS0_4arch9wavefront6targetE1EEEvSM_
	.p2align	8
	.type	_ZN7rocprim17ROCPRIM_400000_NS6detail17trampoline_kernelINS0_14default_configENS1_38merge_sort_block_merge_config_selectorIlNS0_10empty_typeEEEZZNS1_27merge_sort_block_merge_implIS3_PlPS5_mZN2at6native12_GLOBAL__N_124unique_dim_cuda_templateIdEESt5tupleIJNSA_6TensorESF_SF_EERKSF_lbbbEUlllE_EE10hipError_tT0_T1_T2_jT3_P12ihipStream_tbPNSt15iterator_traitsISL_E10value_typeEPNSR_ISM_E10value_typeEPSN_NS1_7vsmem_tEENKUlT_SL_SM_SN_E_clIS8_S8_S9_S9_EESK_S10_SL_SM_SN_EUlS10_E1_NS1_11comp_targetILNS1_3genE10ELNS1_11target_archE1201ELNS1_3gpuE5ELNS1_3repE0EEENS1_36merge_oddeven_config_static_selectorELNS0_4arch9wavefront6targetE1EEEvSM_,@function
_ZN7rocprim17ROCPRIM_400000_NS6detail17trampoline_kernelINS0_14default_configENS1_38merge_sort_block_merge_config_selectorIlNS0_10empty_typeEEEZZNS1_27merge_sort_block_merge_implIS3_PlPS5_mZN2at6native12_GLOBAL__N_124unique_dim_cuda_templateIdEESt5tupleIJNSA_6TensorESF_SF_EERKSF_lbbbEUlllE_EE10hipError_tT0_T1_T2_jT3_P12ihipStream_tbPNSt15iterator_traitsISL_E10value_typeEPNSR_ISM_E10value_typeEPSN_NS1_7vsmem_tEENKUlT_SL_SM_SN_E_clIS8_S8_S9_S9_EESK_S10_SL_SM_SN_EUlS10_E1_NS1_11comp_targetILNS1_3genE10ELNS1_11target_archE1201ELNS1_3gpuE5ELNS1_3repE0EEENS1_36merge_oddeven_config_static_selectorELNS0_4arch9wavefront6targetE1EEEvSM_: ; @_ZN7rocprim17ROCPRIM_400000_NS6detail17trampoline_kernelINS0_14default_configENS1_38merge_sort_block_merge_config_selectorIlNS0_10empty_typeEEEZZNS1_27merge_sort_block_merge_implIS3_PlPS5_mZN2at6native12_GLOBAL__N_124unique_dim_cuda_templateIdEESt5tupleIJNSA_6TensorESF_SF_EERKSF_lbbbEUlllE_EE10hipError_tT0_T1_T2_jT3_P12ihipStream_tbPNSt15iterator_traitsISL_E10value_typeEPNSR_ISM_E10value_typeEPSN_NS1_7vsmem_tEENKUlT_SL_SM_SN_E_clIS8_S8_S9_S9_EESK_S10_SL_SM_SN_EUlS10_E1_NS1_11comp_targetILNS1_3genE10ELNS1_11target_archE1201ELNS1_3gpuE5ELNS1_3repE0EEENS1_36merge_oddeven_config_static_selectorELNS0_4arch9wavefront6targetE1EEEvSM_
; %bb.0:
	.section	.rodata,"a",@progbits
	.p2align	6, 0x0
	.amdhsa_kernel _ZN7rocprim17ROCPRIM_400000_NS6detail17trampoline_kernelINS0_14default_configENS1_38merge_sort_block_merge_config_selectorIlNS0_10empty_typeEEEZZNS1_27merge_sort_block_merge_implIS3_PlPS5_mZN2at6native12_GLOBAL__N_124unique_dim_cuda_templateIdEESt5tupleIJNSA_6TensorESF_SF_EERKSF_lbbbEUlllE_EE10hipError_tT0_T1_T2_jT3_P12ihipStream_tbPNSt15iterator_traitsISL_E10value_typeEPNSR_ISM_E10value_typeEPSN_NS1_7vsmem_tEENKUlT_SL_SM_SN_E_clIS8_S8_S9_S9_EESK_S10_SL_SM_SN_EUlS10_E1_NS1_11comp_targetILNS1_3genE10ELNS1_11target_archE1201ELNS1_3gpuE5ELNS1_3repE0EEENS1_36merge_oddeven_config_static_selectorELNS0_4arch9wavefront6targetE1EEEvSM_
		.amdhsa_group_segment_fixed_size 0
		.amdhsa_private_segment_fixed_size 0
		.amdhsa_kernarg_size 64
		.amdhsa_user_sgpr_count 2
		.amdhsa_user_sgpr_dispatch_ptr 0
		.amdhsa_user_sgpr_queue_ptr 0
		.amdhsa_user_sgpr_kernarg_segment_ptr 1
		.amdhsa_user_sgpr_dispatch_id 0
		.amdhsa_user_sgpr_kernarg_preload_length 0
		.amdhsa_user_sgpr_kernarg_preload_offset 0
		.amdhsa_user_sgpr_private_segment_size 0
		.amdhsa_uses_dynamic_stack 0
		.amdhsa_enable_private_segment 0
		.amdhsa_system_sgpr_workgroup_id_x 1
		.amdhsa_system_sgpr_workgroup_id_y 0
		.amdhsa_system_sgpr_workgroup_id_z 0
		.amdhsa_system_sgpr_workgroup_info 0
		.amdhsa_system_vgpr_workitem_id 0
		.amdhsa_next_free_vgpr 1
		.amdhsa_next_free_sgpr 0
		.amdhsa_accum_offset 4
		.amdhsa_reserve_vcc 0
		.amdhsa_float_round_mode_32 0
		.amdhsa_float_round_mode_16_64 0
		.amdhsa_float_denorm_mode_32 3
		.amdhsa_float_denorm_mode_16_64 3
		.amdhsa_dx10_clamp 1
		.amdhsa_ieee_mode 1
		.amdhsa_fp16_overflow 0
		.amdhsa_tg_split 0
		.amdhsa_exception_fp_ieee_invalid_op 0
		.amdhsa_exception_fp_denorm_src 0
		.amdhsa_exception_fp_ieee_div_zero 0
		.amdhsa_exception_fp_ieee_overflow 0
		.amdhsa_exception_fp_ieee_underflow 0
		.amdhsa_exception_fp_ieee_inexact 0
		.amdhsa_exception_int_div_zero 0
	.end_amdhsa_kernel
	.section	.text._ZN7rocprim17ROCPRIM_400000_NS6detail17trampoline_kernelINS0_14default_configENS1_38merge_sort_block_merge_config_selectorIlNS0_10empty_typeEEEZZNS1_27merge_sort_block_merge_implIS3_PlPS5_mZN2at6native12_GLOBAL__N_124unique_dim_cuda_templateIdEESt5tupleIJNSA_6TensorESF_SF_EERKSF_lbbbEUlllE_EE10hipError_tT0_T1_T2_jT3_P12ihipStream_tbPNSt15iterator_traitsISL_E10value_typeEPNSR_ISM_E10value_typeEPSN_NS1_7vsmem_tEENKUlT_SL_SM_SN_E_clIS8_S8_S9_S9_EESK_S10_SL_SM_SN_EUlS10_E1_NS1_11comp_targetILNS1_3genE10ELNS1_11target_archE1201ELNS1_3gpuE5ELNS1_3repE0EEENS1_36merge_oddeven_config_static_selectorELNS0_4arch9wavefront6targetE1EEEvSM_,"axG",@progbits,_ZN7rocprim17ROCPRIM_400000_NS6detail17trampoline_kernelINS0_14default_configENS1_38merge_sort_block_merge_config_selectorIlNS0_10empty_typeEEEZZNS1_27merge_sort_block_merge_implIS3_PlPS5_mZN2at6native12_GLOBAL__N_124unique_dim_cuda_templateIdEESt5tupleIJNSA_6TensorESF_SF_EERKSF_lbbbEUlllE_EE10hipError_tT0_T1_T2_jT3_P12ihipStream_tbPNSt15iterator_traitsISL_E10value_typeEPNSR_ISM_E10value_typeEPSN_NS1_7vsmem_tEENKUlT_SL_SM_SN_E_clIS8_S8_S9_S9_EESK_S10_SL_SM_SN_EUlS10_E1_NS1_11comp_targetILNS1_3genE10ELNS1_11target_archE1201ELNS1_3gpuE5ELNS1_3repE0EEENS1_36merge_oddeven_config_static_selectorELNS0_4arch9wavefront6targetE1EEEvSM_,comdat
.Lfunc_end775:
	.size	_ZN7rocprim17ROCPRIM_400000_NS6detail17trampoline_kernelINS0_14default_configENS1_38merge_sort_block_merge_config_selectorIlNS0_10empty_typeEEEZZNS1_27merge_sort_block_merge_implIS3_PlPS5_mZN2at6native12_GLOBAL__N_124unique_dim_cuda_templateIdEESt5tupleIJNSA_6TensorESF_SF_EERKSF_lbbbEUlllE_EE10hipError_tT0_T1_T2_jT3_P12ihipStream_tbPNSt15iterator_traitsISL_E10value_typeEPNSR_ISM_E10value_typeEPSN_NS1_7vsmem_tEENKUlT_SL_SM_SN_E_clIS8_S8_S9_S9_EESK_S10_SL_SM_SN_EUlS10_E1_NS1_11comp_targetILNS1_3genE10ELNS1_11target_archE1201ELNS1_3gpuE5ELNS1_3repE0EEENS1_36merge_oddeven_config_static_selectorELNS0_4arch9wavefront6targetE1EEEvSM_, .Lfunc_end775-_ZN7rocprim17ROCPRIM_400000_NS6detail17trampoline_kernelINS0_14default_configENS1_38merge_sort_block_merge_config_selectorIlNS0_10empty_typeEEEZZNS1_27merge_sort_block_merge_implIS3_PlPS5_mZN2at6native12_GLOBAL__N_124unique_dim_cuda_templateIdEESt5tupleIJNSA_6TensorESF_SF_EERKSF_lbbbEUlllE_EE10hipError_tT0_T1_T2_jT3_P12ihipStream_tbPNSt15iterator_traitsISL_E10value_typeEPNSR_ISM_E10value_typeEPSN_NS1_7vsmem_tEENKUlT_SL_SM_SN_E_clIS8_S8_S9_S9_EESK_S10_SL_SM_SN_EUlS10_E1_NS1_11comp_targetILNS1_3genE10ELNS1_11target_archE1201ELNS1_3gpuE5ELNS1_3repE0EEENS1_36merge_oddeven_config_static_selectorELNS0_4arch9wavefront6targetE1EEEvSM_
                                        ; -- End function
	.set _ZN7rocprim17ROCPRIM_400000_NS6detail17trampoline_kernelINS0_14default_configENS1_38merge_sort_block_merge_config_selectorIlNS0_10empty_typeEEEZZNS1_27merge_sort_block_merge_implIS3_PlPS5_mZN2at6native12_GLOBAL__N_124unique_dim_cuda_templateIdEESt5tupleIJNSA_6TensorESF_SF_EERKSF_lbbbEUlllE_EE10hipError_tT0_T1_T2_jT3_P12ihipStream_tbPNSt15iterator_traitsISL_E10value_typeEPNSR_ISM_E10value_typeEPSN_NS1_7vsmem_tEENKUlT_SL_SM_SN_E_clIS8_S8_S9_S9_EESK_S10_SL_SM_SN_EUlS10_E1_NS1_11comp_targetILNS1_3genE10ELNS1_11target_archE1201ELNS1_3gpuE5ELNS1_3repE0EEENS1_36merge_oddeven_config_static_selectorELNS0_4arch9wavefront6targetE1EEEvSM_.num_vgpr, 0
	.set _ZN7rocprim17ROCPRIM_400000_NS6detail17trampoline_kernelINS0_14default_configENS1_38merge_sort_block_merge_config_selectorIlNS0_10empty_typeEEEZZNS1_27merge_sort_block_merge_implIS3_PlPS5_mZN2at6native12_GLOBAL__N_124unique_dim_cuda_templateIdEESt5tupleIJNSA_6TensorESF_SF_EERKSF_lbbbEUlllE_EE10hipError_tT0_T1_T2_jT3_P12ihipStream_tbPNSt15iterator_traitsISL_E10value_typeEPNSR_ISM_E10value_typeEPSN_NS1_7vsmem_tEENKUlT_SL_SM_SN_E_clIS8_S8_S9_S9_EESK_S10_SL_SM_SN_EUlS10_E1_NS1_11comp_targetILNS1_3genE10ELNS1_11target_archE1201ELNS1_3gpuE5ELNS1_3repE0EEENS1_36merge_oddeven_config_static_selectorELNS0_4arch9wavefront6targetE1EEEvSM_.num_agpr, 0
	.set _ZN7rocprim17ROCPRIM_400000_NS6detail17trampoline_kernelINS0_14default_configENS1_38merge_sort_block_merge_config_selectorIlNS0_10empty_typeEEEZZNS1_27merge_sort_block_merge_implIS3_PlPS5_mZN2at6native12_GLOBAL__N_124unique_dim_cuda_templateIdEESt5tupleIJNSA_6TensorESF_SF_EERKSF_lbbbEUlllE_EE10hipError_tT0_T1_T2_jT3_P12ihipStream_tbPNSt15iterator_traitsISL_E10value_typeEPNSR_ISM_E10value_typeEPSN_NS1_7vsmem_tEENKUlT_SL_SM_SN_E_clIS8_S8_S9_S9_EESK_S10_SL_SM_SN_EUlS10_E1_NS1_11comp_targetILNS1_3genE10ELNS1_11target_archE1201ELNS1_3gpuE5ELNS1_3repE0EEENS1_36merge_oddeven_config_static_selectorELNS0_4arch9wavefront6targetE1EEEvSM_.numbered_sgpr, 0
	.set _ZN7rocprim17ROCPRIM_400000_NS6detail17trampoline_kernelINS0_14default_configENS1_38merge_sort_block_merge_config_selectorIlNS0_10empty_typeEEEZZNS1_27merge_sort_block_merge_implIS3_PlPS5_mZN2at6native12_GLOBAL__N_124unique_dim_cuda_templateIdEESt5tupleIJNSA_6TensorESF_SF_EERKSF_lbbbEUlllE_EE10hipError_tT0_T1_T2_jT3_P12ihipStream_tbPNSt15iterator_traitsISL_E10value_typeEPNSR_ISM_E10value_typeEPSN_NS1_7vsmem_tEENKUlT_SL_SM_SN_E_clIS8_S8_S9_S9_EESK_S10_SL_SM_SN_EUlS10_E1_NS1_11comp_targetILNS1_3genE10ELNS1_11target_archE1201ELNS1_3gpuE5ELNS1_3repE0EEENS1_36merge_oddeven_config_static_selectorELNS0_4arch9wavefront6targetE1EEEvSM_.num_named_barrier, 0
	.set _ZN7rocprim17ROCPRIM_400000_NS6detail17trampoline_kernelINS0_14default_configENS1_38merge_sort_block_merge_config_selectorIlNS0_10empty_typeEEEZZNS1_27merge_sort_block_merge_implIS3_PlPS5_mZN2at6native12_GLOBAL__N_124unique_dim_cuda_templateIdEESt5tupleIJNSA_6TensorESF_SF_EERKSF_lbbbEUlllE_EE10hipError_tT0_T1_T2_jT3_P12ihipStream_tbPNSt15iterator_traitsISL_E10value_typeEPNSR_ISM_E10value_typeEPSN_NS1_7vsmem_tEENKUlT_SL_SM_SN_E_clIS8_S8_S9_S9_EESK_S10_SL_SM_SN_EUlS10_E1_NS1_11comp_targetILNS1_3genE10ELNS1_11target_archE1201ELNS1_3gpuE5ELNS1_3repE0EEENS1_36merge_oddeven_config_static_selectorELNS0_4arch9wavefront6targetE1EEEvSM_.private_seg_size, 0
	.set _ZN7rocprim17ROCPRIM_400000_NS6detail17trampoline_kernelINS0_14default_configENS1_38merge_sort_block_merge_config_selectorIlNS0_10empty_typeEEEZZNS1_27merge_sort_block_merge_implIS3_PlPS5_mZN2at6native12_GLOBAL__N_124unique_dim_cuda_templateIdEESt5tupleIJNSA_6TensorESF_SF_EERKSF_lbbbEUlllE_EE10hipError_tT0_T1_T2_jT3_P12ihipStream_tbPNSt15iterator_traitsISL_E10value_typeEPNSR_ISM_E10value_typeEPSN_NS1_7vsmem_tEENKUlT_SL_SM_SN_E_clIS8_S8_S9_S9_EESK_S10_SL_SM_SN_EUlS10_E1_NS1_11comp_targetILNS1_3genE10ELNS1_11target_archE1201ELNS1_3gpuE5ELNS1_3repE0EEENS1_36merge_oddeven_config_static_selectorELNS0_4arch9wavefront6targetE1EEEvSM_.uses_vcc, 0
	.set _ZN7rocprim17ROCPRIM_400000_NS6detail17trampoline_kernelINS0_14default_configENS1_38merge_sort_block_merge_config_selectorIlNS0_10empty_typeEEEZZNS1_27merge_sort_block_merge_implIS3_PlPS5_mZN2at6native12_GLOBAL__N_124unique_dim_cuda_templateIdEESt5tupleIJNSA_6TensorESF_SF_EERKSF_lbbbEUlllE_EE10hipError_tT0_T1_T2_jT3_P12ihipStream_tbPNSt15iterator_traitsISL_E10value_typeEPNSR_ISM_E10value_typeEPSN_NS1_7vsmem_tEENKUlT_SL_SM_SN_E_clIS8_S8_S9_S9_EESK_S10_SL_SM_SN_EUlS10_E1_NS1_11comp_targetILNS1_3genE10ELNS1_11target_archE1201ELNS1_3gpuE5ELNS1_3repE0EEENS1_36merge_oddeven_config_static_selectorELNS0_4arch9wavefront6targetE1EEEvSM_.uses_flat_scratch, 0
	.set _ZN7rocprim17ROCPRIM_400000_NS6detail17trampoline_kernelINS0_14default_configENS1_38merge_sort_block_merge_config_selectorIlNS0_10empty_typeEEEZZNS1_27merge_sort_block_merge_implIS3_PlPS5_mZN2at6native12_GLOBAL__N_124unique_dim_cuda_templateIdEESt5tupleIJNSA_6TensorESF_SF_EERKSF_lbbbEUlllE_EE10hipError_tT0_T1_T2_jT3_P12ihipStream_tbPNSt15iterator_traitsISL_E10value_typeEPNSR_ISM_E10value_typeEPSN_NS1_7vsmem_tEENKUlT_SL_SM_SN_E_clIS8_S8_S9_S9_EESK_S10_SL_SM_SN_EUlS10_E1_NS1_11comp_targetILNS1_3genE10ELNS1_11target_archE1201ELNS1_3gpuE5ELNS1_3repE0EEENS1_36merge_oddeven_config_static_selectorELNS0_4arch9wavefront6targetE1EEEvSM_.has_dyn_sized_stack, 0
	.set _ZN7rocprim17ROCPRIM_400000_NS6detail17trampoline_kernelINS0_14default_configENS1_38merge_sort_block_merge_config_selectorIlNS0_10empty_typeEEEZZNS1_27merge_sort_block_merge_implIS3_PlPS5_mZN2at6native12_GLOBAL__N_124unique_dim_cuda_templateIdEESt5tupleIJNSA_6TensorESF_SF_EERKSF_lbbbEUlllE_EE10hipError_tT0_T1_T2_jT3_P12ihipStream_tbPNSt15iterator_traitsISL_E10value_typeEPNSR_ISM_E10value_typeEPSN_NS1_7vsmem_tEENKUlT_SL_SM_SN_E_clIS8_S8_S9_S9_EESK_S10_SL_SM_SN_EUlS10_E1_NS1_11comp_targetILNS1_3genE10ELNS1_11target_archE1201ELNS1_3gpuE5ELNS1_3repE0EEENS1_36merge_oddeven_config_static_selectorELNS0_4arch9wavefront6targetE1EEEvSM_.has_recursion, 0
	.set _ZN7rocprim17ROCPRIM_400000_NS6detail17trampoline_kernelINS0_14default_configENS1_38merge_sort_block_merge_config_selectorIlNS0_10empty_typeEEEZZNS1_27merge_sort_block_merge_implIS3_PlPS5_mZN2at6native12_GLOBAL__N_124unique_dim_cuda_templateIdEESt5tupleIJNSA_6TensorESF_SF_EERKSF_lbbbEUlllE_EE10hipError_tT0_T1_T2_jT3_P12ihipStream_tbPNSt15iterator_traitsISL_E10value_typeEPNSR_ISM_E10value_typeEPSN_NS1_7vsmem_tEENKUlT_SL_SM_SN_E_clIS8_S8_S9_S9_EESK_S10_SL_SM_SN_EUlS10_E1_NS1_11comp_targetILNS1_3genE10ELNS1_11target_archE1201ELNS1_3gpuE5ELNS1_3repE0EEENS1_36merge_oddeven_config_static_selectorELNS0_4arch9wavefront6targetE1EEEvSM_.has_indirect_call, 0
	.section	.AMDGPU.csdata,"",@progbits
; Kernel info:
; codeLenInByte = 0
; TotalNumSgprs: 6
; NumVgprs: 0
; NumAgprs: 0
; TotalNumVgprs: 0
; ScratchSize: 0
; MemoryBound: 0
; FloatMode: 240
; IeeeMode: 1
; LDSByteSize: 0 bytes/workgroup (compile time only)
; SGPRBlocks: 0
; VGPRBlocks: 0
; NumSGPRsForWavesPerEU: 6
; NumVGPRsForWavesPerEU: 1
; AccumOffset: 4
; Occupancy: 8
; WaveLimiterHint : 0
; COMPUTE_PGM_RSRC2:SCRATCH_EN: 0
; COMPUTE_PGM_RSRC2:USER_SGPR: 2
; COMPUTE_PGM_RSRC2:TRAP_HANDLER: 0
; COMPUTE_PGM_RSRC2:TGID_X_EN: 1
; COMPUTE_PGM_RSRC2:TGID_Y_EN: 0
; COMPUTE_PGM_RSRC2:TGID_Z_EN: 0
; COMPUTE_PGM_RSRC2:TIDIG_COMP_CNT: 0
; COMPUTE_PGM_RSRC3_GFX90A:ACCUM_OFFSET: 0
; COMPUTE_PGM_RSRC3_GFX90A:TG_SPLIT: 0
	.section	.text._ZN7rocprim17ROCPRIM_400000_NS6detail17trampoline_kernelINS0_14default_configENS1_38merge_sort_block_merge_config_selectorIlNS0_10empty_typeEEEZZNS1_27merge_sort_block_merge_implIS3_PlPS5_mZN2at6native12_GLOBAL__N_124unique_dim_cuda_templateIdEESt5tupleIJNSA_6TensorESF_SF_EERKSF_lbbbEUlllE_EE10hipError_tT0_T1_T2_jT3_P12ihipStream_tbPNSt15iterator_traitsISL_E10value_typeEPNSR_ISM_E10value_typeEPSN_NS1_7vsmem_tEENKUlT_SL_SM_SN_E_clIS8_S8_S9_S9_EESK_S10_SL_SM_SN_EUlS10_E1_NS1_11comp_targetILNS1_3genE5ELNS1_11target_archE942ELNS1_3gpuE9ELNS1_3repE0EEENS1_36merge_oddeven_config_static_selectorELNS0_4arch9wavefront6targetE1EEEvSM_,"axG",@progbits,_ZN7rocprim17ROCPRIM_400000_NS6detail17trampoline_kernelINS0_14default_configENS1_38merge_sort_block_merge_config_selectorIlNS0_10empty_typeEEEZZNS1_27merge_sort_block_merge_implIS3_PlPS5_mZN2at6native12_GLOBAL__N_124unique_dim_cuda_templateIdEESt5tupleIJNSA_6TensorESF_SF_EERKSF_lbbbEUlllE_EE10hipError_tT0_T1_T2_jT3_P12ihipStream_tbPNSt15iterator_traitsISL_E10value_typeEPNSR_ISM_E10value_typeEPSN_NS1_7vsmem_tEENKUlT_SL_SM_SN_E_clIS8_S8_S9_S9_EESK_S10_SL_SM_SN_EUlS10_E1_NS1_11comp_targetILNS1_3genE5ELNS1_11target_archE942ELNS1_3gpuE9ELNS1_3repE0EEENS1_36merge_oddeven_config_static_selectorELNS0_4arch9wavefront6targetE1EEEvSM_,comdat
	.globl	_ZN7rocprim17ROCPRIM_400000_NS6detail17trampoline_kernelINS0_14default_configENS1_38merge_sort_block_merge_config_selectorIlNS0_10empty_typeEEEZZNS1_27merge_sort_block_merge_implIS3_PlPS5_mZN2at6native12_GLOBAL__N_124unique_dim_cuda_templateIdEESt5tupleIJNSA_6TensorESF_SF_EERKSF_lbbbEUlllE_EE10hipError_tT0_T1_T2_jT3_P12ihipStream_tbPNSt15iterator_traitsISL_E10value_typeEPNSR_ISM_E10value_typeEPSN_NS1_7vsmem_tEENKUlT_SL_SM_SN_E_clIS8_S8_S9_S9_EESK_S10_SL_SM_SN_EUlS10_E1_NS1_11comp_targetILNS1_3genE5ELNS1_11target_archE942ELNS1_3gpuE9ELNS1_3repE0EEENS1_36merge_oddeven_config_static_selectorELNS0_4arch9wavefront6targetE1EEEvSM_ ; -- Begin function _ZN7rocprim17ROCPRIM_400000_NS6detail17trampoline_kernelINS0_14default_configENS1_38merge_sort_block_merge_config_selectorIlNS0_10empty_typeEEEZZNS1_27merge_sort_block_merge_implIS3_PlPS5_mZN2at6native12_GLOBAL__N_124unique_dim_cuda_templateIdEESt5tupleIJNSA_6TensorESF_SF_EERKSF_lbbbEUlllE_EE10hipError_tT0_T1_T2_jT3_P12ihipStream_tbPNSt15iterator_traitsISL_E10value_typeEPNSR_ISM_E10value_typeEPSN_NS1_7vsmem_tEENKUlT_SL_SM_SN_E_clIS8_S8_S9_S9_EESK_S10_SL_SM_SN_EUlS10_E1_NS1_11comp_targetILNS1_3genE5ELNS1_11target_archE942ELNS1_3gpuE9ELNS1_3repE0EEENS1_36merge_oddeven_config_static_selectorELNS0_4arch9wavefront6targetE1EEEvSM_
	.p2align	8
	.type	_ZN7rocprim17ROCPRIM_400000_NS6detail17trampoline_kernelINS0_14default_configENS1_38merge_sort_block_merge_config_selectorIlNS0_10empty_typeEEEZZNS1_27merge_sort_block_merge_implIS3_PlPS5_mZN2at6native12_GLOBAL__N_124unique_dim_cuda_templateIdEESt5tupleIJNSA_6TensorESF_SF_EERKSF_lbbbEUlllE_EE10hipError_tT0_T1_T2_jT3_P12ihipStream_tbPNSt15iterator_traitsISL_E10value_typeEPNSR_ISM_E10value_typeEPSN_NS1_7vsmem_tEENKUlT_SL_SM_SN_E_clIS8_S8_S9_S9_EESK_S10_SL_SM_SN_EUlS10_E1_NS1_11comp_targetILNS1_3genE5ELNS1_11target_archE942ELNS1_3gpuE9ELNS1_3repE0EEENS1_36merge_oddeven_config_static_selectorELNS0_4arch9wavefront6targetE1EEEvSM_,@function
_ZN7rocprim17ROCPRIM_400000_NS6detail17trampoline_kernelINS0_14default_configENS1_38merge_sort_block_merge_config_selectorIlNS0_10empty_typeEEEZZNS1_27merge_sort_block_merge_implIS3_PlPS5_mZN2at6native12_GLOBAL__N_124unique_dim_cuda_templateIdEESt5tupleIJNSA_6TensorESF_SF_EERKSF_lbbbEUlllE_EE10hipError_tT0_T1_T2_jT3_P12ihipStream_tbPNSt15iterator_traitsISL_E10value_typeEPNSR_ISM_E10value_typeEPSN_NS1_7vsmem_tEENKUlT_SL_SM_SN_E_clIS8_S8_S9_S9_EESK_S10_SL_SM_SN_EUlS10_E1_NS1_11comp_targetILNS1_3genE5ELNS1_11target_archE942ELNS1_3gpuE9ELNS1_3repE0EEENS1_36merge_oddeven_config_static_selectorELNS0_4arch9wavefront6targetE1EEEvSM_: ; @_ZN7rocprim17ROCPRIM_400000_NS6detail17trampoline_kernelINS0_14default_configENS1_38merge_sort_block_merge_config_selectorIlNS0_10empty_typeEEEZZNS1_27merge_sort_block_merge_implIS3_PlPS5_mZN2at6native12_GLOBAL__N_124unique_dim_cuda_templateIdEESt5tupleIJNSA_6TensorESF_SF_EERKSF_lbbbEUlllE_EE10hipError_tT0_T1_T2_jT3_P12ihipStream_tbPNSt15iterator_traitsISL_E10value_typeEPNSR_ISM_E10value_typeEPSN_NS1_7vsmem_tEENKUlT_SL_SM_SN_E_clIS8_S8_S9_S9_EESK_S10_SL_SM_SN_EUlS10_E1_NS1_11comp_targetILNS1_3genE5ELNS1_11target_archE942ELNS1_3gpuE9ELNS1_3repE0EEENS1_36merge_oddeven_config_static_selectorELNS0_4arch9wavefront6targetE1EEEvSM_
; %bb.0:
	.section	.rodata,"a",@progbits
	.p2align	6, 0x0
	.amdhsa_kernel _ZN7rocprim17ROCPRIM_400000_NS6detail17trampoline_kernelINS0_14default_configENS1_38merge_sort_block_merge_config_selectorIlNS0_10empty_typeEEEZZNS1_27merge_sort_block_merge_implIS3_PlPS5_mZN2at6native12_GLOBAL__N_124unique_dim_cuda_templateIdEESt5tupleIJNSA_6TensorESF_SF_EERKSF_lbbbEUlllE_EE10hipError_tT0_T1_T2_jT3_P12ihipStream_tbPNSt15iterator_traitsISL_E10value_typeEPNSR_ISM_E10value_typeEPSN_NS1_7vsmem_tEENKUlT_SL_SM_SN_E_clIS8_S8_S9_S9_EESK_S10_SL_SM_SN_EUlS10_E1_NS1_11comp_targetILNS1_3genE5ELNS1_11target_archE942ELNS1_3gpuE9ELNS1_3repE0EEENS1_36merge_oddeven_config_static_selectorELNS0_4arch9wavefront6targetE1EEEvSM_
		.amdhsa_group_segment_fixed_size 0
		.amdhsa_private_segment_fixed_size 0
		.amdhsa_kernarg_size 64
		.amdhsa_user_sgpr_count 2
		.amdhsa_user_sgpr_dispatch_ptr 0
		.amdhsa_user_sgpr_queue_ptr 0
		.amdhsa_user_sgpr_kernarg_segment_ptr 1
		.amdhsa_user_sgpr_dispatch_id 0
		.amdhsa_user_sgpr_kernarg_preload_length 0
		.amdhsa_user_sgpr_kernarg_preload_offset 0
		.amdhsa_user_sgpr_private_segment_size 0
		.amdhsa_uses_dynamic_stack 0
		.amdhsa_enable_private_segment 0
		.amdhsa_system_sgpr_workgroup_id_x 1
		.amdhsa_system_sgpr_workgroup_id_y 0
		.amdhsa_system_sgpr_workgroup_id_z 0
		.amdhsa_system_sgpr_workgroup_info 0
		.amdhsa_system_vgpr_workitem_id 0
		.amdhsa_next_free_vgpr 1
		.amdhsa_next_free_sgpr 0
		.amdhsa_accum_offset 4
		.amdhsa_reserve_vcc 0
		.amdhsa_float_round_mode_32 0
		.amdhsa_float_round_mode_16_64 0
		.amdhsa_float_denorm_mode_32 3
		.amdhsa_float_denorm_mode_16_64 3
		.amdhsa_dx10_clamp 1
		.amdhsa_ieee_mode 1
		.amdhsa_fp16_overflow 0
		.amdhsa_tg_split 0
		.amdhsa_exception_fp_ieee_invalid_op 0
		.amdhsa_exception_fp_denorm_src 0
		.amdhsa_exception_fp_ieee_div_zero 0
		.amdhsa_exception_fp_ieee_overflow 0
		.amdhsa_exception_fp_ieee_underflow 0
		.amdhsa_exception_fp_ieee_inexact 0
		.amdhsa_exception_int_div_zero 0
	.end_amdhsa_kernel
	.section	.text._ZN7rocprim17ROCPRIM_400000_NS6detail17trampoline_kernelINS0_14default_configENS1_38merge_sort_block_merge_config_selectorIlNS0_10empty_typeEEEZZNS1_27merge_sort_block_merge_implIS3_PlPS5_mZN2at6native12_GLOBAL__N_124unique_dim_cuda_templateIdEESt5tupleIJNSA_6TensorESF_SF_EERKSF_lbbbEUlllE_EE10hipError_tT0_T1_T2_jT3_P12ihipStream_tbPNSt15iterator_traitsISL_E10value_typeEPNSR_ISM_E10value_typeEPSN_NS1_7vsmem_tEENKUlT_SL_SM_SN_E_clIS8_S8_S9_S9_EESK_S10_SL_SM_SN_EUlS10_E1_NS1_11comp_targetILNS1_3genE5ELNS1_11target_archE942ELNS1_3gpuE9ELNS1_3repE0EEENS1_36merge_oddeven_config_static_selectorELNS0_4arch9wavefront6targetE1EEEvSM_,"axG",@progbits,_ZN7rocprim17ROCPRIM_400000_NS6detail17trampoline_kernelINS0_14default_configENS1_38merge_sort_block_merge_config_selectorIlNS0_10empty_typeEEEZZNS1_27merge_sort_block_merge_implIS3_PlPS5_mZN2at6native12_GLOBAL__N_124unique_dim_cuda_templateIdEESt5tupleIJNSA_6TensorESF_SF_EERKSF_lbbbEUlllE_EE10hipError_tT0_T1_T2_jT3_P12ihipStream_tbPNSt15iterator_traitsISL_E10value_typeEPNSR_ISM_E10value_typeEPSN_NS1_7vsmem_tEENKUlT_SL_SM_SN_E_clIS8_S8_S9_S9_EESK_S10_SL_SM_SN_EUlS10_E1_NS1_11comp_targetILNS1_3genE5ELNS1_11target_archE942ELNS1_3gpuE9ELNS1_3repE0EEENS1_36merge_oddeven_config_static_selectorELNS0_4arch9wavefront6targetE1EEEvSM_,comdat
.Lfunc_end776:
	.size	_ZN7rocprim17ROCPRIM_400000_NS6detail17trampoline_kernelINS0_14default_configENS1_38merge_sort_block_merge_config_selectorIlNS0_10empty_typeEEEZZNS1_27merge_sort_block_merge_implIS3_PlPS5_mZN2at6native12_GLOBAL__N_124unique_dim_cuda_templateIdEESt5tupleIJNSA_6TensorESF_SF_EERKSF_lbbbEUlllE_EE10hipError_tT0_T1_T2_jT3_P12ihipStream_tbPNSt15iterator_traitsISL_E10value_typeEPNSR_ISM_E10value_typeEPSN_NS1_7vsmem_tEENKUlT_SL_SM_SN_E_clIS8_S8_S9_S9_EESK_S10_SL_SM_SN_EUlS10_E1_NS1_11comp_targetILNS1_3genE5ELNS1_11target_archE942ELNS1_3gpuE9ELNS1_3repE0EEENS1_36merge_oddeven_config_static_selectorELNS0_4arch9wavefront6targetE1EEEvSM_, .Lfunc_end776-_ZN7rocprim17ROCPRIM_400000_NS6detail17trampoline_kernelINS0_14default_configENS1_38merge_sort_block_merge_config_selectorIlNS0_10empty_typeEEEZZNS1_27merge_sort_block_merge_implIS3_PlPS5_mZN2at6native12_GLOBAL__N_124unique_dim_cuda_templateIdEESt5tupleIJNSA_6TensorESF_SF_EERKSF_lbbbEUlllE_EE10hipError_tT0_T1_T2_jT3_P12ihipStream_tbPNSt15iterator_traitsISL_E10value_typeEPNSR_ISM_E10value_typeEPSN_NS1_7vsmem_tEENKUlT_SL_SM_SN_E_clIS8_S8_S9_S9_EESK_S10_SL_SM_SN_EUlS10_E1_NS1_11comp_targetILNS1_3genE5ELNS1_11target_archE942ELNS1_3gpuE9ELNS1_3repE0EEENS1_36merge_oddeven_config_static_selectorELNS0_4arch9wavefront6targetE1EEEvSM_
                                        ; -- End function
	.set _ZN7rocprim17ROCPRIM_400000_NS6detail17trampoline_kernelINS0_14default_configENS1_38merge_sort_block_merge_config_selectorIlNS0_10empty_typeEEEZZNS1_27merge_sort_block_merge_implIS3_PlPS5_mZN2at6native12_GLOBAL__N_124unique_dim_cuda_templateIdEESt5tupleIJNSA_6TensorESF_SF_EERKSF_lbbbEUlllE_EE10hipError_tT0_T1_T2_jT3_P12ihipStream_tbPNSt15iterator_traitsISL_E10value_typeEPNSR_ISM_E10value_typeEPSN_NS1_7vsmem_tEENKUlT_SL_SM_SN_E_clIS8_S8_S9_S9_EESK_S10_SL_SM_SN_EUlS10_E1_NS1_11comp_targetILNS1_3genE5ELNS1_11target_archE942ELNS1_3gpuE9ELNS1_3repE0EEENS1_36merge_oddeven_config_static_selectorELNS0_4arch9wavefront6targetE1EEEvSM_.num_vgpr, 0
	.set _ZN7rocprim17ROCPRIM_400000_NS6detail17trampoline_kernelINS0_14default_configENS1_38merge_sort_block_merge_config_selectorIlNS0_10empty_typeEEEZZNS1_27merge_sort_block_merge_implIS3_PlPS5_mZN2at6native12_GLOBAL__N_124unique_dim_cuda_templateIdEESt5tupleIJNSA_6TensorESF_SF_EERKSF_lbbbEUlllE_EE10hipError_tT0_T1_T2_jT3_P12ihipStream_tbPNSt15iterator_traitsISL_E10value_typeEPNSR_ISM_E10value_typeEPSN_NS1_7vsmem_tEENKUlT_SL_SM_SN_E_clIS8_S8_S9_S9_EESK_S10_SL_SM_SN_EUlS10_E1_NS1_11comp_targetILNS1_3genE5ELNS1_11target_archE942ELNS1_3gpuE9ELNS1_3repE0EEENS1_36merge_oddeven_config_static_selectorELNS0_4arch9wavefront6targetE1EEEvSM_.num_agpr, 0
	.set _ZN7rocprim17ROCPRIM_400000_NS6detail17trampoline_kernelINS0_14default_configENS1_38merge_sort_block_merge_config_selectorIlNS0_10empty_typeEEEZZNS1_27merge_sort_block_merge_implIS3_PlPS5_mZN2at6native12_GLOBAL__N_124unique_dim_cuda_templateIdEESt5tupleIJNSA_6TensorESF_SF_EERKSF_lbbbEUlllE_EE10hipError_tT0_T1_T2_jT3_P12ihipStream_tbPNSt15iterator_traitsISL_E10value_typeEPNSR_ISM_E10value_typeEPSN_NS1_7vsmem_tEENKUlT_SL_SM_SN_E_clIS8_S8_S9_S9_EESK_S10_SL_SM_SN_EUlS10_E1_NS1_11comp_targetILNS1_3genE5ELNS1_11target_archE942ELNS1_3gpuE9ELNS1_3repE0EEENS1_36merge_oddeven_config_static_selectorELNS0_4arch9wavefront6targetE1EEEvSM_.numbered_sgpr, 0
	.set _ZN7rocprim17ROCPRIM_400000_NS6detail17trampoline_kernelINS0_14default_configENS1_38merge_sort_block_merge_config_selectorIlNS0_10empty_typeEEEZZNS1_27merge_sort_block_merge_implIS3_PlPS5_mZN2at6native12_GLOBAL__N_124unique_dim_cuda_templateIdEESt5tupleIJNSA_6TensorESF_SF_EERKSF_lbbbEUlllE_EE10hipError_tT0_T1_T2_jT3_P12ihipStream_tbPNSt15iterator_traitsISL_E10value_typeEPNSR_ISM_E10value_typeEPSN_NS1_7vsmem_tEENKUlT_SL_SM_SN_E_clIS8_S8_S9_S9_EESK_S10_SL_SM_SN_EUlS10_E1_NS1_11comp_targetILNS1_3genE5ELNS1_11target_archE942ELNS1_3gpuE9ELNS1_3repE0EEENS1_36merge_oddeven_config_static_selectorELNS0_4arch9wavefront6targetE1EEEvSM_.num_named_barrier, 0
	.set _ZN7rocprim17ROCPRIM_400000_NS6detail17trampoline_kernelINS0_14default_configENS1_38merge_sort_block_merge_config_selectorIlNS0_10empty_typeEEEZZNS1_27merge_sort_block_merge_implIS3_PlPS5_mZN2at6native12_GLOBAL__N_124unique_dim_cuda_templateIdEESt5tupleIJNSA_6TensorESF_SF_EERKSF_lbbbEUlllE_EE10hipError_tT0_T1_T2_jT3_P12ihipStream_tbPNSt15iterator_traitsISL_E10value_typeEPNSR_ISM_E10value_typeEPSN_NS1_7vsmem_tEENKUlT_SL_SM_SN_E_clIS8_S8_S9_S9_EESK_S10_SL_SM_SN_EUlS10_E1_NS1_11comp_targetILNS1_3genE5ELNS1_11target_archE942ELNS1_3gpuE9ELNS1_3repE0EEENS1_36merge_oddeven_config_static_selectorELNS0_4arch9wavefront6targetE1EEEvSM_.private_seg_size, 0
	.set _ZN7rocprim17ROCPRIM_400000_NS6detail17trampoline_kernelINS0_14default_configENS1_38merge_sort_block_merge_config_selectorIlNS0_10empty_typeEEEZZNS1_27merge_sort_block_merge_implIS3_PlPS5_mZN2at6native12_GLOBAL__N_124unique_dim_cuda_templateIdEESt5tupleIJNSA_6TensorESF_SF_EERKSF_lbbbEUlllE_EE10hipError_tT0_T1_T2_jT3_P12ihipStream_tbPNSt15iterator_traitsISL_E10value_typeEPNSR_ISM_E10value_typeEPSN_NS1_7vsmem_tEENKUlT_SL_SM_SN_E_clIS8_S8_S9_S9_EESK_S10_SL_SM_SN_EUlS10_E1_NS1_11comp_targetILNS1_3genE5ELNS1_11target_archE942ELNS1_3gpuE9ELNS1_3repE0EEENS1_36merge_oddeven_config_static_selectorELNS0_4arch9wavefront6targetE1EEEvSM_.uses_vcc, 0
	.set _ZN7rocprim17ROCPRIM_400000_NS6detail17trampoline_kernelINS0_14default_configENS1_38merge_sort_block_merge_config_selectorIlNS0_10empty_typeEEEZZNS1_27merge_sort_block_merge_implIS3_PlPS5_mZN2at6native12_GLOBAL__N_124unique_dim_cuda_templateIdEESt5tupleIJNSA_6TensorESF_SF_EERKSF_lbbbEUlllE_EE10hipError_tT0_T1_T2_jT3_P12ihipStream_tbPNSt15iterator_traitsISL_E10value_typeEPNSR_ISM_E10value_typeEPSN_NS1_7vsmem_tEENKUlT_SL_SM_SN_E_clIS8_S8_S9_S9_EESK_S10_SL_SM_SN_EUlS10_E1_NS1_11comp_targetILNS1_3genE5ELNS1_11target_archE942ELNS1_3gpuE9ELNS1_3repE0EEENS1_36merge_oddeven_config_static_selectorELNS0_4arch9wavefront6targetE1EEEvSM_.uses_flat_scratch, 0
	.set _ZN7rocprim17ROCPRIM_400000_NS6detail17trampoline_kernelINS0_14default_configENS1_38merge_sort_block_merge_config_selectorIlNS0_10empty_typeEEEZZNS1_27merge_sort_block_merge_implIS3_PlPS5_mZN2at6native12_GLOBAL__N_124unique_dim_cuda_templateIdEESt5tupleIJNSA_6TensorESF_SF_EERKSF_lbbbEUlllE_EE10hipError_tT0_T1_T2_jT3_P12ihipStream_tbPNSt15iterator_traitsISL_E10value_typeEPNSR_ISM_E10value_typeEPSN_NS1_7vsmem_tEENKUlT_SL_SM_SN_E_clIS8_S8_S9_S9_EESK_S10_SL_SM_SN_EUlS10_E1_NS1_11comp_targetILNS1_3genE5ELNS1_11target_archE942ELNS1_3gpuE9ELNS1_3repE0EEENS1_36merge_oddeven_config_static_selectorELNS0_4arch9wavefront6targetE1EEEvSM_.has_dyn_sized_stack, 0
	.set _ZN7rocprim17ROCPRIM_400000_NS6detail17trampoline_kernelINS0_14default_configENS1_38merge_sort_block_merge_config_selectorIlNS0_10empty_typeEEEZZNS1_27merge_sort_block_merge_implIS3_PlPS5_mZN2at6native12_GLOBAL__N_124unique_dim_cuda_templateIdEESt5tupleIJNSA_6TensorESF_SF_EERKSF_lbbbEUlllE_EE10hipError_tT0_T1_T2_jT3_P12ihipStream_tbPNSt15iterator_traitsISL_E10value_typeEPNSR_ISM_E10value_typeEPSN_NS1_7vsmem_tEENKUlT_SL_SM_SN_E_clIS8_S8_S9_S9_EESK_S10_SL_SM_SN_EUlS10_E1_NS1_11comp_targetILNS1_3genE5ELNS1_11target_archE942ELNS1_3gpuE9ELNS1_3repE0EEENS1_36merge_oddeven_config_static_selectorELNS0_4arch9wavefront6targetE1EEEvSM_.has_recursion, 0
	.set _ZN7rocprim17ROCPRIM_400000_NS6detail17trampoline_kernelINS0_14default_configENS1_38merge_sort_block_merge_config_selectorIlNS0_10empty_typeEEEZZNS1_27merge_sort_block_merge_implIS3_PlPS5_mZN2at6native12_GLOBAL__N_124unique_dim_cuda_templateIdEESt5tupleIJNSA_6TensorESF_SF_EERKSF_lbbbEUlllE_EE10hipError_tT0_T1_T2_jT3_P12ihipStream_tbPNSt15iterator_traitsISL_E10value_typeEPNSR_ISM_E10value_typeEPSN_NS1_7vsmem_tEENKUlT_SL_SM_SN_E_clIS8_S8_S9_S9_EESK_S10_SL_SM_SN_EUlS10_E1_NS1_11comp_targetILNS1_3genE5ELNS1_11target_archE942ELNS1_3gpuE9ELNS1_3repE0EEENS1_36merge_oddeven_config_static_selectorELNS0_4arch9wavefront6targetE1EEEvSM_.has_indirect_call, 0
	.section	.AMDGPU.csdata,"",@progbits
; Kernel info:
; codeLenInByte = 0
; TotalNumSgprs: 6
; NumVgprs: 0
; NumAgprs: 0
; TotalNumVgprs: 0
; ScratchSize: 0
; MemoryBound: 0
; FloatMode: 240
; IeeeMode: 1
; LDSByteSize: 0 bytes/workgroup (compile time only)
; SGPRBlocks: 0
; VGPRBlocks: 0
; NumSGPRsForWavesPerEU: 6
; NumVGPRsForWavesPerEU: 1
; AccumOffset: 4
; Occupancy: 8
; WaveLimiterHint : 0
; COMPUTE_PGM_RSRC2:SCRATCH_EN: 0
; COMPUTE_PGM_RSRC2:USER_SGPR: 2
; COMPUTE_PGM_RSRC2:TRAP_HANDLER: 0
; COMPUTE_PGM_RSRC2:TGID_X_EN: 1
; COMPUTE_PGM_RSRC2:TGID_Y_EN: 0
; COMPUTE_PGM_RSRC2:TGID_Z_EN: 0
; COMPUTE_PGM_RSRC2:TIDIG_COMP_CNT: 0
; COMPUTE_PGM_RSRC3_GFX90A:ACCUM_OFFSET: 0
; COMPUTE_PGM_RSRC3_GFX90A:TG_SPLIT: 0
	.section	.text._ZN7rocprim17ROCPRIM_400000_NS6detail17trampoline_kernelINS0_14default_configENS1_38merge_sort_block_merge_config_selectorIlNS0_10empty_typeEEEZZNS1_27merge_sort_block_merge_implIS3_PlPS5_mZN2at6native12_GLOBAL__N_124unique_dim_cuda_templateIdEESt5tupleIJNSA_6TensorESF_SF_EERKSF_lbbbEUlllE_EE10hipError_tT0_T1_T2_jT3_P12ihipStream_tbPNSt15iterator_traitsISL_E10value_typeEPNSR_ISM_E10value_typeEPSN_NS1_7vsmem_tEENKUlT_SL_SM_SN_E_clIS8_S8_S9_S9_EESK_S10_SL_SM_SN_EUlS10_E1_NS1_11comp_targetILNS1_3genE4ELNS1_11target_archE910ELNS1_3gpuE8ELNS1_3repE0EEENS1_36merge_oddeven_config_static_selectorELNS0_4arch9wavefront6targetE1EEEvSM_,"axG",@progbits,_ZN7rocprim17ROCPRIM_400000_NS6detail17trampoline_kernelINS0_14default_configENS1_38merge_sort_block_merge_config_selectorIlNS0_10empty_typeEEEZZNS1_27merge_sort_block_merge_implIS3_PlPS5_mZN2at6native12_GLOBAL__N_124unique_dim_cuda_templateIdEESt5tupleIJNSA_6TensorESF_SF_EERKSF_lbbbEUlllE_EE10hipError_tT0_T1_T2_jT3_P12ihipStream_tbPNSt15iterator_traitsISL_E10value_typeEPNSR_ISM_E10value_typeEPSN_NS1_7vsmem_tEENKUlT_SL_SM_SN_E_clIS8_S8_S9_S9_EESK_S10_SL_SM_SN_EUlS10_E1_NS1_11comp_targetILNS1_3genE4ELNS1_11target_archE910ELNS1_3gpuE8ELNS1_3repE0EEENS1_36merge_oddeven_config_static_selectorELNS0_4arch9wavefront6targetE1EEEvSM_,comdat
	.globl	_ZN7rocprim17ROCPRIM_400000_NS6detail17trampoline_kernelINS0_14default_configENS1_38merge_sort_block_merge_config_selectorIlNS0_10empty_typeEEEZZNS1_27merge_sort_block_merge_implIS3_PlPS5_mZN2at6native12_GLOBAL__N_124unique_dim_cuda_templateIdEESt5tupleIJNSA_6TensorESF_SF_EERKSF_lbbbEUlllE_EE10hipError_tT0_T1_T2_jT3_P12ihipStream_tbPNSt15iterator_traitsISL_E10value_typeEPNSR_ISM_E10value_typeEPSN_NS1_7vsmem_tEENKUlT_SL_SM_SN_E_clIS8_S8_S9_S9_EESK_S10_SL_SM_SN_EUlS10_E1_NS1_11comp_targetILNS1_3genE4ELNS1_11target_archE910ELNS1_3gpuE8ELNS1_3repE0EEENS1_36merge_oddeven_config_static_selectorELNS0_4arch9wavefront6targetE1EEEvSM_ ; -- Begin function _ZN7rocprim17ROCPRIM_400000_NS6detail17trampoline_kernelINS0_14default_configENS1_38merge_sort_block_merge_config_selectorIlNS0_10empty_typeEEEZZNS1_27merge_sort_block_merge_implIS3_PlPS5_mZN2at6native12_GLOBAL__N_124unique_dim_cuda_templateIdEESt5tupleIJNSA_6TensorESF_SF_EERKSF_lbbbEUlllE_EE10hipError_tT0_T1_T2_jT3_P12ihipStream_tbPNSt15iterator_traitsISL_E10value_typeEPNSR_ISM_E10value_typeEPSN_NS1_7vsmem_tEENKUlT_SL_SM_SN_E_clIS8_S8_S9_S9_EESK_S10_SL_SM_SN_EUlS10_E1_NS1_11comp_targetILNS1_3genE4ELNS1_11target_archE910ELNS1_3gpuE8ELNS1_3repE0EEENS1_36merge_oddeven_config_static_selectorELNS0_4arch9wavefront6targetE1EEEvSM_
	.p2align	8
	.type	_ZN7rocprim17ROCPRIM_400000_NS6detail17trampoline_kernelINS0_14default_configENS1_38merge_sort_block_merge_config_selectorIlNS0_10empty_typeEEEZZNS1_27merge_sort_block_merge_implIS3_PlPS5_mZN2at6native12_GLOBAL__N_124unique_dim_cuda_templateIdEESt5tupleIJNSA_6TensorESF_SF_EERKSF_lbbbEUlllE_EE10hipError_tT0_T1_T2_jT3_P12ihipStream_tbPNSt15iterator_traitsISL_E10value_typeEPNSR_ISM_E10value_typeEPSN_NS1_7vsmem_tEENKUlT_SL_SM_SN_E_clIS8_S8_S9_S9_EESK_S10_SL_SM_SN_EUlS10_E1_NS1_11comp_targetILNS1_3genE4ELNS1_11target_archE910ELNS1_3gpuE8ELNS1_3repE0EEENS1_36merge_oddeven_config_static_selectorELNS0_4arch9wavefront6targetE1EEEvSM_,@function
_ZN7rocprim17ROCPRIM_400000_NS6detail17trampoline_kernelINS0_14default_configENS1_38merge_sort_block_merge_config_selectorIlNS0_10empty_typeEEEZZNS1_27merge_sort_block_merge_implIS3_PlPS5_mZN2at6native12_GLOBAL__N_124unique_dim_cuda_templateIdEESt5tupleIJNSA_6TensorESF_SF_EERKSF_lbbbEUlllE_EE10hipError_tT0_T1_T2_jT3_P12ihipStream_tbPNSt15iterator_traitsISL_E10value_typeEPNSR_ISM_E10value_typeEPSN_NS1_7vsmem_tEENKUlT_SL_SM_SN_E_clIS8_S8_S9_S9_EESK_S10_SL_SM_SN_EUlS10_E1_NS1_11comp_targetILNS1_3genE4ELNS1_11target_archE910ELNS1_3gpuE8ELNS1_3repE0EEENS1_36merge_oddeven_config_static_selectorELNS0_4arch9wavefront6targetE1EEEvSM_: ; @_ZN7rocprim17ROCPRIM_400000_NS6detail17trampoline_kernelINS0_14default_configENS1_38merge_sort_block_merge_config_selectorIlNS0_10empty_typeEEEZZNS1_27merge_sort_block_merge_implIS3_PlPS5_mZN2at6native12_GLOBAL__N_124unique_dim_cuda_templateIdEESt5tupleIJNSA_6TensorESF_SF_EERKSF_lbbbEUlllE_EE10hipError_tT0_T1_T2_jT3_P12ihipStream_tbPNSt15iterator_traitsISL_E10value_typeEPNSR_ISM_E10value_typeEPSN_NS1_7vsmem_tEENKUlT_SL_SM_SN_E_clIS8_S8_S9_S9_EESK_S10_SL_SM_SN_EUlS10_E1_NS1_11comp_targetILNS1_3genE4ELNS1_11target_archE910ELNS1_3gpuE8ELNS1_3repE0EEENS1_36merge_oddeven_config_static_selectorELNS0_4arch9wavefront6targetE1EEEvSM_
; %bb.0:
	.section	.rodata,"a",@progbits
	.p2align	6, 0x0
	.amdhsa_kernel _ZN7rocprim17ROCPRIM_400000_NS6detail17trampoline_kernelINS0_14default_configENS1_38merge_sort_block_merge_config_selectorIlNS0_10empty_typeEEEZZNS1_27merge_sort_block_merge_implIS3_PlPS5_mZN2at6native12_GLOBAL__N_124unique_dim_cuda_templateIdEESt5tupleIJNSA_6TensorESF_SF_EERKSF_lbbbEUlllE_EE10hipError_tT0_T1_T2_jT3_P12ihipStream_tbPNSt15iterator_traitsISL_E10value_typeEPNSR_ISM_E10value_typeEPSN_NS1_7vsmem_tEENKUlT_SL_SM_SN_E_clIS8_S8_S9_S9_EESK_S10_SL_SM_SN_EUlS10_E1_NS1_11comp_targetILNS1_3genE4ELNS1_11target_archE910ELNS1_3gpuE8ELNS1_3repE0EEENS1_36merge_oddeven_config_static_selectorELNS0_4arch9wavefront6targetE1EEEvSM_
		.amdhsa_group_segment_fixed_size 0
		.amdhsa_private_segment_fixed_size 0
		.amdhsa_kernarg_size 64
		.amdhsa_user_sgpr_count 2
		.amdhsa_user_sgpr_dispatch_ptr 0
		.amdhsa_user_sgpr_queue_ptr 0
		.amdhsa_user_sgpr_kernarg_segment_ptr 1
		.amdhsa_user_sgpr_dispatch_id 0
		.amdhsa_user_sgpr_kernarg_preload_length 0
		.amdhsa_user_sgpr_kernarg_preload_offset 0
		.amdhsa_user_sgpr_private_segment_size 0
		.amdhsa_uses_dynamic_stack 0
		.amdhsa_enable_private_segment 0
		.amdhsa_system_sgpr_workgroup_id_x 1
		.amdhsa_system_sgpr_workgroup_id_y 0
		.amdhsa_system_sgpr_workgroup_id_z 0
		.amdhsa_system_sgpr_workgroup_info 0
		.amdhsa_system_vgpr_workitem_id 0
		.amdhsa_next_free_vgpr 1
		.amdhsa_next_free_sgpr 0
		.amdhsa_accum_offset 4
		.amdhsa_reserve_vcc 0
		.amdhsa_float_round_mode_32 0
		.amdhsa_float_round_mode_16_64 0
		.amdhsa_float_denorm_mode_32 3
		.amdhsa_float_denorm_mode_16_64 3
		.amdhsa_dx10_clamp 1
		.amdhsa_ieee_mode 1
		.amdhsa_fp16_overflow 0
		.amdhsa_tg_split 0
		.amdhsa_exception_fp_ieee_invalid_op 0
		.amdhsa_exception_fp_denorm_src 0
		.amdhsa_exception_fp_ieee_div_zero 0
		.amdhsa_exception_fp_ieee_overflow 0
		.amdhsa_exception_fp_ieee_underflow 0
		.amdhsa_exception_fp_ieee_inexact 0
		.amdhsa_exception_int_div_zero 0
	.end_amdhsa_kernel
	.section	.text._ZN7rocprim17ROCPRIM_400000_NS6detail17trampoline_kernelINS0_14default_configENS1_38merge_sort_block_merge_config_selectorIlNS0_10empty_typeEEEZZNS1_27merge_sort_block_merge_implIS3_PlPS5_mZN2at6native12_GLOBAL__N_124unique_dim_cuda_templateIdEESt5tupleIJNSA_6TensorESF_SF_EERKSF_lbbbEUlllE_EE10hipError_tT0_T1_T2_jT3_P12ihipStream_tbPNSt15iterator_traitsISL_E10value_typeEPNSR_ISM_E10value_typeEPSN_NS1_7vsmem_tEENKUlT_SL_SM_SN_E_clIS8_S8_S9_S9_EESK_S10_SL_SM_SN_EUlS10_E1_NS1_11comp_targetILNS1_3genE4ELNS1_11target_archE910ELNS1_3gpuE8ELNS1_3repE0EEENS1_36merge_oddeven_config_static_selectorELNS0_4arch9wavefront6targetE1EEEvSM_,"axG",@progbits,_ZN7rocprim17ROCPRIM_400000_NS6detail17trampoline_kernelINS0_14default_configENS1_38merge_sort_block_merge_config_selectorIlNS0_10empty_typeEEEZZNS1_27merge_sort_block_merge_implIS3_PlPS5_mZN2at6native12_GLOBAL__N_124unique_dim_cuda_templateIdEESt5tupleIJNSA_6TensorESF_SF_EERKSF_lbbbEUlllE_EE10hipError_tT0_T1_T2_jT3_P12ihipStream_tbPNSt15iterator_traitsISL_E10value_typeEPNSR_ISM_E10value_typeEPSN_NS1_7vsmem_tEENKUlT_SL_SM_SN_E_clIS8_S8_S9_S9_EESK_S10_SL_SM_SN_EUlS10_E1_NS1_11comp_targetILNS1_3genE4ELNS1_11target_archE910ELNS1_3gpuE8ELNS1_3repE0EEENS1_36merge_oddeven_config_static_selectorELNS0_4arch9wavefront6targetE1EEEvSM_,comdat
.Lfunc_end777:
	.size	_ZN7rocprim17ROCPRIM_400000_NS6detail17trampoline_kernelINS0_14default_configENS1_38merge_sort_block_merge_config_selectorIlNS0_10empty_typeEEEZZNS1_27merge_sort_block_merge_implIS3_PlPS5_mZN2at6native12_GLOBAL__N_124unique_dim_cuda_templateIdEESt5tupleIJNSA_6TensorESF_SF_EERKSF_lbbbEUlllE_EE10hipError_tT0_T1_T2_jT3_P12ihipStream_tbPNSt15iterator_traitsISL_E10value_typeEPNSR_ISM_E10value_typeEPSN_NS1_7vsmem_tEENKUlT_SL_SM_SN_E_clIS8_S8_S9_S9_EESK_S10_SL_SM_SN_EUlS10_E1_NS1_11comp_targetILNS1_3genE4ELNS1_11target_archE910ELNS1_3gpuE8ELNS1_3repE0EEENS1_36merge_oddeven_config_static_selectorELNS0_4arch9wavefront6targetE1EEEvSM_, .Lfunc_end777-_ZN7rocprim17ROCPRIM_400000_NS6detail17trampoline_kernelINS0_14default_configENS1_38merge_sort_block_merge_config_selectorIlNS0_10empty_typeEEEZZNS1_27merge_sort_block_merge_implIS3_PlPS5_mZN2at6native12_GLOBAL__N_124unique_dim_cuda_templateIdEESt5tupleIJNSA_6TensorESF_SF_EERKSF_lbbbEUlllE_EE10hipError_tT0_T1_T2_jT3_P12ihipStream_tbPNSt15iterator_traitsISL_E10value_typeEPNSR_ISM_E10value_typeEPSN_NS1_7vsmem_tEENKUlT_SL_SM_SN_E_clIS8_S8_S9_S9_EESK_S10_SL_SM_SN_EUlS10_E1_NS1_11comp_targetILNS1_3genE4ELNS1_11target_archE910ELNS1_3gpuE8ELNS1_3repE0EEENS1_36merge_oddeven_config_static_selectorELNS0_4arch9wavefront6targetE1EEEvSM_
                                        ; -- End function
	.set _ZN7rocprim17ROCPRIM_400000_NS6detail17trampoline_kernelINS0_14default_configENS1_38merge_sort_block_merge_config_selectorIlNS0_10empty_typeEEEZZNS1_27merge_sort_block_merge_implIS3_PlPS5_mZN2at6native12_GLOBAL__N_124unique_dim_cuda_templateIdEESt5tupleIJNSA_6TensorESF_SF_EERKSF_lbbbEUlllE_EE10hipError_tT0_T1_T2_jT3_P12ihipStream_tbPNSt15iterator_traitsISL_E10value_typeEPNSR_ISM_E10value_typeEPSN_NS1_7vsmem_tEENKUlT_SL_SM_SN_E_clIS8_S8_S9_S9_EESK_S10_SL_SM_SN_EUlS10_E1_NS1_11comp_targetILNS1_3genE4ELNS1_11target_archE910ELNS1_3gpuE8ELNS1_3repE0EEENS1_36merge_oddeven_config_static_selectorELNS0_4arch9wavefront6targetE1EEEvSM_.num_vgpr, 0
	.set _ZN7rocprim17ROCPRIM_400000_NS6detail17trampoline_kernelINS0_14default_configENS1_38merge_sort_block_merge_config_selectorIlNS0_10empty_typeEEEZZNS1_27merge_sort_block_merge_implIS3_PlPS5_mZN2at6native12_GLOBAL__N_124unique_dim_cuda_templateIdEESt5tupleIJNSA_6TensorESF_SF_EERKSF_lbbbEUlllE_EE10hipError_tT0_T1_T2_jT3_P12ihipStream_tbPNSt15iterator_traitsISL_E10value_typeEPNSR_ISM_E10value_typeEPSN_NS1_7vsmem_tEENKUlT_SL_SM_SN_E_clIS8_S8_S9_S9_EESK_S10_SL_SM_SN_EUlS10_E1_NS1_11comp_targetILNS1_3genE4ELNS1_11target_archE910ELNS1_3gpuE8ELNS1_3repE0EEENS1_36merge_oddeven_config_static_selectorELNS0_4arch9wavefront6targetE1EEEvSM_.num_agpr, 0
	.set _ZN7rocprim17ROCPRIM_400000_NS6detail17trampoline_kernelINS0_14default_configENS1_38merge_sort_block_merge_config_selectorIlNS0_10empty_typeEEEZZNS1_27merge_sort_block_merge_implIS3_PlPS5_mZN2at6native12_GLOBAL__N_124unique_dim_cuda_templateIdEESt5tupleIJNSA_6TensorESF_SF_EERKSF_lbbbEUlllE_EE10hipError_tT0_T1_T2_jT3_P12ihipStream_tbPNSt15iterator_traitsISL_E10value_typeEPNSR_ISM_E10value_typeEPSN_NS1_7vsmem_tEENKUlT_SL_SM_SN_E_clIS8_S8_S9_S9_EESK_S10_SL_SM_SN_EUlS10_E1_NS1_11comp_targetILNS1_3genE4ELNS1_11target_archE910ELNS1_3gpuE8ELNS1_3repE0EEENS1_36merge_oddeven_config_static_selectorELNS0_4arch9wavefront6targetE1EEEvSM_.numbered_sgpr, 0
	.set _ZN7rocprim17ROCPRIM_400000_NS6detail17trampoline_kernelINS0_14default_configENS1_38merge_sort_block_merge_config_selectorIlNS0_10empty_typeEEEZZNS1_27merge_sort_block_merge_implIS3_PlPS5_mZN2at6native12_GLOBAL__N_124unique_dim_cuda_templateIdEESt5tupleIJNSA_6TensorESF_SF_EERKSF_lbbbEUlllE_EE10hipError_tT0_T1_T2_jT3_P12ihipStream_tbPNSt15iterator_traitsISL_E10value_typeEPNSR_ISM_E10value_typeEPSN_NS1_7vsmem_tEENKUlT_SL_SM_SN_E_clIS8_S8_S9_S9_EESK_S10_SL_SM_SN_EUlS10_E1_NS1_11comp_targetILNS1_3genE4ELNS1_11target_archE910ELNS1_3gpuE8ELNS1_3repE0EEENS1_36merge_oddeven_config_static_selectorELNS0_4arch9wavefront6targetE1EEEvSM_.num_named_barrier, 0
	.set _ZN7rocprim17ROCPRIM_400000_NS6detail17trampoline_kernelINS0_14default_configENS1_38merge_sort_block_merge_config_selectorIlNS0_10empty_typeEEEZZNS1_27merge_sort_block_merge_implIS3_PlPS5_mZN2at6native12_GLOBAL__N_124unique_dim_cuda_templateIdEESt5tupleIJNSA_6TensorESF_SF_EERKSF_lbbbEUlllE_EE10hipError_tT0_T1_T2_jT3_P12ihipStream_tbPNSt15iterator_traitsISL_E10value_typeEPNSR_ISM_E10value_typeEPSN_NS1_7vsmem_tEENKUlT_SL_SM_SN_E_clIS8_S8_S9_S9_EESK_S10_SL_SM_SN_EUlS10_E1_NS1_11comp_targetILNS1_3genE4ELNS1_11target_archE910ELNS1_3gpuE8ELNS1_3repE0EEENS1_36merge_oddeven_config_static_selectorELNS0_4arch9wavefront6targetE1EEEvSM_.private_seg_size, 0
	.set _ZN7rocprim17ROCPRIM_400000_NS6detail17trampoline_kernelINS0_14default_configENS1_38merge_sort_block_merge_config_selectorIlNS0_10empty_typeEEEZZNS1_27merge_sort_block_merge_implIS3_PlPS5_mZN2at6native12_GLOBAL__N_124unique_dim_cuda_templateIdEESt5tupleIJNSA_6TensorESF_SF_EERKSF_lbbbEUlllE_EE10hipError_tT0_T1_T2_jT3_P12ihipStream_tbPNSt15iterator_traitsISL_E10value_typeEPNSR_ISM_E10value_typeEPSN_NS1_7vsmem_tEENKUlT_SL_SM_SN_E_clIS8_S8_S9_S9_EESK_S10_SL_SM_SN_EUlS10_E1_NS1_11comp_targetILNS1_3genE4ELNS1_11target_archE910ELNS1_3gpuE8ELNS1_3repE0EEENS1_36merge_oddeven_config_static_selectorELNS0_4arch9wavefront6targetE1EEEvSM_.uses_vcc, 0
	.set _ZN7rocprim17ROCPRIM_400000_NS6detail17trampoline_kernelINS0_14default_configENS1_38merge_sort_block_merge_config_selectorIlNS0_10empty_typeEEEZZNS1_27merge_sort_block_merge_implIS3_PlPS5_mZN2at6native12_GLOBAL__N_124unique_dim_cuda_templateIdEESt5tupleIJNSA_6TensorESF_SF_EERKSF_lbbbEUlllE_EE10hipError_tT0_T1_T2_jT3_P12ihipStream_tbPNSt15iterator_traitsISL_E10value_typeEPNSR_ISM_E10value_typeEPSN_NS1_7vsmem_tEENKUlT_SL_SM_SN_E_clIS8_S8_S9_S9_EESK_S10_SL_SM_SN_EUlS10_E1_NS1_11comp_targetILNS1_3genE4ELNS1_11target_archE910ELNS1_3gpuE8ELNS1_3repE0EEENS1_36merge_oddeven_config_static_selectorELNS0_4arch9wavefront6targetE1EEEvSM_.uses_flat_scratch, 0
	.set _ZN7rocprim17ROCPRIM_400000_NS6detail17trampoline_kernelINS0_14default_configENS1_38merge_sort_block_merge_config_selectorIlNS0_10empty_typeEEEZZNS1_27merge_sort_block_merge_implIS3_PlPS5_mZN2at6native12_GLOBAL__N_124unique_dim_cuda_templateIdEESt5tupleIJNSA_6TensorESF_SF_EERKSF_lbbbEUlllE_EE10hipError_tT0_T1_T2_jT3_P12ihipStream_tbPNSt15iterator_traitsISL_E10value_typeEPNSR_ISM_E10value_typeEPSN_NS1_7vsmem_tEENKUlT_SL_SM_SN_E_clIS8_S8_S9_S9_EESK_S10_SL_SM_SN_EUlS10_E1_NS1_11comp_targetILNS1_3genE4ELNS1_11target_archE910ELNS1_3gpuE8ELNS1_3repE0EEENS1_36merge_oddeven_config_static_selectorELNS0_4arch9wavefront6targetE1EEEvSM_.has_dyn_sized_stack, 0
	.set _ZN7rocprim17ROCPRIM_400000_NS6detail17trampoline_kernelINS0_14default_configENS1_38merge_sort_block_merge_config_selectorIlNS0_10empty_typeEEEZZNS1_27merge_sort_block_merge_implIS3_PlPS5_mZN2at6native12_GLOBAL__N_124unique_dim_cuda_templateIdEESt5tupleIJNSA_6TensorESF_SF_EERKSF_lbbbEUlllE_EE10hipError_tT0_T1_T2_jT3_P12ihipStream_tbPNSt15iterator_traitsISL_E10value_typeEPNSR_ISM_E10value_typeEPSN_NS1_7vsmem_tEENKUlT_SL_SM_SN_E_clIS8_S8_S9_S9_EESK_S10_SL_SM_SN_EUlS10_E1_NS1_11comp_targetILNS1_3genE4ELNS1_11target_archE910ELNS1_3gpuE8ELNS1_3repE0EEENS1_36merge_oddeven_config_static_selectorELNS0_4arch9wavefront6targetE1EEEvSM_.has_recursion, 0
	.set _ZN7rocprim17ROCPRIM_400000_NS6detail17trampoline_kernelINS0_14default_configENS1_38merge_sort_block_merge_config_selectorIlNS0_10empty_typeEEEZZNS1_27merge_sort_block_merge_implIS3_PlPS5_mZN2at6native12_GLOBAL__N_124unique_dim_cuda_templateIdEESt5tupleIJNSA_6TensorESF_SF_EERKSF_lbbbEUlllE_EE10hipError_tT0_T1_T2_jT3_P12ihipStream_tbPNSt15iterator_traitsISL_E10value_typeEPNSR_ISM_E10value_typeEPSN_NS1_7vsmem_tEENKUlT_SL_SM_SN_E_clIS8_S8_S9_S9_EESK_S10_SL_SM_SN_EUlS10_E1_NS1_11comp_targetILNS1_3genE4ELNS1_11target_archE910ELNS1_3gpuE8ELNS1_3repE0EEENS1_36merge_oddeven_config_static_selectorELNS0_4arch9wavefront6targetE1EEEvSM_.has_indirect_call, 0
	.section	.AMDGPU.csdata,"",@progbits
; Kernel info:
; codeLenInByte = 0
; TotalNumSgprs: 6
; NumVgprs: 0
; NumAgprs: 0
; TotalNumVgprs: 0
; ScratchSize: 0
; MemoryBound: 0
; FloatMode: 240
; IeeeMode: 1
; LDSByteSize: 0 bytes/workgroup (compile time only)
; SGPRBlocks: 0
; VGPRBlocks: 0
; NumSGPRsForWavesPerEU: 6
; NumVGPRsForWavesPerEU: 1
; AccumOffset: 4
; Occupancy: 8
; WaveLimiterHint : 0
; COMPUTE_PGM_RSRC2:SCRATCH_EN: 0
; COMPUTE_PGM_RSRC2:USER_SGPR: 2
; COMPUTE_PGM_RSRC2:TRAP_HANDLER: 0
; COMPUTE_PGM_RSRC2:TGID_X_EN: 1
; COMPUTE_PGM_RSRC2:TGID_Y_EN: 0
; COMPUTE_PGM_RSRC2:TGID_Z_EN: 0
; COMPUTE_PGM_RSRC2:TIDIG_COMP_CNT: 0
; COMPUTE_PGM_RSRC3_GFX90A:ACCUM_OFFSET: 0
; COMPUTE_PGM_RSRC3_GFX90A:TG_SPLIT: 0
	.section	.text._ZN7rocprim17ROCPRIM_400000_NS6detail17trampoline_kernelINS0_14default_configENS1_38merge_sort_block_merge_config_selectorIlNS0_10empty_typeEEEZZNS1_27merge_sort_block_merge_implIS3_PlPS5_mZN2at6native12_GLOBAL__N_124unique_dim_cuda_templateIdEESt5tupleIJNSA_6TensorESF_SF_EERKSF_lbbbEUlllE_EE10hipError_tT0_T1_T2_jT3_P12ihipStream_tbPNSt15iterator_traitsISL_E10value_typeEPNSR_ISM_E10value_typeEPSN_NS1_7vsmem_tEENKUlT_SL_SM_SN_E_clIS8_S8_S9_S9_EESK_S10_SL_SM_SN_EUlS10_E1_NS1_11comp_targetILNS1_3genE3ELNS1_11target_archE908ELNS1_3gpuE7ELNS1_3repE0EEENS1_36merge_oddeven_config_static_selectorELNS0_4arch9wavefront6targetE1EEEvSM_,"axG",@progbits,_ZN7rocprim17ROCPRIM_400000_NS6detail17trampoline_kernelINS0_14default_configENS1_38merge_sort_block_merge_config_selectorIlNS0_10empty_typeEEEZZNS1_27merge_sort_block_merge_implIS3_PlPS5_mZN2at6native12_GLOBAL__N_124unique_dim_cuda_templateIdEESt5tupleIJNSA_6TensorESF_SF_EERKSF_lbbbEUlllE_EE10hipError_tT0_T1_T2_jT3_P12ihipStream_tbPNSt15iterator_traitsISL_E10value_typeEPNSR_ISM_E10value_typeEPSN_NS1_7vsmem_tEENKUlT_SL_SM_SN_E_clIS8_S8_S9_S9_EESK_S10_SL_SM_SN_EUlS10_E1_NS1_11comp_targetILNS1_3genE3ELNS1_11target_archE908ELNS1_3gpuE7ELNS1_3repE0EEENS1_36merge_oddeven_config_static_selectorELNS0_4arch9wavefront6targetE1EEEvSM_,comdat
	.globl	_ZN7rocprim17ROCPRIM_400000_NS6detail17trampoline_kernelINS0_14default_configENS1_38merge_sort_block_merge_config_selectorIlNS0_10empty_typeEEEZZNS1_27merge_sort_block_merge_implIS3_PlPS5_mZN2at6native12_GLOBAL__N_124unique_dim_cuda_templateIdEESt5tupleIJNSA_6TensorESF_SF_EERKSF_lbbbEUlllE_EE10hipError_tT0_T1_T2_jT3_P12ihipStream_tbPNSt15iterator_traitsISL_E10value_typeEPNSR_ISM_E10value_typeEPSN_NS1_7vsmem_tEENKUlT_SL_SM_SN_E_clIS8_S8_S9_S9_EESK_S10_SL_SM_SN_EUlS10_E1_NS1_11comp_targetILNS1_3genE3ELNS1_11target_archE908ELNS1_3gpuE7ELNS1_3repE0EEENS1_36merge_oddeven_config_static_selectorELNS0_4arch9wavefront6targetE1EEEvSM_ ; -- Begin function _ZN7rocprim17ROCPRIM_400000_NS6detail17trampoline_kernelINS0_14default_configENS1_38merge_sort_block_merge_config_selectorIlNS0_10empty_typeEEEZZNS1_27merge_sort_block_merge_implIS3_PlPS5_mZN2at6native12_GLOBAL__N_124unique_dim_cuda_templateIdEESt5tupleIJNSA_6TensorESF_SF_EERKSF_lbbbEUlllE_EE10hipError_tT0_T1_T2_jT3_P12ihipStream_tbPNSt15iterator_traitsISL_E10value_typeEPNSR_ISM_E10value_typeEPSN_NS1_7vsmem_tEENKUlT_SL_SM_SN_E_clIS8_S8_S9_S9_EESK_S10_SL_SM_SN_EUlS10_E1_NS1_11comp_targetILNS1_3genE3ELNS1_11target_archE908ELNS1_3gpuE7ELNS1_3repE0EEENS1_36merge_oddeven_config_static_selectorELNS0_4arch9wavefront6targetE1EEEvSM_
	.p2align	8
	.type	_ZN7rocprim17ROCPRIM_400000_NS6detail17trampoline_kernelINS0_14default_configENS1_38merge_sort_block_merge_config_selectorIlNS0_10empty_typeEEEZZNS1_27merge_sort_block_merge_implIS3_PlPS5_mZN2at6native12_GLOBAL__N_124unique_dim_cuda_templateIdEESt5tupleIJNSA_6TensorESF_SF_EERKSF_lbbbEUlllE_EE10hipError_tT0_T1_T2_jT3_P12ihipStream_tbPNSt15iterator_traitsISL_E10value_typeEPNSR_ISM_E10value_typeEPSN_NS1_7vsmem_tEENKUlT_SL_SM_SN_E_clIS8_S8_S9_S9_EESK_S10_SL_SM_SN_EUlS10_E1_NS1_11comp_targetILNS1_3genE3ELNS1_11target_archE908ELNS1_3gpuE7ELNS1_3repE0EEENS1_36merge_oddeven_config_static_selectorELNS0_4arch9wavefront6targetE1EEEvSM_,@function
_ZN7rocprim17ROCPRIM_400000_NS6detail17trampoline_kernelINS0_14default_configENS1_38merge_sort_block_merge_config_selectorIlNS0_10empty_typeEEEZZNS1_27merge_sort_block_merge_implIS3_PlPS5_mZN2at6native12_GLOBAL__N_124unique_dim_cuda_templateIdEESt5tupleIJNSA_6TensorESF_SF_EERKSF_lbbbEUlllE_EE10hipError_tT0_T1_T2_jT3_P12ihipStream_tbPNSt15iterator_traitsISL_E10value_typeEPNSR_ISM_E10value_typeEPSN_NS1_7vsmem_tEENKUlT_SL_SM_SN_E_clIS8_S8_S9_S9_EESK_S10_SL_SM_SN_EUlS10_E1_NS1_11comp_targetILNS1_3genE3ELNS1_11target_archE908ELNS1_3gpuE7ELNS1_3repE0EEENS1_36merge_oddeven_config_static_selectorELNS0_4arch9wavefront6targetE1EEEvSM_: ; @_ZN7rocprim17ROCPRIM_400000_NS6detail17trampoline_kernelINS0_14default_configENS1_38merge_sort_block_merge_config_selectorIlNS0_10empty_typeEEEZZNS1_27merge_sort_block_merge_implIS3_PlPS5_mZN2at6native12_GLOBAL__N_124unique_dim_cuda_templateIdEESt5tupleIJNSA_6TensorESF_SF_EERKSF_lbbbEUlllE_EE10hipError_tT0_T1_T2_jT3_P12ihipStream_tbPNSt15iterator_traitsISL_E10value_typeEPNSR_ISM_E10value_typeEPSN_NS1_7vsmem_tEENKUlT_SL_SM_SN_E_clIS8_S8_S9_S9_EESK_S10_SL_SM_SN_EUlS10_E1_NS1_11comp_targetILNS1_3genE3ELNS1_11target_archE908ELNS1_3gpuE7ELNS1_3repE0EEENS1_36merge_oddeven_config_static_selectorELNS0_4arch9wavefront6targetE1EEEvSM_
; %bb.0:
	.section	.rodata,"a",@progbits
	.p2align	6, 0x0
	.amdhsa_kernel _ZN7rocprim17ROCPRIM_400000_NS6detail17trampoline_kernelINS0_14default_configENS1_38merge_sort_block_merge_config_selectorIlNS0_10empty_typeEEEZZNS1_27merge_sort_block_merge_implIS3_PlPS5_mZN2at6native12_GLOBAL__N_124unique_dim_cuda_templateIdEESt5tupleIJNSA_6TensorESF_SF_EERKSF_lbbbEUlllE_EE10hipError_tT0_T1_T2_jT3_P12ihipStream_tbPNSt15iterator_traitsISL_E10value_typeEPNSR_ISM_E10value_typeEPSN_NS1_7vsmem_tEENKUlT_SL_SM_SN_E_clIS8_S8_S9_S9_EESK_S10_SL_SM_SN_EUlS10_E1_NS1_11comp_targetILNS1_3genE3ELNS1_11target_archE908ELNS1_3gpuE7ELNS1_3repE0EEENS1_36merge_oddeven_config_static_selectorELNS0_4arch9wavefront6targetE1EEEvSM_
		.amdhsa_group_segment_fixed_size 0
		.amdhsa_private_segment_fixed_size 0
		.amdhsa_kernarg_size 64
		.amdhsa_user_sgpr_count 2
		.amdhsa_user_sgpr_dispatch_ptr 0
		.amdhsa_user_sgpr_queue_ptr 0
		.amdhsa_user_sgpr_kernarg_segment_ptr 1
		.amdhsa_user_sgpr_dispatch_id 0
		.amdhsa_user_sgpr_kernarg_preload_length 0
		.amdhsa_user_sgpr_kernarg_preload_offset 0
		.amdhsa_user_sgpr_private_segment_size 0
		.amdhsa_uses_dynamic_stack 0
		.amdhsa_enable_private_segment 0
		.amdhsa_system_sgpr_workgroup_id_x 1
		.amdhsa_system_sgpr_workgroup_id_y 0
		.amdhsa_system_sgpr_workgroup_id_z 0
		.amdhsa_system_sgpr_workgroup_info 0
		.amdhsa_system_vgpr_workitem_id 0
		.amdhsa_next_free_vgpr 1
		.amdhsa_next_free_sgpr 0
		.amdhsa_accum_offset 4
		.amdhsa_reserve_vcc 0
		.amdhsa_float_round_mode_32 0
		.amdhsa_float_round_mode_16_64 0
		.amdhsa_float_denorm_mode_32 3
		.amdhsa_float_denorm_mode_16_64 3
		.amdhsa_dx10_clamp 1
		.amdhsa_ieee_mode 1
		.amdhsa_fp16_overflow 0
		.amdhsa_tg_split 0
		.amdhsa_exception_fp_ieee_invalid_op 0
		.amdhsa_exception_fp_denorm_src 0
		.amdhsa_exception_fp_ieee_div_zero 0
		.amdhsa_exception_fp_ieee_overflow 0
		.amdhsa_exception_fp_ieee_underflow 0
		.amdhsa_exception_fp_ieee_inexact 0
		.amdhsa_exception_int_div_zero 0
	.end_amdhsa_kernel
	.section	.text._ZN7rocprim17ROCPRIM_400000_NS6detail17trampoline_kernelINS0_14default_configENS1_38merge_sort_block_merge_config_selectorIlNS0_10empty_typeEEEZZNS1_27merge_sort_block_merge_implIS3_PlPS5_mZN2at6native12_GLOBAL__N_124unique_dim_cuda_templateIdEESt5tupleIJNSA_6TensorESF_SF_EERKSF_lbbbEUlllE_EE10hipError_tT0_T1_T2_jT3_P12ihipStream_tbPNSt15iterator_traitsISL_E10value_typeEPNSR_ISM_E10value_typeEPSN_NS1_7vsmem_tEENKUlT_SL_SM_SN_E_clIS8_S8_S9_S9_EESK_S10_SL_SM_SN_EUlS10_E1_NS1_11comp_targetILNS1_3genE3ELNS1_11target_archE908ELNS1_3gpuE7ELNS1_3repE0EEENS1_36merge_oddeven_config_static_selectorELNS0_4arch9wavefront6targetE1EEEvSM_,"axG",@progbits,_ZN7rocprim17ROCPRIM_400000_NS6detail17trampoline_kernelINS0_14default_configENS1_38merge_sort_block_merge_config_selectorIlNS0_10empty_typeEEEZZNS1_27merge_sort_block_merge_implIS3_PlPS5_mZN2at6native12_GLOBAL__N_124unique_dim_cuda_templateIdEESt5tupleIJNSA_6TensorESF_SF_EERKSF_lbbbEUlllE_EE10hipError_tT0_T1_T2_jT3_P12ihipStream_tbPNSt15iterator_traitsISL_E10value_typeEPNSR_ISM_E10value_typeEPSN_NS1_7vsmem_tEENKUlT_SL_SM_SN_E_clIS8_S8_S9_S9_EESK_S10_SL_SM_SN_EUlS10_E1_NS1_11comp_targetILNS1_3genE3ELNS1_11target_archE908ELNS1_3gpuE7ELNS1_3repE0EEENS1_36merge_oddeven_config_static_selectorELNS0_4arch9wavefront6targetE1EEEvSM_,comdat
.Lfunc_end778:
	.size	_ZN7rocprim17ROCPRIM_400000_NS6detail17trampoline_kernelINS0_14default_configENS1_38merge_sort_block_merge_config_selectorIlNS0_10empty_typeEEEZZNS1_27merge_sort_block_merge_implIS3_PlPS5_mZN2at6native12_GLOBAL__N_124unique_dim_cuda_templateIdEESt5tupleIJNSA_6TensorESF_SF_EERKSF_lbbbEUlllE_EE10hipError_tT0_T1_T2_jT3_P12ihipStream_tbPNSt15iterator_traitsISL_E10value_typeEPNSR_ISM_E10value_typeEPSN_NS1_7vsmem_tEENKUlT_SL_SM_SN_E_clIS8_S8_S9_S9_EESK_S10_SL_SM_SN_EUlS10_E1_NS1_11comp_targetILNS1_3genE3ELNS1_11target_archE908ELNS1_3gpuE7ELNS1_3repE0EEENS1_36merge_oddeven_config_static_selectorELNS0_4arch9wavefront6targetE1EEEvSM_, .Lfunc_end778-_ZN7rocprim17ROCPRIM_400000_NS6detail17trampoline_kernelINS0_14default_configENS1_38merge_sort_block_merge_config_selectorIlNS0_10empty_typeEEEZZNS1_27merge_sort_block_merge_implIS3_PlPS5_mZN2at6native12_GLOBAL__N_124unique_dim_cuda_templateIdEESt5tupleIJNSA_6TensorESF_SF_EERKSF_lbbbEUlllE_EE10hipError_tT0_T1_T2_jT3_P12ihipStream_tbPNSt15iterator_traitsISL_E10value_typeEPNSR_ISM_E10value_typeEPSN_NS1_7vsmem_tEENKUlT_SL_SM_SN_E_clIS8_S8_S9_S9_EESK_S10_SL_SM_SN_EUlS10_E1_NS1_11comp_targetILNS1_3genE3ELNS1_11target_archE908ELNS1_3gpuE7ELNS1_3repE0EEENS1_36merge_oddeven_config_static_selectorELNS0_4arch9wavefront6targetE1EEEvSM_
                                        ; -- End function
	.set _ZN7rocprim17ROCPRIM_400000_NS6detail17trampoline_kernelINS0_14default_configENS1_38merge_sort_block_merge_config_selectorIlNS0_10empty_typeEEEZZNS1_27merge_sort_block_merge_implIS3_PlPS5_mZN2at6native12_GLOBAL__N_124unique_dim_cuda_templateIdEESt5tupleIJNSA_6TensorESF_SF_EERKSF_lbbbEUlllE_EE10hipError_tT0_T1_T2_jT3_P12ihipStream_tbPNSt15iterator_traitsISL_E10value_typeEPNSR_ISM_E10value_typeEPSN_NS1_7vsmem_tEENKUlT_SL_SM_SN_E_clIS8_S8_S9_S9_EESK_S10_SL_SM_SN_EUlS10_E1_NS1_11comp_targetILNS1_3genE3ELNS1_11target_archE908ELNS1_3gpuE7ELNS1_3repE0EEENS1_36merge_oddeven_config_static_selectorELNS0_4arch9wavefront6targetE1EEEvSM_.num_vgpr, 0
	.set _ZN7rocprim17ROCPRIM_400000_NS6detail17trampoline_kernelINS0_14default_configENS1_38merge_sort_block_merge_config_selectorIlNS0_10empty_typeEEEZZNS1_27merge_sort_block_merge_implIS3_PlPS5_mZN2at6native12_GLOBAL__N_124unique_dim_cuda_templateIdEESt5tupleIJNSA_6TensorESF_SF_EERKSF_lbbbEUlllE_EE10hipError_tT0_T1_T2_jT3_P12ihipStream_tbPNSt15iterator_traitsISL_E10value_typeEPNSR_ISM_E10value_typeEPSN_NS1_7vsmem_tEENKUlT_SL_SM_SN_E_clIS8_S8_S9_S9_EESK_S10_SL_SM_SN_EUlS10_E1_NS1_11comp_targetILNS1_3genE3ELNS1_11target_archE908ELNS1_3gpuE7ELNS1_3repE0EEENS1_36merge_oddeven_config_static_selectorELNS0_4arch9wavefront6targetE1EEEvSM_.num_agpr, 0
	.set _ZN7rocprim17ROCPRIM_400000_NS6detail17trampoline_kernelINS0_14default_configENS1_38merge_sort_block_merge_config_selectorIlNS0_10empty_typeEEEZZNS1_27merge_sort_block_merge_implIS3_PlPS5_mZN2at6native12_GLOBAL__N_124unique_dim_cuda_templateIdEESt5tupleIJNSA_6TensorESF_SF_EERKSF_lbbbEUlllE_EE10hipError_tT0_T1_T2_jT3_P12ihipStream_tbPNSt15iterator_traitsISL_E10value_typeEPNSR_ISM_E10value_typeEPSN_NS1_7vsmem_tEENKUlT_SL_SM_SN_E_clIS8_S8_S9_S9_EESK_S10_SL_SM_SN_EUlS10_E1_NS1_11comp_targetILNS1_3genE3ELNS1_11target_archE908ELNS1_3gpuE7ELNS1_3repE0EEENS1_36merge_oddeven_config_static_selectorELNS0_4arch9wavefront6targetE1EEEvSM_.numbered_sgpr, 0
	.set _ZN7rocprim17ROCPRIM_400000_NS6detail17trampoline_kernelINS0_14default_configENS1_38merge_sort_block_merge_config_selectorIlNS0_10empty_typeEEEZZNS1_27merge_sort_block_merge_implIS3_PlPS5_mZN2at6native12_GLOBAL__N_124unique_dim_cuda_templateIdEESt5tupleIJNSA_6TensorESF_SF_EERKSF_lbbbEUlllE_EE10hipError_tT0_T1_T2_jT3_P12ihipStream_tbPNSt15iterator_traitsISL_E10value_typeEPNSR_ISM_E10value_typeEPSN_NS1_7vsmem_tEENKUlT_SL_SM_SN_E_clIS8_S8_S9_S9_EESK_S10_SL_SM_SN_EUlS10_E1_NS1_11comp_targetILNS1_3genE3ELNS1_11target_archE908ELNS1_3gpuE7ELNS1_3repE0EEENS1_36merge_oddeven_config_static_selectorELNS0_4arch9wavefront6targetE1EEEvSM_.num_named_barrier, 0
	.set _ZN7rocprim17ROCPRIM_400000_NS6detail17trampoline_kernelINS0_14default_configENS1_38merge_sort_block_merge_config_selectorIlNS0_10empty_typeEEEZZNS1_27merge_sort_block_merge_implIS3_PlPS5_mZN2at6native12_GLOBAL__N_124unique_dim_cuda_templateIdEESt5tupleIJNSA_6TensorESF_SF_EERKSF_lbbbEUlllE_EE10hipError_tT0_T1_T2_jT3_P12ihipStream_tbPNSt15iterator_traitsISL_E10value_typeEPNSR_ISM_E10value_typeEPSN_NS1_7vsmem_tEENKUlT_SL_SM_SN_E_clIS8_S8_S9_S9_EESK_S10_SL_SM_SN_EUlS10_E1_NS1_11comp_targetILNS1_3genE3ELNS1_11target_archE908ELNS1_3gpuE7ELNS1_3repE0EEENS1_36merge_oddeven_config_static_selectorELNS0_4arch9wavefront6targetE1EEEvSM_.private_seg_size, 0
	.set _ZN7rocprim17ROCPRIM_400000_NS6detail17trampoline_kernelINS0_14default_configENS1_38merge_sort_block_merge_config_selectorIlNS0_10empty_typeEEEZZNS1_27merge_sort_block_merge_implIS3_PlPS5_mZN2at6native12_GLOBAL__N_124unique_dim_cuda_templateIdEESt5tupleIJNSA_6TensorESF_SF_EERKSF_lbbbEUlllE_EE10hipError_tT0_T1_T2_jT3_P12ihipStream_tbPNSt15iterator_traitsISL_E10value_typeEPNSR_ISM_E10value_typeEPSN_NS1_7vsmem_tEENKUlT_SL_SM_SN_E_clIS8_S8_S9_S9_EESK_S10_SL_SM_SN_EUlS10_E1_NS1_11comp_targetILNS1_3genE3ELNS1_11target_archE908ELNS1_3gpuE7ELNS1_3repE0EEENS1_36merge_oddeven_config_static_selectorELNS0_4arch9wavefront6targetE1EEEvSM_.uses_vcc, 0
	.set _ZN7rocprim17ROCPRIM_400000_NS6detail17trampoline_kernelINS0_14default_configENS1_38merge_sort_block_merge_config_selectorIlNS0_10empty_typeEEEZZNS1_27merge_sort_block_merge_implIS3_PlPS5_mZN2at6native12_GLOBAL__N_124unique_dim_cuda_templateIdEESt5tupleIJNSA_6TensorESF_SF_EERKSF_lbbbEUlllE_EE10hipError_tT0_T1_T2_jT3_P12ihipStream_tbPNSt15iterator_traitsISL_E10value_typeEPNSR_ISM_E10value_typeEPSN_NS1_7vsmem_tEENKUlT_SL_SM_SN_E_clIS8_S8_S9_S9_EESK_S10_SL_SM_SN_EUlS10_E1_NS1_11comp_targetILNS1_3genE3ELNS1_11target_archE908ELNS1_3gpuE7ELNS1_3repE0EEENS1_36merge_oddeven_config_static_selectorELNS0_4arch9wavefront6targetE1EEEvSM_.uses_flat_scratch, 0
	.set _ZN7rocprim17ROCPRIM_400000_NS6detail17trampoline_kernelINS0_14default_configENS1_38merge_sort_block_merge_config_selectorIlNS0_10empty_typeEEEZZNS1_27merge_sort_block_merge_implIS3_PlPS5_mZN2at6native12_GLOBAL__N_124unique_dim_cuda_templateIdEESt5tupleIJNSA_6TensorESF_SF_EERKSF_lbbbEUlllE_EE10hipError_tT0_T1_T2_jT3_P12ihipStream_tbPNSt15iterator_traitsISL_E10value_typeEPNSR_ISM_E10value_typeEPSN_NS1_7vsmem_tEENKUlT_SL_SM_SN_E_clIS8_S8_S9_S9_EESK_S10_SL_SM_SN_EUlS10_E1_NS1_11comp_targetILNS1_3genE3ELNS1_11target_archE908ELNS1_3gpuE7ELNS1_3repE0EEENS1_36merge_oddeven_config_static_selectorELNS0_4arch9wavefront6targetE1EEEvSM_.has_dyn_sized_stack, 0
	.set _ZN7rocprim17ROCPRIM_400000_NS6detail17trampoline_kernelINS0_14default_configENS1_38merge_sort_block_merge_config_selectorIlNS0_10empty_typeEEEZZNS1_27merge_sort_block_merge_implIS3_PlPS5_mZN2at6native12_GLOBAL__N_124unique_dim_cuda_templateIdEESt5tupleIJNSA_6TensorESF_SF_EERKSF_lbbbEUlllE_EE10hipError_tT0_T1_T2_jT3_P12ihipStream_tbPNSt15iterator_traitsISL_E10value_typeEPNSR_ISM_E10value_typeEPSN_NS1_7vsmem_tEENKUlT_SL_SM_SN_E_clIS8_S8_S9_S9_EESK_S10_SL_SM_SN_EUlS10_E1_NS1_11comp_targetILNS1_3genE3ELNS1_11target_archE908ELNS1_3gpuE7ELNS1_3repE0EEENS1_36merge_oddeven_config_static_selectorELNS0_4arch9wavefront6targetE1EEEvSM_.has_recursion, 0
	.set _ZN7rocprim17ROCPRIM_400000_NS6detail17trampoline_kernelINS0_14default_configENS1_38merge_sort_block_merge_config_selectorIlNS0_10empty_typeEEEZZNS1_27merge_sort_block_merge_implIS3_PlPS5_mZN2at6native12_GLOBAL__N_124unique_dim_cuda_templateIdEESt5tupleIJNSA_6TensorESF_SF_EERKSF_lbbbEUlllE_EE10hipError_tT0_T1_T2_jT3_P12ihipStream_tbPNSt15iterator_traitsISL_E10value_typeEPNSR_ISM_E10value_typeEPSN_NS1_7vsmem_tEENKUlT_SL_SM_SN_E_clIS8_S8_S9_S9_EESK_S10_SL_SM_SN_EUlS10_E1_NS1_11comp_targetILNS1_3genE3ELNS1_11target_archE908ELNS1_3gpuE7ELNS1_3repE0EEENS1_36merge_oddeven_config_static_selectorELNS0_4arch9wavefront6targetE1EEEvSM_.has_indirect_call, 0
	.section	.AMDGPU.csdata,"",@progbits
; Kernel info:
; codeLenInByte = 0
; TotalNumSgprs: 6
; NumVgprs: 0
; NumAgprs: 0
; TotalNumVgprs: 0
; ScratchSize: 0
; MemoryBound: 0
; FloatMode: 240
; IeeeMode: 1
; LDSByteSize: 0 bytes/workgroup (compile time only)
; SGPRBlocks: 0
; VGPRBlocks: 0
; NumSGPRsForWavesPerEU: 6
; NumVGPRsForWavesPerEU: 1
; AccumOffset: 4
; Occupancy: 8
; WaveLimiterHint : 0
; COMPUTE_PGM_RSRC2:SCRATCH_EN: 0
; COMPUTE_PGM_RSRC2:USER_SGPR: 2
; COMPUTE_PGM_RSRC2:TRAP_HANDLER: 0
; COMPUTE_PGM_RSRC2:TGID_X_EN: 1
; COMPUTE_PGM_RSRC2:TGID_Y_EN: 0
; COMPUTE_PGM_RSRC2:TGID_Z_EN: 0
; COMPUTE_PGM_RSRC2:TIDIG_COMP_CNT: 0
; COMPUTE_PGM_RSRC3_GFX90A:ACCUM_OFFSET: 0
; COMPUTE_PGM_RSRC3_GFX90A:TG_SPLIT: 0
	.section	.text._ZN7rocprim17ROCPRIM_400000_NS6detail17trampoline_kernelINS0_14default_configENS1_38merge_sort_block_merge_config_selectorIlNS0_10empty_typeEEEZZNS1_27merge_sort_block_merge_implIS3_PlPS5_mZN2at6native12_GLOBAL__N_124unique_dim_cuda_templateIdEESt5tupleIJNSA_6TensorESF_SF_EERKSF_lbbbEUlllE_EE10hipError_tT0_T1_T2_jT3_P12ihipStream_tbPNSt15iterator_traitsISL_E10value_typeEPNSR_ISM_E10value_typeEPSN_NS1_7vsmem_tEENKUlT_SL_SM_SN_E_clIS8_S8_S9_S9_EESK_S10_SL_SM_SN_EUlS10_E1_NS1_11comp_targetILNS1_3genE2ELNS1_11target_archE906ELNS1_3gpuE6ELNS1_3repE0EEENS1_36merge_oddeven_config_static_selectorELNS0_4arch9wavefront6targetE1EEEvSM_,"axG",@progbits,_ZN7rocprim17ROCPRIM_400000_NS6detail17trampoline_kernelINS0_14default_configENS1_38merge_sort_block_merge_config_selectorIlNS0_10empty_typeEEEZZNS1_27merge_sort_block_merge_implIS3_PlPS5_mZN2at6native12_GLOBAL__N_124unique_dim_cuda_templateIdEESt5tupleIJNSA_6TensorESF_SF_EERKSF_lbbbEUlllE_EE10hipError_tT0_T1_T2_jT3_P12ihipStream_tbPNSt15iterator_traitsISL_E10value_typeEPNSR_ISM_E10value_typeEPSN_NS1_7vsmem_tEENKUlT_SL_SM_SN_E_clIS8_S8_S9_S9_EESK_S10_SL_SM_SN_EUlS10_E1_NS1_11comp_targetILNS1_3genE2ELNS1_11target_archE906ELNS1_3gpuE6ELNS1_3repE0EEENS1_36merge_oddeven_config_static_selectorELNS0_4arch9wavefront6targetE1EEEvSM_,comdat
	.globl	_ZN7rocprim17ROCPRIM_400000_NS6detail17trampoline_kernelINS0_14default_configENS1_38merge_sort_block_merge_config_selectorIlNS0_10empty_typeEEEZZNS1_27merge_sort_block_merge_implIS3_PlPS5_mZN2at6native12_GLOBAL__N_124unique_dim_cuda_templateIdEESt5tupleIJNSA_6TensorESF_SF_EERKSF_lbbbEUlllE_EE10hipError_tT0_T1_T2_jT3_P12ihipStream_tbPNSt15iterator_traitsISL_E10value_typeEPNSR_ISM_E10value_typeEPSN_NS1_7vsmem_tEENKUlT_SL_SM_SN_E_clIS8_S8_S9_S9_EESK_S10_SL_SM_SN_EUlS10_E1_NS1_11comp_targetILNS1_3genE2ELNS1_11target_archE906ELNS1_3gpuE6ELNS1_3repE0EEENS1_36merge_oddeven_config_static_selectorELNS0_4arch9wavefront6targetE1EEEvSM_ ; -- Begin function _ZN7rocprim17ROCPRIM_400000_NS6detail17trampoline_kernelINS0_14default_configENS1_38merge_sort_block_merge_config_selectorIlNS0_10empty_typeEEEZZNS1_27merge_sort_block_merge_implIS3_PlPS5_mZN2at6native12_GLOBAL__N_124unique_dim_cuda_templateIdEESt5tupleIJNSA_6TensorESF_SF_EERKSF_lbbbEUlllE_EE10hipError_tT0_T1_T2_jT3_P12ihipStream_tbPNSt15iterator_traitsISL_E10value_typeEPNSR_ISM_E10value_typeEPSN_NS1_7vsmem_tEENKUlT_SL_SM_SN_E_clIS8_S8_S9_S9_EESK_S10_SL_SM_SN_EUlS10_E1_NS1_11comp_targetILNS1_3genE2ELNS1_11target_archE906ELNS1_3gpuE6ELNS1_3repE0EEENS1_36merge_oddeven_config_static_selectorELNS0_4arch9wavefront6targetE1EEEvSM_
	.p2align	8
	.type	_ZN7rocprim17ROCPRIM_400000_NS6detail17trampoline_kernelINS0_14default_configENS1_38merge_sort_block_merge_config_selectorIlNS0_10empty_typeEEEZZNS1_27merge_sort_block_merge_implIS3_PlPS5_mZN2at6native12_GLOBAL__N_124unique_dim_cuda_templateIdEESt5tupleIJNSA_6TensorESF_SF_EERKSF_lbbbEUlllE_EE10hipError_tT0_T1_T2_jT3_P12ihipStream_tbPNSt15iterator_traitsISL_E10value_typeEPNSR_ISM_E10value_typeEPSN_NS1_7vsmem_tEENKUlT_SL_SM_SN_E_clIS8_S8_S9_S9_EESK_S10_SL_SM_SN_EUlS10_E1_NS1_11comp_targetILNS1_3genE2ELNS1_11target_archE906ELNS1_3gpuE6ELNS1_3repE0EEENS1_36merge_oddeven_config_static_selectorELNS0_4arch9wavefront6targetE1EEEvSM_,@function
_ZN7rocprim17ROCPRIM_400000_NS6detail17trampoline_kernelINS0_14default_configENS1_38merge_sort_block_merge_config_selectorIlNS0_10empty_typeEEEZZNS1_27merge_sort_block_merge_implIS3_PlPS5_mZN2at6native12_GLOBAL__N_124unique_dim_cuda_templateIdEESt5tupleIJNSA_6TensorESF_SF_EERKSF_lbbbEUlllE_EE10hipError_tT0_T1_T2_jT3_P12ihipStream_tbPNSt15iterator_traitsISL_E10value_typeEPNSR_ISM_E10value_typeEPSN_NS1_7vsmem_tEENKUlT_SL_SM_SN_E_clIS8_S8_S9_S9_EESK_S10_SL_SM_SN_EUlS10_E1_NS1_11comp_targetILNS1_3genE2ELNS1_11target_archE906ELNS1_3gpuE6ELNS1_3repE0EEENS1_36merge_oddeven_config_static_selectorELNS0_4arch9wavefront6targetE1EEEvSM_: ; @_ZN7rocprim17ROCPRIM_400000_NS6detail17trampoline_kernelINS0_14default_configENS1_38merge_sort_block_merge_config_selectorIlNS0_10empty_typeEEEZZNS1_27merge_sort_block_merge_implIS3_PlPS5_mZN2at6native12_GLOBAL__N_124unique_dim_cuda_templateIdEESt5tupleIJNSA_6TensorESF_SF_EERKSF_lbbbEUlllE_EE10hipError_tT0_T1_T2_jT3_P12ihipStream_tbPNSt15iterator_traitsISL_E10value_typeEPNSR_ISM_E10value_typeEPSN_NS1_7vsmem_tEENKUlT_SL_SM_SN_E_clIS8_S8_S9_S9_EESK_S10_SL_SM_SN_EUlS10_E1_NS1_11comp_targetILNS1_3genE2ELNS1_11target_archE906ELNS1_3gpuE6ELNS1_3repE0EEENS1_36merge_oddeven_config_static_selectorELNS0_4arch9wavefront6targetE1EEEvSM_
; %bb.0:
	.section	.rodata,"a",@progbits
	.p2align	6, 0x0
	.amdhsa_kernel _ZN7rocprim17ROCPRIM_400000_NS6detail17trampoline_kernelINS0_14default_configENS1_38merge_sort_block_merge_config_selectorIlNS0_10empty_typeEEEZZNS1_27merge_sort_block_merge_implIS3_PlPS5_mZN2at6native12_GLOBAL__N_124unique_dim_cuda_templateIdEESt5tupleIJNSA_6TensorESF_SF_EERKSF_lbbbEUlllE_EE10hipError_tT0_T1_T2_jT3_P12ihipStream_tbPNSt15iterator_traitsISL_E10value_typeEPNSR_ISM_E10value_typeEPSN_NS1_7vsmem_tEENKUlT_SL_SM_SN_E_clIS8_S8_S9_S9_EESK_S10_SL_SM_SN_EUlS10_E1_NS1_11comp_targetILNS1_3genE2ELNS1_11target_archE906ELNS1_3gpuE6ELNS1_3repE0EEENS1_36merge_oddeven_config_static_selectorELNS0_4arch9wavefront6targetE1EEEvSM_
		.amdhsa_group_segment_fixed_size 0
		.amdhsa_private_segment_fixed_size 0
		.amdhsa_kernarg_size 64
		.amdhsa_user_sgpr_count 2
		.amdhsa_user_sgpr_dispatch_ptr 0
		.amdhsa_user_sgpr_queue_ptr 0
		.amdhsa_user_sgpr_kernarg_segment_ptr 1
		.amdhsa_user_sgpr_dispatch_id 0
		.amdhsa_user_sgpr_kernarg_preload_length 0
		.amdhsa_user_sgpr_kernarg_preload_offset 0
		.amdhsa_user_sgpr_private_segment_size 0
		.amdhsa_uses_dynamic_stack 0
		.amdhsa_enable_private_segment 0
		.amdhsa_system_sgpr_workgroup_id_x 1
		.amdhsa_system_sgpr_workgroup_id_y 0
		.amdhsa_system_sgpr_workgroup_id_z 0
		.amdhsa_system_sgpr_workgroup_info 0
		.amdhsa_system_vgpr_workitem_id 0
		.amdhsa_next_free_vgpr 1
		.amdhsa_next_free_sgpr 0
		.amdhsa_accum_offset 4
		.amdhsa_reserve_vcc 0
		.amdhsa_float_round_mode_32 0
		.amdhsa_float_round_mode_16_64 0
		.amdhsa_float_denorm_mode_32 3
		.amdhsa_float_denorm_mode_16_64 3
		.amdhsa_dx10_clamp 1
		.amdhsa_ieee_mode 1
		.amdhsa_fp16_overflow 0
		.amdhsa_tg_split 0
		.amdhsa_exception_fp_ieee_invalid_op 0
		.amdhsa_exception_fp_denorm_src 0
		.amdhsa_exception_fp_ieee_div_zero 0
		.amdhsa_exception_fp_ieee_overflow 0
		.amdhsa_exception_fp_ieee_underflow 0
		.amdhsa_exception_fp_ieee_inexact 0
		.amdhsa_exception_int_div_zero 0
	.end_amdhsa_kernel
	.section	.text._ZN7rocprim17ROCPRIM_400000_NS6detail17trampoline_kernelINS0_14default_configENS1_38merge_sort_block_merge_config_selectorIlNS0_10empty_typeEEEZZNS1_27merge_sort_block_merge_implIS3_PlPS5_mZN2at6native12_GLOBAL__N_124unique_dim_cuda_templateIdEESt5tupleIJNSA_6TensorESF_SF_EERKSF_lbbbEUlllE_EE10hipError_tT0_T1_T2_jT3_P12ihipStream_tbPNSt15iterator_traitsISL_E10value_typeEPNSR_ISM_E10value_typeEPSN_NS1_7vsmem_tEENKUlT_SL_SM_SN_E_clIS8_S8_S9_S9_EESK_S10_SL_SM_SN_EUlS10_E1_NS1_11comp_targetILNS1_3genE2ELNS1_11target_archE906ELNS1_3gpuE6ELNS1_3repE0EEENS1_36merge_oddeven_config_static_selectorELNS0_4arch9wavefront6targetE1EEEvSM_,"axG",@progbits,_ZN7rocprim17ROCPRIM_400000_NS6detail17trampoline_kernelINS0_14default_configENS1_38merge_sort_block_merge_config_selectorIlNS0_10empty_typeEEEZZNS1_27merge_sort_block_merge_implIS3_PlPS5_mZN2at6native12_GLOBAL__N_124unique_dim_cuda_templateIdEESt5tupleIJNSA_6TensorESF_SF_EERKSF_lbbbEUlllE_EE10hipError_tT0_T1_T2_jT3_P12ihipStream_tbPNSt15iterator_traitsISL_E10value_typeEPNSR_ISM_E10value_typeEPSN_NS1_7vsmem_tEENKUlT_SL_SM_SN_E_clIS8_S8_S9_S9_EESK_S10_SL_SM_SN_EUlS10_E1_NS1_11comp_targetILNS1_3genE2ELNS1_11target_archE906ELNS1_3gpuE6ELNS1_3repE0EEENS1_36merge_oddeven_config_static_selectorELNS0_4arch9wavefront6targetE1EEEvSM_,comdat
.Lfunc_end779:
	.size	_ZN7rocprim17ROCPRIM_400000_NS6detail17trampoline_kernelINS0_14default_configENS1_38merge_sort_block_merge_config_selectorIlNS0_10empty_typeEEEZZNS1_27merge_sort_block_merge_implIS3_PlPS5_mZN2at6native12_GLOBAL__N_124unique_dim_cuda_templateIdEESt5tupleIJNSA_6TensorESF_SF_EERKSF_lbbbEUlllE_EE10hipError_tT0_T1_T2_jT3_P12ihipStream_tbPNSt15iterator_traitsISL_E10value_typeEPNSR_ISM_E10value_typeEPSN_NS1_7vsmem_tEENKUlT_SL_SM_SN_E_clIS8_S8_S9_S9_EESK_S10_SL_SM_SN_EUlS10_E1_NS1_11comp_targetILNS1_3genE2ELNS1_11target_archE906ELNS1_3gpuE6ELNS1_3repE0EEENS1_36merge_oddeven_config_static_selectorELNS0_4arch9wavefront6targetE1EEEvSM_, .Lfunc_end779-_ZN7rocprim17ROCPRIM_400000_NS6detail17trampoline_kernelINS0_14default_configENS1_38merge_sort_block_merge_config_selectorIlNS0_10empty_typeEEEZZNS1_27merge_sort_block_merge_implIS3_PlPS5_mZN2at6native12_GLOBAL__N_124unique_dim_cuda_templateIdEESt5tupleIJNSA_6TensorESF_SF_EERKSF_lbbbEUlllE_EE10hipError_tT0_T1_T2_jT3_P12ihipStream_tbPNSt15iterator_traitsISL_E10value_typeEPNSR_ISM_E10value_typeEPSN_NS1_7vsmem_tEENKUlT_SL_SM_SN_E_clIS8_S8_S9_S9_EESK_S10_SL_SM_SN_EUlS10_E1_NS1_11comp_targetILNS1_3genE2ELNS1_11target_archE906ELNS1_3gpuE6ELNS1_3repE0EEENS1_36merge_oddeven_config_static_selectorELNS0_4arch9wavefront6targetE1EEEvSM_
                                        ; -- End function
	.set _ZN7rocprim17ROCPRIM_400000_NS6detail17trampoline_kernelINS0_14default_configENS1_38merge_sort_block_merge_config_selectorIlNS0_10empty_typeEEEZZNS1_27merge_sort_block_merge_implIS3_PlPS5_mZN2at6native12_GLOBAL__N_124unique_dim_cuda_templateIdEESt5tupleIJNSA_6TensorESF_SF_EERKSF_lbbbEUlllE_EE10hipError_tT0_T1_T2_jT3_P12ihipStream_tbPNSt15iterator_traitsISL_E10value_typeEPNSR_ISM_E10value_typeEPSN_NS1_7vsmem_tEENKUlT_SL_SM_SN_E_clIS8_S8_S9_S9_EESK_S10_SL_SM_SN_EUlS10_E1_NS1_11comp_targetILNS1_3genE2ELNS1_11target_archE906ELNS1_3gpuE6ELNS1_3repE0EEENS1_36merge_oddeven_config_static_selectorELNS0_4arch9wavefront6targetE1EEEvSM_.num_vgpr, 0
	.set _ZN7rocprim17ROCPRIM_400000_NS6detail17trampoline_kernelINS0_14default_configENS1_38merge_sort_block_merge_config_selectorIlNS0_10empty_typeEEEZZNS1_27merge_sort_block_merge_implIS3_PlPS5_mZN2at6native12_GLOBAL__N_124unique_dim_cuda_templateIdEESt5tupleIJNSA_6TensorESF_SF_EERKSF_lbbbEUlllE_EE10hipError_tT0_T1_T2_jT3_P12ihipStream_tbPNSt15iterator_traitsISL_E10value_typeEPNSR_ISM_E10value_typeEPSN_NS1_7vsmem_tEENKUlT_SL_SM_SN_E_clIS8_S8_S9_S9_EESK_S10_SL_SM_SN_EUlS10_E1_NS1_11comp_targetILNS1_3genE2ELNS1_11target_archE906ELNS1_3gpuE6ELNS1_3repE0EEENS1_36merge_oddeven_config_static_selectorELNS0_4arch9wavefront6targetE1EEEvSM_.num_agpr, 0
	.set _ZN7rocprim17ROCPRIM_400000_NS6detail17trampoline_kernelINS0_14default_configENS1_38merge_sort_block_merge_config_selectorIlNS0_10empty_typeEEEZZNS1_27merge_sort_block_merge_implIS3_PlPS5_mZN2at6native12_GLOBAL__N_124unique_dim_cuda_templateIdEESt5tupleIJNSA_6TensorESF_SF_EERKSF_lbbbEUlllE_EE10hipError_tT0_T1_T2_jT3_P12ihipStream_tbPNSt15iterator_traitsISL_E10value_typeEPNSR_ISM_E10value_typeEPSN_NS1_7vsmem_tEENKUlT_SL_SM_SN_E_clIS8_S8_S9_S9_EESK_S10_SL_SM_SN_EUlS10_E1_NS1_11comp_targetILNS1_3genE2ELNS1_11target_archE906ELNS1_3gpuE6ELNS1_3repE0EEENS1_36merge_oddeven_config_static_selectorELNS0_4arch9wavefront6targetE1EEEvSM_.numbered_sgpr, 0
	.set _ZN7rocprim17ROCPRIM_400000_NS6detail17trampoline_kernelINS0_14default_configENS1_38merge_sort_block_merge_config_selectorIlNS0_10empty_typeEEEZZNS1_27merge_sort_block_merge_implIS3_PlPS5_mZN2at6native12_GLOBAL__N_124unique_dim_cuda_templateIdEESt5tupleIJNSA_6TensorESF_SF_EERKSF_lbbbEUlllE_EE10hipError_tT0_T1_T2_jT3_P12ihipStream_tbPNSt15iterator_traitsISL_E10value_typeEPNSR_ISM_E10value_typeEPSN_NS1_7vsmem_tEENKUlT_SL_SM_SN_E_clIS8_S8_S9_S9_EESK_S10_SL_SM_SN_EUlS10_E1_NS1_11comp_targetILNS1_3genE2ELNS1_11target_archE906ELNS1_3gpuE6ELNS1_3repE0EEENS1_36merge_oddeven_config_static_selectorELNS0_4arch9wavefront6targetE1EEEvSM_.num_named_barrier, 0
	.set _ZN7rocprim17ROCPRIM_400000_NS6detail17trampoline_kernelINS0_14default_configENS1_38merge_sort_block_merge_config_selectorIlNS0_10empty_typeEEEZZNS1_27merge_sort_block_merge_implIS3_PlPS5_mZN2at6native12_GLOBAL__N_124unique_dim_cuda_templateIdEESt5tupleIJNSA_6TensorESF_SF_EERKSF_lbbbEUlllE_EE10hipError_tT0_T1_T2_jT3_P12ihipStream_tbPNSt15iterator_traitsISL_E10value_typeEPNSR_ISM_E10value_typeEPSN_NS1_7vsmem_tEENKUlT_SL_SM_SN_E_clIS8_S8_S9_S9_EESK_S10_SL_SM_SN_EUlS10_E1_NS1_11comp_targetILNS1_3genE2ELNS1_11target_archE906ELNS1_3gpuE6ELNS1_3repE0EEENS1_36merge_oddeven_config_static_selectorELNS0_4arch9wavefront6targetE1EEEvSM_.private_seg_size, 0
	.set _ZN7rocprim17ROCPRIM_400000_NS6detail17trampoline_kernelINS0_14default_configENS1_38merge_sort_block_merge_config_selectorIlNS0_10empty_typeEEEZZNS1_27merge_sort_block_merge_implIS3_PlPS5_mZN2at6native12_GLOBAL__N_124unique_dim_cuda_templateIdEESt5tupleIJNSA_6TensorESF_SF_EERKSF_lbbbEUlllE_EE10hipError_tT0_T1_T2_jT3_P12ihipStream_tbPNSt15iterator_traitsISL_E10value_typeEPNSR_ISM_E10value_typeEPSN_NS1_7vsmem_tEENKUlT_SL_SM_SN_E_clIS8_S8_S9_S9_EESK_S10_SL_SM_SN_EUlS10_E1_NS1_11comp_targetILNS1_3genE2ELNS1_11target_archE906ELNS1_3gpuE6ELNS1_3repE0EEENS1_36merge_oddeven_config_static_selectorELNS0_4arch9wavefront6targetE1EEEvSM_.uses_vcc, 0
	.set _ZN7rocprim17ROCPRIM_400000_NS6detail17trampoline_kernelINS0_14default_configENS1_38merge_sort_block_merge_config_selectorIlNS0_10empty_typeEEEZZNS1_27merge_sort_block_merge_implIS3_PlPS5_mZN2at6native12_GLOBAL__N_124unique_dim_cuda_templateIdEESt5tupleIJNSA_6TensorESF_SF_EERKSF_lbbbEUlllE_EE10hipError_tT0_T1_T2_jT3_P12ihipStream_tbPNSt15iterator_traitsISL_E10value_typeEPNSR_ISM_E10value_typeEPSN_NS1_7vsmem_tEENKUlT_SL_SM_SN_E_clIS8_S8_S9_S9_EESK_S10_SL_SM_SN_EUlS10_E1_NS1_11comp_targetILNS1_3genE2ELNS1_11target_archE906ELNS1_3gpuE6ELNS1_3repE0EEENS1_36merge_oddeven_config_static_selectorELNS0_4arch9wavefront6targetE1EEEvSM_.uses_flat_scratch, 0
	.set _ZN7rocprim17ROCPRIM_400000_NS6detail17trampoline_kernelINS0_14default_configENS1_38merge_sort_block_merge_config_selectorIlNS0_10empty_typeEEEZZNS1_27merge_sort_block_merge_implIS3_PlPS5_mZN2at6native12_GLOBAL__N_124unique_dim_cuda_templateIdEESt5tupleIJNSA_6TensorESF_SF_EERKSF_lbbbEUlllE_EE10hipError_tT0_T1_T2_jT3_P12ihipStream_tbPNSt15iterator_traitsISL_E10value_typeEPNSR_ISM_E10value_typeEPSN_NS1_7vsmem_tEENKUlT_SL_SM_SN_E_clIS8_S8_S9_S9_EESK_S10_SL_SM_SN_EUlS10_E1_NS1_11comp_targetILNS1_3genE2ELNS1_11target_archE906ELNS1_3gpuE6ELNS1_3repE0EEENS1_36merge_oddeven_config_static_selectorELNS0_4arch9wavefront6targetE1EEEvSM_.has_dyn_sized_stack, 0
	.set _ZN7rocprim17ROCPRIM_400000_NS6detail17trampoline_kernelINS0_14default_configENS1_38merge_sort_block_merge_config_selectorIlNS0_10empty_typeEEEZZNS1_27merge_sort_block_merge_implIS3_PlPS5_mZN2at6native12_GLOBAL__N_124unique_dim_cuda_templateIdEESt5tupleIJNSA_6TensorESF_SF_EERKSF_lbbbEUlllE_EE10hipError_tT0_T1_T2_jT3_P12ihipStream_tbPNSt15iterator_traitsISL_E10value_typeEPNSR_ISM_E10value_typeEPSN_NS1_7vsmem_tEENKUlT_SL_SM_SN_E_clIS8_S8_S9_S9_EESK_S10_SL_SM_SN_EUlS10_E1_NS1_11comp_targetILNS1_3genE2ELNS1_11target_archE906ELNS1_3gpuE6ELNS1_3repE0EEENS1_36merge_oddeven_config_static_selectorELNS0_4arch9wavefront6targetE1EEEvSM_.has_recursion, 0
	.set _ZN7rocprim17ROCPRIM_400000_NS6detail17trampoline_kernelINS0_14default_configENS1_38merge_sort_block_merge_config_selectorIlNS0_10empty_typeEEEZZNS1_27merge_sort_block_merge_implIS3_PlPS5_mZN2at6native12_GLOBAL__N_124unique_dim_cuda_templateIdEESt5tupleIJNSA_6TensorESF_SF_EERKSF_lbbbEUlllE_EE10hipError_tT0_T1_T2_jT3_P12ihipStream_tbPNSt15iterator_traitsISL_E10value_typeEPNSR_ISM_E10value_typeEPSN_NS1_7vsmem_tEENKUlT_SL_SM_SN_E_clIS8_S8_S9_S9_EESK_S10_SL_SM_SN_EUlS10_E1_NS1_11comp_targetILNS1_3genE2ELNS1_11target_archE906ELNS1_3gpuE6ELNS1_3repE0EEENS1_36merge_oddeven_config_static_selectorELNS0_4arch9wavefront6targetE1EEEvSM_.has_indirect_call, 0
	.section	.AMDGPU.csdata,"",@progbits
; Kernel info:
; codeLenInByte = 0
; TotalNumSgprs: 6
; NumVgprs: 0
; NumAgprs: 0
; TotalNumVgprs: 0
; ScratchSize: 0
; MemoryBound: 0
; FloatMode: 240
; IeeeMode: 1
; LDSByteSize: 0 bytes/workgroup (compile time only)
; SGPRBlocks: 0
; VGPRBlocks: 0
; NumSGPRsForWavesPerEU: 6
; NumVGPRsForWavesPerEU: 1
; AccumOffset: 4
; Occupancy: 8
; WaveLimiterHint : 0
; COMPUTE_PGM_RSRC2:SCRATCH_EN: 0
; COMPUTE_PGM_RSRC2:USER_SGPR: 2
; COMPUTE_PGM_RSRC2:TRAP_HANDLER: 0
; COMPUTE_PGM_RSRC2:TGID_X_EN: 1
; COMPUTE_PGM_RSRC2:TGID_Y_EN: 0
; COMPUTE_PGM_RSRC2:TGID_Z_EN: 0
; COMPUTE_PGM_RSRC2:TIDIG_COMP_CNT: 0
; COMPUTE_PGM_RSRC3_GFX90A:ACCUM_OFFSET: 0
; COMPUTE_PGM_RSRC3_GFX90A:TG_SPLIT: 0
	.section	.text._ZN7rocprim17ROCPRIM_400000_NS6detail17trampoline_kernelINS0_14default_configENS1_38merge_sort_block_merge_config_selectorIlNS0_10empty_typeEEEZZNS1_27merge_sort_block_merge_implIS3_PlPS5_mZN2at6native12_GLOBAL__N_124unique_dim_cuda_templateIdEESt5tupleIJNSA_6TensorESF_SF_EERKSF_lbbbEUlllE_EE10hipError_tT0_T1_T2_jT3_P12ihipStream_tbPNSt15iterator_traitsISL_E10value_typeEPNSR_ISM_E10value_typeEPSN_NS1_7vsmem_tEENKUlT_SL_SM_SN_E_clIS8_S8_S9_S9_EESK_S10_SL_SM_SN_EUlS10_E1_NS1_11comp_targetILNS1_3genE9ELNS1_11target_archE1100ELNS1_3gpuE3ELNS1_3repE0EEENS1_36merge_oddeven_config_static_selectorELNS0_4arch9wavefront6targetE1EEEvSM_,"axG",@progbits,_ZN7rocprim17ROCPRIM_400000_NS6detail17trampoline_kernelINS0_14default_configENS1_38merge_sort_block_merge_config_selectorIlNS0_10empty_typeEEEZZNS1_27merge_sort_block_merge_implIS3_PlPS5_mZN2at6native12_GLOBAL__N_124unique_dim_cuda_templateIdEESt5tupleIJNSA_6TensorESF_SF_EERKSF_lbbbEUlllE_EE10hipError_tT0_T1_T2_jT3_P12ihipStream_tbPNSt15iterator_traitsISL_E10value_typeEPNSR_ISM_E10value_typeEPSN_NS1_7vsmem_tEENKUlT_SL_SM_SN_E_clIS8_S8_S9_S9_EESK_S10_SL_SM_SN_EUlS10_E1_NS1_11comp_targetILNS1_3genE9ELNS1_11target_archE1100ELNS1_3gpuE3ELNS1_3repE0EEENS1_36merge_oddeven_config_static_selectorELNS0_4arch9wavefront6targetE1EEEvSM_,comdat
	.globl	_ZN7rocprim17ROCPRIM_400000_NS6detail17trampoline_kernelINS0_14default_configENS1_38merge_sort_block_merge_config_selectorIlNS0_10empty_typeEEEZZNS1_27merge_sort_block_merge_implIS3_PlPS5_mZN2at6native12_GLOBAL__N_124unique_dim_cuda_templateIdEESt5tupleIJNSA_6TensorESF_SF_EERKSF_lbbbEUlllE_EE10hipError_tT0_T1_T2_jT3_P12ihipStream_tbPNSt15iterator_traitsISL_E10value_typeEPNSR_ISM_E10value_typeEPSN_NS1_7vsmem_tEENKUlT_SL_SM_SN_E_clIS8_S8_S9_S9_EESK_S10_SL_SM_SN_EUlS10_E1_NS1_11comp_targetILNS1_3genE9ELNS1_11target_archE1100ELNS1_3gpuE3ELNS1_3repE0EEENS1_36merge_oddeven_config_static_selectorELNS0_4arch9wavefront6targetE1EEEvSM_ ; -- Begin function _ZN7rocprim17ROCPRIM_400000_NS6detail17trampoline_kernelINS0_14default_configENS1_38merge_sort_block_merge_config_selectorIlNS0_10empty_typeEEEZZNS1_27merge_sort_block_merge_implIS3_PlPS5_mZN2at6native12_GLOBAL__N_124unique_dim_cuda_templateIdEESt5tupleIJNSA_6TensorESF_SF_EERKSF_lbbbEUlllE_EE10hipError_tT0_T1_T2_jT3_P12ihipStream_tbPNSt15iterator_traitsISL_E10value_typeEPNSR_ISM_E10value_typeEPSN_NS1_7vsmem_tEENKUlT_SL_SM_SN_E_clIS8_S8_S9_S9_EESK_S10_SL_SM_SN_EUlS10_E1_NS1_11comp_targetILNS1_3genE9ELNS1_11target_archE1100ELNS1_3gpuE3ELNS1_3repE0EEENS1_36merge_oddeven_config_static_selectorELNS0_4arch9wavefront6targetE1EEEvSM_
	.p2align	8
	.type	_ZN7rocprim17ROCPRIM_400000_NS6detail17trampoline_kernelINS0_14default_configENS1_38merge_sort_block_merge_config_selectorIlNS0_10empty_typeEEEZZNS1_27merge_sort_block_merge_implIS3_PlPS5_mZN2at6native12_GLOBAL__N_124unique_dim_cuda_templateIdEESt5tupleIJNSA_6TensorESF_SF_EERKSF_lbbbEUlllE_EE10hipError_tT0_T1_T2_jT3_P12ihipStream_tbPNSt15iterator_traitsISL_E10value_typeEPNSR_ISM_E10value_typeEPSN_NS1_7vsmem_tEENKUlT_SL_SM_SN_E_clIS8_S8_S9_S9_EESK_S10_SL_SM_SN_EUlS10_E1_NS1_11comp_targetILNS1_3genE9ELNS1_11target_archE1100ELNS1_3gpuE3ELNS1_3repE0EEENS1_36merge_oddeven_config_static_selectorELNS0_4arch9wavefront6targetE1EEEvSM_,@function
_ZN7rocprim17ROCPRIM_400000_NS6detail17trampoline_kernelINS0_14default_configENS1_38merge_sort_block_merge_config_selectorIlNS0_10empty_typeEEEZZNS1_27merge_sort_block_merge_implIS3_PlPS5_mZN2at6native12_GLOBAL__N_124unique_dim_cuda_templateIdEESt5tupleIJNSA_6TensorESF_SF_EERKSF_lbbbEUlllE_EE10hipError_tT0_T1_T2_jT3_P12ihipStream_tbPNSt15iterator_traitsISL_E10value_typeEPNSR_ISM_E10value_typeEPSN_NS1_7vsmem_tEENKUlT_SL_SM_SN_E_clIS8_S8_S9_S9_EESK_S10_SL_SM_SN_EUlS10_E1_NS1_11comp_targetILNS1_3genE9ELNS1_11target_archE1100ELNS1_3gpuE3ELNS1_3repE0EEENS1_36merge_oddeven_config_static_selectorELNS0_4arch9wavefront6targetE1EEEvSM_: ; @_ZN7rocprim17ROCPRIM_400000_NS6detail17trampoline_kernelINS0_14default_configENS1_38merge_sort_block_merge_config_selectorIlNS0_10empty_typeEEEZZNS1_27merge_sort_block_merge_implIS3_PlPS5_mZN2at6native12_GLOBAL__N_124unique_dim_cuda_templateIdEESt5tupleIJNSA_6TensorESF_SF_EERKSF_lbbbEUlllE_EE10hipError_tT0_T1_T2_jT3_P12ihipStream_tbPNSt15iterator_traitsISL_E10value_typeEPNSR_ISM_E10value_typeEPSN_NS1_7vsmem_tEENKUlT_SL_SM_SN_E_clIS8_S8_S9_S9_EESK_S10_SL_SM_SN_EUlS10_E1_NS1_11comp_targetILNS1_3genE9ELNS1_11target_archE1100ELNS1_3gpuE3ELNS1_3repE0EEENS1_36merge_oddeven_config_static_selectorELNS0_4arch9wavefront6targetE1EEEvSM_
; %bb.0:
	.section	.rodata,"a",@progbits
	.p2align	6, 0x0
	.amdhsa_kernel _ZN7rocprim17ROCPRIM_400000_NS6detail17trampoline_kernelINS0_14default_configENS1_38merge_sort_block_merge_config_selectorIlNS0_10empty_typeEEEZZNS1_27merge_sort_block_merge_implIS3_PlPS5_mZN2at6native12_GLOBAL__N_124unique_dim_cuda_templateIdEESt5tupleIJNSA_6TensorESF_SF_EERKSF_lbbbEUlllE_EE10hipError_tT0_T1_T2_jT3_P12ihipStream_tbPNSt15iterator_traitsISL_E10value_typeEPNSR_ISM_E10value_typeEPSN_NS1_7vsmem_tEENKUlT_SL_SM_SN_E_clIS8_S8_S9_S9_EESK_S10_SL_SM_SN_EUlS10_E1_NS1_11comp_targetILNS1_3genE9ELNS1_11target_archE1100ELNS1_3gpuE3ELNS1_3repE0EEENS1_36merge_oddeven_config_static_selectorELNS0_4arch9wavefront6targetE1EEEvSM_
		.amdhsa_group_segment_fixed_size 0
		.amdhsa_private_segment_fixed_size 0
		.amdhsa_kernarg_size 64
		.amdhsa_user_sgpr_count 2
		.amdhsa_user_sgpr_dispatch_ptr 0
		.amdhsa_user_sgpr_queue_ptr 0
		.amdhsa_user_sgpr_kernarg_segment_ptr 1
		.amdhsa_user_sgpr_dispatch_id 0
		.amdhsa_user_sgpr_kernarg_preload_length 0
		.amdhsa_user_sgpr_kernarg_preload_offset 0
		.amdhsa_user_sgpr_private_segment_size 0
		.amdhsa_uses_dynamic_stack 0
		.amdhsa_enable_private_segment 0
		.amdhsa_system_sgpr_workgroup_id_x 1
		.amdhsa_system_sgpr_workgroup_id_y 0
		.amdhsa_system_sgpr_workgroup_id_z 0
		.amdhsa_system_sgpr_workgroup_info 0
		.amdhsa_system_vgpr_workitem_id 0
		.amdhsa_next_free_vgpr 1
		.amdhsa_next_free_sgpr 0
		.amdhsa_accum_offset 4
		.amdhsa_reserve_vcc 0
		.amdhsa_float_round_mode_32 0
		.amdhsa_float_round_mode_16_64 0
		.amdhsa_float_denorm_mode_32 3
		.amdhsa_float_denorm_mode_16_64 3
		.amdhsa_dx10_clamp 1
		.amdhsa_ieee_mode 1
		.amdhsa_fp16_overflow 0
		.amdhsa_tg_split 0
		.amdhsa_exception_fp_ieee_invalid_op 0
		.amdhsa_exception_fp_denorm_src 0
		.amdhsa_exception_fp_ieee_div_zero 0
		.amdhsa_exception_fp_ieee_overflow 0
		.amdhsa_exception_fp_ieee_underflow 0
		.amdhsa_exception_fp_ieee_inexact 0
		.amdhsa_exception_int_div_zero 0
	.end_amdhsa_kernel
	.section	.text._ZN7rocprim17ROCPRIM_400000_NS6detail17trampoline_kernelINS0_14default_configENS1_38merge_sort_block_merge_config_selectorIlNS0_10empty_typeEEEZZNS1_27merge_sort_block_merge_implIS3_PlPS5_mZN2at6native12_GLOBAL__N_124unique_dim_cuda_templateIdEESt5tupleIJNSA_6TensorESF_SF_EERKSF_lbbbEUlllE_EE10hipError_tT0_T1_T2_jT3_P12ihipStream_tbPNSt15iterator_traitsISL_E10value_typeEPNSR_ISM_E10value_typeEPSN_NS1_7vsmem_tEENKUlT_SL_SM_SN_E_clIS8_S8_S9_S9_EESK_S10_SL_SM_SN_EUlS10_E1_NS1_11comp_targetILNS1_3genE9ELNS1_11target_archE1100ELNS1_3gpuE3ELNS1_3repE0EEENS1_36merge_oddeven_config_static_selectorELNS0_4arch9wavefront6targetE1EEEvSM_,"axG",@progbits,_ZN7rocprim17ROCPRIM_400000_NS6detail17trampoline_kernelINS0_14default_configENS1_38merge_sort_block_merge_config_selectorIlNS0_10empty_typeEEEZZNS1_27merge_sort_block_merge_implIS3_PlPS5_mZN2at6native12_GLOBAL__N_124unique_dim_cuda_templateIdEESt5tupleIJNSA_6TensorESF_SF_EERKSF_lbbbEUlllE_EE10hipError_tT0_T1_T2_jT3_P12ihipStream_tbPNSt15iterator_traitsISL_E10value_typeEPNSR_ISM_E10value_typeEPSN_NS1_7vsmem_tEENKUlT_SL_SM_SN_E_clIS8_S8_S9_S9_EESK_S10_SL_SM_SN_EUlS10_E1_NS1_11comp_targetILNS1_3genE9ELNS1_11target_archE1100ELNS1_3gpuE3ELNS1_3repE0EEENS1_36merge_oddeven_config_static_selectorELNS0_4arch9wavefront6targetE1EEEvSM_,comdat
.Lfunc_end780:
	.size	_ZN7rocprim17ROCPRIM_400000_NS6detail17trampoline_kernelINS0_14default_configENS1_38merge_sort_block_merge_config_selectorIlNS0_10empty_typeEEEZZNS1_27merge_sort_block_merge_implIS3_PlPS5_mZN2at6native12_GLOBAL__N_124unique_dim_cuda_templateIdEESt5tupleIJNSA_6TensorESF_SF_EERKSF_lbbbEUlllE_EE10hipError_tT0_T1_T2_jT3_P12ihipStream_tbPNSt15iterator_traitsISL_E10value_typeEPNSR_ISM_E10value_typeEPSN_NS1_7vsmem_tEENKUlT_SL_SM_SN_E_clIS8_S8_S9_S9_EESK_S10_SL_SM_SN_EUlS10_E1_NS1_11comp_targetILNS1_3genE9ELNS1_11target_archE1100ELNS1_3gpuE3ELNS1_3repE0EEENS1_36merge_oddeven_config_static_selectorELNS0_4arch9wavefront6targetE1EEEvSM_, .Lfunc_end780-_ZN7rocprim17ROCPRIM_400000_NS6detail17trampoline_kernelINS0_14default_configENS1_38merge_sort_block_merge_config_selectorIlNS0_10empty_typeEEEZZNS1_27merge_sort_block_merge_implIS3_PlPS5_mZN2at6native12_GLOBAL__N_124unique_dim_cuda_templateIdEESt5tupleIJNSA_6TensorESF_SF_EERKSF_lbbbEUlllE_EE10hipError_tT0_T1_T2_jT3_P12ihipStream_tbPNSt15iterator_traitsISL_E10value_typeEPNSR_ISM_E10value_typeEPSN_NS1_7vsmem_tEENKUlT_SL_SM_SN_E_clIS8_S8_S9_S9_EESK_S10_SL_SM_SN_EUlS10_E1_NS1_11comp_targetILNS1_3genE9ELNS1_11target_archE1100ELNS1_3gpuE3ELNS1_3repE0EEENS1_36merge_oddeven_config_static_selectorELNS0_4arch9wavefront6targetE1EEEvSM_
                                        ; -- End function
	.set _ZN7rocprim17ROCPRIM_400000_NS6detail17trampoline_kernelINS0_14default_configENS1_38merge_sort_block_merge_config_selectorIlNS0_10empty_typeEEEZZNS1_27merge_sort_block_merge_implIS3_PlPS5_mZN2at6native12_GLOBAL__N_124unique_dim_cuda_templateIdEESt5tupleIJNSA_6TensorESF_SF_EERKSF_lbbbEUlllE_EE10hipError_tT0_T1_T2_jT3_P12ihipStream_tbPNSt15iterator_traitsISL_E10value_typeEPNSR_ISM_E10value_typeEPSN_NS1_7vsmem_tEENKUlT_SL_SM_SN_E_clIS8_S8_S9_S9_EESK_S10_SL_SM_SN_EUlS10_E1_NS1_11comp_targetILNS1_3genE9ELNS1_11target_archE1100ELNS1_3gpuE3ELNS1_3repE0EEENS1_36merge_oddeven_config_static_selectorELNS0_4arch9wavefront6targetE1EEEvSM_.num_vgpr, 0
	.set _ZN7rocprim17ROCPRIM_400000_NS6detail17trampoline_kernelINS0_14default_configENS1_38merge_sort_block_merge_config_selectorIlNS0_10empty_typeEEEZZNS1_27merge_sort_block_merge_implIS3_PlPS5_mZN2at6native12_GLOBAL__N_124unique_dim_cuda_templateIdEESt5tupleIJNSA_6TensorESF_SF_EERKSF_lbbbEUlllE_EE10hipError_tT0_T1_T2_jT3_P12ihipStream_tbPNSt15iterator_traitsISL_E10value_typeEPNSR_ISM_E10value_typeEPSN_NS1_7vsmem_tEENKUlT_SL_SM_SN_E_clIS8_S8_S9_S9_EESK_S10_SL_SM_SN_EUlS10_E1_NS1_11comp_targetILNS1_3genE9ELNS1_11target_archE1100ELNS1_3gpuE3ELNS1_3repE0EEENS1_36merge_oddeven_config_static_selectorELNS0_4arch9wavefront6targetE1EEEvSM_.num_agpr, 0
	.set _ZN7rocprim17ROCPRIM_400000_NS6detail17trampoline_kernelINS0_14default_configENS1_38merge_sort_block_merge_config_selectorIlNS0_10empty_typeEEEZZNS1_27merge_sort_block_merge_implIS3_PlPS5_mZN2at6native12_GLOBAL__N_124unique_dim_cuda_templateIdEESt5tupleIJNSA_6TensorESF_SF_EERKSF_lbbbEUlllE_EE10hipError_tT0_T1_T2_jT3_P12ihipStream_tbPNSt15iterator_traitsISL_E10value_typeEPNSR_ISM_E10value_typeEPSN_NS1_7vsmem_tEENKUlT_SL_SM_SN_E_clIS8_S8_S9_S9_EESK_S10_SL_SM_SN_EUlS10_E1_NS1_11comp_targetILNS1_3genE9ELNS1_11target_archE1100ELNS1_3gpuE3ELNS1_3repE0EEENS1_36merge_oddeven_config_static_selectorELNS0_4arch9wavefront6targetE1EEEvSM_.numbered_sgpr, 0
	.set _ZN7rocprim17ROCPRIM_400000_NS6detail17trampoline_kernelINS0_14default_configENS1_38merge_sort_block_merge_config_selectorIlNS0_10empty_typeEEEZZNS1_27merge_sort_block_merge_implIS3_PlPS5_mZN2at6native12_GLOBAL__N_124unique_dim_cuda_templateIdEESt5tupleIJNSA_6TensorESF_SF_EERKSF_lbbbEUlllE_EE10hipError_tT0_T1_T2_jT3_P12ihipStream_tbPNSt15iterator_traitsISL_E10value_typeEPNSR_ISM_E10value_typeEPSN_NS1_7vsmem_tEENKUlT_SL_SM_SN_E_clIS8_S8_S9_S9_EESK_S10_SL_SM_SN_EUlS10_E1_NS1_11comp_targetILNS1_3genE9ELNS1_11target_archE1100ELNS1_3gpuE3ELNS1_3repE0EEENS1_36merge_oddeven_config_static_selectorELNS0_4arch9wavefront6targetE1EEEvSM_.num_named_barrier, 0
	.set _ZN7rocprim17ROCPRIM_400000_NS6detail17trampoline_kernelINS0_14default_configENS1_38merge_sort_block_merge_config_selectorIlNS0_10empty_typeEEEZZNS1_27merge_sort_block_merge_implIS3_PlPS5_mZN2at6native12_GLOBAL__N_124unique_dim_cuda_templateIdEESt5tupleIJNSA_6TensorESF_SF_EERKSF_lbbbEUlllE_EE10hipError_tT0_T1_T2_jT3_P12ihipStream_tbPNSt15iterator_traitsISL_E10value_typeEPNSR_ISM_E10value_typeEPSN_NS1_7vsmem_tEENKUlT_SL_SM_SN_E_clIS8_S8_S9_S9_EESK_S10_SL_SM_SN_EUlS10_E1_NS1_11comp_targetILNS1_3genE9ELNS1_11target_archE1100ELNS1_3gpuE3ELNS1_3repE0EEENS1_36merge_oddeven_config_static_selectorELNS0_4arch9wavefront6targetE1EEEvSM_.private_seg_size, 0
	.set _ZN7rocprim17ROCPRIM_400000_NS6detail17trampoline_kernelINS0_14default_configENS1_38merge_sort_block_merge_config_selectorIlNS0_10empty_typeEEEZZNS1_27merge_sort_block_merge_implIS3_PlPS5_mZN2at6native12_GLOBAL__N_124unique_dim_cuda_templateIdEESt5tupleIJNSA_6TensorESF_SF_EERKSF_lbbbEUlllE_EE10hipError_tT0_T1_T2_jT3_P12ihipStream_tbPNSt15iterator_traitsISL_E10value_typeEPNSR_ISM_E10value_typeEPSN_NS1_7vsmem_tEENKUlT_SL_SM_SN_E_clIS8_S8_S9_S9_EESK_S10_SL_SM_SN_EUlS10_E1_NS1_11comp_targetILNS1_3genE9ELNS1_11target_archE1100ELNS1_3gpuE3ELNS1_3repE0EEENS1_36merge_oddeven_config_static_selectorELNS0_4arch9wavefront6targetE1EEEvSM_.uses_vcc, 0
	.set _ZN7rocprim17ROCPRIM_400000_NS6detail17trampoline_kernelINS0_14default_configENS1_38merge_sort_block_merge_config_selectorIlNS0_10empty_typeEEEZZNS1_27merge_sort_block_merge_implIS3_PlPS5_mZN2at6native12_GLOBAL__N_124unique_dim_cuda_templateIdEESt5tupleIJNSA_6TensorESF_SF_EERKSF_lbbbEUlllE_EE10hipError_tT0_T1_T2_jT3_P12ihipStream_tbPNSt15iterator_traitsISL_E10value_typeEPNSR_ISM_E10value_typeEPSN_NS1_7vsmem_tEENKUlT_SL_SM_SN_E_clIS8_S8_S9_S9_EESK_S10_SL_SM_SN_EUlS10_E1_NS1_11comp_targetILNS1_3genE9ELNS1_11target_archE1100ELNS1_3gpuE3ELNS1_3repE0EEENS1_36merge_oddeven_config_static_selectorELNS0_4arch9wavefront6targetE1EEEvSM_.uses_flat_scratch, 0
	.set _ZN7rocprim17ROCPRIM_400000_NS6detail17trampoline_kernelINS0_14default_configENS1_38merge_sort_block_merge_config_selectorIlNS0_10empty_typeEEEZZNS1_27merge_sort_block_merge_implIS3_PlPS5_mZN2at6native12_GLOBAL__N_124unique_dim_cuda_templateIdEESt5tupleIJNSA_6TensorESF_SF_EERKSF_lbbbEUlllE_EE10hipError_tT0_T1_T2_jT3_P12ihipStream_tbPNSt15iterator_traitsISL_E10value_typeEPNSR_ISM_E10value_typeEPSN_NS1_7vsmem_tEENKUlT_SL_SM_SN_E_clIS8_S8_S9_S9_EESK_S10_SL_SM_SN_EUlS10_E1_NS1_11comp_targetILNS1_3genE9ELNS1_11target_archE1100ELNS1_3gpuE3ELNS1_3repE0EEENS1_36merge_oddeven_config_static_selectorELNS0_4arch9wavefront6targetE1EEEvSM_.has_dyn_sized_stack, 0
	.set _ZN7rocprim17ROCPRIM_400000_NS6detail17trampoline_kernelINS0_14default_configENS1_38merge_sort_block_merge_config_selectorIlNS0_10empty_typeEEEZZNS1_27merge_sort_block_merge_implIS3_PlPS5_mZN2at6native12_GLOBAL__N_124unique_dim_cuda_templateIdEESt5tupleIJNSA_6TensorESF_SF_EERKSF_lbbbEUlllE_EE10hipError_tT0_T1_T2_jT3_P12ihipStream_tbPNSt15iterator_traitsISL_E10value_typeEPNSR_ISM_E10value_typeEPSN_NS1_7vsmem_tEENKUlT_SL_SM_SN_E_clIS8_S8_S9_S9_EESK_S10_SL_SM_SN_EUlS10_E1_NS1_11comp_targetILNS1_3genE9ELNS1_11target_archE1100ELNS1_3gpuE3ELNS1_3repE0EEENS1_36merge_oddeven_config_static_selectorELNS0_4arch9wavefront6targetE1EEEvSM_.has_recursion, 0
	.set _ZN7rocprim17ROCPRIM_400000_NS6detail17trampoline_kernelINS0_14default_configENS1_38merge_sort_block_merge_config_selectorIlNS0_10empty_typeEEEZZNS1_27merge_sort_block_merge_implIS3_PlPS5_mZN2at6native12_GLOBAL__N_124unique_dim_cuda_templateIdEESt5tupleIJNSA_6TensorESF_SF_EERKSF_lbbbEUlllE_EE10hipError_tT0_T1_T2_jT3_P12ihipStream_tbPNSt15iterator_traitsISL_E10value_typeEPNSR_ISM_E10value_typeEPSN_NS1_7vsmem_tEENKUlT_SL_SM_SN_E_clIS8_S8_S9_S9_EESK_S10_SL_SM_SN_EUlS10_E1_NS1_11comp_targetILNS1_3genE9ELNS1_11target_archE1100ELNS1_3gpuE3ELNS1_3repE0EEENS1_36merge_oddeven_config_static_selectorELNS0_4arch9wavefront6targetE1EEEvSM_.has_indirect_call, 0
	.section	.AMDGPU.csdata,"",@progbits
; Kernel info:
; codeLenInByte = 0
; TotalNumSgprs: 6
; NumVgprs: 0
; NumAgprs: 0
; TotalNumVgprs: 0
; ScratchSize: 0
; MemoryBound: 0
; FloatMode: 240
; IeeeMode: 1
; LDSByteSize: 0 bytes/workgroup (compile time only)
; SGPRBlocks: 0
; VGPRBlocks: 0
; NumSGPRsForWavesPerEU: 6
; NumVGPRsForWavesPerEU: 1
; AccumOffset: 4
; Occupancy: 8
; WaveLimiterHint : 0
; COMPUTE_PGM_RSRC2:SCRATCH_EN: 0
; COMPUTE_PGM_RSRC2:USER_SGPR: 2
; COMPUTE_PGM_RSRC2:TRAP_HANDLER: 0
; COMPUTE_PGM_RSRC2:TGID_X_EN: 1
; COMPUTE_PGM_RSRC2:TGID_Y_EN: 0
; COMPUTE_PGM_RSRC2:TGID_Z_EN: 0
; COMPUTE_PGM_RSRC2:TIDIG_COMP_CNT: 0
; COMPUTE_PGM_RSRC3_GFX90A:ACCUM_OFFSET: 0
; COMPUTE_PGM_RSRC3_GFX90A:TG_SPLIT: 0
	.section	.text._ZN7rocprim17ROCPRIM_400000_NS6detail17trampoline_kernelINS0_14default_configENS1_38merge_sort_block_merge_config_selectorIlNS0_10empty_typeEEEZZNS1_27merge_sort_block_merge_implIS3_PlPS5_mZN2at6native12_GLOBAL__N_124unique_dim_cuda_templateIdEESt5tupleIJNSA_6TensorESF_SF_EERKSF_lbbbEUlllE_EE10hipError_tT0_T1_T2_jT3_P12ihipStream_tbPNSt15iterator_traitsISL_E10value_typeEPNSR_ISM_E10value_typeEPSN_NS1_7vsmem_tEENKUlT_SL_SM_SN_E_clIS8_S8_S9_S9_EESK_S10_SL_SM_SN_EUlS10_E1_NS1_11comp_targetILNS1_3genE8ELNS1_11target_archE1030ELNS1_3gpuE2ELNS1_3repE0EEENS1_36merge_oddeven_config_static_selectorELNS0_4arch9wavefront6targetE1EEEvSM_,"axG",@progbits,_ZN7rocprim17ROCPRIM_400000_NS6detail17trampoline_kernelINS0_14default_configENS1_38merge_sort_block_merge_config_selectorIlNS0_10empty_typeEEEZZNS1_27merge_sort_block_merge_implIS3_PlPS5_mZN2at6native12_GLOBAL__N_124unique_dim_cuda_templateIdEESt5tupleIJNSA_6TensorESF_SF_EERKSF_lbbbEUlllE_EE10hipError_tT0_T1_T2_jT3_P12ihipStream_tbPNSt15iterator_traitsISL_E10value_typeEPNSR_ISM_E10value_typeEPSN_NS1_7vsmem_tEENKUlT_SL_SM_SN_E_clIS8_S8_S9_S9_EESK_S10_SL_SM_SN_EUlS10_E1_NS1_11comp_targetILNS1_3genE8ELNS1_11target_archE1030ELNS1_3gpuE2ELNS1_3repE0EEENS1_36merge_oddeven_config_static_selectorELNS0_4arch9wavefront6targetE1EEEvSM_,comdat
	.globl	_ZN7rocprim17ROCPRIM_400000_NS6detail17trampoline_kernelINS0_14default_configENS1_38merge_sort_block_merge_config_selectorIlNS0_10empty_typeEEEZZNS1_27merge_sort_block_merge_implIS3_PlPS5_mZN2at6native12_GLOBAL__N_124unique_dim_cuda_templateIdEESt5tupleIJNSA_6TensorESF_SF_EERKSF_lbbbEUlllE_EE10hipError_tT0_T1_T2_jT3_P12ihipStream_tbPNSt15iterator_traitsISL_E10value_typeEPNSR_ISM_E10value_typeEPSN_NS1_7vsmem_tEENKUlT_SL_SM_SN_E_clIS8_S8_S9_S9_EESK_S10_SL_SM_SN_EUlS10_E1_NS1_11comp_targetILNS1_3genE8ELNS1_11target_archE1030ELNS1_3gpuE2ELNS1_3repE0EEENS1_36merge_oddeven_config_static_selectorELNS0_4arch9wavefront6targetE1EEEvSM_ ; -- Begin function _ZN7rocprim17ROCPRIM_400000_NS6detail17trampoline_kernelINS0_14default_configENS1_38merge_sort_block_merge_config_selectorIlNS0_10empty_typeEEEZZNS1_27merge_sort_block_merge_implIS3_PlPS5_mZN2at6native12_GLOBAL__N_124unique_dim_cuda_templateIdEESt5tupleIJNSA_6TensorESF_SF_EERKSF_lbbbEUlllE_EE10hipError_tT0_T1_T2_jT3_P12ihipStream_tbPNSt15iterator_traitsISL_E10value_typeEPNSR_ISM_E10value_typeEPSN_NS1_7vsmem_tEENKUlT_SL_SM_SN_E_clIS8_S8_S9_S9_EESK_S10_SL_SM_SN_EUlS10_E1_NS1_11comp_targetILNS1_3genE8ELNS1_11target_archE1030ELNS1_3gpuE2ELNS1_3repE0EEENS1_36merge_oddeven_config_static_selectorELNS0_4arch9wavefront6targetE1EEEvSM_
	.p2align	8
	.type	_ZN7rocprim17ROCPRIM_400000_NS6detail17trampoline_kernelINS0_14default_configENS1_38merge_sort_block_merge_config_selectorIlNS0_10empty_typeEEEZZNS1_27merge_sort_block_merge_implIS3_PlPS5_mZN2at6native12_GLOBAL__N_124unique_dim_cuda_templateIdEESt5tupleIJNSA_6TensorESF_SF_EERKSF_lbbbEUlllE_EE10hipError_tT0_T1_T2_jT3_P12ihipStream_tbPNSt15iterator_traitsISL_E10value_typeEPNSR_ISM_E10value_typeEPSN_NS1_7vsmem_tEENKUlT_SL_SM_SN_E_clIS8_S8_S9_S9_EESK_S10_SL_SM_SN_EUlS10_E1_NS1_11comp_targetILNS1_3genE8ELNS1_11target_archE1030ELNS1_3gpuE2ELNS1_3repE0EEENS1_36merge_oddeven_config_static_selectorELNS0_4arch9wavefront6targetE1EEEvSM_,@function
_ZN7rocprim17ROCPRIM_400000_NS6detail17trampoline_kernelINS0_14default_configENS1_38merge_sort_block_merge_config_selectorIlNS0_10empty_typeEEEZZNS1_27merge_sort_block_merge_implIS3_PlPS5_mZN2at6native12_GLOBAL__N_124unique_dim_cuda_templateIdEESt5tupleIJNSA_6TensorESF_SF_EERKSF_lbbbEUlllE_EE10hipError_tT0_T1_T2_jT3_P12ihipStream_tbPNSt15iterator_traitsISL_E10value_typeEPNSR_ISM_E10value_typeEPSN_NS1_7vsmem_tEENKUlT_SL_SM_SN_E_clIS8_S8_S9_S9_EESK_S10_SL_SM_SN_EUlS10_E1_NS1_11comp_targetILNS1_3genE8ELNS1_11target_archE1030ELNS1_3gpuE2ELNS1_3repE0EEENS1_36merge_oddeven_config_static_selectorELNS0_4arch9wavefront6targetE1EEEvSM_: ; @_ZN7rocprim17ROCPRIM_400000_NS6detail17trampoline_kernelINS0_14default_configENS1_38merge_sort_block_merge_config_selectorIlNS0_10empty_typeEEEZZNS1_27merge_sort_block_merge_implIS3_PlPS5_mZN2at6native12_GLOBAL__N_124unique_dim_cuda_templateIdEESt5tupleIJNSA_6TensorESF_SF_EERKSF_lbbbEUlllE_EE10hipError_tT0_T1_T2_jT3_P12ihipStream_tbPNSt15iterator_traitsISL_E10value_typeEPNSR_ISM_E10value_typeEPSN_NS1_7vsmem_tEENKUlT_SL_SM_SN_E_clIS8_S8_S9_S9_EESK_S10_SL_SM_SN_EUlS10_E1_NS1_11comp_targetILNS1_3genE8ELNS1_11target_archE1030ELNS1_3gpuE2ELNS1_3repE0EEENS1_36merge_oddeven_config_static_selectorELNS0_4arch9wavefront6targetE1EEEvSM_
; %bb.0:
	.section	.rodata,"a",@progbits
	.p2align	6, 0x0
	.amdhsa_kernel _ZN7rocprim17ROCPRIM_400000_NS6detail17trampoline_kernelINS0_14default_configENS1_38merge_sort_block_merge_config_selectorIlNS0_10empty_typeEEEZZNS1_27merge_sort_block_merge_implIS3_PlPS5_mZN2at6native12_GLOBAL__N_124unique_dim_cuda_templateIdEESt5tupleIJNSA_6TensorESF_SF_EERKSF_lbbbEUlllE_EE10hipError_tT0_T1_T2_jT3_P12ihipStream_tbPNSt15iterator_traitsISL_E10value_typeEPNSR_ISM_E10value_typeEPSN_NS1_7vsmem_tEENKUlT_SL_SM_SN_E_clIS8_S8_S9_S9_EESK_S10_SL_SM_SN_EUlS10_E1_NS1_11comp_targetILNS1_3genE8ELNS1_11target_archE1030ELNS1_3gpuE2ELNS1_3repE0EEENS1_36merge_oddeven_config_static_selectorELNS0_4arch9wavefront6targetE1EEEvSM_
		.amdhsa_group_segment_fixed_size 0
		.amdhsa_private_segment_fixed_size 0
		.amdhsa_kernarg_size 64
		.amdhsa_user_sgpr_count 2
		.amdhsa_user_sgpr_dispatch_ptr 0
		.amdhsa_user_sgpr_queue_ptr 0
		.amdhsa_user_sgpr_kernarg_segment_ptr 1
		.amdhsa_user_sgpr_dispatch_id 0
		.amdhsa_user_sgpr_kernarg_preload_length 0
		.amdhsa_user_sgpr_kernarg_preload_offset 0
		.amdhsa_user_sgpr_private_segment_size 0
		.amdhsa_uses_dynamic_stack 0
		.amdhsa_enable_private_segment 0
		.amdhsa_system_sgpr_workgroup_id_x 1
		.amdhsa_system_sgpr_workgroup_id_y 0
		.amdhsa_system_sgpr_workgroup_id_z 0
		.amdhsa_system_sgpr_workgroup_info 0
		.amdhsa_system_vgpr_workitem_id 0
		.amdhsa_next_free_vgpr 1
		.amdhsa_next_free_sgpr 0
		.amdhsa_accum_offset 4
		.amdhsa_reserve_vcc 0
		.amdhsa_float_round_mode_32 0
		.amdhsa_float_round_mode_16_64 0
		.amdhsa_float_denorm_mode_32 3
		.amdhsa_float_denorm_mode_16_64 3
		.amdhsa_dx10_clamp 1
		.amdhsa_ieee_mode 1
		.amdhsa_fp16_overflow 0
		.amdhsa_tg_split 0
		.amdhsa_exception_fp_ieee_invalid_op 0
		.amdhsa_exception_fp_denorm_src 0
		.amdhsa_exception_fp_ieee_div_zero 0
		.amdhsa_exception_fp_ieee_overflow 0
		.amdhsa_exception_fp_ieee_underflow 0
		.amdhsa_exception_fp_ieee_inexact 0
		.amdhsa_exception_int_div_zero 0
	.end_amdhsa_kernel
	.section	.text._ZN7rocprim17ROCPRIM_400000_NS6detail17trampoline_kernelINS0_14default_configENS1_38merge_sort_block_merge_config_selectorIlNS0_10empty_typeEEEZZNS1_27merge_sort_block_merge_implIS3_PlPS5_mZN2at6native12_GLOBAL__N_124unique_dim_cuda_templateIdEESt5tupleIJNSA_6TensorESF_SF_EERKSF_lbbbEUlllE_EE10hipError_tT0_T1_T2_jT3_P12ihipStream_tbPNSt15iterator_traitsISL_E10value_typeEPNSR_ISM_E10value_typeEPSN_NS1_7vsmem_tEENKUlT_SL_SM_SN_E_clIS8_S8_S9_S9_EESK_S10_SL_SM_SN_EUlS10_E1_NS1_11comp_targetILNS1_3genE8ELNS1_11target_archE1030ELNS1_3gpuE2ELNS1_3repE0EEENS1_36merge_oddeven_config_static_selectorELNS0_4arch9wavefront6targetE1EEEvSM_,"axG",@progbits,_ZN7rocprim17ROCPRIM_400000_NS6detail17trampoline_kernelINS0_14default_configENS1_38merge_sort_block_merge_config_selectorIlNS0_10empty_typeEEEZZNS1_27merge_sort_block_merge_implIS3_PlPS5_mZN2at6native12_GLOBAL__N_124unique_dim_cuda_templateIdEESt5tupleIJNSA_6TensorESF_SF_EERKSF_lbbbEUlllE_EE10hipError_tT0_T1_T2_jT3_P12ihipStream_tbPNSt15iterator_traitsISL_E10value_typeEPNSR_ISM_E10value_typeEPSN_NS1_7vsmem_tEENKUlT_SL_SM_SN_E_clIS8_S8_S9_S9_EESK_S10_SL_SM_SN_EUlS10_E1_NS1_11comp_targetILNS1_3genE8ELNS1_11target_archE1030ELNS1_3gpuE2ELNS1_3repE0EEENS1_36merge_oddeven_config_static_selectorELNS0_4arch9wavefront6targetE1EEEvSM_,comdat
.Lfunc_end781:
	.size	_ZN7rocprim17ROCPRIM_400000_NS6detail17trampoline_kernelINS0_14default_configENS1_38merge_sort_block_merge_config_selectorIlNS0_10empty_typeEEEZZNS1_27merge_sort_block_merge_implIS3_PlPS5_mZN2at6native12_GLOBAL__N_124unique_dim_cuda_templateIdEESt5tupleIJNSA_6TensorESF_SF_EERKSF_lbbbEUlllE_EE10hipError_tT0_T1_T2_jT3_P12ihipStream_tbPNSt15iterator_traitsISL_E10value_typeEPNSR_ISM_E10value_typeEPSN_NS1_7vsmem_tEENKUlT_SL_SM_SN_E_clIS8_S8_S9_S9_EESK_S10_SL_SM_SN_EUlS10_E1_NS1_11comp_targetILNS1_3genE8ELNS1_11target_archE1030ELNS1_3gpuE2ELNS1_3repE0EEENS1_36merge_oddeven_config_static_selectorELNS0_4arch9wavefront6targetE1EEEvSM_, .Lfunc_end781-_ZN7rocprim17ROCPRIM_400000_NS6detail17trampoline_kernelINS0_14default_configENS1_38merge_sort_block_merge_config_selectorIlNS0_10empty_typeEEEZZNS1_27merge_sort_block_merge_implIS3_PlPS5_mZN2at6native12_GLOBAL__N_124unique_dim_cuda_templateIdEESt5tupleIJNSA_6TensorESF_SF_EERKSF_lbbbEUlllE_EE10hipError_tT0_T1_T2_jT3_P12ihipStream_tbPNSt15iterator_traitsISL_E10value_typeEPNSR_ISM_E10value_typeEPSN_NS1_7vsmem_tEENKUlT_SL_SM_SN_E_clIS8_S8_S9_S9_EESK_S10_SL_SM_SN_EUlS10_E1_NS1_11comp_targetILNS1_3genE8ELNS1_11target_archE1030ELNS1_3gpuE2ELNS1_3repE0EEENS1_36merge_oddeven_config_static_selectorELNS0_4arch9wavefront6targetE1EEEvSM_
                                        ; -- End function
	.set _ZN7rocprim17ROCPRIM_400000_NS6detail17trampoline_kernelINS0_14default_configENS1_38merge_sort_block_merge_config_selectorIlNS0_10empty_typeEEEZZNS1_27merge_sort_block_merge_implIS3_PlPS5_mZN2at6native12_GLOBAL__N_124unique_dim_cuda_templateIdEESt5tupleIJNSA_6TensorESF_SF_EERKSF_lbbbEUlllE_EE10hipError_tT0_T1_T2_jT3_P12ihipStream_tbPNSt15iterator_traitsISL_E10value_typeEPNSR_ISM_E10value_typeEPSN_NS1_7vsmem_tEENKUlT_SL_SM_SN_E_clIS8_S8_S9_S9_EESK_S10_SL_SM_SN_EUlS10_E1_NS1_11comp_targetILNS1_3genE8ELNS1_11target_archE1030ELNS1_3gpuE2ELNS1_3repE0EEENS1_36merge_oddeven_config_static_selectorELNS0_4arch9wavefront6targetE1EEEvSM_.num_vgpr, 0
	.set _ZN7rocprim17ROCPRIM_400000_NS6detail17trampoline_kernelINS0_14default_configENS1_38merge_sort_block_merge_config_selectorIlNS0_10empty_typeEEEZZNS1_27merge_sort_block_merge_implIS3_PlPS5_mZN2at6native12_GLOBAL__N_124unique_dim_cuda_templateIdEESt5tupleIJNSA_6TensorESF_SF_EERKSF_lbbbEUlllE_EE10hipError_tT0_T1_T2_jT3_P12ihipStream_tbPNSt15iterator_traitsISL_E10value_typeEPNSR_ISM_E10value_typeEPSN_NS1_7vsmem_tEENKUlT_SL_SM_SN_E_clIS8_S8_S9_S9_EESK_S10_SL_SM_SN_EUlS10_E1_NS1_11comp_targetILNS1_3genE8ELNS1_11target_archE1030ELNS1_3gpuE2ELNS1_3repE0EEENS1_36merge_oddeven_config_static_selectorELNS0_4arch9wavefront6targetE1EEEvSM_.num_agpr, 0
	.set _ZN7rocprim17ROCPRIM_400000_NS6detail17trampoline_kernelINS0_14default_configENS1_38merge_sort_block_merge_config_selectorIlNS0_10empty_typeEEEZZNS1_27merge_sort_block_merge_implIS3_PlPS5_mZN2at6native12_GLOBAL__N_124unique_dim_cuda_templateIdEESt5tupleIJNSA_6TensorESF_SF_EERKSF_lbbbEUlllE_EE10hipError_tT0_T1_T2_jT3_P12ihipStream_tbPNSt15iterator_traitsISL_E10value_typeEPNSR_ISM_E10value_typeEPSN_NS1_7vsmem_tEENKUlT_SL_SM_SN_E_clIS8_S8_S9_S9_EESK_S10_SL_SM_SN_EUlS10_E1_NS1_11comp_targetILNS1_3genE8ELNS1_11target_archE1030ELNS1_3gpuE2ELNS1_3repE0EEENS1_36merge_oddeven_config_static_selectorELNS0_4arch9wavefront6targetE1EEEvSM_.numbered_sgpr, 0
	.set _ZN7rocprim17ROCPRIM_400000_NS6detail17trampoline_kernelINS0_14default_configENS1_38merge_sort_block_merge_config_selectorIlNS0_10empty_typeEEEZZNS1_27merge_sort_block_merge_implIS3_PlPS5_mZN2at6native12_GLOBAL__N_124unique_dim_cuda_templateIdEESt5tupleIJNSA_6TensorESF_SF_EERKSF_lbbbEUlllE_EE10hipError_tT0_T1_T2_jT3_P12ihipStream_tbPNSt15iterator_traitsISL_E10value_typeEPNSR_ISM_E10value_typeEPSN_NS1_7vsmem_tEENKUlT_SL_SM_SN_E_clIS8_S8_S9_S9_EESK_S10_SL_SM_SN_EUlS10_E1_NS1_11comp_targetILNS1_3genE8ELNS1_11target_archE1030ELNS1_3gpuE2ELNS1_3repE0EEENS1_36merge_oddeven_config_static_selectorELNS0_4arch9wavefront6targetE1EEEvSM_.num_named_barrier, 0
	.set _ZN7rocprim17ROCPRIM_400000_NS6detail17trampoline_kernelINS0_14default_configENS1_38merge_sort_block_merge_config_selectorIlNS0_10empty_typeEEEZZNS1_27merge_sort_block_merge_implIS3_PlPS5_mZN2at6native12_GLOBAL__N_124unique_dim_cuda_templateIdEESt5tupleIJNSA_6TensorESF_SF_EERKSF_lbbbEUlllE_EE10hipError_tT0_T1_T2_jT3_P12ihipStream_tbPNSt15iterator_traitsISL_E10value_typeEPNSR_ISM_E10value_typeEPSN_NS1_7vsmem_tEENKUlT_SL_SM_SN_E_clIS8_S8_S9_S9_EESK_S10_SL_SM_SN_EUlS10_E1_NS1_11comp_targetILNS1_3genE8ELNS1_11target_archE1030ELNS1_3gpuE2ELNS1_3repE0EEENS1_36merge_oddeven_config_static_selectorELNS0_4arch9wavefront6targetE1EEEvSM_.private_seg_size, 0
	.set _ZN7rocprim17ROCPRIM_400000_NS6detail17trampoline_kernelINS0_14default_configENS1_38merge_sort_block_merge_config_selectorIlNS0_10empty_typeEEEZZNS1_27merge_sort_block_merge_implIS3_PlPS5_mZN2at6native12_GLOBAL__N_124unique_dim_cuda_templateIdEESt5tupleIJNSA_6TensorESF_SF_EERKSF_lbbbEUlllE_EE10hipError_tT0_T1_T2_jT3_P12ihipStream_tbPNSt15iterator_traitsISL_E10value_typeEPNSR_ISM_E10value_typeEPSN_NS1_7vsmem_tEENKUlT_SL_SM_SN_E_clIS8_S8_S9_S9_EESK_S10_SL_SM_SN_EUlS10_E1_NS1_11comp_targetILNS1_3genE8ELNS1_11target_archE1030ELNS1_3gpuE2ELNS1_3repE0EEENS1_36merge_oddeven_config_static_selectorELNS0_4arch9wavefront6targetE1EEEvSM_.uses_vcc, 0
	.set _ZN7rocprim17ROCPRIM_400000_NS6detail17trampoline_kernelINS0_14default_configENS1_38merge_sort_block_merge_config_selectorIlNS0_10empty_typeEEEZZNS1_27merge_sort_block_merge_implIS3_PlPS5_mZN2at6native12_GLOBAL__N_124unique_dim_cuda_templateIdEESt5tupleIJNSA_6TensorESF_SF_EERKSF_lbbbEUlllE_EE10hipError_tT0_T1_T2_jT3_P12ihipStream_tbPNSt15iterator_traitsISL_E10value_typeEPNSR_ISM_E10value_typeEPSN_NS1_7vsmem_tEENKUlT_SL_SM_SN_E_clIS8_S8_S9_S9_EESK_S10_SL_SM_SN_EUlS10_E1_NS1_11comp_targetILNS1_3genE8ELNS1_11target_archE1030ELNS1_3gpuE2ELNS1_3repE0EEENS1_36merge_oddeven_config_static_selectorELNS0_4arch9wavefront6targetE1EEEvSM_.uses_flat_scratch, 0
	.set _ZN7rocprim17ROCPRIM_400000_NS6detail17trampoline_kernelINS0_14default_configENS1_38merge_sort_block_merge_config_selectorIlNS0_10empty_typeEEEZZNS1_27merge_sort_block_merge_implIS3_PlPS5_mZN2at6native12_GLOBAL__N_124unique_dim_cuda_templateIdEESt5tupleIJNSA_6TensorESF_SF_EERKSF_lbbbEUlllE_EE10hipError_tT0_T1_T2_jT3_P12ihipStream_tbPNSt15iterator_traitsISL_E10value_typeEPNSR_ISM_E10value_typeEPSN_NS1_7vsmem_tEENKUlT_SL_SM_SN_E_clIS8_S8_S9_S9_EESK_S10_SL_SM_SN_EUlS10_E1_NS1_11comp_targetILNS1_3genE8ELNS1_11target_archE1030ELNS1_3gpuE2ELNS1_3repE0EEENS1_36merge_oddeven_config_static_selectorELNS0_4arch9wavefront6targetE1EEEvSM_.has_dyn_sized_stack, 0
	.set _ZN7rocprim17ROCPRIM_400000_NS6detail17trampoline_kernelINS0_14default_configENS1_38merge_sort_block_merge_config_selectorIlNS0_10empty_typeEEEZZNS1_27merge_sort_block_merge_implIS3_PlPS5_mZN2at6native12_GLOBAL__N_124unique_dim_cuda_templateIdEESt5tupleIJNSA_6TensorESF_SF_EERKSF_lbbbEUlllE_EE10hipError_tT0_T1_T2_jT3_P12ihipStream_tbPNSt15iterator_traitsISL_E10value_typeEPNSR_ISM_E10value_typeEPSN_NS1_7vsmem_tEENKUlT_SL_SM_SN_E_clIS8_S8_S9_S9_EESK_S10_SL_SM_SN_EUlS10_E1_NS1_11comp_targetILNS1_3genE8ELNS1_11target_archE1030ELNS1_3gpuE2ELNS1_3repE0EEENS1_36merge_oddeven_config_static_selectorELNS0_4arch9wavefront6targetE1EEEvSM_.has_recursion, 0
	.set _ZN7rocprim17ROCPRIM_400000_NS6detail17trampoline_kernelINS0_14default_configENS1_38merge_sort_block_merge_config_selectorIlNS0_10empty_typeEEEZZNS1_27merge_sort_block_merge_implIS3_PlPS5_mZN2at6native12_GLOBAL__N_124unique_dim_cuda_templateIdEESt5tupleIJNSA_6TensorESF_SF_EERKSF_lbbbEUlllE_EE10hipError_tT0_T1_T2_jT3_P12ihipStream_tbPNSt15iterator_traitsISL_E10value_typeEPNSR_ISM_E10value_typeEPSN_NS1_7vsmem_tEENKUlT_SL_SM_SN_E_clIS8_S8_S9_S9_EESK_S10_SL_SM_SN_EUlS10_E1_NS1_11comp_targetILNS1_3genE8ELNS1_11target_archE1030ELNS1_3gpuE2ELNS1_3repE0EEENS1_36merge_oddeven_config_static_selectorELNS0_4arch9wavefront6targetE1EEEvSM_.has_indirect_call, 0
	.section	.AMDGPU.csdata,"",@progbits
; Kernel info:
; codeLenInByte = 0
; TotalNumSgprs: 6
; NumVgprs: 0
; NumAgprs: 0
; TotalNumVgprs: 0
; ScratchSize: 0
; MemoryBound: 0
; FloatMode: 240
; IeeeMode: 1
; LDSByteSize: 0 bytes/workgroup (compile time only)
; SGPRBlocks: 0
; VGPRBlocks: 0
; NumSGPRsForWavesPerEU: 6
; NumVGPRsForWavesPerEU: 1
; AccumOffset: 4
; Occupancy: 8
; WaveLimiterHint : 0
; COMPUTE_PGM_RSRC2:SCRATCH_EN: 0
; COMPUTE_PGM_RSRC2:USER_SGPR: 2
; COMPUTE_PGM_RSRC2:TRAP_HANDLER: 0
; COMPUTE_PGM_RSRC2:TGID_X_EN: 1
; COMPUTE_PGM_RSRC2:TGID_Y_EN: 0
; COMPUTE_PGM_RSRC2:TGID_Z_EN: 0
; COMPUTE_PGM_RSRC2:TIDIG_COMP_CNT: 0
; COMPUTE_PGM_RSRC3_GFX90A:ACCUM_OFFSET: 0
; COMPUTE_PGM_RSRC3_GFX90A:TG_SPLIT: 0
	.section	.text._ZN7rocprim17ROCPRIM_400000_NS6detail17trampoline_kernelINS0_14default_configENS1_35adjacent_difference_config_selectorILb0ElEEZNS1_24adjacent_difference_implIS3_Lb0ELb0EPlS7_ZN2at6native12_GLOBAL__N_124unique_dim_cuda_templateIdEESt5tupleIJNS8_6TensorESD_SD_EERKSD_lbbbEUlllE1_EE10hipError_tPvRmT2_T3_mT4_P12ihipStream_tbEUlT_E_NS1_11comp_targetILNS1_3genE0ELNS1_11target_archE4294967295ELNS1_3gpuE0ELNS1_3repE0EEENS1_30default_config_static_selectorELNS0_4arch9wavefront6targetE1EEEvT1_,"axG",@progbits,_ZN7rocprim17ROCPRIM_400000_NS6detail17trampoline_kernelINS0_14default_configENS1_35adjacent_difference_config_selectorILb0ElEEZNS1_24adjacent_difference_implIS3_Lb0ELb0EPlS7_ZN2at6native12_GLOBAL__N_124unique_dim_cuda_templateIdEESt5tupleIJNS8_6TensorESD_SD_EERKSD_lbbbEUlllE1_EE10hipError_tPvRmT2_T3_mT4_P12ihipStream_tbEUlT_E_NS1_11comp_targetILNS1_3genE0ELNS1_11target_archE4294967295ELNS1_3gpuE0ELNS1_3repE0EEENS1_30default_config_static_selectorELNS0_4arch9wavefront6targetE1EEEvT1_,comdat
	.globl	_ZN7rocprim17ROCPRIM_400000_NS6detail17trampoline_kernelINS0_14default_configENS1_35adjacent_difference_config_selectorILb0ElEEZNS1_24adjacent_difference_implIS3_Lb0ELb0EPlS7_ZN2at6native12_GLOBAL__N_124unique_dim_cuda_templateIdEESt5tupleIJNS8_6TensorESD_SD_EERKSD_lbbbEUlllE1_EE10hipError_tPvRmT2_T3_mT4_P12ihipStream_tbEUlT_E_NS1_11comp_targetILNS1_3genE0ELNS1_11target_archE4294967295ELNS1_3gpuE0ELNS1_3repE0EEENS1_30default_config_static_selectorELNS0_4arch9wavefront6targetE1EEEvT1_ ; -- Begin function _ZN7rocprim17ROCPRIM_400000_NS6detail17trampoline_kernelINS0_14default_configENS1_35adjacent_difference_config_selectorILb0ElEEZNS1_24adjacent_difference_implIS3_Lb0ELb0EPlS7_ZN2at6native12_GLOBAL__N_124unique_dim_cuda_templateIdEESt5tupleIJNS8_6TensorESD_SD_EERKSD_lbbbEUlllE1_EE10hipError_tPvRmT2_T3_mT4_P12ihipStream_tbEUlT_E_NS1_11comp_targetILNS1_3genE0ELNS1_11target_archE4294967295ELNS1_3gpuE0ELNS1_3repE0EEENS1_30default_config_static_selectorELNS0_4arch9wavefront6targetE1EEEvT1_
	.p2align	8
	.type	_ZN7rocprim17ROCPRIM_400000_NS6detail17trampoline_kernelINS0_14default_configENS1_35adjacent_difference_config_selectorILb0ElEEZNS1_24adjacent_difference_implIS3_Lb0ELb0EPlS7_ZN2at6native12_GLOBAL__N_124unique_dim_cuda_templateIdEESt5tupleIJNS8_6TensorESD_SD_EERKSD_lbbbEUlllE1_EE10hipError_tPvRmT2_T3_mT4_P12ihipStream_tbEUlT_E_NS1_11comp_targetILNS1_3genE0ELNS1_11target_archE4294967295ELNS1_3gpuE0ELNS1_3repE0EEENS1_30default_config_static_selectorELNS0_4arch9wavefront6targetE1EEEvT1_,@function
_ZN7rocprim17ROCPRIM_400000_NS6detail17trampoline_kernelINS0_14default_configENS1_35adjacent_difference_config_selectorILb0ElEEZNS1_24adjacent_difference_implIS3_Lb0ELb0EPlS7_ZN2at6native12_GLOBAL__N_124unique_dim_cuda_templateIdEESt5tupleIJNS8_6TensorESD_SD_EERKSD_lbbbEUlllE1_EE10hipError_tPvRmT2_T3_mT4_P12ihipStream_tbEUlT_E_NS1_11comp_targetILNS1_3genE0ELNS1_11target_archE4294967295ELNS1_3gpuE0ELNS1_3repE0EEENS1_30default_config_static_selectorELNS0_4arch9wavefront6targetE1EEEvT1_: ; @_ZN7rocprim17ROCPRIM_400000_NS6detail17trampoline_kernelINS0_14default_configENS1_35adjacent_difference_config_selectorILb0ElEEZNS1_24adjacent_difference_implIS3_Lb0ELb0EPlS7_ZN2at6native12_GLOBAL__N_124unique_dim_cuda_templateIdEESt5tupleIJNS8_6TensorESD_SD_EERKSD_lbbbEUlllE1_EE10hipError_tPvRmT2_T3_mT4_P12ihipStream_tbEUlT_E_NS1_11comp_targetILNS1_3genE0ELNS1_11target_archE4294967295ELNS1_3gpuE0ELNS1_3repE0EEENS1_30default_config_static_selectorELNS0_4arch9wavefront6targetE1EEEvT1_
; %bb.0:
	s_load_dwordx8 s[4:11], s[0:1], 0x0
	s_load_dwordx4 s[12:15], s[0:1], 0x20
	s_load_dwordx2 s[16:17], s[0:1], 0x38
	s_mov_b32 s19, 0
	s_mov_b64 s[20:21], -1
	s_waitcnt lgkmcnt(0)
	s_lshl_b64 s[6:7], s[6:7], 3
	s_add_u32 s22, s4, s6
	s_addc_u32 s23, s5, s7
	s_lshl_b32 s4, s2, 7
	s_lshr_b64 s[0:1], s[10:11], 7
	s_and_b32 s18, s10, 0x7f
	s_cmp_lg_u64 s[18:19], 0
	s_cselect_b64 s[18:19], -1, 0
	v_cndmask_b32_e64 v1, 0, 1, s[18:19]
	s_nop 0
	v_readfirstlane_b32 s3, v1
	s_add_u32 s18, s0, s3
	s_addc_u32 s19, s1, 0
	s_add_u32 s2, s16, s2
	s_addc_u32 s3, s17, 0
	s_add_u32 s16, s18, -1
	s_addc_u32 s17, s19, -1
	v_mov_b64_e32 v[2:3], s[16:17]
	v_cmp_ge_u64_e64 s[0:1], s[2:3], v[2:3]
	s_and_b64 vcc, exec, s[0:1]
                                        ; implicit-def: $vgpr1
	s_cbranch_vccz .LBB782_4
; %bb.1:
	s_lshl_b32 s5, s16, 7
	s_sub_i32 s5, s10, s5
	v_cmp_gt_u32_e32 vcc, s5, v0
                                        ; implicit-def: $vgpr2_vgpr3
	s_and_saveexec_b64 s[20:21], vcc
	s_cbranch_execz .LBB782_3
; %bb.2:
	s_mov_b32 s5, 0
	s_lshl_b64 s[24:25], s[4:5], 3
	s_add_u32 s24, s22, s24
	s_addc_u32 s25, s23, s25
	v_lshlrev_b32_e32 v1, 3, v0
	global_load_dwordx2 v[2:3], v1, s[24:25]
.LBB782_3:
	s_or_b64 exec, exec, s[20:21]
	v_lshlrev_b32_e32 v1, 3, v0
	s_mov_b64 s[20:21], 0
	s_waitcnt vmcnt(0)
	ds_write_b64 v1, v[2:3]
	s_waitcnt lgkmcnt(0)
	s_barrier
.LBB782_4:
	s_and_b64 vcc, exec, s[20:21]
	s_cbranch_vccz .LBB782_6
; %bb.5:
	s_mov_b32 s5, 0
	s_lshl_b64 s[20:21], s[4:5], 3
	s_add_u32 s20, s22, s20
	s_addc_u32 s21, s23, s21
	v_lshlrev_b32_e32 v1, 3, v0
	global_load_dwordx2 v[2:3], v1, s[20:21]
	s_waitcnt vmcnt(0)
	ds_write_b64 v1, v[2:3]
	s_waitcnt lgkmcnt(0)
	s_barrier
.LBB782_6:
	ds_read_b64 v[2:3], v1
	s_cmp_eq_u64 s[2:3], 0
	s_waitcnt lgkmcnt(0)
	s_barrier
	s_cbranch_scc1 .LBB782_15
; %bb.7:
	s_mov_b32 s5, 0
	s_lshl_b64 s[20:21], s[4:5], 3
	s_add_u32 s5, s22, s20
	s_addc_u32 s11, s23, s21
	s_add_u32 s20, s5, -8
	s_addc_u32 s21, s11, -1
	s_load_dwordx2 s[20:21], s[20:21], 0x0
	s_cmp_eq_u64 s[2:3], s[16:17]
	s_cbranch_scc1 .LBB782_16
; %bb.8:
	v_lshlrev_b32_e32 v1, 3, v0
	v_cmp_ne_u32_e32 vcc, 0, v0
	s_waitcnt lgkmcnt(0)
	v_mov_b64_e32 v[6:7], s[20:21]
	ds_write_b64 v1, v[2:3]
	s_waitcnt lgkmcnt(0)
	s_barrier
	s_and_saveexec_b64 s[22:23], vcc
; %bb.9:
	v_add_u32_e32 v1, -8, v1
	ds_read_b64 v[6:7], v1
; %bb.10:
	s_or_b64 exec, exec, s[22:23]
	v_cmp_lt_i64_e64 s[22:23], s[12:13], 1
	s_and_b64 vcc, exec, s[22:23]
	s_cbranch_vccnz .LBB782_18
; %bb.11:
	v_mul_lo_u32 v1, v3, s12
	v_mul_lo_u32 v8, v2, s13
	v_mad_u64_u32 v[4:5], s[22:23], v2, s12, 0
	v_add3_u32 v5, v5, v8, v1
	s_waitcnt lgkmcnt(0)
	v_mul_lo_u32 v1, v7, s12
	v_mul_lo_u32 v8, v6, s13
	v_mad_u64_u32 v[6:7], s[22:23], v6, s12, 0
	v_add3_u32 v7, v7, v8, v1
	v_lshl_add_u64 v[4:5], v[4:5], 3, s[14:15]
	v_lshl_add_u64 v[6:7], v[6:7], 3, s[14:15]
	s_mov_b64 s[22:23], 0
	s_mov_b64 s[24:25], s[12:13]
                                        ; implicit-def: $sgpr26_sgpr27
	s_branch .LBB782_13
.LBB782_12:                             ;   in Loop: Header=BB782_13 Depth=1
	s_or_b64 exec, exec, s[28:29]
	s_and_b64 s[28:29], exec, s[26:27]
	s_or_b64 s[22:23], s[28:29], s[22:23]
	s_andn2_b64 exec, exec, s[22:23]
	s_cbranch_execz .LBB782_17
.LBB782_13:                             ; =>This Inner Loop Header: Depth=1
	global_load_dwordx2 v[10:11], v[4:5], off
	global_load_dwordx2 v[12:13], v[6:7], off
	v_mov_b64_e32 v[8:9], 1
	s_or_b64 s[26:27], s[26:27], exec
	s_waitcnt vmcnt(0)
	v_cmp_eq_f64_e32 vcc, v[10:11], v[12:13]
	s_and_saveexec_b64 s[28:29], vcc
	s_cbranch_execz .LBB782_12
; %bb.14:                               ;   in Loop: Header=BB782_13 Depth=1
	s_add_u32 s24, s24, -1
	s_addc_u32 s25, s25, -1
	s_cmp_eq_u64 s[24:25], 0
	s_cselect_b64 s[30:31], -1, 0
	s_andn2_b64 s[26:27], s[26:27], exec
	s_and_b64 s[30:31], s[30:31], exec
	v_lshl_add_u64 v[4:5], v[4:5], 0, 8
	v_lshl_add_u64 v[6:7], v[6:7], 0, 8
	v_mov_b64_e32 v[8:9], 0
	s_or_b64 s[26:27], s[26:27], s[30:31]
	s_branch .LBB782_12
.LBB782_15:
                                        ; implicit-def: $vgpr8_vgpr9
	s_branch .LBB782_31
.LBB782_16:
                                        ; implicit-def: $vgpr8_vgpr9
	s_cbranch_execnz .LBB782_19
	s_branch .LBB782_30
.LBB782_17:
	s_or_b64 exec, exec, s[22:23]
	s_branch .LBB782_30
.LBB782_18:
	v_mov_b64_e32 v[8:9], 0
	s_branch .LBB782_30
.LBB782_19:
	v_lshlrev_b32_e32 v1, 3, v0
	v_cmp_ne_u32_e32 vcc, 0, v0
	s_waitcnt lgkmcnt(0)
	v_mov_b64_e32 v[6:7], s[20:21]
	ds_write_b64 v1, v[2:3]
	s_waitcnt lgkmcnt(0)
	s_barrier
	s_and_saveexec_b64 s[20:21], vcc
; %bb.20:
	v_add_u32_e32 v1, -8, v1
	ds_read_b64 v[6:7], v1
; %bb.21:
	s_or_b64 exec, exec, s[20:21]
	s_lshl_b32 s2, s2, 7
	s_sub_i32 s2, s10, s2
	v_cmp_gt_u32_e32 vcc, s2, v0
	v_mov_b64_e32 v[8:9], v[2:3]
	s_and_saveexec_b64 s[2:3], vcc
	s_cbranch_execz .LBB782_29
; %bb.22:
	v_cmp_lt_i64_e64 s[20:21], s[12:13], 1
	s_and_b64 vcc, exec, s[20:21]
	s_cbranch_vccnz .LBB782_28
; %bb.23:
	v_mul_lo_u32 v1, v3, s12
	v_mul_lo_u32 v8, v2, s13
	v_mad_u64_u32 v[4:5], s[20:21], v2, s12, 0
	v_add3_u32 v5, v5, v8, v1
	s_waitcnt lgkmcnt(0)
	v_mul_lo_u32 v1, v7, s12
	v_mul_lo_u32 v8, v6, s13
	v_mad_u64_u32 v[6:7], s[20:21], v6, s12, 0
	v_add3_u32 v7, v7, v8, v1
	v_lshl_add_u64 v[4:5], v[4:5], 3, s[14:15]
	v_lshl_add_u64 v[6:7], v[6:7], 3, s[14:15]
	s_mov_b64 s[20:21], 0
	s_mov_b64 s[22:23], s[12:13]
                                        ; implicit-def: $sgpr24_sgpr25
	s_branch .LBB782_25
.LBB782_24:                             ;   in Loop: Header=BB782_25 Depth=1
	s_or_b64 exec, exec, s[26:27]
	s_and_b64 s[26:27], exec, s[24:25]
	s_or_b64 s[20:21], s[26:27], s[20:21]
	s_andn2_b64 exec, exec, s[20:21]
	s_cbranch_execz .LBB782_27
.LBB782_25:                             ; =>This Inner Loop Header: Depth=1
	global_load_dwordx2 v[10:11], v[4:5], off
	global_load_dwordx2 v[12:13], v[6:7], off
	v_mov_b64_e32 v[8:9], 1
	s_or_b64 s[24:25], s[24:25], exec
	s_waitcnt vmcnt(0)
	v_cmp_eq_f64_e32 vcc, v[10:11], v[12:13]
	s_and_saveexec_b64 s[26:27], vcc
	s_cbranch_execz .LBB782_24
; %bb.26:                               ;   in Loop: Header=BB782_25 Depth=1
	s_add_u32 s22, s22, -1
	s_addc_u32 s23, s23, -1
	s_cmp_eq_u64 s[22:23], 0
	s_cselect_b64 s[28:29], -1, 0
	s_andn2_b64 s[24:25], s[24:25], exec
	s_and_b64 s[28:29], s[28:29], exec
	v_lshl_add_u64 v[4:5], v[4:5], 0, 8
	v_lshl_add_u64 v[6:7], v[6:7], 0, 8
	v_mov_b64_e32 v[8:9], 0
	s_or_b64 s[24:25], s[24:25], s[28:29]
	s_branch .LBB782_24
.LBB782_27:
	s_or_b64 exec, exec, s[20:21]
	s_branch .LBB782_29
.LBB782_28:
	v_mov_b64_e32 v[8:9], 0
.LBB782_29:
	s_or_b64 exec, exec, s[2:3]
.LBB782_30:
	s_cbranch_execnz .LBB782_51
.LBB782_31:
	s_cmp_eq_u64 s[18:19], 1
	v_cmp_ne_u32_e32 vcc, 0, v0
	s_cbranch_scc1 .LBB782_38
; %bb.32:
	v_lshlrev_b32_e32 v1, 3, v0
	v_mov_b64_e32 v[8:9], v[2:3]
	ds_write_b64 v1, v[2:3]
	s_waitcnt lgkmcnt(0)
	s_barrier
	s_and_saveexec_b64 s[2:3], vcc
	s_cbranch_execz .LBB782_41
; %bb.33:
	v_cmp_lt_i64_e64 s[18:19], s[12:13], 1
	s_and_b64 vcc, exec, s[18:19]
	s_cbranch_vccnz .LBB782_40
; %bb.34:
	v_add_u32_e32 v1, -8, v1
	ds_read_b64 v[6:7], v1
	v_mul_lo_u32 v1, v3, s12
	v_mul_lo_u32 v8, v2, s13
	v_mad_u64_u32 v[4:5], s[18:19], v2, s12, 0
	v_add3_u32 v5, v5, v8, v1
	s_waitcnt lgkmcnt(0)
	v_mul_lo_u32 v1, s13, v6
	v_mul_lo_u32 v8, s12, v7
	v_mad_u64_u32 v[6:7], s[18:19], s12, v6, 0
	v_add3_u32 v7, v7, v8, v1
	v_lshl_add_u64 v[4:5], v[4:5], 3, s[14:15]
	v_lshl_add_u64 v[6:7], v[6:7], 3, s[14:15]
	s_mov_b64 s[18:19], 0
	s_mov_b64 s[20:21], s[12:13]
                                        ; implicit-def: $sgpr22_sgpr23
	s_branch .LBB782_36
.LBB782_35:                             ;   in Loop: Header=BB782_36 Depth=1
	s_or_b64 exec, exec, s[24:25]
	s_and_b64 s[24:25], exec, s[22:23]
	s_or_b64 s[18:19], s[24:25], s[18:19]
	s_andn2_b64 exec, exec, s[18:19]
	s_cbranch_execz .LBB782_39
.LBB782_36:                             ; =>This Inner Loop Header: Depth=1
	global_load_dwordx2 v[10:11], v[4:5], off
	global_load_dwordx2 v[12:13], v[6:7], off
	v_mov_b64_e32 v[8:9], 1
	s_or_b64 s[22:23], s[22:23], exec
	s_waitcnt vmcnt(0)
	v_cmp_eq_f64_e32 vcc, v[10:11], v[12:13]
	s_and_saveexec_b64 s[24:25], vcc
	s_cbranch_execz .LBB782_35
; %bb.37:                               ;   in Loop: Header=BB782_36 Depth=1
	s_add_u32 s20, s20, -1
	s_addc_u32 s21, s21, -1
	s_cmp_eq_u64 s[20:21], 0
	s_cselect_b64 s[26:27], -1, 0
	s_andn2_b64 s[22:23], s[22:23], exec
	s_and_b64 s[26:27], s[26:27], exec
	v_lshl_add_u64 v[4:5], v[4:5], 0, 8
	v_lshl_add_u64 v[6:7], v[6:7], 0, 8
	v_mov_b64_e32 v[8:9], 0
	s_or_b64 s[22:23], s[22:23], s[26:27]
	s_branch .LBB782_35
.LBB782_38:
                                        ; implicit-def: $vgpr8_vgpr9
	s_branch .LBB782_42
.LBB782_39:
	s_or_b64 exec, exec, s[18:19]
	s_branch .LBB782_41
.LBB782_40:
	v_mov_b64_e32 v[8:9], 0
.LBB782_41:
	s_or_b64 exec, exec, s[2:3]
	s_cbranch_execnz .LBB782_51
.LBB782_42:
	v_cmp_ne_u32_e32 vcc, 0, v0
	v_cmp_gt_u32_e64 s[2:3], s10, v0
	v_lshlrev_b32_e32 v1, 3, v0
	s_and_b64 s[18:19], vcc, s[2:3]
	ds_write_b64 v1, v[2:3]
	s_waitcnt lgkmcnt(0)
	s_barrier
	s_and_saveexec_b64 s[2:3], s[18:19]
	s_cbranch_execz .LBB782_50
; %bb.43:
	v_cmp_lt_i64_e64 s[18:19], s[12:13], 1
	s_and_b64 vcc, exec, s[18:19]
	s_cbranch_vccnz .LBB782_49
; %bb.44:
	v_add_u32_e32 v1, -8, v1
	ds_read_b64 v[6:7], v1
	v_mul_lo_u32 v1, v3, s12
	v_mul_lo_u32 v4, v2, s13
	v_mad_u64_u32 v[2:3], s[18:19], v2, s12, 0
	v_add3_u32 v3, v3, v4, v1
	v_lshl_add_u64 v[4:5], v[2:3], 3, s[14:15]
	s_waitcnt lgkmcnt(0)
	v_mul_lo_u32 v1, s13, v6
	v_mul_lo_u32 v7, s12, v7
	v_mad_u64_u32 v[2:3], s[18:19], s12, v6, 0
	v_add3_u32 v3, v3, v7, v1
	v_lshl_add_u64 v[6:7], v[2:3], 3, s[14:15]
	s_mov_b64 s[14:15], 0
                                        ; implicit-def: $sgpr18_sgpr19
	s_branch .LBB782_46
.LBB782_45:                             ;   in Loop: Header=BB782_46 Depth=1
	s_or_b64 exec, exec, s[20:21]
	s_and_b64 s[20:21], exec, s[18:19]
	s_or_b64 s[14:15], s[20:21], s[14:15]
	s_andn2_b64 exec, exec, s[14:15]
	s_cbranch_execz .LBB782_48
.LBB782_46:                             ; =>This Inner Loop Header: Depth=1
	global_load_dwordx2 v[8:9], v[4:5], off
	global_load_dwordx2 v[10:11], v[6:7], off
	v_mov_b64_e32 v[2:3], 1
	s_or_b64 s[18:19], s[18:19], exec
	s_waitcnt vmcnt(0)
	v_cmp_eq_f64_e32 vcc, v[8:9], v[10:11]
	s_and_saveexec_b64 s[20:21], vcc
	s_cbranch_execz .LBB782_45
; %bb.47:                               ;   in Loop: Header=BB782_46 Depth=1
	s_add_u32 s12, s12, -1
	s_addc_u32 s13, s13, -1
	s_cmp_eq_u64 s[12:13], 0
	s_cselect_b64 s[22:23], -1, 0
	s_andn2_b64 s[18:19], s[18:19], exec
	s_and_b64 s[22:23], s[22:23], exec
	v_lshl_add_u64 v[4:5], v[4:5], 0, 8
	v_lshl_add_u64 v[6:7], v[6:7], 0, 8
	v_mov_b64_e32 v[2:3], 0
	s_or_b64 s[18:19], s[18:19], s[22:23]
	s_branch .LBB782_45
.LBB782_48:
	s_or_b64 exec, exec, s[14:15]
	s_branch .LBB782_50
.LBB782_49:
	v_mov_b64_e32 v[2:3], 0
.LBB782_50:
	s_or_b64 exec, exec, s[2:3]
	v_mov_b64_e32 v[8:9], v[2:3]
.LBB782_51:
	s_add_u32 s6, s8, s6
	s_addc_u32 s7, s9, s7
	s_mov_b64 s[2:3], -1
	s_and_b64 vcc, exec, s[0:1]
	s_waitcnt lgkmcnt(0)
	s_barrier
	s_cbranch_vccnz .LBB782_54
; %bb.52:
	s_andn2_b64 vcc, exec, s[2:3]
	s_cbranch_vccz .LBB782_57
.LBB782_53:
	s_endpgm
.LBB782_54:
	s_lshl_b32 s0, s16, 7
	s_sub_i32 s0, s10, s0
	v_lshlrev_b32_e32 v1, 3, v0
	v_cmp_gt_u32_e32 vcc, s0, v0
	ds_write_b64 v1, v[8:9]
	s_waitcnt lgkmcnt(0)
	s_barrier
	s_and_saveexec_b64 s[0:1], vcc
	s_cbranch_execz .LBB782_56
; %bb.55:
	ds_read_b64 v[2:3], v1
	s_mov_b32 s5, 0
	s_lshl_b64 s[2:3], s[4:5], 3
	s_add_u32 s2, s6, s2
	s_addc_u32 s3, s7, s3
	s_waitcnt lgkmcnt(0)
	global_store_dwordx2 v1, v[2:3], s[2:3]
.LBB782_56:
	s_or_b64 exec, exec, s[0:1]
	s_cbranch_execnz .LBB782_53
.LBB782_57:
	v_lshlrev_b32_e32 v2, 3, v0
	ds_write_b64 v2, v[8:9]
	s_waitcnt lgkmcnt(0)
	s_barrier
	ds_read_b64 v[0:1], v2
	s_mov_b32 s5, 0
	s_lshl_b64 s[0:1], s[4:5], 3
	s_add_u32 s0, s6, s0
	s_addc_u32 s1, s7, s1
	s_waitcnt lgkmcnt(0)
	global_store_dwordx2 v2, v[0:1], s[0:1]
	s_endpgm
	.section	.rodata,"a",@progbits
	.p2align	6, 0x0
	.amdhsa_kernel _ZN7rocprim17ROCPRIM_400000_NS6detail17trampoline_kernelINS0_14default_configENS1_35adjacent_difference_config_selectorILb0ElEEZNS1_24adjacent_difference_implIS3_Lb0ELb0EPlS7_ZN2at6native12_GLOBAL__N_124unique_dim_cuda_templateIdEESt5tupleIJNS8_6TensorESD_SD_EERKSD_lbbbEUlllE1_EE10hipError_tPvRmT2_T3_mT4_P12ihipStream_tbEUlT_E_NS1_11comp_targetILNS1_3genE0ELNS1_11target_archE4294967295ELNS1_3gpuE0ELNS1_3repE0EEENS1_30default_config_static_selectorELNS0_4arch9wavefront6targetE1EEEvT1_
		.amdhsa_group_segment_fixed_size 2048
		.amdhsa_private_segment_fixed_size 0
		.amdhsa_kernarg_size 64
		.amdhsa_user_sgpr_count 2
		.amdhsa_user_sgpr_dispatch_ptr 0
		.amdhsa_user_sgpr_queue_ptr 0
		.amdhsa_user_sgpr_kernarg_segment_ptr 1
		.amdhsa_user_sgpr_dispatch_id 0
		.amdhsa_user_sgpr_kernarg_preload_length 0
		.amdhsa_user_sgpr_kernarg_preload_offset 0
		.amdhsa_user_sgpr_private_segment_size 0
		.amdhsa_uses_dynamic_stack 0
		.amdhsa_enable_private_segment 0
		.amdhsa_system_sgpr_workgroup_id_x 1
		.amdhsa_system_sgpr_workgroup_id_y 0
		.amdhsa_system_sgpr_workgroup_id_z 0
		.amdhsa_system_sgpr_workgroup_info 0
		.amdhsa_system_vgpr_workitem_id 0
		.amdhsa_next_free_vgpr 14
		.amdhsa_next_free_sgpr 32
		.amdhsa_accum_offset 16
		.amdhsa_reserve_vcc 1
		.amdhsa_float_round_mode_32 0
		.amdhsa_float_round_mode_16_64 0
		.amdhsa_float_denorm_mode_32 3
		.amdhsa_float_denorm_mode_16_64 3
		.amdhsa_dx10_clamp 1
		.amdhsa_ieee_mode 1
		.amdhsa_fp16_overflow 0
		.amdhsa_tg_split 0
		.amdhsa_exception_fp_ieee_invalid_op 0
		.amdhsa_exception_fp_denorm_src 0
		.amdhsa_exception_fp_ieee_div_zero 0
		.amdhsa_exception_fp_ieee_overflow 0
		.amdhsa_exception_fp_ieee_underflow 0
		.amdhsa_exception_fp_ieee_inexact 0
		.amdhsa_exception_int_div_zero 0
	.end_amdhsa_kernel
	.section	.text._ZN7rocprim17ROCPRIM_400000_NS6detail17trampoline_kernelINS0_14default_configENS1_35adjacent_difference_config_selectorILb0ElEEZNS1_24adjacent_difference_implIS3_Lb0ELb0EPlS7_ZN2at6native12_GLOBAL__N_124unique_dim_cuda_templateIdEESt5tupleIJNS8_6TensorESD_SD_EERKSD_lbbbEUlllE1_EE10hipError_tPvRmT2_T3_mT4_P12ihipStream_tbEUlT_E_NS1_11comp_targetILNS1_3genE0ELNS1_11target_archE4294967295ELNS1_3gpuE0ELNS1_3repE0EEENS1_30default_config_static_selectorELNS0_4arch9wavefront6targetE1EEEvT1_,"axG",@progbits,_ZN7rocprim17ROCPRIM_400000_NS6detail17trampoline_kernelINS0_14default_configENS1_35adjacent_difference_config_selectorILb0ElEEZNS1_24adjacent_difference_implIS3_Lb0ELb0EPlS7_ZN2at6native12_GLOBAL__N_124unique_dim_cuda_templateIdEESt5tupleIJNS8_6TensorESD_SD_EERKSD_lbbbEUlllE1_EE10hipError_tPvRmT2_T3_mT4_P12ihipStream_tbEUlT_E_NS1_11comp_targetILNS1_3genE0ELNS1_11target_archE4294967295ELNS1_3gpuE0ELNS1_3repE0EEENS1_30default_config_static_selectorELNS0_4arch9wavefront6targetE1EEEvT1_,comdat
.Lfunc_end782:
	.size	_ZN7rocprim17ROCPRIM_400000_NS6detail17trampoline_kernelINS0_14default_configENS1_35adjacent_difference_config_selectorILb0ElEEZNS1_24adjacent_difference_implIS3_Lb0ELb0EPlS7_ZN2at6native12_GLOBAL__N_124unique_dim_cuda_templateIdEESt5tupleIJNS8_6TensorESD_SD_EERKSD_lbbbEUlllE1_EE10hipError_tPvRmT2_T3_mT4_P12ihipStream_tbEUlT_E_NS1_11comp_targetILNS1_3genE0ELNS1_11target_archE4294967295ELNS1_3gpuE0ELNS1_3repE0EEENS1_30default_config_static_selectorELNS0_4arch9wavefront6targetE1EEEvT1_, .Lfunc_end782-_ZN7rocprim17ROCPRIM_400000_NS6detail17trampoline_kernelINS0_14default_configENS1_35adjacent_difference_config_selectorILb0ElEEZNS1_24adjacent_difference_implIS3_Lb0ELb0EPlS7_ZN2at6native12_GLOBAL__N_124unique_dim_cuda_templateIdEESt5tupleIJNS8_6TensorESD_SD_EERKSD_lbbbEUlllE1_EE10hipError_tPvRmT2_T3_mT4_P12ihipStream_tbEUlT_E_NS1_11comp_targetILNS1_3genE0ELNS1_11target_archE4294967295ELNS1_3gpuE0ELNS1_3repE0EEENS1_30default_config_static_selectorELNS0_4arch9wavefront6targetE1EEEvT1_
                                        ; -- End function
	.set _ZN7rocprim17ROCPRIM_400000_NS6detail17trampoline_kernelINS0_14default_configENS1_35adjacent_difference_config_selectorILb0ElEEZNS1_24adjacent_difference_implIS3_Lb0ELb0EPlS7_ZN2at6native12_GLOBAL__N_124unique_dim_cuda_templateIdEESt5tupleIJNS8_6TensorESD_SD_EERKSD_lbbbEUlllE1_EE10hipError_tPvRmT2_T3_mT4_P12ihipStream_tbEUlT_E_NS1_11comp_targetILNS1_3genE0ELNS1_11target_archE4294967295ELNS1_3gpuE0ELNS1_3repE0EEENS1_30default_config_static_selectorELNS0_4arch9wavefront6targetE1EEEvT1_.num_vgpr, 14
	.set _ZN7rocprim17ROCPRIM_400000_NS6detail17trampoline_kernelINS0_14default_configENS1_35adjacent_difference_config_selectorILb0ElEEZNS1_24adjacent_difference_implIS3_Lb0ELb0EPlS7_ZN2at6native12_GLOBAL__N_124unique_dim_cuda_templateIdEESt5tupleIJNS8_6TensorESD_SD_EERKSD_lbbbEUlllE1_EE10hipError_tPvRmT2_T3_mT4_P12ihipStream_tbEUlT_E_NS1_11comp_targetILNS1_3genE0ELNS1_11target_archE4294967295ELNS1_3gpuE0ELNS1_3repE0EEENS1_30default_config_static_selectorELNS0_4arch9wavefront6targetE1EEEvT1_.num_agpr, 0
	.set _ZN7rocprim17ROCPRIM_400000_NS6detail17trampoline_kernelINS0_14default_configENS1_35adjacent_difference_config_selectorILb0ElEEZNS1_24adjacent_difference_implIS3_Lb0ELb0EPlS7_ZN2at6native12_GLOBAL__N_124unique_dim_cuda_templateIdEESt5tupleIJNS8_6TensorESD_SD_EERKSD_lbbbEUlllE1_EE10hipError_tPvRmT2_T3_mT4_P12ihipStream_tbEUlT_E_NS1_11comp_targetILNS1_3genE0ELNS1_11target_archE4294967295ELNS1_3gpuE0ELNS1_3repE0EEENS1_30default_config_static_selectorELNS0_4arch9wavefront6targetE1EEEvT1_.numbered_sgpr, 32
	.set _ZN7rocprim17ROCPRIM_400000_NS6detail17trampoline_kernelINS0_14default_configENS1_35adjacent_difference_config_selectorILb0ElEEZNS1_24adjacent_difference_implIS3_Lb0ELb0EPlS7_ZN2at6native12_GLOBAL__N_124unique_dim_cuda_templateIdEESt5tupleIJNS8_6TensorESD_SD_EERKSD_lbbbEUlllE1_EE10hipError_tPvRmT2_T3_mT4_P12ihipStream_tbEUlT_E_NS1_11comp_targetILNS1_3genE0ELNS1_11target_archE4294967295ELNS1_3gpuE0ELNS1_3repE0EEENS1_30default_config_static_selectorELNS0_4arch9wavefront6targetE1EEEvT1_.num_named_barrier, 0
	.set _ZN7rocprim17ROCPRIM_400000_NS6detail17trampoline_kernelINS0_14default_configENS1_35adjacent_difference_config_selectorILb0ElEEZNS1_24adjacent_difference_implIS3_Lb0ELb0EPlS7_ZN2at6native12_GLOBAL__N_124unique_dim_cuda_templateIdEESt5tupleIJNS8_6TensorESD_SD_EERKSD_lbbbEUlllE1_EE10hipError_tPvRmT2_T3_mT4_P12ihipStream_tbEUlT_E_NS1_11comp_targetILNS1_3genE0ELNS1_11target_archE4294967295ELNS1_3gpuE0ELNS1_3repE0EEENS1_30default_config_static_selectorELNS0_4arch9wavefront6targetE1EEEvT1_.private_seg_size, 0
	.set _ZN7rocprim17ROCPRIM_400000_NS6detail17trampoline_kernelINS0_14default_configENS1_35adjacent_difference_config_selectorILb0ElEEZNS1_24adjacent_difference_implIS3_Lb0ELb0EPlS7_ZN2at6native12_GLOBAL__N_124unique_dim_cuda_templateIdEESt5tupleIJNS8_6TensorESD_SD_EERKSD_lbbbEUlllE1_EE10hipError_tPvRmT2_T3_mT4_P12ihipStream_tbEUlT_E_NS1_11comp_targetILNS1_3genE0ELNS1_11target_archE4294967295ELNS1_3gpuE0ELNS1_3repE0EEENS1_30default_config_static_selectorELNS0_4arch9wavefront6targetE1EEEvT1_.uses_vcc, 1
	.set _ZN7rocprim17ROCPRIM_400000_NS6detail17trampoline_kernelINS0_14default_configENS1_35adjacent_difference_config_selectorILb0ElEEZNS1_24adjacent_difference_implIS3_Lb0ELb0EPlS7_ZN2at6native12_GLOBAL__N_124unique_dim_cuda_templateIdEESt5tupleIJNS8_6TensorESD_SD_EERKSD_lbbbEUlllE1_EE10hipError_tPvRmT2_T3_mT4_P12ihipStream_tbEUlT_E_NS1_11comp_targetILNS1_3genE0ELNS1_11target_archE4294967295ELNS1_3gpuE0ELNS1_3repE0EEENS1_30default_config_static_selectorELNS0_4arch9wavefront6targetE1EEEvT1_.uses_flat_scratch, 0
	.set _ZN7rocprim17ROCPRIM_400000_NS6detail17trampoline_kernelINS0_14default_configENS1_35adjacent_difference_config_selectorILb0ElEEZNS1_24adjacent_difference_implIS3_Lb0ELb0EPlS7_ZN2at6native12_GLOBAL__N_124unique_dim_cuda_templateIdEESt5tupleIJNS8_6TensorESD_SD_EERKSD_lbbbEUlllE1_EE10hipError_tPvRmT2_T3_mT4_P12ihipStream_tbEUlT_E_NS1_11comp_targetILNS1_3genE0ELNS1_11target_archE4294967295ELNS1_3gpuE0ELNS1_3repE0EEENS1_30default_config_static_selectorELNS0_4arch9wavefront6targetE1EEEvT1_.has_dyn_sized_stack, 0
	.set _ZN7rocprim17ROCPRIM_400000_NS6detail17trampoline_kernelINS0_14default_configENS1_35adjacent_difference_config_selectorILb0ElEEZNS1_24adjacent_difference_implIS3_Lb0ELb0EPlS7_ZN2at6native12_GLOBAL__N_124unique_dim_cuda_templateIdEESt5tupleIJNS8_6TensorESD_SD_EERKSD_lbbbEUlllE1_EE10hipError_tPvRmT2_T3_mT4_P12ihipStream_tbEUlT_E_NS1_11comp_targetILNS1_3genE0ELNS1_11target_archE4294967295ELNS1_3gpuE0ELNS1_3repE0EEENS1_30default_config_static_selectorELNS0_4arch9wavefront6targetE1EEEvT1_.has_recursion, 0
	.set _ZN7rocprim17ROCPRIM_400000_NS6detail17trampoline_kernelINS0_14default_configENS1_35adjacent_difference_config_selectorILb0ElEEZNS1_24adjacent_difference_implIS3_Lb0ELb0EPlS7_ZN2at6native12_GLOBAL__N_124unique_dim_cuda_templateIdEESt5tupleIJNS8_6TensorESD_SD_EERKSD_lbbbEUlllE1_EE10hipError_tPvRmT2_T3_mT4_P12ihipStream_tbEUlT_E_NS1_11comp_targetILNS1_3genE0ELNS1_11target_archE4294967295ELNS1_3gpuE0ELNS1_3repE0EEENS1_30default_config_static_selectorELNS0_4arch9wavefront6targetE1EEEvT1_.has_indirect_call, 0
	.section	.AMDGPU.csdata,"",@progbits
; Kernel info:
; codeLenInByte = 1740
; TotalNumSgprs: 38
; NumVgprs: 14
; NumAgprs: 0
; TotalNumVgprs: 14
; ScratchSize: 0
; MemoryBound: 0
; FloatMode: 240
; IeeeMode: 1
; LDSByteSize: 2048 bytes/workgroup (compile time only)
; SGPRBlocks: 4
; VGPRBlocks: 1
; NumSGPRsForWavesPerEU: 38
; NumVGPRsForWavesPerEU: 14
; AccumOffset: 16
; Occupancy: 8
; WaveLimiterHint : 0
; COMPUTE_PGM_RSRC2:SCRATCH_EN: 0
; COMPUTE_PGM_RSRC2:USER_SGPR: 2
; COMPUTE_PGM_RSRC2:TRAP_HANDLER: 0
; COMPUTE_PGM_RSRC2:TGID_X_EN: 1
; COMPUTE_PGM_RSRC2:TGID_Y_EN: 0
; COMPUTE_PGM_RSRC2:TGID_Z_EN: 0
; COMPUTE_PGM_RSRC2:TIDIG_COMP_CNT: 0
; COMPUTE_PGM_RSRC3_GFX90A:ACCUM_OFFSET: 3
; COMPUTE_PGM_RSRC3_GFX90A:TG_SPLIT: 0
	.section	.text._ZN7rocprim17ROCPRIM_400000_NS6detail17trampoline_kernelINS0_14default_configENS1_35adjacent_difference_config_selectorILb0ElEEZNS1_24adjacent_difference_implIS3_Lb0ELb0EPlS7_ZN2at6native12_GLOBAL__N_124unique_dim_cuda_templateIdEESt5tupleIJNS8_6TensorESD_SD_EERKSD_lbbbEUlllE1_EE10hipError_tPvRmT2_T3_mT4_P12ihipStream_tbEUlT_E_NS1_11comp_targetILNS1_3genE10ELNS1_11target_archE1201ELNS1_3gpuE5ELNS1_3repE0EEENS1_30default_config_static_selectorELNS0_4arch9wavefront6targetE1EEEvT1_,"axG",@progbits,_ZN7rocprim17ROCPRIM_400000_NS6detail17trampoline_kernelINS0_14default_configENS1_35adjacent_difference_config_selectorILb0ElEEZNS1_24adjacent_difference_implIS3_Lb0ELb0EPlS7_ZN2at6native12_GLOBAL__N_124unique_dim_cuda_templateIdEESt5tupleIJNS8_6TensorESD_SD_EERKSD_lbbbEUlllE1_EE10hipError_tPvRmT2_T3_mT4_P12ihipStream_tbEUlT_E_NS1_11comp_targetILNS1_3genE10ELNS1_11target_archE1201ELNS1_3gpuE5ELNS1_3repE0EEENS1_30default_config_static_selectorELNS0_4arch9wavefront6targetE1EEEvT1_,comdat
	.globl	_ZN7rocprim17ROCPRIM_400000_NS6detail17trampoline_kernelINS0_14default_configENS1_35adjacent_difference_config_selectorILb0ElEEZNS1_24adjacent_difference_implIS3_Lb0ELb0EPlS7_ZN2at6native12_GLOBAL__N_124unique_dim_cuda_templateIdEESt5tupleIJNS8_6TensorESD_SD_EERKSD_lbbbEUlllE1_EE10hipError_tPvRmT2_T3_mT4_P12ihipStream_tbEUlT_E_NS1_11comp_targetILNS1_3genE10ELNS1_11target_archE1201ELNS1_3gpuE5ELNS1_3repE0EEENS1_30default_config_static_selectorELNS0_4arch9wavefront6targetE1EEEvT1_ ; -- Begin function _ZN7rocprim17ROCPRIM_400000_NS6detail17trampoline_kernelINS0_14default_configENS1_35adjacent_difference_config_selectorILb0ElEEZNS1_24adjacent_difference_implIS3_Lb0ELb0EPlS7_ZN2at6native12_GLOBAL__N_124unique_dim_cuda_templateIdEESt5tupleIJNS8_6TensorESD_SD_EERKSD_lbbbEUlllE1_EE10hipError_tPvRmT2_T3_mT4_P12ihipStream_tbEUlT_E_NS1_11comp_targetILNS1_3genE10ELNS1_11target_archE1201ELNS1_3gpuE5ELNS1_3repE0EEENS1_30default_config_static_selectorELNS0_4arch9wavefront6targetE1EEEvT1_
	.p2align	8
	.type	_ZN7rocprim17ROCPRIM_400000_NS6detail17trampoline_kernelINS0_14default_configENS1_35adjacent_difference_config_selectorILb0ElEEZNS1_24adjacent_difference_implIS3_Lb0ELb0EPlS7_ZN2at6native12_GLOBAL__N_124unique_dim_cuda_templateIdEESt5tupleIJNS8_6TensorESD_SD_EERKSD_lbbbEUlllE1_EE10hipError_tPvRmT2_T3_mT4_P12ihipStream_tbEUlT_E_NS1_11comp_targetILNS1_3genE10ELNS1_11target_archE1201ELNS1_3gpuE5ELNS1_3repE0EEENS1_30default_config_static_selectorELNS0_4arch9wavefront6targetE1EEEvT1_,@function
_ZN7rocprim17ROCPRIM_400000_NS6detail17trampoline_kernelINS0_14default_configENS1_35adjacent_difference_config_selectorILb0ElEEZNS1_24adjacent_difference_implIS3_Lb0ELb0EPlS7_ZN2at6native12_GLOBAL__N_124unique_dim_cuda_templateIdEESt5tupleIJNS8_6TensorESD_SD_EERKSD_lbbbEUlllE1_EE10hipError_tPvRmT2_T3_mT4_P12ihipStream_tbEUlT_E_NS1_11comp_targetILNS1_3genE10ELNS1_11target_archE1201ELNS1_3gpuE5ELNS1_3repE0EEENS1_30default_config_static_selectorELNS0_4arch9wavefront6targetE1EEEvT1_: ; @_ZN7rocprim17ROCPRIM_400000_NS6detail17trampoline_kernelINS0_14default_configENS1_35adjacent_difference_config_selectorILb0ElEEZNS1_24adjacent_difference_implIS3_Lb0ELb0EPlS7_ZN2at6native12_GLOBAL__N_124unique_dim_cuda_templateIdEESt5tupleIJNS8_6TensorESD_SD_EERKSD_lbbbEUlllE1_EE10hipError_tPvRmT2_T3_mT4_P12ihipStream_tbEUlT_E_NS1_11comp_targetILNS1_3genE10ELNS1_11target_archE1201ELNS1_3gpuE5ELNS1_3repE0EEENS1_30default_config_static_selectorELNS0_4arch9wavefront6targetE1EEEvT1_
; %bb.0:
	.section	.rodata,"a",@progbits
	.p2align	6, 0x0
	.amdhsa_kernel _ZN7rocprim17ROCPRIM_400000_NS6detail17trampoline_kernelINS0_14default_configENS1_35adjacent_difference_config_selectorILb0ElEEZNS1_24adjacent_difference_implIS3_Lb0ELb0EPlS7_ZN2at6native12_GLOBAL__N_124unique_dim_cuda_templateIdEESt5tupleIJNS8_6TensorESD_SD_EERKSD_lbbbEUlllE1_EE10hipError_tPvRmT2_T3_mT4_P12ihipStream_tbEUlT_E_NS1_11comp_targetILNS1_3genE10ELNS1_11target_archE1201ELNS1_3gpuE5ELNS1_3repE0EEENS1_30default_config_static_selectorELNS0_4arch9wavefront6targetE1EEEvT1_
		.amdhsa_group_segment_fixed_size 0
		.amdhsa_private_segment_fixed_size 0
		.amdhsa_kernarg_size 64
		.amdhsa_user_sgpr_count 2
		.amdhsa_user_sgpr_dispatch_ptr 0
		.amdhsa_user_sgpr_queue_ptr 0
		.amdhsa_user_sgpr_kernarg_segment_ptr 1
		.amdhsa_user_sgpr_dispatch_id 0
		.amdhsa_user_sgpr_kernarg_preload_length 0
		.amdhsa_user_sgpr_kernarg_preload_offset 0
		.amdhsa_user_sgpr_private_segment_size 0
		.amdhsa_uses_dynamic_stack 0
		.amdhsa_enable_private_segment 0
		.amdhsa_system_sgpr_workgroup_id_x 1
		.amdhsa_system_sgpr_workgroup_id_y 0
		.amdhsa_system_sgpr_workgroup_id_z 0
		.amdhsa_system_sgpr_workgroup_info 0
		.amdhsa_system_vgpr_workitem_id 0
		.amdhsa_next_free_vgpr 1
		.amdhsa_next_free_sgpr 0
		.amdhsa_accum_offset 4
		.amdhsa_reserve_vcc 0
		.amdhsa_float_round_mode_32 0
		.amdhsa_float_round_mode_16_64 0
		.amdhsa_float_denorm_mode_32 3
		.amdhsa_float_denorm_mode_16_64 3
		.amdhsa_dx10_clamp 1
		.amdhsa_ieee_mode 1
		.amdhsa_fp16_overflow 0
		.amdhsa_tg_split 0
		.amdhsa_exception_fp_ieee_invalid_op 0
		.amdhsa_exception_fp_denorm_src 0
		.amdhsa_exception_fp_ieee_div_zero 0
		.amdhsa_exception_fp_ieee_overflow 0
		.amdhsa_exception_fp_ieee_underflow 0
		.amdhsa_exception_fp_ieee_inexact 0
		.amdhsa_exception_int_div_zero 0
	.end_amdhsa_kernel
	.section	.text._ZN7rocprim17ROCPRIM_400000_NS6detail17trampoline_kernelINS0_14default_configENS1_35adjacent_difference_config_selectorILb0ElEEZNS1_24adjacent_difference_implIS3_Lb0ELb0EPlS7_ZN2at6native12_GLOBAL__N_124unique_dim_cuda_templateIdEESt5tupleIJNS8_6TensorESD_SD_EERKSD_lbbbEUlllE1_EE10hipError_tPvRmT2_T3_mT4_P12ihipStream_tbEUlT_E_NS1_11comp_targetILNS1_3genE10ELNS1_11target_archE1201ELNS1_3gpuE5ELNS1_3repE0EEENS1_30default_config_static_selectorELNS0_4arch9wavefront6targetE1EEEvT1_,"axG",@progbits,_ZN7rocprim17ROCPRIM_400000_NS6detail17trampoline_kernelINS0_14default_configENS1_35adjacent_difference_config_selectorILb0ElEEZNS1_24adjacent_difference_implIS3_Lb0ELb0EPlS7_ZN2at6native12_GLOBAL__N_124unique_dim_cuda_templateIdEESt5tupleIJNS8_6TensorESD_SD_EERKSD_lbbbEUlllE1_EE10hipError_tPvRmT2_T3_mT4_P12ihipStream_tbEUlT_E_NS1_11comp_targetILNS1_3genE10ELNS1_11target_archE1201ELNS1_3gpuE5ELNS1_3repE0EEENS1_30default_config_static_selectorELNS0_4arch9wavefront6targetE1EEEvT1_,comdat
.Lfunc_end783:
	.size	_ZN7rocprim17ROCPRIM_400000_NS6detail17trampoline_kernelINS0_14default_configENS1_35adjacent_difference_config_selectorILb0ElEEZNS1_24adjacent_difference_implIS3_Lb0ELb0EPlS7_ZN2at6native12_GLOBAL__N_124unique_dim_cuda_templateIdEESt5tupleIJNS8_6TensorESD_SD_EERKSD_lbbbEUlllE1_EE10hipError_tPvRmT2_T3_mT4_P12ihipStream_tbEUlT_E_NS1_11comp_targetILNS1_3genE10ELNS1_11target_archE1201ELNS1_3gpuE5ELNS1_3repE0EEENS1_30default_config_static_selectorELNS0_4arch9wavefront6targetE1EEEvT1_, .Lfunc_end783-_ZN7rocprim17ROCPRIM_400000_NS6detail17trampoline_kernelINS0_14default_configENS1_35adjacent_difference_config_selectorILb0ElEEZNS1_24adjacent_difference_implIS3_Lb0ELb0EPlS7_ZN2at6native12_GLOBAL__N_124unique_dim_cuda_templateIdEESt5tupleIJNS8_6TensorESD_SD_EERKSD_lbbbEUlllE1_EE10hipError_tPvRmT2_T3_mT4_P12ihipStream_tbEUlT_E_NS1_11comp_targetILNS1_3genE10ELNS1_11target_archE1201ELNS1_3gpuE5ELNS1_3repE0EEENS1_30default_config_static_selectorELNS0_4arch9wavefront6targetE1EEEvT1_
                                        ; -- End function
	.set _ZN7rocprim17ROCPRIM_400000_NS6detail17trampoline_kernelINS0_14default_configENS1_35adjacent_difference_config_selectorILb0ElEEZNS1_24adjacent_difference_implIS3_Lb0ELb0EPlS7_ZN2at6native12_GLOBAL__N_124unique_dim_cuda_templateIdEESt5tupleIJNS8_6TensorESD_SD_EERKSD_lbbbEUlllE1_EE10hipError_tPvRmT2_T3_mT4_P12ihipStream_tbEUlT_E_NS1_11comp_targetILNS1_3genE10ELNS1_11target_archE1201ELNS1_3gpuE5ELNS1_3repE0EEENS1_30default_config_static_selectorELNS0_4arch9wavefront6targetE1EEEvT1_.num_vgpr, 0
	.set _ZN7rocprim17ROCPRIM_400000_NS6detail17trampoline_kernelINS0_14default_configENS1_35adjacent_difference_config_selectorILb0ElEEZNS1_24adjacent_difference_implIS3_Lb0ELb0EPlS7_ZN2at6native12_GLOBAL__N_124unique_dim_cuda_templateIdEESt5tupleIJNS8_6TensorESD_SD_EERKSD_lbbbEUlllE1_EE10hipError_tPvRmT2_T3_mT4_P12ihipStream_tbEUlT_E_NS1_11comp_targetILNS1_3genE10ELNS1_11target_archE1201ELNS1_3gpuE5ELNS1_3repE0EEENS1_30default_config_static_selectorELNS0_4arch9wavefront6targetE1EEEvT1_.num_agpr, 0
	.set _ZN7rocprim17ROCPRIM_400000_NS6detail17trampoline_kernelINS0_14default_configENS1_35adjacent_difference_config_selectorILb0ElEEZNS1_24adjacent_difference_implIS3_Lb0ELb0EPlS7_ZN2at6native12_GLOBAL__N_124unique_dim_cuda_templateIdEESt5tupleIJNS8_6TensorESD_SD_EERKSD_lbbbEUlllE1_EE10hipError_tPvRmT2_T3_mT4_P12ihipStream_tbEUlT_E_NS1_11comp_targetILNS1_3genE10ELNS1_11target_archE1201ELNS1_3gpuE5ELNS1_3repE0EEENS1_30default_config_static_selectorELNS0_4arch9wavefront6targetE1EEEvT1_.numbered_sgpr, 0
	.set _ZN7rocprim17ROCPRIM_400000_NS6detail17trampoline_kernelINS0_14default_configENS1_35adjacent_difference_config_selectorILb0ElEEZNS1_24adjacent_difference_implIS3_Lb0ELb0EPlS7_ZN2at6native12_GLOBAL__N_124unique_dim_cuda_templateIdEESt5tupleIJNS8_6TensorESD_SD_EERKSD_lbbbEUlllE1_EE10hipError_tPvRmT2_T3_mT4_P12ihipStream_tbEUlT_E_NS1_11comp_targetILNS1_3genE10ELNS1_11target_archE1201ELNS1_3gpuE5ELNS1_3repE0EEENS1_30default_config_static_selectorELNS0_4arch9wavefront6targetE1EEEvT1_.num_named_barrier, 0
	.set _ZN7rocprim17ROCPRIM_400000_NS6detail17trampoline_kernelINS0_14default_configENS1_35adjacent_difference_config_selectorILb0ElEEZNS1_24adjacent_difference_implIS3_Lb0ELb0EPlS7_ZN2at6native12_GLOBAL__N_124unique_dim_cuda_templateIdEESt5tupleIJNS8_6TensorESD_SD_EERKSD_lbbbEUlllE1_EE10hipError_tPvRmT2_T3_mT4_P12ihipStream_tbEUlT_E_NS1_11comp_targetILNS1_3genE10ELNS1_11target_archE1201ELNS1_3gpuE5ELNS1_3repE0EEENS1_30default_config_static_selectorELNS0_4arch9wavefront6targetE1EEEvT1_.private_seg_size, 0
	.set _ZN7rocprim17ROCPRIM_400000_NS6detail17trampoline_kernelINS0_14default_configENS1_35adjacent_difference_config_selectorILb0ElEEZNS1_24adjacent_difference_implIS3_Lb0ELb0EPlS7_ZN2at6native12_GLOBAL__N_124unique_dim_cuda_templateIdEESt5tupleIJNS8_6TensorESD_SD_EERKSD_lbbbEUlllE1_EE10hipError_tPvRmT2_T3_mT4_P12ihipStream_tbEUlT_E_NS1_11comp_targetILNS1_3genE10ELNS1_11target_archE1201ELNS1_3gpuE5ELNS1_3repE0EEENS1_30default_config_static_selectorELNS0_4arch9wavefront6targetE1EEEvT1_.uses_vcc, 0
	.set _ZN7rocprim17ROCPRIM_400000_NS6detail17trampoline_kernelINS0_14default_configENS1_35adjacent_difference_config_selectorILb0ElEEZNS1_24adjacent_difference_implIS3_Lb0ELb0EPlS7_ZN2at6native12_GLOBAL__N_124unique_dim_cuda_templateIdEESt5tupleIJNS8_6TensorESD_SD_EERKSD_lbbbEUlllE1_EE10hipError_tPvRmT2_T3_mT4_P12ihipStream_tbEUlT_E_NS1_11comp_targetILNS1_3genE10ELNS1_11target_archE1201ELNS1_3gpuE5ELNS1_3repE0EEENS1_30default_config_static_selectorELNS0_4arch9wavefront6targetE1EEEvT1_.uses_flat_scratch, 0
	.set _ZN7rocprim17ROCPRIM_400000_NS6detail17trampoline_kernelINS0_14default_configENS1_35adjacent_difference_config_selectorILb0ElEEZNS1_24adjacent_difference_implIS3_Lb0ELb0EPlS7_ZN2at6native12_GLOBAL__N_124unique_dim_cuda_templateIdEESt5tupleIJNS8_6TensorESD_SD_EERKSD_lbbbEUlllE1_EE10hipError_tPvRmT2_T3_mT4_P12ihipStream_tbEUlT_E_NS1_11comp_targetILNS1_3genE10ELNS1_11target_archE1201ELNS1_3gpuE5ELNS1_3repE0EEENS1_30default_config_static_selectorELNS0_4arch9wavefront6targetE1EEEvT1_.has_dyn_sized_stack, 0
	.set _ZN7rocprim17ROCPRIM_400000_NS6detail17trampoline_kernelINS0_14default_configENS1_35adjacent_difference_config_selectorILb0ElEEZNS1_24adjacent_difference_implIS3_Lb0ELb0EPlS7_ZN2at6native12_GLOBAL__N_124unique_dim_cuda_templateIdEESt5tupleIJNS8_6TensorESD_SD_EERKSD_lbbbEUlllE1_EE10hipError_tPvRmT2_T3_mT4_P12ihipStream_tbEUlT_E_NS1_11comp_targetILNS1_3genE10ELNS1_11target_archE1201ELNS1_3gpuE5ELNS1_3repE0EEENS1_30default_config_static_selectorELNS0_4arch9wavefront6targetE1EEEvT1_.has_recursion, 0
	.set _ZN7rocprim17ROCPRIM_400000_NS6detail17trampoline_kernelINS0_14default_configENS1_35adjacent_difference_config_selectorILb0ElEEZNS1_24adjacent_difference_implIS3_Lb0ELb0EPlS7_ZN2at6native12_GLOBAL__N_124unique_dim_cuda_templateIdEESt5tupleIJNS8_6TensorESD_SD_EERKSD_lbbbEUlllE1_EE10hipError_tPvRmT2_T3_mT4_P12ihipStream_tbEUlT_E_NS1_11comp_targetILNS1_3genE10ELNS1_11target_archE1201ELNS1_3gpuE5ELNS1_3repE0EEENS1_30default_config_static_selectorELNS0_4arch9wavefront6targetE1EEEvT1_.has_indirect_call, 0
	.section	.AMDGPU.csdata,"",@progbits
; Kernel info:
; codeLenInByte = 0
; TotalNumSgprs: 6
; NumVgprs: 0
; NumAgprs: 0
; TotalNumVgprs: 0
; ScratchSize: 0
; MemoryBound: 0
; FloatMode: 240
; IeeeMode: 1
; LDSByteSize: 0 bytes/workgroup (compile time only)
; SGPRBlocks: 0
; VGPRBlocks: 0
; NumSGPRsForWavesPerEU: 6
; NumVGPRsForWavesPerEU: 1
; AccumOffset: 4
; Occupancy: 8
; WaveLimiterHint : 0
; COMPUTE_PGM_RSRC2:SCRATCH_EN: 0
; COMPUTE_PGM_RSRC2:USER_SGPR: 2
; COMPUTE_PGM_RSRC2:TRAP_HANDLER: 0
; COMPUTE_PGM_RSRC2:TGID_X_EN: 1
; COMPUTE_PGM_RSRC2:TGID_Y_EN: 0
; COMPUTE_PGM_RSRC2:TGID_Z_EN: 0
; COMPUTE_PGM_RSRC2:TIDIG_COMP_CNT: 0
; COMPUTE_PGM_RSRC3_GFX90A:ACCUM_OFFSET: 0
; COMPUTE_PGM_RSRC3_GFX90A:TG_SPLIT: 0
	.section	.text._ZN7rocprim17ROCPRIM_400000_NS6detail17trampoline_kernelINS0_14default_configENS1_35adjacent_difference_config_selectorILb0ElEEZNS1_24adjacent_difference_implIS3_Lb0ELb0EPlS7_ZN2at6native12_GLOBAL__N_124unique_dim_cuda_templateIdEESt5tupleIJNS8_6TensorESD_SD_EERKSD_lbbbEUlllE1_EE10hipError_tPvRmT2_T3_mT4_P12ihipStream_tbEUlT_E_NS1_11comp_targetILNS1_3genE5ELNS1_11target_archE942ELNS1_3gpuE9ELNS1_3repE0EEENS1_30default_config_static_selectorELNS0_4arch9wavefront6targetE1EEEvT1_,"axG",@progbits,_ZN7rocprim17ROCPRIM_400000_NS6detail17trampoline_kernelINS0_14default_configENS1_35adjacent_difference_config_selectorILb0ElEEZNS1_24adjacent_difference_implIS3_Lb0ELb0EPlS7_ZN2at6native12_GLOBAL__N_124unique_dim_cuda_templateIdEESt5tupleIJNS8_6TensorESD_SD_EERKSD_lbbbEUlllE1_EE10hipError_tPvRmT2_T3_mT4_P12ihipStream_tbEUlT_E_NS1_11comp_targetILNS1_3genE5ELNS1_11target_archE942ELNS1_3gpuE9ELNS1_3repE0EEENS1_30default_config_static_selectorELNS0_4arch9wavefront6targetE1EEEvT1_,comdat
	.globl	_ZN7rocprim17ROCPRIM_400000_NS6detail17trampoline_kernelINS0_14default_configENS1_35adjacent_difference_config_selectorILb0ElEEZNS1_24adjacent_difference_implIS3_Lb0ELb0EPlS7_ZN2at6native12_GLOBAL__N_124unique_dim_cuda_templateIdEESt5tupleIJNS8_6TensorESD_SD_EERKSD_lbbbEUlllE1_EE10hipError_tPvRmT2_T3_mT4_P12ihipStream_tbEUlT_E_NS1_11comp_targetILNS1_3genE5ELNS1_11target_archE942ELNS1_3gpuE9ELNS1_3repE0EEENS1_30default_config_static_selectorELNS0_4arch9wavefront6targetE1EEEvT1_ ; -- Begin function _ZN7rocprim17ROCPRIM_400000_NS6detail17trampoline_kernelINS0_14default_configENS1_35adjacent_difference_config_selectorILb0ElEEZNS1_24adjacent_difference_implIS3_Lb0ELb0EPlS7_ZN2at6native12_GLOBAL__N_124unique_dim_cuda_templateIdEESt5tupleIJNS8_6TensorESD_SD_EERKSD_lbbbEUlllE1_EE10hipError_tPvRmT2_T3_mT4_P12ihipStream_tbEUlT_E_NS1_11comp_targetILNS1_3genE5ELNS1_11target_archE942ELNS1_3gpuE9ELNS1_3repE0EEENS1_30default_config_static_selectorELNS0_4arch9wavefront6targetE1EEEvT1_
	.p2align	8
	.type	_ZN7rocprim17ROCPRIM_400000_NS6detail17trampoline_kernelINS0_14default_configENS1_35adjacent_difference_config_selectorILb0ElEEZNS1_24adjacent_difference_implIS3_Lb0ELb0EPlS7_ZN2at6native12_GLOBAL__N_124unique_dim_cuda_templateIdEESt5tupleIJNS8_6TensorESD_SD_EERKSD_lbbbEUlllE1_EE10hipError_tPvRmT2_T3_mT4_P12ihipStream_tbEUlT_E_NS1_11comp_targetILNS1_3genE5ELNS1_11target_archE942ELNS1_3gpuE9ELNS1_3repE0EEENS1_30default_config_static_selectorELNS0_4arch9wavefront6targetE1EEEvT1_,@function
_ZN7rocprim17ROCPRIM_400000_NS6detail17trampoline_kernelINS0_14default_configENS1_35adjacent_difference_config_selectorILb0ElEEZNS1_24adjacent_difference_implIS3_Lb0ELb0EPlS7_ZN2at6native12_GLOBAL__N_124unique_dim_cuda_templateIdEESt5tupleIJNS8_6TensorESD_SD_EERKSD_lbbbEUlllE1_EE10hipError_tPvRmT2_T3_mT4_P12ihipStream_tbEUlT_E_NS1_11comp_targetILNS1_3genE5ELNS1_11target_archE942ELNS1_3gpuE9ELNS1_3repE0EEENS1_30default_config_static_selectorELNS0_4arch9wavefront6targetE1EEEvT1_: ; @_ZN7rocprim17ROCPRIM_400000_NS6detail17trampoline_kernelINS0_14default_configENS1_35adjacent_difference_config_selectorILb0ElEEZNS1_24adjacent_difference_implIS3_Lb0ELb0EPlS7_ZN2at6native12_GLOBAL__N_124unique_dim_cuda_templateIdEESt5tupleIJNS8_6TensorESD_SD_EERKSD_lbbbEUlllE1_EE10hipError_tPvRmT2_T3_mT4_P12ihipStream_tbEUlT_E_NS1_11comp_targetILNS1_3genE5ELNS1_11target_archE942ELNS1_3gpuE9ELNS1_3repE0EEENS1_30default_config_static_selectorELNS0_4arch9wavefront6targetE1EEEvT1_
; %bb.0:
	.section	.rodata,"a",@progbits
	.p2align	6, 0x0
	.amdhsa_kernel _ZN7rocprim17ROCPRIM_400000_NS6detail17trampoline_kernelINS0_14default_configENS1_35adjacent_difference_config_selectorILb0ElEEZNS1_24adjacent_difference_implIS3_Lb0ELb0EPlS7_ZN2at6native12_GLOBAL__N_124unique_dim_cuda_templateIdEESt5tupleIJNS8_6TensorESD_SD_EERKSD_lbbbEUlllE1_EE10hipError_tPvRmT2_T3_mT4_P12ihipStream_tbEUlT_E_NS1_11comp_targetILNS1_3genE5ELNS1_11target_archE942ELNS1_3gpuE9ELNS1_3repE0EEENS1_30default_config_static_selectorELNS0_4arch9wavefront6targetE1EEEvT1_
		.amdhsa_group_segment_fixed_size 0
		.amdhsa_private_segment_fixed_size 0
		.amdhsa_kernarg_size 64
		.amdhsa_user_sgpr_count 2
		.amdhsa_user_sgpr_dispatch_ptr 0
		.amdhsa_user_sgpr_queue_ptr 0
		.amdhsa_user_sgpr_kernarg_segment_ptr 1
		.amdhsa_user_sgpr_dispatch_id 0
		.amdhsa_user_sgpr_kernarg_preload_length 0
		.amdhsa_user_sgpr_kernarg_preload_offset 0
		.amdhsa_user_sgpr_private_segment_size 0
		.amdhsa_uses_dynamic_stack 0
		.amdhsa_enable_private_segment 0
		.amdhsa_system_sgpr_workgroup_id_x 1
		.amdhsa_system_sgpr_workgroup_id_y 0
		.amdhsa_system_sgpr_workgroup_id_z 0
		.amdhsa_system_sgpr_workgroup_info 0
		.amdhsa_system_vgpr_workitem_id 0
		.amdhsa_next_free_vgpr 1
		.amdhsa_next_free_sgpr 0
		.amdhsa_accum_offset 4
		.amdhsa_reserve_vcc 0
		.amdhsa_float_round_mode_32 0
		.amdhsa_float_round_mode_16_64 0
		.amdhsa_float_denorm_mode_32 3
		.amdhsa_float_denorm_mode_16_64 3
		.amdhsa_dx10_clamp 1
		.amdhsa_ieee_mode 1
		.amdhsa_fp16_overflow 0
		.amdhsa_tg_split 0
		.amdhsa_exception_fp_ieee_invalid_op 0
		.amdhsa_exception_fp_denorm_src 0
		.amdhsa_exception_fp_ieee_div_zero 0
		.amdhsa_exception_fp_ieee_overflow 0
		.amdhsa_exception_fp_ieee_underflow 0
		.amdhsa_exception_fp_ieee_inexact 0
		.amdhsa_exception_int_div_zero 0
	.end_amdhsa_kernel
	.section	.text._ZN7rocprim17ROCPRIM_400000_NS6detail17trampoline_kernelINS0_14default_configENS1_35adjacent_difference_config_selectorILb0ElEEZNS1_24adjacent_difference_implIS3_Lb0ELb0EPlS7_ZN2at6native12_GLOBAL__N_124unique_dim_cuda_templateIdEESt5tupleIJNS8_6TensorESD_SD_EERKSD_lbbbEUlllE1_EE10hipError_tPvRmT2_T3_mT4_P12ihipStream_tbEUlT_E_NS1_11comp_targetILNS1_3genE5ELNS1_11target_archE942ELNS1_3gpuE9ELNS1_3repE0EEENS1_30default_config_static_selectorELNS0_4arch9wavefront6targetE1EEEvT1_,"axG",@progbits,_ZN7rocprim17ROCPRIM_400000_NS6detail17trampoline_kernelINS0_14default_configENS1_35adjacent_difference_config_selectorILb0ElEEZNS1_24adjacent_difference_implIS3_Lb0ELb0EPlS7_ZN2at6native12_GLOBAL__N_124unique_dim_cuda_templateIdEESt5tupleIJNS8_6TensorESD_SD_EERKSD_lbbbEUlllE1_EE10hipError_tPvRmT2_T3_mT4_P12ihipStream_tbEUlT_E_NS1_11comp_targetILNS1_3genE5ELNS1_11target_archE942ELNS1_3gpuE9ELNS1_3repE0EEENS1_30default_config_static_selectorELNS0_4arch9wavefront6targetE1EEEvT1_,comdat
.Lfunc_end784:
	.size	_ZN7rocprim17ROCPRIM_400000_NS6detail17trampoline_kernelINS0_14default_configENS1_35adjacent_difference_config_selectorILb0ElEEZNS1_24adjacent_difference_implIS3_Lb0ELb0EPlS7_ZN2at6native12_GLOBAL__N_124unique_dim_cuda_templateIdEESt5tupleIJNS8_6TensorESD_SD_EERKSD_lbbbEUlllE1_EE10hipError_tPvRmT2_T3_mT4_P12ihipStream_tbEUlT_E_NS1_11comp_targetILNS1_3genE5ELNS1_11target_archE942ELNS1_3gpuE9ELNS1_3repE0EEENS1_30default_config_static_selectorELNS0_4arch9wavefront6targetE1EEEvT1_, .Lfunc_end784-_ZN7rocprim17ROCPRIM_400000_NS6detail17trampoline_kernelINS0_14default_configENS1_35adjacent_difference_config_selectorILb0ElEEZNS1_24adjacent_difference_implIS3_Lb0ELb0EPlS7_ZN2at6native12_GLOBAL__N_124unique_dim_cuda_templateIdEESt5tupleIJNS8_6TensorESD_SD_EERKSD_lbbbEUlllE1_EE10hipError_tPvRmT2_T3_mT4_P12ihipStream_tbEUlT_E_NS1_11comp_targetILNS1_3genE5ELNS1_11target_archE942ELNS1_3gpuE9ELNS1_3repE0EEENS1_30default_config_static_selectorELNS0_4arch9wavefront6targetE1EEEvT1_
                                        ; -- End function
	.set _ZN7rocprim17ROCPRIM_400000_NS6detail17trampoline_kernelINS0_14default_configENS1_35adjacent_difference_config_selectorILb0ElEEZNS1_24adjacent_difference_implIS3_Lb0ELb0EPlS7_ZN2at6native12_GLOBAL__N_124unique_dim_cuda_templateIdEESt5tupleIJNS8_6TensorESD_SD_EERKSD_lbbbEUlllE1_EE10hipError_tPvRmT2_T3_mT4_P12ihipStream_tbEUlT_E_NS1_11comp_targetILNS1_3genE5ELNS1_11target_archE942ELNS1_3gpuE9ELNS1_3repE0EEENS1_30default_config_static_selectorELNS0_4arch9wavefront6targetE1EEEvT1_.num_vgpr, 0
	.set _ZN7rocprim17ROCPRIM_400000_NS6detail17trampoline_kernelINS0_14default_configENS1_35adjacent_difference_config_selectorILb0ElEEZNS1_24adjacent_difference_implIS3_Lb0ELb0EPlS7_ZN2at6native12_GLOBAL__N_124unique_dim_cuda_templateIdEESt5tupleIJNS8_6TensorESD_SD_EERKSD_lbbbEUlllE1_EE10hipError_tPvRmT2_T3_mT4_P12ihipStream_tbEUlT_E_NS1_11comp_targetILNS1_3genE5ELNS1_11target_archE942ELNS1_3gpuE9ELNS1_3repE0EEENS1_30default_config_static_selectorELNS0_4arch9wavefront6targetE1EEEvT1_.num_agpr, 0
	.set _ZN7rocprim17ROCPRIM_400000_NS6detail17trampoline_kernelINS0_14default_configENS1_35adjacent_difference_config_selectorILb0ElEEZNS1_24adjacent_difference_implIS3_Lb0ELb0EPlS7_ZN2at6native12_GLOBAL__N_124unique_dim_cuda_templateIdEESt5tupleIJNS8_6TensorESD_SD_EERKSD_lbbbEUlllE1_EE10hipError_tPvRmT2_T3_mT4_P12ihipStream_tbEUlT_E_NS1_11comp_targetILNS1_3genE5ELNS1_11target_archE942ELNS1_3gpuE9ELNS1_3repE0EEENS1_30default_config_static_selectorELNS0_4arch9wavefront6targetE1EEEvT1_.numbered_sgpr, 0
	.set _ZN7rocprim17ROCPRIM_400000_NS6detail17trampoline_kernelINS0_14default_configENS1_35adjacent_difference_config_selectorILb0ElEEZNS1_24adjacent_difference_implIS3_Lb0ELb0EPlS7_ZN2at6native12_GLOBAL__N_124unique_dim_cuda_templateIdEESt5tupleIJNS8_6TensorESD_SD_EERKSD_lbbbEUlllE1_EE10hipError_tPvRmT2_T3_mT4_P12ihipStream_tbEUlT_E_NS1_11comp_targetILNS1_3genE5ELNS1_11target_archE942ELNS1_3gpuE9ELNS1_3repE0EEENS1_30default_config_static_selectorELNS0_4arch9wavefront6targetE1EEEvT1_.num_named_barrier, 0
	.set _ZN7rocprim17ROCPRIM_400000_NS6detail17trampoline_kernelINS0_14default_configENS1_35adjacent_difference_config_selectorILb0ElEEZNS1_24adjacent_difference_implIS3_Lb0ELb0EPlS7_ZN2at6native12_GLOBAL__N_124unique_dim_cuda_templateIdEESt5tupleIJNS8_6TensorESD_SD_EERKSD_lbbbEUlllE1_EE10hipError_tPvRmT2_T3_mT4_P12ihipStream_tbEUlT_E_NS1_11comp_targetILNS1_3genE5ELNS1_11target_archE942ELNS1_3gpuE9ELNS1_3repE0EEENS1_30default_config_static_selectorELNS0_4arch9wavefront6targetE1EEEvT1_.private_seg_size, 0
	.set _ZN7rocprim17ROCPRIM_400000_NS6detail17trampoline_kernelINS0_14default_configENS1_35adjacent_difference_config_selectorILb0ElEEZNS1_24adjacent_difference_implIS3_Lb0ELb0EPlS7_ZN2at6native12_GLOBAL__N_124unique_dim_cuda_templateIdEESt5tupleIJNS8_6TensorESD_SD_EERKSD_lbbbEUlllE1_EE10hipError_tPvRmT2_T3_mT4_P12ihipStream_tbEUlT_E_NS1_11comp_targetILNS1_3genE5ELNS1_11target_archE942ELNS1_3gpuE9ELNS1_3repE0EEENS1_30default_config_static_selectorELNS0_4arch9wavefront6targetE1EEEvT1_.uses_vcc, 0
	.set _ZN7rocprim17ROCPRIM_400000_NS6detail17trampoline_kernelINS0_14default_configENS1_35adjacent_difference_config_selectorILb0ElEEZNS1_24adjacent_difference_implIS3_Lb0ELb0EPlS7_ZN2at6native12_GLOBAL__N_124unique_dim_cuda_templateIdEESt5tupleIJNS8_6TensorESD_SD_EERKSD_lbbbEUlllE1_EE10hipError_tPvRmT2_T3_mT4_P12ihipStream_tbEUlT_E_NS1_11comp_targetILNS1_3genE5ELNS1_11target_archE942ELNS1_3gpuE9ELNS1_3repE0EEENS1_30default_config_static_selectorELNS0_4arch9wavefront6targetE1EEEvT1_.uses_flat_scratch, 0
	.set _ZN7rocprim17ROCPRIM_400000_NS6detail17trampoline_kernelINS0_14default_configENS1_35adjacent_difference_config_selectorILb0ElEEZNS1_24adjacent_difference_implIS3_Lb0ELb0EPlS7_ZN2at6native12_GLOBAL__N_124unique_dim_cuda_templateIdEESt5tupleIJNS8_6TensorESD_SD_EERKSD_lbbbEUlllE1_EE10hipError_tPvRmT2_T3_mT4_P12ihipStream_tbEUlT_E_NS1_11comp_targetILNS1_3genE5ELNS1_11target_archE942ELNS1_3gpuE9ELNS1_3repE0EEENS1_30default_config_static_selectorELNS0_4arch9wavefront6targetE1EEEvT1_.has_dyn_sized_stack, 0
	.set _ZN7rocprim17ROCPRIM_400000_NS6detail17trampoline_kernelINS0_14default_configENS1_35adjacent_difference_config_selectorILb0ElEEZNS1_24adjacent_difference_implIS3_Lb0ELb0EPlS7_ZN2at6native12_GLOBAL__N_124unique_dim_cuda_templateIdEESt5tupleIJNS8_6TensorESD_SD_EERKSD_lbbbEUlllE1_EE10hipError_tPvRmT2_T3_mT4_P12ihipStream_tbEUlT_E_NS1_11comp_targetILNS1_3genE5ELNS1_11target_archE942ELNS1_3gpuE9ELNS1_3repE0EEENS1_30default_config_static_selectorELNS0_4arch9wavefront6targetE1EEEvT1_.has_recursion, 0
	.set _ZN7rocprim17ROCPRIM_400000_NS6detail17trampoline_kernelINS0_14default_configENS1_35adjacent_difference_config_selectorILb0ElEEZNS1_24adjacent_difference_implIS3_Lb0ELb0EPlS7_ZN2at6native12_GLOBAL__N_124unique_dim_cuda_templateIdEESt5tupleIJNS8_6TensorESD_SD_EERKSD_lbbbEUlllE1_EE10hipError_tPvRmT2_T3_mT4_P12ihipStream_tbEUlT_E_NS1_11comp_targetILNS1_3genE5ELNS1_11target_archE942ELNS1_3gpuE9ELNS1_3repE0EEENS1_30default_config_static_selectorELNS0_4arch9wavefront6targetE1EEEvT1_.has_indirect_call, 0
	.section	.AMDGPU.csdata,"",@progbits
; Kernel info:
; codeLenInByte = 0
; TotalNumSgprs: 6
; NumVgprs: 0
; NumAgprs: 0
; TotalNumVgprs: 0
; ScratchSize: 0
; MemoryBound: 0
; FloatMode: 240
; IeeeMode: 1
; LDSByteSize: 0 bytes/workgroup (compile time only)
; SGPRBlocks: 0
; VGPRBlocks: 0
; NumSGPRsForWavesPerEU: 6
; NumVGPRsForWavesPerEU: 1
; AccumOffset: 4
; Occupancy: 8
; WaveLimiterHint : 0
; COMPUTE_PGM_RSRC2:SCRATCH_EN: 0
; COMPUTE_PGM_RSRC2:USER_SGPR: 2
; COMPUTE_PGM_RSRC2:TRAP_HANDLER: 0
; COMPUTE_PGM_RSRC2:TGID_X_EN: 1
; COMPUTE_PGM_RSRC2:TGID_Y_EN: 0
; COMPUTE_PGM_RSRC2:TGID_Z_EN: 0
; COMPUTE_PGM_RSRC2:TIDIG_COMP_CNT: 0
; COMPUTE_PGM_RSRC3_GFX90A:ACCUM_OFFSET: 0
; COMPUTE_PGM_RSRC3_GFX90A:TG_SPLIT: 0
	.section	.text._ZN7rocprim17ROCPRIM_400000_NS6detail17trampoline_kernelINS0_14default_configENS1_35adjacent_difference_config_selectorILb0ElEEZNS1_24adjacent_difference_implIS3_Lb0ELb0EPlS7_ZN2at6native12_GLOBAL__N_124unique_dim_cuda_templateIdEESt5tupleIJNS8_6TensorESD_SD_EERKSD_lbbbEUlllE1_EE10hipError_tPvRmT2_T3_mT4_P12ihipStream_tbEUlT_E_NS1_11comp_targetILNS1_3genE4ELNS1_11target_archE910ELNS1_3gpuE8ELNS1_3repE0EEENS1_30default_config_static_selectorELNS0_4arch9wavefront6targetE1EEEvT1_,"axG",@progbits,_ZN7rocprim17ROCPRIM_400000_NS6detail17trampoline_kernelINS0_14default_configENS1_35adjacent_difference_config_selectorILb0ElEEZNS1_24adjacent_difference_implIS3_Lb0ELb0EPlS7_ZN2at6native12_GLOBAL__N_124unique_dim_cuda_templateIdEESt5tupleIJNS8_6TensorESD_SD_EERKSD_lbbbEUlllE1_EE10hipError_tPvRmT2_T3_mT4_P12ihipStream_tbEUlT_E_NS1_11comp_targetILNS1_3genE4ELNS1_11target_archE910ELNS1_3gpuE8ELNS1_3repE0EEENS1_30default_config_static_selectorELNS0_4arch9wavefront6targetE1EEEvT1_,comdat
	.globl	_ZN7rocprim17ROCPRIM_400000_NS6detail17trampoline_kernelINS0_14default_configENS1_35adjacent_difference_config_selectorILb0ElEEZNS1_24adjacent_difference_implIS3_Lb0ELb0EPlS7_ZN2at6native12_GLOBAL__N_124unique_dim_cuda_templateIdEESt5tupleIJNS8_6TensorESD_SD_EERKSD_lbbbEUlllE1_EE10hipError_tPvRmT2_T3_mT4_P12ihipStream_tbEUlT_E_NS1_11comp_targetILNS1_3genE4ELNS1_11target_archE910ELNS1_3gpuE8ELNS1_3repE0EEENS1_30default_config_static_selectorELNS0_4arch9wavefront6targetE1EEEvT1_ ; -- Begin function _ZN7rocprim17ROCPRIM_400000_NS6detail17trampoline_kernelINS0_14default_configENS1_35adjacent_difference_config_selectorILb0ElEEZNS1_24adjacent_difference_implIS3_Lb0ELb0EPlS7_ZN2at6native12_GLOBAL__N_124unique_dim_cuda_templateIdEESt5tupleIJNS8_6TensorESD_SD_EERKSD_lbbbEUlllE1_EE10hipError_tPvRmT2_T3_mT4_P12ihipStream_tbEUlT_E_NS1_11comp_targetILNS1_3genE4ELNS1_11target_archE910ELNS1_3gpuE8ELNS1_3repE0EEENS1_30default_config_static_selectorELNS0_4arch9wavefront6targetE1EEEvT1_
	.p2align	8
	.type	_ZN7rocprim17ROCPRIM_400000_NS6detail17trampoline_kernelINS0_14default_configENS1_35adjacent_difference_config_selectorILb0ElEEZNS1_24adjacent_difference_implIS3_Lb0ELb0EPlS7_ZN2at6native12_GLOBAL__N_124unique_dim_cuda_templateIdEESt5tupleIJNS8_6TensorESD_SD_EERKSD_lbbbEUlllE1_EE10hipError_tPvRmT2_T3_mT4_P12ihipStream_tbEUlT_E_NS1_11comp_targetILNS1_3genE4ELNS1_11target_archE910ELNS1_3gpuE8ELNS1_3repE0EEENS1_30default_config_static_selectorELNS0_4arch9wavefront6targetE1EEEvT1_,@function
_ZN7rocprim17ROCPRIM_400000_NS6detail17trampoline_kernelINS0_14default_configENS1_35adjacent_difference_config_selectorILb0ElEEZNS1_24adjacent_difference_implIS3_Lb0ELb0EPlS7_ZN2at6native12_GLOBAL__N_124unique_dim_cuda_templateIdEESt5tupleIJNS8_6TensorESD_SD_EERKSD_lbbbEUlllE1_EE10hipError_tPvRmT2_T3_mT4_P12ihipStream_tbEUlT_E_NS1_11comp_targetILNS1_3genE4ELNS1_11target_archE910ELNS1_3gpuE8ELNS1_3repE0EEENS1_30default_config_static_selectorELNS0_4arch9wavefront6targetE1EEEvT1_: ; @_ZN7rocprim17ROCPRIM_400000_NS6detail17trampoline_kernelINS0_14default_configENS1_35adjacent_difference_config_selectorILb0ElEEZNS1_24adjacent_difference_implIS3_Lb0ELb0EPlS7_ZN2at6native12_GLOBAL__N_124unique_dim_cuda_templateIdEESt5tupleIJNS8_6TensorESD_SD_EERKSD_lbbbEUlllE1_EE10hipError_tPvRmT2_T3_mT4_P12ihipStream_tbEUlT_E_NS1_11comp_targetILNS1_3genE4ELNS1_11target_archE910ELNS1_3gpuE8ELNS1_3repE0EEENS1_30default_config_static_selectorELNS0_4arch9wavefront6targetE1EEEvT1_
; %bb.0:
	.section	.rodata,"a",@progbits
	.p2align	6, 0x0
	.amdhsa_kernel _ZN7rocprim17ROCPRIM_400000_NS6detail17trampoline_kernelINS0_14default_configENS1_35adjacent_difference_config_selectorILb0ElEEZNS1_24adjacent_difference_implIS3_Lb0ELb0EPlS7_ZN2at6native12_GLOBAL__N_124unique_dim_cuda_templateIdEESt5tupleIJNS8_6TensorESD_SD_EERKSD_lbbbEUlllE1_EE10hipError_tPvRmT2_T3_mT4_P12ihipStream_tbEUlT_E_NS1_11comp_targetILNS1_3genE4ELNS1_11target_archE910ELNS1_3gpuE8ELNS1_3repE0EEENS1_30default_config_static_selectorELNS0_4arch9wavefront6targetE1EEEvT1_
		.amdhsa_group_segment_fixed_size 0
		.amdhsa_private_segment_fixed_size 0
		.amdhsa_kernarg_size 64
		.amdhsa_user_sgpr_count 2
		.amdhsa_user_sgpr_dispatch_ptr 0
		.amdhsa_user_sgpr_queue_ptr 0
		.amdhsa_user_sgpr_kernarg_segment_ptr 1
		.amdhsa_user_sgpr_dispatch_id 0
		.amdhsa_user_sgpr_kernarg_preload_length 0
		.amdhsa_user_sgpr_kernarg_preload_offset 0
		.amdhsa_user_sgpr_private_segment_size 0
		.amdhsa_uses_dynamic_stack 0
		.amdhsa_enable_private_segment 0
		.amdhsa_system_sgpr_workgroup_id_x 1
		.amdhsa_system_sgpr_workgroup_id_y 0
		.amdhsa_system_sgpr_workgroup_id_z 0
		.amdhsa_system_sgpr_workgroup_info 0
		.amdhsa_system_vgpr_workitem_id 0
		.amdhsa_next_free_vgpr 1
		.amdhsa_next_free_sgpr 0
		.amdhsa_accum_offset 4
		.amdhsa_reserve_vcc 0
		.amdhsa_float_round_mode_32 0
		.amdhsa_float_round_mode_16_64 0
		.amdhsa_float_denorm_mode_32 3
		.amdhsa_float_denorm_mode_16_64 3
		.amdhsa_dx10_clamp 1
		.amdhsa_ieee_mode 1
		.amdhsa_fp16_overflow 0
		.amdhsa_tg_split 0
		.amdhsa_exception_fp_ieee_invalid_op 0
		.amdhsa_exception_fp_denorm_src 0
		.amdhsa_exception_fp_ieee_div_zero 0
		.amdhsa_exception_fp_ieee_overflow 0
		.amdhsa_exception_fp_ieee_underflow 0
		.amdhsa_exception_fp_ieee_inexact 0
		.amdhsa_exception_int_div_zero 0
	.end_amdhsa_kernel
	.section	.text._ZN7rocprim17ROCPRIM_400000_NS6detail17trampoline_kernelINS0_14default_configENS1_35adjacent_difference_config_selectorILb0ElEEZNS1_24adjacent_difference_implIS3_Lb0ELb0EPlS7_ZN2at6native12_GLOBAL__N_124unique_dim_cuda_templateIdEESt5tupleIJNS8_6TensorESD_SD_EERKSD_lbbbEUlllE1_EE10hipError_tPvRmT2_T3_mT4_P12ihipStream_tbEUlT_E_NS1_11comp_targetILNS1_3genE4ELNS1_11target_archE910ELNS1_3gpuE8ELNS1_3repE0EEENS1_30default_config_static_selectorELNS0_4arch9wavefront6targetE1EEEvT1_,"axG",@progbits,_ZN7rocprim17ROCPRIM_400000_NS6detail17trampoline_kernelINS0_14default_configENS1_35adjacent_difference_config_selectorILb0ElEEZNS1_24adjacent_difference_implIS3_Lb0ELb0EPlS7_ZN2at6native12_GLOBAL__N_124unique_dim_cuda_templateIdEESt5tupleIJNS8_6TensorESD_SD_EERKSD_lbbbEUlllE1_EE10hipError_tPvRmT2_T3_mT4_P12ihipStream_tbEUlT_E_NS1_11comp_targetILNS1_3genE4ELNS1_11target_archE910ELNS1_3gpuE8ELNS1_3repE0EEENS1_30default_config_static_selectorELNS0_4arch9wavefront6targetE1EEEvT1_,comdat
.Lfunc_end785:
	.size	_ZN7rocprim17ROCPRIM_400000_NS6detail17trampoline_kernelINS0_14default_configENS1_35adjacent_difference_config_selectorILb0ElEEZNS1_24adjacent_difference_implIS3_Lb0ELb0EPlS7_ZN2at6native12_GLOBAL__N_124unique_dim_cuda_templateIdEESt5tupleIJNS8_6TensorESD_SD_EERKSD_lbbbEUlllE1_EE10hipError_tPvRmT2_T3_mT4_P12ihipStream_tbEUlT_E_NS1_11comp_targetILNS1_3genE4ELNS1_11target_archE910ELNS1_3gpuE8ELNS1_3repE0EEENS1_30default_config_static_selectorELNS0_4arch9wavefront6targetE1EEEvT1_, .Lfunc_end785-_ZN7rocprim17ROCPRIM_400000_NS6detail17trampoline_kernelINS0_14default_configENS1_35adjacent_difference_config_selectorILb0ElEEZNS1_24adjacent_difference_implIS3_Lb0ELb0EPlS7_ZN2at6native12_GLOBAL__N_124unique_dim_cuda_templateIdEESt5tupleIJNS8_6TensorESD_SD_EERKSD_lbbbEUlllE1_EE10hipError_tPvRmT2_T3_mT4_P12ihipStream_tbEUlT_E_NS1_11comp_targetILNS1_3genE4ELNS1_11target_archE910ELNS1_3gpuE8ELNS1_3repE0EEENS1_30default_config_static_selectorELNS0_4arch9wavefront6targetE1EEEvT1_
                                        ; -- End function
	.set _ZN7rocprim17ROCPRIM_400000_NS6detail17trampoline_kernelINS0_14default_configENS1_35adjacent_difference_config_selectorILb0ElEEZNS1_24adjacent_difference_implIS3_Lb0ELb0EPlS7_ZN2at6native12_GLOBAL__N_124unique_dim_cuda_templateIdEESt5tupleIJNS8_6TensorESD_SD_EERKSD_lbbbEUlllE1_EE10hipError_tPvRmT2_T3_mT4_P12ihipStream_tbEUlT_E_NS1_11comp_targetILNS1_3genE4ELNS1_11target_archE910ELNS1_3gpuE8ELNS1_3repE0EEENS1_30default_config_static_selectorELNS0_4arch9wavefront6targetE1EEEvT1_.num_vgpr, 0
	.set _ZN7rocprim17ROCPRIM_400000_NS6detail17trampoline_kernelINS0_14default_configENS1_35adjacent_difference_config_selectorILb0ElEEZNS1_24adjacent_difference_implIS3_Lb0ELb0EPlS7_ZN2at6native12_GLOBAL__N_124unique_dim_cuda_templateIdEESt5tupleIJNS8_6TensorESD_SD_EERKSD_lbbbEUlllE1_EE10hipError_tPvRmT2_T3_mT4_P12ihipStream_tbEUlT_E_NS1_11comp_targetILNS1_3genE4ELNS1_11target_archE910ELNS1_3gpuE8ELNS1_3repE0EEENS1_30default_config_static_selectorELNS0_4arch9wavefront6targetE1EEEvT1_.num_agpr, 0
	.set _ZN7rocprim17ROCPRIM_400000_NS6detail17trampoline_kernelINS0_14default_configENS1_35adjacent_difference_config_selectorILb0ElEEZNS1_24adjacent_difference_implIS3_Lb0ELb0EPlS7_ZN2at6native12_GLOBAL__N_124unique_dim_cuda_templateIdEESt5tupleIJNS8_6TensorESD_SD_EERKSD_lbbbEUlllE1_EE10hipError_tPvRmT2_T3_mT4_P12ihipStream_tbEUlT_E_NS1_11comp_targetILNS1_3genE4ELNS1_11target_archE910ELNS1_3gpuE8ELNS1_3repE0EEENS1_30default_config_static_selectorELNS0_4arch9wavefront6targetE1EEEvT1_.numbered_sgpr, 0
	.set _ZN7rocprim17ROCPRIM_400000_NS6detail17trampoline_kernelINS0_14default_configENS1_35adjacent_difference_config_selectorILb0ElEEZNS1_24adjacent_difference_implIS3_Lb0ELb0EPlS7_ZN2at6native12_GLOBAL__N_124unique_dim_cuda_templateIdEESt5tupleIJNS8_6TensorESD_SD_EERKSD_lbbbEUlllE1_EE10hipError_tPvRmT2_T3_mT4_P12ihipStream_tbEUlT_E_NS1_11comp_targetILNS1_3genE4ELNS1_11target_archE910ELNS1_3gpuE8ELNS1_3repE0EEENS1_30default_config_static_selectorELNS0_4arch9wavefront6targetE1EEEvT1_.num_named_barrier, 0
	.set _ZN7rocprim17ROCPRIM_400000_NS6detail17trampoline_kernelINS0_14default_configENS1_35adjacent_difference_config_selectorILb0ElEEZNS1_24adjacent_difference_implIS3_Lb0ELb0EPlS7_ZN2at6native12_GLOBAL__N_124unique_dim_cuda_templateIdEESt5tupleIJNS8_6TensorESD_SD_EERKSD_lbbbEUlllE1_EE10hipError_tPvRmT2_T3_mT4_P12ihipStream_tbEUlT_E_NS1_11comp_targetILNS1_3genE4ELNS1_11target_archE910ELNS1_3gpuE8ELNS1_3repE0EEENS1_30default_config_static_selectorELNS0_4arch9wavefront6targetE1EEEvT1_.private_seg_size, 0
	.set _ZN7rocprim17ROCPRIM_400000_NS6detail17trampoline_kernelINS0_14default_configENS1_35adjacent_difference_config_selectorILb0ElEEZNS1_24adjacent_difference_implIS3_Lb0ELb0EPlS7_ZN2at6native12_GLOBAL__N_124unique_dim_cuda_templateIdEESt5tupleIJNS8_6TensorESD_SD_EERKSD_lbbbEUlllE1_EE10hipError_tPvRmT2_T3_mT4_P12ihipStream_tbEUlT_E_NS1_11comp_targetILNS1_3genE4ELNS1_11target_archE910ELNS1_3gpuE8ELNS1_3repE0EEENS1_30default_config_static_selectorELNS0_4arch9wavefront6targetE1EEEvT1_.uses_vcc, 0
	.set _ZN7rocprim17ROCPRIM_400000_NS6detail17trampoline_kernelINS0_14default_configENS1_35adjacent_difference_config_selectorILb0ElEEZNS1_24adjacent_difference_implIS3_Lb0ELb0EPlS7_ZN2at6native12_GLOBAL__N_124unique_dim_cuda_templateIdEESt5tupleIJNS8_6TensorESD_SD_EERKSD_lbbbEUlllE1_EE10hipError_tPvRmT2_T3_mT4_P12ihipStream_tbEUlT_E_NS1_11comp_targetILNS1_3genE4ELNS1_11target_archE910ELNS1_3gpuE8ELNS1_3repE0EEENS1_30default_config_static_selectorELNS0_4arch9wavefront6targetE1EEEvT1_.uses_flat_scratch, 0
	.set _ZN7rocprim17ROCPRIM_400000_NS6detail17trampoline_kernelINS0_14default_configENS1_35adjacent_difference_config_selectorILb0ElEEZNS1_24adjacent_difference_implIS3_Lb0ELb0EPlS7_ZN2at6native12_GLOBAL__N_124unique_dim_cuda_templateIdEESt5tupleIJNS8_6TensorESD_SD_EERKSD_lbbbEUlllE1_EE10hipError_tPvRmT2_T3_mT4_P12ihipStream_tbEUlT_E_NS1_11comp_targetILNS1_3genE4ELNS1_11target_archE910ELNS1_3gpuE8ELNS1_3repE0EEENS1_30default_config_static_selectorELNS0_4arch9wavefront6targetE1EEEvT1_.has_dyn_sized_stack, 0
	.set _ZN7rocprim17ROCPRIM_400000_NS6detail17trampoline_kernelINS0_14default_configENS1_35adjacent_difference_config_selectorILb0ElEEZNS1_24adjacent_difference_implIS3_Lb0ELb0EPlS7_ZN2at6native12_GLOBAL__N_124unique_dim_cuda_templateIdEESt5tupleIJNS8_6TensorESD_SD_EERKSD_lbbbEUlllE1_EE10hipError_tPvRmT2_T3_mT4_P12ihipStream_tbEUlT_E_NS1_11comp_targetILNS1_3genE4ELNS1_11target_archE910ELNS1_3gpuE8ELNS1_3repE0EEENS1_30default_config_static_selectorELNS0_4arch9wavefront6targetE1EEEvT1_.has_recursion, 0
	.set _ZN7rocprim17ROCPRIM_400000_NS6detail17trampoline_kernelINS0_14default_configENS1_35adjacent_difference_config_selectorILb0ElEEZNS1_24adjacent_difference_implIS3_Lb0ELb0EPlS7_ZN2at6native12_GLOBAL__N_124unique_dim_cuda_templateIdEESt5tupleIJNS8_6TensorESD_SD_EERKSD_lbbbEUlllE1_EE10hipError_tPvRmT2_T3_mT4_P12ihipStream_tbEUlT_E_NS1_11comp_targetILNS1_3genE4ELNS1_11target_archE910ELNS1_3gpuE8ELNS1_3repE0EEENS1_30default_config_static_selectorELNS0_4arch9wavefront6targetE1EEEvT1_.has_indirect_call, 0
	.section	.AMDGPU.csdata,"",@progbits
; Kernel info:
; codeLenInByte = 0
; TotalNumSgprs: 6
; NumVgprs: 0
; NumAgprs: 0
; TotalNumVgprs: 0
; ScratchSize: 0
; MemoryBound: 0
; FloatMode: 240
; IeeeMode: 1
; LDSByteSize: 0 bytes/workgroup (compile time only)
; SGPRBlocks: 0
; VGPRBlocks: 0
; NumSGPRsForWavesPerEU: 6
; NumVGPRsForWavesPerEU: 1
; AccumOffset: 4
; Occupancy: 8
; WaveLimiterHint : 0
; COMPUTE_PGM_RSRC2:SCRATCH_EN: 0
; COMPUTE_PGM_RSRC2:USER_SGPR: 2
; COMPUTE_PGM_RSRC2:TRAP_HANDLER: 0
; COMPUTE_PGM_RSRC2:TGID_X_EN: 1
; COMPUTE_PGM_RSRC2:TGID_Y_EN: 0
; COMPUTE_PGM_RSRC2:TGID_Z_EN: 0
; COMPUTE_PGM_RSRC2:TIDIG_COMP_CNT: 0
; COMPUTE_PGM_RSRC3_GFX90A:ACCUM_OFFSET: 0
; COMPUTE_PGM_RSRC3_GFX90A:TG_SPLIT: 0
	.section	.text._ZN7rocprim17ROCPRIM_400000_NS6detail17trampoline_kernelINS0_14default_configENS1_35adjacent_difference_config_selectorILb0ElEEZNS1_24adjacent_difference_implIS3_Lb0ELb0EPlS7_ZN2at6native12_GLOBAL__N_124unique_dim_cuda_templateIdEESt5tupleIJNS8_6TensorESD_SD_EERKSD_lbbbEUlllE1_EE10hipError_tPvRmT2_T3_mT4_P12ihipStream_tbEUlT_E_NS1_11comp_targetILNS1_3genE3ELNS1_11target_archE908ELNS1_3gpuE7ELNS1_3repE0EEENS1_30default_config_static_selectorELNS0_4arch9wavefront6targetE1EEEvT1_,"axG",@progbits,_ZN7rocprim17ROCPRIM_400000_NS6detail17trampoline_kernelINS0_14default_configENS1_35adjacent_difference_config_selectorILb0ElEEZNS1_24adjacent_difference_implIS3_Lb0ELb0EPlS7_ZN2at6native12_GLOBAL__N_124unique_dim_cuda_templateIdEESt5tupleIJNS8_6TensorESD_SD_EERKSD_lbbbEUlllE1_EE10hipError_tPvRmT2_T3_mT4_P12ihipStream_tbEUlT_E_NS1_11comp_targetILNS1_3genE3ELNS1_11target_archE908ELNS1_3gpuE7ELNS1_3repE0EEENS1_30default_config_static_selectorELNS0_4arch9wavefront6targetE1EEEvT1_,comdat
	.globl	_ZN7rocprim17ROCPRIM_400000_NS6detail17trampoline_kernelINS0_14default_configENS1_35adjacent_difference_config_selectorILb0ElEEZNS1_24adjacent_difference_implIS3_Lb0ELb0EPlS7_ZN2at6native12_GLOBAL__N_124unique_dim_cuda_templateIdEESt5tupleIJNS8_6TensorESD_SD_EERKSD_lbbbEUlllE1_EE10hipError_tPvRmT2_T3_mT4_P12ihipStream_tbEUlT_E_NS1_11comp_targetILNS1_3genE3ELNS1_11target_archE908ELNS1_3gpuE7ELNS1_3repE0EEENS1_30default_config_static_selectorELNS0_4arch9wavefront6targetE1EEEvT1_ ; -- Begin function _ZN7rocprim17ROCPRIM_400000_NS6detail17trampoline_kernelINS0_14default_configENS1_35adjacent_difference_config_selectorILb0ElEEZNS1_24adjacent_difference_implIS3_Lb0ELb0EPlS7_ZN2at6native12_GLOBAL__N_124unique_dim_cuda_templateIdEESt5tupleIJNS8_6TensorESD_SD_EERKSD_lbbbEUlllE1_EE10hipError_tPvRmT2_T3_mT4_P12ihipStream_tbEUlT_E_NS1_11comp_targetILNS1_3genE3ELNS1_11target_archE908ELNS1_3gpuE7ELNS1_3repE0EEENS1_30default_config_static_selectorELNS0_4arch9wavefront6targetE1EEEvT1_
	.p2align	8
	.type	_ZN7rocprim17ROCPRIM_400000_NS6detail17trampoline_kernelINS0_14default_configENS1_35adjacent_difference_config_selectorILb0ElEEZNS1_24adjacent_difference_implIS3_Lb0ELb0EPlS7_ZN2at6native12_GLOBAL__N_124unique_dim_cuda_templateIdEESt5tupleIJNS8_6TensorESD_SD_EERKSD_lbbbEUlllE1_EE10hipError_tPvRmT2_T3_mT4_P12ihipStream_tbEUlT_E_NS1_11comp_targetILNS1_3genE3ELNS1_11target_archE908ELNS1_3gpuE7ELNS1_3repE0EEENS1_30default_config_static_selectorELNS0_4arch9wavefront6targetE1EEEvT1_,@function
_ZN7rocprim17ROCPRIM_400000_NS6detail17trampoline_kernelINS0_14default_configENS1_35adjacent_difference_config_selectorILb0ElEEZNS1_24adjacent_difference_implIS3_Lb0ELb0EPlS7_ZN2at6native12_GLOBAL__N_124unique_dim_cuda_templateIdEESt5tupleIJNS8_6TensorESD_SD_EERKSD_lbbbEUlllE1_EE10hipError_tPvRmT2_T3_mT4_P12ihipStream_tbEUlT_E_NS1_11comp_targetILNS1_3genE3ELNS1_11target_archE908ELNS1_3gpuE7ELNS1_3repE0EEENS1_30default_config_static_selectorELNS0_4arch9wavefront6targetE1EEEvT1_: ; @_ZN7rocprim17ROCPRIM_400000_NS6detail17trampoline_kernelINS0_14default_configENS1_35adjacent_difference_config_selectorILb0ElEEZNS1_24adjacent_difference_implIS3_Lb0ELb0EPlS7_ZN2at6native12_GLOBAL__N_124unique_dim_cuda_templateIdEESt5tupleIJNS8_6TensorESD_SD_EERKSD_lbbbEUlllE1_EE10hipError_tPvRmT2_T3_mT4_P12ihipStream_tbEUlT_E_NS1_11comp_targetILNS1_3genE3ELNS1_11target_archE908ELNS1_3gpuE7ELNS1_3repE0EEENS1_30default_config_static_selectorELNS0_4arch9wavefront6targetE1EEEvT1_
; %bb.0:
	.section	.rodata,"a",@progbits
	.p2align	6, 0x0
	.amdhsa_kernel _ZN7rocprim17ROCPRIM_400000_NS6detail17trampoline_kernelINS0_14default_configENS1_35adjacent_difference_config_selectorILb0ElEEZNS1_24adjacent_difference_implIS3_Lb0ELb0EPlS7_ZN2at6native12_GLOBAL__N_124unique_dim_cuda_templateIdEESt5tupleIJNS8_6TensorESD_SD_EERKSD_lbbbEUlllE1_EE10hipError_tPvRmT2_T3_mT4_P12ihipStream_tbEUlT_E_NS1_11comp_targetILNS1_3genE3ELNS1_11target_archE908ELNS1_3gpuE7ELNS1_3repE0EEENS1_30default_config_static_selectorELNS0_4arch9wavefront6targetE1EEEvT1_
		.amdhsa_group_segment_fixed_size 0
		.amdhsa_private_segment_fixed_size 0
		.amdhsa_kernarg_size 64
		.amdhsa_user_sgpr_count 2
		.amdhsa_user_sgpr_dispatch_ptr 0
		.amdhsa_user_sgpr_queue_ptr 0
		.amdhsa_user_sgpr_kernarg_segment_ptr 1
		.amdhsa_user_sgpr_dispatch_id 0
		.amdhsa_user_sgpr_kernarg_preload_length 0
		.amdhsa_user_sgpr_kernarg_preload_offset 0
		.amdhsa_user_sgpr_private_segment_size 0
		.amdhsa_uses_dynamic_stack 0
		.amdhsa_enable_private_segment 0
		.amdhsa_system_sgpr_workgroup_id_x 1
		.amdhsa_system_sgpr_workgroup_id_y 0
		.amdhsa_system_sgpr_workgroup_id_z 0
		.amdhsa_system_sgpr_workgroup_info 0
		.amdhsa_system_vgpr_workitem_id 0
		.amdhsa_next_free_vgpr 1
		.amdhsa_next_free_sgpr 0
		.amdhsa_accum_offset 4
		.amdhsa_reserve_vcc 0
		.amdhsa_float_round_mode_32 0
		.amdhsa_float_round_mode_16_64 0
		.amdhsa_float_denorm_mode_32 3
		.amdhsa_float_denorm_mode_16_64 3
		.amdhsa_dx10_clamp 1
		.amdhsa_ieee_mode 1
		.amdhsa_fp16_overflow 0
		.amdhsa_tg_split 0
		.amdhsa_exception_fp_ieee_invalid_op 0
		.amdhsa_exception_fp_denorm_src 0
		.amdhsa_exception_fp_ieee_div_zero 0
		.amdhsa_exception_fp_ieee_overflow 0
		.amdhsa_exception_fp_ieee_underflow 0
		.amdhsa_exception_fp_ieee_inexact 0
		.amdhsa_exception_int_div_zero 0
	.end_amdhsa_kernel
	.section	.text._ZN7rocprim17ROCPRIM_400000_NS6detail17trampoline_kernelINS0_14default_configENS1_35adjacent_difference_config_selectorILb0ElEEZNS1_24adjacent_difference_implIS3_Lb0ELb0EPlS7_ZN2at6native12_GLOBAL__N_124unique_dim_cuda_templateIdEESt5tupleIJNS8_6TensorESD_SD_EERKSD_lbbbEUlllE1_EE10hipError_tPvRmT2_T3_mT4_P12ihipStream_tbEUlT_E_NS1_11comp_targetILNS1_3genE3ELNS1_11target_archE908ELNS1_3gpuE7ELNS1_3repE0EEENS1_30default_config_static_selectorELNS0_4arch9wavefront6targetE1EEEvT1_,"axG",@progbits,_ZN7rocprim17ROCPRIM_400000_NS6detail17trampoline_kernelINS0_14default_configENS1_35adjacent_difference_config_selectorILb0ElEEZNS1_24adjacent_difference_implIS3_Lb0ELb0EPlS7_ZN2at6native12_GLOBAL__N_124unique_dim_cuda_templateIdEESt5tupleIJNS8_6TensorESD_SD_EERKSD_lbbbEUlllE1_EE10hipError_tPvRmT2_T3_mT4_P12ihipStream_tbEUlT_E_NS1_11comp_targetILNS1_3genE3ELNS1_11target_archE908ELNS1_3gpuE7ELNS1_3repE0EEENS1_30default_config_static_selectorELNS0_4arch9wavefront6targetE1EEEvT1_,comdat
.Lfunc_end786:
	.size	_ZN7rocprim17ROCPRIM_400000_NS6detail17trampoline_kernelINS0_14default_configENS1_35adjacent_difference_config_selectorILb0ElEEZNS1_24adjacent_difference_implIS3_Lb0ELb0EPlS7_ZN2at6native12_GLOBAL__N_124unique_dim_cuda_templateIdEESt5tupleIJNS8_6TensorESD_SD_EERKSD_lbbbEUlllE1_EE10hipError_tPvRmT2_T3_mT4_P12ihipStream_tbEUlT_E_NS1_11comp_targetILNS1_3genE3ELNS1_11target_archE908ELNS1_3gpuE7ELNS1_3repE0EEENS1_30default_config_static_selectorELNS0_4arch9wavefront6targetE1EEEvT1_, .Lfunc_end786-_ZN7rocprim17ROCPRIM_400000_NS6detail17trampoline_kernelINS0_14default_configENS1_35adjacent_difference_config_selectorILb0ElEEZNS1_24adjacent_difference_implIS3_Lb0ELb0EPlS7_ZN2at6native12_GLOBAL__N_124unique_dim_cuda_templateIdEESt5tupleIJNS8_6TensorESD_SD_EERKSD_lbbbEUlllE1_EE10hipError_tPvRmT2_T3_mT4_P12ihipStream_tbEUlT_E_NS1_11comp_targetILNS1_3genE3ELNS1_11target_archE908ELNS1_3gpuE7ELNS1_3repE0EEENS1_30default_config_static_selectorELNS0_4arch9wavefront6targetE1EEEvT1_
                                        ; -- End function
	.set _ZN7rocprim17ROCPRIM_400000_NS6detail17trampoline_kernelINS0_14default_configENS1_35adjacent_difference_config_selectorILb0ElEEZNS1_24adjacent_difference_implIS3_Lb0ELb0EPlS7_ZN2at6native12_GLOBAL__N_124unique_dim_cuda_templateIdEESt5tupleIJNS8_6TensorESD_SD_EERKSD_lbbbEUlllE1_EE10hipError_tPvRmT2_T3_mT4_P12ihipStream_tbEUlT_E_NS1_11comp_targetILNS1_3genE3ELNS1_11target_archE908ELNS1_3gpuE7ELNS1_3repE0EEENS1_30default_config_static_selectorELNS0_4arch9wavefront6targetE1EEEvT1_.num_vgpr, 0
	.set _ZN7rocprim17ROCPRIM_400000_NS6detail17trampoline_kernelINS0_14default_configENS1_35adjacent_difference_config_selectorILb0ElEEZNS1_24adjacent_difference_implIS3_Lb0ELb0EPlS7_ZN2at6native12_GLOBAL__N_124unique_dim_cuda_templateIdEESt5tupleIJNS8_6TensorESD_SD_EERKSD_lbbbEUlllE1_EE10hipError_tPvRmT2_T3_mT4_P12ihipStream_tbEUlT_E_NS1_11comp_targetILNS1_3genE3ELNS1_11target_archE908ELNS1_3gpuE7ELNS1_3repE0EEENS1_30default_config_static_selectorELNS0_4arch9wavefront6targetE1EEEvT1_.num_agpr, 0
	.set _ZN7rocprim17ROCPRIM_400000_NS6detail17trampoline_kernelINS0_14default_configENS1_35adjacent_difference_config_selectorILb0ElEEZNS1_24adjacent_difference_implIS3_Lb0ELb0EPlS7_ZN2at6native12_GLOBAL__N_124unique_dim_cuda_templateIdEESt5tupleIJNS8_6TensorESD_SD_EERKSD_lbbbEUlllE1_EE10hipError_tPvRmT2_T3_mT4_P12ihipStream_tbEUlT_E_NS1_11comp_targetILNS1_3genE3ELNS1_11target_archE908ELNS1_3gpuE7ELNS1_3repE0EEENS1_30default_config_static_selectorELNS0_4arch9wavefront6targetE1EEEvT1_.numbered_sgpr, 0
	.set _ZN7rocprim17ROCPRIM_400000_NS6detail17trampoline_kernelINS0_14default_configENS1_35adjacent_difference_config_selectorILb0ElEEZNS1_24adjacent_difference_implIS3_Lb0ELb0EPlS7_ZN2at6native12_GLOBAL__N_124unique_dim_cuda_templateIdEESt5tupleIJNS8_6TensorESD_SD_EERKSD_lbbbEUlllE1_EE10hipError_tPvRmT2_T3_mT4_P12ihipStream_tbEUlT_E_NS1_11comp_targetILNS1_3genE3ELNS1_11target_archE908ELNS1_3gpuE7ELNS1_3repE0EEENS1_30default_config_static_selectorELNS0_4arch9wavefront6targetE1EEEvT1_.num_named_barrier, 0
	.set _ZN7rocprim17ROCPRIM_400000_NS6detail17trampoline_kernelINS0_14default_configENS1_35adjacent_difference_config_selectorILb0ElEEZNS1_24adjacent_difference_implIS3_Lb0ELb0EPlS7_ZN2at6native12_GLOBAL__N_124unique_dim_cuda_templateIdEESt5tupleIJNS8_6TensorESD_SD_EERKSD_lbbbEUlllE1_EE10hipError_tPvRmT2_T3_mT4_P12ihipStream_tbEUlT_E_NS1_11comp_targetILNS1_3genE3ELNS1_11target_archE908ELNS1_3gpuE7ELNS1_3repE0EEENS1_30default_config_static_selectorELNS0_4arch9wavefront6targetE1EEEvT1_.private_seg_size, 0
	.set _ZN7rocprim17ROCPRIM_400000_NS6detail17trampoline_kernelINS0_14default_configENS1_35adjacent_difference_config_selectorILb0ElEEZNS1_24adjacent_difference_implIS3_Lb0ELb0EPlS7_ZN2at6native12_GLOBAL__N_124unique_dim_cuda_templateIdEESt5tupleIJNS8_6TensorESD_SD_EERKSD_lbbbEUlllE1_EE10hipError_tPvRmT2_T3_mT4_P12ihipStream_tbEUlT_E_NS1_11comp_targetILNS1_3genE3ELNS1_11target_archE908ELNS1_3gpuE7ELNS1_3repE0EEENS1_30default_config_static_selectorELNS0_4arch9wavefront6targetE1EEEvT1_.uses_vcc, 0
	.set _ZN7rocprim17ROCPRIM_400000_NS6detail17trampoline_kernelINS0_14default_configENS1_35adjacent_difference_config_selectorILb0ElEEZNS1_24adjacent_difference_implIS3_Lb0ELb0EPlS7_ZN2at6native12_GLOBAL__N_124unique_dim_cuda_templateIdEESt5tupleIJNS8_6TensorESD_SD_EERKSD_lbbbEUlllE1_EE10hipError_tPvRmT2_T3_mT4_P12ihipStream_tbEUlT_E_NS1_11comp_targetILNS1_3genE3ELNS1_11target_archE908ELNS1_3gpuE7ELNS1_3repE0EEENS1_30default_config_static_selectorELNS0_4arch9wavefront6targetE1EEEvT1_.uses_flat_scratch, 0
	.set _ZN7rocprim17ROCPRIM_400000_NS6detail17trampoline_kernelINS0_14default_configENS1_35adjacent_difference_config_selectorILb0ElEEZNS1_24adjacent_difference_implIS3_Lb0ELb0EPlS7_ZN2at6native12_GLOBAL__N_124unique_dim_cuda_templateIdEESt5tupleIJNS8_6TensorESD_SD_EERKSD_lbbbEUlllE1_EE10hipError_tPvRmT2_T3_mT4_P12ihipStream_tbEUlT_E_NS1_11comp_targetILNS1_3genE3ELNS1_11target_archE908ELNS1_3gpuE7ELNS1_3repE0EEENS1_30default_config_static_selectorELNS0_4arch9wavefront6targetE1EEEvT1_.has_dyn_sized_stack, 0
	.set _ZN7rocprim17ROCPRIM_400000_NS6detail17trampoline_kernelINS0_14default_configENS1_35adjacent_difference_config_selectorILb0ElEEZNS1_24adjacent_difference_implIS3_Lb0ELb0EPlS7_ZN2at6native12_GLOBAL__N_124unique_dim_cuda_templateIdEESt5tupleIJNS8_6TensorESD_SD_EERKSD_lbbbEUlllE1_EE10hipError_tPvRmT2_T3_mT4_P12ihipStream_tbEUlT_E_NS1_11comp_targetILNS1_3genE3ELNS1_11target_archE908ELNS1_3gpuE7ELNS1_3repE0EEENS1_30default_config_static_selectorELNS0_4arch9wavefront6targetE1EEEvT1_.has_recursion, 0
	.set _ZN7rocprim17ROCPRIM_400000_NS6detail17trampoline_kernelINS0_14default_configENS1_35adjacent_difference_config_selectorILb0ElEEZNS1_24adjacent_difference_implIS3_Lb0ELb0EPlS7_ZN2at6native12_GLOBAL__N_124unique_dim_cuda_templateIdEESt5tupleIJNS8_6TensorESD_SD_EERKSD_lbbbEUlllE1_EE10hipError_tPvRmT2_T3_mT4_P12ihipStream_tbEUlT_E_NS1_11comp_targetILNS1_3genE3ELNS1_11target_archE908ELNS1_3gpuE7ELNS1_3repE0EEENS1_30default_config_static_selectorELNS0_4arch9wavefront6targetE1EEEvT1_.has_indirect_call, 0
	.section	.AMDGPU.csdata,"",@progbits
; Kernel info:
; codeLenInByte = 0
; TotalNumSgprs: 6
; NumVgprs: 0
; NumAgprs: 0
; TotalNumVgprs: 0
; ScratchSize: 0
; MemoryBound: 0
; FloatMode: 240
; IeeeMode: 1
; LDSByteSize: 0 bytes/workgroup (compile time only)
; SGPRBlocks: 0
; VGPRBlocks: 0
; NumSGPRsForWavesPerEU: 6
; NumVGPRsForWavesPerEU: 1
; AccumOffset: 4
; Occupancy: 8
; WaveLimiterHint : 0
; COMPUTE_PGM_RSRC2:SCRATCH_EN: 0
; COMPUTE_PGM_RSRC2:USER_SGPR: 2
; COMPUTE_PGM_RSRC2:TRAP_HANDLER: 0
; COMPUTE_PGM_RSRC2:TGID_X_EN: 1
; COMPUTE_PGM_RSRC2:TGID_Y_EN: 0
; COMPUTE_PGM_RSRC2:TGID_Z_EN: 0
; COMPUTE_PGM_RSRC2:TIDIG_COMP_CNT: 0
; COMPUTE_PGM_RSRC3_GFX90A:ACCUM_OFFSET: 0
; COMPUTE_PGM_RSRC3_GFX90A:TG_SPLIT: 0
	.section	.text._ZN7rocprim17ROCPRIM_400000_NS6detail17trampoline_kernelINS0_14default_configENS1_35adjacent_difference_config_selectorILb0ElEEZNS1_24adjacent_difference_implIS3_Lb0ELb0EPlS7_ZN2at6native12_GLOBAL__N_124unique_dim_cuda_templateIdEESt5tupleIJNS8_6TensorESD_SD_EERKSD_lbbbEUlllE1_EE10hipError_tPvRmT2_T3_mT4_P12ihipStream_tbEUlT_E_NS1_11comp_targetILNS1_3genE2ELNS1_11target_archE906ELNS1_3gpuE6ELNS1_3repE0EEENS1_30default_config_static_selectorELNS0_4arch9wavefront6targetE1EEEvT1_,"axG",@progbits,_ZN7rocprim17ROCPRIM_400000_NS6detail17trampoline_kernelINS0_14default_configENS1_35adjacent_difference_config_selectorILb0ElEEZNS1_24adjacent_difference_implIS3_Lb0ELb0EPlS7_ZN2at6native12_GLOBAL__N_124unique_dim_cuda_templateIdEESt5tupleIJNS8_6TensorESD_SD_EERKSD_lbbbEUlllE1_EE10hipError_tPvRmT2_T3_mT4_P12ihipStream_tbEUlT_E_NS1_11comp_targetILNS1_3genE2ELNS1_11target_archE906ELNS1_3gpuE6ELNS1_3repE0EEENS1_30default_config_static_selectorELNS0_4arch9wavefront6targetE1EEEvT1_,comdat
	.globl	_ZN7rocprim17ROCPRIM_400000_NS6detail17trampoline_kernelINS0_14default_configENS1_35adjacent_difference_config_selectorILb0ElEEZNS1_24adjacent_difference_implIS3_Lb0ELb0EPlS7_ZN2at6native12_GLOBAL__N_124unique_dim_cuda_templateIdEESt5tupleIJNS8_6TensorESD_SD_EERKSD_lbbbEUlllE1_EE10hipError_tPvRmT2_T3_mT4_P12ihipStream_tbEUlT_E_NS1_11comp_targetILNS1_3genE2ELNS1_11target_archE906ELNS1_3gpuE6ELNS1_3repE0EEENS1_30default_config_static_selectorELNS0_4arch9wavefront6targetE1EEEvT1_ ; -- Begin function _ZN7rocprim17ROCPRIM_400000_NS6detail17trampoline_kernelINS0_14default_configENS1_35adjacent_difference_config_selectorILb0ElEEZNS1_24adjacent_difference_implIS3_Lb0ELb0EPlS7_ZN2at6native12_GLOBAL__N_124unique_dim_cuda_templateIdEESt5tupleIJNS8_6TensorESD_SD_EERKSD_lbbbEUlllE1_EE10hipError_tPvRmT2_T3_mT4_P12ihipStream_tbEUlT_E_NS1_11comp_targetILNS1_3genE2ELNS1_11target_archE906ELNS1_3gpuE6ELNS1_3repE0EEENS1_30default_config_static_selectorELNS0_4arch9wavefront6targetE1EEEvT1_
	.p2align	8
	.type	_ZN7rocprim17ROCPRIM_400000_NS6detail17trampoline_kernelINS0_14default_configENS1_35adjacent_difference_config_selectorILb0ElEEZNS1_24adjacent_difference_implIS3_Lb0ELb0EPlS7_ZN2at6native12_GLOBAL__N_124unique_dim_cuda_templateIdEESt5tupleIJNS8_6TensorESD_SD_EERKSD_lbbbEUlllE1_EE10hipError_tPvRmT2_T3_mT4_P12ihipStream_tbEUlT_E_NS1_11comp_targetILNS1_3genE2ELNS1_11target_archE906ELNS1_3gpuE6ELNS1_3repE0EEENS1_30default_config_static_selectorELNS0_4arch9wavefront6targetE1EEEvT1_,@function
_ZN7rocprim17ROCPRIM_400000_NS6detail17trampoline_kernelINS0_14default_configENS1_35adjacent_difference_config_selectorILb0ElEEZNS1_24adjacent_difference_implIS3_Lb0ELb0EPlS7_ZN2at6native12_GLOBAL__N_124unique_dim_cuda_templateIdEESt5tupleIJNS8_6TensorESD_SD_EERKSD_lbbbEUlllE1_EE10hipError_tPvRmT2_T3_mT4_P12ihipStream_tbEUlT_E_NS1_11comp_targetILNS1_3genE2ELNS1_11target_archE906ELNS1_3gpuE6ELNS1_3repE0EEENS1_30default_config_static_selectorELNS0_4arch9wavefront6targetE1EEEvT1_: ; @_ZN7rocprim17ROCPRIM_400000_NS6detail17trampoline_kernelINS0_14default_configENS1_35adjacent_difference_config_selectorILb0ElEEZNS1_24adjacent_difference_implIS3_Lb0ELb0EPlS7_ZN2at6native12_GLOBAL__N_124unique_dim_cuda_templateIdEESt5tupleIJNS8_6TensorESD_SD_EERKSD_lbbbEUlllE1_EE10hipError_tPvRmT2_T3_mT4_P12ihipStream_tbEUlT_E_NS1_11comp_targetILNS1_3genE2ELNS1_11target_archE906ELNS1_3gpuE6ELNS1_3repE0EEENS1_30default_config_static_selectorELNS0_4arch9wavefront6targetE1EEEvT1_
; %bb.0:
	.section	.rodata,"a",@progbits
	.p2align	6, 0x0
	.amdhsa_kernel _ZN7rocprim17ROCPRIM_400000_NS6detail17trampoline_kernelINS0_14default_configENS1_35adjacent_difference_config_selectorILb0ElEEZNS1_24adjacent_difference_implIS3_Lb0ELb0EPlS7_ZN2at6native12_GLOBAL__N_124unique_dim_cuda_templateIdEESt5tupleIJNS8_6TensorESD_SD_EERKSD_lbbbEUlllE1_EE10hipError_tPvRmT2_T3_mT4_P12ihipStream_tbEUlT_E_NS1_11comp_targetILNS1_3genE2ELNS1_11target_archE906ELNS1_3gpuE6ELNS1_3repE0EEENS1_30default_config_static_selectorELNS0_4arch9wavefront6targetE1EEEvT1_
		.amdhsa_group_segment_fixed_size 0
		.amdhsa_private_segment_fixed_size 0
		.amdhsa_kernarg_size 64
		.amdhsa_user_sgpr_count 2
		.amdhsa_user_sgpr_dispatch_ptr 0
		.amdhsa_user_sgpr_queue_ptr 0
		.amdhsa_user_sgpr_kernarg_segment_ptr 1
		.amdhsa_user_sgpr_dispatch_id 0
		.amdhsa_user_sgpr_kernarg_preload_length 0
		.amdhsa_user_sgpr_kernarg_preload_offset 0
		.amdhsa_user_sgpr_private_segment_size 0
		.amdhsa_uses_dynamic_stack 0
		.amdhsa_enable_private_segment 0
		.amdhsa_system_sgpr_workgroup_id_x 1
		.amdhsa_system_sgpr_workgroup_id_y 0
		.amdhsa_system_sgpr_workgroup_id_z 0
		.amdhsa_system_sgpr_workgroup_info 0
		.amdhsa_system_vgpr_workitem_id 0
		.amdhsa_next_free_vgpr 1
		.amdhsa_next_free_sgpr 0
		.amdhsa_accum_offset 4
		.amdhsa_reserve_vcc 0
		.amdhsa_float_round_mode_32 0
		.amdhsa_float_round_mode_16_64 0
		.amdhsa_float_denorm_mode_32 3
		.amdhsa_float_denorm_mode_16_64 3
		.amdhsa_dx10_clamp 1
		.amdhsa_ieee_mode 1
		.amdhsa_fp16_overflow 0
		.amdhsa_tg_split 0
		.amdhsa_exception_fp_ieee_invalid_op 0
		.amdhsa_exception_fp_denorm_src 0
		.amdhsa_exception_fp_ieee_div_zero 0
		.amdhsa_exception_fp_ieee_overflow 0
		.amdhsa_exception_fp_ieee_underflow 0
		.amdhsa_exception_fp_ieee_inexact 0
		.amdhsa_exception_int_div_zero 0
	.end_amdhsa_kernel
	.section	.text._ZN7rocprim17ROCPRIM_400000_NS6detail17trampoline_kernelINS0_14default_configENS1_35adjacent_difference_config_selectorILb0ElEEZNS1_24adjacent_difference_implIS3_Lb0ELb0EPlS7_ZN2at6native12_GLOBAL__N_124unique_dim_cuda_templateIdEESt5tupleIJNS8_6TensorESD_SD_EERKSD_lbbbEUlllE1_EE10hipError_tPvRmT2_T3_mT4_P12ihipStream_tbEUlT_E_NS1_11comp_targetILNS1_3genE2ELNS1_11target_archE906ELNS1_3gpuE6ELNS1_3repE0EEENS1_30default_config_static_selectorELNS0_4arch9wavefront6targetE1EEEvT1_,"axG",@progbits,_ZN7rocprim17ROCPRIM_400000_NS6detail17trampoline_kernelINS0_14default_configENS1_35adjacent_difference_config_selectorILb0ElEEZNS1_24adjacent_difference_implIS3_Lb0ELb0EPlS7_ZN2at6native12_GLOBAL__N_124unique_dim_cuda_templateIdEESt5tupleIJNS8_6TensorESD_SD_EERKSD_lbbbEUlllE1_EE10hipError_tPvRmT2_T3_mT4_P12ihipStream_tbEUlT_E_NS1_11comp_targetILNS1_3genE2ELNS1_11target_archE906ELNS1_3gpuE6ELNS1_3repE0EEENS1_30default_config_static_selectorELNS0_4arch9wavefront6targetE1EEEvT1_,comdat
.Lfunc_end787:
	.size	_ZN7rocprim17ROCPRIM_400000_NS6detail17trampoline_kernelINS0_14default_configENS1_35adjacent_difference_config_selectorILb0ElEEZNS1_24adjacent_difference_implIS3_Lb0ELb0EPlS7_ZN2at6native12_GLOBAL__N_124unique_dim_cuda_templateIdEESt5tupleIJNS8_6TensorESD_SD_EERKSD_lbbbEUlllE1_EE10hipError_tPvRmT2_T3_mT4_P12ihipStream_tbEUlT_E_NS1_11comp_targetILNS1_3genE2ELNS1_11target_archE906ELNS1_3gpuE6ELNS1_3repE0EEENS1_30default_config_static_selectorELNS0_4arch9wavefront6targetE1EEEvT1_, .Lfunc_end787-_ZN7rocprim17ROCPRIM_400000_NS6detail17trampoline_kernelINS0_14default_configENS1_35adjacent_difference_config_selectorILb0ElEEZNS1_24adjacent_difference_implIS3_Lb0ELb0EPlS7_ZN2at6native12_GLOBAL__N_124unique_dim_cuda_templateIdEESt5tupleIJNS8_6TensorESD_SD_EERKSD_lbbbEUlllE1_EE10hipError_tPvRmT2_T3_mT4_P12ihipStream_tbEUlT_E_NS1_11comp_targetILNS1_3genE2ELNS1_11target_archE906ELNS1_3gpuE6ELNS1_3repE0EEENS1_30default_config_static_selectorELNS0_4arch9wavefront6targetE1EEEvT1_
                                        ; -- End function
	.set _ZN7rocprim17ROCPRIM_400000_NS6detail17trampoline_kernelINS0_14default_configENS1_35adjacent_difference_config_selectorILb0ElEEZNS1_24adjacent_difference_implIS3_Lb0ELb0EPlS7_ZN2at6native12_GLOBAL__N_124unique_dim_cuda_templateIdEESt5tupleIJNS8_6TensorESD_SD_EERKSD_lbbbEUlllE1_EE10hipError_tPvRmT2_T3_mT4_P12ihipStream_tbEUlT_E_NS1_11comp_targetILNS1_3genE2ELNS1_11target_archE906ELNS1_3gpuE6ELNS1_3repE0EEENS1_30default_config_static_selectorELNS0_4arch9wavefront6targetE1EEEvT1_.num_vgpr, 0
	.set _ZN7rocprim17ROCPRIM_400000_NS6detail17trampoline_kernelINS0_14default_configENS1_35adjacent_difference_config_selectorILb0ElEEZNS1_24adjacent_difference_implIS3_Lb0ELb0EPlS7_ZN2at6native12_GLOBAL__N_124unique_dim_cuda_templateIdEESt5tupleIJNS8_6TensorESD_SD_EERKSD_lbbbEUlllE1_EE10hipError_tPvRmT2_T3_mT4_P12ihipStream_tbEUlT_E_NS1_11comp_targetILNS1_3genE2ELNS1_11target_archE906ELNS1_3gpuE6ELNS1_3repE0EEENS1_30default_config_static_selectorELNS0_4arch9wavefront6targetE1EEEvT1_.num_agpr, 0
	.set _ZN7rocprim17ROCPRIM_400000_NS6detail17trampoline_kernelINS0_14default_configENS1_35adjacent_difference_config_selectorILb0ElEEZNS1_24adjacent_difference_implIS3_Lb0ELb0EPlS7_ZN2at6native12_GLOBAL__N_124unique_dim_cuda_templateIdEESt5tupleIJNS8_6TensorESD_SD_EERKSD_lbbbEUlllE1_EE10hipError_tPvRmT2_T3_mT4_P12ihipStream_tbEUlT_E_NS1_11comp_targetILNS1_3genE2ELNS1_11target_archE906ELNS1_3gpuE6ELNS1_3repE0EEENS1_30default_config_static_selectorELNS0_4arch9wavefront6targetE1EEEvT1_.numbered_sgpr, 0
	.set _ZN7rocprim17ROCPRIM_400000_NS6detail17trampoline_kernelINS0_14default_configENS1_35adjacent_difference_config_selectorILb0ElEEZNS1_24adjacent_difference_implIS3_Lb0ELb0EPlS7_ZN2at6native12_GLOBAL__N_124unique_dim_cuda_templateIdEESt5tupleIJNS8_6TensorESD_SD_EERKSD_lbbbEUlllE1_EE10hipError_tPvRmT2_T3_mT4_P12ihipStream_tbEUlT_E_NS1_11comp_targetILNS1_3genE2ELNS1_11target_archE906ELNS1_3gpuE6ELNS1_3repE0EEENS1_30default_config_static_selectorELNS0_4arch9wavefront6targetE1EEEvT1_.num_named_barrier, 0
	.set _ZN7rocprim17ROCPRIM_400000_NS6detail17trampoline_kernelINS0_14default_configENS1_35adjacent_difference_config_selectorILb0ElEEZNS1_24adjacent_difference_implIS3_Lb0ELb0EPlS7_ZN2at6native12_GLOBAL__N_124unique_dim_cuda_templateIdEESt5tupleIJNS8_6TensorESD_SD_EERKSD_lbbbEUlllE1_EE10hipError_tPvRmT2_T3_mT4_P12ihipStream_tbEUlT_E_NS1_11comp_targetILNS1_3genE2ELNS1_11target_archE906ELNS1_3gpuE6ELNS1_3repE0EEENS1_30default_config_static_selectorELNS0_4arch9wavefront6targetE1EEEvT1_.private_seg_size, 0
	.set _ZN7rocprim17ROCPRIM_400000_NS6detail17trampoline_kernelINS0_14default_configENS1_35adjacent_difference_config_selectorILb0ElEEZNS1_24adjacent_difference_implIS3_Lb0ELb0EPlS7_ZN2at6native12_GLOBAL__N_124unique_dim_cuda_templateIdEESt5tupleIJNS8_6TensorESD_SD_EERKSD_lbbbEUlllE1_EE10hipError_tPvRmT2_T3_mT4_P12ihipStream_tbEUlT_E_NS1_11comp_targetILNS1_3genE2ELNS1_11target_archE906ELNS1_3gpuE6ELNS1_3repE0EEENS1_30default_config_static_selectorELNS0_4arch9wavefront6targetE1EEEvT1_.uses_vcc, 0
	.set _ZN7rocprim17ROCPRIM_400000_NS6detail17trampoline_kernelINS0_14default_configENS1_35adjacent_difference_config_selectorILb0ElEEZNS1_24adjacent_difference_implIS3_Lb0ELb0EPlS7_ZN2at6native12_GLOBAL__N_124unique_dim_cuda_templateIdEESt5tupleIJNS8_6TensorESD_SD_EERKSD_lbbbEUlllE1_EE10hipError_tPvRmT2_T3_mT4_P12ihipStream_tbEUlT_E_NS1_11comp_targetILNS1_3genE2ELNS1_11target_archE906ELNS1_3gpuE6ELNS1_3repE0EEENS1_30default_config_static_selectorELNS0_4arch9wavefront6targetE1EEEvT1_.uses_flat_scratch, 0
	.set _ZN7rocprim17ROCPRIM_400000_NS6detail17trampoline_kernelINS0_14default_configENS1_35adjacent_difference_config_selectorILb0ElEEZNS1_24adjacent_difference_implIS3_Lb0ELb0EPlS7_ZN2at6native12_GLOBAL__N_124unique_dim_cuda_templateIdEESt5tupleIJNS8_6TensorESD_SD_EERKSD_lbbbEUlllE1_EE10hipError_tPvRmT2_T3_mT4_P12ihipStream_tbEUlT_E_NS1_11comp_targetILNS1_3genE2ELNS1_11target_archE906ELNS1_3gpuE6ELNS1_3repE0EEENS1_30default_config_static_selectorELNS0_4arch9wavefront6targetE1EEEvT1_.has_dyn_sized_stack, 0
	.set _ZN7rocprim17ROCPRIM_400000_NS6detail17trampoline_kernelINS0_14default_configENS1_35adjacent_difference_config_selectorILb0ElEEZNS1_24adjacent_difference_implIS3_Lb0ELb0EPlS7_ZN2at6native12_GLOBAL__N_124unique_dim_cuda_templateIdEESt5tupleIJNS8_6TensorESD_SD_EERKSD_lbbbEUlllE1_EE10hipError_tPvRmT2_T3_mT4_P12ihipStream_tbEUlT_E_NS1_11comp_targetILNS1_3genE2ELNS1_11target_archE906ELNS1_3gpuE6ELNS1_3repE0EEENS1_30default_config_static_selectorELNS0_4arch9wavefront6targetE1EEEvT1_.has_recursion, 0
	.set _ZN7rocprim17ROCPRIM_400000_NS6detail17trampoline_kernelINS0_14default_configENS1_35adjacent_difference_config_selectorILb0ElEEZNS1_24adjacent_difference_implIS3_Lb0ELb0EPlS7_ZN2at6native12_GLOBAL__N_124unique_dim_cuda_templateIdEESt5tupleIJNS8_6TensorESD_SD_EERKSD_lbbbEUlllE1_EE10hipError_tPvRmT2_T3_mT4_P12ihipStream_tbEUlT_E_NS1_11comp_targetILNS1_3genE2ELNS1_11target_archE906ELNS1_3gpuE6ELNS1_3repE0EEENS1_30default_config_static_selectorELNS0_4arch9wavefront6targetE1EEEvT1_.has_indirect_call, 0
	.section	.AMDGPU.csdata,"",@progbits
; Kernel info:
; codeLenInByte = 0
; TotalNumSgprs: 6
; NumVgprs: 0
; NumAgprs: 0
; TotalNumVgprs: 0
; ScratchSize: 0
; MemoryBound: 0
; FloatMode: 240
; IeeeMode: 1
; LDSByteSize: 0 bytes/workgroup (compile time only)
; SGPRBlocks: 0
; VGPRBlocks: 0
; NumSGPRsForWavesPerEU: 6
; NumVGPRsForWavesPerEU: 1
; AccumOffset: 4
; Occupancy: 8
; WaveLimiterHint : 0
; COMPUTE_PGM_RSRC2:SCRATCH_EN: 0
; COMPUTE_PGM_RSRC2:USER_SGPR: 2
; COMPUTE_PGM_RSRC2:TRAP_HANDLER: 0
; COMPUTE_PGM_RSRC2:TGID_X_EN: 1
; COMPUTE_PGM_RSRC2:TGID_Y_EN: 0
; COMPUTE_PGM_RSRC2:TGID_Z_EN: 0
; COMPUTE_PGM_RSRC2:TIDIG_COMP_CNT: 0
; COMPUTE_PGM_RSRC3_GFX90A:ACCUM_OFFSET: 0
; COMPUTE_PGM_RSRC3_GFX90A:TG_SPLIT: 0
	.section	.text._ZN7rocprim17ROCPRIM_400000_NS6detail17trampoline_kernelINS0_14default_configENS1_35adjacent_difference_config_selectorILb0ElEEZNS1_24adjacent_difference_implIS3_Lb0ELb0EPlS7_ZN2at6native12_GLOBAL__N_124unique_dim_cuda_templateIdEESt5tupleIJNS8_6TensorESD_SD_EERKSD_lbbbEUlllE1_EE10hipError_tPvRmT2_T3_mT4_P12ihipStream_tbEUlT_E_NS1_11comp_targetILNS1_3genE9ELNS1_11target_archE1100ELNS1_3gpuE3ELNS1_3repE0EEENS1_30default_config_static_selectorELNS0_4arch9wavefront6targetE1EEEvT1_,"axG",@progbits,_ZN7rocprim17ROCPRIM_400000_NS6detail17trampoline_kernelINS0_14default_configENS1_35adjacent_difference_config_selectorILb0ElEEZNS1_24adjacent_difference_implIS3_Lb0ELb0EPlS7_ZN2at6native12_GLOBAL__N_124unique_dim_cuda_templateIdEESt5tupleIJNS8_6TensorESD_SD_EERKSD_lbbbEUlllE1_EE10hipError_tPvRmT2_T3_mT4_P12ihipStream_tbEUlT_E_NS1_11comp_targetILNS1_3genE9ELNS1_11target_archE1100ELNS1_3gpuE3ELNS1_3repE0EEENS1_30default_config_static_selectorELNS0_4arch9wavefront6targetE1EEEvT1_,comdat
	.globl	_ZN7rocprim17ROCPRIM_400000_NS6detail17trampoline_kernelINS0_14default_configENS1_35adjacent_difference_config_selectorILb0ElEEZNS1_24adjacent_difference_implIS3_Lb0ELb0EPlS7_ZN2at6native12_GLOBAL__N_124unique_dim_cuda_templateIdEESt5tupleIJNS8_6TensorESD_SD_EERKSD_lbbbEUlllE1_EE10hipError_tPvRmT2_T3_mT4_P12ihipStream_tbEUlT_E_NS1_11comp_targetILNS1_3genE9ELNS1_11target_archE1100ELNS1_3gpuE3ELNS1_3repE0EEENS1_30default_config_static_selectorELNS0_4arch9wavefront6targetE1EEEvT1_ ; -- Begin function _ZN7rocprim17ROCPRIM_400000_NS6detail17trampoline_kernelINS0_14default_configENS1_35adjacent_difference_config_selectorILb0ElEEZNS1_24adjacent_difference_implIS3_Lb0ELb0EPlS7_ZN2at6native12_GLOBAL__N_124unique_dim_cuda_templateIdEESt5tupleIJNS8_6TensorESD_SD_EERKSD_lbbbEUlllE1_EE10hipError_tPvRmT2_T3_mT4_P12ihipStream_tbEUlT_E_NS1_11comp_targetILNS1_3genE9ELNS1_11target_archE1100ELNS1_3gpuE3ELNS1_3repE0EEENS1_30default_config_static_selectorELNS0_4arch9wavefront6targetE1EEEvT1_
	.p2align	8
	.type	_ZN7rocprim17ROCPRIM_400000_NS6detail17trampoline_kernelINS0_14default_configENS1_35adjacent_difference_config_selectorILb0ElEEZNS1_24adjacent_difference_implIS3_Lb0ELb0EPlS7_ZN2at6native12_GLOBAL__N_124unique_dim_cuda_templateIdEESt5tupleIJNS8_6TensorESD_SD_EERKSD_lbbbEUlllE1_EE10hipError_tPvRmT2_T3_mT4_P12ihipStream_tbEUlT_E_NS1_11comp_targetILNS1_3genE9ELNS1_11target_archE1100ELNS1_3gpuE3ELNS1_3repE0EEENS1_30default_config_static_selectorELNS0_4arch9wavefront6targetE1EEEvT1_,@function
_ZN7rocprim17ROCPRIM_400000_NS6detail17trampoline_kernelINS0_14default_configENS1_35adjacent_difference_config_selectorILb0ElEEZNS1_24adjacent_difference_implIS3_Lb0ELb0EPlS7_ZN2at6native12_GLOBAL__N_124unique_dim_cuda_templateIdEESt5tupleIJNS8_6TensorESD_SD_EERKSD_lbbbEUlllE1_EE10hipError_tPvRmT2_T3_mT4_P12ihipStream_tbEUlT_E_NS1_11comp_targetILNS1_3genE9ELNS1_11target_archE1100ELNS1_3gpuE3ELNS1_3repE0EEENS1_30default_config_static_selectorELNS0_4arch9wavefront6targetE1EEEvT1_: ; @_ZN7rocprim17ROCPRIM_400000_NS6detail17trampoline_kernelINS0_14default_configENS1_35adjacent_difference_config_selectorILb0ElEEZNS1_24adjacent_difference_implIS3_Lb0ELb0EPlS7_ZN2at6native12_GLOBAL__N_124unique_dim_cuda_templateIdEESt5tupleIJNS8_6TensorESD_SD_EERKSD_lbbbEUlllE1_EE10hipError_tPvRmT2_T3_mT4_P12ihipStream_tbEUlT_E_NS1_11comp_targetILNS1_3genE9ELNS1_11target_archE1100ELNS1_3gpuE3ELNS1_3repE0EEENS1_30default_config_static_selectorELNS0_4arch9wavefront6targetE1EEEvT1_
; %bb.0:
	.section	.rodata,"a",@progbits
	.p2align	6, 0x0
	.amdhsa_kernel _ZN7rocprim17ROCPRIM_400000_NS6detail17trampoline_kernelINS0_14default_configENS1_35adjacent_difference_config_selectorILb0ElEEZNS1_24adjacent_difference_implIS3_Lb0ELb0EPlS7_ZN2at6native12_GLOBAL__N_124unique_dim_cuda_templateIdEESt5tupleIJNS8_6TensorESD_SD_EERKSD_lbbbEUlllE1_EE10hipError_tPvRmT2_T3_mT4_P12ihipStream_tbEUlT_E_NS1_11comp_targetILNS1_3genE9ELNS1_11target_archE1100ELNS1_3gpuE3ELNS1_3repE0EEENS1_30default_config_static_selectorELNS0_4arch9wavefront6targetE1EEEvT1_
		.amdhsa_group_segment_fixed_size 0
		.amdhsa_private_segment_fixed_size 0
		.amdhsa_kernarg_size 64
		.amdhsa_user_sgpr_count 2
		.amdhsa_user_sgpr_dispatch_ptr 0
		.amdhsa_user_sgpr_queue_ptr 0
		.amdhsa_user_sgpr_kernarg_segment_ptr 1
		.amdhsa_user_sgpr_dispatch_id 0
		.amdhsa_user_sgpr_kernarg_preload_length 0
		.amdhsa_user_sgpr_kernarg_preload_offset 0
		.amdhsa_user_sgpr_private_segment_size 0
		.amdhsa_uses_dynamic_stack 0
		.amdhsa_enable_private_segment 0
		.amdhsa_system_sgpr_workgroup_id_x 1
		.amdhsa_system_sgpr_workgroup_id_y 0
		.amdhsa_system_sgpr_workgroup_id_z 0
		.amdhsa_system_sgpr_workgroup_info 0
		.amdhsa_system_vgpr_workitem_id 0
		.amdhsa_next_free_vgpr 1
		.amdhsa_next_free_sgpr 0
		.amdhsa_accum_offset 4
		.amdhsa_reserve_vcc 0
		.amdhsa_float_round_mode_32 0
		.amdhsa_float_round_mode_16_64 0
		.amdhsa_float_denorm_mode_32 3
		.amdhsa_float_denorm_mode_16_64 3
		.amdhsa_dx10_clamp 1
		.amdhsa_ieee_mode 1
		.amdhsa_fp16_overflow 0
		.amdhsa_tg_split 0
		.amdhsa_exception_fp_ieee_invalid_op 0
		.amdhsa_exception_fp_denorm_src 0
		.amdhsa_exception_fp_ieee_div_zero 0
		.amdhsa_exception_fp_ieee_overflow 0
		.amdhsa_exception_fp_ieee_underflow 0
		.amdhsa_exception_fp_ieee_inexact 0
		.amdhsa_exception_int_div_zero 0
	.end_amdhsa_kernel
	.section	.text._ZN7rocprim17ROCPRIM_400000_NS6detail17trampoline_kernelINS0_14default_configENS1_35adjacent_difference_config_selectorILb0ElEEZNS1_24adjacent_difference_implIS3_Lb0ELb0EPlS7_ZN2at6native12_GLOBAL__N_124unique_dim_cuda_templateIdEESt5tupleIJNS8_6TensorESD_SD_EERKSD_lbbbEUlllE1_EE10hipError_tPvRmT2_T3_mT4_P12ihipStream_tbEUlT_E_NS1_11comp_targetILNS1_3genE9ELNS1_11target_archE1100ELNS1_3gpuE3ELNS1_3repE0EEENS1_30default_config_static_selectorELNS0_4arch9wavefront6targetE1EEEvT1_,"axG",@progbits,_ZN7rocprim17ROCPRIM_400000_NS6detail17trampoline_kernelINS0_14default_configENS1_35adjacent_difference_config_selectorILb0ElEEZNS1_24adjacent_difference_implIS3_Lb0ELb0EPlS7_ZN2at6native12_GLOBAL__N_124unique_dim_cuda_templateIdEESt5tupleIJNS8_6TensorESD_SD_EERKSD_lbbbEUlllE1_EE10hipError_tPvRmT2_T3_mT4_P12ihipStream_tbEUlT_E_NS1_11comp_targetILNS1_3genE9ELNS1_11target_archE1100ELNS1_3gpuE3ELNS1_3repE0EEENS1_30default_config_static_selectorELNS0_4arch9wavefront6targetE1EEEvT1_,comdat
.Lfunc_end788:
	.size	_ZN7rocprim17ROCPRIM_400000_NS6detail17trampoline_kernelINS0_14default_configENS1_35adjacent_difference_config_selectorILb0ElEEZNS1_24adjacent_difference_implIS3_Lb0ELb0EPlS7_ZN2at6native12_GLOBAL__N_124unique_dim_cuda_templateIdEESt5tupleIJNS8_6TensorESD_SD_EERKSD_lbbbEUlllE1_EE10hipError_tPvRmT2_T3_mT4_P12ihipStream_tbEUlT_E_NS1_11comp_targetILNS1_3genE9ELNS1_11target_archE1100ELNS1_3gpuE3ELNS1_3repE0EEENS1_30default_config_static_selectorELNS0_4arch9wavefront6targetE1EEEvT1_, .Lfunc_end788-_ZN7rocprim17ROCPRIM_400000_NS6detail17trampoline_kernelINS0_14default_configENS1_35adjacent_difference_config_selectorILb0ElEEZNS1_24adjacent_difference_implIS3_Lb0ELb0EPlS7_ZN2at6native12_GLOBAL__N_124unique_dim_cuda_templateIdEESt5tupleIJNS8_6TensorESD_SD_EERKSD_lbbbEUlllE1_EE10hipError_tPvRmT2_T3_mT4_P12ihipStream_tbEUlT_E_NS1_11comp_targetILNS1_3genE9ELNS1_11target_archE1100ELNS1_3gpuE3ELNS1_3repE0EEENS1_30default_config_static_selectorELNS0_4arch9wavefront6targetE1EEEvT1_
                                        ; -- End function
	.set _ZN7rocprim17ROCPRIM_400000_NS6detail17trampoline_kernelINS0_14default_configENS1_35adjacent_difference_config_selectorILb0ElEEZNS1_24adjacent_difference_implIS3_Lb0ELb0EPlS7_ZN2at6native12_GLOBAL__N_124unique_dim_cuda_templateIdEESt5tupleIJNS8_6TensorESD_SD_EERKSD_lbbbEUlllE1_EE10hipError_tPvRmT2_T3_mT4_P12ihipStream_tbEUlT_E_NS1_11comp_targetILNS1_3genE9ELNS1_11target_archE1100ELNS1_3gpuE3ELNS1_3repE0EEENS1_30default_config_static_selectorELNS0_4arch9wavefront6targetE1EEEvT1_.num_vgpr, 0
	.set _ZN7rocprim17ROCPRIM_400000_NS6detail17trampoline_kernelINS0_14default_configENS1_35adjacent_difference_config_selectorILb0ElEEZNS1_24adjacent_difference_implIS3_Lb0ELb0EPlS7_ZN2at6native12_GLOBAL__N_124unique_dim_cuda_templateIdEESt5tupleIJNS8_6TensorESD_SD_EERKSD_lbbbEUlllE1_EE10hipError_tPvRmT2_T3_mT4_P12ihipStream_tbEUlT_E_NS1_11comp_targetILNS1_3genE9ELNS1_11target_archE1100ELNS1_3gpuE3ELNS1_3repE0EEENS1_30default_config_static_selectorELNS0_4arch9wavefront6targetE1EEEvT1_.num_agpr, 0
	.set _ZN7rocprim17ROCPRIM_400000_NS6detail17trampoline_kernelINS0_14default_configENS1_35adjacent_difference_config_selectorILb0ElEEZNS1_24adjacent_difference_implIS3_Lb0ELb0EPlS7_ZN2at6native12_GLOBAL__N_124unique_dim_cuda_templateIdEESt5tupleIJNS8_6TensorESD_SD_EERKSD_lbbbEUlllE1_EE10hipError_tPvRmT2_T3_mT4_P12ihipStream_tbEUlT_E_NS1_11comp_targetILNS1_3genE9ELNS1_11target_archE1100ELNS1_3gpuE3ELNS1_3repE0EEENS1_30default_config_static_selectorELNS0_4arch9wavefront6targetE1EEEvT1_.numbered_sgpr, 0
	.set _ZN7rocprim17ROCPRIM_400000_NS6detail17trampoline_kernelINS0_14default_configENS1_35adjacent_difference_config_selectorILb0ElEEZNS1_24adjacent_difference_implIS3_Lb0ELb0EPlS7_ZN2at6native12_GLOBAL__N_124unique_dim_cuda_templateIdEESt5tupleIJNS8_6TensorESD_SD_EERKSD_lbbbEUlllE1_EE10hipError_tPvRmT2_T3_mT4_P12ihipStream_tbEUlT_E_NS1_11comp_targetILNS1_3genE9ELNS1_11target_archE1100ELNS1_3gpuE3ELNS1_3repE0EEENS1_30default_config_static_selectorELNS0_4arch9wavefront6targetE1EEEvT1_.num_named_barrier, 0
	.set _ZN7rocprim17ROCPRIM_400000_NS6detail17trampoline_kernelINS0_14default_configENS1_35adjacent_difference_config_selectorILb0ElEEZNS1_24adjacent_difference_implIS3_Lb0ELb0EPlS7_ZN2at6native12_GLOBAL__N_124unique_dim_cuda_templateIdEESt5tupleIJNS8_6TensorESD_SD_EERKSD_lbbbEUlllE1_EE10hipError_tPvRmT2_T3_mT4_P12ihipStream_tbEUlT_E_NS1_11comp_targetILNS1_3genE9ELNS1_11target_archE1100ELNS1_3gpuE3ELNS1_3repE0EEENS1_30default_config_static_selectorELNS0_4arch9wavefront6targetE1EEEvT1_.private_seg_size, 0
	.set _ZN7rocprim17ROCPRIM_400000_NS6detail17trampoline_kernelINS0_14default_configENS1_35adjacent_difference_config_selectorILb0ElEEZNS1_24adjacent_difference_implIS3_Lb0ELb0EPlS7_ZN2at6native12_GLOBAL__N_124unique_dim_cuda_templateIdEESt5tupleIJNS8_6TensorESD_SD_EERKSD_lbbbEUlllE1_EE10hipError_tPvRmT2_T3_mT4_P12ihipStream_tbEUlT_E_NS1_11comp_targetILNS1_3genE9ELNS1_11target_archE1100ELNS1_3gpuE3ELNS1_3repE0EEENS1_30default_config_static_selectorELNS0_4arch9wavefront6targetE1EEEvT1_.uses_vcc, 0
	.set _ZN7rocprim17ROCPRIM_400000_NS6detail17trampoline_kernelINS0_14default_configENS1_35adjacent_difference_config_selectorILb0ElEEZNS1_24adjacent_difference_implIS3_Lb0ELb0EPlS7_ZN2at6native12_GLOBAL__N_124unique_dim_cuda_templateIdEESt5tupleIJNS8_6TensorESD_SD_EERKSD_lbbbEUlllE1_EE10hipError_tPvRmT2_T3_mT4_P12ihipStream_tbEUlT_E_NS1_11comp_targetILNS1_3genE9ELNS1_11target_archE1100ELNS1_3gpuE3ELNS1_3repE0EEENS1_30default_config_static_selectorELNS0_4arch9wavefront6targetE1EEEvT1_.uses_flat_scratch, 0
	.set _ZN7rocprim17ROCPRIM_400000_NS6detail17trampoline_kernelINS0_14default_configENS1_35adjacent_difference_config_selectorILb0ElEEZNS1_24adjacent_difference_implIS3_Lb0ELb0EPlS7_ZN2at6native12_GLOBAL__N_124unique_dim_cuda_templateIdEESt5tupleIJNS8_6TensorESD_SD_EERKSD_lbbbEUlllE1_EE10hipError_tPvRmT2_T3_mT4_P12ihipStream_tbEUlT_E_NS1_11comp_targetILNS1_3genE9ELNS1_11target_archE1100ELNS1_3gpuE3ELNS1_3repE0EEENS1_30default_config_static_selectorELNS0_4arch9wavefront6targetE1EEEvT1_.has_dyn_sized_stack, 0
	.set _ZN7rocprim17ROCPRIM_400000_NS6detail17trampoline_kernelINS0_14default_configENS1_35adjacent_difference_config_selectorILb0ElEEZNS1_24adjacent_difference_implIS3_Lb0ELb0EPlS7_ZN2at6native12_GLOBAL__N_124unique_dim_cuda_templateIdEESt5tupleIJNS8_6TensorESD_SD_EERKSD_lbbbEUlllE1_EE10hipError_tPvRmT2_T3_mT4_P12ihipStream_tbEUlT_E_NS1_11comp_targetILNS1_3genE9ELNS1_11target_archE1100ELNS1_3gpuE3ELNS1_3repE0EEENS1_30default_config_static_selectorELNS0_4arch9wavefront6targetE1EEEvT1_.has_recursion, 0
	.set _ZN7rocprim17ROCPRIM_400000_NS6detail17trampoline_kernelINS0_14default_configENS1_35adjacent_difference_config_selectorILb0ElEEZNS1_24adjacent_difference_implIS3_Lb0ELb0EPlS7_ZN2at6native12_GLOBAL__N_124unique_dim_cuda_templateIdEESt5tupleIJNS8_6TensorESD_SD_EERKSD_lbbbEUlllE1_EE10hipError_tPvRmT2_T3_mT4_P12ihipStream_tbEUlT_E_NS1_11comp_targetILNS1_3genE9ELNS1_11target_archE1100ELNS1_3gpuE3ELNS1_3repE0EEENS1_30default_config_static_selectorELNS0_4arch9wavefront6targetE1EEEvT1_.has_indirect_call, 0
	.section	.AMDGPU.csdata,"",@progbits
; Kernel info:
; codeLenInByte = 0
; TotalNumSgprs: 6
; NumVgprs: 0
; NumAgprs: 0
; TotalNumVgprs: 0
; ScratchSize: 0
; MemoryBound: 0
; FloatMode: 240
; IeeeMode: 1
; LDSByteSize: 0 bytes/workgroup (compile time only)
; SGPRBlocks: 0
; VGPRBlocks: 0
; NumSGPRsForWavesPerEU: 6
; NumVGPRsForWavesPerEU: 1
; AccumOffset: 4
; Occupancy: 8
; WaveLimiterHint : 0
; COMPUTE_PGM_RSRC2:SCRATCH_EN: 0
; COMPUTE_PGM_RSRC2:USER_SGPR: 2
; COMPUTE_PGM_RSRC2:TRAP_HANDLER: 0
; COMPUTE_PGM_RSRC2:TGID_X_EN: 1
; COMPUTE_PGM_RSRC2:TGID_Y_EN: 0
; COMPUTE_PGM_RSRC2:TGID_Z_EN: 0
; COMPUTE_PGM_RSRC2:TIDIG_COMP_CNT: 0
; COMPUTE_PGM_RSRC3_GFX90A:ACCUM_OFFSET: 0
; COMPUTE_PGM_RSRC3_GFX90A:TG_SPLIT: 0
	.section	.text._ZN7rocprim17ROCPRIM_400000_NS6detail17trampoline_kernelINS0_14default_configENS1_35adjacent_difference_config_selectorILb0ElEEZNS1_24adjacent_difference_implIS3_Lb0ELb0EPlS7_ZN2at6native12_GLOBAL__N_124unique_dim_cuda_templateIdEESt5tupleIJNS8_6TensorESD_SD_EERKSD_lbbbEUlllE1_EE10hipError_tPvRmT2_T3_mT4_P12ihipStream_tbEUlT_E_NS1_11comp_targetILNS1_3genE8ELNS1_11target_archE1030ELNS1_3gpuE2ELNS1_3repE0EEENS1_30default_config_static_selectorELNS0_4arch9wavefront6targetE1EEEvT1_,"axG",@progbits,_ZN7rocprim17ROCPRIM_400000_NS6detail17trampoline_kernelINS0_14default_configENS1_35adjacent_difference_config_selectorILb0ElEEZNS1_24adjacent_difference_implIS3_Lb0ELb0EPlS7_ZN2at6native12_GLOBAL__N_124unique_dim_cuda_templateIdEESt5tupleIJNS8_6TensorESD_SD_EERKSD_lbbbEUlllE1_EE10hipError_tPvRmT2_T3_mT4_P12ihipStream_tbEUlT_E_NS1_11comp_targetILNS1_3genE8ELNS1_11target_archE1030ELNS1_3gpuE2ELNS1_3repE0EEENS1_30default_config_static_selectorELNS0_4arch9wavefront6targetE1EEEvT1_,comdat
	.globl	_ZN7rocprim17ROCPRIM_400000_NS6detail17trampoline_kernelINS0_14default_configENS1_35adjacent_difference_config_selectorILb0ElEEZNS1_24adjacent_difference_implIS3_Lb0ELb0EPlS7_ZN2at6native12_GLOBAL__N_124unique_dim_cuda_templateIdEESt5tupleIJNS8_6TensorESD_SD_EERKSD_lbbbEUlllE1_EE10hipError_tPvRmT2_T3_mT4_P12ihipStream_tbEUlT_E_NS1_11comp_targetILNS1_3genE8ELNS1_11target_archE1030ELNS1_3gpuE2ELNS1_3repE0EEENS1_30default_config_static_selectorELNS0_4arch9wavefront6targetE1EEEvT1_ ; -- Begin function _ZN7rocprim17ROCPRIM_400000_NS6detail17trampoline_kernelINS0_14default_configENS1_35adjacent_difference_config_selectorILb0ElEEZNS1_24adjacent_difference_implIS3_Lb0ELb0EPlS7_ZN2at6native12_GLOBAL__N_124unique_dim_cuda_templateIdEESt5tupleIJNS8_6TensorESD_SD_EERKSD_lbbbEUlllE1_EE10hipError_tPvRmT2_T3_mT4_P12ihipStream_tbEUlT_E_NS1_11comp_targetILNS1_3genE8ELNS1_11target_archE1030ELNS1_3gpuE2ELNS1_3repE0EEENS1_30default_config_static_selectorELNS0_4arch9wavefront6targetE1EEEvT1_
	.p2align	8
	.type	_ZN7rocprim17ROCPRIM_400000_NS6detail17trampoline_kernelINS0_14default_configENS1_35adjacent_difference_config_selectorILb0ElEEZNS1_24adjacent_difference_implIS3_Lb0ELb0EPlS7_ZN2at6native12_GLOBAL__N_124unique_dim_cuda_templateIdEESt5tupleIJNS8_6TensorESD_SD_EERKSD_lbbbEUlllE1_EE10hipError_tPvRmT2_T3_mT4_P12ihipStream_tbEUlT_E_NS1_11comp_targetILNS1_3genE8ELNS1_11target_archE1030ELNS1_3gpuE2ELNS1_3repE0EEENS1_30default_config_static_selectorELNS0_4arch9wavefront6targetE1EEEvT1_,@function
_ZN7rocprim17ROCPRIM_400000_NS6detail17trampoline_kernelINS0_14default_configENS1_35adjacent_difference_config_selectorILb0ElEEZNS1_24adjacent_difference_implIS3_Lb0ELb0EPlS7_ZN2at6native12_GLOBAL__N_124unique_dim_cuda_templateIdEESt5tupleIJNS8_6TensorESD_SD_EERKSD_lbbbEUlllE1_EE10hipError_tPvRmT2_T3_mT4_P12ihipStream_tbEUlT_E_NS1_11comp_targetILNS1_3genE8ELNS1_11target_archE1030ELNS1_3gpuE2ELNS1_3repE0EEENS1_30default_config_static_selectorELNS0_4arch9wavefront6targetE1EEEvT1_: ; @_ZN7rocprim17ROCPRIM_400000_NS6detail17trampoline_kernelINS0_14default_configENS1_35adjacent_difference_config_selectorILb0ElEEZNS1_24adjacent_difference_implIS3_Lb0ELb0EPlS7_ZN2at6native12_GLOBAL__N_124unique_dim_cuda_templateIdEESt5tupleIJNS8_6TensorESD_SD_EERKSD_lbbbEUlllE1_EE10hipError_tPvRmT2_T3_mT4_P12ihipStream_tbEUlT_E_NS1_11comp_targetILNS1_3genE8ELNS1_11target_archE1030ELNS1_3gpuE2ELNS1_3repE0EEENS1_30default_config_static_selectorELNS0_4arch9wavefront6targetE1EEEvT1_
; %bb.0:
	.section	.rodata,"a",@progbits
	.p2align	6, 0x0
	.amdhsa_kernel _ZN7rocprim17ROCPRIM_400000_NS6detail17trampoline_kernelINS0_14default_configENS1_35adjacent_difference_config_selectorILb0ElEEZNS1_24adjacent_difference_implIS3_Lb0ELb0EPlS7_ZN2at6native12_GLOBAL__N_124unique_dim_cuda_templateIdEESt5tupleIJNS8_6TensorESD_SD_EERKSD_lbbbEUlllE1_EE10hipError_tPvRmT2_T3_mT4_P12ihipStream_tbEUlT_E_NS1_11comp_targetILNS1_3genE8ELNS1_11target_archE1030ELNS1_3gpuE2ELNS1_3repE0EEENS1_30default_config_static_selectorELNS0_4arch9wavefront6targetE1EEEvT1_
		.amdhsa_group_segment_fixed_size 0
		.amdhsa_private_segment_fixed_size 0
		.amdhsa_kernarg_size 64
		.amdhsa_user_sgpr_count 2
		.amdhsa_user_sgpr_dispatch_ptr 0
		.amdhsa_user_sgpr_queue_ptr 0
		.amdhsa_user_sgpr_kernarg_segment_ptr 1
		.amdhsa_user_sgpr_dispatch_id 0
		.amdhsa_user_sgpr_kernarg_preload_length 0
		.amdhsa_user_sgpr_kernarg_preload_offset 0
		.amdhsa_user_sgpr_private_segment_size 0
		.amdhsa_uses_dynamic_stack 0
		.amdhsa_enable_private_segment 0
		.amdhsa_system_sgpr_workgroup_id_x 1
		.amdhsa_system_sgpr_workgroup_id_y 0
		.amdhsa_system_sgpr_workgroup_id_z 0
		.amdhsa_system_sgpr_workgroup_info 0
		.amdhsa_system_vgpr_workitem_id 0
		.amdhsa_next_free_vgpr 1
		.amdhsa_next_free_sgpr 0
		.amdhsa_accum_offset 4
		.amdhsa_reserve_vcc 0
		.amdhsa_float_round_mode_32 0
		.amdhsa_float_round_mode_16_64 0
		.amdhsa_float_denorm_mode_32 3
		.amdhsa_float_denorm_mode_16_64 3
		.amdhsa_dx10_clamp 1
		.amdhsa_ieee_mode 1
		.amdhsa_fp16_overflow 0
		.amdhsa_tg_split 0
		.amdhsa_exception_fp_ieee_invalid_op 0
		.amdhsa_exception_fp_denorm_src 0
		.amdhsa_exception_fp_ieee_div_zero 0
		.amdhsa_exception_fp_ieee_overflow 0
		.amdhsa_exception_fp_ieee_underflow 0
		.amdhsa_exception_fp_ieee_inexact 0
		.amdhsa_exception_int_div_zero 0
	.end_amdhsa_kernel
	.section	.text._ZN7rocprim17ROCPRIM_400000_NS6detail17trampoline_kernelINS0_14default_configENS1_35adjacent_difference_config_selectorILb0ElEEZNS1_24adjacent_difference_implIS3_Lb0ELb0EPlS7_ZN2at6native12_GLOBAL__N_124unique_dim_cuda_templateIdEESt5tupleIJNS8_6TensorESD_SD_EERKSD_lbbbEUlllE1_EE10hipError_tPvRmT2_T3_mT4_P12ihipStream_tbEUlT_E_NS1_11comp_targetILNS1_3genE8ELNS1_11target_archE1030ELNS1_3gpuE2ELNS1_3repE0EEENS1_30default_config_static_selectorELNS0_4arch9wavefront6targetE1EEEvT1_,"axG",@progbits,_ZN7rocprim17ROCPRIM_400000_NS6detail17trampoline_kernelINS0_14default_configENS1_35adjacent_difference_config_selectorILb0ElEEZNS1_24adjacent_difference_implIS3_Lb0ELb0EPlS7_ZN2at6native12_GLOBAL__N_124unique_dim_cuda_templateIdEESt5tupleIJNS8_6TensorESD_SD_EERKSD_lbbbEUlllE1_EE10hipError_tPvRmT2_T3_mT4_P12ihipStream_tbEUlT_E_NS1_11comp_targetILNS1_3genE8ELNS1_11target_archE1030ELNS1_3gpuE2ELNS1_3repE0EEENS1_30default_config_static_selectorELNS0_4arch9wavefront6targetE1EEEvT1_,comdat
.Lfunc_end789:
	.size	_ZN7rocprim17ROCPRIM_400000_NS6detail17trampoline_kernelINS0_14default_configENS1_35adjacent_difference_config_selectorILb0ElEEZNS1_24adjacent_difference_implIS3_Lb0ELb0EPlS7_ZN2at6native12_GLOBAL__N_124unique_dim_cuda_templateIdEESt5tupleIJNS8_6TensorESD_SD_EERKSD_lbbbEUlllE1_EE10hipError_tPvRmT2_T3_mT4_P12ihipStream_tbEUlT_E_NS1_11comp_targetILNS1_3genE8ELNS1_11target_archE1030ELNS1_3gpuE2ELNS1_3repE0EEENS1_30default_config_static_selectorELNS0_4arch9wavefront6targetE1EEEvT1_, .Lfunc_end789-_ZN7rocprim17ROCPRIM_400000_NS6detail17trampoline_kernelINS0_14default_configENS1_35adjacent_difference_config_selectorILb0ElEEZNS1_24adjacent_difference_implIS3_Lb0ELb0EPlS7_ZN2at6native12_GLOBAL__N_124unique_dim_cuda_templateIdEESt5tupleIJNS8_6TensorESD_SD_EERKSD_lbbbEUlllE1_EE10hipError_tPvRmT2_T3_mT4_P12ihipStream_tbEUlT_E_NS1_11comp_targetILNS1_3genE8ELNS1_11target_archE1030ELNS1_3gpuE2ELNS1_3repE0EEENS1_30default_config_static_selectorELNS0_4arch9wavefront6targetE1EEEvT1_
                                        ; -- End function
	.set _ZN7rocprim17ROCPRIM_400000_NS6detail17trampoline_kernelINS0_14default_configENS1_35adjacent_difference_config_selectorILb0ElEEZNS1_24adjacent_difference_implIS3_Lb0ELb0EPlS7_ZN2at6native12_GLOBAL__N_124unique_dim_cuda_templateIdEESt5tupleIJNS8_6TensorESD_SD_EERKSD_lbbbEUlllE1_EE10hipError_tPvRmT2_T3_mT4_P12ihipStream_tbEUlT_E_NS1_11comp_targetILNS1_3genE8ELNS1_11target_archE1030ELNS1_3gpuE2ELNS1_3repE0EEENS1_30default_config_static_selectorELNS0_4arch9wavefront6targetE1EEEvT1_.num_vgpr, 0
	.set _ZN7rocprim17ROCPRIM_400000_NS6detail17trampoline_kernelINS0_14default_configENS1_35adjacent_difference_config_selectorILb0ElEEZNS1_24adjacent_difference_implIS3_Lb0ELb0EPlS7_ZN2at6native12_GLOBAL__N_124unique_dim_cuda_templateIdEESt5tupleIJNS8_6TensorESD_SD_EERKSD_lbbbEUlllE1_EE10hipError_tPvRmT2_T3_mT4_P12ihipStream_tbEUlT_E_NS1_11comp_targetILNS1_3genE8ELNS1_11target_archE1030ELNS1_3gpuE2ELNS1_3repE0EEENS1_30default_config_static_selectorELNS0_4arch9wavefront6targetE1EEEvT1_.num_agpr, 0
	.set _ZN7rocprim17ROCPRIM_400000_NS6detail17trampoline_kernelINS0_14default_configENS1_35adjacent_difference_config_selectorILb0ElEEZNS1_24adjacent_difference_implIS3_Lb0ELb0EPlS7_ZN2at6native12_GLOBAL__N_124unique_dim_cuda_templateIdEESt5tupleIJNS8_6TensorESD_SD_EERKSD_lbbbEUlllE1_EE10hipError_tPvRmT2_T3_mT4_P12ihipStream_tbEUlT_E_NS1_11comp_targetILNS1_3genE8ELNS1_11target_archE1030ELNS1_3gpuE2ELNS1_3repE0EEENS1_30default_config_static_selectorELNS0_4arch9wavefront6targetE1EEEvT1_.numbered_sgpr, 0
	.set _ZN7rocprim17ROCPRIM_400000_NS6detail17trampoline_kernelINS0_14default_configENS1_35adjacent_difference_config_selectorILb0ElEEZNS1_24adjacent_difference_implIS3_Lb0ELb0EPlS7_ZN2at6native12_GLOBAL__N_124unique_dim_cuda_templateIdEESt5tupleIJNS8_6TensorESD_SD_EERKSD_lbbbEUlllE1_EE10hipError_tPvRmT2_T3_mT4_P12ihipStream_tbEUlT_E_NS1_11comp_targetILNS1_3genE8ELNS1_11target_archE1030ELNS1_3gpuE2ELNS1_3repE0EEENS1_30default_config_static_selectorELNS0_4arch9wavefront6targetE1EEEvT1_.num_named_barrier, 0
	.set _ZN7rocprim17ROCPRIM_400000_NS6detail17trampoline_kernelINS0_14default_configENS1_35adjacent_difference_config_selectorILb0ElEEZNS1_24adjacent_difference_implIS3_Lb0ELb0EPlS7_ZN2at6native12_GLOBAL__N_124unique_dim_cuda_templateIdEESt5tupleIJNS8_6TensorESD_SD_EERKSD_lbbbEUlllE1_EE10hipError_tPvRmT2_T3_mT4_P12ihipStream_tbEUlT_E_NS1_11comp_targetILNS1_3genE8ELNS1_11target_archE1030ELNS1_3gpuE2ELNS1_3repE0EEENS1_30default_config_static_selectorELNS0_4arch9wavefront6targetE1EEEvT1_.private_seg_size, 0
	.set _ZN7rocprim17ROCPRIM_400000_NS6detail17trampoline_kernelINS0_14default_configENS1_35adjacent_difference_config_selectorILb0ElEEZNS1_24adjacent_difference_implIS3_Lb0ELb0EPlS7_ZN2at6native12_GLOBAL__N_124unique_dim_cuda_templateIdEESt5tupleIJNS8_6TensorESD_SD_EERKSD_lbbbEUlllE1_EE10hipError_tPvRmT2_T3_mT4_P12ihipStream_tbEUlT_E_NS1_11comp_targetILNS1_3genE8ELNS1_11target_archE1030ELNS1_3gpuE2ELNS1_3repE0EEENS1_30default_config_static_selectorELNS0_4arch9wavefront6targetE1EEEvT1_.uses_vcc, 0
	.set _ZN7rocprim17ROCPRIM_400000_NS6detail17trampoline_kernelINS0_14default_configENS1_35adjacent_difference_config_selectorILb0ElEEZNS1_24adjacent_difference_implIS3_Lb0ELb0EPlS7_ZN2at6native12_GLOBAL__N_124unique_dim_cuda_templateIdEESt5tupleIJNS8_6TensorESD_SD_EERKSD_lbbbEUlllE1_EE10hipError_tPvRmT2_T3_mT4_P12ihipStream_tbEUlT_E_NS1_11comp_targetILNS1_3genE8ELNS1_11target_archE1030ELNS1_3gpuE2ELNS1_3repE0EEENS1_30default_config_static_selectorELNS0_4arch9wavefront6targetE1EEEvT1_.uses_flat_scratch, 0
	.set _ZN7rocprim17ROCPRIM_400000_NS6detail17trampoline_kernelINS0_14default_configENS1_35adjacent_difference_config_selectorILb0ElEEZNS1_24adjacent_difference_implIS3_Lb0ELb0EPlS7_ZN2at6native12_GLOBAL__N_124unique_dim_cuda_templateIdEESt5tupleIJNS8_6TensorESD_SD_EERKSD_lbbbEUlllE1_EE10hipError_tPvRmT2_T3_mT4_P12ihipStream_tbEUlT_E_NS1_11comp_targetILNS1_3genE8ELNS1_11target_archE1030ELNS1_3gpuE2ELNS1_3repE0EEENS1_30default_config_static_selectorELNS0_4arch9wavefront6targetE1EEEvT1_.has_dyn_sized_stack, 0
	.set _ZN7rocprim17ROCPRIM_400000_NS6detail17trampoline_kernelINS0_14default_configENS1_35adjacent_difference_config_selectorILb0ElEEZNS1_24adjacent_difference_implIS3_Lb0ELb0EPlS7_ZN2at6native12_GLOBAL__N_124unique_dim_cuda_templateIdEESt5tupleIJNS8_6TensorESD_SD_EERKSD_lbbbEUlllE1_EE10hipError_tPvRmT2_T3_mT4_P12ihipStream_tbEUlT_E_NS1_11comp_targetILNS1_3genE8ELNS1_11target_archE1030ELNS1_3gpuE2ELNS1_3repE0EEENS1_30default_config_static_selectorELNS0_4arch9wavefront6targetE1EEEvT1_.has_recursion, 0
	.set _ZN7rocprim17ROCPRIM_400000_NS6detail17trampoline_kernelINS0_14default_configENS1_35adjacent_difference_config_selectorILb0ElEEZNS1_24adjacent_difference_implIS3_Lb0ELb0EPlS7_ZN2at6native12_GLOBAL__N_124unique_dim_cuda_templateIdEESt5tupleIJNS8_6TensorESD_SD_EERKSD_lbbbEUlllE1_EE10hipError_tPvRmT2_T3_mT4_P12ihipStream_tbEUlT_E_NS1_11comp_targetILNS1_3genE8ELNS1_11target_archE1030ELNS1_3gpuE2ELNS1_3repE0EEENS1_30default_config_static_selectorELNS0_4arch9wavefront6targetE1EEEvT1_.has_indirect_call, 0
	.section	.AMDGPU.csdata,"",@progbits
; Kernel info:
; codeLenInByte = 0
; TotalNumSgprs: 6
; NumVgprs: 0
; NumAgprs: 0
; TotalNumVgprs: 0
; ScratchSize: 0
; MemoryBound: 0
; FloatMode: 240
; IeeeMode: 1
; LDSByteSize: 0 bytes/workgroup (compile time only)
; SGPRBlocks: 0
; VGPRBlocks: 0
; NumSGPRsForWavesPerEU: 6
; NumVGPRsForWavesPerEU: 1
; AccumOffset: 4
; Occupancy: 8
; WaveLimiterHint : 0
; COMPUTE_PGM_RSRC2:SCRATCH_EN: 0
; COMPUTE_PGM_RSRC2:USER_SGPR: 2
; COMPUTE_PGM_RSRC2:TRAP_HANDLER: 0
; COMPUTE_PGM_RSRC2:TGID_X_EN: 1
; COMPUTE_PGM_RSRC2:TGID_Y_EN: 0
; COMPUTE_PGM_RSRC2:TGID_Z_EN: 0
; COMPUTE_PGM_RSRC2:TIDIG_COMP_CNT: 0
; COMPUTE_PGM_RSRC3_GFX90A:ACCUM_OFFSET: 0
; COMPUTE_PGM_RSRC3_GFX90A:TG_SPLIT: 0
	.section	.text._ZN7rocprim17ROCPRIM_400000_NS6detail17trampoline_kernelINS0_14default_configENS1_25transform_config_selectorIlLb0EEEZNS1_14transform_implILb0ES3_S5_NS0_18transform_iteratorINS0_17counting_iteratorImlEEZNS1_24adjacent_difference_implIS3_Lb1ELb0EPlSB_ZN2at6native12_GLOBAL__N_124unique_dim_cuda_templateIdEESt5tupleIJNSC_6TensorESH_SH_EERKSH_lbbbEUlllE1_EE10hipError_tPvRmT2_T3_mT4_P12ihipStream_tbEUlmE_lEESB_NS0_8identityIvEEEESM_SP_SQ_mSR_ST_bEUlT_E_NS1_11comp_targetILNS1_3genE0ELNS1_11target_archE4294967295ELNS1_3gpuE0ELNS1_3repE0EEENS1_30default_config_static_selectorELNS0_4arch9wavefront6targetE1EEEvT1_,"axG",@progbits,_ZN7rocprim17ROCPRIM_400000_NS6detail17trampoline_kernelINS0_14default_configENS1_25transform_config_selectorIlLb0EEEZNS1_14transform_implILb0ES3_S5_NS0_18transform_iteratorINS0_17counting_iteratorImlEEZNS1_24adjacent_difference_implIS3_Lb1ELb0EPlSB_ZN2at6native12_GLOBAL__N_124unique_dim_cuda_templateIdEESt5tupleIJNSC_6TensorESH_SH_EERKSH_lbbbEUlllE1_EE10hipError_tPvRmT2_T3_mT4_P12ihipStream_tbEUlmE_lEESB_NS0_8identityIvEEEESM_SP_SQ_mSR_ST_bEUlT_E_NS1_11comp_targetILNS1_3genE0ELNS1_11target_archE4294967295ELNS1_3gpuE0ELNS1_3repE0EEENS1_30default_config_static_selectorELNS0_4arch9wavefront6targetE1EEEvT1_,comdat
	.globl	_ZN7rocprim17ROCPRIM_400000_NS6detail17trampoline_kernelINS0_14default_configENS1_25transform_config_selectorIlLb0EEEZNS1_14transform_implILb0ES3_S5_NS0_18transform_iteratorINS0_17counting_iteratorImlEEZNS1_24adjacent_difference_implIS3_Lb1ELb0EPlSB_ZN2at6native12_GLOBAL__N_124unique_dim_cuda_templateIdEESt5tupleIJNSC_6TensorESH_SH_EERKSH_lbbbEUlllE1_EE10hipError_tPvRmT2_T3_mT4_P12ihipStream_tbEUlmE_lEESB_NS0_8identityIvEEEESM_SP_SQ_mSR_ST_bEUlT_E_NS1_11comp_targetILNS1_3genE0ELNS1_11target_archE4294967295ELNS1_3gpuE0ELNS1_3repE0EEENS1_30default_config_static_selectorELNS0_4arch9wavefront6targetE1EEEvT1_ ; -- Begin function _ZN7rocprim17ROCPRIM_400000_NS6detail17trampoline_kernelINS0_14default_configENS1_25transform_config_selectorIlLb0EEEZNS1_14transform_implILb0ES3_S5_NS0_18transform_iteratorINS0_17counting_iteratorImlEEZNS1_24adjacent_difference_implIS3_Lb1ELb0EPlSB_ZN2at6native12_GLOBAL__N_124unique_dim_cuda_templateIdEESt5tupleIJNSC_6TensorESH_SH_EERKSH_lbbbEUlllE1_EE10hipError_tPvRmT2_T3_mT4_P12ihipStream_tbEUlmE_lEESB_NS0_8identityIvEEEESM_SP_SQ_mSR_ST_bEUlT_E_NS1_11comp_targetILNS1_3genE0ELNS1_11target_archE4294967295ELNS1_3gpuE0ELNS1_3repE0EEENS1_30default_config_static_selectorELNS0_4arch9wavefront6targetE1EEEvT1_
	.p2align	8
	.type	_ZN7rocprim17ROCPRIM_400000_NS6detail17trampoline_kernelINS0_14default_configENS1_25transform_config_selectorIlLb0EEEZNS1_14transform_implILb0ES3_S5_NS0_18transform_iteratorINS0_17counting_iteratorImlEEZNS1_24adjacent_difference_implIS3_Lb1ELb0EPlSB_ZN2at6native12_GLOBAL__N_124unique_dim_cuda_templateIdEESt5tupleIJNSC_6TensorESH_SH_EERKSH_lbbbEUlllE1_EE10hipError_tPvRmT2_T3_mT4_P12ihipStream_tbEUlmE_lEESB_NS0_8identityIvEEEESM_SP_SQ_mSR_ST_bEUlT_E_NS1_11comp_targetILNS1_3genE0ELNS1_11target_archE4294967295ELNS1_3gpuE0ELNS1_3repE0EEENS1_30default_config_static_selectorELNS0_4arch9wavefront6targetE1EEEvT1_,@function
_ZN7rocprim17ROCPRIM_400000_NS6detail17trampoline_kernelINS0_14default_configENS1_25transform_config_selectorIlLb0EEEZNS1_14transform_implILb0ES3_S5_NS0_18transform_iteratorINS0_17counting_iteratorImlEEZNS1_24adjacent_difference_implIS3_Lb1ELb0EPlSB_ZN2at6native12_GLOBAL__N_124unique_dim_cuda_templateIdEESt5tupleIJNSC_6TensorESH_SH_EERKSH_lbbbEUlllE1_EE10hipError_tPvRmT2_T3_mT4_P12ihipStream_tbEUlmE_lEESB_NS0_8identityIvEEEESM_SP_SQ_mSR_ST_bEUlT_E_NS1_11comp_targetILNS1_3genE0ELNS1_11target_archE4294967295ELNS1_3gpuE0ELNS1_3repE0EEENS1_30default_config_static_selectorELNS0_4arch9wavefront6targetE1EEEvT1_: ; @_ZN7rocprim17ROCPRIM_400000_NS6detail17trampoline_kernelINS0_14default_configENS1_25transform_config_selectorIlLb0EEEZNS1_14transform_implILb0ES3_S5_NS0_18transform_iteratorINS0_17counting_iteratorImlEEZNS1_24adjacent_difference_implIS3_Lb1ELb0EPlSB_ZN2at6native12_GLOBAL__N_124unique_dim_cuda_templateIdEESt5tupleIJNSC_6TensorESH_SH_EERKSH_lbbbEUlllE1_EE10hipError_tPvRmT2_T3_mT4_P12ihipStream_tbEUlmE_lEESB_NS0_8identityIvEEEESM_SP_SQ_mSR_ST_bEUlT_E_NS1_11comp_targetILNS1_3genE0ELNS1_11target_archE4294967295ELNS1_3gpuE0ELNS1_3repE0EEENS1_30default_config_static_selectorELNS0_4arch9wavefront6targetE1EEEvT1_
; %bb.0:
	s_load_dword s3, s[0:1], 0x38
	s_load_dword s5, s[0:1], 0x20
	s_lshl_b32 s4, s2, 7
	s_waitcnt lgkmcnt(0)
	s_add_i32 s3, s3, -1
	s_cmp_lg_u32 s2, s3
	s_cselect_b64 s[2:3], -1, 0
	s_sub_i32 s5, s5, s4
	v_cmp_gt_u32_e32 vcc, s5, v0
	s_or_b64 s[2:3], s[2:3], vcc
	s_and_saveexec_b64 s[6:7], s[2:3]
	s_cbranch_execz .LBB790_2
; %bb.1:
	s_load_dwordx2 s[2:3], s[0:1], 0x18
	s_load_dwordx4 s[8:11], s[0:1], 0x0
	s_load_dwordx2 s[6:7], s[0:1], 0x28
	s_load_dword s5, s[0:1], 0x10
	v_mov_b32_e32 v1, 0
	s_waitcnt lgkmcnt(0)
	s_lshl_b64 s[0:1], s[2:3], 3
	v_mov_b32_e32 v2, s10
	s_add_u32 s6, s6, s0
	s_addc_u32 s7, s7, s1
	s_add_u32 s0, s8, s2
	s_addc_u32 s1, s9, s3
	;; [unrolled: 2-line block ×3, first 2 shown]
	v_lshl_add_u64 v[4:5], s[0:1], 0, v[0:1]
	v_mad_u64_u32 v[6:7], s[0:1], v4, s5, 0
	v_mov_b32_e32 v4, v7
	v_mad_u64_u32 v[4:5], s[0:1], v5, s5, v[4:5]
	v_mov_b32_e32 v3, s11
	v_mov_b32_e32 v7, v4
	v_lshl_add_u64 v[2:3], v[6:7], 3, v[2:3]
	global_load_dwordx2 v[2:3], v[2:3], off
	s_mov_b32 s5, 0
	s_lshl_b64 s[0:1], s[4:5], 3
	s_add_u32 s0, s6, s0
	s_addc_u32 s1, s7, s1
	v_lshl_add_u64 v[0:1], v[0:1], 3, s[0:1]
	s_waitcnt vmcnt(0)
	global_store_dwordx2 v[0:1], v[2:3], off
.LBB790_2:
	s_endpgm
	.section	.rodata,"a",@progbits
	.p2align	6, 0x0
	.amdhsa_kernel _ZN7rocprim17ROCPRIM_400000_NS6detail17trampoline_kernelINS0_14default_configENS1_25transform_config_selectorIlLb0EEEZNS1_14transform_implILb0ES3_S5_NS0_18transform_iteratorINS0_17counting_iteratorImlEEZNS1_24adjacent_difference_implIS3_Lb1ELb0EPlSB_ZN2at6native12_GLOBAL__N_124unique_dim_cuda_templateIdEESt5tupleIJNSC_6TensorESH_SH_EERKSH_lbbbEUlllE1_EE10hipError_tPvRmT2_T3_mT4_P12ihipStream_tbEUlmE_lEESB_NS0_8identityIvEEEESM_SP_SQ_mSR_ST_bEUlT_E_NS1_11comp_targetILNS1_3genE0ELNS1_11target_archE4294967295ELNS1_3gpuE0ELNS1_3repE0EEENS1_30default_config_static_selectorELNS0_4arch9wavefront6targetE1EEEvT1_
		.amdhsa_group_segment_fixed_size 0
		.amdhsa_private_segment_fixed_size 0
		.amdhsa_kernarg_size 312
		.amdhsa_user_sgpr_count 2
		.amdhsa_user_sgpr_dispatch_ptr 0
		.amdhsa_user_sgpr_queue_ptr 0
		.amdhsa_user_sgpr_kernarg_segment_ptr 1
		.amdhsa_user_sgpr_dispatch_id 0
		.amdhsa_user_sgpr_kernarg_preload_length 0
		.amdhsa_user_sgpr_kernarg_preload_offset 0
		.amdhsa_user_sgpr_private_segment_size 0
		.amdhsa_uses_dynamic_stack 0
		.amdhsa_enable_private_segment 0
		.amdhsa_system_sgpr_workgroup_id_x 1
		.amdhsa_system_sgpr_workgroup_id_y 0
		.amdhsa_system_sgpr_workgroup_id_z 0
		.amdhsa_system_sgpr_workgroup_info 0
		.amdhsa_system_vgpr_workitem_id 0
		.amdhsa_next_free_vgpr 8
		.amdhsa_next_free_sgpr 12
		.amdhsa_accum_offset 8
		.amdhsa_reserve_vcc 1
		.amdhsa_float_round_mode_32 0
		.amdhsa_float_round_mode_16_64 0
		.amdhsa_float_denorm_mode_32 3
		.amdhsa_float_denorm_mode_16_64 3
		.amdhsa_dx10_clamp 1
		.amdhsa_ieee_mode 1
		.amdhsa_fp16_overflow 0
		.amdhsa_tg_split 0
		.amdhsa_exception_fp_ieee_invalid_op 0
		.amdhsa_exception_fp_denorm_src 0
		.amdhsa_exception_fp_ieee_div_zero 0
		.amdhsa_exception_fp_ieee_overflow 0
		.amdhsa_exception_fp_ieee_underflow 0
		.amdhsa_exception_fp_ieee_inexact 0
		.amdhsa_exception_int_div_zero 0
	.end_amdhsa_kernel
	.section	.text._ZN7rocprim17ROCPRIM_400000_NS6detail17trampoline_kernelINS0_14default_configENS1_25transform_config_selectorIlLb0EEEZNS1_14transform_implILb0ES3_S5_NS0_18transform_iteratorINS0_17counting_iteratorImlEEZNS1_24adjacent_difference_implIS3_Lb1ELb0EPlSB_ZN2at6native12_GLOBAL__N_124unique_dim_cuda_templateIdEESt5tupleIJNSC_6TensorESH_SH_EERKSH_lbbbEUlllE1_EE10hipError_tPvRmT2_T3_mT4_P12ihipStream_tbEUlmE_lEESB_NS0_8identityIvEEEESM_SP_SQ_mSR_ST_bEUlT_E_NS1_11comp_targetILNS1_3genE0ELNS1_11target_archE4294967295ELNS1_3gpuE0ELNS1_3repE0EEENS1_30default_config_static_selectorELNS0_4arch9wavefront6targetE1EEEvT1_,"axG",@progbits,_ZN7rocprim17ROCPRIM_400000_NS6detail17trampoline_kernelINS0_14default_configENS1_25transform_config_selectorIlLb0EEEZNS1_14transform_implILb0ES3_S5_NS0_18transform_iteratorINS0_17counting_iteratorImlEEZNS1_24adjacent_difference_implIS3_Lb1ELb0EPlSB_ZN2at6native12_GLOBAL__N_124unique_dim_cuda_templateIdEESt5tupleIJNSC_6TensorESH_SH_EERKSH_lbbbEUlllE1_EE10hipError_tPvRmT2_T3_mT4_P12ihipStream_tbEUlmE_lEESB_NS0_8identityIvEEEESM_SP_SQ_mSR_ST_bEUlT_E_NS1_11comp_targetILNS1_3genE0ELNS1_11target_archE4294967295ELNS1_3gpuE0ELNS1_3repE0EEENS1_30default_config_static_selectorELNS0_4arch9wavefront6targetE1EEEvT1_,comdat
.Lfunc_end790:
	.size	_ZN7rocprim17ROCPRIM_400000_NS6detail17trampoline_kernelINS0_14default_configENS1_25transform_config_selectorIlLb0EEEZNS1_14transform_implILb0ES3_S5_NS0_18transform_iteratorINS0_17counting_iteratorImlEEZNS1_24adjacent_difference_implIS3_Lb1ELb0EPlSB_ZN2at6native12_GLOBAL__N_124unique_dim_cuda_templateIdEESt5tupleIJNSC_6TensorESH_SH_EERKSH_lbbbEUlllE1_EE10hipError_tPvRmT2_T3_mT4_P12ihipStream_tbEUlmE_lEESB_NS0_8identityIvEEEESM_SP_SQ_mSR_ST_bEUlT_E_NS1_11comp_targetILNS1_3genE0ELNS1_11target_archE4294967295ELNS1_3gpuE0ELNS1_3repE0EEENS1_30default_config_static_selectorELNS0_4arch9wavefront6targetE1EEEvT1_, .Lfunc_end790-_ZN7rocprim17ROCPRIM_400000_NS6detail17trampoline_kernelINS0_14default_configENS1_25transform_config_selectorIlLb0EEEZNS1_14transform_implILb0ES3_S5_NS0_18transform_iteratorINS0_17counting_iteratorImlEEZNS1_24adjacent_difference_implIS3_Lb1ELb0EPlSB_ZN2at6native12_GLOBAL__N_124unique_dim_cuda_templateIdEESt5tupleIJNSC_6TensorESH_SH_EERKSH_lbbbEUlllE1_EE10hipError_tPvRmT2_T3_mT4_P12ihipStream_tbEUlmE_lEESB_NS0_8identityIvEEEESM_SP_SQ_mSR_ST_bEUlT_E_NS1_11comp_targetILNS1_3genE0ELNS1_11target_archE4294967295ELNS1_3gpuE0ELNS1_3repE0EEENS1_30default_config_static_selectorELNS0_4arch9wavefront6targetE1EEEvT1_
                                        ; -- End function
	.set _ZN7rocprim17ROCPRIM_400000_NS6detail17trampoline_kernelINS0_14default_configENS1_25transform_config_selectorIlLb0EEEZNS1_14transform_implILb0ES3_S5_NS0_18transform_iteratorINS0_17counting_iteratorImlEEZNS1_24adjacent_difference_implIS3_Lb1ELb0EPlSB_ZN2at6native12_GLOBAL__N_124unique_dim_cuda_templateIdEESt5tupleIJNSC_6TensorESH_SH_EERKSH_lbbbEUlllE1_EE10hipError_tPvRmT2_T3_mT4_P12ihipStream_tbEUlmE_lEESB_NS0_8identityIvEEEESM_SP_SQ_mSR_ST_bEUlT_E_NS1_11comp_targetILNS1_3genE0ELNS1_11target_archE4294967295ELNS1_3gpuE0ELNS1_3repE0EEENS1_30default_config_static_selectorELNS0_4arch9wavefront6targetE1EEEvT1_.num_vgpr, 8
	.set _ZN7rocprim17ROCPRIM_400000_NS6detail17trampoline_kernelINS0_14default_configENS1_25transform_config_selectorIlLb0EEEZNS1_14transform_implILb0ES3_S5_NS0_18transform_iteratorINS0_17counting_iteratorImlEEZNS1_24adjacent_difference_implIS3_Lb1ELb0EPlSB_ZN2at6native12_GLOBAL__N_124unique_dim_cuda_templateIdEESt5tupleIJNSC_6TensorESH_SH_EERKSH_lbbbEUlllE1_EE10hipError_tPvRmT2_T3_mT4_P12ihipStream_tbEUlmE_lEESB_NS0_8identityIvEEEESM_SP_SQ_mSR_ST_bEUlT_E_NS1_11comp_targetILNS1_3genE0ELNS1_11target_archE4294967295ELNS1_3gpuE0ELNS1_3repE0EEENS1_30default_config_static_selectorELNS0_4arch9wavefront6targetE1EEEvT1_.num_agpr, 0
	.set _ZN7rocprim17ROCPRIM_400000_NS6detail17trampoline_kernelINS0_14default_configENS1_25transform_config_selectorIlLb0EEEZNS1_14transform_implILb0ES3_S5_NS0_18transform_iteratorINS0_17counting_iteratorImlEEZNS1_24adjacent_difference_implIS3_Lb1ELb0EPlSB_ZN2at6native12_GLOBAL__N_124unique_dim_cuda_templateIdEESt5tupleIJNSC_6TensorESH_SH_EERKSH_lbbbEUlllE1_EE10hipError_tPvRmT2_T3_mT4_P12ihipStream_tbEUlmE_lEESB_NS0_8identityIvEEEESM_SP_SQ_mSR_ST_bEUlT_E_NS1_11comp_targetILNS1_3genE0ELNS1_11target_archE4294967295ELNS1_3gpuE0ELNS1_3repE0EEENS1_30default_config_static_selectorELNS0_4arch9wavefront6targetE1EEEvT1_.numbered_sgpr, 12
	.set _ZN7rocprim17ROCPRIM_400000_NS6detail17trampoline_kernelINS0_14default_configENS1_25transform_config_selectorIlLb0EEEZNS1_14transform_implILb0ES3_S5_NS0_18transform_iteratorINS0_17counting_iteratorImlEEZNS1_24adjacent_difference_implIS3_Lb1ELb0EPlSB_ZN2at6native12_GLOBAL__N_124unique_dim_cuda_templateIdEESt5tupleIJNSC_6TensorESH_SH_EERKSH_lbbbEUlllE1_EE10hipError_tPvRmT2_T3_mT4_P12ihipStream_tbEUlmE_lEESB_NS0_8identityIvEEEESM_SP_SQ_mSR_ST_bEUlT_E_NS1_11comp_targetILNS1_3genE0ELNS1_11target_archE4294967295ELNS1_3gpuE0ELNS1_3repE0EEENS1_30default_config_static_selectorELNS0_4arch9wavefront6targetE1EEEvT1_.num_named_barrier, 0
	.set _ZN7rocprim17ROCPRIM_400000_NS6detail17trampoline_kernelINS0_14default_configENS1_25transform_config_selectorIlLb0EEEZNS1_14transform_implILb0ES3_S5_NS0_18transform_iteratorINS0_17counting_iteratorImlEEZNS1_24adjacent_difference_implIS3_Lb1ELb0EPlSB_ZN2at6native12_GLOBAL__N_124unique_dim_cuda_templateIdEESt5tupleIJNSC_6TensorESH_SH_EERKSH_lbbbEUlllE1_EE10hipError_tPvRmT2_T3_mT4_P12ihipStream_tbEUlmE_lEESB_NS0_8identityIvEEEESM_SP_SQ_mSR_ST_bEUlT_E_NS1_11comp_targetILNS1_3genE0ELNS1_11target_archE4294967295ELNS1_3gpuE0ELNS1_3repE0EEENS1_30default_config_static_selectorELNS0_4arch9wavefront6targetE1EEEvT1_.private_seg_size, 0
	.set _ZN7rocprim17ROCPRIM_400000_NS6detail17trampoline_kernelINS0_14default_configENS1_25transform_config_selectorIlLb0EEEZNS1_14transform_implILb0ES3_S5_NS0_18transform_iteratorINS0_17counting_iteratorImlEEZNS1_24adjacent_difference_implIS3_Lb1ELb0EPlSB_ZN2at6native12_GLOBAL__N_124unique_dim_cuda_templateIdEESt5tupleIJNSC_6TensorESH_SH_EERKSH_lbbbEUlllE1_EE10hipError_tPvRmT2_T3_mT4_P12ihipStream_tbEUlmE_lEESB_NS0_8identityIvEEEESM_SP_SQ_mSR_ST_bEUlT_E_NS1_11comp_targetILNS1_3genE0ELNS1_11target_archE4294967295ELNS1_3gpuE0ELNS1_3repE0EEENS1_30default_config_static_selectorELNS0_4arch9wavefront6targetE1EEEvT1_.uses_vcc, 1
	.set _ZN7rocprim17ROCPRIM_400000_NS6detail17trampoline_kernelINS0_14default_configENS1_25transform_config_selectorIlLb0EEEZNS1_14transform_implILb0ES3_S5_NS0_18transform_iteratorINS0_17counting_iteratorImlEEZNS1_24adjacent_difference_implIS3_Lb1ELb0EPlSB_ZN2at6native12_GLOBAL__N_124unique_dim_cuda_templateIdEESt5tupleIJNSC_6TensorESH_SH_EERKSH_lbbbEUlllE1_EE10hipError_tPvRmT2_T3_mT4_P12ihipStream_tbEUlmE_lEESB_NS0_8identityIvEEEESM_SP_SQ_mSR_ST_bEUlT_E_NS1_11comp_targetILNS1_3genE0ELNS1_11target_archE4294967295ELNS1_3gpuE0ELNS1_3repE0EEENS1_30default_config_static_selectorELNS0_4arch9wavefront6targetE1EEEvT1_.uses_flat_scratch, 0
	.set _ZN7rocprim17ROCPRIM_400000_NS6detail17trampoline_kernelINS0_14default_configENS1_25transform_config_selectorIlLb0EEEZNS1_14transform_implILb0ES3_S5_NS0_18transform_iteratorINS0_17counting_iteratorImlEEZNS1_24adjacent_difference_implIS3_Lb1ELb0EPlSB_ZN2at6native12_GLOBAL__N_124unique_dim_cuda_templateIdEESt5tupleIJNSC_6TensorESH_SH_EERKSH_lbbbEUlllE1_EE10hipError_tPvRmT2_T3_mT4_P12ihipStream_tbEUlmE_lEESB_NS0_8identityIvEEEESM_SP_SQ_mSR_ST_bEUlT_E_NS1_11comp_targetILNS1_3genE0ELNS1_11target_archE4294967295ELNS1_3gpuE0ELNS1_3repE0EEENS1_30default_config_static_selectorELNS0_4arch9wavefront6targetE1EEEvT1_.has_dyn_sized_stack, 0
	.set _ZN7rocprim17ROCPRIM_400000_NS6detail17trampoline_kernelINS0_14default_configENS1_25transform_config_selectorIlLb0EEEZNS1_14transform_implILb0ES3_S5_NS0_18transform_iteratorINS0_17counting_iteratorImlEEZNS1_24adjacent_difference_implIS3_Lb1ELb0EPlSB_ZN2at6native12_GLOBAL__N_124unique_dim_cuda_templateIdEESt5tupleIJNSC_6TensorESH_SH_EERKSH_lbbbEUlllE1_EE10hipError_tPvRmT2_T3_mT4_P12ihipStream_tbEUlmE_lEESB_NS0_8identityIvEEEESM_SP_SQ_mSR_ST_bEUlT_E_NS1_11comp_targetILNS1_3genE0ELNS1_11target_archE4294967295ELNS1_3gpuE0ELNS1_3repE0EEENS1_30default_config_static_selectorELNS0_4arch9wavefront6targetE1EEEvT1_.has_recursion, 0
	.set _ZN7rocprim17ROCPRIM_400000_NS6detail17trampoline_kernelINS0_14default_configENS1_25transform_config_selectorIlLb0EEEZNS1_14transform_implILb0ES3_S5_NS0_18transform_iteratorINS0_17counting_iteratorImlEEZNS1_24adjacent_difference_implIS3_Lb1ELb0EPlSB_ZN2at6native12_GLOBAL__N_124unique_dim_cuda_templateIdEESt5tupleIJNSC_6TensorESH_SH_EERKSH_lbbbEUlllE1_EE10hipError_tPvRmT2_T3_mT4_P12ihipStream_tbEUlmE_lEESB_NS0_8identityIvEEEESM_SP_SQ_mSR_ST_bEUlT_E_NS1_11comp_targetILNS1_3genE0ELNS1_11target_archE4294967295ELNS1_3gpuE0ELNS1_3repE0EEENS1_30default_config_static_selectorELNS0_4arch9wavefront6targetE1EEEvT1_.has_indirect_call, 0
	.section	.AMDGPU.csdata,"",@progbits
; Kernel info:
; codeLenInByte = 220
; TotalNumSgprs: 18
; NumVgprs: 8
; NumAgprs: 0
; TotalNumVgprs: 8
; ScratchSize: 0
; MemoryBound: 0
; FloatMode: 240
; IeeeMode: 1
; LDSByteSize: 0 bytes/workgroup (compile time only)
; SGPRBlocks: 2
; VGPRBlocks: 0
; NumSGPRsForWavesPerEU: 18
; NumVGPRsForWavesPerEU: 8
; AccumOffset: 8
; Occupancy: 8
; WaveLimiterHint : 0
; COMPUTE_PGM_RSRC2:SCRATCH_EN: 0
; COMPUTE_PGM_RSRC2:USER_SGPR: 2
; COMPUTE_PGM_RSRC2:TRAP_HANDLER: 0
; COMPUTE_PGM_RSRC2:TGID_X_EN: 1
; COMPUTE_PGM_RSRC2:TGID_Y_EN: 0
; COMPUTE_PGM_RSRC2:TGID_Z_EN: 0
; COMPUTE_PGM_RSRC2:TIDIG_COMP_CNT: 0
; COMPUTE_PGM_RSRC3_GFX90A:ACCUM_OFFSET: 1
; COMPUTE_PGM_RSRC3_GFX90A:TG_SPLIT: 0
	.section	.text._ZN7rocprim17ROCPRIM_400000_NS6detail17trampoline_kernelINS0_14default_configENS1_25transform_config_selectorIlLb0EEEZNS1_14transform_implILb0ES3_S5_NS0_18transform_iteratorINS0_17counting_iteratorImlEEZNS1_24adjacent_difference_implIS3_Lb1ELb0EPlSB_ZN2at6native12_GLOBAL__N_124unique_dim_cuda_templateIdEESt5tupleIJNSC_6TensorESH_SH_EERKSH_lbbbEUlllE1_EE10hipError_tPvRmT2_T3_mT4_P12ihipStream_tbEUlmE_lEESB_NS0_8identityIvEEEESM_SP_SQ_mSR_ST_bEUlT_E_NS1_11comp_targetILNS1_3genE5ELNS1_11target_archE942ELNS1_3gpuE9ELNS1_3repE0EEENS1_30default_config_static_selectorELNS0_4arch9wavefront6targetE1EEEvT1_,"axG",@progbits,_ZN7rocprim17ROCPRIM_400000_NS6detail17trampoline_kernelINS0_14default_configENS1_25transform_config_selectorIlLb0EEEZNS1_14transform_implILb0ES3_S5_NS0_18transform_iteratorINS0_17counting_iteratorImlEEZNS1_24adjacent_difference_implIS3_Lb1ELb0EPlSB_ZN2at6native12_GLOBAL__N_124unique_dim_cuda_templateIdEESt5tupleIJNSC_6TensorESH_SH_EERKSH_lbbbEUlllE1_EE10hipError_tPvRmT2_T3_mT4_P12ihipStream_tbEUlmE_lEESB_NS0_8identityIvEEEESM_SP_SQ_mSR_ST_bEUlT_E_NS1_11comp_targetILNS1_3genE5ELNS1_11target_archE942ELNS1_3gpuE9ELNS1_3repE0EEENS1_30default_config_static_selectorELNS0_4arch9wavefront6targetE1EEEvT1_,comdat
	.globl	_ZN7rocprim17ROCPRIM_400000_NS6detail17trampoline_kernelINS0_14default_configENS1_25transform_config_selectorIlLb0EEEZNS1_14transform_implILb0ES3_S5_NS0_18transform_iteratorINS0_17counting_iteratorImlEEZNS1_24adjacent_difference_implIS3_Lb1ELb0EPlSB_ZN2at6native12_GLOBAL__N_124unique_dim_cuda_templateIdEESt5tupleIJNSC_6TensorESH_SH_EERKSH_lbbbEUlllE1_EE10hipError_tPvRmT2_T3_mT4_P12ihipStream_tbEUlmE_lEESB_NS0_8identityIvEEEESM_SP_SQ_mSR_ST_bEUlT_E_NS1_11comp_targetILNS1_3genE5ELNS1_11target_archE942ELNS1_3gpuE9ELNS1_3repE0EEENS1_30default_config_static_selectorELNS0_4arch9wavefront6targetE1EEEvT1_ ; -- Begin function _ZN7rocprim17ROCPRIM_400000_NS6detail17trampoline_kernelINS0_14default_configENS1_25transform_config_selectorIlLb0EEEZNS1_14transform_implILb0ES3_S5_NS0_18transform_iteratorINS0_17counting_iteratorImlEEZNS1_24adjacent_difference_implIS3_Lb1ELb0EPlSB_ZN2at6native12_GLOBAL__N_124unique_dim_cuda_templateIdEESt5tupleIJNSC_6TensorESH_SH_EERKSH_lbbbEUlllE1_EE10hipError_tPvRmT2_T3_mT4_P12ihipStream_tbEUlmE_lEESB_NS0_8identityIvEEEESM_SP_SQ_mSR_ST_bEUlT_E_NS1_11comp_targetILNS1_3genE5ELNS1_11target_archE942ELNS1_3gpuE9ELNS1_3repE0EEENS1_30default_config_static_selectorELNS0_4arch9wavefront6targetE1EEEvT1_
	.p2align	8
	.type	_ZN7rocprim17ROCPRIM_400000_NS6detail17trampoline_kernelINS0_14default_configENS1_25transform_config_selectorIlLb0EEEZNS1_14transform_implILb0ES3_S5_NS0_18transform_iteratorINS0_17counting_iteratorImlEEZNS1_24adjacent_difference_implIS3_Lb1ELb0EPlSB_ZN2at6native12_GLOBAL__N_124unique_dim_cuda_templateIdEESt5tupleIJNSC_6TensorESH_SH_EERKSH_lbbbEUlllE1_EE10hipError_tPvRmT2_T3_mT4_P12ihipStream_tbEUlmE_lEESB_NS0_8identityIvEEEESM_SP_SQ_mSR_ST_bEUlT_E_NS1_11comp_targetILNS1_3genE5ELNS1_11target_archE942ELNS1_3gpuE9ELNS1_3repE0EEENS1_30default_config_static_selectorELNS0_4arch9wavefront6targetE1EEEvT1_,@function
_ZN7rocprim17ROCPRIM_400000_NS6detail17trampoline_kernelINS0_14default_configENS1_25transform_config_selectorIlLb0EEEZNS1_14transform_implILb0ES3_S5_NS0_18transform_iteratorINS0_17counting_iteratorImlEEZNS1_24adjacent_difference_implIS3_Lb1ELb0EPlSB_ZN2at6native12_GLOBAL__N_124unique_dim_cuda_templateIdEESt5tupleIJNSC_6TensorESH_SH_EERKSH_lbbbEUlllE1_EE10hipError_tPvRmT2_T3_mT4_P12ihipStream_tbEUlmE_lEESB_NS0_8identityIvEEEESM_SP_SQ_mSR_ST_bEUlT_E_NS1_11comp_targetILNS1_3genE5ELNS1_11target_archE942ELNS1_3gpuE9ELNS1_3repE0EEENS1_30default_config_static_selectorELNS0_4arch9wavefront6targetE1EEEvT1_: ; @_ZN7rocprim17ROCPRIM_400000_NS6detail17trampoline_kernelINS0_14default_configENS1_25transform_config_selectorIlLb0EEEZNS1_14transform_implILb0ES3_S5_NS0_18transform_iteratorINS0_17counting_iteratorImlEEZNS1_24adjacent_difference_implIS3_Lb1ELb0EPlSB_ZN2at6native12_GLOBAL__N_124unique_dim_cuda_templateIdEESt5tupleIJNSC_6TensorESH_SH_EERKSH_lbbbEUlllE1_EE10hipError_tPvRmT2_T3_mT4_P12ihipStream_tbEUlmE_lEESB_NS0_8identityIvEEEESM_SP_SQ_mSR_ST_bEUlT_E_NS1_11comp_targetILNS1_3genE5ELNS1_11target_archE942ELNS1_3gpuE9ELNS1_3repE0EEENS1_30default_config_static_selectorELNS0_4arch9wavefront6targetE1EEEvT1_
; %bb.0:
	.section	.rodata,"a",@progbits
	.p2align	6, 0x0
	.amdhsa_kernel _ZN7rocprim17ROCPRIM_400000_NS6detail17trampoline_kernelINS0_14default_configENS1_25transform_config_selectorIlLb0EEEZNS1_14transform_implILb0ES3_S5_NS0_18transform_iteratorINS0_17counting_iteratorImlEEZNS1_24adjacent_difference_implIS3_Lb1ELb0EPlSB_ZN2at6native12_GLOBAL__N_124unique_dim_cuda_templateIdEESt5tupleIJNSC_6TensorESH_SH_EERKSH_lbbbEUlllE1_EE10hipError_tPvRmT2_T3_mT4_P12ihipStream_tbEUlmE_lEESB_NS0_8identityIvEEEESM_SP_SQ_mSR_ST_bEUlT_E_NS1_11comp_targetILNS1_3genE5ELNS1_11target_archE942ELNS1_3gpuE9ELNS1_3repE0EEENS1_30default_config_static_selectorELNS0_4arch9wavefront6targetE1EEEvT1_
		.amdhsa_group_segment_fixed_size 0
		.amdhsa_private_segment_fixed_size 0
		.amdhsa_kernarg_size 56
		.amdhsa_user_sgpr_count 2
		.amdhsa_user_sgpr_dispatch_ptr 0
		.amdhsa_user_sgpr_queue_ptr 0
		.amdhsa_user_sgpr_kernarg_segment_ptr 1
		.amdhsa_user_sgpr_dispatch_id 0
		.amdhsa_user_sgpr_kernarg_preload_length 0
		.amdhsa_user_sgpr_kernarg_preload_offset 0
		.amdhsa_user_sgpr_private_segment_size 0
		.amdhsa_uses_dynamic_stack 0
		.amdhsa_enable_private_segment 0
		.amdhsa_system_sgpr_workgroup_id_x 1
		.amdhsa_system_sgpr_workgroup_id_y 0
		.amdhsa_system_sgpr_workgroup_id_z 0
		.amdhsa_system_sgpr_workgroup_info 0
		.amdhsa_system_vgpr_workitem_id 0
		.amdhsa_next_free_vgpr 1
		.amdhsa_next_free_sgpr 0
		.amdhsa_accum_offset 4
		.amdhsa_reserve_vcc 0
		.amdhsa_float_round_mode_32 0
		.amdhsa_float_round_mode_16_64 0
		.amdhsa_float_denorm_mode_32 3
		.amdhsa_float_denorm_mode_16_64 3
		.amdhsa_dx10_clamp 1
		.amdhsa_ieee_mode 1
		.amdhsa_fp16_overflow 0
		.amdhsa_tg_split 0
		.amdhsa_exception_fp_ieee_invalid_op 0
		.amdhsa_exception_fp_denorm_src 0
		.amdhsa_exception_fp_ieee_div_zero 0
		.amdhsa_exception_fp_ieee_overflow 0
		.amdhsa_exception_fp_ieee_underflow 0
		.amdhsa_exception_fp_ieee_inexact 0
		.amdhsa_exception_int_div_zero 0
	.end_amdhsa_kernel
	.section	.text._ZN7rocprim17ROCPRIM_400000_NS6detail17trampoline_kernelINS0_14default_configENS1_25transform_config_selectorIlLb0EEEZNS1_14transform_implILb0ES3_S5_NS0_18transform_iteratorINS0_17counting_iteratorImlEEZNS1_24adjacent_difference_implIS3_Lb1ELb0EPlSB_ZN2at6native12_GLOBAL__N_124unique_dim_cuda_templateIdEESt5tupleIJNSC_6TensorESH_SH_EERKSH_lbbbEUlllE1_EE10hipError_tPvRmT2_T3_mT4_P12ihipStream_tbEUlmE_lEESB_NS0_8identityIvEEEESM_SP_SQ_mSR_ST_bEUlT_E_NS1_11comp_targetILNS1_3genE5ELNS1_11target_archE942ELNS1_3gpuE9ELNS1_3repE0EEENS1_30default_config_static_selectorELNS0_4arch9wavefront6targetE1EEEvT1_,"axG",@progbits,_ZN7rocprim17ROCPRIM_400000_NS6detail17trampoline_kernelINS0_14default_configENS1_25transform_config_selectorIlLb0EEEZNS1_14transform_implILb0ES3_S5_NS0_18transform_iteratorINS0_17counting_iteratorImlEEZNS1_24adjacent_difference_implIS3_Lb1ELb0EPlSB_ZN2at6native12_GLOBAL__N_124unique_dim_cuda_templateIdEESt5tupleIJNSC_6TensorESH_SH_EERKSH_lbbbEUlllE1_EE10hipError_tPvRmT2_T3_mT4_P12ihipStream_tbEUlmE_lEESB_NS0_8identityIvEEEESM_SP_SQ_mSR_ST_bEUlT_E_NS1_11comp_targetILNS1_3genE5ELNS1_11target_archE942ELNS1_3gpuE9ELNS1_3repE0EEENS1_30default_config_static_selectorELNS0_4arch9wavefront6targetE1EEEvT1_,comdat
.Lfunc_end791:
	.size	_ZN7rocprim17ROCPRIM_400000_NS6detail17trampoline_kernelINS0_14default_configENS1_25transform_config_selectorIlLb0EEEZNS1_14transform_implILb0ES3_S5_NS0_18transform_iteratorINS0_17counting_iteratorImlEEZNS1_24adjacent_difference_implIS3_Lb1ELb0EPlSB_ZN2at6native12_GLOBAL__N_124unique_dim_cuda_templateIdEESt5tupleIJNSC_6TensorESH_SH_EERKSH_lbbbEUlllE1_EE10hipError_tPvRmT2_T3_mT4_P12ihipStream_tbEUlmE_lEESB_NS0_8identityIvEEEESM_SP_SQ_mSR_ST_bEUlT_E_NS1_11comp_targetILNS1_3genE5ELNS1_11target_archE942ELNS1_3gpuE9ELNS1_3repE0EEENS1_30default_config_static_selectorELNS0_4arch9wavefront6targetE1EEEvT1_, .Lfunc_end791-_ZN7rocprim17ROCPRIM_400000_NS6detail17trampoline_kernelINS0_14default_configENS1_25transform_config_selectorIlLb0EEEZNS1_14transform_implILb0ES3_S5_NS0_18transform_iteratorINS0_17counting_iteratorImlEEZNS1_24adjacent_difference_implIS3_Lb1ELb0EPlSB_ZN2at6native12_GLOBAL__N_124unique_dim_cuda_templateIdEESt5tupleIJNSC_6TensorESH_SH_EERKSH_lbbbEUlllE1_EE10hipError_tPvRmT2_T3_mT4_P12ihipStream_tbEUlmE_lEESB_NS0_8identityIvEEEESM_SP_SQ_mSR_ST_bEUlT_E_NS1_11comp_targetILNS1_3genE5ELNS1_11target_archE942ELNS1_3gpuE9ELNS1_3repE0EEENS1_30default_config_static_selectorELNS0_4arch9wavefront6targetE1EEEvT1_
                                        ; -- End function
	.set _ZN7rocprim17ROCPRIM_400000_NS6detail17trampoline_kernelINS0_14default_configENS1_25transform_config_selectorIlLb0EEEZNS1_14transform_implILb0ES3_S5_NS0_18transform_iteratorINS0_17counting_iteratorImlEEZNS1_24adjacent_difference_implIS3_Lb1ELb0EPlSB_ZN2at6native12_GLOBAL__N_124unique_dim_cuda_templateIdEESt5tupleIJNSC_6TensorESH_SH_EERKSH_lbbbEUlllE1_EE10hipError_tPvRmT2_T3_mT4_P12ihipStream_tbEUlmE_lEESB_NS0_8identityIvEEEESM_SP_SQ_mSR_ST_bEUlT_E_NS1_11comp_targetILNS1_3genE5ELNS1_11target_archE942ELNS1_3gpuE9ELNS1_3repE0EEENS1_30default_config_static_selectorELNS0_4arch9wavefront6targetE1EEEvT1_.num_vgpr, 0
	.set _ZN7rocprim17ROCPRIM_400000_NS6detail17trampoline_kernelINS0_14default_configENS1_25transform_config_selectorIlLb0EEEZNS1_14transform_implILb0ES3_S5_NS0_18transform_iteratorINS0_17counting_iteratorImlEEZNS1_24adjacent_difference_implIS3_Lb1ELb0EPlSB_ZN2at6native12_GLOBAL__N_124unique_dim_cuda_templateIdEESt5tupleIJNSC_6TensorESH_SH_EERKSH_lbbbEUlllE1_EE10hipError_tPvRmT2_T3_mT4_P12ihipStream_tbEUlmE_lEESB_NS0_8identityIvEEEESM_SP_SQ_mSR_ST_bEUlT_E_NS1_11comp_targetILNS1_3genE5ELNS1_11target_archE942ELNS1_3gpuE9ELNS1_3repE0EEENS1_30default_config_static_selectorELNS0_4arch9wavefront6targetE1EEEvT1_.num_agpr, 0
	.set _ZN7rocprim17ROCPRIM_400000_NS6detail17trampoline_kernelINS0_14default_configENS1_25transform_config_selectorIlLb0EEEZNS1_14transform_implILb0ES3_S5_NS0_18transform_iteratorINS0_17counting_iteratorImlEEZNS1_24adjacent_difference_implIS3_Lb1ELb0EPlSB_ZN2at6native12_GLOBAL__N_124unique_dim_cuda_templateIdEESt5tupleIJNSC_6TensorESH_SH_EERKSH_lbbbEUlllE1_EE10hipError_tPvRmT2_T3_mT4_P12ihipStream_tbEUlmE_lEESB_NS0_8identityIvEEEESM_SP_SQ_mSR_ST_bEUlT_E_NS1_11comp_targetILNS1_3genE5ELNS1_11target_archE942ELNS1_3gpuE9ELNS1_3repE0EEENS1_30default_config_static_selectorELNS0_4arch9wavefront6targetE1EEEvT1_.numbered_sgpr, 0
	.set _ZN7rocprim17ROCPRIM_400000_NS6detail17trampoline_kernelINS0_14default_configENS1_25transform_config_selectorIlLb0EEEZNS1_14transform_implILb0ES3_S5_NS0_18transform_iteratorINS0_17counting_iteratorImlEEZNS1_24adjacent_difference_implIS3_Lb1ELb0EPlSB_ZN2at6native12_GLOBAL__N_124unique_dim_cuda_templateIdEESt5tupleIJNSC_6TensorESH_SH_EERKSH_lbbbEUlllE1_EE10hipError_tPvRmT2_T3_mT4_P12ihipStream_tbEUlmE_lEESB_NS0_8identityIvEEEESM_SP_SQ_mSR_ST_bEUlT_E_NS1_11comp_targetILNS1_3genE5ELNS1_11target_archE942ELNS1_3gpuE9ELNS1_3repE0EEENS1_30default_config_static_selectorELNS0_4arch9wavefront6targetE1EEEvT1_.num_named_barrier, 0
	.set _ZN7rocprim17ROCPRIM_400000_NS6detail17trampoline_kernelINS0_14default_configENS1_25transform_config_selectorIlLb0EEEZNS1_14transform_implILb0ES3_S5_NS0_18transform_iteratorINS0_17counting_iteratorImlEEZNS1_24adjacent_difference_implIS3_Lb1ELb0EPlSB_ZN2at6native12_GLOBAL__N_124unique_dim_cuda_templateIdEESt5tupleIJNSC_6TensorESH_SH_EERKSH_lbbbEUlllE1_EE10hipError_tPvRmT2_T3_mT4_P12ihipStream_tbEUlmE_lEESB_NS0_8identityIvEEEESM_SP_SQ_mSR_ST_bEUlT_E_NS1_11comp_targetILNS1_3genE5ELNS1_11target_archE942ELNS1_3gpuE9ELNS1_3repE0EEENS1_30default_config_static_selectorELNS0_4arch9wavefront6targetE1EEEvT1_.private_seg_size, 0
	.set _ZN7rocprim17ROCPRIM_400000_NS6detail17trampoline_kernelINS0_14default_configENS1_25transform_config_selectorIlLb0EEEZNS1_14transform_implILb0ES3_S5_NS0_18transform_iteratorINS0_17counting_iteratorImlEEZNS1_24adjacent_difference_implIS3_Lb1ELb0EPlSB_ZN2at6native12_GLOBAL__N_124unique_dim_cuda_templateIdEESt5tupleIJNSC_6TensorESH_SH_EERKSH_lbbbEUlllE1_EE10hipError_tPvRmT2_T3_mT4_P12ihipStream_tbEUlmE_lEESB_NS0_8identityIvEEEESM_SP_SQ_mSR_ST_bEUlT_E_NS1_11comp_targetILNS1_3genE5ELNS1_11target_archE942ELNS1_3gpuE9ELNS1_3repE0EEENS1_30default_config_static_selectorELNS0_4arch9wavefront6targetE1EEEvT1_.uses_vcc, 0
	.set _ZN7rocprim17ROCPRIM_400000_NS6detail17trampoline_kernelINS0_14default_configENS1_25transform_config_selectorIlLb0EEEZNS1_14transform_implILb0ES3_S5_NS0_18transform_iteratorINS0_17counting_iteratorImlEEZNS1_24adjacent_difference_implIS3_Lb1ELb0EPlSB_ZN2at6native12_GLOBAL__N_124unique_dim_cuda_templateIdEESt5tupleIJNSC_6TensorESH_SH_EERKSH_lbbbEUlllE1_EE10hipError_tPvRmT2_T3_mT4_P12ihipStream_tbEUlmE_lEESB_NS0_8identityIvEEEESM_SP_SQ_mSR_ST_bEUlT_E_NS1_11comp_targetILNS1_3genE5ELNS1_11target_archE942ELNS1_3gpuE9ELNS1_3repE0EEENS1_30default_config_static_selectorELNS0_4arch9wavefront6targetE1EEEvT1_.uses_flat_scratch, 0
	.set _ZN7rocprim17ROCPRIM_400000_NS6detail17trampoline_kernelINS0_14default_configENS1_25transform_config_selectorIlLb0EEEZNS1_14transform_implILb0ES3_S5_NS0_18transform_iteratorINS0_17counting_iteratorImlEEZNS1_24adjacent_difference_implIS3_Lb1ELb0EPlSB_ZN2at6native12_GLOBAL__N_124unique_dim_cuda_templateIdEESt5tupleIJNSC_6TensorESH_SH_EERKSH_lbbbEUlllE1_EE10hipError_tPvRmT2_T3_mT4_P12ihipStream_tbEUlmE_lEESB_NS0_8identityIvEEEESM_SP_SQ_mSR_ST_bEUlT_E_NS1_11comp_targetILNS1_3genE5ELNS1_11target_archE942ELNS1_3gpuE9ELNS1_3repE0EEENS1_30default_config_static_selectorELNS0_4arch9wavefront6targetE1EEEvT1_.has_dyn_sized_stack, 0
	.set _ZN7rocprim17ROCPRIM_400000_NS6detail17trampoline_kernelINS0_14default_configENS1_25transform_config_selectorIlLb0EEEZNS1_14transform_implILb0ES3_S5_NS0_18transform_iteratorINS0_17counting_iteratorImlEEZNS1_24adjacent_difference_implIS3_Lb1ELb0EPlSB_ZN2at6native12_GLOBAL__N_124unique_dim_cuda_templateIdEESt5tupleIJNSC_6TensorESH_SH_EERKSH_lbbbEUlllE1_EE10hipError_tPvRmT2_T3_mT4_P12ihipStream_tbEUlmE_lEESB_NS0_8identityIvEEEESM_SP_SQ_mSR_ST_bEUlT_E_NS1_11comp_targetILNS1_3genE5ELNS1_11target_archE942ELNS1_3gpuE9ELNS1_3repE0EEENS1_30default_config_static_selectorELNS0_4arch9wavefront6targetE1EEEvT1_.has_recursion, 0
	.set _ZN7rocprim17ROCPRIM_400000_NS6detail17trampoline_kernelINS0_14default_configENS1_25transform_config_selectorIlLb0EEEZNS1_14transform_implILb0ES3_S5_NS0_18transform_iteratorINS0_17counting_iteratorImlEEZNS1_24adjacent_difference_implIS3_Lb1ELb0EPlSB_ZN2at6native12_GLOBAL__N_124unique_dim_cuda_templateIdEESt5tupleIJNSC_6TensorESH_SH_EERKSH_lbbbEUlllE1_EE10hipError_tPvRmT2_T3_mT4_P12ihipStream_tbEUlmE_lEESB_NS0_8identityIvEEEESM_SP_SQ_mSR_ST_bEUlT_E_NS1_11comp_targetILNS1_3genE5ELNS1_11target_archE942ELNS1_3gpuE9ELNS1_3repE0EEENS1_30default_config_static_selectorELNS0_4arch9wavefront6targetE1EEEvT1_.has_indirect_call, 0
	.section	.AMDGPU.csdata,"",@progbits
; Kernel info:
; codeLenInByte = 0
; TotalNumSgprs: 6
; NumVgprs: 0
; NumAgprs: 0
; TotalNumVgprs: 0
; ScratchSize: 0
; MemoryBound: 0
; FloatMode: 240
; IeeeMode: 1
; LDSByteSize: 0 bytes/workgroup (compile time only)
; SGPRBlocks: 0
; VGPRBlocks: 0
; NumSGPRsForWavesPerEU: 6
; NumVGPRsForWavesPerEU: 1
; AccumOffset: 4
; Occupancy: 8
; WaveLimiterHint : 0
; COMPUTE_PGM_RSRC2:SCRATCH_EN: 0
; COMPUTE_PGM_RSRC2:USER_SGPR: 2
; COMPUTE_PGM_RSRC2:TRAP_HANDLER: 0
; COMPUTE_PGM_RSRC2:TGID_X_EN: 1
; COMPUTE_PGM_RSRC2:TGID_Y_EN: 0
; COMPUTE_PGM_RSRC2:TGID_Z_EN: 0
; COMPUTE_PGM_RSRC2:TIDIG_COMP_CNT: 0
; COMPUTE_PGM_RSRC3_GFX90A:ACCUM_OFFSET: 0
; COMPUTE_PGM_RSRC3_GFX90A:TG_SPLIT: 0
	.section	.text._ZN7rocprim17ROCPRIM_400000_NS6detail17trampoline_kernelINS0_14default_configENS1_25transform_config_selectorIlLb0EEEZNS1_14transform_implILb0ES3_S5_NS0_18transform_iteratorINS0_17counting_iteratorImlEEZNS1_24adjacent_difference_implIS3_Lb1ELb0EPlSB_ZN2at6native12_GLOBAL__N_124unique_dim_cuda_templateIdEESt5tupleIJNSC_6TensorESH_SH_EERKSH_lbbbEUlllE1_EE10hipError_tPvRmT2_T3_mT4_P12ihipStream_tbEUlmE_lEESB_NS0_8identityIvEEEESM_SP_SQ_mSR_ST_bEUlT_E_NS1_11comp_targetILNS1_3genE4ELNS1_11target_archE910ELNS1_3gpuE8ELNS1_3repE0EEENS1_30default_config_static_selectorELNS0_4arch9wavefront6targetE1EEEvT1_,"axG",@progbits,_ZN7rocprim17ROCPRIM_400000_NS6detail17trampoline_kernelINS0_14default_configENS1_25transform_config_selectorIlLb0EEEZNS1_14transform_implILb0ES3_S5_NS0_18transform_iteratorINS0_17counting_iteratorImlEEZNS1_24adjacent_difference_implIS3_Lb1ELb0EPlSB_ZN2at6native12_GLOBAL__N_124unique_dim_cuda_templateIdEESt5tupleIJNSC_6TensorESH_SH_EERKSH_lbbbEUlllE1_EE10hipError_tPvRmT2_T3_mT4_P12ihipStream_tbEUlmE_lEESB_NS0_8identityIvEEEESM_SP_SQ_mSR_ST_bEUlT_E_NS1_11comp_targetILNS1_3genE4ELNS1_11target_archE910ELNS1_3gpuE8ELNS1_3repE0EEENS1_30default_config_static_selectorELNS0_4arch9wavefront6targetE1EEEvT1_,comdat
	.globl	_ZN7rocprim17ROCPRIM_400000_NS6detail17trampoline_kernelINS0_14default_configENS1_25transform_config_selectorIlLb0EEEZNS1_14transform_implILb0ES3_S5_NS0_18transform_iteratorINS0_17counting_iteratorImlEEZNS1_24adjacent_difference_implIS3_Lb1ELb0EPlSB_ZN2at6native12_GLOBAL__N_124unique_dim_cuda_templateIdEESt5tupleIJNSC_6TensorESH_SH_EERKSH_lbbbEUlllE1_EE10hipError_tPvRmT2_T3_mT4_P12ihipStream_tbEUlmE_lEESB_NS0_8identityIvEEEESM_SP_SQ_mSR_ST_bEUlT_E_NS1_11comp_targetILNS1_3genE4ELNS1_11target_archE910ELNS1_3gpuE8ELNS1_3repE0EEENS1_30default_config_static_selectorELNS0_4arch9wavefront6targetE1EEEvT1_ ; -- Begin function _ZN7rocprim17ROCPRIM_400000_NS6detail17trampoline_kernelINS0_14default_configENS1_25transform_config_selectorIlLb0EEEZNS1_14transform_implILb0ES3_S5_NS0_18transform_iteratorINS0_17counting_iteratorImlEEZNS1_24adjacent_difference_implIS3_Lb1ELb0EPlSB_ZN2at6native12_GLOBAL__N_124unique_dim_cuda_templateIdEESt5tupleIJNSC_6TensorESH_SH_EERKSH_lbbbEUlllE1_EE10hipError_tPvRmT2_T3_mT4_P12ihipStream_tbEUlmE_lEESB_NS0_8identityIvEEEESM_SP_SQ_mSR_ST_bEUlT_E_NS1_11comp_targetILNS1_3genE4ELNS1_11target_archE910ELNS1_3gpuE8ELNS1_3repE0EEENS1_30default_config_static_selectorELNS0_4arch9wavefront6targetE1EEEvT1_
	.p2align	8
	.type	_ZN7rocprim17ROCPRIM_400000_NS6detail17trampoline_kernelINS0_14default_configENS1_25transform_config_selectorIlLb0EEEZNS1_14transform_implILb0ES3_S5_NS0_18transform_iteratorINS0_17counting_iteratorImlEEZNS1_24adjacent_difference_implIS3_Lb1ELb0EPlSB_ZN2at6native12_GLOBAL__N_124unique_dim_cuda_templateIdEESt5tupleIJNSC_6TensorESH_SH_EERKSH_lbbbEUlllE1_EE10hipError_tPvRmT2_T3_mT4_P12ihipStream_tbEUlmE_lEESB_NS0_8identityIvEEEESM_SP_SQ_mSR_ST_bEUlT_E_NS1_11comp_targetILNS1_3genE4ELNS1_11target_archE910ELNS1_3gpuE8ELNS1_3repE0EEENS1_30default_config_static_selectorELNS0_4arch9wavefront6targetE1EEEvT1_,@function
_ZN7rocprim17ROCPRIM_400000_NS6detail17trampoline_kernelINS0_14default_configENS1_25transform_config_selectorIlLb0EEEZNS1_14transform_implILb0ES3_S5_NS0_18transform_iteratorINS0_17counting_iteratorImlEEZNS1_24adjacent_difference_implIS3_Lb1ELb0EPlSB_ZN2at6native12_GLOBAL__N_124unique_dim_cuda_templateIdEESt5tupleIJNSC_6TensorESH_SH_EERKSH_lbbbEUlllE1_EE10hipError_tPvRmT2_T3_mT4_P12ihipStream_tbEUlmE_lEESB_NS0_8identityIvEEEESM_SP_SQ_mSR_ST_bEUlT_E_NS1_11comp_targetILNS1_3genE4ELNS1_11target_archE910ELNS1_3gpuE8ELNS1_3repE0EEENS1_30default_config_static_selectorELNS0_4arch9wavefront6targetE1EEEvT1_: ; @_ZN7rocprim17ROCPRIM_400000_NS6detail17trampoline_kernelINS0_14default_configENS1_25transform_config_selectorIlLb0EEEZNS1_14transform_implILb0ES3_S5_NS0_18transform_iteratorINS0_17counting_iteratorImlEEZNS1_24adjacent_difference_implIS3_Lb1ELb0EPlSB_ZN2at6native12_GLOBAL__N_124unique_dim_cuda_templateIdEESt5tupleIJNSC_6TensorESH_SH_EERKSH_lbbbEUlllE1_EE10hipError_tPvRmT2_T3_mT4_P12ihipStream_tbEUlmE_lEESB_NS0_8identityIvEEEESM_SP_SQ_mSR_ST_bEUlT_E_NS1_11comp_targetILNS1_3genE4ELNS1_11target_archE910ELNS1_3gpuE8ELNS1_3repE0EEENS1_30default_config_static_selectorELNS0_4arch9wavefront6targetE1EEEvT1_
; %bb.0:
	.section	.rodata,"a",@progbits
	.p2align	6, 0x0
	.amdhsa_kernel _ZN7rocprim17ROCPRIM_400000_NS6detail17trampoline_kernelINS0_14default_configENS1_25transform_config_selectorIlLb0EEEZNS1_14transform_implILb0ES3_S5_NS0_18transform_iteratorINS0_17counting_iteratorImlEEZNS1_24adjacent_difference_implIS3_Lb1ELb0EPlSB_ZN2at6native12_GLOBAL__N_124unique_dim_cuda_templateIdEESt5tupleIJNSC_6TensorESH_SH_EERKSH_lbbbEUlllE1_EE10hipError_tPvRmT2_T3_mT4_P12ihipStream_tbEUlmE_lEESB_NS0_8identityIvEEEESM_SP_SQ_mSR_ST_bEUlT_E_NS1_11comp_targetILNS1_3genE4ELNS1_11target_archE910ELNS1_3gpuE8ELNS1_3repE0EEENS1_30default_config_static_selectorELNS0_4arch9wavefront6targetE1EEEvT1_
		.amdhsa_group_segment_fixed_size 0
		.amdhsa_private_segment_fixed_size 0
		.amdhsa_kernarg_size 56
		.amdhsa_user_sgpr_count 2
		.amdhsa_user_sgpr_dispatch_ptr 0
		.amdhsa_user_sgpr_queue_ptr 0
		.amdhsa_user_sgpr_kernarg_segment_ptr 1
		.amdhsa_user_sgpr_dispatch_id 0
		.amdhsa_user_sgpr_kernarg_preload_length 0
		.amdhsa_user_sgpr_kernarg_preload_offset 0
		.amdhsa_user_sgpr_private_segment_size 0
		.amdhsa_uses_dynamic_stack 0
		.amdhsa_enable_private_segment 0
		.amdhsa_system_sgpr_workgroup_id_x 1
		.amdhsa_system_sgpr_workgroup_id_y 0
		.amdhsa_system_sgpr_workgroup_id_z 0
		.amdhsa_system_sgpr_workgroup_info 0
		.amdhsa_system_vgpr_workitem_id 0
		.amdhsa_next_free_vgpr 1
		.amdhsa_next_free_sgpr 0
		.amdhsa_accum_offset 4
		.amdhsa_reserve_vcc 0
		.amdhsa_float_round_mode_32 0
		.amdhsa_float_round_mode_16_64 0
		.amdhsa_float_denorm_mode_32 3
		.amdhsa_float_denorm_mode_16_64 3
		.amdhsa_dx10_clamp 1
		.amdhsa_ieee_mode 1
		.amdhsa_fp16_overflow 0
		.amdhsa_tg_split 0
		.amdhsa_exception_fp_ieee_invalid_op 0
		.amdhsa_exception_fp_denorm_src 0
		.amdhsa_exception_fp_ieee_div_zero 0
		.amdhsa_exception_fp_ieee_overflow 0
		.amdhsa_exception_fp_ieee_underflow 0
		.amdhsa_exception_fp_ieee_inexact 0
		.amdhsa_exception_int_div_zero 0
	.end_amdhsa_kernel
	.section	.text._ZN7rocprim17ROCPRIM_400000_NS6detail17trampoline_kernelINS0_14default_configENS1_25transform_config_selectorIlLb0EEEZNS1_14transform_implILb0ES3_S5_NS0_18transform_iteratorINS0_17counting_iteratorImlEEZNS1_24adjacent_difference_implIS3_Lb1ELb0EPlSB_ZN2at6native12_GLOBAL__N_124unique_dim_cuda_templateIdEESt5tupleIJNSC_6TensorESH_SH_EERKSH_lbbbEUlllE1_EE10hipError_tPvRmT2_T3_mT4_P12ihipStream_tbEUlmE_lEESB_NS0_8identityIvEEEESM_SP_SQ_mSR_ST_bEUlT_E_NS1_11comp_targetILNS1_3genE4ELNS1_11target_archE910ELNS1_3gpuE8ELNS1_3repE0EEENS1_30default_config_static_selectorELNS0_4arch9wavefront6targetE1EEEvT1_,"axG",@progbits,_ZN7rocprim17ROCPRIM_400000_NS6detail17trampoline_kernelINS0_14default_configENS1_25transform_config_selectorIlLb0EEEZNS1_14transform_implILb0ES3_S5_NS0_18transform_iteratorINS0_17counting_iteratorImlEEZNS1_24adjacent_difference_implIS3_Lb1ELb0EPlSB_ZN2at6native12_GLOBAL__N_124unique_dim_cuda_templateIdEESt5tupleIJNSC_6TensorESH_SH_EERKSH_lbbbEUlllE1_EE10hipError_tPvRmT2_T3_mT4_P12ihipStream_tbEUlmE_lEESB_NS0_8identityIvEEEESM_SP_SQ_mSR_ST_bEUlT_E_NS1_11comp_targetILNS1_3genE4ELNS1_11target_archE910ELNS1_3gpuE8ELNS1_3repE0EEENS1_30default_config_static_selectorELNS0_4arch9wavefront6targetE1EEEvT1_,comdat
.Lfunc_end792:
	.size	_ZN7rocprim17ROCPRIM_400000_NS6detail17trampoline_kernelINS0_14default_configENS1_25transform_config_selectorIlLb0EEEZNS1_14transform_implILb0ES3_S5_NS0_18transform_iteratorINS0_17counting_iteratorImlEEZNS1_24adjacent_difference_implIS3_Lb1ELb0EPlSB_ZN2at6native12_GLOBAL__N_124unique_dim_cuda_templateIdEESt5tupleIJNSC_6TensorESH_SH_EERKSH_lbbbEUlllE1_EE10hipError_tPvRmT2_T3_mT4_P12ihipStream_tbEUlmE_lEESB_NS0_8identityIvEEEESM_SP_SQ_mSR_ST_bEUlT_E_NS1_11comp_targetILNS1_3genE4ELNS1_11target_archE910ELNS1_3gpuE8ELNS1_3repE0EEENS1_30default_config_static_selectorELNS0_4arch9wavefront6targetE1EEEvT1_, .Lfunc_end792-_ZN7rocprim17ROCPRIM_400000_NS6detail17trampoline_kernelINS0_14default_configENS1_25transform_config_selectorIlLb0EEEZNS1_14transform_implILb0ES3_S5_NS0_18transform_iteratorINS0_17counting_iteratorImlEEZNS1_24adjacent_difference_implIS3_Lb1ELb0EPlSB_ZN2at6native12_GLOBAL__N_124unique_dim_cuda_templateIdEESt5tupleIJNSC_6TensorESH_SH_EERKSH_lbbbEUlllE1_EE10hipError_tPvRmT2_T3_mT4_P12ihipStream_tbEUlmE_lEESB_NS0_8identityIvEEEESM_SP_SQ_mSR_ST_bEUlT_E_NS1_11comp_targetILNS1_3genE4ELNS1_11target_archE910ELNS1_3gpuE8ELNS1_3repE0EEENS1_30default_config_static_selectorELNS0_4arch9wavefront6targetE1EEEvT1_
                                        ; -- End function
	.set _ZN7rocprim17ROCPRIM_400000_NS6detail17trampoline_kernelINS0_14default_configENS1_25transform_config_selectorIlLb0EEEZNS1_14transform_implILb0ES3_S5_NS0_18transform_iteratorINS0_17counting_iteratorImlEEZNS1_24adjacent_difference_implIS3_Lb1ELb0EPlSB_ZN2at6native12_GLOBAL__N_124unique_dim_cuda_templateIdEESt5tupleIJNSC_6TensorESH_SH_EERKSH_lbbbEUlllE1_EE10hipError_tPvRmT2_T3_mT4_P12ihipStream_tbEUlmE_lEESB_NS0_8identityIvEEEESM_SP_SQ_mSR_ST_bEUlT_E_NS1_11comp_targetILNS1_3genE4ELNS1_11target_archE910ELNS1_3gpuE8ELNS1_3repE0EEENS1_30default_config_static_selectorELNS0_4arch9wavefront6targetE1EEEvT1_.num_vgpr, 0
	.set _ZN7rocprim17ROCPRIM_400000_NS6detail17trampoline_kernelINS0_14default_configENS1_25transform_config_selectorIlLb0EEEZNS1_14transform_implILb0ES3_S5_NS0_18transform_iteratorINS0_17counting_iteratorImlEEZNS1_24adjacent_difference_implIS3_Lb1ELb0EPlSB_ZN2at6native12_GLOBAL__N_124unique_dim_cuda_templateIdEESt5tupleIJNSC_6TensorESH_SH_EERKSH_lbbbEUlllE1_EE10hipError_tPvRmT2_T3_mT4_P12ihipStream_tbEUlmE_lEESB_NS0_8identityIvEEEESM_SP_SQ_mSR_ST_bEUlT_E_NS1_11comp_targetILNS1_3genE4ELNS1_11target_archE910ELNS1_3gpuE8ELNS1_3repE0EEENS1_30default_config_static_selectorELNS0_4arch9wavefront6targetE1EEEvT1_.num_agpr, 0
	.set _ZN7rocprim17ROCPRIM_400000_NS6detail17trampoline_kernelINS0_14default_configENS1_25transform_config_selectorIlLb0EEEZNS1_14transform_implILb0ES3_S5_NS0_18transform_iteratorINS0_17counting_iteratorImlEEZNS1_24adjacent_difference_implIS3_Lb1ELb0EPlSB_ZN2at6native12_GLOBAL__N_124unique_dim_cuda_templateIdEESt5tupleIJNSC_6TensorESH_SH_EERKSH_lbbbEUlllE1_EE10hipError_tPvRmT2_T3_mT4_P12ihipStream_tbEUlmE_lEESB_NS0_8identityIvEEEESM_SP_SQ_mSR_ST_bEUlT_E_NS1_11comp_targetILNS1_3genE4ELNS1_11target_archE910ELNS1_3gpuE8ELNS1_3repE0EEENS1_30default_config_static_selectorELNS0_4arch9wavefront6targetE1EEEvT1_.numbered_sgpr, 0
	.set _ZN7rocprim17ROCPRIM_400000_NS6detail17trampoline_kernelINS0_14default_configENS1_25transform_config_selectorIlLb0EEEZNS1_14transform_implILb0ES3_S5_NS0_18transform_iteratorINS0_17counting_iteratorImlEEZNS1_24adjacent_difference_implIS3_Lb1ELb0EPlSB_ZN2at6native12_GLOBAL__N_124unique_dim_cuda_templateIdEESt5tupleIJNSC_6TensorESH_SH_EERKSH_lbbbEUlllE1_EE10hipError_tPvRmT2_T3_mT4_P12ihipStream_tbEUlmE_lEESB_NS0_8identityIvEEEESM_SP_SQ_mSR_ST_bEUlT_E_NS1_11comp_targetILNS1_3genE4ELNS1_11target_archE910ELNS1_3gpuE8ELNS1_3repE0EEENS1_30default_config_static_selectorELNS0_4arch9wavefront6targetE1EEEvT1_.num_named_barrier, 0
	.set _ZN7rocprim17ROCPRIM_400000_NS6detail17trampoline_kernelINS0_14default_configENS1_25transform_config_selectorIlLb0EEEZNS1_14transform_implILb0ES3_S5_NS0_18transform_iteratorINS0_17counting_iteratorImlEEZNS1_24adjacent_difference_implIS3_Lb1ELb0EPlSB_ZN2at6native12_GLOBAL__N_124unique_dim_cuda_templateIdEESt5tupleIJNSC_6TensorESH_SH_EERKSH_lbbbEUlllE1_EE10hipError_tPvRmT2_T3_mT4_P12ihipStream_tbEUlmE_lEESB_NS0_8identityIvEEEESM_SP_SQ_mSR_ST_bEUlT_E_NS1_11comp_targetILNS1_3genE4ELNS1_11target_archE910ELNS1_3gpuE8ELNS1_3repE0EEENS1_30default_config_static_selectorELNS0_4arch9wavefront6targetE1EEEvT1_.private_seg_size, 0
	.set _ZN7rocprim17ROCPRIM_400000_NS6detail17trampoline_kernelINS0_14default_configENS1_25transform_config_selectorIlLb0EEEZNS1_14transform_implILb0ES3_S5_NS0_18transform_iteratorINS0_17counting_iteratorImlEEZNS1_24adjacent_difference_implIS3_Lb1ELb0EPlSB_ZN2at6native12_GLOBAL__N_124unique_dim_cuda_templateIdEESt5tupleIJNSC_6TensorESH_SH_EERKSH_lbbbEUlllE1_EE10hipError_tPvRmT2_T3_mT4_P12ihipStream_tbEUlmE_lEESB_NS0_8identityIvEEEESM_SP_SQ_mSR_ST_bEUlT_E_NS1_11comp_targetILNS1_3genE4ELNS1_11target_archE910ELNS1_3gpuE8ELNS1_3repE0EEENS1_30default_config_static_selectorELNS0_4arch9wavefront6targetE1EEEvT1_.uses_vcc, 0
	.set _ZN7rocprim17ROCPRIM_400000_NS6detail17trampoline_kernelINS0_14default_configENS1_25transform_config_selectorIlLb0EEEZNS1_14transform_implILb0ES3_S5_NS0_18transform_iteratorINS0_17counting_iteratorImlEEZNS1_24adjacent_difference_implIS3_Lb1ELb0EPlSB_ZN2at6native12_GLOBAL__N_124unique_dim_cuda_templateIdEESt5tupleIJNSC_6TensorESH_SH_EERKSH_lbbbEUlllE1_EE10hipError_tPvRmT2_T3_mT4_P12ihipStream_tbEUlmE_lEESB_NS0_8identityIvEEEESM_SP_SQ_mSR_ST_bEUlT_E_NS1_11comp_targetILNS1_3genE4ELNS1_11target_archE910ELNS1_3gpuE8ELNS1_3repE0EEENS1_30default_config_static_selectorELNS0_4arch9wavefront6targetE1EEEvT1_.uses_flat_scratch, 0
	.set _ZN7rocprim17ROCPRIM_400000_NS6detail17trampoline_kernelINS0_14default_configENS1_25transform_config_selectorIlLb0EEEZNS1_14transform_implILb0ES3_S5_NS0_18transform_iteratorINS0_17counting_iteratorImlEEZNS1_24adjacent_difference_implIS3_Lb1ELb0EPlSB_ZN2at6native12_GLOBAL__N_124unique_dim_cuda_templateIdEESt5tupleIJNSC_6TensorESH_SH_EERKSH_lbbbEUlllE1_EE10hipError_tPvRmT2_T3_mT4_P12ihipStream_tbEUlmE_lEESB_NS0_8identityIvEEEESM_SP_SQ_mSR_ST_bEUlT_E_NS1_11comp_targetILNS1_3genE4ELNS1_11target_archE910ELNS1_3gpuE8ELNS1_3repE0EEENS1_30default_config_static_selectorELNS0_4arch9wavefront6targetE1EEEvT1_.has_dyn_sized_stack, 0
	.set _ZN7rocprim17ROCPRIM_400000_NS6detail17trampoline_kernelINS0_14default_configENS1_25transform_config_selectorIlLb0EEEZNS1_14transform_implILb0ES3_S5_NS0_18transform_iteratorINS0_17counting_iteratorImlEEZNS1_24adjacent_difference_implIS3_Lb1ELb0EPlSB_ZN2at6native12_GLOBAL__N_124unique_dim_cuda_templateIdEESt5tupleIJNSC_6TensorESH_SH_EERKSH_lbbbEUlllE1_EE10hipError_tPvRmT2_T3_mT4_P12ihipStream_tbEUlmE_lEESB_NS0_8identityIvEEEESM_SP_SQ_mSR_ST_bEUlT_E_NS1_11comp_targetILNS1_3genE4ELNS1_11target_archE910ELNS1_3gpuE8ELNS1_3repE0EEENS1_30default_config_static_selectorELNS0_4arch9wavefront6targetE1EEEvT1_.has_recursion, 0
	.set _ZN7rocprim17ROCPRIM_400000_NS6detail17trampoline_kernelINS0_14default_configENS1_25transform_config_selectorIlLb0EEEZNS1_14transform_implILb0ES3_S5_NS0_18transform_iteratorINS0_17counting_iteratorImlEEZNS1_24adjacent_difference_implIS3_Lb1ELb0EPlSB_ZN2at6native12_GLOBAL__N_124unique_dim_cuda_templateIdEESt5tupleIJNSC_6TensorESH_SH_EERKSH_lbbbEUlllE1_EE10hipError_tPvRmT2_T3_mT4_P12ihipStream_tbEUlmE_lEESB_NS0_8identityIvEEEESM_SP_SQ_mSR_ST_bEUlT_E_NS1_11comp_targetILNS1_3genE4ELNS1_11target_archE910ELNS1_3gpuE8ELNS1_3repE0EEENS1_30default_config_static_selectorELNS0_4arch9wavefront6targetE1EEEvT1_.has_indirect_call, 0
	.section	.AMDGPU.csdata,"",@progbits
; Kernel info:
; codeLenInByte = 0
; TotalNumSgprs: 6
; NumVgprs: 0
; NumAgprs: 0
; TotalNumVgprs: 0
; ScratchSize: 0
; MemoryBound: 0
; FloatMode: 240
; IeeeMode: 1
; LDSByteSize: 0 bytes/workgroup (compile time only)
; SGPRBlocks: 0
; VGPRBlocks: 0
; NumSGPRsForWavesPerEU: 6
; NumVGPRsForWavesPerEU: 1
; AccumOffset: 4
; Occupancy: 8
; WaveLimiterHint : 0
; COMPUTE_PGM_RSRC2:SCRATCH_EN: 0
; COMPUTE_PGM_RSRC2:USER_SGPR: 2
; COMPUTE_PGM_RSRC2:TRAP_HANDLER: 0
; COMPUTE_PGM_RSRC2:TGID_X_EN: 1
; COMPUTE_PGM_RSRC2:TGID_Y_EN: 0
; COMPUTE_PGM_RSRC2:TGID_Z_EN: 0
; COMPUTE_PGM_RSRC2:TIDIG_COMP_CNT: 0
; COMPUTE_PGM_RSRC3_GFX90A:ACCUM_OFFSET: 0
; COMPUTE_PGM_RSRC3_GFX90A:TG_SPLIT: 0
	.section	.text._ZN7rocprim17ROCPRIM_400000_NS6detail17trampoline_kernelINS0_14default_configENS1_25transform_config_selectorIlLb0EEEZNS1_14transform_implILb0ES3_S5_NS0_18transform_iteratorINS0_17counting_iteratorImlEEZNS1_24adjacent_difference_implIS3_Lb1ELb0EPlSB_ZN2at6native12_GLOBAL__N_124unique_dim_cuda_templateIdEESt5tupleIJNSC_6TensorESH_SH_EERKSH_lbbbEUlllE1_EE10hipError_tPvRmT2_T3_mT4_P12ihipStream_tbEUlmE_lEESB_NS0_8identityIvEEEESM_SP_SQ_mSR_ST_bEUlT_E_NS1_11comp_targetILNS1_3genE3ELNS1_11target_archE908ELNS1_3gpuE7ELNS1_3repE0EEENS1_30default_config_static_selectorELNS0_4arch9wavefront6targetE1EEEvT1_,"axG",@progbits,_ZN7rocprim17ROCPRIM_400000_NS6detail17trampoline_kernelINS0_14default_configENS1_25transform_config_selectorIlLb0EEEZNS1_14transform_implILb0ES3_S5_NS0_18transform_iteratorINS0_17counting_iteratorImlEEZNS1_24adjacent_difference_implIS3_Lb1ELb0EPlSB_ZN2at6native12_GLOBAL__N_124unique_dim_cuda_templateIdEESt5tupleIJNSC_6TensorESH_SH_EERKSH_lbbbEUlllE1_EE10hipError_tPvRmT2_T3_mT4_P12ihipStream_tbEUlmE_lEESB_NS0_8identityIvEEEESM_SP_SQ_mSR_ST_bEUlT_E_NS1_11comp_targetILNS1_3genE3ELNS1_11target_archE908ELNS1_3gpuE7ELNS1_3repE0EEENS1_30default_config_static_selectorELNS0_4arch9wavefront6targetE1EEEvT1_,comdat
	.globl	_ZN7rocprim17ROCPRIM_400000_NS6detail17trampoline_kernelINS0_14default_configENS1_25transform_config_selectorIlLb0EEEZNS1_14transform_implILb0ES3_S5_NS0_18transform_iteratorINS0_17counting_iteratorImlEEZNS1_24adjacent_difference_implIS3_Lb1ELb0EPlSB_ZN2at6native12_GLOBAL__N_124unique_dim_cuda_templateIdEESt5tupleIJNSC_6TensorESH_SH_EERKSH_lbbbEUlllE1_EE10hipError_tPvRmT2_T3_mT4_P12ihipStream_tbEUlmE_lEESB_NS0_8identityIvEEEESM_SP_SQ_mSR_ST_bEUlT_E_NS1_11comp_targetILNS1_3genE3ELNS1_11target_archE908ELNS1_3gpuE7ELNS1_3repE0EEENS1_30default_config_static_selectorELNS0_4arch9wavefront6targetE1EEEvT1_ ; -- Begin function _ZN7rocprim17ROCPRIM_400000_NS6detail17trampoline_kernelINS0_14default_configENS1_25transform_config_selectorIlLb0EEEZNS1_14transform_implILb0ES3_S5_NS0_18transform_iteratorINS0_17counting_iteratorImlEEZNS1_24adjacent_difference_implIS3_Lb1ELb0EPlSB_ZN2at6native12_GLOBAL__N_124unique_dim_cuda_templateIdEESt5tupleIJNSC_6TensorESH_SH_EERKSH_lbbbEUlllE1_EE10hipError_tPvRmT2_T3_mT4_P12ihipStream_tbEUlmE_lEESB_NS0_8identityIvEEEESM_SP_SQ_mSR_ST_bEUlT_E_NS1_11comp_targetILNS1_3genE3ELNS1_11target_archE908ELNS1_3gpuE7ELNS1_3repE0EEENS1_30default_config_static_selectorELNS0_4arch9wavefront6targetE1EEEvT1_
	.p2align	8
	.type	_ZN7rocprim17ROCPRIM_400000_NS6detail17trampoline_kernelINS0_14default_configENS1_25transform_config_selectorIlLb0EEEZNS1_14transform_implILb0ES3_S5_NS0_18transform_iteratorINS0_17counting_iteratorImlEEZNS1_24adjacent_difference_implIS3_Lb1ELb0EPlSB_ZN2at6native12_GLOBAL__N_124unique_dim_cuda_templateIdEESt5tupleIJNSC_6TensorESH_SH_EERKSH_lbbbEUlllE1_EE10hipError_tPvRmT2_T3_mT4_P12ihipStream_tbEUlmE_lEESB_NS0_8identityIvEEEESM_SP_SQ_mSR_ST_bEUlT_E_NS1_11comp_targetILNS1_3genE3ELNS1_11target_archE908ELNS1_3gpuE7ELNS1_3repE0EEENS1_30default_config_static_selectorELNS0_4arch9wavefront6targetE1EEEvT1_,@function
_ZN7rocprim17ROCPRIM_400000_NS6detail17trampoline_kernelINS0_14default_configENS1_25transform_config_selectorIlLb0EEEZNS1_14transform_implILb0ES3_S5_NS0_18transform_iteratorINS0_17counting_iteratorImlEEZNS1_24adjacent_difference_implIS3_Lb1ELb0EPlSB_ZN2at6native12_GLOBAL__N_124unique_dim_cuda_templateIdEESt5tupleIJNSC_6TensorESH_SH_EERKSH_lbbbEUlllE1_EE10hipError_tPvRmT2_T3_mT4_P12ihipStream_tbEUlmE_lEESB_NS0_8identityIvEEEESM_SP_SQ_mSR_ST_bEUlT_E_NS1_11comp_targetILNS1_3genE3ELNS1_11target_archE908ELNS1_3gpuE7ELNS1_3repE0EEENS1_30default_config_static_selectorELNS0_4arch9wavefront6targetE1EEEvT1_: ; @_ZN7rocprim17ROCPRIM_400000_NS6detail17trampoline_kernelINS0_14default_configENS1_25transform_config_selectorIlLb0EEEZNS1_14transform_implILb0ES3_S5_NS0_18transform_iteratorINS0_17counting_iteratorImlEEZNS1_24adjacent_difference_implIS3_Lb1ELb0EPlSB_ZN2at6native12_GLOBAL__N_124unique_dim_cuda_templateIdEESt5tupleIJNSC_6TensorESH_SH_EERKSH_lbbbEUlllE1_EE10hipError_tPvRmT2_T3_mT4_P12ihipStream_tbEUlmE_lEESB_NS0_8identityIvEEEESM_SP_SQ_mSR_ST_bEUlT_E_NS1_11comp_targetILNS1_3genE3ELNS1_11target_archE908ELNS1_3gpuE7ELNS1_3repE0EEENS1_30default_config_static_selectorELNS0_4arch9wavefront6targetE1EEEvT1_
; %bb.0:
	.section	.rodata,"a",@progbits
	.p2align	6, 0x0
	.amdhsa_kernel _ZN7rocprim17ROCPRIM_400000_NS6detail17trampoline_kernelINS0_14default_configENS1_25transform_config_selectorIlLb0EEEZNS1_14transform_implILb0ES3_S5_NS0_18transform_iteratorINS0_17counting_iteratorImlEEZNS1_24adjacent_difference_implIS3_Lb1ELb0EPlSB_ZN2at6native12_GLOBAL__N_124unique_dim_cuda_templateIdEESt5tupleIJNSC_6TensorESH_SH_EERKSH_lbbbEUlllE1_EE10hipError_tPvRmT2_T3_mT4_P12ihipStream_tbEUlmE_lEESB_NS0_8identityIvEEEESM_SP_SQ_mSR_ST_bEUlT_E_NS1_11comp_targetILNS1_3genE3ELNS1_11target_archE908ELNS1_3gpuE7ELNS1_3repE0EEENS1_30default_config_static_selectorELNS0_4arch9wavefront6targetE1EEEvT1_
		.amdhsa_group_segment_fixed_size 0
		.amdhsa_private_segment_fixed_size 0
		.amdhsa_kernarg_size 56
		.amdhsa_user_sgpr_count 2
		.amdhsa_user_sgpr_dispatch_ptr 0
		.amdhsa_user_sgpr_queue_ptr 0
		.amdhsa_user_sgpr_kernarg_segment_ptr 1
		.amdhsa_user_sgpr_dispatch_id 0
		.amdhsa_user_sgpr_kernarg_preload_length 0
		.amdhsa_user_sgpr_kernarg_preload_offset 0
		.amdhsa_user_sgpr_private_segment_size 0
		.amdhsa_uses_dynamic_stack 0
		.amdhsa_enable_private_segment 0
		.amdhsa_system_sgpr_workgroup_id_x 1
		.amdhsa_system_sgpr_workgroup_id_y 0
		.amdhsa_system_sgpr_workgroup_id_z 0
		.amdhsa_system_sgpr_workgroup_info 0
		.amdhsa_system_vgpr_workitem_id 0
		.amdhsa_next_free_vgpr 1
		.amdhsa_next_free_sgpr 0
		.amdhsa_accum_offset 4
		.amdhsa_reserve_vcc 0
		.amdhsa_float_round_mode_32 0
		.amdhsa_float_round_mode_16_64 0
		.amdhsa_float_denorm_mode_32 3
		.amdhsa_float_denorm_mode_16_64 3
		.amdhsa_dx10_clamp 1
		.amdhsa_ieee_mode 1
		.amdhsa_fp16_overflow 0
		.amdhsa_tg_split 0
		.amdhsa_exception_fp_ieee_invalid_op 0
		.amdhsa_exception_fp_denorm_src 0
		.amdhsa_exception_fp_ieee_div_zero 0
		.amdhsa_exception_fp_ieee_overflow 0
		.amdhsa_exception_fp_ieee_underflow 0
		.amdhsa_exception_fp_ieee_inexact 0
		.amdhsa_exception_int_div_zero 0
	.end_amdhsa_kernel
	.section	.text._ZN7rocprim17ROCPRIM_400000_NS6detail17trampoline_kernelINS0_14default_configENS1_25transform_config_selectorIlLb0EEEZNS1_14transform_implILb0ES3_S5_NS0_18transform_iteratorINS0_17counting_iteratorImlEEZNS1_24adjacent_difference_implIS3_Lb1ELb0EPlSB_ZN2at6native12_GLOBAL__N_124unique_dim_cuda_templateIdEESt5tupleIJNSC_6TensorESH_SH_EERKSH_lbbbEUlllE1_EE10hipError_tPvRmT2_T3_mT4_P12ihipStream_tbEUlmE_lEESB_NS0_8identityIvEEEESM_SP_SQ_mSR_ST_bEUlT_E_NS1_11comp_targetILNS1_3genE3ELNS1_11target_archE908ELNS1_3gpuE7ELNS1_3repE0EEENS1_30default_config_static_selectorELNS0_4arch9wavefront6targetE1EEEvT1_,"axG",@progbits,_ZN7rocprim17ROCPRIM_400000_NS6detail17trampoline_kernelINS0_14default_configENS1_25transform_config_selectorIlLb0EEEZNS1_14transform_implILb0ES3_S5_NS0_18transform_iteratorINS0_17counting_iteratorImlEEZNS1_24adjacent_difference_implIS3_Lb1ELb0EPlSB_ZN2at6native12_GLOBAL__N_124unique_dim_cuda_templateIdEESt5tupleIJNSC_6TensorESH_SH_EERKSH_lbbbEUlllE1_EE10hipError_tPvRmT2_T3_mT4_P12ihipStream_tbEUlmE_lEESB_NS0_8identityIvEEEESM_SP_SQ_mSR_ST_bEUlT_E_NS1_11comp_targetILNS1_3genE3ELNS1_11target_archE908ELNS1_3gpuE7ELNS1_3repE0EEENS1_30default_config_static_selectorELNS0_4arch9wavefront6targetE1EEEvT1_,comdat
.Lfunc_end793:
	.size	_ZN7rocprim17ROCPRIM_400000_NS6detail17trampoline_kernelINS0_14default_configENS1_25transform_config_selectorIlLb0EEEZNS1_14transform_implILb0ES3_S5_NS0_18transform_iteratorINS0_17counting_iteratorImlEEZNS1_24adjacent_difference_implIS3_Lb1ELb0EPlSB_ZN2at6native12_GLOBAL__N_124unique_dim_cuda_templateIdEESt5tupleIJNSC_6TensorESH_SH_EERKSH_lbbbEUlllE1_EE10hipError_tPvRmT2_T3_mT4_P12ihipStream_tbEUlmE_lEESB_NS0_8identityIvEEEESM_SP_SQ_mSR_ST_bEUlT_E_NS1_11comp_targetILNS1_3genE3ELNS1_11target_archE908ELNS1_3gpuE7ELNS1_3repE0EEENS1_30default_config_static_selectorELNS0_4arch9wavefront6targetE1EEEvT1_, .Lfunc_end793-_ZN7rocprim17ROCPRIM_400000_NS6detail17trampoline_kernelINS0_14default_configENS1_25transform_config_selectorIlLb0EEEZNS1_14transform_implILb0ES3_S5_NS0_18transform_iteratorINS0_17counting_iteratorImlEEZNS1_24adjacent_difference_implIS3_Lb1ELb0EPlSB_ZN2at6native12_GLOBAL__N_124unique_dim_cuda_templateIdEESt5tupleIJNSC_6TensorESH_SH_EERKSH_lbbbEUlllE1_EE10hipError_tPvRmT2_T3_mT4_P12ihipStream_tbEUlmE_lEESB_NS0_8identityIvEEEESM_SP_SQ_mSR_ST_bEUlT_E_NS1_11comp_targetILNS1_3genE3ELNS1_11target_archE908ELNS1_3gpuE7ELNS1_3repE0EEENS1_30default_config_static_selectorELNS0_4arch9wavefront6targetE1EEEvT1_
                                        ; -- End function
	.set _ZN7rocprim17ROCPRIM_400000_NS6detail17trampoline_kernelINS0_14default_configENS1_25transform_config_selectorIlLb0EEEZNS1_14transform_implILb0ES3_S5_NS0_18transform_iteratorINS0_17counting_iteratorImlEEZNS1_24adjacent_difference_implIS3_Lb1ELb0EPlSB_ZN2at6native12_GLOBAL__N_124unique_dim_cuda_templateIdEESt5tupleIJNSC_6TensorESH_SH_EERKSH_lbbbEUlllE1_EE10hipError_tPvRmT2_T3_mT4_P12ihipStream_tbEUlmE_lEESB_NS0_8identityIvEEEESM_SP_SQ_mSR_ST_bEUlT_E_NS1_11comp_targetILNS1_3genE3ELNS1_11target_archE908ELNS1_3gpuE7ELNS1_3repE0EEENS1_30default_config_static_selectorELNS0_4arch9wavefront6targetE1EEEvT1_.num_vgpr, 0
	.set _ZN7rocprim17ROCPRIM_400000_NS6detail17trampoline_kernelINS0_14default_configENS1_25transform_config_selectorIlLb0EEEZNS1_14transform_implILb0ES3_S5_NS0_18transform_iteratorINS0_17counting_iteratorImlEEZNS1_24adjacent_difference_implIS3_Lb1ELb0EPlSB_ZN2at6native12_GLOBAL__N_124unique_dim_cuda_templateIdEESt5tupleIJNSC_6TensorESH_SH_EERKSH_lbbbEUlllE1_EE10hipError_tPvRmT2_T3_mT4_P12ihipStream_tbEUlmE_lEESB_NS0_8identityIvEEEESM_SP_SQ_mSR_ST_bEUlT_E_NS1_11comp_targetILNS1_3genE3ELNS1_11target_archE908ELNS1_3gpuE7ELNS1_3repE0EEENS1_30default_config_static_selectorELNS0_4arch9wavefront6targetE1EEEvT1_.num_agpr, 0
	.set _ZN7rocprim17ROCPRIM_400000_NS6detail17trampoline_kernelINS0_14default_configENS1_25transform_config_selectorIlLb0EEEZNS1_14transform_implILb0ES3_S5_NS0_18transform_iteratorINS0_17counting_iteratorImlEEZNS1_24adjacent_difference_implIS3_Lb1ELb0EPlSB_ZN2at6native12_GLOBAL__N_124unique_dim_cuda_templateIdEESt5tupleIJNSC_6TensorESH_SH_EERKSH_lbbbEUlllE1_EE10hipError_tPvRmT2_T3_mT4_P12ihipStream_tbEUlmE_lEESB_NS0_8identityIvEEEESM_SP_SQ_mSR_ST_bEUlT_E_NS1_11comp_targetILNS1_3genE3ELNS1_11target_archE908ELNS1_3gpuE7ELNS1_3repE0EEENS1_30default_config_static_selectorELNS0_4arch9wavefront6targetE1EEEvT1_.numbered_sgpr, 0
	.set _ZN7rocprim17ROCPRIM_400000_NS6detail17trampoline_kernelINS0_14default_configENS1_25transform_config_selectorIlLb0EEEZNS1_14transform_implILb0ES3_S5_NS0_18transform_iteratorINS0_17counting_iteratorImlEEZNS1_24adjacent_difference_implIS3_Lb1ELb0EPlSB_ZN2at6native12_GLOBAL__N_124unique_dim_cuda_templateIdEESt5tupleIJNSC_6TensorESH_SH_EERKSH_lbbbEUlllE1_EE10hipError_tPvRmT2_T3_mT4_P12ihipStream_tbEUlmE_lEESB_NS0_8identityIvEEEESM_SP_SQ_mSR_ST_bEUlT_E_NS1_11comp_targetILNS1_3genE3ELNS1_11target_archE908ELNS1_3gpuE7ELNS1_3repE0EEENS1_30default_config_static_selectorELNS0_4arch9wavefront6targetE1EEEvT1_.num_named_barrier, 0
	.set _ZN7rocprim17ROCPRIM_400000_NS6detail17trampoline_kernelINS0_14default_configENS1_25transform_config_selectorIlLb0EEEZNS1_14transform_implILb0ES3_S5_NS0_18transform_iteratorINS0_17counting_iteratorImlEEZNS1_24adjacent_difference_implIS3_Lb1ELb0EPlSB_ZN2at6native12_GLOBAL__N_124unique_dim_cuda_templateIdEESt5tupleIJNSC_6TensorESH_SH_EERKSH_lbbbEUlllE1_EE10hipError_tPvRmT2_T3_mT4_P12ihipStream_tbEUlmE_lEESB_NS0_8identityIvEEEESM_SP_SQ_mSR_ST_bEUlT_E_NS1_11comp_targetILNS1_3genE3ELNS1_11target_archE908ELNS1_3gpuE7ELNS1_3repE0EEENS1_30default_config_static_selectorELNS0_4arch9wavefront6targetE1EEEvT1_.private_seg_size, 0
	.set _ZN7rocprim17ROCPRIM_400000_NS6detail17trampoline_kernelINS0_14default_configENS1_25transform_config_selectorIlLb0EEEZNS1_14transform_implILb0ES3_S5_NS0_18transform_iteratorINS0_17counting_iteratorImlEEZNS1_24adjacent_difference_implIS3_Lb1ELb0EPlSB_ZN2at6native12_GLOBAL__N_124unique_dim_cuda_templateIdEESt5tupleIJNSC_6TensorESH_SH_EERKSH_lbbbEUlllE1_EE10hipError_tPvRmT2_T3_mT4_P12ihipStream_tbEUlmE_lEESB_NS0_8identityIvEEEESM_SP_SQ_mSR_ST_bEUlT_E_NS1_11comp_targetILNS1_3genE3ELNS1_11target_archE908ELNS1_3gpuE7ELNS1_3repE0EEENS1_30default_config_static_selectorELNS0_4arch9wavefront6targetE1EEEvT1_.uses_vcc, 0
	.set _ZN7rocprim17ROCPRIM_400000_NS6detail17trampoline_kernelINS0_14default_configENS1_25transform_config_selectorIlLb0EEEZNS1_14transform_implILb0ES3_S5_NS0_18transform_iteratorINS0_17counting_iteratorImlEEZNS1_24adjacent_difference_implIS3_Lb1ELb0EPlSB_ZN2at6native12_GLOBAL__N_124unique_dim_cuda_templateIdEESt5tupleIJNSC_6TensorESH_SH_EERKSH_lbbbEUlllE1_EE10hipError_tPvRmT2_T3_mT4_P12ihipStream_tbEUlmE_lEESB_NS0_8identityIvEEEESM_SP_SQ_mSR_ST_bEUlT_E_NS1_11comp_targetILNS1_3genE3ELNS1_11target_archE908ELNS1_3gpuE7ELNS1_3repE0EEENS1_30default_config_static_selectorELNS0_4arch9wavefront6targetE1EEEvT1_.uses_flat_scratch, 0
	.set _ZN7rocprim17ROCPRIM_400000_NS6detail17trampoline_kernelINS0_14default_configENS1_25transform_config_selectorIlLb0EEEZNS1_14transform_implILb0ES3_S5_NS0_18transform_iteratorINS0_17counting_iteratorImlEEZNS1_24adjacent_difference_implIS3_Lb1ELb0EPlSB_ZN2at6native12_GLOBAL__N_124unique_dim_cuda_templateIdEESt5tupleIJNSC_6TensorESH_SH_EERKSH_lbbbEUlllE1_EE10hipError_tPvRmT2_T3_mT4_P12ihipStream_tbEUlmE_lEESB_NS0_8identityIvEEEESM_SP_SQ_mSR_ST_bEUlT_E_NS1_11comp_targetILNS1_3genE3ELNS1_11target_archE908ELNS1_3gpuE7ELNS1_3repE0EEENS1_30default_config_static_selectorELNS0_4arch9wavefront6targetE1EEEvT1_.has_dyn_sized_stack, 0
	.set _ZN7rocprim17ROCPRIM_400000_NS6detail17trampoline_kernelINS0_14default_configENS1_25transform_config_selectorIlLb0EEEZNS1_14transform_implILb0ES3_S5_NS0_18transform_iteratorINS0_17counting_iteratorImlEEZNS1_24adjacent_difference_implIS3_Lb1ELb0EPlSB_ZN2at6native12_GLOBAL__N_124unique_dim_cuda_templateIdEESt5tupleIJNSC_6TensorESH_SH_EERKSH_lbbbEUlllE1_EE10hipError_tPvRmT2_T3_mT4_P12ihipStream_tbEUlmE_lEESB_NS0_8identityIvEEEESM_SP_SQ_mSR_ST_bEUlT_E_NS1_11comp_targetILNS1_3genE3ELNS1_11target_archE908ELNS1_3gpuE7ELNS1_3repE0EEENS1_30default_config_static_selectorELNS0_4arch9wavefront6targetE1EEEvT1_.has_recursion, 0
	.set _ZN7rocprim17ROCPRIM_400000_NS6detail17trampoline_kernelINS0_14default_configENS1_25transform_config_selectorIlLb0EEEZNS1_14transform_implILb0ES3_S5_NS0_18transform_iteratorINS0_17counting_iteratorImlEEZNS1_24adjacent_difference_implIS3_Lb1ELb0EPlSB_ZN2at6native12_GLOBAL__N_124unique_dim_cuda_templateIdEESt5tupleIJNSC_6TensorESH_SH_EERKSH_lbbbEUlllE1_EE10hipError_tPvRmT2_T3_mT4_P12ihipStream_tbEUlmE_lEESB_NS0_8identityIvEEEESM_SP_SQ_mSR_ST_bEUlT_E_NS1_11comp_targetILNS1_3genE3ELNS1_11target_archE908ELNS1_3gpuE7ELNS1_3repE0EEENS1_30default_config_static_selectorELNS0_4arch9wavefront6targetE1EEEvT1_.has_indirect_call, 0
	.section	.AMDGPU.csdata,"",@progbits
; Kernel info:
; codeLenInByte = 0
; TotalNumSgprs: 6
; NumVgprs: 0
; NumAgprs: 0
; TotalNumVgprs: 0
; ScratchSize: 0
; MemoryBound: 0
; FloatMode: 240
; IeeeMode: 1
; LDSByteSize: 0 bytes/workgroup (compile time only)
; SGPRBlocks: 0
; VGPRBlocks: 0
; NumSGPRsForWavesPerEU: 6
; NumVGPRsForWavesPerEU: 1
; AccumOffset: 4
; Occupancy: 8
; WaveLimiterHint : 0
; COMPUTE_PGM_RSRC2:SCRATCH_EN: 0
; COMPUTE_PGM_RSRC2:USER_SGPR: 2
; COMPUTE_PGM_RSRC2:TRAP_HANDLER: 0
; COMPUTE_PGM_RSRC2:TGID_X_EN: 1
; COMPUTE_PGM_RSRC2:TGID_Y_EN: 0
; COMPUTE_PGM_RSRC2:TGID_Z_EN: 0
; COMPUTE_PGM_RSRC2:TIDIG_COMP_CNT: 0
; COMPUTE_PGM_RSRC3_GFX90A:ACCUM_OFFSET: 0
; COMPUTE_PGM_RSRC3_GFX90A:TG_SPLIT: 0
	.section	.text._ZN7rocprim17ROCPRIM_400000_NS6detail17trampoline_kernelINS0_14default_configENS1_25transform_config_selectorIlLb0EEEZNS1_14transform_implILb0ES3_S5_NS0_18transform_iteratorINS0_17counting_iteratorImlEEZNS1_24adjacent_difference_implIS3_Lb1ELb0EPlSB_ZN2at6native12_GLOBAL__N_124unique_dim_cuda_templateIdEESt5tupleIJNSC_6TensorESH_SH_EERKSH_lbbbEUlllE1_EE10hipError_tPvRmT2_T3_mT4_P12ihipStream_tbEUlmE_lEESB_NS0_8identityIvEEEESM_SP_SQ_mSR_ST_bEUlT_E_NS1_11comp_targetILNS1_3genE2ELNS1_11target_archE906ELNS1_3gpuE6ELNS1_3repE0EEENS1_30default_config_static_selectorELNS0_4arch9wavefront6targetE1EEEvT1_,"axG",@progbits,_ZN7rocprim17ROCPRIM_400000_NS6detail17trampoline_kernelINS0_14default_configENS1_25transform_config_selectorIlLb0EEEZNS1_14transform_implILb0ES3_S5_NS0_18transform_iteratorINS0_17counting_iteratorImlEEZNS1_24adjacent_difference_implIS3_Lb1ELb0EPlSB_ZN2at6native12_GLOBAL__N_124unique_dim_cuda_templateIdEESt5tupleIJNSC_6TensorESH_SH_EERKSH_lbbbEUlllE1_EE10hipError_tPvRmT2_T3_mT4_P12ihipStream_tbEUlmE_lEESB_NS0_8identityIvEEEESM_SP_SQ_mSR_ST_bEUlT_E_NS1_11comp_targetILNS1_3genE2ELNS1_11target_archE906ELNS1_3gpuE6ELNS1_3repE0EEENS1_30default_config_static_selectorELNS0_4arch9wavefront6targetE1EEEvT1_,comdat
	.globl	_ZN7rocprim17ROCPRIM_400000_NS6detail17trampoline_kernelINS0_14default_configENS1_25transform_config_selectorIlLb0EEEZNS1_14transform_implILb0ES3_S5_NS0_18transform_iteratorINS0_17counting_iteratorImlEEZNS1_24adjacent_difference_implIS3_Lb1ELb0EPlSB_ZN2at6native12_GLOBAL__N_124unique_dim_cuda_templateIdEESt5tupleIJNSC_6TensorESH_SH_EERKSH_lbbbEUlllE1_EE10hipError_tPvRmT2_T3_mT4_P12ihipStream_tbEUlmE_lEESB_NS0_8identityIvEEEESM_SP_SQ_mSR_ST_bEUlT_E_NS1_11comp_targetILNS1_3genE2ELNS1_11target_archE906ELNS1_3gpuE6ELNS1_3repE0EEENS1_30default_config_static_selectorELNS0_4arch9wavefront6targetE1EEEvT1_ ; -- Begin function _ZN7rocprim17ROCPRIM_400000_NS6detail17trampoline_kernelINS0_14default_configENS1_25transform_config_selectorIlLb0EEEZNS1_14transform_implILb0ES3_S5_NS0_18transform_iteratorINS0_17counting_iteratorImlEEZNS1_24adjacent_difference_implIS3_Lb1ELb0EPlSB_ZN2at6native12_GLOBAL__N_124unique_dim_cuda_templateIdEESt5tupleIJNSC_6TensorESH_SH_EERKSH_lbbbEUlllE1_EE10hipError_tPvRmT2_T3_mT4_P12ihipStream_tbEUlmE_lEESB_NS0_8identityIvEEEESM_SP_SQ_mSR_ST_bEUlT_E_NS1_11comp_targetILNS1_3genE2ELNS1_11target_archE906ELNS1_3gpuE6ELNS1_3repE0EEENS1_30default_config_static_selectorELNS0_4arch9wavefront6targetE1EEEvT1_
	.p2align	8
	.type	_ZN7rocprim17ROCPRIM_400000_NS6detail17trampoline_kernelINS0_14default_configENS1_25transform_config_selectorIlLb0EEEZNS1_14transform_implILb0ES3_S5_NS0_18transform_iteratorINS0_17counting_iteratorImlEEZNS1_24adjacent_difference_implIS3_Lb1ELb0EPlSB_ZN2at6native12_GLOBAL__N_124unique_dim_cuda_templateIdEESt5tupleIJNSC_6TensorESH_SH_EERKSH_lbbbEUlllE1_EE10hipError_tPvRmT2_T3_mT4_P12ihipStream_tbEUlmE_lEESB_NS0_8identityIvEEEESM_SP_SQ_mSR_ST_bEUlT_E_NS1_11comp_targetILNS1_3genE2ELNS1_11target_archE906ELNS1_3gpuE6ELNS1_3repE0EEENS1_30default_config_static_selectorELNS0_4arch9wavefront6targetE1EEEvT1_,@function
_ZN7rocprim17ROCPRIM_400000_NS6detail17trampoline_kernelINS0_14default_configENS1_25transform_config_selectorIlLb0EEEZNS1_14transform_implILb0ES3_S5_NS0_18transform_iteratorINS0_17counting_iteratorImlEEZNS1_24adjacent_difference_implIS3_Lb1ELb0EPlSB_ZN2at6native12_GLOBAL__N_124unique_dim_cuda_templateIdEESt5tupleIJNSC_6TensorESH_SH_EERKSH_lbbbEUlllE1_EE10hipError_tPvRmT2_T3_mT4_P12ihipStream_tbEUlmE_lEESB_NS0_8identityIvEEEESM_SP_SQ_mSR_ST_bEUlT_E_NS1_11comp_targetILNS1_3genE2ELNS1_11target_archE906ELNS1_3gpuE6ELNS1_3repE0EEENS1_30default_config_static_selectorELNS0_4arch9wavefront6targetE1EEEvT1_: ; @_ZN7rocprim17ROCPRIM_400000_NS6detail17trampoline_kernelINS0_14default_configENS1_25transform_config_selectorIlLb0EEEZNS1_14transform_implILb0ES3_S5_NS0_18transform_iteratorINS0_17counting_iteratorImlEEZNS1_24adjacent_difference_implIS3_Lb1ELb0EPlSB_ZN2at6native12_GLOBAL__N_124unique_dim_cuda_templateIdEESt5tupleIJNSC_6TensorESH_SH_EERKSH_lbbbEUlllE1_EE10hipError_tPvRmT2_T3_mT4_P12ihipStream_tbEUlmE_lEESB_NS0_8identityIvEEEESM_SP_SQ_mSR_ST_bEUlT_E_NS1_11comp_targetILNS1_3genE2ELNS1_11target_archE906ELNS1_3gpuE6ELNS1_3repE0EEENS1_30default_config_static_selectorELNS0_4arch9wavefront6targetE1EEEvT1_
; %bb.0:
	.section	.rodata,"a",@progbits
	.p2align	6, 0x0
	.amdhsa_kernel _ZN7rocprim17ROCPRIM_400000_NS6detail17trampoline_kernelINS0_14default_configENS1_25transform_config_selectorIlLb0EEEZNS1_14transform_implILb0ES3_S5_NS0_18transform_iteratorINS0_17counting_iteratorImlEEZNS1_24adjacent_difference_implIS3_Lb1ELb0EPlSB_ZN2at6native12_GLOBAL__N_124unique_dim_cuda_templateIdEESt5tupleIJNSC_6TensorESH_SH_EERKSH_lbbbEUlllE1_EE10hipError_tPvRmT2_T3_mT4_P12ihipStream_tbEUlmE_lEESB_NS0_8identityIvEEEESM_SP_SQ_mSR_ST_bEUlT_E_NS1_11comp_targetILNS1_3genE2ELNS1_11target_archE906ELNS1_3gpuE6ELNS1_3repE0EEENS1_30default_config_static_selectorELNS0_4arch9wavefront6targetE1EEEvT1_
		.amdhsa_group_segment_fixed_size 0
		.amdhsa_private_segment_fixed_size 0
		.amdhsa_kernarg_size 56
		.amdhsa_user_sgpr_count 2
		.amdhsa_user_sgpr_dispatch_ptr 0
		.amdhsa_user_sgpr_queue_ptr 0
		.amdhsa_user_sgpr_kernarg_segment_ptr 1
		.amdhsa_user_sgpr_dispatch_id 0
		.amdhsa_user_sgpr_kernarg_preload_length 0
		.amdhsa_user_sgpr_kernarg_preload_offset 0
		.amdhsa_user_sgpr_private_segment_size 0
		.amdhsa_uses_dynamic_stack 0
		.amdhsa_enable_private_segment 0
		.amdhsa_system_sgpr_workgroup_id_x 1
		.amdhsa_system_sgpr_workgroup_id_y 0
		.amdhsa_system_sgpr_workgroup_id_z 0
		.amdhsa_system_sgpr_workgroup_info 0
		.amdhsa_system_vgpr_workitem_id 0
		.amdhsa_next_free_vgpr 1
		.amdhsa_next_free_sgpr 0
		.amdhsa_accum_offset 4
		.amdhsa_reserve_vcc 0
		.amdhsa_float_round_mode_32 0
		.amdhsa_float_round_mode_16_64 0
		.amdhsa_float_denorm_mode_32 3
		.amdhsa_float_denorm_mode_16_64 3
		.amdhsa_dx10_clamp 1
		.amdhsa_ieee_mode 1
		.amdhsa_fp16_overflow 0
		.amdhsa_tg_split 0
		.amdhsa_exception_fp_ieee_invalid_op 0
		.amdhsa_exception_fp_denorm_src 0
		.amdhsa_exception_fp_ieee_div_zero 0
		.amdhsa_exception_fp_ieee_overflow 0
		.amdhsa_exception_fp_ieee_underflow 0
		.amdhsa_exception_fp_ieee_inexact 0
		.amdhsa_exception_int_div_zero 0
	.end_amdhsa_kernel
	.section	.text._ZN7rocprim17ROCPRIM_400000_NS6detail17trampoline_kernelINS0_14default_configENS1_25transform_config_selectorIlLb0EEEZNS1_14transform_implILb0ES3_S5_NS0_18transform_iteratorINS0_17counting_iteratorImlEEZNS1_24adjacent_difference_implIS3_Lb1ELb0EPlSB_ZN2at6native12_GLOBAL__N_124unique_dim_cuda_templateIdEESt5tupleIJNSC_6TensorESH_SH_EERKSH_lbbbEUlllE1_EE10hipError_tPvRmT2_T3_mT4_P12ihipStream_tbEUlmE_lEESB_NS0_8identityIvEEEESM_SP_SQ_mSR_ST_bEUlT_E_NS1_11comp_targetILNS1_3genE2ELNS1_11target_archE906ELNS1_3gpuE6ELNS1_3repE0EEENS1_30default_config_static_selectorELNS0_4arch9wavefront6targetE1EEEvT1_,"axG",@progbits,_ZN7rocprim17ROCPRIM_400000_NS6detail17trampoline_kernelINS0_14default_configENS1_25transform_config_selectorIlLb0EEEZNS1_14transform_implILb0ES3_S5_NS0_18transform_iteratorINS0_17counting_iteratorImlEEZNS1_24adjacent_difference_implIS3_Lb1ELb0EPlSB_ZN2at6native12_GLOBAL__N_124unique_dim_cuda_templateIdEESt5tupleIJNSC_6TensorESH_SH_EERKSH_lbbbEUlllE1_EE10hipError_tPvRmT2_T3_mT4_P12ihipStream_tbEUlmE_lEESB_NS0_8identityIvEEEESM_SP_SQ_mSR_ST_bEUlT_E_NS1_11comp_targetILNS1_3genE2ELNS1_11target_archE906ELNS1_3gpuE6ELNS1_3repE0EEENS1_30default_config_static_selectorELNS0_4arch9wavefront6targetE1EEEvT1_,comdat
.Lfunc_end794:
	.size	_ZN7rocprim17ROCPRIM_400000_NS6detail17trampoline_kernelINS0_14default_configENS1_25transform_config_selectorIlLb0EEEZNS1_14transform_implILb0ES3_S5_NS0_18transform_iteratorINS0_17counting_iteratorImlEEZNS1_24adjacent_difference_implIS3_Lb1ELb0EPlSB_ZN2at6native12_GLOBAL__N_124unique_dim_cuda_templateIdEESt5tupleIJNSC_6TensorESH_SH_EERKSH_lbbbEUlllE1_EE10hipError_tPvRmT2_T3_mT4_P12ihipStream_tbEUlmE_lEESB_NS0_8identityIvEEEESM_SP_SQ_mSR_ST_bEUlT_E_NS1_11comp_targetILNS1_3genE2ELNS1_11target_archE906ELNS1_3gpuE6ELNS1_3repE0EEENS1_30default_config_static_selectorELNS0_4arch9wavefront6targetE1EEEvT1_, .Lfunc_end794-_ZN7rocprim17ROCPRIM_400000_NS6detail17trampoline_kernelINS0_14default_configENS1_25transform_config_selectorIlLb0EEEZNS1_14transform_implILb0ES3_S5_NS0_18transform_iteratorINS0_17counting_iteratorImlEEZNS1_24adjacent_difference_implIS3_Lb1ELb0EPlSB_ZN2at6native12_GLOBAL__N_124unique_dim_cuda_templateIdEESt5tupleIJNSC_6TensorESH_SH_EERKSH_lbbbEUlllE1_EE10hipError_tPvRmT2_T3_mT4_P12ihipStream_tbEUlmE_lEESB_NS0_8identityIvEEEESM_SP_SQ_mSR_ST_bEUlT_E_NS1_11comp_targetILNS1_3genE2ELNS1_11target_archE906ELNS1_3gpuE6ELNS1_3repE0EEENS1_30default_config_static_selectorELNS0_4arch9wavefront6targetE1EEEvT1_
                                        ; -- End function
	.set _ZN7rocprim17ROCPRIM_400000_NS6detail17trampoline_kernelINS0_14default_configENS1_25transform_config_selectorIlLb0EEEZNS1_14transform_implILb0ES3_S5_NS0_18transform_iteratorINS0_17counting_iteratorImlEEZNS1_24adjacent_difference_implIS3_Lb1ELb0EPlSB_ZN2at6native12_GLOBAL__N_124unique_dim_cuda_templateIdEESt5tupleIJNSC_6TensorESH_SH_EERKSH_lbbbEUlllE1_EE10hipError_tPvRmT2_T3_mT4_P12ihipStream_tbEUlmE_lEESB_NS0_8identityIvEEEESM_SP_SQ_mSR_ST_bEUlT_E_NS1_11comp_targetILNS1_3genE2ELNS1_11target_archE906ELNS1_3gpuE6ELNS1_3repE0EEENS1_30default_config_static_selectorELNS0_4arch9wavefront6targetE1EEEvT1_.num_vgpr, 0
	.set _ZN7rocprim17ROCPRIM_400000_NS6detail17trampoline_kernelINS0_14default_configENS1_25transform_config_selectorIlLb0EEEZNS1_14transform_implILb0ES3_S5_NS0_18transform_iteratorINS0_17counting_iteratorImlEEZNS1_24adjacent_difference_implIS3_Lb1ELb0EPlSB_ZN2at6native12_GLOBAL__N_124unique_dim_cuda_templateIdEESt5tupleIJNSC_6TensorESH_SH_EERKSH_lbbbEUlllE1_EE10hipError_tPvRmT2_T3_mT4_P12ihipStream_tbEUlmE_lEESB_NS0_8identityIvEEEESM_SP_SQ_mSR_ST_bEUlT_E_NS1_11comp_targetILNS1_3genE2ELNS1_11target_archE906ELNS1_3gpuE6ELNS1_3repE0EEENS1_30default_config_static_selectorELNS0_4arch9wavefront6targetE1EEEvT1_.num_agpr, 0
	.set _ZN7rocprim17ROCPRIM_400000_NS6detail17trampoline_kernelINS0_14default_configENS1_25transform_config_selectorIlLb0EEEZNS1_14transform_implILb0ES3_S5_NS0_18transform_iteratorINS0_17counting_iteratorImlEEZNS1_24adjacent_difference_implIS3_Lb1ELb0EPlSB_ZN2at6native12_GLOBAL__N_124unique_dim_cuda_templateIdEESt5tupleIJNSC_6TensorESH_SH_EERKSH_lbbbEUlllE1_EE10hipError_tPvRmT2_T3_mT4_P12ihipStream_tbEUlmE_lEESB_NS0_8identityIvEEEESM_SP_SQ_mSR_ST_bEUlT_E_NS1_11comp_targetILNS1_3genE2ELNS1_11target_archE906ELNS1_3gpuE6ELNS1_3repE0EEENS1_30default_config_static_selectorELNS0_4arch9wavefront6targetE1EEEvT1_.numbered_sgpr, 0
	.set _ZN7rocprim17ROCPRIM_400000_NS6detail17trampoline_kernelINS0_14default_configENS1_25transform_config_selectorIlLb0EEEZNS1_14transform_implILb0ES3_S5_NS0_18transform_iteratorINS0_17counting_iteratorImlEEZNS1_24adjacent_difference_implIS3_Lb1ELb0EPlSB_ZN2at6native12_GLOBAL__N_124unique_dim_cuda_templateIdEESt5tupleIJNSC_6TensorESH_SH_EERKSH_lbbbEUlllE1_EE10hipError_tPvRmT2_T3_mT4_P12ihipStream_tbEUlmE_lEESB_NS0_8identityIvEEEESM_SP_SQ_mSR_ST_bEUlT_E_NS1_11comp_targetILNS1_3genE2ELNS1_11target_archE906ELNS1_3gpuE6ELNS1_3repE0EEENS1_30default_config_static_selectorELNS0_4arch9wavefront6targetE1EEEvT1_.num_named_barrier, 0
	.set _ZN7rocprim17ROCPRIM_400000_NS6detail17trampoline_kernelINS0_14default_configENS1_25transform_config_selectorIlLb0EEEZNS1_14transform_implILb0ES3_S5_NS0_18transform_iteratorINS0_17counting_iteratorImlEEZNS1_24adjacent_difference_implIS3_Lb1ELb0EPlSB_ZN2at6native12_GLOBAL__N_124unique_dim_cuda_templateIdEESt5tupleIJNSC_6TensorESH_SH_EERKSH_lbbbEUlllE1_EE10hipError_tPvRmT2_T3_mT4_P12ihipStream_tbEUlmE_lEESB_NS0_8identityIvEEEESM_SP_SQ_mSR_ST_bEUlT_E_NS1_11comp_targetILNS1_3genE2ELNS1_11target_archE906ELNS1_3gpuE6ELNS1_3repE0EEENS1_30default_config_static_selectorELNS0_4arch9wavefront6targetE1EEEvT1_.private_seg_size, 0
	.set _ZN7rocprim17ROCPRIM_400000_NS6detail17trampoline_kernelINS0_14default_configENS1_25transform_config_selectorIlLb0EEEZNS1_14transform_implILb0ES3_S5_NS0_18transform_iteratorINS0_17counting_iteratorImlEEZNS1_24adjacent_difference_implIS3_Lb1ELb0EPlSB_ZN2at6native12_GLOBAL__N_124unique_dim_cuda_templateIdEESt5tupleIJNSC_6TensorESH_SH_EERKSH_lbbbEUlllE1_EE10hipError_tPvRmT2_T3_mT4_P12ihipStream_tbEUlmE_lEESB_NS0_8identityIvEEEESM_SP_SQ_mSR_ST_bEUlT_E_NS1_11comp_targetILNS1_3genE2ELNS1_11target_archE906ELNS1_3gpuE6ELNS1_3repE0EEENS1_30default_config_static_selectorELNS0_4arch9wavefront6targetE1EEEvT1_.uses_vcc, 0
	.set _ZN7rocprim17ROCPRIM_400000_NS6detail17trampoline_kernelINS0_14default_configENS1_25transform_config_selectorIlLb0EEEZNS1_14transform_implILb0ES3_S5_NS0_18transform_iteratorINS0_17counting_iteratorImlEEZNS1_24adjacent_difference_implIS3_Lb1ELb0EPlSB_ZN2at6native12_GLOBAL__N_124unique_dim_cuda_templateIdEESt5tupleIJNSC_6TensorESH_SH_EERKSH_lbbbEUlllE1_EE10hipError_tPvRmT2_T3_mT4_P12ihipStream_tbEUlmE_lEESB_NS0_8identityIvEEEESM_SP_SQ_mSR_ST_bEUlT_E_NS1_11comp_targetILNS1_3genE2ELNS1_11target_archE906ELNS1_3gpuE6ELNS1_3repE0EEENS1_30default_config_static_selectorELNS0_4arch9wavefront6targetE1EEEvT1_.uses_flat_scratch, 0
	.set _ZN7rocprim17ROCPRIM_400000_NS6detail17trampoline_kernelINS0_14default_configENS1_25transform_config_selectorIlLb0EEEZNS1_14transform_implILb0ES3_S5_NS0_18transform_iteratorINS0_17counting_iteratorImlEEZNS1_24adjacent_difference_implIS3_Lb1ELb0EPlSB_ZN2at6native12_GLOBAL__N_124unique_dim_cuda_templateIdEESt5tupleIJNSC_6TensorESH_SH_EERKSH_lbbbEUlllE1_EE10hipError_tPvRmT2_T3_mT4_P12ihipStream_tbEUlmE_lEESB_NS0_8identityIvEEEESM_SP_SQ_mSR_ST_bEUlT_E_NS1_11comp_targetILNS1_3genE2ELNS1_11target_archE906ELNS1_3gpuE6ELNS1_3repE0EEENS1_30default_config_static_selectorELNS0_4arch9wavefront6targetE1EEEvT1_.has_dyn_sized_stack, 0
	.set _ZN7rocprim17ROCPRIM_400000_NS6detail17trampoline_kernelINS0_14default_configENS1_25transform_config_selectorIlLb0EEEZNS1_14transform_implILb0ES3_S5_NS0_18transform_iteratorINS0_17counting_iteratorImlEEZNS1_24adjacent_difference_implIS3_Lb1ELb0EPlSB_ZN2at6native12_GLOBAL__N_124unique_dim_cuda_templateIdEESt5tupleIJNSC_6TensorESH_SH_EERKSH_lbbbEUlllE1_EE10hipError_tPvRmT2_T3_mT4_P12ihipStream_tbEUlmE_lEESB_NS0_8identityIvEEEESM_SP_SQ_mSR_ST_bEUlT_E_NS1_11comp_targetILNS1_3genE2ELNS1_11target_archE906ELNS1_3gpuE6ELNS1_3repE0EEENS1_30default_config_static_selectorELNS0_4arch9wavefront6targetE1EEEvT1_.has_recursion, 0
	.set _ZN7rocprim17ROCPRIM_400000_NS6detail17trampoline_kernelINS0_14default_configENS1_25transform_config_selectorIlLb0EEEZNS1_14transform_implILb0ES3_S5_NS0_18transform_iteratorINS0_17counting_iteratorImlEEZNS1_24adjacent_difference_implIS3_Lb1ELb0EPlSB_ZN2at6native12_GLOBAL__N_124unique_dim_cuda_templateIdEESt5tupleIJNSC_6TensorESH_SH_EERKSH_lbbbEUlllE1_EE10hipError_tPvRmT2_T3_mT4_P12ihipStream_tbEUlmE_lEESB_NS0_8identityIvEEEESM_SP_SQ_mSR_ST_bEUlT_E_NS1_11comp_targetILNS1_3genE2ELNS1_11target_archE906ELNS1_3gpuE6ELNS1_3repE0EEENS1_30default_config_static_selectorELNS0_4arch9wavefront6targetE1EEEvT1_.has_indirect_call, 0
	.section	.AMDGPU.csdata,"",@progbits
; Kernel info:
; codeLenInByte = 0
; TotalNumSgprs: 6
; NumVgprs: 0
; NumAgprs: 0
; TotalNumVgprs: 0
; ScratchSize: 0
; MemoryBound: 0
; FloatMode: 240
; IeeeMode: 1
; LDSByteSize: 0 bytes/workgroup (compile time only)
; SGPRBlocks: 0
; VGPRBlocks: 0
; NumSGPRsForWavesPerEU: 6
; NumVGPRsForWavesPerEU: 1
; AccumOffset: 4
; Occupancy: 8
; WaveLimiterHint : 0
; COMPUTE_PGM_RSRC2:SCRATCH_EN: 0
; COMPUTE_PGM_RSRC2:USER_SGPR: 2
; COMPUTE_PGM_RSRC2:TRAP_HANDLER: 0
; COMPUTE_PGM_RSRC2:TGID_X_EN: 1
; COMPUTE_PGM_RSRC2:TGID_Y_EN: 0
; COMPUTE_PGM_RSRC2:TGID_Z_EN: 0
; COMPUTE_PGM_RSRC2:TIDIG_COMP_CNT: 0
; COMPUTE_PGM_RSRC3_GFX90A:ACCUM_OFFSET: 0
; COMPUTE_PGM_RSRC3_GFX90A:TG_SPLIT: 0
	.section	.text._ZN7rocprim17ROCPRIM_400000_NS6detail17trampoline_kernelINS0_14default_configENS1_25transform_config_selectorIlLb0EEEZNS1_14transform_implILb0ES3_S5_NS0_18transform_iteratorINS0_17counting_iteratorImlEEZNS1_24adjacent_difference_implIS3_Lb1ELb0EPlSB_ZN2at6native12_GLOBAL__N_124unique_dim_cuda_templateIdEESt5tupleIJNSC_6TensorESH_SH_EERKSH_lbbbEUlllE1_EE10hipError_tPvRmT2_T3_mT4_P12ihipStream_tbEUlmE_lEESB_NS0_8identityIvEEEESM_SP_SQ_mSR_ST_bEUlT_E_NS1_11comp_targetILNS1_3genE10ELNS1_11target_archE1201ELNS1_3gpuE5ELNS1_3repE0EEENS1_30default_config_static_selectorELNS0_4arch9wavefront6targetE1EEEvT1_,"axG",@progbits,_ZN7rocprim17ROCPRIM_400000_NS6detail17trampoline_kernelINS0_14default_configENS1_25transform_config_selectorIlLb0EEEZNS1_14transform_implILb0ES3_S5_NS0_18transform_iteratorINS0_17counting_iteratorImlEEZNS1_24adjacent_difference_implIS3_Lb1ELb0EPlSB_ZN2at6native12_GLOBAL__N_124unique_dim_cuda_templateIdEESt5tupleIJNSC_6TensorESH_SH_EERKSH_lbbbEUlllE1_EE10hipError_tPvRmT2_T3_mT4_P12ihipStream_tbEUlmE_lEESB_NS0_8identityIvEEEESM_SP_SQ_mSR_ST_bEUlT_E_NS1_11comp_targetILNS1_3genE10ELNS1_11target_archE1201ELNS1_3gpuE5ELNS1_3repE0EEENS1_30default_config_static_selectorELNS0_4arch9wavefront6targetE1EEEvT1_,comdat
	.globl	_ZN7rocprim17ROCPRIM_400000_NS6detail17trampoline_kernelINS0_14default_configENS1_25transform_config_selectorIlLb0EEEZNS1_14transform_implILb0ES3_S5_NS0_18transform_iteratorINS0_17counting_iteratorImlEEZNS1_24adjacent_difference_implIS3_Lb1ELb0EPlSB_ZN2at6native12_GLOBAL__N_124unique_dim_cuda_templateIdEESt5tupleIJNSC_6TensorESH_SH_EERKSH_lbbbEUlllE1_EE10hipError_tPvRmT2_T3_mT4_P12ihipStream_tbEUlmE_lEESB_NS0_8identityIvEEEESM_SP_SQ_mSR_ST_bEUlT_E_NS1_11comp_targetILNS1_3genE10ELNS1_11target_archE1201ELNS1_3gpuE5ELNS1_3repE0EEENS1_30default_config_static_selectorELNS0_4arch9wavefront6targetE1EEEvT1_ ; -- Begin function _ZN7rocprim17ROCPRIM_400000_NS6detail17trampoline_kernelINS0_14default_configENS1_25transform_config_selectorIlLb0EEEZNS1_14transform_implILb0ES3_S5_NS0_18transform_iteratorINS0_17counting_iteratorImlEEZNS1_24adjacent_difference_implIS3_Lb1ELb0EPlSB_ZN2at6native12_GLOBAL__N_124unique_dim_cuda_templateIdEESt5tupleIJNSC_6TensorESH_SH_EERKSH_lbbbEUlllE1_EE10hipError_tPvRmT2_T3_mT4_P12ihipStream_tbEUlmE_lEESB_NS0_8identityIvEEEESM_SP_SQ_mSR_ST_bEUlT_E_NS1_11comp_targetILNS1_3genE10ELNS1_11target_archE1201ELNS1_3gpuE5ELNS1_3repE0EEENS1_30default_config_static_selectorELNS0_4arch9wavefront6targetE1EEEvT1_
	.p2align	8
	.type	_ZN7rocprim17ROCPRIM_400000_NS6detail17trampoline_kernelINS0_14default_configENS1_25transform_config_selectorIlLb0EEEZNS1_14transform_implILb0ES3_S5_NS0_18transform_iteratorINS0_17counting_iteratorImlEEZNS1_24adjacent_difference_implIS3_Lb1ELb0EPlSB_ZN2at6native12_GLOBAL__N_124unique_dim_cuda_templateIdEESt5tupleIJNSC_6TensorESH_SH_EERKSH_lbbbEUlllE1_EE10hipError_tPvRmT2_T3_mT4_P12ihipStream_tbEUlmE_lEESB_NS0_8identityIvEEEESM_SP_SQ_mSR_ST_bEUlT_E_NS1_11comp_targetILNS1_3genE10ELNS1_11target_archE1201ELNS1_3gpuE5ELNS1_3repE0EEENS1_30default_config_static_selectorELNS0_4arch9wavefront6targetE1EEEvT1_,@function
_ZN7rocprim17ROCPRIM_400000_NS6detail17trampoline_kernelINS0_14default_configENS1_25transform_config_selectorIlLb0EEEZNS1_14transform_implILb0ES3_S5_NS0_18transform_iteratorINS0_17counting_iteratorImlEEZNS1_24adjacent_difference_implIS3_Lb1ELb0EPlSB_ZN2at6native12_GLOBAL__N_124unique_dim_cuda_templateIdEESt5tupleIJNSC_6TensorESH_SH_EERKSH_lbbbEUlllE1_EE10hipError_tPvRmT2_T3_mT4_P12ihipStream_tbEUlmE_lEESB_NS0_8identityIvEEEESM_SP_SQ_mSR_ST_bEUlT_E_NS1_11comp_targetILNS1_3genE10ELNS1_11target_archE1201ELNS1_3gpuE5ELNS1_3repE0EEENS1_30default_config_static_selectorELNS0_4arch9wavefront6targetE1EEEvT1_: ; @_ZN7rocprim17ROCPRIM_400000_NS6detail17trampoline_kernelINS0_14default_configENS1_25transform_config_selectorIlLb0EEEZNS1_14transform_implILb0ES3_S5_NS0_18transform_iteratorINS0_17counting_iteratorImlEEZNS1_24adjacent_difference_implIS3_Lb1ELb0EPlSB_ZN2at6native12_GLOBAL__N_124unique_dim_cuda_templateIdEESt5tupleIJNSC_6TensorESH_SH_EERKSH_lbbbEUlllE1_EE10hipError_tPvRmT2_T3_mT4_P12ihipStream_tbEUlmE_lEESB_NS0_8identityIvEEEESM_SP_SQ_mSR_ST_bEUlT_E_NS1_11comp_targetILNS1_3genE10ELNS1_11target_archE1201ELNS1_3gpuE5ELNS1_3repE0EEENS1_30default_config_static_selectorELNS0_4arch9wavefront6targetE1EEEvT1_
; %bb.0:
	.section	.rodata,"a",@progbits
	.p2align	6, 0x0
	.amdhsa_kernel _ZN7rocprim17ROCPRIM_400000_NS6detail17trampoline_kernelINS0_14default_configENS1_25transform_config_selectorIlLb0EEEZNS1_14transform_implILb0ES3_S5_NS0_18transform_iteratorINS0_17counting_iteratorImlEEZNS1_24adjacent_difference_implIS3_Lb1ELb0EPlSB_ZN2at6native12_GLOBAL__N_124unique_dim_cuda_templateIdEESt5tupleIJNSC_6TensorESH_SH_EERKSH_lbbbEUlllE1_EE10hipError_tPvRmT2_T3_mT4_P12ihipStream_tbEUlmE_lEESB_NS0_8identityIvEEEESM_SP_SQ_mSR_ST_bEUlT_E_NS1_11comp_targetILNS1_3genE10ELNS1_11target_archE1201ELNS1_3gpuE5ELNS1_3repE0EEENS1_30default_config_static_selectorELNS0_4arch9wavefront6targetE1EEEvT1_
		.amdhsa_group_segment_fixed_size 0
		.amdhsa_private_segment_fixed_size 0
		.amdhsa_kernarg_size 56
		.amdhsa_user_sgpr_count 2
		.amdhsa_user_sgpr_dispatch_ptr 0
		.amdhsa_user_sgpr_queue_ptr 0
		.amdhsa_user_sgpr_kernarg_segment_ptr 1
		.amdhsa_user_sgpr_dispatch_id 0
		.amdhsa_user_sgpr_kernarg_preload_length 0
		.amdhsa_user_sgpr_kernarg_preload_offset 0
		.amdhsa_user_sgpr_private_segment_size 0
		.amdhsa_uses_dynamic_stack 0
		.amdhsa_enable_private_segment 0
		.amdhsa_system_sgpr_workgroup_id_x 1
		.amdhsa_system_sgpr_workgroup_id_y 0
		.amdhsa_system_sgpr_workgroup_id_z 0
		.amdhsa_system_sgpr_workgroup_info 0
		.amdhsa_system_vgpr_workitem_id 0
		.amdhsa_next_free_vgpr 1
		.amdhsa_next_free_sgpr 0
		.amdhsa_accum_offset 4
		.amdhsa_reserve_vcc 0
		.amdhsa_float_round_mode_32 0
		.amdhsa_float_round_mode_16_64 0
		.amdhsa_float_denorm_mode_32 3
		.amdhsa_float_denorm_mode_16_64 3
		.amdhsa_dx10_clamp 1
		.amdhsa_ieee_mode 1
		.amdhsa_fp16_overflow 0
		.amdhsa_tg_split 0
		.amdhsa_exception_fp_ieee_invalid_op 0
		.amdhsa_exception_fp_denorm_src 0
		.amdhsa_exception_fp_ieee_div_zero 0
		.amdhsa_exception_fp_ieee_overflow 0
		.amdhsa_exception_fp_ieee_underflow 0
		.amdhsa_exception_fp_ieee_inexact 0
		.amdhsa_exception_int_div_zero 0
	.end_amdhsa_kernel
	.section	.text._ZN7rocprim17ROCPRIM_400000_NS6detail17trampoline_kernelINS0_14default_configENS1_25transform_config_selectorIlLb0EEEZNS1_14transform_implILb0ES3_S5_NS0_18transform_iteratorINS0_17counting_iteratorImlEEZNS1_24adjacent_difference_implIS3_Lb1ELb0EPlSB_ZN2at6native12_GLOBAL__N_124unique_dim_cuda_templateIdEESt5tupleIJNSC_6TensorESH_SH_EERKSH_lbbbEUlllE1_EE10hipError_tPvRmT2_T3_mT4_P12ihipStream_tbEUlmE_lEESB_NS0_8identityIvEEEESM_SP_SQ_mSR_ST_bEUlT_E_NS1_11comp_targetILNS1_3genE10ELNS1_11target_archE1201ELNS1_3gpuE5ELNS1_3repE0EEENS1_30default_config_static_selectorELNS0_4arch9wavefront6targetE1EEEvT1_,"axG",@progbits,_ZN7rocprim17ROCPRIM_400000_NS6detail17trampoline_kernelINS0_14default_configENS1_25transform_config_selectorIlLb0EEEZNS1_14transform_implILb0ES3_S5_NS0_18transform_iteratorINS0_17counting_iteratorImlEEZNS1_24adjacent_difference_implIS3_Lb1ELb0EPlSB_ZN2at6native12_GLOBAL__N_124unique_dim_cuda_templateIdEESt5tupleIJNSC_6TensorESH_SH_EERKSH_lbbbEUlllE1_EE10hipError_tPvRmT2_T3_mT4_P12ihipStream_tbEUlmE_lEESB_NS0_8identityIvEEEESM_SP_SQ_mSR_ST_bEUlT_E_NS1_11comp_targetILNS1_3genE10ELNS1_11target_archE1201ELNS1_3gpuE5ELNS1_3repE0EEENS1_30default_config_static_selectorELNS0_4arch9wavefront6targetE1EEEvT1_,comdat
.Lfunc_end795:
	.size	_ZN7rocprim17ROCPRIM_400000_NS6detail17trampoline_kernelINS0_14default_configENS1_25transform_config_selectorIlLb0EEEZNS1_14transform_implILb0ES3_S5_NS0_18transform_iteratorINS0_17counting_iteratorImlEEZNS1_24adjacent_difference_implIS3_Lb1ELb0EPlSB_ZN2at6native12_GLOBAL__N_124unique_dim_cuda_templateIdEESt5tupleIJNSC_6TensorESH_SH_EERKSH_lbbbEUlllE1_EE10hipError_tPvRmT2_T3_mT4_P12ihipStream_tbEUlmE_lEESB_NS0_8identityIvEEEESM_SP_SQ_mSR_ST_bEUlT_E_NS1_11comp_targetILNS1_3genE10ELNS1_11target_archE1201ELNS1_3gpuE5ELNS1_3repE0EEENS1_30default_config_static_selectorELNS0_4arch9wavefront6targetE1EEEvT1_, .Lfunc_end795-_ZN7rocprim17ROCPRIM_400000_NS6detail17trampoline_kernelINS0_14default_configENS1_25transform_config_selectorIlLb0EEEZNS1_14transform_implILb0ES3_S5_NS0_18transform_iteratorINS0_17counting_iteratorImlEEZNS1_24adjacent_difference_implIS3_Lb1ELb0EPlSB_ZN2at6native12_GLOBAL__N_124unique_dim_cuda_templateIdEESt5tupleIJNSC_6TensorESH_SH_EERKSH_lbbbEUlllE1_EE10hipError_tPvRmT2_T3_mT4_P12ihipStream_tbEUlmE_lEESB_NS0_8identityIvEEEESM_SP_SQ_mSR_ST_bEUlT_E_NS1_11comp_targetILNS1_3genE10ELNS1_11target_archE1201ELNS1_3gpuE5ELNS1_3repE0EEENS1_30default_config_static_selectorELNS0_4arch9wavefront6targetE1EEEvT1_
                                        ; -- End function
	.set _ZN7rocprim17ROCPRIM_400000_NS6detail17trampoline_kernelINS0_14default_configENS1_25transform_config_selectorIlLb0EEEZNS1_14transform_implILb0ES3_S5_NS0_18transform_iteratorINS0_17counting_iteratorImlEEZNS1_24adjacent_difference_implIS3_Lb1ELb0EPlSB_ZN2at6native12_GLOBAL__N_124unique_dim_cuda_templateIdEESt5tupleIJNSC_6TensorESH_SH_EERKSH_lbbbEUlllE1_EE10hipError_tPvRmT2_T3_mT4_P12ihipStream_tbEUlmE_lEESB_NS0_8identityIvEEEESM_SP_SQ_mSR_ST_bEUlT_E_NS1_11comp_targetILNS1_3genE10ELNS1_11target_archE1201ELNS1_3gpuE5ELNS1_3repE0EEENS1_30default_config_static_selectorELNS0_4arch9wavefront6targetE1EEEvT1_.num_vgpr, 0
	.set _ZN7rocprim17ROCPRIM_400000_NS6detail17trampoline_kernelINS0_14default_configENS1_25transform_config_selectorIlLb0EEEZNS1_14transform_implILb0ES3_S5_NS0_18transform_iteratorINS0_17counting_iteratorImlEEZNS1_24adjacent_difference_implIS3_Lb1ELb0EPlSB_ZN2at6native12_GLOBAL__N_124unique_dim_cuda_templateIdEESt5tupleIJNSC_6TensorESH_SH_EERKSH_lbbbEUlllE1_EE10hipError_tPvRmT2_T3_mT4_P12ihipStream_tbEUlmE_lEESB_NS0_8identityIvEEEESM_SP_SQ_mSR_ST_bEUlT_E_NS1_11comp_targetILNS1_3genE10ELNS1_11target_archE1201ELNS1_3gpuE5ELNS1_3repE0EEENS1_30default_config_static_selectorELNS0_4arch9wavefront6targetE1EEEvT1_.num_agpr, 0
	.set _ZN7rocprim17ROCPRIM_400000_NS6detail17trampoline_kernelINS0_14default_configENS1_25transform_config_selectorIlLb0EEEZNS1_14transform_implILb0ES3_S5_NS0_18transform_iteratorINS0_17counting_iteratorImlEEZNS1_24adjacent_difference_implIS3_Lb1ELb0EPlSB_ZN2at6native12_GLOBAL__N_124unique_dim_cuda_templateIdEESt5tupleIJNSC_6TensorESH_SH_EERKSH_lbbbEUlllE1_EE10hipError_tPvRmT2_T3_mT4_P12ihipStream_tbEUlmE_lEESB_NS0_8identityIvEEEESM_SP_SQ_mSR_ST_bEUlT_E_NS1_11comp_targetILNS1_3genE10ELNS1_11target_archE1201ELNS1_3gpuE5ELNS1_3repE0EEENS1_30default_config_static_selectorELNS0_4arch9wavefront6targetE1EEEvT1_.numbered_sgpr, 0
	.set _ZN7rocprim17ROCPRIM_400000_NS6detail17trampoline_kernelINS0_14default_configENS1_25transform_config_selectorIlLb0EEEZNS1_14transform_implILb0ES3_S5_NS0_18transform_iteratorINS0_17counting_iteratorImlEEZNS1_24adjacent_difference_implIS3_Lb1ELb0EPlSB_ZN2at6native12_GLOBAL__N_124unique_dim_cuda_templateIdEESt5tupleIJNSC_6TensorESH_SH_EERKSH_lbbbEUlllE1_EE10hipError_tPvRmT2_T3_mT4_P12ihipStream_tbEUlmE_lEESB_NS0_8identityIvEEEESM_SP_SQ_mSR_ST_bEUlT_E_NS1_11comp_targetILNS1_3genE10ELNS1_11target_archE1201ELNS1_3gpuE5ELNS1_3repE0EEENS1_30default_config_static_selectorELNS0_4arch9wavefront6targetE1EEEvT1_.num_named_barrier, 0
	.set _ZN7rocprim17ROCPRIM_400000_NS6detail17trampoline_kernelINS0_14default_configENS1_25transform_config_selectorIlLb0EEEZNS1_14transform_implILb0ES3_S5_NS0_18transform_iteratorINS0_17counting_iteratorImlEEZNS1_24adjacent_difference_implIS3_Lb1ELb0EPlSB_ZN2at6native12_GLOBAL__N_124unique_dim_cuda_templateIdEESt5tupleIJNSC_6TensorESH_SH_EERKSH_lbbbEUlllE1_EE10hipError_tPvRmT2_T3_mT4_P12ihipStream_tbEUlmE_lEESB_NS0_8identityIvEEEESM_SP_SQ_mSR_ST_bEUlT_E_NS1_11comp_targetILNS1_3genE10ELNS1_11target_archE1201ELNS1_3gpuE5ELNS1_3repE0EEENS1_30default_config_static_selectorELNS0_4arch9wavefront6targetE1EEEvT1_.private_seg_size, 0
	.set _ZN7rocprim17ROCPRIM_400000_NS6detail17trampoline_kernelINS0_14default_configENS1_25transform_config_selectorIlLb0EEEZNS1_14transform_implILb0ES3_S5_NS0_18transform_iteratorINS0_17counting_iteratorImlEEZNS1_24adjacent_difference_implIS3_Lb1ELb0EPlSB_ZN2at6native12_GLOBAL__N_124unique_dim_cuda_templateIdEESt5tupleIJNSC_6TensorESH_SH_EERKSH_lbbbEUlllE1_EE10hipError_tPvRmT2_T3_mT4_P12ihipStream_tbEUlmE_lEESB_NS0_8identityIvEEEESM_SP_SQ_mSR_ST_bEUlT_E_NS1_11comp_targetILNS1_3genE10ELNS1_11target_archE1201ELNS1_3gpuE5ELNS1_3repE0EEENS1_30default_config_static_selectorELNS0_4arch9wavefront6targetE1EEEvT1_.uses_vcc, 0
	.set _ZN7rocprim17ROCPRIM_400000_NS6detail17trampoline_kernelINS0_14default_configENS1_25transform_config_selectorIlLb0EEEZNS1_14transform_implILb0ES3_S5_NS0_18transform_iteratorINS0_17counting_iteratorImlEEZNS1_24adjacent_difference_implIS3_Lb1ELb0EPlSB_ZN2at6native12_GLOBAL__N_124unique_dim_cuda_templateIdEESt5tupleIJNSC_6TensorESH_SH_EERKSH_lbbbEUlllE1_EE10hipError_tPvRmT2_T3_mT4_P12ihipStream_tbEUlmE_lEESB_NS0_8identityIvEEEESM_SP_SQ_mSR_ST_bEUlT_E_NS1_11comp_targetILNS1_3genE10ELNS1_11target_archE1201ELNS1_3gpuE5ELNS1_3repE0EEENS1_30default_config_static_selectorELNS0_4arch9wavefront6targetE1EEEvT1_.uses_flat_scratch, 0
	.set _ZN7rocprim17ROCPRIM_400000_NS6detail17trampoline_kernelINS0_14default_configENS1_25transform_config_selectorIlLb0EEEZNS1_14transform_implILb0ES3_S5_NS0_18transform_iteratorINS0_17counting_iteratorImlEEZNS1_24adjacent_difference_implIS3_Lb1ELb0EPlSB_ZN2at6native12_GLOBAL__N_124unique_dim_cuda_templateIdEESt5tupleIJNSC_6TensorESH_SH_EERKSH_lbbbEUlllE1_EE10hipError_tPvRmT2_T3_mT4_P12ihipStream_tbEUlmE_lEESB_NS0_8identityIvEEEESM_SP_SQ_mSR_ST_bEUlT_E_NS1_11comp_targetILNS1_3genE10ELNS1_11target_archE1201ELNS1_3gpuE5ELNS1_3repE0EEENS1_30default_config_static_selectorELNS0_4arch9wavefront6targetE1EEEvT1_.has_dyn_sized_stack, 0
	.set _ZN7rocprim17ROCPRIM_400000_NS6detail17trampoline_kernelINS0_14default_configENS1_25transform_config_selectorIlLb0EEEZNS1_14transform_implILb0ES3_S5_NS0_18transform_iteratorINS0_17counting_iteratorImlEEZNS1_24adjacent_difference_implIS3_Lb1ELb0EPlSB_ZN2at6native12_GLOBAL__N_124unique_dim_cuda_templateIdEESt5tupleIJNSC_6TensorESH_SH_EERKSH_lbbbEUlllE1_EE10hipError_tPvRmT2_T3_mT4_P12ihipStream_tbEUlmE_lEESB_NS0_8identityIvEEEESM_SP_SQ_mSR_ST_bEUlT_E_NS1_11comp_targetILNS1_3genE10ELNS1_11target_archE1201ELNS1_3gpuE5ELNS1_3repE0EEENS1_30default_config_static_selectorELNS0_4arch9wavefront6targetE1EEEvT1_.has_recursion, 0
	.set _ZN7rocprim17ROCPRIM_400000_NS6detail17trampoline_kernelINS0_14default_configENS1_25transform_config_selectorIlLb0EEEZNS1_14transform_implILb0ES3_S5_NS0_18transform_iteratorINS0_17counting_iteratorImlEEZNS1_24adjacent_difference_implIS3_Lb1ELb0EPlSB_ZN2at6native12_GLOBAL__N_124unique_dim_cuda_templateIdEESt5tupleIJNSC_6TensorESH_SH_EERKSH_lbbbEUlllE1_EE10hipError_tPvRmT2_T3_mT4_P12ihipStream_tbEUlmE_lEESB_NS0_8identityIvEEEESM_SP_SQ_mSR_ST_bEUlT_E_NS1_11comp_targetILNS1_3genE10ELNS1_11target_archE1201ELNS1_3gpuE5ELNS1_3repE0EEENS1_30default_config_static_selectorELNS0_4arch9wavefront6targetE1EEEvT1_.has_indirect_call, 0
	.section	.AMDGPU.csdata,"",@progbits
; Kernel info:
; codeLenInByte = 0
; TotalNumSgprs: 6
; NumVgprs: 0
; NumAgprs: 0
; TotalNumVgprs: 0
; ScratchSize: 0
; MemoryBound: 0
; FloatMode: 240
; IeeeMode: 1
; LDSByteSize: 0 bytes/workgroup (compile time only)
; SGPRBlocks: 0
; VGPRBlocks: 0
; NumSGPRsForWavesPerEU: 6
; NumVGPRsForWavesPerEU: 1
; AccumOffset: 4
; Occupancy: 8
; WaveLimiterHint : 0
; COMPUTE_PGM_RSRC2:SCRATCH_EN: 0
; COMPUTE_PGM_RSRC2:USER_SGPR: 2
; COMPUTE_PGM_RSRC2:TRAP_HANDLER: 0
; COMPUTE_PGM_RSRC2:TGID_X_EN: 1
; COMPUTE_PGM_RSRC2:TGID_Y_EN: 0
; COMPUTE_PGM_RSRC2:TGID_Z_EN: 0
; COMPUTE_PGM_RSRC2:TIDIG_COMP_CNT: 0
; COMPUTE_PGM_RSRC3_GFX90A:ACCUM_OFFSET: 0
; COMPUTE_PGM_RSRC3_GFX90A:TG_SPLIT: 0
	.section	.text._ZN7rocprim17ROCPRIM_400000_NS6detail17trampoline_kernelINS0_14default_configENS1_25transform_config_selectorIlLb0EEEZNS1_14transform_implILb0ES3_S5_NS0_18transform_iteratorINS0_17counting_iteratorImlEEZNS1_24adjacent_difference_implIS3_Lb1ELb0EPlSB_ZN2at6native12_GLOBAL__N_124unique_dim_cuda_templateIdEESt5tupleIJNSC_6TensorESH_SH_EERKSH_lbbbEUlllE1_EE10hipError_tPvRmT2_T3_mT4_P12ihipStream_tbEUlmE_lEESB_NS0_8identityIvEEEESM_SP_SQ_mSR_ST_bEUlT_E_NS1_11comp_targetILNS1_3genE10ELNS1_11target_archE1200ELNS1_3gpuE4ELNS1_3repE0EEENS1_30default_config_static_selectorELNS0_4arch9wavefront6targetE1EEEvT1_,"axG",@progbits,_ZN7rocprim17ROCPRIM_400000_NS6detail17trampoline_kernelINS0_14default_configENS1_25transform_config_selectorIlLb0EEEZNS1_14transform_implILb0ES3_S5_NS0_18transform_iteratorINS0_17counting_iteratorImlEEZNS1_24adjacent_difference_implIS3_Lb1ELb0EPlSB_ZN2at6native12_GLOBAL__N_124unique_dim_cuda_templateIdEESt5tupleIJNSC_6TensorESH_SH_EERKSH_lbbbEUlllE1_EE10hipError_tPvRmT2_T3_mT4_P12ihipStream_tbEUlmE_lEESB_NS0_8identityIvEEEESM_SP_SQ_mSR_ST_bEUlT_E_NS1_11comp_targetILNS1_3genE10ELNS1_11target_archE1200ELNS1_3gpuE4ELNS1_3repE0EEENS1_30default_config_static_selectorELNS0_4arch9wavefront6targetE1EEEvT1_,comdat
	.globl	_ZN7rocprim17ROCPRIM_400000_NS6detail17trampoline_kernelINS0_14default_configENS1_25transform_config_selectorIlLb0EEEZNS1_14transform_implILb0ES3_S5_NS0_18transform_iteratorINS0_17counting_iteratorImlEEZNS1_24adjacent_difference_implIS3_Lb1ELb0EPlSB_ZN2at6native12_GLOBAL__N_124unique_dim_cuda_templateIdEESt5tupleIJNSC_6TensorESH_SH_EERKSH_lbbbEUlllE1_EE10hipError_tPvRmT2_T3_mT4_P12ihipStream_tbEUlmE_lEESB_NS0_8identityIvEEEESM_SP_SQ_mSR_ST_bEUlT_E_NS1_11comp_targetILNS1_3genE10ELNS1_11target_archE1200ELNS1_3gpuE4ELNS1_3repE0EEENS1_30default_config_static_selectorELNS0_4arch9wavefront6targetE1EEEvT1_ ; -- Begin function _ZN7rocprim17ROCPRIM_400000_NS6detail17trampoline_kernelINS0_14default_configENS1_25transform_config_selectorIlLb0EEEZNS1_14transform_implILb0ES3_S5_NS0_18transform_iteratorINS0_17counting_iteratorImlEEZNS1_24adjacent_difference_implIS3_Lb1ELb0EPlSB_ZN2at6native12_GLOBAL__N_124unique_dim_cuda_templateIdEESt5tupleIJNSC_6TensorESH_SH_EERKSH_lbbbEUlllE1_EE10hipError_tPvRmT2_T3_mT4_P12ihipStream_tbEUlmE_lEESB_NS0_8identityIvEEEESM_SP_SQ_mSR_ST_bEUlT_E_NS1_11comp_targetILNS1_3genE10ELNS1_11target_archE1200ELNS1_3gpuE4ELNS1_3repE0EEENS1_30default_config_static_selectorELNS0_4arch9wavefront6targetE1EEEvT1_
	.p2align	8
	.type	_ZN7rocprim17ROCPRIM_400000_NS6detail17trampoline_kernelINS0_14default_configENS1_25transform_config_selectorIlLb0EEEZNS1_14transform_implILb0ES3_S5_NS0_18transform_iteratorINS0_17counting_iteratorImlEEZNS1_24adjacent_difference_implIS3_Lb1ELb0EPlSB_ZN2at6native12_GLOBAL__N_124unique_dim_cuda_templateIdEESt5tupleIJNSC_6TensorESH_SH_EERKSH_lbbbEUlllE1_EE10hipError_tPvRmT2_T3_mT4_P12ihipStream_tbEUlmE_lEESB_NS0_8identityIvEEEESM_SP_SQ_mSR_ST_bEUlT_E_NS1_11comp_targetILNS1_3genE10ELNS1_11target_archE1200ELNS1_3gpuE4ELNS1_3repE0EEENS1_30default_config_static_selectorELNS0_4arch9wavefront6targetE1EEEvT1_,@function
_ZN7rocprim17ROCPRIM_400000_NS6detail17trampoline_kernelINS0_14default_configENS1_25transform_config_selectorIlLb0EEEZNS1_14transform_implILb0ES3_S5_NS0_18transform_iteratorINS0_17counting_iteratorImlEEZNS1_24adjacent_difference_implIS3_Lb1ELb0EPlSB_ZN2at6native12_GLOBAL__N_124unique_dim_cuda_templateIdEESt5tupleIJNSC_6TensorESH_SH_EERKSH_lbbbEUlllE1_EE10hipError_tPvRmT2_T3_mT4_P12ihipStream_tbEUlmE_lEESB_NS0_8identityIvEEEESM_SP_SQ_mSR_ST_bEUlT_E_NS1_11comp_targetILNS1_3genE10ELNS1_11target_archE1200ELNS1_3gpuE4ELNS1_3repE0EEENS1_30default_config_static_selectorELNS0_4arch9wavefront6targetE1EEEvT1_: ; @_ZN7rocprim17ROCPRIM_400000_NS6detail17trampoline_kernelINS0_14default_configENS1_25transform_config_selectorIlLb0EEEZNS1_14transform_implILb0ES3_S5_NS0_18transform_iteratorINS0_17counting_iteratorImlEEZNS1_24adjacent_difference_implIS3_Lb1ELb0EPlSB_ZN2at6native12_GLOBAL__N_124unique_dim_cuda_templateIdEESt5tupleIJNSC_6TensorESH_SH_EERKSH_lbbbEUlllE1_EE10hipError_tPvRmT2_T3_mT4_P12ihipStream_tbEUlmE_lEESB_NS0_8identityIvEEEESM_SP_SQ_mSR_ST_bEUlT_E_NS1_11comp_targetILNS1_3genE10ELNS1_11target_archE1200ELNS1_3gpuE4ELNS1_3repE0EEENS1_30default_config_static_selectorELNS0_4arch9wavefront6targetE1EEEvT1_
; %bb.0:
	.section	.rodata,"a",@progbits
	.p2align	6, 0x0
	.amdhsa_kernel _ZN7rocprim17ROCPRIM_400000_NS6detail17trampoline_kernelINS0_14default_configENS1_25transform_config_selectorIlLb0EEEZNS1_14transform_implILb0ES3_S5_NS0_18transform_iteratorINS0_17counting_iteratorImlEEZNS1_24adjacent_difference_implIS3_Lb1ELb0EPlSB_ZN2at6native12_GLOBAL__N_124unique_dim_cuda_templateIdEESt5tupleIJNSC_6TensorESH_SH_EERKSH_lbbbEUlllE1_EE10hipError_tPvRmT2_T3_mT4_P12ihipStream_tbEUlmE_lEESB_NS0_8identityIvEEEESM_SP_SQ_mSR_ST_bEUlT_E_NS1_11comp_targetILNS1_3genE10ELNS1_11target_archE1200ELNS1_3gpuE4ELNS1_3repE0EEENS1_30default_config_static_selectorELNS0_4arch9wavefront6targetE1EEEvT1_
		.amdhsa_group_segment_fixed_size 0
		.amdhsa_private_segment_fixed_size 0
		.amdhsa_kernarg_size 56
		.amdhsa_user_sgpr_count 2
		.amdhsa_user_sgpr_dispatch_ptr 0
		.amdhsa_user_sgpr_queue_ptr 0
		.amdhsa_user_sgpr_kernarg_segment_ptr 1
		.amdhsa_user_sgpr_dispatch_id 0
		.amdhsa_user_sgpr_kernarg_preload_length 0
		.amdhsa_user_sgpr_kernarg_preload_offset 0
		.amdhsa_user_sgpr_private_segment_size 0
		.amdhsa_uses_dynamic_stack 0
		.amdhsa_enable_private_segment 0
		.amdhsa_system_sgpr_workgroup_id_x 1
		.amdhsa_system_sgpr_workgroup_id_y 0
		.amdhsa_system_sgpr_workgroup_id_z 0
		.amdhsa_system_sgpr_workgroup_info 0
		.amdhsa_system_vgpr_workitem_id 0
		.amdhsa_next_free_vgpr 1
		.amdhsa_next_free_sgpr 0
		.amdhsa_accum_offset 4
		.amdhsa_reserve_vcc 0
		.amdhsa_float_round_mode_32 0
		.amdhsa_float_round_mode_16_64 0
		.amdhsa_float_denorm_mode_32 3
		.amdhsa_float_denorm_mode_16_64 3
		.amdhsa_dx10_clamp 1
		.amdhsa_ieee_mode 1
		.amdhsa_fp16_overflow 0
		.amdhsa_tg_split 0
		.amdhsa_exception_fp_ieee_invalid_op 0
		.amdhsa_exception_fp_denorm_src 0
		.amdhsa_exception_fp_ieee_div_zero 0
		.amdhsa_exception_fp_ieee_overflow 0
		.amdhsa_exception_fp_ieee_underflow 0
		.amdhsa_exception_fp_ieee_inexact 0
		.amdhsa_exception_int_div_zero 0
	.end_amdhsa_kernel
	.section	.text._ZN7rocprim17ROCPRIM_400000_NS6detail17trampoline_kernelINS0_14default_configENS1_25transform_config_selectorIlLb0EEEZNS1_14transform_implILb0ES3_S5_NS0_18transform_iteratorINS0_17counting_iteratorImlEEZNS1_24adjacent_difference_implIS3_Lb1ELb0EPlSB_ZN2at6native12_GLOBAL__N_124unique_dim_cuda_templateIdEESt5tupleIJNSC_6TensorESH_SH_EERKSH_lbbbEUlllE1_EE10hipError_tPvRmT2_T3_mT4_P12ihipStream_tbEUlmE_lEESB_NS0_8identityIvEEEESM_SP_SQ_mSR_ST_bEUlT_E_NS1_11comp_targetILNS1_3genE10ELNS1_11target_archE1200ELNS1_3gpuE4ELNS1_3repE0EEENS1_30default_config_static_selectorELNS0_4arch9wavefront6targetE1EEEvT1_,"axG",@progbits,_ZN7rocprim17ROCPRIM_400000_NS6detail17trampoline_kernelINS0_14default_configENS1_25transform_config_selectorIlLb0EEEZNS1_14transform_implILb0ES3_S5_NS0_18transform_iteratorINS0_17counting_iteratorImlEEZNS1_24adjacent_difference_implIS3_Lb1ELb0EPlSB_ZN2at6native12_GLOBAL__N_124unique_dim_cuda_templateIdEESt5tupleIJNSC_6TensorESH_SH_EERKSH_lbbbEUlllE1_EE10hipError_tPvRmT2_T3_mT4_P12ihipStream_tbEUlmE_lEESB_NS0_8identityIvEEEESM_SP_SQ_mSR_ST_bEUlT_E_NS1_11comp_targetILNS1_3genE10ELNS1_11target_archE1200ELNS1_3gpuE4ELNS1_3repE0EEENS1_30default_config_static_selectorELNS0_4arch9wavefront6targetE1EEEvT1_,comdat
.Lfunc_end796:
	.size	_ZN7rocprim17ROCPRIM_400000_NS6detail17trampoline_kernelINS0_14default_configENS1_25transform_config_selectorIlLb0EEEZNS1_14transform_implILb0ES3_S5_NS0_18transform_iteratorINS0_17counting_iteratorImlEEZNS1_24adjacent_difference_implIS3_Lb1ELb0EPlSB_ZN2at6native12_GLOBAL__N_124unique_dim_cuda_templateIdEESt5tupleIJNSC_6TensorESH_SH_EERKSH_lbbbEUlllE1_EE10hipError_tPvRmT2_T3_mT4_P12ihipStream_tbEUlmE_lEESB_NS0_8identityIvEEEESM_SP_SQ_mSR_ST_bEUlT_E_NS1_11comp_targetILNS1_3genE10ELNS1_11target_archE1200ELNS1_3gpuE4ELNS1_3repE0EEENS1_30default_config_static_selectorELNS0_4arch9wavefront6targetE1EEEvT1_, .Lfunc_end796-_ZN7rocprim17ROCPRIM_400000_NS6detail17trampoline_kernelINS0_14default_configENS1_25transform_config_selectorIlLb0EEEZNS1_14transform_implILb0ES3_S5_NS0_18transform_iteratorINS0_17counting_iteratorImlEEZNS1_24adjacent_difference_implIS3_Lb1ELb0EPlSB_ZN2at6native12_GLOBAL__N_124unique_dim_cuda_templateIdEESt5tupleIJNSC_6TensorESH_SH_EERKSH_lbbbEUlllE1_EE10hipError_tPvRmT2_T3_mT4_P12ihipStream_tbEUlmE_lEESB_NS0_8identityIvEEEESM_SP_SQ_mSR_ST_bEUlT_E_NS1_11comp_targetILNS1_3genE10ELNS1_11target_archE1200ELNS1_3gpuE4ELNS1_3repE0EEENS1_30default_config_static_selectorELNS0_4arch9wavefront6targetE1EEEvT1_
                                        ; -- End function
	.set _ZN7rocprim17ROCPRIM_400000_NS6detail17trampoline_kernelINS0_14default_configENS1_25transform_config_selectorIlLb0EEEZNS1_14transform_implILb0ES3_S5_NS0_18transform_iteratorINS0_17counting_iteratorImlEEZNS1_24adjacent_difference_implIS3_Lb1ELb0EPlSB_ZN2at6native12_GLOBAL__N_124unique_dim_cuda_templateIdEESt5tupleIJNSC_6TensorESH_SH_EERKSH_lbbbEUlllE1_EE10hipError_tPvRmT2_T3_mT4_P12ihipStream_tbEUlmE_lEESB_NS0_8identityIvEEEESM_SP_SQ_mSR_ST_bEUlT_E_NS1_11comp_targetILNS1_3genE10ELNS1_11target_archE1200ELNS1_3gpuE4ELNS1_3repE0EEENS1_30default_config_static_selectorELNS0_4arch9wavefront6targetE1EEEvT1_.num_vgpr, 0
	.set _ZN7rocprim17ROCPRIM_400000_NS6detail17trampoline_kernelINS0_14default_configENS1_25transform_config_selectorIlLb0EEEZNS1_14transform_implILb0ES3_S5_NS0_18transform_iteratorINS0_17counting_iteratorImlEEZNS1_24adjacent_difference_implIS3_Lb1ELb0EPlSB_ZN2at6native12_GLOBAL__N_124unique_dim_cuda_templateIdEESt5tupleIJNSC_6TensorESH_SH_EERKSH_lbbbEUlllE1_EE10hipError_tPvRmT2_T3_mT4_P12ihipStream_tbEUlmE_lEESB_NS0_8identityIvEEEESM_SP_SQ_mSR_ST_bEUlT_E_NS1_11comp_targetILNS1_3genE10ELNS1_11target_archE1200ELNS1_3gpuE4ELNS1_3repE0EEENS1_30default_config_static_selectorELNS0_4arch9wavefront6targetE1EEEvT1_.num_agpr, 0
	.set _ZN7rocprim17ROCPRIM_400000_NS6detail17trampoline_kernelINS0_14default_configENS1_25transform_config_selectorIlLb0EEEZNS1_14transform_implILb0ES3_S5_NS0_18transform_iteratorINS0_17counting_iteratorImlEEZNS1_24adjacent_difference_implIS3_Lb1ELb0EPlSB_ZN2at6native12_GLOBAL__N_124unique_dim_cuda_templateIdEESt5tupleIJNSC_6TensorESH_SH_EERKSH_lbbbEUlllE1_EE10hipError_tPvRmT2_T3_mT4_P12ihipStream_tbEUlmE_lEESB_NS0_8identityIvEEEESM_SP_SQ_mSR_ST_bEUlT_E_NS1_11comp_targetILNS1_3genE10ELNS1_11target_archE1200ELNS1_3gpuE4ELNS1_3repE0EEENS1_30default_config_static_selectorELNS0_4arch9wavefront6targetE1EEEvT1_.numbered_sgpr, 0
	.set _ZN7rocprim17ROCPRIM_400000_NS6detail17trampoline_kernelINS0_14default_configENS1_25transform_config_selectorIlLb0EEEZNS1_14transform_implILb0ES3_S5_NS0_18transform_iteratorINS0_17counting_iteratorImlEEZNS1_24adjacent_difference_implIS3_Lb1ELb0EPlSB_ZN2at6native12_GLOBAL__N_124unique_dim_cuda_templateIdEESt5tupleIJNSC_6TensorESH_SH_EERKSH_lbbbEUlllE1_EE10hipError_tPvRmT2_T3_mT4_P12ihipStream_tbEUlmE_lEESB_NS0_8identityIvEEEESM_SP_SQ_mSR_ST_bEUlT_E_NS1_11comp_targetILNS1_3genE10ELNS1_11target_archE1200ELNS1_3gpuE4ELNS1_3repE0EEENS1_30default_config_static_selectorELNS0_4arch9wavefront6targetE1EEEvT1_.num_named_barrier, 0
	.set _ZN7rocprim17ROCPRIM_400000_NS6detail17trampoline_kernelINS0_14default_configENS1_25transform_config_selectorIlLb0EEEZNS1_14transform_implILb0ES3_S5_NS0_18transform_iteratorINS0_17counting_iteratorImlEEZNS1_24adjacent_difference_implIS3_Lb1ELb0EPlSB_ZN2at6native12_GLOBAL__N_124unique_dim_cuda_templateIdEESt5tupleIJNSC_6TensorESH_SH_EERKSH_lbbbEUlllE1_EE10hipError_tPvRmT2_T3_mT4_P12ihipStream_tbEUlmE_lEESB_NS0_8identityIvEEEESM_SP_SQ_mSR_ST_bEUlT_E_NS1_11comp_targetILNS1_3genE10ELNS1_11target_archE1200ELNS1_3gpuE4ELNS1_3repE0EEENS1_30default_config_static_selectorELNS0_4arch9wavefront6targetE1EEEvT1_.private_seg_size, 0
	.set _ZN7rocprim17ROCPRIM_400000_NS6detail17trampoline_kernelINS0_14default_configENS1_25transform_config_selectorIlLb0EEEZNS1_14transform_implILb0ES3_S5_NS0_18transform_iteratorINS0_17counting_iteratorImlEEZNS1_24adjacent_difference_implIS3_Lb1ELb0EPlSB_ZN2at6native12_GLOBAL__N_124unique_dim_cuda_templateIdEESt5tupleIJNSC_6TensorESH_SH_EERKSH_lbbbEUlllE1_EE10hipError_tPvRmT2_T3_mT4_P12ihipStream_tbEUlmE_lEESB_NS0_8identityIvEEEESM_SP_SQ_mSR_ST_bEUlT_E_NS1_11comp_targetILNS1_3genE10ELNS1_11target_archE1200ELNS1_3gpuE4ELNS1_3repE0EEENS1_30default_config_static_selectorELNS0_4arch9wavefront6targetE1EEEvT1_.uses_vcc, 0
	.set _ZN7rocprim17ROCPRIM_400000_NS6detail17trampoline_kernelINS0_14default_configENS1_25transform_config_selectorIlLb0EEEZNS1_14transform_implILb0ES3_S5_NS0_18transform_iteratorINS0_17counting_iteratorImlEEZNS1_24adjacent_difference_implIS3_Lb1ELb0EPlSB_ZN2at6native12_GLOBAL__N_124unique_dim_cuda_templateIdEESt5tupleIJNSC_6TensorESH_SH_EERKSH_lbbbEUlllE1_EE10hipError_tPvRmT2_T3_mT4_P12ihipStream_tbEUlmE_lEESB_NS0_8identityIvEEEESM_SP_SQ_mSR_ST_bEUlT_E_NS1_11comp_targetILNS1_3genE10ELNS1_11target_archE1200ELNS1_3gpuE4ELNS1_3repE0EEENS1_30default_config_static_selectorELNS0_4arch9wavefront6targetE1EEEvT1_.uses_flat_scratch, 0
	.set _ZN7rocprim17ROCPRIM_400000_NS6detail17trampoline_kernelINS0_14default_configENS1_25transform_config_selectorIlLb0EEEZNS1_14transform_implILb0ES3_S5_NS0_18transform_iteratorINS0_17counting_iteratorImlEEZNS1_24adjacent_difference_implIS3_Lb1ELb0EPlSB_ZN2at6native12_GLOBAL__N_124unique_dim_cuda_templateIdEESt5tupleIJNSC_6TensorESH_SH_EERKSH_lbbbEUlllE1_EE10hipError_tPvRmT2_T3_mT4_P12ihipStream_tbEUlmE_lEESB_NS0_8identityIvEEEESM_SP_SQ_mSR_ST_bEUlT_E_NS1_11comp_targetILNS1_3genE10ELNS1_11target_archE1200ELNS1_3gpuE4ELNS1_3repE0EEENS1_30default_config_static_selectorELNS0_4arch9wavefront6targetE1EEEvT1_.has_dyn_sized_stack, 0
	.set _ZN7rocprim17ROCPRIM_400000_NS6detail17trampoline_kernelINS0_14default_configENS1_25transform_config_selectorIlLb0EEEZNS1_14transform_implILb0ES3_S5_NS0_18transform_iteratorINS0_17counting_iteratorImlEEZNS1_24adjacent_difference_implIS3_Lb1ELb0EPlSB_ZN2at6native12_GLOBAL__N_124unique_dim_cuda_templateIdEESt5tupleIJNSC_6TensorESH_SH_EERKSH_lbbbEUlllE1_EE10hipError_tPvRmT2_T3_mT4_P12ihipStream_tbEUlmE_lEESB_NS0_8identityIvEEEESM_SP_SQ_mSR_ST_bEUlT_E_NS1_11comp_targetILNS1_3genE10ELNS1_11target_archE1200ELNS1_3gpuE4ELNS1_3repE0EEENS1_30default_config_static_selectorELNS0_4arch9wavefront6targetE1EEEvT1_.has_recursion, 0
	.set _ZN7rocprim17ROCPRIM_400000_NS6detail17trampoline_kernelINS0_14default_configENS1_25transform_config_selectorIlLb0EEEZNS1_14transform_implILb0ES3_S5_NS0_18transform_iteratorINS0_17counting_iteratorImlEEZNS1_24adjacent_difference_implIS3_Lb1ELb0EPlSB_ZN2at6native12_GLOBAL__N_124unique_dim_cuda_templateIdEESt5tupleIJNSC_6TensorESH_SH_EERKSH_lbbbEUlllE1_EE10hipError_tPvRmT2_T3_mT4_P12ihipStream_tbEUlmE_lEESB_NS0_8identityIvEEEESM_SP_SQ_mSR_ST_bEUlT_E_NS1_11comp_targetILNS1_3genE10ELNS1_11target_archE1200ELNS1_3gpuE4ELNS1_3repE0EEENS1_30default_config_static_selectorELNS0_4arch9wavefront6targetE1EEEvT1_.has_indirect_call, 0
	.section	.AMDGPU.csdata,"",@progbits
; Kernel info:
; codeLenInByte = 0
; TotalNumSgprs: 6
; NumVgprs: 0
; NumAgprs: 0
; TotalNumVgprs: 0
; ScratchSize: 0
; MemoryBound: 0
; FloatMode: 240
; IeeeMode: 1
; LDSByteSize: 0 bytes/workgroup (compile time only)
; SGPRBlocks: 0
; VGPRBlocks: 0
; NumSGPRsForWavesPerEU: 6
; NumVGPRsForWavesPerEU: 1
; AccumOffset: 4
; Occupancy: 8
; WaveLimiterHint : 0
; COMPUTE_PGM_RSRC2:SCRATCH_EN: 0
; COMPUTE_PGM_RSRC2:USER_SGPR: 2
; COMPUTE_PGM_RSRC2:TRAP_HANDLER: 0
; COMPUTE_PGM_RSRC2:TGID_X_EN: 1
; COMPUTE_PGM_RSRC2:TGID_Y_EN: 0
; COMPUTE_PGM_RSRC2:TGID_Z_EN: 0
; COMPUTE_PGM_RSRC2:TIDIG_COMP_CNT: 0
; COMPUTE_PGM_RSRC3_GFX90A:ACCUM_OFFSET: 0
; COMPUTE_PGM_RSRC3_GFX90A:TG_SPLIT: 0
	.section	.text._ZN7rocprim17ROCPRIM_400000_NS6detail17trampoline_kernelINS0_14default_configENS1_25transform_config_selectorIlLb0EEEZNS1_14transform_implILb0ES3_S5_NS0_18transform_iteratorINS0_17counting_iteratorImlEEZNS1_24adjacent_difference_implIS3_Lb1ELb0EPlSB_ZN2at6native12_GLOBAL__N_124unique_dim_cuda_templateIdEESt5tupleIJNSC_6TensorESH_SH_EERKSH_lbbbEUlllE1_EE10hipError_tPvRmT2_T3_mT4_P12ihipStream_tbEUlmE_lEESB_NS0_8identityIvEEEESM_SP_SQ_mSR_ST_bEUlT_E_NS1_11comp_targetILNS1_3genE9ELNS1_11target_archE1100ELNS1_3gpuE3ELNS1_3repE0EEENS1_30default_config_static_selectorELNS0_4arch9wavefront6targetE1EEEvT1_,"axG",@progbits,_ZN7rocprim17ROCPRIM_400000_NS6detail17trampoline_kernelINS0_14default_configENS1_25transform_config_selectorIlLb0EEEZNS1_14transform_implILb0ES3_S5_NS0_18transform_iteratorINS0_17counting_iteratorImlEEZNS1_24adjacent_difference_implIS3_Lb1ELb0EPlSB_ZN2at6native12_GLOBAL__N_124unique_dim_cuda_templateIdEESt5tupleIJNSC_6TensorESH_SH_EERKSH_lbbbEUlllE1_EE10hipError_tPvRmT2_T3_mT4_P12ihipStream_tbEUlmE_lEESB_NS0_8identityIvEEEESM_SP_SQ_mSR_ST_bEUlT_E_NS1_11comp_targetILNS1_3genE9ELNS1_11target_archE1100ELNS1_3gpuE3ELNS1_3repE0EEENS1_30default_config_static_selectorELNS0_4arch9wavefront6targetE1EEEvT1_,comdat
	.globl	_ZN7rocprim17ROCPRIM_400000_NS6detail17trampoline_kernelINS0_14default_configENS1_25transform_config_selectorIlLb0EEEZNS1_14transform_implILb0ES3_S5_NS0_18transform_iteratorINS0_17counting_iteratorImlEEZNS1_24adjacent_difference_implIS3_Lb1ELb0EPlSB_ZN2at6native12_GLOBAL__N_124unique_dim_cuda_templateIdEESt5tupleIJNSC_6TensorESH_SH_EERKSH_lbbbEUlllE1_EE10hipError_tPvRmT2_T3_mT4_P12ihipStream_tbEUlmE_lEESB_NS0_8identityIvEEEESM_SP_SQ_mSR_ST_bEUlT_E_NS1_11comp_targetILNS1_3genE9ELNS1_11target_archE1100ELNS1_3gpuE3ELNS1_3repE0EEENS1_30default_config_static_selectorELNS0_4arch9wavefront6targetE1EEEvT1_ ; -- Begin function _ZN7rocprim17ROCPRIM_400000_NS6detail17trampoline_kernelINS0_14default_configENS1_25transform_config_selectorIlLb0EEEZNS1_14transform_implILb0ES3_S5_NS0_18transform_iteratorINS0_17counting_iteratorImlEEZNS1_24adjacent_difference_implIS3_Lb1ELb0EPlSB_ZN2at6native12_GLOBAL__N_124unique_dim_cuda_templateIdEESt5tupleIJNSC_6TensorESH_SH_EERKSH_lbbbEUlllE1_EE10hipError_tPvRmT2_T3_mT4_P12ihipStream_tbEUlmE_lEESB_NS0_8identityIvEEEESM_SP_SQ_mSR_ST_bEUlT_E_NS1_11comp_targetILNS1_3genE9ELNS1_11target_archE1100ELNS1_3gpuE3ELNS1_3repE0EEENS1_30default_config_static_selectorELNS0_4arch9wavefront6targetE1EEEvT1_
	.p2align	8
	.type	_ZN7rocprim17ROCPRIM_400000_NS6detail17trampoline_kernelINS0_14default_configENS1_25transform_config_selectorIlLb0EEEZNS1_14transform_implILb0ES3_S5_NS0_18transform_iteratorINS0_17counting_iteratorImlEEZNS1_24adjacent_difference_implIS3_Lb1ELb0EPlSB_ZN2at6native12_GLOBAL__N_124unique_dim_cuda_templateIdEESt5tupleIJNSC_6TensorESH_SH_EERKSH_lbbbEUlllE1_EE10hipError_tPvRmT2_T3_mT4_P12ihipStream_tbEUlmE_lEESB_NS0_8identityIvEEEESM_SP_SQ_mSR_ST_bEUlT_E_NS1_11comp_targetILNS1_3genE9ELNS1_11target_archE1100ELNS1_3gpuE3ELNS1_3repE0EEENS1_30default_config_static_selectorELNS0_4arch9wavefront6targetE1EEEvT1_,@function
_ZN7rocprim17ROCPRIM_400000_NS6detail17trampoline_kernelINS0_14default_configENS1_25transform_config_selectorIlLb0EEEZNS1_14transform_implILb0ES3_S5_NS0_18transform_iteratorINS0_17counting_iteratorImlEEZNS1_24adjacent_difference_implIS3_Lb1ELb0EPlSB_ZN2at6native12_GLOBAL__N_124unique_dim_cuda_templateIdEESt5tupleIJNSC_6TensorESH_SH_EERKSH_lbbbEUlllE1_EE10hipError_tPvRmT2_T3_mT4_P12ihipStream_tbEUlmE_lEESB_NS0_8identityIvEEEESM_SP_SQ_mSR_ST_bEUlT_E_NS1_11comp_targetILNS1_3genE9ELNS1_11target_archE1100ELNS1_3gpuE3ELNS1_3repE0EEENS1_30default_config_static_selectorELNS0_4arch9wavefront6targetE1EEEvT1_: ; @_ZN7rocprim17ROCPRIM_400000_NS6detail17trampoline_kernelINS0_14default_configENS1_25transform_config_selectorIlLb0EEEZNS1_14transform_implILb0ES3_S5_NS0_18transform_iteratorINS0_17counting_iteratorImlEEZNS1_24adjacent_difference_implIS3_Lb1ELb0EPlSB_ZN2at6native12_GLOBAL__N_124unique_dim_cuda_templateIdEESt5tupleIJNSC_6TensorESH_SH_EERKSH_lbbbEUlllE1_EE10hipError_tPvRmT2_T3_mT4_P12ihipStream_tbEUlmE_lEESB_NS0_8identityIvEEEESM_SP_SQ_mSR_ST_bEUlT_E_NS1_11comp_targetILNS1_3genE9ELNS1_11target_archE1100ELNS1_3gpuE3ELNS1_3repE0EEENS1_30default_config_static_selectorELNS0_4arch9wavefront6targetE1EEEvT1_
; %bb.0:
	.section	.rodata,"a",@progbits
	.p2align	6, 0x0
	.amdhsa_kernel _ZN7rocprim17ROCPRIM_400000_NS6detail17trampoline_kernelINS0_14default_configENS1_25transform_config_selectorIlLb0EEEZNS1_14transform_implILb0ES3_S5_NS0_18transform_iteratorINS0_17counting_iteratorImlEEZNS1_24adjacent_difference_implIS3_Lb1ELb0EPlSB_ZN2at6native12_GLOBAL__N_124unique_dim_cuda_templateIdEESt5tupleIJNSC_6TensorESH_SH_EERKSH_lbbbEUlllE1_EE10hipError_tPvRmT2_T3_mT4_P12ihipStream_tbEUlmE_lEESB_NS0_8identityIvEEEESM_SP_SQ_mSR_ST_bEUlT_E_NS1_11comp_targetILNS1_3genE9ELNS1_11target_archE1100ELNS1_3gpuE3ELNS1_3repE0EEENS1_30default_config_static_selectorELNS0_4arch9wavefront6targetE1EEEvT1_
		.amdhsa_group_segment_fixed_size 0
		.amdhsa_private_segment_fixed_size 0
		.amdhsa_kernarg_size 56
		.amdhsa_user_sgpr_count 2
		.amdhsa_user_sgpr_dispatch_ptr 0
		.amdhsa_user_sgpr_queue_ptr 0
		.amdhsa_user_sgpr_kernarg_segment_ptr 1
		.amdhsa_user_sgpr_dispatch_id 0
		.amdhsa_user_sgpr_kernarg_preload_length 0
		.amdhsa_user_sgpr_kernarg_preload_offset 0
		.amdhsa_user_sgpr_private_segment_size 0
		.amdhsa_uses_dynamic_stack 0
		.amdhsa_enable_private_segment 0
		.amdhsa_system_sgpr_workgroup_id_x 1
		.amdhsa_system_sgpr_workgroup_id_y 0
		.amdhsa_system_sgpr_workgroup_id_z 0
		.amdhsa_system_sgpr_workgroup_info 0
		.amdhsa_system_vgpr_workitem_id 0
		.amdhsa_next_free_vgpr 1
		.amdhsa_next_free_sgpr 0
		.amdhsa_accum_offset 4
		.amdhsa_reserve_vcc 0
		.amdhsa_float_round_mode_32 0
		.amdhsa_float_round_mode_16_64 0
		.amdhsa_float_denorm_mode_32 3
		.amdhsa_float_denorm_mode_16_64 3
		.amdhsa_dx10_clamp 1
		.amdhsa_ieee_mode 1
		.amdhsa_fp16_overflow 0
		.amdhsa_tg_split 0
		.amdhsa_exception_fp_ieee_invalid_op 0
		.amdhsa_exception_fp_denorm_src 0
		.amdhsa_exception_fp_ieee_div_zero 0
		.amdhsa_exception_fp_ieee_overflow 0
		.amdhsa_exception_fp_ieee_underflow 0
		.amdhsa_exception_fp_ieee_inexact 0
		.amdhsa_exception_int_div_zero 0
	.end_amdhsa_kernel
	.section	.text._ZN7rocprim17ROCPRIM_400000_NS6detail17trampoline_kernelINS0_14default_configENS1_25transform_config_selectorIlLb0EEEZNS1_14transform_implILb0ES3_S5_NS0_18transform_iteratorINS0_17counting_iteratorImlEEZNS1_24adjacent_difference_implIS3_Lb1ELb0EPlSB_ZN2at6native12_GLOBAL__N_124unique_dim_cuda_templateIdEESt5tupleIJNSC_6TensorESH_SH_EERKSH_lbbbEUlllE1_EE10hipError_tPvRmT2_T3_mT4_P12ihipStream_tbEUlmE_lEESB_NS0_8identityIvEEEESM_SP_SQ_mSR_ST_bEUlT_E_NS1_11comp_targetILNS1_3genE9ELNS1_11target_archE1100ELNS1_3gpuE3ELNS1_3repE0EEENS1_30default_config_static_selectorELNS0_4arch9wavefront6targetE1EEEvT1_,"axG",@progbits,_ZN7rocprim17ROCPRIM_400000_NS6detail17trampoline_kernelINS0_14default_configENS1_25transform_config_selectorIlLb0EEEZNS1_14transform_implILb0ES3_S5_NS0_18transform_iteratorINS0_17counting_iteratorImlEEZNS1_24adjacent_difference_implIS3_Lb1ELb0EPlSB_ZN2at6native12_GLOBAL__N_124unique_dim_cuda_templateIdEESt5tupleIJNSC_6TensorESH_SH_EERKSH_lbbbEUlllE1_EE10hipError_tPvRmT2_T3_mT4_P12ihipStream_tbEUlmE_lEESB_NS0_8identityIvEEEESM_SP_SQ_mSR_ST_bEUlT_E_NS1_11comp_targetILNS1_3genE9ELNS1_11target_archE1100ELNS1_3gpuE3ELNS1_3repE0EEENS1_30default_config_static_selectorELNS0_4arch9wavefront6targetE1EEEvT1_,comdat
.Lfunc_end797:
	.size	_ZN7rocprim17ROCPRIM_400000_NS6detail17trampoline_kernelINS0_14default_configENS1_25transform_config_selectorIlLb0EEEZNS1_14transform_implILb0ES3_S5_NS0_18transform_iteratorINS0_17counting_iteratorImlEEZNS1_24adjacent_difference_implIS3_Lb1ELb0EPlSB_ZN2at6native12_GLOBAL__N_124unique_dim_cuda_templateIdEESt5tupleIJNSC_6TensorESH_SH_EERKSH_lbbbEUlllE1_EE10hipError_tPvRmT2_T3_mT4_P12ihipStream_tbEUlmE_lEESB_NS0_8identityIvEEEESM_SP_SQ_mSR_ST_bEUlT_E_NS1_11comp_targetILNS1_3genE9ELNS1_11target_archE1100ELNS1_3gpuE3ELNS1_3repE0EEENS1_30default_config_static_selectorELNS0_4arch9wavefront6targetE1EEEvT1_, .Lfunc_end797-_ZN7rocprim17ROCPRIM_400000_NS6detail17trampoline_kernelINS0_14default_configENS1_25transform_config_selectorIlLb0EEEZNS1_14transform_implILb0ES3_S5_NS0_18transform_iteratorINS0_17counting_iteratorImlEEZNS1_24adjacent_difference_implIS3_Lb1ELb0EPlSB_ZN2at6native12_GLOBAL__N_124unique_dim_cuda_templateIdEESt5tupleIJNSC_6TensorESH_SH_EERKSH_lbbbEUlllE1_EE10hipError_tPvRmT2_T3_mT4_P12ihipStream_tbEUlmE_lEESB_NS0_8identityIvEEEESM_SP_SQ_mSR_ST_bEUlT_E_NS1_11comp_targetILNS1_3genE9ELNS1_11target_archE1100ELNS1_3gpuE3ELNS1_3repE0EEENS1_30default_config_static_selectorELNS0_4arch9wavefront6targetE1EEEvT1_
                                        ; -- End function
	.set _ZN7rocprim17ROCPRIM_400000_NS6detail17trampoline_kernelINS0_14default_configENS1_25transform_config_selectorIlLb0EEEZNS1_14transform_implILb0ES3_S5_NS0_18transform_iteratorINS0_17counting_iteratorImlEEZNS1_24adjacent_difference_implIS3_Lb1ELb0EPlSB_ZN2at6native12_GLOBAL__N_124unique_dim_cuda_templateIdEESt5tupleIJNSC_6TensorESH_SH_EERKSH_lbbbEUlllE1_EE10hipError_tPvRmT2_T3_mT4_P12ihipStream_tbEUlmE_lEESB_NS0_8identityIvEEEESM_SP_SQ_mSR_ST_bEUlT_E_NS1_11comp_targetILNS1_3genE9ELNS1_11target_archE1100ELNS1_3gpuE3ELNS1_3repE0EEENS1_30default_config_static_selectorELNS0_4arch9wavefront6targetE1EEEvT1_.num_vgpr, 0
	.set _ZN7rocprim17ROCPRIM_400000_NS6detail17trampoline_kernelINS0_14default_configENS1_25transform_config_selectorIlLb0EEEZNS1_14transform_implILb0ES3_S5_NS0_18transform_iteratorINS0_17counting_iteratorImlEEZNS1_24adjacent_difference_implIS3_Lb1ELb0EPlSB_ZN2at6native12_GLOBAL__N_124unique_dim_cuda_templateIdEESt5tupleIJNSC_6TensorESH_SH_EERKSH_lbbbEUlllE1_EE10hipError_tPvRmT2_T3_mT4_P12ihipStream_tbEUlmE_lEESB_NS0_8identityIvEEEESM_SP_SQ_mSR_ST_bEUlT_E_NS1_11comp_targetILNS1_3genE9ELNS1_11target_archE1100ELNS1_3gpuE3ELNS1_3repE0EEENS1_30default_config_static_selectorELNS0_4arch9wavefront6targetE1EEEvT1_.num_agpr, 0
	.set _ZN7rocprim17ROCPRIM_400000_NS6detail17trampoline_kernelINS0_14default_configENS1_25transform_config_selectorIlLb0EEEZNS1_14transform_implILb0ES3_S5_NS0_18transform_iteratorINS0_17counting_iteratorImlEEZNS1_24adjacent_difference_implIS3_Lb1ELb0EPlSB_ZN2at6native12_GLOBAL__N_124unique_dim_cuda_templateIdEESt5tupleIJNSC_6TensorESH_SH_EERKSH_lbbbEUlllE1_EE10hipError_tPvRmT2_T3_mT4_P12ihipStream_tbEUlmE_lEESB_NS0_8identityIvEEEESM_SP_SQ_mSR_ST_bEUlT_E_NS1_11comp_targetILNS1_3genE9ELNS1_11target_archE1100ELNS1_3gpuE3ELNS1_3repE0EEENS1_30default_config_static_selectorELNS0_4arch9wavefront6targetE1EEEvT1_.numbered_sgpr, 0
	.set _ZN7rocprim17ROCPRIM_400000_NS6detail17trampoline_kernelINS0_14default_configENS1_25transform_config_selectorIlLb0EEEZNS1_14transform_implILb0ES3_S5_NS0_18transform_iteratorINS0_17counting_iteratorImlEEZNS1_24adjacent_difference_implIS3_Lb1ELb0EPlSB_ZN2at6native12_GLOBAL__N_124unique_dim_cuda_templateIdEESt5tupleIJNSC_6TensorESH_SH_EERKSH_lbbbEUlllE1_EE10hipError_tPvRmT2_T3_mT4_P12ihipStream_tbEUlmE_lEESB_NS0_8identityIvEEEESM_SP_SQ_mSR_ST_bEUlT_E_NS1_11comp_targetILNS1_3genE9ELNS1_11target_archE1100ELNS1_3gpuE3ELNS1_3repE0EEENS1_30default_config_static_selectorELNS0_4arch9wavefront6targetE1EEEvT1_.num_named_barrier, 0
	.set _ZN7rocprim17ROCPRIM_400000_NS6detail17trampoline_kernelINS0_14default_configENS1_25transform_config_selectorIlLb0EEEZNS1_14transform_implILb0ES3_S5_NS0_18transform_iteratorINS0_17counting_iteratorImlEEZNS1_24adjacent_difference_implIS3_Lb1ELb0EPlSB_ZN2at6native12_GLOBAL__N_124unique_dim_cuda_templateIdEESt5tupleIJNSC_6TensorESH_SH_EERKSH_lbbbEUlllE1_EE10hipError_tPvRmT2_T3_mT4_P12ihipStream_tbEUlmE_lEESB_NS0_8identityIvEEEESM_SP_SQ_mSR_ST_bEUlT_E_NS1_11comp_targetILNS1_3genE9ELNS1_11target_archE1100ELNS1_3gpuE3ELNS1_3repE0EEENS1_30default_config_static_selectorELNS0_4arch9wavefront6targetE1EEEvT1_.private_seg_size, 0
	.set _ZN7rocprim17ROCPRIM_400000_NS6detail17trampoline_kernelINS0_14default_configENS1_25transform_config_selectorIlLb0EEEZNS1_14transform_implILb0ES3_S5_NS0_18transform_iteratorINS0_17counting_iteratorImlEEZNS1_24adjacent_difference_implIS3_Lb1ELb0EPlSB_ZN2at6native12_GLOBAL__N_124unique_dim_cuda_templateIdEESt5tupleIJNSC_6TensorESH_SH_EERKSH_lbbbEUlllE1_EE10hipError_tPvRmT2_T3_mT4_P12ihipStream_tbEUlmE_lEESB_NS0_8identityIvEEEESM_SP_SQ_mSR_ST_bEUlT_E_NS1_11comp_targetILNS1_3genE9ELNS1_11target_archE1100ELNS1_3gpuE3ELNS1_3repE0EEENS1_30default_config_static_selectorELNS0_4arch9wavefront6targetE1EEEvT1_.uses_vcc, 0
	.set _ZN7rocprim17ROCPRIM_400000_NS6detail17trampoline_kernelINS0_14default_configENS1_25transform_config_selectorIlLb0EEEZNS1_14transform_implILb0ES3_S5_NS0_18transform_iteratorINS0_17counting_iteratorImlEEZNS1_24adjacent_difference_implIS3_Lb1ELb0EPlSB_ZN2at6native12_GLOBAL__N_124unique_dim_cuda_templateIdEESt5tupleIJNSC_6TensorESH_SH_EERKSH_lbbbEUlllE1_EE10hipError_tPvRmT2_T3_mT4_P12ihipStream_tbEUlmE_lEESB_NS0_8identityIvEEEESM_SP_SQ_mSR_ST_bEUlT_E_NS1_11comp_targetILNS1_3genE9ELNS1_11target_archE1100ELNS1_3gpuE3ELNS1_3repE0EEENS1_30default_config_static_selectorELNS0_4arch9wavefront6targetE1EEEvT1_.uses_flat_scratch, 0
	.set _ZN7rocprim17ROCPRIM_400000_NS6detail17trampoline_kernelINS0_14default_configENS1_25transform_config_selectorIlLb0EEEZNS1_14transform_implILb0ES3_S5_NS0_18transform_iteratorINS0_17counting_iteratorImlEEZNS1_24adjacent_difference_implIS3_Lb1ELb0EPlSB_ZN2at6native12_GLOBAL__N_124unique_dim_cuda_templateIdEESt5tupleIJNSC_6TensorESH_SH_EERKSH_lbbbEUlllE1_EE10hipError_tPvRmT2_T3_mT4_P12ihipStream_tbEUlmE_lEESB_NS0_8identityIvEEEESM_SP_SQ_mSR_ST_bEUlT_E_NS1_11comp_targetILNS1_3genE9ELNS1_11target_archE1100ELNS1_3gpuE3ELNS1_3repE0EEENS1_30default_config_static_selectorELNS0_4arch9wavefront6targetE1EEEvT1_.has_dyn_sized_stack, 0
	.set _ZN7rocprim17ROCPRIM_400000_NS6detail17trampoline_kernelINS0_14default_configENS1_25transform_config_selectorIlLb0EEEZNS1_14transform_implILb0ES3_S5_NS0_18transform_iteratorINS0_17counting_iteratorImlEEZNS1_24adjacent_difference_implIS3_Lb1ELb0EPlSB_ZN2at6native12_GLOBAL__N_124unique_dim_cuda_templateIdEESt5tupleIJNSC_6TensorESH_SH_EERKSH_lbbbEUlllE1_EE10hipError_tPvRmT2_T3_mT4_P12ihipStream_tbEUlmE_lEESB_NS0_8identityIvEEEESM_SP_SQ_mSR_ST_bEUlT_E_NS1_11comp_targetILNS1_3genE9ELNS1_11target_archE1100ELNS1_3gpuE3ELNS1_3repE0EEENS1_30default_config_static_selectorELNS0_4arch9wavefront6targetE1EEEvT1_.has_recursion, 0
	.set _ZN7rocprim17ROCPRIM_400000_NS6detail17trampoline_kernelINS0_14default_configENS1_25transform_config_selectorIlLb0EEEZNS1_14transform_implILb0ES3_S5_NS0_18transform_iteratorINS0_17counting_iteratorImlEEZNS1_24adjacent_difference_implIS3_Lb1ELb0EPlSB_ZN2at6native12_GLOBAL__N_124unique_dim_cuda_templateIdEESt5tupleIJNSC_6TensorESH_SH_EERKSH_lbbbEUlllE1_EE10hipError_tPvRmT2_T3_mT4_P12ihipStream_tbEUlmE_lEESB_NS0_8identityIvEEEESM_SP_SQ_mSR_ST_bEUlT_E_NS1_11comp_targetILNS1_3genE9ELNS1_11target_archE1100ELNS1_3gpuE3ELNS1_3repE0EEENS1_30default_config_static_selectorELNS0_4arch9wavefront6targetE1EEEvT1_.has_indirect_call, 0
	.section	.AMDGPU.csdata,"",@progbits
; Kernel info:
; codeLenInByte = 0
; TotalNumSgprs: 6
; NumVgprs: 0
; NumAgprs: 0
; TotalNumVgprs: 0
; ScratchSize: 0
; MemoryBound: 0
; FloatMode: 240
; IeeeMode: 1
; LDSByteSize: 0 bytes/workgroup (compile time only)
; SGPRBlocks: 0
; VGPRBlocks: 0
; NumSGPRsForWavesPerEU: 6
; NumVGPRsForWavesPerEU: 1
; AccumOffset: 4
; Occupancy: 8
; WaveLimiterHint : 0
; COMPUTE_PGM_RSRC2:SCRATCH_EN: 0
; COMPUTE_PGM_RSRC2:USER_SGPR: 2
; COMPUTE_PGM_RSRC2:TRAP_HANDLER: 0
; COMPUTE_PGM_RSRC2:TGID_X_EN: 1
; COMPUTE_PGM_RSRC2:TGID_Y_EN: 0
; COMPUTE_PGM_RSRC2:TGID_Z_EN: 0
; COMPUTE_PGM_RSRC2:TIDIG_COMP_CNT: 0
; COMPUTE_PGM_RSRC3_GFX90A:ACCUM_OFFSET: 0
; COMPUTE_PGM_RSRC3_GFX90A:TG_SPLIT: 0
	.section	.text._ZN7rocprim17ROCPRIM_400000_NS6detail17trampoline_kernelINS0_14default_configENS1_25transform_config_selectorIlLb0EEEZNS1_14transform_implILb0ES3_S5_NS0_18transform_iteratorINS0_17counting_iteratorImlEEZNS1_24adjacent_difference_implIS3_Lb1ELb0EPlSB_ZN2at6native12_GLOBAL__N_124unique_dim_cuda_templateIdEESt5tupleIJNSC_6TensorESH_SH_EERKSH_lbbbEUlllE1_EE10hipError_tPvRmT2_T3_mT4_P12ihipStream_tbEUlmE_lEESB_NS0_8identityIvEEEESM_SP_SQ_mSR_ST_bEUlT_E_NS1_11comp_targetILNS1_3genE8ELNS1_11target_archE1030ELNS1_3gpuE2ELNS1_3repE0EEENS1_30default_config_static_selectorELNS0_4arch9wavefront6targetE1EEEvT1_,"axG",@progbits,_ZN7rocprim17ROCPRIM_400000_NS6detail17trampoline_kernelINS0_14default_configENS1_25transform_config_selectorIlLb0EEEZNS1_14transform_implILb0ES3_S5_NS0_18transform_iteratorINS0_17counting_iteratorImlEEZNS1_24adjacent_difference_implIS3_Lb1ELb0EPlSB_ZN2at6native12_GLOBAL__N_124unique_dim_cuda_templateIdEESt5tupleIJNSC_6TensorESH_SH_EERKSH_lbbbEUlllE1_EE10hipError_tPvRmT2_T3_mT4_P12ihipStream_tbEUlmE_lEESB_NS0_8identityIvEEEESM_SP_SQ_mSR_ST_bEUlT_E_NS1_11comp_targetILNS1_3genE8ELNS1_11target_archE1030ELNS1_3gpuE2ELNS1_3repE0EEENS1_30default_config_static_selectorELNS0_4arch9wavefront6targetE1EEEvT1_,comdat
	.globl	_ZN7rocprim17ROCPRIM_400000_NS6detail17trampoline_kernelINS0_14default_configENS1_25transform_config_selectorIlLb0EEEZNS1_14transform_implILb0ES3_S5_NS0_18transform_iteratorINS0_17counting_iteratorImlEEZNS1_24adjacent_difference_implIS3_Lb1ELb0EPlSB_ZN2at6native12_GLOBAL__N_124unique_dim_cuda_templateIdEESt5tupleIJNSC_6TensorESH_SH_EERKSH_lbbbEUlllE1_EE10hipError_tPvRmT2_T3_mT4_P12ihipStream_tbEUlmE_lEESB_NS0_8identityIvEEEESM_SP_SQ_mSR_ST_bEUlT_E_NS1_11comp_targetILNS1_3genE8ELNS1_11target_archE1030ELNS1_3gpuE2ELNS1_3repE0EEENS1_30default_config_static_selectorELNS0_4arch9wavefront6targetE1EEEvT1_ ; -- Begin function _ZN7rocprim17ROCPRIM_400000_NS6detail17trampoline_kernelINS0_14default_configENS1_25transform_config_selectorIlLb0EEEZNS1_14transform_implILb0ES3_S5_NS0_18transform_iteratorINS0_17counting_iteratorImlEEZNS1_24adjacent_difference_implIS3_Lb1ELb0EPlSB_ZN2at6native12_GLOBAL__N_124unique_dim_cuda_templateIdEESt5tupleIJNSC_6TensorESH_SH_EERKSH_lbbbEUlllE1_EE10hipError_tPvRmT2_T3_mT4_P12ihipStream_tbEUlmE_lEESB_NS0_8identityIvEEEESM_SP_SQ_mSR_ST_bEUlT_E_NS1_11comp_targetILNS1_3genE8ELNS1_11target_archE1030ELNS1_3gpuE2ELNS1_3repE0EEENS1_30default_config_static_selectorELNS0_4arch9wavefront6targetE1EEEvT1_
	.p2align	8
	.type	_ZN7rocprim17ROCPRIM_400000_NS6detail17trampoline_kernelINS0_14default_configENS1_25transform_config_selectorIlLb0EEEZNS1_14transform_implILb0ES3_S5_NS0_18transform_iteratorINS0_17counting_iteratorImlEEZNS1_24adjacent_difference_implIS3_Lb1ELb0EPlSB_ZN2at6native12_GLOBAL__N_124unique_dim_cuda_templateIdEESt5tupleIJNSC_6TensorESH_SH_EERKSH_lbbbEUlllE1_EE10hipError_tPvRmT2_T3_mT4_P12ihipStream_tbEUlmE_lEESB_NS0_8identityIvEEEESM_SP_SQ_mSR_ST_bEUlT_E_NS1_11comp_targetILNS1_3genE8ELNS1_11target_archE1030ELNS1_3gpuE2ELNS1_3repE0EEENS1_30default_config_static_selectorELNS0_4arch9wavefront6targetE1EEEvT1_,@function
_ZN7rocprim17ROCPRIM_400000_NS6detail17trampoline_kernelINS0_14default_configENS1_25transform_config_selectorIlLb0EEEZNS1_14transform_implILb0ES3_S5_NS0_18transform_iteratorINS0_17counting_iteratorImlEEZNS1_24adjacent_difference_implIS3_Lb1ELb0EPlSB_ZN2at6native12_GLOBAL__N_124unique_dim_cuda_templateIdEESt5tupleIJNSC_6TensorESH_SH_EERKSH_lbbbEUlllE1_EE10hipError_tPvRmT2_T3_mT4_P12ihipStream_tbEUlmE_lEESB_NS0_8identityIvEEEESM_SP_SQ_mSR_ST_bEUlT_E_NS1_11comp_targetILNS1_3genE8ELNS1_11target_archE1030ELNS1_3gpuE2ELNS1_3repE0EEENS1_30default_config_static_selectorELNS0_4arch9wavefront6targetE1EEEvT1_: ; @_ZN7rocprim17ROCPRIM_400000_NS6detail17trampoline_kernelINS0_14default_configENS1_25transform_config_selectorIlLb0EEEZNS1_14transform_implILb0ES3_S5_NS0_18transform_iteratorINS0_17counting_iteratorImlEEZNS1_24adjacent_difference_implIS3_Lb1ELb0EPlSB_ZN2at6native12_GLOBAL__N_124unique_dim_cuda_templateIdEESt5tupleIJNSC_6TensorESH_SH_EERKSH_lbbbEUlllE1_EE10hipError_tPvRmT2_T3_mT4_P12ihipStream_tbEUlmE_lEESB_NS0_8identityIvEEEESM_SP_SQ_mSR_ST_bEUlT_E_NS1_11comp_targetILNS1_3genE8ELNS1_11target_archE1030ELNS1_3gpuE2ELNS1_3repE0EEENS1_30default_config_static_selectorELNS0_4arch9wavefront6targetE1EEEvT1_
; %bb.0:
	.section	.rodata,"a",@progbits
	.p2align	6, 0x0
	.amdhsa_kernel _ZN7rocprim17ROCPRIM_400000_NS6detail17trampoline_kernelINS0_14default_configENS1_25transform_config_selectorIlLb0EEEZNS1_14transform_implILb0ES3_S5_NS0_18transform_iteratorINS0_17counting_iteratorImlEEZNS1_24adjacent_difference_implIS3_Lb1ELb0EPlSB_ZN2at6native12_GLOBAL__N_124unique_dim_cuda_templateIdEESt5tupleIJNSC_6TensorESH_SH_EERKSH_lbbbEUlllE1_EE10hipError_tPvRmT2_T3_mT4_P12ihipStream_tbEUlmE_lEESB_NS0_8identityIvEEEESM_SP_SQ_mSR_ST_bEUlT_E_NS1_11comp_targetILNS1_3genE8ELNS1_11target_archE1030ELNS1_3gpuE2ELNS1_3repE0EEENS1_30default_config_static_selectorELNS0_4arch9wavefront6targetE1EEEvT1_
		.amdhsa_group_segment_fixed_size 0
		.amdhsa_private_segment_fixed_size 0
		.amdhsa_kernarg_size 56
		.amdhsa_user_sgpr_count 2
		.amdhsa_user_sgpr_dispatch_ptr 0
		.amdhsa_user_sgpr_queue_ptr 0
		.amdhsa_user_sgpr_kernarg_segment_ptr 1
		.amdhsa_user_sgpr_dispatch_id 0
		.amdhsa_user_sgpr_kernarg_preload_length 0
		.amdhsa_user_sgpr_kernarg_preload_offset 0
		.amdhsa_user_sgpr_private_segment_size 0
		.amdhsa_uses_dynamic_stack 0
		.amdhsa_enable_private_segment 0
		.amdhsa_system_sgpr_workgroup_id_x 1
		.amdhsa_system_sgpr_workgroup_id_y 0
		.amdhsa_system_sgpr_workgroup_id_z 0
		.amdhsa_system_sgpr_workgroup_info 0
		.amdhsa_system_vgpr_workitem_id 0
		.amdhsa_next_free_vgpr 1
		.amdhsa_next_free_sgpr 0
		.amdhsa_accum_offset 4
		.amdhsa_reserve_vcc 0
		.amdhsa_float_round_mode_32 0
		.amdhsa_float_round_mode_16_64 0
		.amdhsa_float_denorm_mode_32 3
		.amdhsa_float_denorm_mode_16_64 3
		.amdhsa_dx10_clamp 1
		.amdhsa_ieee_mode 1
		.amdhsa_fp16_overflow 0
		.amdhsa_tg_split 0
		.amdhsa_exception_fp_ieee_invalid_op 0
		.amdhsa_exception_fp_denorm_src 0
		.amdhsa_exception_fp_ieee_div_zero 0
		.amdhsa_exception_fp_ieee_overflow 0
		.amdhsa_exception_fp_ieee_underflow 0
		.amdhsa_exception_fp_ieee_inexact 0
		.amdhsa_exception_int_div_zero 0
	.end_amdhsa_kernel
	.section	.text._ZN7rocprim17ROCPRIM_400000_NS6detail17trampoline_kernelINS0_14default_configENS1_25transform_config_selectorIlLb0EEEZNS1_14transform_implILb0ES3_S5_NS0_18transform_iteratorINS0_17counting_iteratorImlEEZNS1_24adjacent_difference_implIS3_Lb1ELb0EPlSB_ZN2at6native12_GLOBAL__N_124unique_dim_cuda_templateIdEESt5tupleIJNSC_6TensorESH_SH_EERKSH_lbbbEUlllE1_EE10hipError_tPvRmT2_T3_mT4_P12ihipStream_tbEUlmE_lEESB_NS0_8identityIvEEEESM_SP_SQ_mSR_ST_bEUlT_E_NS1_11comp_targetILNS1_3genE8ELNS1_11target_archE1030ELNS1_3gpuE2ELNS1_3repE0EEENS1_30default_config_static_selectorELNS0_4arch9wavefront6targetE1EEEvT1_,"axG",@progbits,_ZN7rocprim17ROCPRIM_400000_NS6detail17trampoline_kernelINS0_14default_configENS1_25transform_config_selectorIlLb0EEEZNS1_14transform_implILb0ES3_S5_NS0_18transform_iteratorINS0_17counting_iteratorImlEEZNS1_24adjacent_difference_implIS3_Lb1ELb0EPlSB_ZN2at6native12_GLOBAL__N_124unique_dim_cuda_templateIdEESt5tupleIJNSC_6TensorESH_SH_EERKSH_lbbbEUlllE1_EE10hipError_tPvRmT2_T3_mT4_P12ihipStream_tbEUlmE_lEESB_NS0_8identityIvEEEESM_SP_SQ_mSR_ST_bEUlT_E_NS1_11comp_targetILNS1_3genE8ELNS1_11target_archE1030ELNS1_3gpuE2ELNS1_3repE0EEENS1_30default_config_static_selectorELNS0_4arch9wavefront6targetE1EEEvT1_,comdat
.Lfunc_end798:
	.size	_ZN7rocprim17ROCPRIM_400000_NS6detail17trampoline_kernelINS0_14default_configENS1_25transform_config_selectorIlLb0EEEZNS1_14transform_implILb0ES3_S5_NS0_18transform_iteratorINS0_17counting_iteratorImlEEZNS1_24adjacent_difference_implIS3_Lb1ELb0EPlSB_ZN2at6native12_GLOBAL__N_124unique_dim_cuda_templateIdEESt5tupleIJNSC_6TensorESH_SH_EERKSH_lbbbEUlllE1_EE10hipError_tPvRmT2_T3_mT4_P12ihipStream_tbEUlmE_lEESB_NS0_8identityIvEEEESM_SP_SQ_mSR_ST_bEUlT_E_NS1_11comp_targetILNS1_3genE8ELNS1_11target_archE1030ELNS1_3gpuE2ELNS1_3repE0EEENS1_30default_config_static_selectorELNS0_4arch9wavefront6targetE1EEEvT1_, .Lfunc_end798-_ZN7rocprim17ROCPRIM_400000_NS6detail17trampoline_kernelINS0_14default_configENS1_25transform_config_selectorIlLb0EEEZNS1_14transform_implILb0ES3_S5_NS0_18transform_iteratorINS0_17counting_iteratorImlEEZNS1_24adjacent_difference_implIS3_Lb1ELb0EPlSB_ZN2at6native12_GLOBAL__N_124unique_dim_cuda_templateIdEESt5tupleIJNSC_6TensorESH_SH_EERKSH_lbbbEUlllE1_EE10hipError_tPvRmT2_T3_mT4_P12ihipStream_tbEUlmE_lEESB_NS0_8identityIvEEEESM_SP_SQ_mSR_ST_bEUlT_E_NS1_11comp_targetILNS1_3genE8ELNS1_11target_archE1030ELNS1_3gpuE2ELNS1_3repE0EEENS1_30default_config_static_selectorELNS0_4arch9wavefront6targetE1EEEvT1_
                                        ; -- End function
	.set _ZN7rocprim17ROCPRIM_400000_NS6detail17trampoline_kernelINS0_14default_configENS1_25transform_config_selectorIlLb0EEEZNS1_14transform_implILb0ES3_S5_NS0_18transform_iteratorINS0_17counting_iteratorImlEEZNS1_24adjacent_difference_implIS3_Lb1ELb0EPlSB_ZN2at6native12_GLOBAL__N_124unique_dim_cuda_templateIdEESt5tupleIJNSC_6TensorESH_SH_EERKSH_lbbbEUlllE1_EE10hipError_tPvRmT2_T3_mT4_P12ihipStream_tbEUlmE_lEESB_NS0_8identityIvEEEESM_SP_SQ_mSR_ST_bEUlT_E_NS1_11comp_targetILNS1_3genE8ELNS1_11target_archE1030ELNS1_3gpuE2ELNS1_3repE0EEENS1_30default_config_static_selectorELNS0_4arch9wavefront6targetE1EEEvT1_.num_vgpr, 0
	.set _ZN7rocprim17ROCPRIM_400000_NS6detail17trampoline_kernelINS0_14default_configENS1_25transform_config_selectorIlLb0EEEZNS1_14transform_implILb0ES3_S5_NS0_18transform_iteratorINS0_17counting_iteratorImlEEZNS1_24adjacent_difference_implIS3_Lb1ELb0EPlSB_ZN2at6native12_GLOBAL__N_124unique_dim_cuda_templateIdEESt5tupleIJNSC_6TensorESH_SH_EERKSH_lbbbEUlllE1_EE10hipError_tPvRmT2_T3_mT4_P12ihipStream_tbEUlmE_lEESB_NS0_8identityIvEEEESM_SP_SQ_mSR_ST_bEUlT_E_NS1_11comp_targetILNS1_3genE8ELNS1_11target_archE1030ELNS1_3gpuE2ELNS1_3repE0EEENS1_30default_config_static_selectorELNS0_4arch9wavefront6targetE1EEEvT1_.num_agpr, 0
	.set _ZN7rocprim17ROCPRIM_400000_NS6detail17trampoline_kernelINS0_14default_configENS1_25transform_config_selectorIlLb0EEEZNS1_14transform_implILb0ES3_S5_NS0_18transform_iteratorINS0_17counting_iteratorImlEEZNS1_24adjacent_difference_implIS3_Lb1ELb0EPlSB_ZN2at6native12_GLOBAL__N_124unique_dim_cuda_templateIdEESt5tupleIJNSC_6TensorESH_SH_EERKSH_lbbbEUlllE1_EE10hipError_tPvRmT2_T3_mT4_P12ihipStream_tbEUlmE_lEESB_NS0_8identityIvEEEESM_SP_SQ_mSR_ST_bEUlT_E_NS1_11comp_targetILNS1_3genE8ELNS1_11target_archE1030ELNS1_3gpuE2ELNS1_3repE0EEENS1_30default_config_static_selectorELNS0_4arch9wavefront6targetE1EEEvT1_.numbered_sgpr, 0
	.set _ZN7rocprim17ROCPRIM_400000_NS6detail17trampoline_kernelINS0_14default_configENS1_25transform_config_selectorIlLb0EEEZNS1_14transform_implILb0ES3_S5_NS0_18transform_iteratorINS0_17counting_iteratorImlEEZNS1_24adjacent_difference_implIS3_Lb1ELb0EPlSB_ZN2at6native12_GLOBAL__N_124unique_dim_cuda_templateIdEESt5tupleIJNSC_6TensorESH_SH_EERKSH_lbbbEUlllE1_EE10hipError_tPvRmT2_T3_mT4_P12ihipStream_tbEUlmE_lEESB_NS0_8identityIvEEEESM_SP_SQ_mSR_ST_bEUlT_E_NS1_11comp_targetILNS1_3genE8ELNS1_11target_archE1030ELNS1_3gpuE2ELNS1_3repE0EEENS1_30default_config_static_selectorELNS0_4arch9wavefront6targetE1EEEvT1_.num_named_barrier, 0
	.set _ZN7rocprim17ROCPRIM_400000_NS6detail17trampoline_kernelINS0_14default_configENS1_25transform_config_selectorIlLb0EEEZNS1_14transform_implILb0ES3_S5_NS0_18transform_iteratorINS0_17counting_iteratorImlEEZNS1_24adjacent_difference_implIS3_Lb1ELb0EPlSB_ZN2at6native12_GLOBAL__N_124unique_dim_cuda_templateIdEESt5tupleIJNSC_6TensorESH_SH_EERKSH_lbbbEUlllE1_EE10hipError_tPvRmT2_T3_mT4_P12ihipStream_tbEUlmE_lEESB_NS0_8identityIvEEEESM_SP_SQ_mSR_ST_bEUlT_E_NS1_11comp_targetILNS1_3genE8ELNS1_11target_archE1030ELNS1_3gpuE2ELNS1_3repE0EEENS1_30default_config_static_selectorELNS0_4arch9wavefront6targetE1EEEvT1_.private_seg_size, 0
	.set _ZN7rocprim17ROCPRIM_400000_NS6detail17trampoline_kernelINS0_14default_configENS1_25transform_config_selectorIlLb0EEEZNS1_14transform_implILb0ES3_S5_NS0_18transform_iteratorINS0_17counting_iteratorImlEEZNS1_24adjacent_difference_implIS3_Lb1ELb0EPlSB_ZN2at6native12_GLOBAL__N_124unique_dim_cuda_templateIdEESt5tupleIJNSC_6TensorESH_SH_EERKSH_lbbbEUlllE1_EE10hipError_tPvRmT2_T3_mT4_P12ihipStream_tbEUlmE_lEESB_NS0_8identityIvEEEESM_SP_SQ_mSR_ST_bEUlT_E_NS1_11comp_targetILNS1_3genE8ELNS1_11target_archE1030ELNS1_3gpuE2ELNS1_3repE0EEENS1_30default_config_static_selectorELNS0_4arch9wavefront6targetE1EEEvT1_.uses_vcc, 0
	.set _ZN7rocprim17ROCPRIM_400000_NS6detail17trampoline_kernelINS0_14default_configENS1_25transform_config_selectorIlLb0EEEZNS1_14transform_implILb0ES3_S5_NS0_18transform_iteratorINS0_17counting_iteratorImlEEZNS1_24adjacent_difference_implIS3_Lb1ELb0EPlSB_ZN2at6native12_GLOBAL__N_124unique_dim_cuda_templateIdEESt5tupleIJNSC_6TensorESH_SH_EERKSH_lbbbEUlllE1_EE10hipError_tPvRmT2_T3_mT4_P12ihipStream_tbEUlmE_lEESB_NS0_8identityIvEEEESM_SP_SQ_mSR_ST_bEUlT_E_NS1_11comp_targetILNS1_3genE8ELNS1_11target_archE1030ELNS1_3gpuE2ELNS1_3repE0EEENS1_30default_config_static_selectorELNS0_4arch9wavefront6targetE1EEEvT1_.uses_flat_scratch, 0
	.set _ZN7rocprim17ROCPRIM_400000_NS6detail17trampoline_kernelINS0_14default_configENS1_25transform_config_selectorIlLb0EEEZNS1_14transform_implILb0ES3_S5_NS0_18transform_iteratorINS0_17counting_iteratorImlEEZNS1_24adjacent_difference_implIS3_Lb1ELb0EPlSB_ZN2at6native12_GLOBAL__N_124unique_dim_cuda_templateIdEESt5tupleIJNSC_6TensorESH_SH_EERKSH_lbbbEUlllE1_EE10hipError_tPvRmT2_T3_mT4_P12ihipStream_tbEUlmE_lEESB_NS0_8identityIvEEEESM_SP_SQ_mSR_ST_bEUlT_E_NS1_11comp_targetILNS1_3genE8ELNS1_11target_archE1030ELNS1_3gpuE2ELNS1_3repE0EEENS1_30default_config_static_selectorELNS0_4arch9wavefront6targetE1EEEvT1_.has_dyn_sized_stack, 0
	.set _ZN7rocprim17ROCPRIM_400000_NS6detail17trampoline_kernelINS0_14default_configENS1_25transform_config_selectorIlLb0EEEZNS1_14transform_implILb0ES3_S5_NS0_18transform_iteratorINS0_17counting_iteratorImlEEZNS1_24adjacent_difference_implIS3_Lb1ELb0EPlSB_ZN2at6native12_GLOBAL__N_124unique_dim_cuda_templateIdEESt5tupleIJNSC_6TensorESH_SH_EERKSH_lbbbEUlllE1_EE10hipError_tPvRmT2_T3_mT4_P12ihipStream_tbEUlmE_lEESB_NS0_8identityIvEEEESM_SP_SQ_mSR_ST_bEUlT_E_NS1_11comp_targetILNS1_3genE8ELNS1_11target_archE1030ELNS1_3gpuE2ELNS1_3repE0EEENS1_30default_config_static_selectorELNS0_4arch9wavefront6targetE1EEEvT1_.has_recursion, 0
	.set _ZN7rocprim17ROCPRIM_400000_NS6detail17trampoline_kernelINS0_14default_configENS1_25transform_config_selectorIlLb0EEEZNS1_14transform_implILb0ES3_S5_NS0_18transform_iteratorINS0_17counting_iteratorImlEEZNS1_24adjacent_difference_implIS3_Lb1ELb0EPlSB_ZN2at6native12_GLOBAL__N_124unique_dim_cuda_templateIdEESt5tupleIJNSC_6TensorESH_SH_EERKSH_lbbbEUlllE1_EE10hipError_tPvRmT2_T3_mT4_P12ihipStream_tbEUlmE_lEESB_NS0_8identityIvEEEESM_SP_SQ_mSR_ST_bEUlT_E_NS1_11comp_targetILNS1_3genE8ELNS1_11target_archE1030ELNS1_3gpuE2ELNS1_3repE0EEENS1_30default_config_static_selectorELNS0_4arch9wavefront6targetE1EEEvT1_.has_indirect_call, 0
	.section	.AMDGPU.csdata,"",@progbits
; Kernel info:
; codeLenInByte = 0
; TotalNumSgprs: 6
; NumVgprs: 0
; NumAgprs: 0
; TotalNumVgprs: 0
; ScratchSize: 0
; MemoryBound: 0
; FloatMode: 240
; IeeeMode: 1
; LDSByteSize: 0 bytes/workgroup (compile time only)
; SGPRBlocks: 0
; VGPRBlocks: 0
; NumSGPRsForWavesPerEU: 6
; NumVGPRsForWavesPerEU: 1
; AccumOffset: 4
; Occupancy: 8
; WaveLimiterHint : 0
; COMPUTE_PGM_RSRC2:SCRATCH_EN: 0
; COMPUTE_PGM_RSRC2:USER_SGPR: 2
; COMPUTE_PGM_RSRC2:TRAP_HANDLER: 0
; COMPUTE_PGM_RSRC2:TGID_X_EN: 1
; COMPUTE_PGM_RSRC2:TGID_Y_EN: 0
; COMPUTE_PGM_RSRC2:TGID_Z_EN: 0
; COMPUTE_PGM_RSRC2:TIDIG_COMP_CNT: 0
; COMPUTE_PGM_RSRC3_GFX90A:ACCUM_OFFSET: 0
; COMPUTE_PGM_RSRC3_GFX90A:TG_SPLIT: 0
	.section	.text._ZN7rocprim17ROCPRIM_400000_NS6detail17trampoline_kernelINS0_14default_configENS1_35adjacent_difference_config_selectorILb1ElEEZNS1_24adjacent_difference_implIS3_Lb1ELb0EPlS7_ZN2at6native12_GLOBAL__N_124unique_dim_cuda_templateIdEESt5tupleIJNS8_6TensorESD_SD_EERKSD_lbbbEUlllE1_EE10hipError_tPvRmT2_T3_mT4_P12ihipStream_tbEUlT_E_NS1_11comp_targetILNS1_3genE0ELNS1_11target_archE4294967295ELNS1_3gpuE0ELNS1_3repE0EEENS1_30default_config_static_selectorELNS0_4arch9wavefront6targetE1EEEvT1_,"axG",@progbits,_ZN7rocprim17ROCPRIM_400000_NS6detail17trampoline_kernelINS0_14default_configENS1_35adjacent_difference_config_selectorILb1ElEEZNS1_24adjacent_difference_implIS3_Lb1ELb0EPlS7_ZN2at6native12_GLOBAL__N_124unique_dim_cuda_templateIdEESt5tupleIJNS8_6TensorESD_SD_EERKSD_lbbbEUlllE1_EE10hipError_tPvRmT2_T3_mT4_P12ihipStream_tbEUlT_E_NS1_11comp_targetILNS1_3genE0ELNS1_11target_archE4294967295ELNS1_3gpuE0ELNS1_3repE0EEENS1_30default_config_static_selectorELNS0_4arch9wavefront6targetE1EEEvT1_,comdat
	.globl	_ZN7rocprim17ROCPRIM_400000_NS6detail17trampoline_kernelINS0_14default_configENS1_35adjacent_difference_config_selectorILb1ElEEZNS1_24adjacent_difference_implIS3_Lb1ELb0EPlS7_ZN2at6native12_GLOBAL__N_124unique_dim_cuda_templateIdEESt5tupleIJNS8_6TensorESD_SD_EERKSD_lbbbEUlllE1_EE10hipError_tPvRmT2_T3_mT4_P12ihipStream_tbEUlT_E_NS1_11comp_targetILNS1_3genE0ELNS1_11target_archE4294967295ELNS1_3gpuE0ELNS1_3repE0EEENS1_30default_config_static_selectorELNS0_4arch9wavefront6targetE1EEEvT1_ ; -- Begin function _ZN7rocprim17ROCPRIM_400000_NS6detail17trampoline_kernelINS0_14default_configENS1_35adjacent_difference_config_selectorILb1ElEEZNS1_24adjacent_difference_implIS3_Lb1ELb0EPlS7_ZN2at6native12_GLOBAL__N_124unique_dim_cuda_templateIdEESt5tupleIJNS8_6TensorESD_SD_EERKSD_lbbbEUlllE1_EE10hipError_tPvRmT2_T3_mT4_P12ihipStream_tbEUlT_E_NS1_11comp_targetILNS1_3genE0ELNS1_11target_archE4294967295ELNS1_3gpuE0ELNS1_3repE0EEENS1_30default_config_static_selectorELNS0_4arch9wavefront6targetE1EEEvT1_
	.p2align	8
	.type	_ZN7rocprim17ROCPRIM_400000_NS6detail17trampoline_kernelINS0_14default_configENS1_35adjacent_difference_config_selectorILb1ElEEZNS1_24adjacent_difference_implIS3_Lb1ELb0EPlS7_ZN2at6native12_GLOBAL__N_124unique_dim_cuda_templateIdEESt5tupleIJNS8_6TensorESD_SD_EERKSD_lbbbEUlllE1_EE10hipError_tPvRmT2_T3_mT4_P12ihipStream_tbEUlT_E_NS1_11comp_targetILNS1_3genE0ELNS1_11target_archE4294967295ELNS1_3gpuE0ELNS1_3repE0EEENS1_30default_config_static_selectorELNS0_4arch9wavefront6targetE1EEEvT1_,@function
_ZN7rocprim17ROCPRIM_400000_NS6detail17trampoline_kernelINS0_14default_configENS1_35adjacent_difference_config_selectorILb1ElEEZNS1_24adjacent_difference_implIS3_Lb1ELb0EPlS7_ZN2at6native12_GLOBAL__N_124unique_dim_cuda_templateIdEESt5tupleIJNS8_6TensorESD_SD_EERKSD_lbbbEUlllE1_EE10hipError_tPvRmT2_T3_mT4_P12ihipStream_tbEUlT_E_NS1_11comp_targetILNS1_3genE0ELNS1_11target_archE4294967295ELNS1_3gpuE0ELNS1_3repE0EEENS1_30default_config_static_selectorELNS0_4arch9wavefront6targetE1EEEvT1_: ; @_ZN7rocprim17ROCPRIM_400000_NS6detail17trampoline_kernelINS0_14default_configENS1_35adjacent_difference_config_selectorILb1ElEEZNS1_24adjacent_difference_implIS3_Lb1ELb0EPlS7_ZN2at6native12_GLOBAL__N_124unique_dim_cuda_templateIdEESt5tupleIJNS8_6TensorESD_SD_EERKSD_lbbbEUlllE1_EE10hipError_tPvRmT2_T3_mT4_P12ihipStream_tbEUlT_E_NS1_11comp_targetILNS1_3genE0ELNS1_11target_archE4294967295ELNS1_3gpuE0ELNS1_3repE0EEENS1_30default_config_static_selectorELNS0_4arch9wavefront6targetE1EEEvT1_
; %bb.0:
	s_load_dwordx16 s[4:19], s[0:1], 0x0
	s_mov_b32 s25, 0
	s_mov_b64 s[26:27], -1
	s_waitcnt lgkmcnt(0)
	s_lshl_b64 s[6:7], s[6:7], 3
	s_add_u32 s30, s4, s6
	s_addc_u32 s31, s5, s7
	s_lshl_b32 s4, s2, 10
	s_lshr_b64 s[0:1], s[10:11], 10
	s_and_b32 s24, s10, 0x3ff
	s_cmp_lg_u64 s[24:25], 0
	s_cselect_b64 s[20:21], -1, 0
	v_cndmask_b32_e64 v1, 0, 1, s[20:21]
	s_mov_b32 s24, s2
	v_readfirstlane_b32 s3, v1
	s_add_u32 s22, s0, s3
	s_addc_u32 s23, s1, 0
	s_add_u32 s2, s18, s2
	s_addc_u32 s3, s19, 0
	s_add_u32 s20, s22, -1
	s_addc_u32 s21, s23, -1
	v_mov_b64_e32 v[2:3], s[20:21]
	v_cmp_ge_u64_e64 s[0:1], s[2:3], v[2:3]
	s_and_b64 vcc, exec, s[0:1]
	s_cbranch_vccz .LBB799_6
; %bb.1:
	s_lshl_b32 s5, s20, 10
	s_sub_i32 s11, s10, s5
	s_mov_b32 s5, s25
	s_lshl_b64 s[26:27], s[4:5], 3
	s_add_u32 s26, s30, s26
	v_mov_b32_e32 v2, 0
	s_addc_u32 s27, s31, s27
	v_cmp_gt_u32_e32 vcc, s11, v0
	v_mov_b32_e32 v3, v2
	v_mov_b32_e32 v4, v2
	;; [unrolled: 1-line block ×3, first 2 shown]
	s_and_saveexec_b64 s[28:29], vcc
	s_cbranch_execz .LBB799_3
; %bb.2:
	v_lshlrev_b32_e32 v1, 3, v0
	global_load_dwordx2 v[4:5], v1, s[26:27]
	v_mov_b32_e32 v6, v2
	v_mov_b32_e32 v7, v2
	s_waitcnt vmcnt(0)
	v_mov_b64_e32 v[2:3], v[4:5]
	v_mov_b64_e32 v[4:5], v[6:7]
.LBB799_3:
	s_or_b64 exec, exec, s[28:29]
	v_or_b32_e32 v1, 0x200, v0
	v_cmp_gt_u32_e32 vcc, s11, v1
	s_and_saveexec_b64 s[28:29], vcc
	s_cbranch_execz .LBB799_5
; %bb.4:
	v_lshlrev_b32_e32 v4, 3, v1
	global_load_dwordx2 v[4:5], v4, s[26:27]
.LBB799_5:
	s_or_b64 exec, exec, s[28:29]
	v_lshrrev_b32_e32 v6, 2, v0
	v_lshrrev_b32_e32 v1, 2, v1
	v_and_b32_e32 v6, 0x78, v6
	v_lshlrev_b32_e32 v7, 3, v0
	v_and_b32_e32 v1, 0xf8, v1
	v_add_u32_e32 v6, v6, v7
	v_add_u32_e32 v1, v1, v7
	s_mov_b64 s[26:27], 0
	ds_write_b64 v6, v[2:3]
	s_waitcnt vmcnt(0)
	ds_write_b64 v1, v[4:5] offset:4096
	s_waitcnt lgkmcnt(0)
	s_barrier
.LBB799_6:
	s_and_b64 vcc, exec, s[26:27]
	s_cbranch_vccz .LBB799_8
; %bb.7:
	s_mov_b32 s5, 0
	s_lshl_b64 s[26:27], s[4:5], 3
	s_add_u32 s26, s30, s26
	s_addc_u32 s27, s31, s27
	v_lshlrev_b32_e32 v2, 3, v0
	v_mov_b32_e32 v3, 0
	v_lshl_add_u64 v[4:5], s[26:27], 0, v[2:3]
	v_add_co_u32_e32 v4, vcc, 0x1000, v4
	v_lshrrev_b32_e32 v1, 2, v0
	s_nop 0
	v_addc_co_u32_e32 v5, vcc, 0, v5, vcc
	global_load_dwordx2 v[6:7], v2, s[26:27]
	global_load_dwordx2 v[8:9], v[4:5], off
	v_or_b32_e32 v3, 0x200, v0
	v_and_b32_e32 v1, 0x78, v1
	v_lshrrev_b32_e32 v3, 2, v3
	v_add_u32_e32 v1, v1, v2
	v_and_b32_e32 v3, 0xf8, v3
	v_add_u32_e32 v2, v3, v2
	s_waitcnt vmcnt(1)
	ds_write_b64 v1, v[6:7]
	s_waitcnt vmcnt(0)
	ds_write_b64 v2, v[8:9] offset:4096
	s_waitcnt lgkmcnt(0)
	s_barrier
.LBB799_8:
	v_lshrrev_b32_e32 v1, 1, v0
	v_and_b32_e32 v2, 0xf8, v1
	v_lshl_add_u32 v2, v0, 4, v2
	ds_read2_b64 v[2:5], v2 offset1:1
	s_cmp_eq_u64 s[2:3], 0
	s_waitcnt lgkmcnt(0)
	s_barrier
	s_cbranch_scc1 .LBB799_15
; %bb.9:
	s_lshl_b64 s[18:19], s[18:19], 3
	s_add_u32 s5, s16, s18
	s_addc_u32 s11, s17, s19
	s_lshl_b64 s[16:17], s[24:25], 3
	s_add_u32 s5, s5, s16
	s_addc_u32 s11, s11, s17
	s_add_u32 s16, s5, -8
	s_addc_u32 s17, s11, -1
	s_load_dwordx2 s[16:17], s[16:17], 0x0
	s_cmp_eq_u64 s[2:3], s[20:21]
	s_cbranch_scc1 .LBB799_16
; %bb.10:
	v_cmp_lt_i64_e64 s[24:25], s[12:13], 1
	v_lshlrev_b32_e32 v12, 3, v0
	v_mov_b64_e32 v[8:9], 0
	v_cmp_gt_i64_e64 s[18:19], s[12:13], 0
	s_and_b64 vcc, exec, s[24:25]
	ds_write_b64 v12, v[4:5]
	s_cbranch_vccnz .LBB799_18
; %bb.11:
	v_mul_lo_u32 v8, v5, s12
	v_mul_lo_u32 v9, v4, s13
	v_mad_u64_u32 v[6:7], s[24:25], v4, s12, 0
	v_add3_u32 v7, v7, v9, v8
	v_mul_lo_u32 v10, v3, s12
	v_mul_lo_u32 v11, v2, s13
	v_mad_u64_u32 v[8:9], s[24:25], v2, s12, 0
	v_add3_u32 v9, v9, v11, v10
	v_lshl_add_u64 v[6:7], v[6:7], 3, s[14:15]
	v_lshl_add_u64 v[10:11], v[8:9], 3, s[14:15]
	s_mov_b64 s[24:25], 0
	s_mov_b64 s[26:27], s[12:13]
                                        ; implicit-def: $sgpr28_sgpr29
	s_branch .LBB799_13
.LBB799_12:                             ;   in Loop: Header=BB799_13 Depth=1
	s_or_b64 exec, exec, s[30:31]
	s_and_b64 s[30:31], exec, s[28:29]
	s_or_b64 s[24:25], s[30:31], s[24:25]
	s_andn2_b64 exec, exec, s[24:25]
	s_cbranch_execz .LBB799_17
.LBB799_13:                             ; =>This Inner Loop Header: Depth=1
	global_load_dwordx2 v[14:15], v[6:7], off
	global_load_dwordx2 v[16:17], v[10:11], off
	v_mov_b64_e32 v[8:9], 1
	s_or_b64 s[28:29], s[28:29], exec
	s_waitcnt vmcnt(0)
	v_cmp_eq_f64_e32 vcc, v[14:15], v[16:17]
	s_and_saveexec_b64 s[30:31], vcc
	s_cbranch_execz .LBB799_12
; %bb.14:                               ;   in Loop: Header=BB799_13 Depth=1
	s_add_u32 s26, s26, -1
	s_addc_u32 s27, s27, -1
	s_cmp_eq_u64 s[26:27], 0
	s_cselect_b64 s[34:35], -1, 0
	s_andn2_b64 s[28:29], s[28:29], exec
	s_and_b64 s[34:35], s[34:35], exec
	v_lshl_add_u64 v[6:7], v[6:7], 0, 8
	v_lshl_add_u64 v[10:11], v[10:11], 0, 8
	v_mov_b64_e32 v[8:9], 0
	s_or_b64 s[28:29], s[28:29], s[34:35]
	s_branch .LBB799_12
.LBB799_15:
                                        ; implicit-def: $vgpr8_vgpr9
                                        ; implicit-def: $vgpr6_vgpr7
	s_branch .LBB799_47
.LBB799_16:
                                        ; implicit-def: $vgpr8_vgpr9
                                        ; implicit-def: $vgpr6_vgpr7
	s_cbranch_execnz .LBB799_27
	s_branch .LBB799_46
.LBB799_17:
	s_or_b64 exec, exec, s[24:25]
.LBB799_18:
	v_cmp_ne_u32_e32 vcc, 0, v0
	s_waitcnt lgkmcnt(0)
	v_mov_b64_e32 v[6:7], s[16:17]
	s_barrier
	s_and_saveexec_b64 s[24:25], vcc
; %bb.19:
	v_add_u32_e32 v6, -8, v12
	ds_read_b64 v[6:7], v6
; %bb.20:
	s_or_b64 exec, exec, s[24:25]
	s_andn2_b64 vcc, exec, s[18:19]
	s_cbranch_vccnz .LBB799_26
; %bb.21:
	v_mul_lo_u32 v12, v3, s12
	v_mul_lo_u32 v13, v2, s13
	v_mad_u64_u32 v[10:11], s[18:19], v2, s12, 0
	v_add3_u32 v11, v11, v13, v12
	s_waitcnt lgkmcnt(0)
	v_mul_lo_u32 v12, v7, s12
	v_mul_lo_u32 v13, v6, s13
	v_mad_u64_u32 v[6:7], s[18:19], v6, s12, 0
	v_add3_u32 v7, v7, v13, v12
	v_lshl_add_u64 v[10:11], v[10:11], 3, s[14:15]
	v_lshl_add_u64 v[12:13], v[6:7], 3, s[14:15]
	s_mov_b64 s[18:19], 0
	s_mov_b64 s[24:25], s[12:13]
                                        ; implicit-def: $sgpr26_sgpr27
	s_branch .LBB799_23
.LBB799_22:                             ;   in Loop: Header=BB799_23 Depth=1
	s_or_b64 exec, exec, s[28:29]
	s_and_b64 s[28:29], exec, s[26:27]
	s_or_b64 s[18:19], s[28:29], s[18:19]
	s_andn2_b64 exec, exec, s[18:19]
	s_cbranch_execz .LBB799_25
.LBB799_23:                             ; =>This Inner Loop Header: Depth=1
	global_load_dwordx2 v[14:15], v[10:11], off
	global_load_dwordx2 v[16:17], v[12:13], off
	v_mov_b64_e32 v[6:7], 1
	s_or_b64 s[26:27], s[26:27], exec
	s_waitcnt vmcnt(0)
	v_cmp_eq_f64_e32 vcc, v[14:15], v[16:17]
	s_and_saveexec_b64 s[28:29], vcc
	s_cbranch_execz .LBB799_22
; %bb.24:                               ;   in Loop: Header=BB799_23 Depth=1
	s_add_u32 s24, s24, -1
	s_addc_u32 s25, s25, -1
	s_cmp_eq_u64 s[24:25], 0
	s_cselect_b64 s[30:31], -1, 0
	s_andn2_b64 s[26:27], s[26:27], exec
	s_and_b64 s[30:31], s[30:31], exec
	v_lshl_add_u64 v[10:11], v[10:11], 0, 8
	v_lshl_add_u64 v[12:13], v[12:13], 0, 8
	v_mov_b64_e32 v[6:7], 0
	s_or_b64 s[26:27], s[26:27], s[30:31]
	s_branch .LBB799_22
.LBB799_25:
	s_or_b64 exec, exec, s[18:19]
	s_branch .LBB799_46
.LBB799_26:
	s_waitcnt lgkmcnt(0)
	v_mov_b64_e32 v[6:7], 0
	s_branch .LBB799_46
.LBB799_27:
	s_lshl_b32 s2, s2, 10
	v_lshlrev_b32_e32 v14, 1, v0
	s_sub_i32 s5, s10, s2
	v_or_b32_e32 v6, 1, v14
	v_lshlrev_b32_e32 v15, 3, v0
	v_cmp_gt_u32_e32 vcc, s5, v6
	v_mov_b64_e32 v[8:9], v[4:5]
	ds_write_b64 v15, v[4:5]
	v_mov_b64_e32 v[6:7], v[2:3]
	s_and_saveexec_b64 s[2:3], vcc
	s_cbranch_execz .LBB799_35
; %bb.28:
	v_cmp_lt_i64_e64 s[18:19], s[12:13], 1
	s_and_b64 vcc, exec, s[18:19]
	s_cbranch_vccnz .LBB799_34
; %bb.29:
	v_mul_lo_u32 v8, v5, s12
	v_mul_lo_u32 v9, v4, s13
	v_mad_u64_u32 v[6:7], s[18:19], v4, s12, 0
	v_add3_u32 v7, v7, v9, v8
	v_mul_lo_u32 v10, v3, s12
	v_mul_lo_u32 v11, v2, s13
	v_mad_u64_u32 v[8:9], s[18:19], v2, s12, 0
	v_add3_u32 v9, v9, v11, v10
	v_lshl_add_u64 v[6:7], v[6:7], 3, s[14:15]
	v_lshl_add_u64 v[10:11], v[8:9], 3, s[14:15]
	s_mov_b64 s[18:19], 0
	s_mov_b64 s[24:25], s[12:13]
                                        ; implicit-def: $sgpr26_sgpr27
	s_branch .LBB799_31
.LBB799_30:                             ;   in Loop: Header=BB799_31 Depth=1
	s_or_b64 exec, exec, s[28:29]
	s_and_b64 s[28:29], exec, s[26:27]
	s_or_b64 s[18:19], s[28:29], s[18:19]
	s_andn2_b64 exec, exec, s[18:19]
	s_cbranch_execz .LBB799_33
.LBB799_31:                             ; =>This Inner Loop Header: Depth=1
	global_load_dwordx2 v[12:13], v[6:7], off
	global_load_dwordx2 v[16:17], v[10:11], off
	v_mov_b64_e32 v[8:9], 1
	s_or_b64 s[26:27], s[26:27], exec
	s_waitcnt vmcnt(0)
	v_cmp_eq_f64_e32 vcc, v[12:13], v[16:17]
	s_and_saveexec_b64 s[28:29], vcc
	s_cbranch_execz .LBB799_30
; %bb.32:                               ;   in Loop: Header=BB799_31 Depth=1
	s_add_u32 s24, s24, -1
	s_addc_u32 s25, s25, -1
	s_cmp_eq_u64 s[24:25], 0
	s_cselect_b64 s[30:31], -1, 0
	s_andn2_b64 s[26:27], s[26:27], exec
	s_and_b64 s[30:31], s[30:31], exec
	v_lshl_add_u64 v[6:7], v[6:7], 0, 8
	v_lshl_add_u64 v[10:11], v[10:11], 0, 8
	v_mov_b64_e32 v[8:9], 0
	s_or_b64 s[26:27], s[26:27], s[30:31]
	s_branch .LBB799_30
.LBB799_33:
	s_or_b64 exec, exec, s[18:19]
	s_branch .LBB799_35
.LBB799_34:
	v_mov_b64_e32 v[8:9], 0
.LBB799_35:
	s_or_b64 exec, exec, s[2:3]
	v_cmp_ne_u32_e32 vcc, 0, v0
	s_waitcnt lgkmcnt(0)
	v_mov_b64_e32 v[12:13], s[16:17]
	s_barrier
	s_and_saveexec_b64 s[2:3], vcc
; %bb.36:
	v_add_u32_e32 v6, -8, v15
	ds_read_b64 v[12:13], v6
; %bb.37:
	s_or_b64 exec, exec, s[2:3]
	v_cmp_gt_u32_e32 vcc, s5, v14
	v_mov_b64_e32 v[6:7], v[2:3]
	s_and_saveexec_b64 s[2:3], vcc
	s_cbranch_execz .LBB799_45
; %bb.38:
	v_cmp_lt_i64_e64 s[16:17], s[12:13], 1
	s_and_b64 vcc, exec, s[16:17]
	s_cbranch_vccnz .LBB799_44
; %bb.39:
	v_mul_lo_u32 v10, v3, s12
	v_mul_lo_u32 v11, v2, s13
	v_mad_u64_u32 v[6:7], s[16:17], v2, s12, 0
	v_add3_u32 v7, v7, v11, v10
	v_lshl_add_u64 v[10:11], v[6:7], 3, s[14:15]
	s_waitcnt lgkmcnt(0)
	v_mul_lo_u32 v13, v13, s12
	v_mul_lo_u32 v14, v12, s13
	v_mad_u64_u32 v[6:7], s[16:17], v12, s12, 0
	v_add3_u32 v7, v7, v14, v13
	v_lshl_add_u64 v[12:13], v[6:7], 3, s[14:15]
	s_mov_b64 s[16:17], 0
	s_mov_b64 s[18:19], s[12:13]
                                        ; implicit-def: $sgpr24_sgpr25
	s_branch .LBB799_41
.LBB799_40:                             ;   in Loop: Header=BB799_41 Depth=1
	s_or_b64 exec, exec, s[26:27]
	s_and_b64 s[26:27], exec, s[24:25]
	s_or_b64 s[16:17], s[26:27], s[16:17]
	s_andn2_b64 exec, exec, s[16:17]
	s_cbranch_execz .LBB799_43
.LBB799_41:                             ; =>This Inner Loop Header: Depth=1
	global_load_dwordx2 v[14:15], v[10:11], off
	global_load_dwordx2 v[16:17], v[12:13], off
	v_mov_b64_e32 v[6:7], 1
	s_or_b64 s[24:25], s[24:25], exec
	s_waitcnt vmcnt(0)
	v_cmp_eq_f64_e32 vcc, v[14:15], v[16:17]
	s_and_saveexec_b64 s[26:27], vcc
	s_cbranch_execz .LBB799_40
; %bb.42:                               ;   in Loop: Header=BB799_41 Depth=1
	s_add_u32 s18, s18, -1
	s_addc_u32 s19, s19, -1
	s_cmp_eq_u64 s[18:19], 0
	s_cselect_b64 s[28:29], -1, 0
	s_andn2_b64 s[24:25], s[24:25], exec
	s_and_b64 s[28:29], s[28:29], exec
	v_lshl_add_u64 v[10:11], v[10:11], 0, 8
	v_lshl_add_u64 v[12:13], v[12:13], 0, 8
	v_mov_b64_e32 v[6:7], 0
	s_or_b64 s[24:25], s[24:25], s[28:29]
	s_branch .LBB799_40
.LBB799_43:
	s_or_b64 exec, exec, s[16:17]
	s_branch .LBB799_45
.LBB799_44:
	v_mov_b64_e32 v[6:7], 0
.LBB799_45:
	s_or_b64 exec, exec, s[2:3]
.LBB799_46:
	s_cbranch_execnz .LBB799_81
.LBB799_47:
	s_cmp_eq_u64 s[22:23], 1
	s_cbranch_scc1 .LBB799_53
; %bb.48:
	s_waitcnt lgkmcnt(0)
	v_cmp_lt_i64_e64 s[16:17], s[12:13], 1
	v_lshlrev_b32_e32 v12, 3, v0
	v_mov_b64_e32 v[8:9], 0
	v_cmp_gt_i64_e64 s[2:3], s[12:13], 0
	s_and_b64 vcc, exec, s[16:17]
	ds_write_b64 v12, v[4:5]
	s_cbranch_vccnz .LBB799_55
; %bb.49:
	v_mul_lo_u32 v8, v5, s12
	v_mul_lo_u32 v9, v4, s13
	v_mad_u64_u32 v[6:7], s[16:17], v4, s12, 0
	v_add3_u32 v7, v7, v9, v8
	v_mul_lo_u32 v10, v3, s12
	v_mul_lo_u32 v11, v2, s13
	v_mad_u64_u32 v[8:9], s[16:17], v2, s12, 0
	v_add3_u32 v9, v9, v11, v10
	v_lshl_add_u64 v[6:7], v[6:7], 3, s[14:15]
	v_lshl_add_u64 v[10:11], v[8:9], 3, s[14:15]
	s_mov_b64 s[16:17], 0
	s_mov_b64 s[18:19], s[12:13]
                                        ; implicit-def: $sgpr22_sgpr23
	s_branch .LBB799_51
.LBB799_50:                             ;   in Loop: Header=BB799_51 Depth=1
	s_or_b64 exec, exec, s[24:25]
	s_and_b64 s[24:25], exec, s[22:23]
	s_or_b64 s[16:17], s[24:25], s[16:17]
	s_andn2_b64 exec, exec, s[16:17]
	s_cbranch_execz .LBB799_54
.LBB799_51:                             ; =>This Inner Loop Header: Depth=1
	global_load_dwordx2 v[14:15], v[6:7], off
	global_load_dwordx2 v[16:17], v[10:11], off
	v_mov_b64_e32 v[8:9], 1
	s_or_b64 s[22:23], s[22:23], exec
	s_waitcnt vmcnt(0)
	v_cmp_eq_f64_e32 vcc, v[14:15], v[16:17]
	s_and_saveexec_b64 s[24:25], vcc
	s_cbranch_execz .LBB799_50
; %bb.52:                               ;   in Loop: Header=BB799_51 Depth=1
	s_add_u32 s18, s18, -1
	s_addc_u32 s19, s19, -1
	s_cmp_eq_u64 s[18:19], 0
	s_cselect_b64 s[26:27], -1, 0
	s_andn2_b64 s[22:23], s[22:23], exec
	s_and_b64 s[26:27], s[26:27], exec
	v_lshl_add_u64 v[6:7], v[6:7], 0, 8
	v_lshl_add_u64 v[10:11], v[10:11], 0, 8
	v_mov_b64_e32 v[8:9], 0
	s_or_b64 s[22:23], s[22:23], s[26:27]
	s_branch .LBB799_50
.LBB799_53:
                                        ; implicit-def: $vgpr8_vgpr9
                                        ; implicit-def: $vgpr6_vgpr7
	s_cbranch_execnz .LBB799_64
	s_branch .LBB799_81
.LBB799_54:
	s_or_b64 exec, exec, s[16:17]
.LBB799_55:
	v_cmp_ne_u32_e32 vcc, 0, v0
	v_mov_b64_e32 v[6:7], v[2:3]
	s_waitcnt lgkmcnt(0)
	s_barrier
	s_and_saveexec_b64 s[16:17], vcc
	s_cbranch_execz .LBB799_63
; %bb.56:
	s_andn2_b64 vcc, exec, s[2:3]
	s_cbranch_vccnz .LBB799_62
; %bb.57:
	v_add_u32_e32 v6, -8, v12
	ds_read_b64 v[6:7], v6
	v_mul_lo_u32 v12, v3, s12
	v_mul_lo_u32 v13, v2, s13
	v_mad_u64_u32 v[10:11], s[2:3], v2, s12, 0
	v_add3_u32 v11, v11, v13, v12
	s_waitcnt lgkmcnt(0)
	v_mul_lo_u32 v12, s13, v6
	v_mul_lo_u32 v13, s12, v7
	v_mad_u64_u32 v[6:7], s[2:3], s12, v6, 0
	v_add3_u32 v7, v7, v13, v12
	v_lshl_add_u64 v[10:11], v[10:11], 3, s[14:15]
	v_lshl_add_u64 v[12:13], v[6:7], 3, s[14:15]
	s_mov_b64 s[2:3], 0
	s_mov_b64 s[18:19], s[12:13]
                                        ; implicit-def: $sgpr22_sgpr23
	s_branch .LBB799_59
.LBB799_58:                             ;   in Loop: Header=BB799_59 Depth=1
	s_or_b64 exec, exec, s[24:25]
	s_and_b64 s[24:25], exec, s[22:23]
	s_or_b64 s[2:3], s[24:25], s[2:3]
	s_andn2_b64 exec, exec, s[2:3]
	s_cbranch_execz .LBB799_61
.LBB799_59:                             ; =>This Inner Loop Header: Depth=1
	global_load_dwordx2 v[14:15], v[10:11], off
	global_load_dwordx2 v[16:17], v[12:13], off
	v_mov_b64_e32 v[6:7], 1
	s_or_b64 s[22:23], s[22:23], exec
	s_waitcnt vmcnt(0)
	v_cmp_eq_f64_e32 vcc, v[14:15], v[16:17]
	s_and_saveexec_b64 s[24:25], vcc
	s_cbranch_execz .LBB799_58
; %bb.60:                               ;   in Loop: Header=BB799_59 Depth=1
	s_add_u32 s18, s18, -1
	s_addc_u32 s19, s19, -1
	s_cmp_eq_u64 s[18:19], 0
	s_cselect_b64 s[26:27], -1, 0
	s_andn2_b64 s[22:23], s[22:23], exec
	s_and_b64 s[26:27], s[26:27], exec
	v_lshl_add_u64 v[10:11], v[10:11], 0, 8
	v_lshl_add_u64 v[12:13], v[12:13], 0, 8
	v_mov_b64_e32 v[6:7], 0
	s_or_b64 s[22:23], s[22:23], s[26:27]
	s_branch .LBB799_58
.LBB799_61:
	s_or_b64 exec, exec, s[2:3]
	s_branch .LBB799_63
.LBB799_62:
	v_mov_b64_e32 v[6:7], 0
.LBB799_63:
	s_or_b64 exec, exec, s[16:17]
	s_branch .LBB799_81
.LBB799_64:
	v_lshlrev_b32_e32 v11, 1, v0
	v_or_b32_e32 v6, 1, v11
	v_lshlrev_b32_e32 v10, 3, v0
	v_cmp_gt_u32_e32 vcc, s10, v6
	v_mov_b64_e32 v[8:9], v[4:5]
	ds_write_b64 v10, v[4:5]
	v_mov_b64_e32 v[6:7], v[2:3]
	s_and_saveexec_b64 s[2:3], vcc
	s_cbranch_execz .LBB799_72
; %bb.65:
	s_waitcnt lgkmcnt(0)
	v_cmp_lt_i64_e64 s[16:17], s[12:13], 1
	s_and_b64 vcc, exec, s[16:17]
	s_cbranch_vccnz .LBB799_71
; %bb.66:
	v_mul_lo_u32 v6, v5, s12
	v_mul_lo_u32 v7, v4, s13
	v_mad_u64_u32 v[4:5], s[16:17], v4, s12, 0
	v_add3_u32 v5, v5, v7, v6
	v_mul_lo_u32 v8, v3, s12
	v_mul_lo_u32 v9, v2, s13
	v_mad_u64_u32 v[6:7], s[16:17], v2, s12, 0
	v_add3_u32 v7, v7, v9, v8
	v_lshl_add_u64 v[4:5], v[4:5], 3, s[14:15]
	v_lshl_add_u64 v[6:7], v[6:7], 3, s[14:15]
	s_mov_b64 s[16:17], 0
	s_mov_b64 s[18:19], s[12:13]
                                        ; implicit-def: $sgpr22_sgpr23
	s_branch .LBB799_68
.LBB799_67:                             ;   in Loop: Header=BB799_68 Depth=1
	s_or_b64 exec, exec, s[24:25]
	s_and_b64 s[24:25], exec, s[22:23]
	s_or_b64 s[16:17], s[24:25], s[16:17]
	s_andn2_b64 exec, exec, s[16:17]
	s_cbranch_execz .LBB799_70
.LBB799_68:                             ; =>This Inner Loop Header: Depth=1
	global_load_dwordx2 v[12:13], v[4:5], off
	global_load_dwordx2 v[14:15], v[6:7], off
	v_mov_b64_e32 v[8:9], 1
	s_or_b64 s[22:23], s[22:23], exec
	s_waitcnt vmcnt(0)
	v_cmp_eq_f64_e32 vcc, v[12:13], v[14:15]
	s_and_saveexec_b64 s[24:25], vcc
	s_cbranch_execz .LBB799_67
; %bb.69:                               ;   in Loop: Header=BB799_68 Depth=1
	s_add_u32 s18, s18, -1
	s_addc_u32 s19, s19, -1
	s_cmp_eq_u64 s[18:19], 0
	s_cselect_b64 s[26:27], -1, 0
	s_andn2_b64 s[22:23], s[22:23], exec
	s_and_b64 s[26:27], s[26:27], exec
	v_lshl_add_u64 v[4:5], v[4:5], 0, 8
	v_lshl_add_u64 v[6:7], v[6:7], 0, 8
	v_mov_b64_e32 v[8:9], 0
	s_or_b64 s[22:23], s[22:23], s[26:27]
	s_branch .LBB799_67
.LBB799_70:
	s_or_b64 exec, exec, s[16:17]
	s_branch .LBB799_72
.LBB799_71:
	v_mov_b64_e32 v[8:9], 0
.LBB799_72:
	s_or_b64 exec, exec, s[2:3]
	v_cmp_ne_u32_e32 vcc, 0, v0
	v_cmp_gt_u32_e64 s[2:3], s10, v11
	s_waitcnt lgkmcnt(0)
	s_and_b64 s[16:17], vcc, s[2:3]
	s_barrier
	s_and_saveexec_b64 s[2:3], s[16:17]
	s_cbranch_execz .LBB799_80
; %bb.73:
	v_cmp_lt_i64_e64 s[16:17], s[12:13], 1
	s_and_b64 vcc, exec, s[16:17]
	s_cbranch_vccnz .LBB799_79
; %bb.74:
	v_add_u32_e32 v4, -8, v10
	ds_read_b64 v[6:7], v4
	v_mul_lo_u32 v4, v3, s12
	v_mul_lo_u32 v5, v2, s13
	v_mad_u64_u32 v[2:3], s[16:17], v2, s12, 0
	v_add3_u32 v3, v3, v5, v4
	v_lshl_add_u64 v[4:5], v[2:3], 3, s[14:15]
	s_waitcnt lgkmcnt(0)
	v_mul_lo_u32 v10, s13, v6
	v_mul_lo_u32 v7, s12, v7
	v_mad_u64_u32 v[2:3], s[16:17], s12, v6, 0
	v_add3_u32 v3, v3, v7, v10
	v_lshl_add_u64 v[6:7], v[2:3], 3, s[14:15]
	s_mov_b64 s[14:15], 0
                                        ; implicit-def: $sgpr16_sgpr17
	s_branch .LBB799_76
.LBB799_75:                             ;   in Loop: Header=BB799_76 Depth=1
	s_or_b64 exec, exec, s[18:19]
	s_and_b64 s[18:19], exec, s[16:17]
	s_or_b64 s[14:15], s[18:19], s[14:15]
	s_andn2_b64 exec, exec, s[14:15]
	s_cbranch_execz .LBB799_78
.LBB799_76:                             ; =>This Inner Loop Header: Depth=1
	global_load_dwordx2 v[10:11], v[4:5], off
	global_load_dwordx2 v[12:13], v[6:7], off
	v_mov_b64_e32 v[2:3], 1
	s_or_b64 s[16:17], s[16:17], exec
	s_waitcnt vmcnt(0)
	v_cmp_eq_f64_e32 vcc, v[10:11], v[12:13]
	s_and_saveexec_b64 s[18:19], vcc
	s_cbranch_execz .LBB799_75
; %bb.77:                               ;   in Loop: Header=BB799_76 Depth=1
	s_add_u32 s12, s12, -1
	s_addc_u32 s13, s13, -1
	s_cmp_eq_u64 s[12:13], 0
	s_cselect_b64 s[22:23], -1, 0
	s_andn2_b64 s[16:17], s[16:17], exec
	s_and_b64 s[22:23], s[22:23], exec
	v_lshl_add_u64 v[4:5], v[4:5], 0, 8
	v_lshl_add_u64 v[6:7], v[6:7], 0, 8
	v_mov_b64_e32 v[2:3], 0
	s_or_b64 s[16:17], s[16:17], s[22:23]
	s_branch .LBB799_75
.LBB799_78:
	s_or_b64 exec, exec, s[14:15]
	s_branch .LBB799_80
.LBB799_79:
	v_mov_b64_e32 v[2:3], 0
.LBB799_80:
	s_or_b64 exec, exec, s[2:3]
	v_mov_b64_e32 v[6:7], v[2:3]
.LBB799_81:
	s_add_u32 s6, s8, s6
	s_addc_u32 s7, s9, s7
	s_and_b64 vcc, exec, s[0:1]
	s_waitcnt lgkmcnt(0)
	s_barrier
	s_cbranch_vccz .LBB799_85
; %bb.82:
	v_and_b32_e32 v2, 0xf8, v1
	v_lshl_add_u32 v2, v0, 4, v2
	v_or_b32_e32 v10, 0x200, v0
	ds_write2_b64 v2, v[6:7], v[8:9] offset1:1
	v_lshrrev_b32_e32 v2, 2, v10
	v_and_b32_e32 v2, 0xf8, v2
	v_lshlrev_b32_e32 v4, 3, v0
	v_add_u32_e32 v2, v2, v4
	s_lshl_b32 s0, s20, 10
	s_mov_b32 s5, 0
	s_waitcnt lgkmcnt(0)
	s_barrier
	ds_read_b64 v[2:3], v2 offset:4096
	s_sub_i32 s2, s10, s0
	s_lshl_b64 s[0:1], s[4:5], 3
	s_add_u32 s0, s6, s0
	s_addc_u32 s1, s7, s1
	v_mov_b32_e32 v5, 0
	v_lshl_add_u64 v[4:5], s[0:1], 0, v[4:5]
	v_cmp_gt_u32_e32 vcc, s2, v0
	s_and_saveexec_b64 s[0:1], vcc
	s_cbranch_execz .LBB799_84
; %bb.83:
	v_lshrrev_b32_e32 v11, 2, v0
	v_and_b32_e32 v11, 0x78, v11
	v_lshl_add_u32 v11, v0, 3, v11
	ds_read_b64 v[12:13], v11
	s_waitcnt lgkmcnt(0)
	global_store_dwordx2 v[4:5], v[12:13], off
.LBB799_84:
	s_or_b64 exec, exec, s[0:1]
	v_cmp_gt_u32_e64 s[0:1], s2, v10
	s_branch .LBB799_87
.LBB799_85:
	s_mov_b64 s[0:1], 0
                                        ; implicit-def: $vgpr2_vgpr3
                                        ; implicit-def: $vgpr4_vgpr5
	s_cbranch_execz .LBB799_87
; %bb.86:
	v_and_b32_e32 v1, 0xf8, v1
	v_lshl_add_u32 v1, v0, 4, v1
	ds_write2_b64 v1, v[6:7], v[8:9] offset1:1
	v_lshrrev_b32_e32 v1, 2, v0
	v_lshlrev_b32_e32 v6, 3, v0
	v_or_b32_e32 v0, 0x200, v0
	v_lshrrev_b32_e32 v0, 2, v0
	v_and_b32_e32 v1, 0x78, v1
	v_and_b32_e32 v0, 0xf8, v0
	v_add_u32_e32 v1, v1, v6
	v_add_u32_e32 v0, v0, v6
	s_mov_b32 s5, 0
	s_waitcnt lgkmcnt(0)
	s_barrier
	ds_read_b64 v[8:9], v1
	ds_read_b64 v[2:3], v0 offset:4096
	s_lshl_b64 s[2:3], s[4:5], 3
	s_add_u32 s2, s6, s2
	s_addc_u32 s3, s7, s3
	v_mov_b32_e32 v7, 0
	v_lshl_add_u64 v[4:5], s[2:3], 0, v[6:7]
	s_or_b64 s[0:1], s[0:1], exec
	s_waitcnt lgkmcnt(1)
	global_store_dwordx2 v6, v[8:9], s[2:3]
.LBB799_87:
	s_and_saveexec_b64 s[2:3], s[0:1]
	s_cbranch_execnz .LBB799_89
; %bb.88:
	s_endpgm
.LBB799_89:
	v_add_co_u32_e32 v0, vcc, 0x1000, v4
	s_nop 1
	v_addc_co_u32_e32 v1, vcc, 0, v5, vcc
	s_waitcnt lgkmcnt(0)
	global_store_dwordx2 v[0:1], v[2:3], off
	s_endpgm
	.section	.rodata,"a",@progbits
	.p2align	6, 0x0
	.amdhsa_kernel _ZN7rocprim17ROCPRIM_400000_NS6detail17trampoline_kernelINS0_14default_configENS1_35adjacent_difference_config_selectorILb1ElEEZNS1_24adjacent_difference_implIS3_Lb1ELb0EPlS7_ZN2at6native12_GLOBAL__N_124unique_dim_cuda_templateIdEESt5tupleIJNS8_6TensorESD_SD_EERKSD_lbbbEUlllE1_EE10hipError_tPvRmT2_T3_mT4_P12ihipStream_tbEUlT_E_NS1_11comp_targetILNS1_3genE0ELNS1_11target_archE4294967295ELNS1_3gpuE0ELNS1_3repE0EEENS1_30default_config_static_selectorELNS0_4arch9wavefront6targetE1EEEvT1_
		.amdhsa_group_segment_fixed_size 8448
		.amdhsa_private_segment_fixed_size 0
		.amdhsa_kernarg_size 64
		.amdhsa_user_sgpr_count 2
		.amdhsa_user_sgpr_dispatch_ptr 0
		.amdhsa_user_sgpr_queue_ptr 0
		.amdhsa_user_sgpr_kernarg_segment_ptr 1
		.amdhsa_user_sgpr_dispatch_id 0
		.amdhsa_user_sgpr_kernarg_preload_length 0
		.amdhsa_user_sgpr_kernarg_preload_offset 0
		.amdhsa_user_sgpr_private_segment_size 0
		.amdhsa_uses_dynamic_stack 0
		.amdhsa_enable_private_segment 0
		.amdhsa_system_sgpr_workgroup_id_x 1
		.amdhsa_system_sgpr_workgroup_id_y 0
		.amdhsa_system_sgpr_workgroup_id_z 0
		.amdhsa_system_sgpr_workgroup_info 0
		.amdhsa_system_vgpr_workitem_id 0
		.amdhsa_next_free_vgpr 18
		.amdhsa_next_free_sgpr 36
		.amdhsa_accum_offset 20
		.amdhsa_reserve_vcc 1
		.amdhsa_float_round_mode_32 0
		.amdhsa_float_round_mode_16_64 0
		.amdhsa_float_denorm_mode_32 3
		.amdhsa_float_denorm_mode_16_64 3
		.amdhsa_dx10_clamp 1
		.amdhsa_ieee_mode 1
		.amdhsa_fp16_overflow 0
		.amdhsa_tg_split 0
		.amdhsa_exception_fp_ieee_invalid_op 0
		.amdhsa_exception_fp_denorm_src 0
		.amdhsa_exception_fp_ieee_div_zero 0
		.amdhsa_exception_fp_ieee_overflow 0
		.amdhsa_exception_fp_ieee_underflow 0
		.amdhsa_exception_fp_ieee_inexact 0
		.amdhsa_exception_int_div_zero 0
	.end_amdhsa_kernel
	.section	.text._ZN7rocprim17ROCPRIM_400000_NS6detail17trampoline_kernelINS0_14default_configENS1_35adjacent_difference_config_selectorILb1ElEEZNS1_24adjacent_difference_implIS3_Lb1ELb0EPlS7_ZN2at6native12_GLOBAL__N_124unique_dim_cuda_templateIdEESt5tupleIJNS8_6TensorESD_SD_EERKSD_lbbbEUlllE1_EE10hipError_tPvRmT2_T3_mT4_P12ihipStream_tbEUlT_E_NS1_11comp_targetILNS1_3genE0ELNS1_11target_archE4294967295ELNS1_3gpuE0ELNS1_3repE0EEENS1_30default_config_static_selectorELNS0_4arch9wavefront6targetE1EEEvT1_,"axG",@progbits,_ZN7rocprim17ROCPRIM_400000_NS6detail17trampoline_kernelINS0_14default_configENS1_35adjacent_difference_config_selectorILb1ElEEZNS1_24adjacent_difference_implIS3_Lb1ELb0EPlS7_ZN2at6native12_GLOBAL__N_124unique_dim_cuda_templateIdEESt5tupleIJNS8_6TensorESD_SD_EERKSD_lbbbEUlllE1_EE10hipError_tPvRmT2_T3_mT4_P12ihipStream_tbEUlT_E_NS1_11comp_targetILNS1_3genE0ELNS1_11target_archE4294967295ELNS1_3gpuE0ELNS1_3repE0EEENS1_30default_config_static_selectorELNS0_4arch9wavefront6targetE1EEEvT1_,comdat
.Lfunc_end799:
	.size	_ZN7rocprim17ROCPRIM_400000_NS6detail17trampoline_kernelINS0_14default_configENS1_35adjacent_difference_config_selectorILb1ElEEZNS1_24adjacent_difference_implIS3_Lb1ELb0EPlS7_ZN2at6native12_GLOBAL__N_124unique_dim_cuda_templateIdEESt5tupleIJNS8_6TensorESD_SD_EERKSD_lbbbEUlllE1_EE10hipError_tPvRmT2_T3_mT4_P12ihipStream_tbEUlT_E_NS1_11comp_targetILNS1_3genE0ELNS1_11target_archE4294967295ELNS1_3gpuE0ELNS1_3repE0EEENS1_30default_config_static_selectorELNS0_4arch9wavefront6targetE1EEEvT1_, .Lfunc_end799-_ZN7rocprim17ROCPRIM_400000_NS6detail17trampoline_kernelINS0_14default_configENS1_35adjacent_difference_config_selectorILb1ElEEZNS1_24adjacent_difference_implIS3_Lb1ELb0EPlS7_ZN2at6native12_GLOBAL__N_124unique_dim_cuda_templateIdEESt5tupleIJNS8_6TensorESD_SD_EERKSD_lbbbEUlllE1_EE10hipError_tPvRmT2_T3_mT4_P12ihipStream_tbEUlT_E_NS1_11comp_targetILNS1_3genE0ELNS1_11target_archE4294967295ELNS1_3gpuE0ELNS1_3repE0EEENS1_30default_config_static_selectorELNS0_4arch9wavefront6targetE1EEEvT1_
                                        ; -- End function
	.set _ZN7rocprim17ROCPRIM_400000_NS6detail17trampoline_kernelINS0_14default_configENS1_35adjacent_difference_config_selectorILb1ElEEZNS1_24adjacent_difference_implIS3_Lb1ELb0EPlS7_ZN2at6native12_GLOBAL__N_124unique_dim_cuda_templateIdEESt5tupleIJNS8_6TensorESD_SD_EERKSD_lbbbEUlllE1_EE10hipError_tPvRmT2_T3_mT4_P12ihipStream_tbEUlT_E_NS1_11comp_targetILNS1_3genE0ELNS1_11target_archE4294967295ELNS1_3gpuE0ELNS1_3repE0EEENS1_30default_config_static_selectorELNS0_4arch9wavefront6targetE1EEEvT1_.num_vgpr, 18
	.set _ZN7rocprim17ROCPRIM_400000_NS6detail17trampoline_kernelINS0_14default_configENS1_35adjacent_difference_config_selectorILb1ElEEZNS1_24adjacent_difference_implIS3_Lb1ELb0EPlS7_ZN2at6native12_GLOBAL__N_124unique_dim_cuda_templateIdEESt5tupleIJNS8_6TensorESD_SD_EERKSD_lbbbEUlllE1_EE10hipError_tPvRmT2_T3_mT4_P12ihipStream_tbEUlT_E_NS1_11comp_targetILNS1_3genE0ELNS1_11target_archE4294967295ELNS1_3gpuE0ELNS1_3repE0EEENS1_30default_config_static_selectorELNS0_4arch9wavefront6targetE1EEEvT1_.num_agpr, 0
	.set _ZN7rocprim17ROCPRIM_400000_NS6detail17trampoline_kernelINS0_14default_configENS1_35adjacent_difference_config_selectorILb1ElEEZNS1_24adjacent_difference_implIS3_Lb1ELb0EPlS7_ZN2at6native12_GLOBAL__N_124unique_dim_cuda_templateIdEESt5tupleIJNS8_6TensorESD_SD_EERKSD_lbbbEUlllE1_EE10hipError_tPvRmT2_T3_mT4_P12ihipStream_tbEUlT_E_NS1_11comp_targetILNS1_3genE0ELNS1_11target_archE4294967295ELNS1_3gpuE0ELNS1_3repE0EEENS1_30default_config_static_selectorELNS0_4arch9wavefront6targetE1EEEvT1_.numbered_sgpr, 36
	.set _ZN7rocprim17ROCPRIM_400000_NS6detail17trampoline_kernelINS0_14default_configENS1_35adjacent_difference_config_selectorILb1ElEEZNS1_24adjacent_difference_implIS3_Lb1ELb0EPlS7_ZN2at6native12_GLOBAL__N_124unique_dim_cuda_templateIdEESt5tupleIJNS8_6TensorESD_SD_EERKSD_lbbbEUlllE1_EE10hipError_tPvRmT2_T3_mT4_P12ihipStream_tbEUlT_E_NS1_11comp_targetILNS1_3genE0ELNS1_11target_archE4294967295ELNS1_3gpuE0ELNS1_3repE0EEENS1_30default_config_static_selectorELNS0_4arch9wavefront6targetE1EEEvT1_.num_named_barrier, 0
	.set _ZN7rocprim17ROCPRIM_400000_NS6detail17trampoline_kernelINS0_14default_configENS1_35adjacent_difference_config_selectorILb1ElEEZNS1_24adjacent_difference_implIS3_Lb1ELb0EPlS7_ZN2at6native12_GLOBAL__N_124unique_dim_cuda_templateIdEESt5tupleIJNS8_6TensorESD_SD_EERKSD_lbbbEUlllE1_EE10hipError_tPvRmT2_T3_mT4_P12ihipStream_tbEUlT_E_NS1_11comp_targetILNS1_3genE0ELNS1_11target_archE4294967295ELNS1_3gpuE0ELNS1_3repE0EEENS1_30default_config_static_selectorELNS0_4arch9wavefront6targetE1EEEvT1_.private_seg_size, 0
	.set _ZN7rocprim17ROCPRIM_400000_NS6detail17trampoline_kernelINS0_14default_configENS1_35adjacent_difference_config_selectorILb1ElEEZNS1_24adjacent_difference_implIS3_Lb1ELb0EPlS7_ZN2at6native12_GLOBAL__N_124unique_dim_cuda_templateIdEESt5tupleIJNS8_6TensorESD_SD_EERKSD_lbbbEUlllE1_EE10hipError_tPvRmT2_T3_mT4_P12ihipStream_tbEUlT_E_NS1_11comp_targetILNS1_3genE0ELNS1_11target_archE4294967295ELNS1_3gpuE0ELNS1_3repE0EEENS1_30default_config_static_selectorELNS0_4arch9wavefront6targetE1EEEvT1_.uses_vcc, 1
	.set _ZN7rocprim17ROCPRIM_400000_NS6detail17trampoline_kernelINS0_14default_configENS1_35adjacent_difference_config_selectorILb1ElEEZNS1_24adjacent_difference_implIS3_Lb1ELb0EPlS7_ZN2at6native12_GLOBAL__N_124unique_dim_cuda_templateIdEESt5tupleIJNS8_6TensorESD_SD_EERKSD_lbbbEUlllE1_EE10hipError_tPvRmT2_T3_mT4_P12ihipStream_tbEUlT_E_NS1_11comp_targetILNS1_3genE0ELNS1_11target_archE4294967295ELNS1_3gpuE0ELNS1_3repE0EEENS1_30default_config_static_selectorELNS0_4arch9wavefront6targetE1EEEvT1_.uses_flat_scratch, 0
	.set _ZN7rocprim17ROCPRIM_400000_NS6detail17trampoline_kernelINS0_14default_configENS1_35adjacent_difference_config_selectorILb1ElEEZNS1_24adjacent_difference_implIS3_Lb1ELb0EPlS7_ZN2at6native12_GLOBAL__N_124unique_dim_cuda_templateIdEESt5tupleIJNS8_6TensorESD_SD_EERKSD_lbbbEUlllE1_EE10hipError_tPvRmT2_T3_mT4_P12ihipStream_tbEUlT_E_NS1_11comp_targetILNS1_3genE0ELNS1_11target_archE4294967295ELNS1_3gpuE0ELNS1_3repE0EEENS1_30default_config_static_selectorELNS0_4arch9wavefront6targetE1EEEvT1_.has_dyn_sized_stack, 0
	.set _ZN7rocprim17ROCPRIM_400000_NS6detail17trampoline_kernelINS0_14default_configENS1_35adjacent_difference_config_selectorILb1ElEEZNS1_24adjacent_difference_implIS3_Lb1ELb0EPlS7_ZN2at6native12_GLOBAL__N_124unique_dim_cuda_templateIdEESt5tupleIJNS8_6TensorESD_SD_EERKSD_lbbbEUlllE1_EE10hipError_tPvRmT2_T3_mT4_P12ihipStream_tbEUlT_E_NS1_11comp_targetILNS1_3genE0ELNS1_11target_archE4294967295ELNS1_3gpuE0ELNS1_3repE0EEENS1_30default_config_static_selectorELNS0_4arch9wavefront6targetE1EEEvT1_.has_recursion, 0
	.set _ZN7rocprim17ROCPRIM_400000_NS6detail17trampoline_kernelINS0_14default_configENS1_35adjacent_difference_config_selectorILb1ElEEZNS1_24adjacent_difference_implIS3_Lb1ELb0EPlS7_ZN2at6native12_GLOBAL__N_124unique_dim_cuda_templateIdEESt5tupleIJNS8_6TensorESD_SD_EERKSD_lbbbEUlllE1_EE10hipError_tPvRmT2_T3_mT4_P12ihipStream_tbEUlT_E_NS1_11comp_targetILNS1_3genE0ELNS1_11target_archE4294967295ELNS1_3gpuE0ELNS1_3repE0EEENS1_30default_config_static_selectorELNS0_4arch9wavefront6targetE1EEEvT1_.has_indirect_call, 0
	.section	.AMDGPU.csdata,"",@progbits
; Kernel info:
; codeLenInByte = 3144
; TotalNumSgprs: 42
; NumVgprs: 18
; NumAgprs: 0
; TotalNumVgprs: 18
; ScratchSize: 0
; MemoryBound: 0
; FloatMode: 240
; IeeeMode: 1
; LDSByteSize: 8448 bytes/workgroup (compile time only)
; SGPRBlocks: 5
; VGPRBlocks: 2
; NumSGPRsForWavesPerEU: 42
; NumVGPRsForWavesPerEU: 18
; AccumOffset: 20
; Occupancy: 8
; WaveLimiterHint : 1
; COMPUTE_PGM_RSRC2:SCRATCH_EN: 0
; COMPUTE_PGM_RSRC2:USER_SGPR: 2
; COMPUTE_PGM_RSRC2:TRAP_HANDLER: 0
; COMPUTE_PGM_RSRC2:TGID_X_EN: 1
; COMPUTE_PGM_RSRC2:TGID_Y_EN: 0
; COMPUTE_PGM_RSRC2:TGID_Z_EN: 0
; COMPUTE_PGM_RSRC2:TIDIG_COMP_CNT: 0
; COMPUTE_PGM_RSRC3_GFX90A:ACCUM_OFFSET: 4
; COMPUTE_PGM_RSRC3_GFX90A:TG_SPLIT: 0
	.section	.text._ZN7rocprim17ROCPRIM_400000_NS6detail17trampoline_kernelINS0_14default_configENS1_35adjacent_difference_config_selectorILb1ElEEZNS1_24adjacent_difference_implIS3_Lb1ELb0EPlS7_ZN2at6native12_GLOBAL__N_124unique_dim_cuda_templateIdEESt5tupleIJNS8_6TensorESD_SD_EERKSD_lbbbEUlllE1_EE10hipError_tPvRmT2_T3_mT4_P12ihipStream_tbEUlT_E_NS1_11comp_targetILNS1_3genE10ELNS1_11target_archE1201ELNS1_3gpuE5ELNS1_3repE0EEENS1_30default_config_static_selectorELNS0_4arch9wavefront6targetE1EEEvT1_,"axG",@progbits,_ZN7rocprim17ROCPRIM_400000_NS6detail17trampoline_kernelINS0_14default_configENS1_35adjacent_difference_config_selectorILb1ElEEZNS1_24adjacent_difference_implIS3_Lb1ELb0EPlS7_ZN2at6native12_GLOBAL__N_124unique_dim_cuda_templateIdEESt5tupleIJNS8_6TensorESD_SD_EERKSD_lbbbEUlllE1_EE10hipError_tPvRmT2_T3_mT4_P12ihipStream_tbEUlT_E_NS1_11comp_targetILNS1_3genE10ELNS1_11target_archE1201ELNS1_3gpuE5ELNS1_3repE0EEENS1_30default_config_static_selectorELNS0_4arch9wavefront6targetE1EEEvT1_,comdat
	.globl	_ZN7rocprim17ROCPRIM_400000_NS6detail17trampoline_kernelINS0_14default_configENS1_35adjacent_difference_config_selectorILb1ElEEZNS1_24adjacent_difference_implIS3_Lb1ELb0EPlS7_ZN2at6native12_GLOBAL__N_124unique_dim_cuda_templateIdEESt5tupleIJNS8_6TensorESD_SD_EERKSD_lbbbEUlllE1_EE10hipError_tPvRmT2_T3_mT4_P12ihipStream_tbEUlT_E_NS1_11comp_targetILNS1_3genE10ELNS1_11target_archE1201ELNS1_3gpuE5ELNS1_3repE0EEENS1_30default_config_static_selectorELNS0_4arch9wavefront6targetE1EEEvT1_ ; -- Begin function _ZN7rocprim17ROCPRIM_400000_NS6detail17trampoline_kernelINS0_14default_configENS1_35adjacent_difference_config_selectorILb1ElEEZNS1_24adjacent_difference_implIS3_Lb1ELb0EPlS7_ZN2at6native12_GLOBAL__N_124unique_dim_cuda_templateIdEESt5tupleIJNS8_6TensorESD_SD_EERKSD_lbbbEUlllE1_EE10hipError_tPvRmT2_T3_mT4_P12ihipStream_tbEUlT_E_NS1_11comp_targetILNS1_3genE10ELNS1_11target_archE1201ELNS1_3gpuE5ELNS1_3repE0EEENS1_30default_config_static_selectorELNS0_4arch9wavefront6targetE1EEEvT1_
	.p2align	8
	.type	_ZN7rocprim17ROCPRIM_400000_NS6detail17trampoline_kernelINS0_14default_configENS1_35adjacent_difference_config_selectorILb1ElEEZNS1_24adjacent_difference_implIS3_Lb1ELb0EPlS7_ZN2at6native12_GLOBAL__N_124unique_dim_cuda_templateIdEESt5tupleIJNS8_6TensorESD_SD_EERKSD_lbbbEUlllE1_EE10hipError_tPvRmT2_T3_mT4_P12ihipStream_tbEUlT_E_NS1_11comp_targetILNS1_3genE10ELNS1_11target_archE1201ELNS1_3gpuE5ELNS1_3repE0EEENS1_30default_config_static_selectorELNS0_4arch9wavefront6targetE1EEEvT1_,@function
_ZN7rocprim17ROCPRIM_400000_NS6detail17trampoline_kernelINS0_14default_configENS1_35adjacent_difference_config_selectorILb1ElEEZNS1_24adjacent_difference_implIS3_Lb1ELb0EPlS7_ZN2at6native12_GLOBAL__N_124unique_dim_cuda_templateIdEESt5tupleIJNS8_6TensorESD_SD_EERKSD_lbbbEUlllE1_EE10hipError_tPvRmT2_T3_mT4_P12ihipStream_tbEUlT_E_NS1_11comp_targetILNS1_3genE10ELNS1_11target_archE1201ELNS1_3gpuE5ELNS1_3repE0EEENS1_30default_config_static_selectorELNS0_4arch9wavefront6targetE1EEEvT1_: ; @_ZN7rocprim17ROCPRIM_400000_NS6detail17trampoline_kernelINS0_14default_configENS1_35adjacent_difference_config_selectorILb1ElEEZNS1_24adjacent_difference_implIS3_Lb1ELb0EPlS7_ZN2at6native12_GLOBAL__N_124unique_dim_cuda_templateIdEESt5tupleIJNS8_6TensorESD_SD_EERKSD_lbbbEUlllE1_EE10hipError_tPvRmT2_T3_mT4_P12ihipStream_tbEUlT_E_NS1_11comp_targetILNS1_3genE10ELNS1_11target_archE1201ELNS1_3gpuE5ELNS1_3repE0EEENS1_30default_config_static_selectorELNS0_4arch9wavefront6targetE1EEEvT1_
; %bb.0:
	.section	.rodata,"a",@progbits
	.p2align	6, 0x0
	.amdhsa_kernel _ZN7rocprim17ROCPRIM_400000_NS6detail17trampoline_kernelINS0_14default_configENS1_35adjacent_difference_config_selectorILb1ElEEZNS1_24adjacent_difference_implIS3_Lb1ELb0EPlS7_ZN2at6native12_GLOBAL__N_124unique_dim_cuda_templateIdEESt5tupleIJNS8_6TensorESD_SD_EERKSD_lbbbEUlllE1_EE10hipError_tPvRmT2_T3_mT4_P12ihipStream_tbEUlT_E_NS1_11comp_targetILNS1_3genE10ELNS1_11target_archE1201ELNS1_3gpuE5ELNS1_3repE0EEENS1_30default_config_static_selectorELNS0_4arch9wavefront6targetE1EEEvT1_
		.amdhsa_group_segment_fixed_size 0
		.amdhsa_private_segment_fixed_size 0
		.amdhsa_kernarg_size 64
		.amdhsa_user_sgpr_count 2
		.amdhsa_user_sgpr_dispatch_ptr 0
		.amdhsa_user_sgpr_queue_ptr 0
		.amdhsa_user_sgpr_kernarg_segment_ptr 1
		.amdhsa_user_sgpr_dispatch_id 0
		.amdhsa_user_sgpr_kernarg_preload_length 0
		.amdhsa_user_sgpr_kernarg_preload_offset 0
		.amdhsa_user_sgpr_private_segment_size 0
		.amdhsa_uses_dynamic_stack 0
		.amdhsa_enable_private_segment 0
		.amdhsa_system_sgpr_workgroup_id_x 1
		.amdhsa_system_sgpr_workgroup_id_y 0
		.amdhsa_system_sgpr_workgroup_id_z 0
		.amdhsa_system_sgpr_workgroup_info 0
		.amdhsa_system_vgpr_workitem_id 0
		.amdhsa_next_free_vgpr 1
		.amdhsa_next_free_sgpr 0
		.amdhsa_accum_offset 4
		.amdhsa_reserve_vcc 0
		.amdhsa_float_round_mode_32 0
		.amdhsa_float_round_mode_16_64 0
		.amdhsa_float_denorm_mode_32 3
		.amdhsa_float_denorm_mode_16_64 3
		.amdhsa_dx10_clamp 1
		.amdhsa_ieee_mode 1
		.amdhsa_fp16_overflow 0
		.amdhsa_tg_split 0
		.amdhsa_exception_fp_ieee_invalid_op 0
		.amdhsa_exception_fp_denorm_src 0
		.amdhsa_exception_fp_ieee_div_zero 0
		.amdhsa_exception_fp_ieee_overflow 0
		.amdhsa_exception_fp_ieee_underflow 0
		.amdhsa_exception_fp_ieee_inexact 0
		.amdhsa_exception_int_div_zero 0
	.end_amdhsa_kernel
	.section	.text._ZN7rocprim17ROCPRIM_400000_NS6detail17trampoline_kernelINS0_14default_configENS1_35adjacent_difference_config_selectorILb1ElEEZNS1_24adjacent_difference_implIS3_Lb1ELb0EPlS7_ZN2at6native12_GLOBAL__N_124unique_dim_cuda_templateIdEESt5tupleIJNS8_6TensorESD_SD_EERKSD_lbbbEUlllE1_EE10hipError_tPvRmT2_T3_mT4_P12ihipStream_tbEUlT_E_NS1_11comp_targetILNS1_3genE10ELNS1_11target_archE1201ELNS1_3gpuE5ELNS1_3repE0EEENS1_30default_config_static_selectorELNS0_4arch9wavefront6targetE1EEEvT1_,"axG",@progbits,_ZN7rocprim17ROCPRIM_400000_NS6detail17trampoline_kernelINS0_14default_configENS1_35adjacent_difference_config_selectorILb1ElEEZNS1_24adjacent_difference_implIS3_Lb1ELb0EPlS7_ZN2at6native12_GLOBAL__N_124unique_dim_cuda_templateIdEESt5tupleIJNS8_6TensorESD_SD_EERKSD_lbbbEUlllE1_EE10hipError_tPvRmT2_T3_mT4_P12ihipStream_tbEUlT_E_NS1_11comp_targetILNS1_3genE10ELNS1_11target_archE1201ELNS1_3gpuE5ELNS1_3repE0EEENS1_30default_config_static_selectorELNS0_4arch9wavefront6targetE1EEEvT1_,comdat
.Lfunc_end800:
	.size	_ZN7rocprim17ROCPRIM_400000_NS6detail17trampoline_kernelINS0_14default_configENS1_35adjacent_difference_config_selectorILb1ElEEZNS1_24adjacent_difference_implIS3_Lb1ELb0EPlS7_ZN2at6native12_GLOBAL__N_124unique_dim_cuda_templateIdEESt5tupleIJNS8_6TensorESD_SD_EERKSD_lbbbEUlllE1_EE10hipError_tPvRmT2_T3_mT4_P12ihipStream_tbEUlT_E_NS1_11comp_targetILNS1_3genE10ELNS1_11target_archE1201ELNS1_3gpuE5ELNS1_3repE0EEENS1_30default_config_static_selectorELNS0_4arch9wavefront6targetE1EEEvT1_, .Lfunc_end800-_ZN7rocprim17ROCPRIM_400000_NS6detail17trampoline_kernelINS0_14default_configENS1_35adjacent_difference_config_selectorILb1ElEEZNS1_24adjacent_difference_implIS3_Lb1ELb0EPlS7_ZN2at6native12_GLOBAL__N_124unique_dim_cuda_templateIdEESt5tupleIJNS8_6TensorESD_SD_EERKSD_lbbbEUlllE1_EE10hipError_tPvRmT2_T3_mT4_P12ihipStream_tbEUlT_E_NS1_11comp_targetILNS1_3genE10ELNS1_11target_archE1201ELNS1_3gpuE5ELNS1_3repE0EEENS1_30default_config_static_selectorELNS0_4arch9wavefront6targetE1EEEvT1_
                                        ; -- End function
	.set _ZN7rocprim17ROCPRIM_400000_NS6detail17trampoline_kernelINS0_14default_configENS1_35adjacent_difference_config_selectorILb1ElEEZNS1_24adjacent_difference_implIS3_Lb1ELb0EPlS7_ZN2at6native12_GLOBAL__N_124unique_dim_cuda_templateIdEESt5tupleIJNS8_6TensorESD_SD_EERKSD_lbbbEUlllE1_EE10hipError_tPvRmT2_T3_mT4_P12ihipStream_tbEUlT_E_NS1_11comp_targetILNS1_3genE10ELNS1_11target_archE1201ELNS1_3gpuE5ELNS1_3repE0EEENS1_30default_config_static_selectorELNS0_4arch9wavefront6targetE1EEEvT1_.num_vgpr, 0
	.set _ZN7rocprim17ROCPRIM_400000_NS6detail17trampoline_kernelINS0_14default_configENS1_35adjacent_difference_config_selectorILb1ElEEZNS1_24adjacent_difference_implIS3_Lb1ELb0EPlS7_ZN2at6native12_GLOBAL__N_124unique_dim_cuda_templateIdEESt5tupleIJNS8_6TensorESD_SD_EERKSD_lbbbEUlllE1_EE10hipError_tPvRmT2_T3_mT4_P12ihipStream_tbEUlT_E_NS1_11comp_targetILNS1_3genE10ELNS1_11target_archE1201ELNS1_3gpuE5ELNS1_3repE0EEENS1_30default_config_static_selectorELNS0_4arch9wavefront6targetE1EEEvT1_.num_agpr, 0
	.set _ZN7rocprim17ROCPRIM_400000_NS6detail17trampoline_kernelINS0_14default_configENS1_35adjacent_difference_config_selectorILb1ElEEZNS1_24adjacent_difference_implIS3_Lb1ELb0EPlS7_ZN2at6native12_GLOBAL__N_124unique_dim_cuda_templateIdEESt5tupleIJNS8_6TensorESD_SD_EERKSD_lbbbEUlllE1_EE10hipError_tPvRmT2_T3_mT4_P12ihipStream_tbEUlT_E_NS1_11comp_targetILNS1_3genE10ELNS1_11target_archE1201ELNS1_3gpuE5ELNS1_3repE0EEENS1_30default_config_static_selectorELNS0_4arch9wavefront6targetE1EEEvT1_.numbered_sgpr, 0
	.set _ZN7rocprim17ROCPRIM_400000_NS6detail17trampoline_kernelINS0_14default_configENS1_35adjacent_difference_config_selectorILb1ElEEZNS1_24adjacent_difference_implIS3_Lb1ELb0EPlS7_ZN2at6native12_GLOBAL__N_124unique_dim_cuda_templateIdEESt5tupleIJNS8_6TensorESD_SD_EERKSD_lbbbEUlllE1_EE10hipError_tPvRmT2_T3_mT4_P12ihipStream_tbEUlT_E_NS1_11comp_targetILNS1_3genE10ELNS1_11target_archE1201ELNS1_3gpuE5ELNS1_3repE0EEENS1_30default_config_static_selectorELNS0_4arch9wavefront6targetE1EEEvT1_.num_named_barrier, 0
	.set _ZN7rocprim17ROCPRIM_400000_NS6detail17trampoline_kernelINS0_14default_configENS1_35adjacent_difference_config_selectorILb1ElEEZNS1_24adjacent_difference_implIS3_Lb1ELb0EPlS7_ZN2at6native12_GLOBAL__N_124unique_dim_cuda_templateIdEESt5tupleIJNS8_6TensorESD_SD_EERKSD_lbbbEUlllE1_EE10hipError_tPvRmT2_T3_mT4_P12ihipStream_tbEUlT_E_NS1_11comp_targetILNS1_3genE10ELNS1_11target_archE1201ELNS1_3gpuE5ELNS1_3repE0EEENS1_30default_config_static_selectorELNS0_4arch9wavefront6targetE1EEEvT1_.private_seg_size, 0
	.set _ZN7rocprim17ROCPRIM_400000_NS6detail17trampoline_kernelINS0_14default_configENS1_35adjacent_difference_config_selectorILb1ElEEZNS1_24adjacent_difference_implIS3_Lb1ELb0EPlS7_ZN2at6native12_GLOBAL__N_124unique_dim_cuda_templateIdEESt5tupleIJNS8_6TensorESD_SD_EERKSD_lbbbEUlllE1_EE10hipError_tPvRmT2_T3_mT4_P12ihipStream_tbEUlT_E_NS1_11comp_targetILNS1_3genE10ELNS1_11target_archE1201ELNS1_3gpuE5ELNS1_3repE0EEENS1_30default_config_static_selectorELNS0_4arch9wavefront6targetE1EEEvT1_.uses_vcc, 0
	.set _ZN7rocprim17ROCPRIM_400000_NS6detail17trampoline_kernelINS0_14default_configENS1_35adjacent_difference_config_selectorILb1ElEEZNS1_24adjacent_difference_implIS3_Lb1ELb0EPlS7_ZN2at6native12_GLOBAL__N_124unique_dim_cuda_templateIdEESt5tupleIJNS8_6TensorESD_SD_EERKSD_lbbbEUlllE1_EE10hipError_tPvRmT2_T3_mT4_P12ihipStream_tbEUlT_E_NS1_11comp_targetILNS1_3genE10ELNS1_11target_archE1201ELNS1_3gpuE5ELNS1_3repE0EEENS1_30default_config_static_selectorELNS0_4arch9wavefront6targetE1EEEvT1_.uses_flat_scratch, 0
	.set _ZN7rocprim17ROCPRIM_400000_NS6detail17trampoline_kernelINS0_14default_configENS1_35adjacent_difference_config_selectorILb1ElEEZNS1_24adjacent_difference_implIS3_Lb1ELb0EPlS7_ZN2at6native12_GLOBAL__N_124unique_dim_cuda_templateIdEESt5tupleIJNS8_6TensorESD_SD_EERKSD_lbbbEUlllE1_EE10hipError_tPvRmT2_T3_mT4_P12ihipStream_tbEUlT_E_NS1_11comp_targetILNS1_3genE10ELNS1_11target_archE1201ELNS1_3gpuE5ELNS1_3repE0EEENS1_30default_config_static_selectorELNS0_4arch9wavefront6targetE1EEEvT1_.has_dyn_sized_stack, 0
	.set _ZN7rocprim17ROCPRIM_400000_NS6detail17trampoline_kernelINS0_14default_configENS1_35adjacent_difference_config_selectorILb1ElEEZNS1_24adjacent_difference_implIS3_Lb1ELb0EPlS7_ZN2at6native12_GLOBAL__N_124unique_dim_cuda_templateIdEESt5tupleIJNS8_6TensorESD_SD_EERKSD_lbbbEUlllE1_EE10hipError_tPvRmT2_T3_mT4_P12ihipStream_tbEUlT_E_NS1_11comp_targetILNS1_3genE10ELNS1_11target_archE1201ELNS1_3gpuE5ELNS1_3repE0EEENS1_30default_config_static_selectorELNS0_4arch9wavefront6targetE1EEEvT1_.has_recursion, 0
	.set _ZN7rocprim17ROCPRIM_400000_NS6detail17trampoline_kernelINS0_14default_configENS1_35adjacent_difference_config_selectorILb1ElEEZNS1_24adjacent_difference_implIS3_Lb1ELb0EPlS7_ZN2at6native12_GLOBAL__N_124unique_dim_cuda_templateIdEESt5tupleIJNS8_6TensorESD_SD_EERKSD_lbbbEUlllE1_EE10hipError_tPvRmT2_T3_mT4_P12ihipStream_tbEUlT_E_NS1_11comp_targetILNS1_3genE10ELNS1_11target_archE1201ELNS1_3gpuE5ELNS1_3repE0EEENS1_30default_config_static_selectorELNS0_4arch9wavefront6targetE1EEEvT1_.has_indirect_call, 0
	.section	.AMDGPU.csdata,"",@progbits
; Kernel info:
; codeLenInByte = 0
; TotalNumSgprs: 6
; NumVgprs: 0
; NumAgprs: 0
; TotalNumVgprs: 0
; ScratchSize: 0
; MemoryBound: 0
; FloatMode: 240
; IeeeMode: 1
; LDSByteSize: 0 bytes/workgroup (compile time only)
; SGPRBlocks: 0
; VGPRBlocks: 0
; NumSGPRsForWavesPerEU: 6
; NumVGPRsForWavesPerEU: 1
; AccumOffset: 4
; Occupancy: 8
; WaveLimiterHint : 0
; COMPUTE_PGM_RSRC2:SCRATCH_EN: 0
; COMPUTE_PGM_RSRC2:USER_SGPR: 2
; COMPUTE_PGM_RSRC2:TRAP_HANDLER: 0
; COMPUTE_PGM_RSRC2:TGID_X_EN: 1
; COMPUTE_PGM_RSRC2:TGID_Y_EN: 0
; COMPUTE_PGM_RSRC2:TGID_Z_EN: 0
; COMPUTE_PGM_RSRC2:TIDIG_COMP_CNT: 0
; COMPUTE_PGM_RSRC3_GFX90A:ACCUM_OFFSET: 0
; COMPUTE_PGM_RSRC3_GFX90A:TG_SPLIT: 0
	.section	.text._ZN7rocprim17ROCPRIM_400000_NS6detail17trampoline_kernelINS0_14default_configENS1_35adjacent_difference_config_selectorILb1ElEEZNS1_24adjacent_difference_implIS3_Lb1ELb0EPlS7_ZN2at6native12_GLOBAL__N_124unique_dim_cuda_templateIdEESt5tupleIJNS8_6TensorESD_SD_EERKSD_lbbbEUlllE1_EE10hipError_tPvRmT2_T3_mT4_P12ihipStream_tbEUlT_E_NS1_11comp_targetILNS1_3genE5ELNS1_11target_archE942ELNS1_3gpuE9ELNS1_3repE0EEENS1_30default_config_static_selectorELNS0_4arch9wavefront6targetE1EEEvT1_,"axG",@progbits,_ZN7rocprim17ROCPRIM_400000_NS6detail17trampoline_kernelINS0_14default_configENS1_35adjacent_difference_config_selectorILb1ElEEZNS1_24adjacent_difference_implIS3_Lb1ELb0EPlS7_ZN2at6native12_GLOBAL__N_124unique_dim_cuda_templateIdEESt5tupleIJNS8_6TensorESD_SD_EERKSD_lbbbEUlllE1_EE10hipError_tPvRmT2_T3_mT4_P12ihipStream_tbEUlT_E_NS1_11comp_targetILNS1_3genE5ELNS1_11target_archE942ELNS1_3gpuE9ELNS1_3repE0EEENS1_30default_config_static_selectorELNS0_4arch9wavefront6targetE1EEEvT1_,comdat
	.globl	_ZN7rocprim17ROCPRIM_400000_NS6detail17trampoline_kernelINS0_14default_configENS1_35adjacent_difference_config_selectorILb1ElEEZNS1_24adjacent_difference_implIS3_Lb1ELb0EPlS7_ZN2at6native12_GLOBAL__N_124unique_dim_cuda_templateIdEESt5tupleIJNS8_6TensorESD_SD_EERKSD_lbbbEUlllE1_EE10hipError_tPvRmT2_T3_mT4_P12ihipStream_tbEUlT_E_NS1_11comp_targetILNS1_3genE5ELNS1_11target_archE942ELNS1_3gpuE9ELNS1_3repE0EEENS1_30default_config_static_selectorELNS0_4arch9wavefront6targetE1EEEvT1_ ; -- Begin function _ZN7rocprim17ROCPRIM_400000_NS6detail17trampoline_kernelINS0_14default_configENS1_35adjacent_difference_config_selectorILb1ElEEZNS1_24adjacent_difference_implIS3_Lb1ELb0EPlS7_ZN2at6native12_GLOBAL__N_124unique_dim_cuda_templateIdEESt5tupleIJNS8_6TensorESD_SD_EERKSD_lbbbEUlllE1_EE10hipError_tPvRmT2_T3_mT4_P12ihipStream_tbEUlT_E_NS1_11comp_targetILNS1_3genE5ELNS1_11target_archE942ELNS1_3gpuE9ELNS1_3repE0EEENS1_30default_config_static_selectorELNS0_4arch9wavefront6targetE1EEEvT1_
	.p2align	8
	.type	_ZN7rocprim17ROCPRIM_400000_NS6detail17trampoline_kernelINS0_14default_configENS1_35adjacent_difference_config_selectorILb1ElEEZNS1_24adjacent_difference_implIS3_Lb1ELb0EPlS7_ZN2at6native12_GLOBAL__N_124unique_dim_cuda_templateIdEESt5tupleIJNS8_6TensorESD_SD_EERKSD_lbbbEUlllE1_EE10hipError_tPvRmT2_T3_mT4_P12ihipStream_tbEUlT_E_NS1_11comp_targetILNS1_3genE5ELNS1_11target_archE942ELNS1_3gpuE9ELNS1_3repE0EEENS1_30default_config_static_selectorELNS0_4arch9wavefront6targetE1EEEvT1_,@function
_ZN7rocprim17ROCPRIM_400000_NS6detail17trampoline_kernelINS0_14default_configENS1_35adjacent_difference_config_selectorILb1ElEEZNS1_24adjacent_difference_implIS3_Lb1ELb0EPlS7_ZN2at6native12_GLOBAL__N_124unique_dim_cuda_templateIdEESt5tupleIJNS8_6TensorESD_SD_EERKSD_lbbbEUlllE1_EE10hipError_tPvRmT2_T3_mT4_P12ihipStream_tbEUlT_E_NS1_11comp_targetILNS1_3genE5ELNS1_11target_archE942ELNS1_3gpuE9ELNS1_3repE0EEENS1_30default_config_static_selectorELNS0_4arch9wavefront6targetE1EEEvT1_: ; @_ZN7rocprim17ROCPRIM_400000_NS6detail17trampoline_kernelINS0_14default_configENS1_35adjacent_difference_config_selectorILb1ElEEZNS1_24adjacent_difference_implIS3_Lb1ELb0EPlS7_ZN2at6native12_GLOBAL__N_124unique_dim_cuda_templateIdEESt5tupleIJNS8_6TensorESD_SD_EERKSD_lbbbEUlllE1_EE10hipError_tPvRmT2_T3_mT4_P12ihipStream_tbEUlT_E_NS1_11comp_targetILNS1_3genE5ELNS1_11target_archE942ELNS1_3gpuE9ELNS1_3repE0EEENS1_30default_config_static_selectorELNS0_4arch9wavefront6targetE1EEEvT1_
; %bb.0:
	.section	.rodata,"a",@progbits
	.p2align	6, 0x0
	.amdhsa_kernel _ZN7rocprim17ROCPRIM_400000_NS6detail17trampoline_kernelINS0_14default_configENS1_35adjacent_difference_config_selectorILb1ElEEZNS1_24adjacent_difference_implIS3_Lb1ELb0EPlS7_ZN2at6native12_GLOBAL__N_124unique_dim_cuda_templateIdEESt5tupleIJNS8_6TensorESD_SD_EERKSD_lbbbEUlllE1_EE10hipError_tPvRmT2_T3_mT4_P12ihipStream_tbEUlT_E_NS1_11comp_targetILNS1_3genE5ELNS1_11target_archE942ELNS1_3gpuE9ELNS1_3repE0EEENS1_30default_config_static_selectorELNS0_4arch9wavefront6targetE1EEEvT1_
		.amdhsa_group_segment_fixed_size 0
		.amdhsa_private_segment_fixed_size 0
		.amdhsa_kernarg_size 64
		.amdhsa_user_sgpr_count 2
		.amdhsa_user_sgpr_dispatch_ptr 0
		.amdhsa_user_sgpr_queue_ptr 0
		.amdhsa_user_sgpr_kernarg_segment_ptr 1
		.amdhsa_user_sgpr_dispatch_id 0
		.amdhsa_user_sgpr_kernarg_preload_length 0
		.amdhsa_user_sgpr_kernarg_preload_offset 0
		.amdhsa_user_sgpr_private_segment_size 0
		.amdhsa_uses_dynamic_stack 0
		.amdhsa_enable_private_segment 0
		.amdhsa_system_sgpr_workgroup_id_x 1
		.amdhsa_system_sgpr_workgroup_id_y 0
		.amdhsa_system_sgpr_workgroup_id_z 0
		.amdhsa_system_sgpr_workgroup_info 0
		.amdhsa_system_vgpr_workitem_id 0
		.amdhsa_next_free_vgpr 1
		.amdhsa_next_free_sgpr 0
		.amdhsa_accum_offset 4
		.amdhsa_reserve_vcc 0
		.amdhsa_float_round_mode_32 0
		.amdhsa_float_round_mode_16_64 0
		.amdhsa_float_denorm_mode_32 3
		.amdhsa_float_denorm_mode_16_64 3
		.amdhsa_dx10_clamp 1
		.amdhsa_ieee_mode 1
		.amdhsa_fp16_overflow 0
		.amdhsa_tg_split 0
		.amdhsa_exception_fp_ieee_invalid_op 0
		.amdhsa_exception_fp_denorm_src 0
		.amdhsa_exception_fp_ieee_div_zero 0
		.amdhsa_exception_fp_ieee_overflow 0
		.amdhsa_exception_fp_ieee_underflow 0
		.amdhsa_exception_fp_ieee_inexact 0
		.amdhsa_exception_int_div_zero 0
	.end_amdhsa_kernel
	.section	.text._ZN7rocprim17ROCPRIM_400000_NS6detail17trampoline_kernelINS0_14default_configENS1_35adjacent_difference_config_selectorILb1ElEEZNS1_24adjacent_difference_implIS3_Lb1ELb0EPlS7_ZN2at6native12_GLOBAL__N_124unique_dim_cuda_templateIdEESt5tupleIJNS8_6TensorESD_SD_EERKSD_lbbbEUlllE1_EE10hipError_tPvRmT2_T3_mT4_P12ihipStream_tbEUlT_E_NS1_11comp_targetILNS1_3genE5ELNS1_11target_archE942ELNS1_3gpuE9ELNS1_3repE0EEENS1_30default_config_static_selectorELNS0_4arch9wavefront6targetE1EEEvT1_,"axG",@progbits,_ZN7rocprim17ROCPRIM_400000_NS6detail17trampoline_kernelINS0_14default_configENS1_35adjacent_difference_config_selectorILb1ElEEZNS1_24adjacent_difference_implIS3_Lb1ELb0EPlS7_ZN2at6native12_GLOBAL__N_124unique_dim_cuda_templateIdEESt5tupleIJNS8_6TensorESD_SD_EERKSD_lbbbEUlllE1_EE10hipError_tPvRmT2_T3_mT4_P12ihipStream_tbEUlT_E_NS1_11comp_targetILNS1_3genE5ELNS1_11target_archE942ELNS1_3gpuE9ELNS1_3repE0EEENS1_30default_config_static_selectorELNS0_4arch9wavefront6targetE1EEEvT1_,comdat
.Lfunc_end801:
	.size	_ZN7rocprim17ROCPRIM_400000_NS6detail17trampoline_kernelINS0_14default_configENS1_35adjacent_difference_config_selectorILb1ElEEZNS1_24adjacent_difference_implIS3_Lb1ELb0EPlS7_ZN2at6native12_GLOBAL__N_124unique_dim_cuda_templateIdEESt5tupleIJNS8_6TensorESD_SD_EERKSD_lbbbEUlllE1_EE10hipError_tPvRmT2_T3_mT4_P12ihipStream_tbEUlT_E_NS1_11comp_targetILNS1_3genE5ELNS1_11target_archE942ELNS1_3gpuE9ELNS1_3repE0EEENS1_30default_config_static_selectorELNS0_4arch9wavefront6targetE1EEEvT1_, .Lfunc_end801-_ZN7rocprim17ROCPRIM_400000_NS6detail17trampoline_kernelINS0_14default_configENS1_35adjacent_difference_config_selectorILb1ElEEZNS1_24adjacent_difference_implIS3_Lb1ELb0EPlS7_ZN2at6native12_GLOBAL__N_124unique_dim_cuda_templateIdEESt5tupleIJNS8_6TensorESD_SD_EERKSD_lbbbEUlllE1_EE10hipError_tPvRmT2_T3_mT4_P12ihipStream_tbEUlT_E_NS1_11comp_targetILNS1_3genE5ELNS1_11target_archE942ELNS1_3gpuE9ELNS1_3repE0EEENS1_30default_config_static_selectorELNS0_4arch9wavefront6targetE1EEEvT1_
                                        ; -- End function
	.set _ZN7rocprim17ROCPRIM_400000_NS6detail17trampoline_kernelINS0_14default_configENS1_35adjacent_difference_config_selectorILb1ElEEZNS1_24adjacent_difference_implIS3_Lb1ELb0EPlS7_ZN2at6native12_GLOBAL__N_124unique_dim_cuda_templateIdEESt5tupleIJNS8_6TensorESD_SD_EERKSD_lbbbEUlllE1_EE10hipError_tPvRmT2_T3_mT4_P12ihipStream_tbEUlT_E_NS1_11comp_targetILNS1_3genE5ELNS1_11target_archE942ELNS1_3gpuE9ELNS1_3repE0EEENS1_30default_config_static_selectorELNS0_4arch9wavefront6targetE1EEEvT1_.num_vgpr, 0
	.set _ZN7rocprim17ROCPRIM_400000_NS6detail17trampoline_kernelINS0_14default_configENS1_35adjacent_difference_config_selectorILb1ElEEZNS1_24adjacent_difference_implIS3_Lb1ELb0EPlS7_ZN2at6native12_GLOBAL__N_124unique_dim_cuda_templateIdEESt5tupleIJNS8_6TensorESD_SD_EERKSD_lbbbEUlllE1_EE10hipError_tPvRmT2_T3_mT4_P12ihipStream_tbEUlT_E_NS1_11comp_targetILNS1_3genE5ELNS1_11target_archE942ELNS1_3gpuE9ELNS1_3repE0EEENS1_30default_config_static_selectorELNS0_4arch9wavefront6targetE1EEEvT1_.num_agpr, 0
	.set _ZN7rocprim17ROCPRIM_400000_NS6detail17trampoline_kernelINS0_14default_configENS1_35adjacent_difference_config_selectorILb1ElEEZNS1_24adjacent_difference_implIS3_Lb1ELb0EPlS7_ZN2at6native12_GLOBAL__N_124unique_dim_cuda_templateIdEESt5tupleIJNS8_6TensorESD_SD_EERKSD_lbbbEUlllE1_EE10hipError_tPvRmT2_T3_mT4_P12ihipStream_tbEUlT_E_NS1_11comp_targetILNS1_3genE5ELNS1_11target_archE942ELNS1_3gpuE9ELNS1_3repE0EEENS1_30default_config_static_selectorELNS0_4arch9wavefront6targetE1EEEvT1_.numbered_sgpr, 0
	.set _ZN7rocprim17ROCPRIM_400000_NS6detail17trampoline_kernelINS0_14default_configENS1_35adjacent_difference_config_selectorILb1ElEEZNS1_24adjacent_difference_implIS3_Lb1ELb0EPlS7_ZN2at6native12_GLOBAL__N_124unique_dim_cuda_templateIdEESt5tupleIJNS8_6TensorESD_SD_EERKSD_lbbbEUlllE1_EE10hipError_tPvRmT2_T3_mT4_P12ihipStream_tbEUlT_E_NS1_11comp_targetILNS1_3genE5ELNS1_11target_archE942ELNS1_3gpuE9ELNS1_3repE0EEENS1_30default_config_static_selectorELNS0_4arch9wavefront6targetE1EEEvT1_.num_named_barrier, 0
	.set _ZN7rocprim17ROCPRIM_400000_NS6detail17trampoline_kernelINS0_14default_configENS1_35adjacent_difference_config_selectorILb1ElEEZNS1_24adjacent_difference_implIS3_Lb1ELb0EPlS7_ZN2at6native12_GLOBAL__N_124unique_dim_cuda_templateIdEESt5tupleIJNS8_6TensorESD_SD_EERKSD_lbbbEUlllE1_EE10hipError_tPvRmT2_T3_mT4_P12ihipStream_tbEUlT_E_NS1_11comp_targetILNS1_3genE5ELNS1_11target_archE942ELNS1_3gpuE9ELNS1_3repE0EEENS1_30default_config_static_selectorELNS0_4arch9wavefront6targetE1EEEvT1_.private_seg_size, 0
	.set _ZN7rocprim17ROCPRIM_400000_NS6detail17trampoline_kernelINS0_14default_configENS1_35adjacent_difference_config_selectorILb1ElEEZNS1_24adjacent_difference_implIS3_Lb1ELb0EPlS7_ZN2at6native12_GLOBAL__N_124unique_dim_cuda_templateIdEESt5tupleIJNS8_6TensorESD_SD_EERKSD_lbbbEUlllE1_EE10hipError_tPvRmT2_T3_mT4_P12ihipStream_tbEUlT_E_NS1_11comp_targetILNS1_3genE5ELNS1_11target_archE942ELNS1_3gpuE9ELNS1_3repE0EEENS1_30default_config_static_selectorELNS0_4arch9wavefront6targetE1EEEvT1_.uses_vcc, 0
	.set _ZN7rocprim17ROCPRIM_400000_NS6detail17trampoline_kernelINS0_14default_configENS1_35adjacent_difference_config_selectorILb1ElEEZNS1_24adjacent_difference_implIS3_Lb1ELb0EPlS7_ZN2at6native12_GLOBAL__N_124unique_dim_cuda_templateIdEESt5tupleIJNS8_6TensorESD_SD_EERKSD_lbbbEUlllE1_EE10hipError_tPvRmT2_T3_mT4_P12ihipStream_tbEUlT_E_NS1_11comp_targetILNS1_3genE5ELNS1_11target_archE942ELNS1_3gpuE9ELNS1_3repE0EEENS1_30default_config_static_selectorELNS0_4arch9wavefront6targetE1EEEvT1_.uses_flat_scratch, 0
	.set _ZN7rocprim17ROCPRIM_400000_NS6detail17trampoline_kernelINS0_14default_configENS1_35adjacent_difference_config_selectorILb1ElEEZNS1_24adjacent_difference_implIS3_Lb1ELb0EPlS7_ZN2at6native12_GLOBAL__N_124unique_dim_cuda_templateIdEESt5tupleIJNS8_6TensorESD_SD_EERKSD_lbbbEUlllE1_EE10hipError_tPvRmT2_T3_mT4_P12ihipStream_tbEUlT_E_NS1_11comp_targetILNS1_3genE5ELNS1_11target_archE942ELNS1_3gpuE9ELNS1_3repE0EEENS1_30default_config_static_selectorELNS0_4arch9wavefront6targetE1EEEvT1_.has_dyn_sized_stack, 0
	.set _ZN7rocprim17ROCPRIM_400000_NS6detail17trampoline_kernelINS0_14default_configENS1_35adjacent_difference_config_selectorILb1ElEEZNS1_24adjacent_difference_implIS3_Lb1ELb0EPlS7_ZN2at6native12_GLOBAL__N_124unique_dim_cuda_templateIdEESt5tupleIJNS8_6TensorESD_SD_EERKSD_lbbbEUlllE1_EE10hipError_tPvRmT2_T3_mT4_P12ihipStream_tbEUlT_E_NS1_11comp_targetILNS1_3genE5ELNS1_11target_archE942ELNS1_3gpuE9ELNS1_3repE0EEENS1_30default_config_static_selectorELNS0_4arch9wavefront6targetE1EEEvT1_.has_recursion, 0
	.set _ZN7rocprim17ROCPRIM_400000_NS6detail17trampoline_kernelINS0_14default_configENS1_35adjacent_difference_config_selectorILb1ElEEZNS1_24adjacent_difference_implIS3_Lb1ELb0EPlS7_ZN2at6native12_GLOBAL__N_124unique_dim_cuda_templateIdEESt5tupleIJNS8_6TensorESD_SD_EERKSD_lbbbEUlllE1_EE10hipError_tPvRmT2_T3_mT4_P12ihipStream_tbEUlT_E_NS1_11comp_targetILNS1_3genE5ELNS1_11target_archE942ELNS1_3gpuE9ELNS1_3repE0EEENS1_30default_config_static_selectorELNS0_4arch9wavefront6targetE1EEEvT1_.has_indirect_call, 0
	.section	.AMDGPU.csdata,"",@progbits
; Kernel info:
; codeLenInByte = 0
; TotalNumSgprs: 6
; NumVgprs: 0
; NumAgprs: 0
; TotalNumVgprs: 0
; ScratchSize: 0
; MemoryBound: 0
; FloatMode: 240
; IeeeMode: 1
; LDSByteSize: 0 bytes/workgroup (compile time only)
; SGPRBlocks: 0
; VGPRBlocks: 0
; NumSGPRsForWavesPerEU: 6
; NumVGPRsForWavesPerEU: 1
; AccumOffset: 4
; Occupancy: 8
; WaveLimiterHint : 0
; COMPUTE_PGM_RSRC2:SCRATCH_EN: 0
; COMPUTE_PGM_RSRC2:USER_SGPR: 2
; COMPUTE_PGM_RSRC2:TRAP_HANDLER: 0
; COMPUTE_PGM_RSRC2:TGID_X_EN: 1
; COMPUTE_PGM_RSRC2:TGID_Y_EN: 0
; COMPUTE_PGM_RSRC2:TGID_Z_EN: 0
; COMPUTE_PGM_RSRC2:TIDIG_COMP_CNT: 0
; COMPUTE_PGM_RSRC3_GFX90A:ACCUM_OFFSET: 0
; COMPUTE_PGM_RSRC3_GFX90A:TG_SPLIT: 0
	.section	.text._ZN7rocprim17ROCPRIM_400000_NS6detail17trampoline_kernelINS0_14default_configENS1_35adjacent_difference_config_selectorILb1ElEEZNS1_24adjacent_difference_implIS3_Lb1ELb0EPlS7_ZN2at6native12_GLOBAL__N_124unique_dim_cuda_templateIdEESt5tupleIJNS8_6TensorESD_SD_EERKSD_lbbbEUlllE1_EE10hipError_tPvRmT2_T3_mT4_P12ihipStream_tbEUlT_E_NS1_11comp_targetILNS1_3genE4ELNS1_11target_archE910ELNS1_3gpuE8ELNS1_3repE0EEENS1_30default_config_static_selectorELNS0_4arch9wavefront6targetE1EEEvT1_,"axG",@progbits,_ZN7rocprim17ROCPRIM_400000_NS6detail17trampoline_kernelINS0_14default_configENS1_35adjacent_difference_config_selectorILb1ElEEZNS1_24adjacent_difference_implIS3_Lb1ELb0EPlS7_ZN2at6native12_GLOBAL__N_124unique_dim_cuda_templateIdEESt5tupleIJNS8_6TensorESD_SD_EERKSD_lbbbEUlllE1_EE10hipError_tPvRmT2_T3_mT4_P12ihipStream_tbEUlT_E_NS1_11comp_targetILNS1_3genE4ELNS1_11target_archE910ELNS1_3gpuE8ELNS1_3repE0EEENS1_30default_config_static_selectorELNS0_4arch9wavefront6targetE1EEEvT1_,comdat
	.globl	_ZN7rocprim17ROCPRIM_400000_NS6detail17trampoline_kernelINS0_14default_configENS1_35adjacent_difference_config_selectorILb1ElEEZNS1_24adjacent_difference_implIS3_Lb1ELb0EPlS7_ZN2at6native12_GLOBAL__N_124unique_dim_cuda_templateIdEESt5tupleIJNS8_6TensorESD_SD_EERKSD_lbbbEUlllE1_EE10hipError_tPvRmT2_T3_mT4_P12ihipStream_tbEUlT_E_NS1_11comp_targetILNS1_3genE4ELNS1_11target_archE910ELNS1_3gpuE8ELNS1_3repE0EEENS1_30default_config_static_selectorELNS0_4arch9wavefront6targetE1EEEvT1_ ; -- Begin function _ZN7rocprim17ROCPRIM_400000_NS6detail17trampoline_kernelINS0_14default_configENS1_35adjacent_difference_config_selectorILb1ElEEZNS1_24adjacent_difference_implIS3_Lb1ELb0EPlS7_ZN2at6native12_GLOBAL__N_124unique_dim_cuda_templateIdEESt5tupleIJNS8_6TensorESD_SD_EERKSD_lbbbEUlllE1_EE10hipError_tPvRmT2_T3_mT4_P12ihipStream_tbEUlT_E_NS1_11comp_targetILNS1_3genE4ELNS1_11target_archE910ELNS1_3gpuE8ELNS1_3repE0EEENS1_30default_config_static_selectorELNS0_4arch9wavefront6targetE1EEEvT1_
	.p2align	8
	.type	_ZN7rocprim17ROCPRIM_400000_NS6detail17trampoline_kernelINS0_14default_configENS1_35adjacent_difference_config_selectorILb1ElEEZNS1_24adjacent_difference_implIS3_Lb1ELb0EPlS7_ZN2at6native12_GLOBAL__N_124unique_dim_cuda_templateIdEESt5tupleIJNS8_6TensorESD_SD_EERKSD_lbbbEUlllE1_EE10hipError_tPvRmT2_T3_mT4_P12ihipStream_tbEUlT_E_NS1_11comp_targetILNS1_3genE4ELNS1_11target_archE910ELNS1_3gpuE8ELNS1_3repE0EEENS1_30default_config_static_selectorELNS0_4arch9wavefront6targetE1EEEvT1_,@function
_ZN7rocprim17ROCPRIM_400000_NS6detail17trampoline_kernelINS0_14default_configENS1_35adjacent_difference_config_selectorILb1ElEEZNS1_24adjacent_difference_implIS3_Lb1ELb0EPlS7_ZN2at6native12_GLOBAL__N_124unique_dim_cuda_templateIdEESt5tupleIJNS8_6TensorESD_SD_EERKSD_lbbbEUlllE1_EE10hipError_tPvRmT2_T3_mT4_P12ihipStream_tbEUlT_E_NS1_11comp_targetILNS1_3genE4ELNS1_11target_archE910ELNS1_3gpuE8ELNS1_3repE0EEENS1_30default_config_static_selectorELNS0_4arch9wavefront6targetE1EEEvT1_: ; @_ZN7rocprim17ROCPRIM_400000_NS6detail17trampoline_kernelINS0_14default_configENS1_35adjacent_difference_config_selectorILb1ElEEZNS1_24adjacent_difference_implIS3_Lb1ELb0EPlS7_ZN2at6native12_GLOBAL__N_124unique_dim_cuda_templateIdEESt5tupleIJNS8_6TensorESD_SD_EERKSD_lbbbEUlllE1_EE10hipError_tPvRmT2_T3_mT4_P12ihipStream_tbEUlT_E_NS1_11comp_targetILNS1_3genE4ELNS1_11target_archE910ELNS1_3gpuE8ELNS1_3repE0EEENS1_30default_config_static_selectorELNS0_4arch9wavefront6targetE1EEEvT1_
; %bb.0:
	.section	.rodata,"a",@progbits
	.p2align	6, 0x0
	.amdhsa_kernel _ZN7rocprim17ROCPRIM_400000_NS6detail17trampoline_kernelINS0_14default_configENS1_35adjacent_difference_config_selectorILb1ElEEZNS1_24adjacent_difference_implIS3_Lb1ELb0EPlS7_ZN2at6native12_GLOBAL__N_124unique_dim_cuda_templateIdEESt5tupleIJNS8_6TensorESD_SD_EERKSD_lbbbEUlllE1_EE10hipError_tPvRmT2_T3_mT4_P12ihipStream_tbEUlT_E_NS1_11comp_targetILNS1_3genE4ELNS1_11target_archE910ELNS1_3gpuE8ELNS1_3repE0EEENS1_30default_config_static_selectorELNS0_4arch9wavefront6targetE1EEEvT1_
		.amdhsa_group_segment_fixed_size 0
		.amdhsa_private_segment_fixed_size 0
		.amdhsa_kernarg_size 64
		.amdhsa_user_sgpr_count 2
		.amdhsa_user_sgpr_dispatch_ptr 0
		.amdhsa_user_sgpr_queue_ptr 0
		.amdhsa_user_sgpr_kernarg_segment_ptr 1
		.amdhsa_user_sgpr_dispatch_id 0
		.amdhsa_user_sgpr_kernarg_preload_length 0
		.amdhsa_user_sgpr_kernarg_preload_offset 0
		.amdhsa_user_sgpr_private_segment_size 0
		.amdhsa_uses_dynamic_stack 0
		.amdhsa_enable_private_segment 0
		.amdhsa_system_sgpr_workgroup_id_x 1
		.amdhsa_system_sgpr_workgroup_id_y 0
		.amdhsa_system_sgpr_workgroup_id_z 0
		.amdhsa_system_sgpr_workgroup_info 0
		.amdhsa_system_vgpr_workitem_id 0
		.amdhsa_next_free_vgpr 1
		.amdhsa_next_free_sgpr 0
		.amdhsa_accum_offset 4
		.amdhsa_reserve_vcc 0
		.amdhsa_float_round_mode_32 0
		.amdhsa_float_round_mode_16_64 0
		.amdhsa_float_denorm_mode_32 3
		.amdhsa_float_denorm_mode_16_64 3
		.amdhsa_dx10_clamp 1
		.amdhsa_ieee_mode 1
		.amdhsa_fp16_overflow 0
		.amdhsa_tg_split 0
		.amdhsa_exception_fp_ieee_invalid_op 0
		.amdhsa_exception_fp_denorm_src 0
		.amdhsa_exception_fp_ieee_div_zero 0
		.amdhsa_exception_fp_ieee_overflow 0
		.amdhsa_exception_fp_ieee_underflow 0
		.amdhsa_exception_fp_ieee_inexact 0
		.amdhsa_exception_int_div_zero 0
	.end_amdhsa_kernel
	.section	.text._ZN7rocprim17ROCPRIM_400000_NS6detail17trampoline_kernelINS0_14default_configENS1_35adjacent_difference_config_selectorILb1ElEEZNS1_24adjacent_difference_implIS3_Lb1ELb0EPlS7_ZN2at6native12_GLOBAL__N_124unique_dim_cuda_templateIdEESt5tupleIJNS8_6TensorESD_SD_EERKSD_lbbbEUlllE1_EE10hipError_tPvRmT2_T3_mT4_P12ihipStream_tbEUlT_E_NS1_11comp_targetILNS1_3genE4ELNS1_11target_archE910ELNS1_3gpuE8ELNS1_3repE0EEENS1_30default_config_static_selectorELNS0_4arch9wavefront6targetE1EEEvT1_,"axG",@progbits,_ZN7rocprim17ROCPRIM_400000_NS6detail17trampoline_kernelINS0_14default_configENS1_35adjacent_difference_config_selectorILb1ElEEZNS1_24adjacent_difference_implIS3_Lb1ELb0EPlS7_ZN2at6native12_GLOBAL__N_124unique_dim_cuda_templateIdEESt5tupleIJNS8_6TensorESD_SD_EERKSD_lbbbEUlllE1_EE10hipError_tPvRmT2_T3_mT4_P12ihipStream_tbEUlT_E_NS1_11comp_targetILNS1_3genE4ELNS1_11target_archE910ELNS1_3gpuE8ELNS1_3repE0EEENS1_30default_config_static_selectorELNS0_4arch9wavefront6targetE1EEEvT1_,comdat
.Lfunc_end802:
	.size	_ZN7rocprim17ROCPRIM_400000_NS6detail17trampoline_kernelINS0_14default_configENS1_35adjacent_difference_config_selectorILb1ElEEZNS1_24adjacent_difference_implIS3_Lb1ELb0EPlS7_ZN2at6native12_GLOBAL__N_124unique_dim_cuda_templateIdEESt5tupleIJNS8_6TensorESD_SD_EERKSD_lbbbEUlllE1_EE10hipError_tPvRmT2_T3_mT4_P12ihipStream_tbEUlT_E_NS1_11comp_targetILNS1_3genE4ELNS1_11target_archE910ELNS1_3gpuE8ELNS1_3repE0EEENS1_30default_config_static_selectorELNS0_4arch9wavefront6targetE1EEEvT1_, .Lfunc_end802-_ZN7rocprim17ROCPRIM_400000_NS6detail17trampoline_kernelINS0_14default_configENS1_35adjacent_difference_config_selectorILb1ElEEZNS1_24adjacent_difference_implIS3_Lb1ELb0EPlS7_ZN2at6native12_GLOBAL__N_124unique_dim_cuda_templateIdEESt5tupleIJNS8_6TensorESD_SD_EERKSD_lbbbEUlllE1_EE10hipError_tPvRmT2_T3_mT4_P12ihipStream_tbEUlT_E_NS1_11comp_targetILNS1_3genE4ELNS1_11target_archE910ELNS1_3gpuE8ELNS1_3repE0EEENS1_30default_config_static_selectorELNS0_4arch9wavefront6targetE1EEEvT1_
                                        ; -- End function
	.set _ZN7rocprim17ROCPRIM_400000_NS6detail17trampoline_kernelINS0_14default_configENS1_35adjacent_difference_config_selectorILb1ElEEZNS1_24adjacent_difference_implIS3_Lb1ELb0EPlS7_ZN2at6native12_GLOBAL__N_124unique_dim_cuda_templateIdEESt5tupleIJNS8_6TensorESD_SD_EERKSD_lbbbEUlllE1_EE10hipError_tPvRmT2_T3_mT4_P12ihipStream_tbEUlT_E_NS1_11comp_targetILNS1_3genE4ELNS1_11target_archE910ELNS1_3gpuE8ELNS1_3repE0EEENS1_30default_config_static_selectorELNS0_4arch9wavefront6targetE1EEEvT1_.num_vgpr, 0
	.set _ZN7rocprim17ROCPRIM_400000_NS6detail17trampoline_kernelINS0_14default_configENS1_35adjacent_difference_config_selectorILb1ElEEZNS1_24adjacent_difference_implIS3_Lb1ELb0EPlS7_ZN2at6native12_GLOBAL__N_124unique_dim_cuda_templateIdEESt5tupleIJNS8_6TensorESD_SD_EERKSD_lbbbEUlllE1_EE10hipError_tPvRmT2_T3_mT4_P12ihipStream_tbEUlT_E_NS1_11comp_targetILNS1_3genE4ELNS1_11target_archE910ELNS1_3gpuE8ELNS1_3repE0EEENS1_30default_config_static_selectorELNS0_4arch9wavefront6targetE1EEEvT1_.num_agpr, 0
	.set _ZN7rocprim17ROCPRIM_400000_NS6detail17trampoline_kernelINS0_14default_configENS1_35adjacent_difference_config_selectorILb1ElEEZNS1_24adjacent_difference_implIS3_Lb1ELb0EPlS7_ZN2at6native12_GLOBAL__N_124unique_dim_cuda_templateIdEESt5tupleIJNS8_6TensorESD_SD_EERKSD_lbbbEUlllE1_EE10hipError_tPvRmT2_T3_mT4_P12ihipStream_tbEUlT_E_NS1_11comp_targetILNS1_3genE4ELNS1_11target_archE910ELNS1_3gpuE8ELNS1_3repE0EEENS1_30default_config_static_selectorELNS0_4arch9wavefront6targetE1EEEvT1_.numbered_sgpr, 0
	.set _ZN7rocprim17ROCPRIM_400000_NS6detail17trampoline_kernelINS0_14default_configENS1_35adjacent_difference_config_selectorILb1ElEEZNS1_24adjacent_difference_implIS3_Lb1ELb0EPlS7_ZN2at6native12_GLOBAL__N_124unique_dim_cuda_templateIdEESt5tupleIJNS8_6TensorESD_SD_EERKSD_lbbbEUlllE1_EE10hipError_tPvRmT2_T3_mT4_P12ihipStream_tbEUlT_E_NS1_11comp_targetILNS1_3genE4ELNS1_11target_archE910ELNS1_3gpuE8ELNS1_3repE0EEENS1_30default_config_static_selectorELNS0_4arch9wavefront6targetE1EEEvT1_.num_named_barrier, 0
	.set _ZN7rocprim17ROCPRIM_400000_NS6detail17trampoline_kernelINS0_14default_configENS1_35adjacent_difference_config_selectorILb1ElEEZNS1_24adjacent_difference_implIS3_Lb1ELb0EPlS7_ZN2at6native12_GLOBAL__N_124unique_dim_cuda_templateIdEESt5tupleIJNS8_6TensorESD_SD_EERKSD_lbbbEUlllE1_EE10hipError_tPvRmT2_T3_mT4_P12ihipStream_tbEUlT_E_NS1_11comp_targetILNS1_3genE4ELNS1_11target_archE910ELNS1_3gpuE8ELNS1_3repE0EEENS1_30default_config_static_selectorELNS0_4arch9wavefront6targetE1EEEvT1_.private_seg_size, 0
	.set _ZN7rocprim17ROCPRIM_400000_NS6detail17trampoline_kernelINS0_14default_configENS1_35adjacent_difference_config_selectorILb1ElEEZNS1_24adjacent_difference_implIS3_Lb1ELb0EPlS7_ZN2at6native12_GLOBAL__N_124unique_dim_cuda_templateIdEESt5tupleIJNS8_6TensorESD_SD_EERKSD_lbbbEUlllE1_EE10hipError_tPvRmT2_T3_mT4_P12ihipStream_tbEUlT_E_NS1_11comp_targetILNS1_3genE4ELNS1_11target_archE910ELNS1_3gpuE8ELNS1_3repE0EEENS1_30default_config_static_selectorELNS0_4arch9wavefront6targetE1EEEvT1_.uses_vcc, 0
	.set _ZN7rocprim17ROCPRIM_400000_NS6detail17trampoline_kernelINS0_14default_configENS1_35adjacent_difference_config_selectorILb1ElEEZNS1_24adjacent_difference_implIS3_Lb1ELb0EPlS7_ZN2at6native12_GLOBAL__N_124unique_dim_cuda_templateIdEESt5tupleIJNS8_6TensorESD_SD_EERKSD_lbbbEUlllE1_EE10hipError_tPvRmT2_T3_mT4_P12ihipStream_tbEUlT_E_NS1_11comp_targetILNS1_3genE4ELNS1_11target_archE910ELNS1_3gpuE8ELNS1_3repE0EEENS1_30default_config_static_selectorELNS0_4arch9wavefront6targetE1EEEvT1_.uses_flat_scratch, 0
	.set _ZN7rocprim17ROCPRIM_400000_NS6detail17trampoline_kernelINS0_14default_configENS1_35adjacent_difference_config_selectorILb1ElEEZNS1_24adjacent_difference_implIS3_Lb1ELb0EPlS7_ZN2at6native12_GLOBAL__N_124unique_dim_cuda_templateIdEESt5tupleIJNS8_6TensorESD_SD_EERKSD_lbbbEUlllE1_EE10hipError_tPvRmT2_T3_mT4_P12ihipStream_tbEUlT_E_NS1_11comp_targetILNS1_3genE4ELNS1_11target_archE910ELNS1_3gpuE8ELNS1_3repE0EEENS1_30default_config_static_selectorELNS0_4arch9wavefront6targetE1EEEvT1_.has_dyn_sized_stack, 0
	.set _ZN7rocprim17ROCPRIM_400000_NS6detail17trampoline_kernelINS0_14default_configENS1_35adjacent_difference_config_selectorILb1ElEEZNS1_24adjacent_difference_implIS3_Lb1ELb0EPlS7_ZN2at6native12_GLOBAL__N_124unique_dim_cuda_templateIdEESt5tupleIJNS8_6TensorESD_SD_EERKSD_lbbbEUlllE1_EE10hipError_tPvRmT2_T3_mT4_P12ihipStream_tbEUlT_E_NS1_11comp_targetILNS1_3genE4ELNS1_11target_archE910ELNS1_3gpuE8ELNS1_3repE0EEENS1_30default_config_static_selectorELNS0_4arch9wavefront6targetE1EEEvT1_.has_recursion, 0
	.set _ZN7rocprim17ROCPRIM_400000_NS6detail17trampoline_kernelINS0_14default_configENS1_35adjacent_difference_config_selectorILb1ElEEZNS1_24adjacent_difference_implIS3_Lb1ELb0EPlS7_ZN2at6native12_GLOBAL__N_124unique_dim_cuda_templateIdEESt5tupleIJNS8_6TensorESD_SD_EERKSD_lbbbEUlllE1_EE10hipError_tPvRmT2_T3_mT4_P12ihipStream_tbEUlT_E_NS1_11comp_targetILNS1_3genE4ELNS1_11target_archE910ELNS1_3gpuE8ELNS1_3repE0EEENS1_30default_config_static_selectorELNS0_4arch9wavefront6targetE1EEEvT1_.has_indirect_call, 0
	.section	.AMDGPU.csdata,"",@progbits
; Kernel info:
; codeLenInByte = 0
; TotalNumSgprs: 6
; NumVgprs: 0
; NumAgprs: 0
; TotalNumVgprs: 0
; ScratchSize: 0
; MemoryBound: 0
; FloatMode: 240
; IeeeMode: 1
; LDSByteSize: 0 bytes/workgroup (compile time only)
; SGPRBlocks: 0
; VGPRBlocks: 0
; NumSGPRsForWavesPerEU: 6
; NumVGPRsForWavesPerEU: 1
; AccumOffset: 4
; Occupancy: 8
; WaveLimiterHint : 0
; COMPUTE_PGM_RSRC2:SCRATCH_EN: 0
; COMPUTE_PGM_RSRC2:USER_SGPR: 2
; COMPUTE_PGM_RSRC2:TRAP_HANDLER: 0
; COMPUTE_PGM_RSRC2:TGID_X_EN: 1
; COMPUTE_PGM_RSRC2:TGID_Y_EN: 0
; COMPUTE_PGM_RSRC2:TGID_Z_EN: 0
; COMPUTE_PGM_RSRC2:TIDIG_COMP_CNT: 0
; COMPUTE_PGM_RSRC3_GFX90A:ACCUM_OFFSET: 0
; COMPUTE_PGM_RSRC3_GFX90A:TG_SPLIT: 0
	.section	.text._ZN7rocprim17ROCPRIM_400000_NS6detail17trampoline_kernelINS0_14default_configENS1_35adjacent_difference_config_selectorILb1ElEEZNS1_24adjacent_difference_implIS3_Lb1ELb0EPlS7_ZN2at6native12_GLOBAL__N_124unique_dim_cuda_templateIdEESt5tupleIJNS8_6TensorESD_SD_EERKSD_lbbbEUlllE1_EE10hipError_tPvRmT2_T3_mT4_P12ihipStream_tbEUlT_E_NS1_11comp_targetILNS1_3genE3ELNS1_11target_archE908ELNS1_3gpuE7ELNS1_3repE0EEENS1_30default_config_static_selectorELNS0_4arch9wavefront6targetE1EEEvT1_,"axG",@progbits,_ZN7rocprim17ROCPRIM_400000_NS6detail17trampoline_kernelINS0_14default_configENS1_35adjacent_difference_config_selectorILb1ElEEZNS1_24adjacent_difference_implIS3_Lb1ELb0EPlS7_ZN2at6native12_GLOBAL__N_124unique_dim_cuda_templateIdEESt5tupleIJNS8_6TensorESD_SD_EERKSD_lbbbEUlllE1_EE10hipError_tPvRmT2_T3_mT4_P12ihipStream_tbEUlT_E_NS1_11comp_targetILNS1_3genE3ELNS1_11target_archE908ELNS1_3gpuE7ELNS1_3repE0EEENS1_30default_config_static_selectorELNS0_4arch9wavefront6targetE1EEEvT1_,comdat
	.globl	_ZN7rocprim17ROCPRIM_400000_NS6detail17trampoline_kernelINS0_14default_configENS1_35adjacent_difference_config_selectorILb1ElEEZNS1_24adjacent_difference_implIS3_Lb1ELb0EPlS7_ZN2at6native12_GLOBAL__N_124unique_dim_cuda_templateIdEESt5tupleIJNS8_6TensorESD_SD_EERKSD_lbbbEUlllE1_EE10hipError_tPvRmT2_T3_mT4_P12ihipStream_tbEUlT_E_NS1_11comp_targetILNS1_3genE3ELNS1_11target_archE908ELNS1_3gpuE7ELNS1_3repE0EEENS1_30default_config_static_selectorELNS0_4arch9wavefront6targetE1EEEvT1_ ; -- Begin function _ZN7rocprim17ROCPRIM_400000_NS6detail17trampoline_kernelINS0_14default_configENS1_35adjacent_difference_config_selectorILb1ElEEZNS1_24adjacent_difference_implIS3_Lb1ELb0EPlS7_ZN2at6native12_GLOBAL__N_124unique_dim_cuda_templateIdEESt5tupleIJNS8_6TensorESD_SD_EERKSD_lbbbEUlllE1_EE10hipError_tPvRmT2_T3_mT4_P12ihipStream_tbEUlT_E_NS1_11comp_targetILNS1_3genE3ELNS1_11target_archE908ELNS1_3gpuE7ELNS1_3repE0EEENS1_30default_config_static_selectorELNS0_4arch9wavefront6targetE1EEEvT1_
	.p2align	8
	.type	_ZN7rocprim17ROCPRIM_400000_NS6detail17trampoline_kernelINS0_14default_configENS1_35adjacent_difference_config_selectorILb1ElEEZNS1_24adjacent_difference_implIS3_Lb1ELb0EPlS7_ZN2at6native12_GLOBAL__N_124unique_dim_cuda_templateIdEESt5tupleIJNS8_6TensorESD_SD_EERKSD_lbbbEUlllE1_EE10hipError_tPvRmT2_T3_mT4_P12ihipStream_tbEUlT_E_NS1_11comp_targetILNS1_3genE3ELNS1_11target_archE908ELNS1_3gpuE7ELNS1_3repE0EEENS1_30default_config_static_selectorELNS0_4arch9wavefront6targetE1EEEvT1_,@function
_ZN7rocprim17ROCPRIM_400000_NS6detail17trampoline_kernelINS0_14default_configENS1_35adjacent_difference_config_selectorILb1ElEEZNS1_24adjacent_difference_implIS3_Lb1ELb0EPlS7_ZN2at6native12_GLOBAL__N_124unique_dim_cuda_templateIdEESt5tupleIJNS8_6TensorESD_SD_EERKSD_lbbbEUlllE1_EE10hipError_tPvRmT2_T3_mT4_P12ihipStream_tbEUlT_E_NS1_11comp_targetILNS1_3genE3ELNS1_11target_archE908ELNS1_3gpuE7ELNS1_3repE0EEENS1_30default_config_static_selectorELNS0_4arch9wavefront6targetE1EEEvT1_: ; @_ZN7rocprim17ROCPRIM_400000_NS6detail17trampoline_kernelINS0_14default_configENS1_35adjacent_difference_config_selectorILb1ElEEZNS1_24adjacent_difference_implIS3_Lb1ELb0EPlS7_ZN2at6native12_GLOBAL__N_124unique_dim_cuda_templateIdEESt5tupleIJNS8_6TensorESD_SD_EERKSD_lbbbEUlllE1_EE10hipError_tPvRmT2_T3_mT4_P12ihipStream_tbEUlT_E_NS1_11comp_targetILNS1_3genE3ELNS1_11target_archE908ELNS1_3gpuE7ELNS1_3repE0EEENS1_30default_config_static_selectorELNS0_4arch9wavefront6targetE1EEEvT1_
; %bb.0:
	.section	.rodata,"a",@progbits
	.p2align	6, 0x0
	.amdhsa_kernel _ZN7rocprim17ROCPRIM_400000_NS6detail17trampoline_kernelINS0_14default_configENS1_35adjacent_difference_config_selectorILb1ElEEZNS1_24adjacent_difference_implIS3_Lb1ELb0EPlS7_ZN2at6native12_GLOBAL__N_124unique_dim_cuda_templateIdEESt5tupleIJNS8_6TensorESD_SD_EERKSD_lbbbEUlllE1_EE10hipError_tPvRmT2_T3_mT4_P12ihipStream_tbEUlT_E_NS1_11comp_targetILNS1_3genE3ELNS1_11target_archE908ELNS1_3gpuE7ELNS1_3repE0EEENS1_30default_config_static_selectorELNS0_4arch9wavefront6targetE1EEEvT1_
		.amdhsa_group_segment_fixed_size 0
		.amdhsa_private_segment_fixed_size 0
		.amdhsa_kernarg_size 64
		.amdhsa_user_sgpr_count 2
		.amdhsa_user_sgpr_dispatch_ptr 0
		.amdhsa_user_sgpr_queue_ptr 0
		.amdhsa_user_sgpr_kernarg_segment_ptr 1
		.amdhsa_user_sgpr_dispatch_id 0
		.amdhsa_user_sgpr_kernarg_preload_length 0
		.amdhsa_user_sgpr_kernarg_preload_offset 0
		.amdhsa_user_sgpr_private_segment_size 0
		.amdhsa_uses_dynamic_stack 0
		.amdhsa_enable_private_segment 0
		.amdhsa_system_sgpr_workgroup_id_x 1
		.amdhsa_system_sgpr_workgroup_id_y 0
		.amdhsa_system_sgpr_workgroup_id_z 0
		.amdhsa_system_sgpr_workgroup_info 0
		.amdhsa_system_vgpr_workitem_id 0
		.amdhsa_next_free_vgpr 1
		.amdhsa_next_free_sgpr 0
		.amdhsa_accum_offset 4
		.amdhsa_reserve_vcc 0
		.amdhsa_float_round_mode_32 0
		.amdhsa_float_round_mode_16_64 0
		.amdhsa_float_denorm_mode_32 3
		.amdhsa_float_denorm_mode_16_64 3
		.amdhsa_dx10_clamp 1
		.amdhsa_ieee_mode 1
		.amdhsa_fp16_overflow 0
		.amdhsa_tg_split 0
		.amdhsa_exception_fp_ieee_invalid_op 0
		.amdhsa_exception_fp_denorm_src 0
		.amdhsa_exception_fp_ieee_div_zero 0
		.amdhsa_exception_fp_ieee_overflow 0
		.amdhsa_exception_fp_ieee_underflow 0
		.amdhsa_exception_fp_ieee_inexact 0
		.amdhsa_exception_int_div_zero 0
	.end_amdhsa_kernel
	.section	.text._ZN7rocprim17ROCPRIM_400000_NS6detail17trampoline_kernelINS0_14default_configENS1_35adjacent_difference_config_selectorILb1ElEEZNS1_24adjacent_difference_implIS3_Lb1ELb0EPlS7_ZN2at6native12_GLOBAL__N_124unique_dim_cuda_templateIdEESt5tupleIJNS8_6TensorESD_SD_EERKSD_lbbbEUlllE1_EE10hipError_tPvRmT2_T3_mT4_P12ihipStream_tbEUlT_E_NS1_11comp_targetILNS1_3genE3ELNS1_11target_archE908ELNS1_3gpuE7ELNS1_3repE0EEENS1_30default_config_static_selectorELNS0_4arch9wavefront6targetE1EEEvT1_,"axG",@progbits,_ZN7rocprim17ROCPRIM_400000_NS6detail17trampoline_kernelINS0_14default_configENS1_35adjacent_difference_config_selectorILb1ElEEZNS1_24adjacent_difference_implIS3_Lb1ELb0EPlS7_ZN2at6native12_GLOBAL__N_124unique_dim_cuda_templateIdEESt5tupleIJNS8_6TensorESD_SD_EERKSD_lbbbEUlllE1_EE10hipError_tPvRmT2_T3_mT4_P12ihipStream_tbEUlT_E_NS1_11comp_targetILNS1_3genE3ELNS1_11target_archE908ELNS1_3gpuE7ELNS1_3repE0EEENS1_30default_config_static_selectorELNS0_4arch9wavefront6targetE1EEEvT1_,comdat
.Lfunc_end803:
	.size	_ZN7rocprim17ROCPRIM_400000_NS6detail17trampoline_kernelINS0_14default_configENS1_35adjacent_difference_config_selectorILb1ElEEZNS1_24adjacent_difference_implIS3_Lb1ELb0EPlS7_ZN2at6native12_GLOBAL__N_124unique_dim_cuda_templateIdEESt5tupleIJNS8_6TensorESD_SD_EERKSD_lbbbEUlllE1_EE10hipError_tPvRmT2_T3_mT4_P12ihipStream_tbEUlT_E_NS1_11comp_targetILNS1_3genE3ELNS1_11target_archE908ELNS1_3gpuE7ELNS1_3repE0EEENS1_30default_config_static_selectorELNS0_4arch9wavefront6targetE1EEEvT1_, .Lfunc_end803-_ZN7rocprim17ROCPRIM_400000_NS6detail17trampoline_kernelINS0_14default_configENS1_35adjacent_difference_config_selectorILb1ElEEZNS1_24adjacent_difference_implIS3_Lb1ELb0EPlS7_ZN2at6native12_GLOBAL__N_124unique_dim_cuda_templateIdEESt5tupleIJNS8_6TensorESD_SD_EERKSD_lbbbEUlllE1_EE10hipError_tPvRmT2_T3_mT4_P12ihipStream_tbEUlT_E_NS1_11comp_targetILNS1_3genE3ELNS1_11target_archE908ELNS1_3gpuE7ELNS1_3repE0EEENS1_30default_config_static_selectorELNS0_4arch9wavefront6targetE1EEEvT1_
                                        ; -- End function
	.set _ZN7rocprim17ROCPRIM_400000_NS6detail17trampoline_kernelINS0_14default_configENS1_35adjacent_difference_config_selectorILb1ElEEZNS1_24adjacent_difference_implIS3_Lb1ELb0EPlS7_ZN2at6native12_GLOBAL__N_124unique_dim_cuda_templateIdEESt5tupleIJNS8_6TensorESD_SD_EERKSD_lbbbEUlllE1_EE10hipError_tPvRmT2_T3_mT4_P12ihipStream_tbEUlT_E_NS1_11comp_targetILNS1_3genE3ELNS1_11target_archE908ELNS1_3gpuE7ELNS1_3repE0EEENS1_30default_config_static_selectorELNS0_4arch9wavefront6targetE1EEEvT1_.num_vgpr, 0
	.set _ZN7rocprim17ROCPRIM_400000_NS6detail17trampoline_kernelINS0_14default_configENS1_35adjacent_difference_config_selectorILb1ElEEZNS1_24adjacent_difference_implIS3_Lb1ELb0EPlS7_ZN2at6native12_GLOBAL__N_124unique_dim_cuda_templateIdEESt5tupleIJNS8_6TensorESD_SD_EERKSD_lbbbEUlllE1_EE10hipError_tPvRmT2_T3_mT4_P12ihipStream_tbEUlT_E_NS1_11comp_targetILNS1_3genE3ELNS1_11target_archE908ELNS1_3gpuE7ELNS1_3repE0EEENS1_30default_config_static_selectorELNS0_4arch9wavefront6targetE1EEEvT1_.num_agpr, 0
	.set _ZN7rocprim17ROCPRIM_400000_NS6detail17trampoline_kernelINS0_14default_configENS1_35adjacent_difference_config_selectorILb1ElEEZNS1_24adjacent_difference_implIS3_Lb1ELb0EPlS7_ZN2at6native12_GLOBAL__N_124unique_dim_cuda_templateIdEESt5tupleIJNS8_6TensorESD_SD_EERKSD_lbbbEUlllE1_EE10hipError_tPvRmT2_T3_mT4_P12ihipStream_tbEUlT_E_NS1_11comp_targetILNS1_3genE3ELNS1_11target_archE908ELNS1_3gpuE7ELNS1_3repE0EEENS1_30default_config_static_selectorELNS0_4arch9wavefront6targetE1EEEvT1_.numbered_sgpr, 0
	.set _ZN7rocprim17ROCPRIM_400000_NS6detail17trampoline_kernelINS0_14default_configENS1_35adjacent_difference_config_selectorILb1ElEEZNS1_24adjacent_difference_implIS3_Lb1ELb0EPlS7_ZN2at6native12_GLOBAL__N_124unique_dim_cuda_templateIdEESt5tupleIJNS8_6TensorESD_SD_EERKSD_lbbbEUlllE1_EE10hipError_tPvRmT2_T3_mT4_P12ihipStream_tbEUlT_E_NS1_11comp_targetILNS1_3genE3ELNS1_11target_archE908ELNS1_3gpuE7ELNS1_3repE0EEENS1_30default_config_static_selectorELNS0_4arch9wavefront6targetE1EEEvT1_.num_named_barrier, 0
	.set _ZN7rocprim17ROCPRIM_400000_NS6detail17trampoline_kernelINS0_14default_configENS1_35adjacent_difference_config_selectorILb1ElEEZNS1_24adjacent_difference_implIS3_Lb1ELb0EPlS7_ZN2at6native12_GLOBAL__N_124unique_dim_cuda_templateIdEESt5tupleIJNS8_6TensorESD_SD_EERKSD_lbbbEUlllE1_EE10hipError_tPvRmT2_T3_mT4_P12ihipStream_tbEUlT_E_NS1_11comp_targetILNS1_3genE3ELNS1_11target_archE908ELNS1_3gpuE7ELNS1_3repE0EEENS1_30default_config_static_selectorELNS0_4arch9wavefront6targetE1EEEvT1_.private_seg_size, 0
	.set _ZN7rocprim17ROCPRIM_400000_NS6detail17trampoline_kernelINS0_14default_configENS1_35adjacent_difference_config_selectorILb1ElEEZNS1_24adjacent_difference_implIS3_Lb1ELb0EPlS7_ZN2at6native12_GLOBAL__N_124unique_dim_cuda_templateIdEESt5tupleIJNS8_6TensorESD_SD_EERKSD_lbbbEUlllE1_EE10hipError_tPvRmT2_T3_mT4_P12ihipStream_tbEUlT_E_NS1_11comp_targetILNS1_3genE3ELNS1_11target_archE908ELNS1_3gpuE7ELNS1_3repE0EEENS1_30default_config_static_selectorELNS0_4arch9wavefront6targetE1EEEvT1_.uses_vcc, 0
	.set _ZN7rocprim17ROCPRIM_400000_NS6detail17trampoline_kernelINS0_14default_configENS1_35adjacent_difference_config_selectorILb1ElEEZNS1_24adjacent_difference_implIS3_Lb1ELb0EPlS7_ZN2at6native12_GLOBAL__N_124unique_dim_cuda_templateIdEESt5tupleIJNS8_6TensorESD_SD_EERKSD_lbbbEUlllE1_EE10hipError_tPvRmT2_T3_mT4_P12ihipStream_tbEUlT_E_NS1_11comp_targetILNS1_3genE3ELNS1_11target_archE908ELNS1_3gpuE7ELNS1_3repE0EEENS1_30default_config_static_selectorELNS0_4arch9wavefront6targetE1EEEvT1_.uses_flat_scratch, 0
	.set _ZN7rocprim17ROCPRIM_400000_NS6detail17trampoline_kernelINS0_14default_configENS1_35adjacent_difference_config_selectorILb1ElEEZNS1_24adjacent_difference_implIS3_Lb1ELb0EPlS7_ZN2at6native12_GLOBAL__N_124unique_dim_cuda_templateIdEESt5tupleIJNS8_6TensorESD_SD_EERKSD_lbbbEUlllE1_EE10hipError_tPvRmT2_T3_mT4_P12ihipStream_tbEUlT_E_NS1_11comp_targetILNS1_3genE3ELNS1_11target_archE908ELNS1_3gpuE7ELNS1_3repE0EEENS1_30default_config_static_selectorELNS0_4arch9wavefront6targetE1EEEvT1_.has_dyn_sized_stack, 0
	.set _ZN7rocprim17ROCPRIM_400000_NS6detail17trampoline_kernelINS0_14default_configENS1_35adjacent_difference_config_selectorILb1ElEEZNS1_24adjacent_difference_implIS3_Lb1ELb0EPlS7_ZN2at6native12_GLOBAL__N_124unique_dim_cuda_templateIdEESt5tupleIJNS8_6TensorESD_SD_EERKSD_lbbbEUlllE1_EE10hipError_tPvRmT2_T3_mT4_P12ihipStream_tbEUlT_E_NS1_11comp_targetILNS1_3genE3ELNS1_11target_archE908ELNS1_3gpuE7ELNS1_3repE0EEENS1_30default_config_static_selectorELNS0_4arch9wavefront6targetE1EEEvT1_.has_recursion, 0
	.set _ZN7rocprim17ROCPRIM_400000_NS6detail17trampoline_kernelINS0_14default_configENS1_35adjacent_difference_config_selectorILb1ElEEZNS1_24adjacent_difference_implIS3_Lb1ELb0EPlS7_ZN2at6native12_GLOBAL__N_124unique_dim_cuda_templateIdEESt5tupleIJNS8_6TensorESD_SD_EERKSD_lbbbEUlllE1_EE10hipError_tPvRmT2_T3_mT4_P12ihipStream_tbEUlT_E_NS1_11comp_targetILNS1_3genE3ELNS1_11target_archE908ELNS1_3gpuE7ELNS1_3repE0EEENS1_30default_config_static_selectorELNS0_4arch9wavefront6targetE1EEEvT1_.has_indirect_call, 0
	.section	.AMDGPU.csdata,"",@progbits
; Kernel info:
; codeLenInByte = 0
; TotalNumSgprs: 6
; NumVgprs: 0
; NumAgprs: 0
; TotalNumVgprs: 0
; ScratchSize: 0
; MemoryBound: 0
; FloatMode: 240
; IeeeMode: 1
; LDSByteSize: 0 bytes/workgroup (compile time only)
; SGPRBlocks: 0
; VGPRBlocks: 0
; NumSGPRsForWavesPerEU: 6
; NumVGPRsForWavesPerEU: 1
; AccumOffset: 4
; Occupancy: 8
; WaveLimiterHint : 0
; COMPUTE_PGM_RSRC2:SCRATCH_EN: 0
; COMPUTE_PGM_RSRC2:USER_SGPR: 2
; COMPUTE_PGM_RSRC2:TRAP_HANDLER: 0
; COMPUTE_PGM_RSRC2:TGID_X_EN: 1
; COMPUTE_PGM_RSRC2:TGID_Y_EN: 0
; COMPUTE_PGM_RSRC2:TGID_Z_EN: 0
; COMPUTE_PGM_RSRC2:TIDIG_COMP_CNT: 0
; COMPUTE_PGM_RSRC3_GFX90A:ACCUM_OFFSET: 0
; COMPUTE_PGM_RSRC3_GFX90A:TG_SPLIT: 0
	.section	.text._ZN7rocprim17ROCPRIM_400000_NS6detail17trampoline_kernelINS0_14default_configENS1_35adjacent_difference_config_selectorILb1ElEEZNS1_24adjacent_difference_implIS3_Lb1ELb0EPlS7_ZN2at6native12_GLOBAL__N_124unique_dim_cuda_templateIdEESt5tupleIJNS8_6TensorESD_SD_EERKSD_lbbbEUlllE1_EE10hipError_tPvRmT2_T3_mT4_P12ihipStream_tbEUlT_E_NS1_11comp_targetILNS1_3genE2ELNS1_11target_archE906ELNS1_3gpuE6ELNS1_3repE0EEENS1_30default_config_static_selectorELNS0_4arch9wavefront6targetE1EEEvT1_,"axG",@progbits,_ZN7rocprim17ROCPRIM_400000_NS6detail17trampoline_kernelINS0_14default_configENS1_35adjacent_difference_config_selectorILb1ElEEZNS1_24adjacent_difference_implIS3_Lb1ELb0EPlS7_ZN2at6native12_GLOBAL__N_124unique_dim_cuda_templateIdEESt5tupleIJNS8_6TensorESD_SD_EERKSD_lbbbEUlllE1_EE10hipError_tPvRmT2_T3_mT4_P12ihipStream_tbEUlT_E_NS1_11comp_targetILNS1_3genE2ELNS1_11target_archE906ELNS1_3gpuE6ELNS1_3repE0EEENS1_30default_config_static_selectorELNS0_4arch9wavefront6targetE1EEEvT1_,comdat
	.globl	_ZN7rocprim17ROCPRIM_400000_NS6detail17trampoline_kernelINS0_14default_configENS1_35adjacent_difference_config_selectorILb1ElEEZNS1_24adjacent_difference_implIS3_Lb1ELb0EPlS7_ZN2at6native12_GLOBAL__N_124unique_dim_cuda_templateIdEESt5tupleIJNS8_6TensorESD_SD_EERKSD_lbbbEUlllE1_EE10hipError_tPvRmT2_T3_mT4_P12ihipStream_tbEUlT_E_NS1_11comp_targetILNS1_3genE2ELNS1_11target_archE906ELNS1_3gpuE6ELNS1_3repE0EEENS1_30default_config_static_selectorELNS0_4arch9wavefront6targetE1EEEvT1_ ; -- Begin function _ZN7rocprim17ROCPRIM_400000_NS6detail17trampoline_kernelINS0_14default_configENS1_35adjacent_difference_config_selectorILb1ElEEZNS1_24adjacent_difference_implIS3_Lb1ELb0EPlS7_ZN2at6native12_GLOBAL__N_124unique_dim_cuda_templateIdEESt5tupleIJNS8_6TensorESD_SD_EERKSD_lbbbEUlllE1_EE10hipError_tPvRmT2_T3_mT4_P12ihipStream_tbEUlT_E_NS1_11comp_targetILNS1_3genE2ELNS1_11target_archE906ELNS1_3gpuE6ELNS1_3repE0EEENS1_30default_config_static_selectorELNS0_4arch9wavefront6targetE1EEEvT1_
	.p2align	8
	.type	_ZN7rocprim17ROCPRIM_400000_NS6detail17trampoline_kernelINS0_14default_configENS1_35adjacent_difference_config_selectorILb1ElEEZNS1_24adjacent_difference_implIS3_Lb1ELb0EPlS7_ZN2at6native12_GLOBAL__N_124unique_dim_cuda_templateIdEESt5tupleIJNS8_6TensorESD_SD_EERKSD_lbbbEUlllE1_EE10hipError_tPvRmT2_T3_mT4_P12ihipStream_tbEUlT_E_NS1_11comp_targetILNS1_3genE2ELNS1_11target_archE906ELNS1_3gpuE6ELNS1_3repE0EEENS1_30default_config_static_selectorELNS0_4arch9wavefront6targetE1EEEvT1_,@function
_ZN7rocprim17ROCPRIM_400000_NS6detail17trampoline_kernelINS0_14default_configENS1_35adjacent_difference_config_selectorILb1ElEEZNS1_24adjacent_difference_implIS3_Lb1ELb0EPlS7_ZN2at6native12_GLOBAL__N_124unique_dim_cuda_templateIdEESt5tupleIJNS8_6TensorESD_SD_EERKSD_lbbbEUlllE1_EE10hipError_tPvRmT2_T3_mT4_P12ihipStream_tbEUlT_E_NS1_11comp_targetILNS1_3genE2ELNS1_11target_archE906ELNS1_3gpuE6ELNS1_3repE0EEENS1_30default_config_static_selectorELNS0_4arch9wavefront6targetE1EEEvT1_: ; @_ZN7rocprim17ROCPRIM_400000_NS6detail17trampoline_kernelINS0_14default_configENS1_35adjacent_difference_config_selectorILb1ElEEZNS1_24adjacent_difference_implIS3_Lb1ELb0EPlS7_ZN2at6native12_GLOBAL__N_124unique_dim_cuda_templateIdEESt5tupleIJNS8_6TensorESD_SD_EERKSD_lbbbEUlllE1_EE10hipError_tPvRmT2_T3_mT4_P12ihipStream_tbEUlT_E_NS1_11comp_targetILNS1_3genE2ELNS1_11target_archE906ELNS1_3gpuE6ELNS1_3repE0EEENS1_30default_config_static_selectorELNS0_4arch9wavefront6targetE1EEEvT1_
; %bb.0:
	.section	.rodata,"a",@progbits
	.p2align	6, 0x0
	.amdhsa_kernel _ZN7rocprim17ROCPRIM_400000_NS6detail17trampoline_kernelINS0_14default_configENS1_35adjacent_difference_config_selectorILb1ElEEZNS1_24adjacent_difference_implIS3_Lb1ELb0EPlS7_ZN2at6native12_GLOBAL__N_124unique_dim_cuda_templateIdEESt5tupleIJNS8_6TensorESD_SD_EERKSD_lbbbEUlllE1_EE10hipError_tPvRmT2_T3_mT4_P12ihipStream_tbEUlT_E_NS1_11comp_targetILNS1_3genE2ELNS1_11target_archE906ELNS1_3gpuE6ELNS1_3repE0EEENS1_30default_config_static_selectorELNS0_4arch9wavefront6targetE1EEEvT1_
		.amdhsa_group_segment_fixed_size 0
		.amdhsa_private_segment_fixed_size 0
		.amdhsa_kernarg_size 64
		.amdhsa_user_sgpr_count 2
		.amdhsa_user_sgpr_dispatch_ptr 0
		.amdhsa_user_sgpr_queue_ptr 0
		.amdhsa_user_sgpr_kernarg_segment_ptr 1
		.amdhsa_user_sgpr_dispatch_id 0
		.amdhsa_user_sgpr_kernarg_preload_length 0
		.amdhsa_user_sgpr_kernarg_preload_offset 0
		.amdhsa_user_sgpr_private_segment_size 0
		.amdhsa_uses_dynamic_stack 0
		.amdhsa_enable_private_segment 0
		.amdhsa_system_sgpr_workgroup_id_x 1
		.amdhsa_system_sgpr_workgroup_id_y 0
		.amdhsa_system_sgpr_workgroup_id_z 0
		.amdhsa_system_sgpr_workgroup_info 0
		.amdhsa_system_vgpr_workitem_id 0
		.amdhsa_next_free_vgpr 1
		.amdhsa_next_free_sgpr 0
		.amdhsa_accum_offset 4
		.amdhsa_reserve_vcc 0
		.amdhsa_float_round_mode_32 0
		.amdhsa_float_round_mode_16_64 0
		.amdhsa_float_denorm_mode_32 3
		.amdhsa_float_denorm_mode_16_64 3
		.amdhsa_dx10_clamp 1
		.amdhsa_ieee_mode 1
		.amdhsa_fp16_overflow 0
		.amdhsa_tg_split 0
		.amdhsa_exception_fp_ieee_invalid_op 0
		.amdhsa_exception_fp_denorm_src 0
		.amdhsa_exception_fp_ieee_div_zero 0
		.amdhsa_exception_fp_ieee_overflow 0
		.amdhsa_exception_fp_ieee_underflow 0
		.amdhsa_exception_fp_ieee_inexact 0
		.amdhsa_exception_int_div_zero 0
	.end_amdhsa_kernel
	.section	.text._ZN7rocprim17ROCPRIM_400000_NS6detail17trampoline_kernelINS0_14default_configENS1_35adjacent_difference_config_selectorILb1ElEEZNS1_24adjacent_difference_implIS3_Lb1ELb0EPlS7_ZN2at6native12_GLOBAL__N_124unique_dim_cuda_templateIdEESt5tupleIJNS8_6TensorESD_SD_EERKSD_lbbbEUlllE1_EE10hipError_tPvRmT2_T3_mT4_P12ihipStream_tbEUlT_E_NS1_11comp_targetILNS1_3genE2ELNS1_11target_archE906ELNS1_3gpuE6ELNS1_3repE0EEENS1_30default_config_static_selectorELNS0_4arch9wavefront6targetE1EEEvT1_,"axG",@progbits,_ZN7rocprim17ROCPRIM_400000_NS6detail17trampoline_kernelINS0_14default_configENS1_35adjacent_difference_config_selectorILb1ElEEZNS1_24adjacent_difference_implIS3_Lb1ELb0EPlS7_ZN2at6native12_GLOBAL__N_124unique_dim_cuda_templateIdEESt5tupleIJNS8_6TensorESD_SD_EERKSD_lbbbEUlllE1_EE10hipError_tPvRmT2_T3_mT4_P12ihipStream_tbEUlT_E_NS1_11comp_targetILNS1_3genE2ELNS1_11target_archE906ELNS1_3gpuE6ELNS1_3repE0EEENS1_30default_config_static_selectorELNS0_4arch9wavefront6targetE1EEEvT1_,comdat
.Lfunc_end804:
	.size	_ZN7rocprim17ROCPRIM_400000_NS6detail17trampoline_kernelINS0_14default_configENS1_35adjacent_difference_config_selectorILb1ElEEZNS1_24adjacent_difference_implIS3_Lb1ELb0EPlS7_ZN2at6native12_GLOBAL__N_124unique_dim_cuda_templateIdEESt5tupleIJNS8_6TensorESD_SD_EERKSD_lbbbEUlllE1_EE10hipError_tPvRmT2_T3_mT4_P12ihipStream_tbEUlT_E_NS1_11comp_targetILNS1_3genE2ELNS1_11target_archE906ELNS1_3gpuE6ELNS1_3repE0EEENS1_30default_config_static_selectorELNS0_4arch9wavefront6targetE1EEEvT1_, .Lfunc_end804-_ZN7rocprim17ROCPRIM_400000_NS6detail17trampoline_kernelINS0_14default_configENS1_35adjacent_difference_config_selectorILb1ElEEZNS1_24adjacent_difference_implIS3_Lb1ELb0EPlS7_ZN2at6native12_GLOBAL__N_124unique_dim_cuda_templateIdEESt5tupleIJNS8_6TensorESD_SD_EERKSD_lbbbEUlllE1_EE10hipError_tPvRmT2_T3_mT4_P12ihipStream_tbEUlT_E_NS1_11comp_targetILNS1_3genE2ELNS1_11target_archE906ELNS1_3gpuE6ELNS1_3repE0EEENS1_30default_config_static_selectorELNS0_4arch9wavefront6targetE1EEEvT1_
                                        ; -- End function
	.set _ZN7rocprim17ROCPRIM_400000_NS6detail17trampoline_kernelINS0_14default_configENS1_35adjacent_difference_config_selectorILb1ElEEZNS1_24adjacent_difference_implIS3_Lb1ELb0EPlS7_ZN2at6native12_GLOBAL__N_124unique_dim_cuda_templateIdEESt5tupleIJNS8_6TensorESD_SD_EERKSD_lbbbEUlllE1_EE10hipError_tPvRmT2_T3_mT4_P12ihipStream_tbEUlT_E_NS1_11comp_targetILNS1_3genE2ELNS1_11target_archE906ELNS1_3gpuE6ELNS1_3repE0EEENS1_30default_config_static_selectorELNS0_4arch9wavefront6targetE1EEEvT1_.num_vgpr, 0
	.set _ZN7rocprim17ROCPRIM_400000_NS6detail17trampoline_kernelINS0_14default_configENS1_35adjacent_difference_config_selectorILb1ElEEZNS1_24adjacent_difference_implIS3_Lb1ELb0EPlS7_ZN2at6native12_GLOBAL__N_124unique_dim_cuda_templateIdEESt5tupleIJNS8_6TensorESD_SD_EERKSD_lbbbEUlllE1_EE10hipError_tPvRmT2_T3_mT4_P12ihipStream_tbEUlT_E_NS1_11comp_targetILNS1_3genE2ELNS1_11target_archE906ELNS1_3gpuE6ELNS1_3repE0EEENS1_30default_config_static_selectorELNS0_4arch9wavefront6targetE1EEEvT1_.num_agpr, 0
	.set _ZN7rocprim17ROCPRIM_400000_NS6detail17trampoline_kernelINS0_14default_configENS1_35adjacent_difference_config_selectorILb1ElEEZNS1_24adjacent_difference_implIS3_Lb1ELb0EPlS7_ZN2at6native12_GLOBAL__N_124unique_dim_cuda_templateIdEESt5tupleIJNS8_6TensorESD_SD_EERKSD_lbbbEUlllE1_EE10hipError_tPvRmT2_T3_mT4_P12ihipStream_tbEUlT_E_NS1_11comp_targetILNS1_3genE2ELNS1_11target_archE906ELNS1_3gpuE6ELNS1_3repE0EEENS1_30default_config_static_selectorELNS0_4arch9wavefront6targetE1EEEvT1_.numbered_sgpr, 0
	.set _ZN7rocprim17ROCPRIM_400000_NS6detail17trampoline_kernelINS0_14default_configENS1_35adjacent_difference_config_selectorILb1ElEEZNS1_24adjacent_difference_implIS3_Lb1ELb0EPlS7_ZN2at6native12_GLOBAL__N_124unique_dim_cuda_templateIdEESt5tupleIJNS8_6TensorESD_SD_EERKSD_lbbbEUlllE1_EE10hipError_tPvRmT2_T3_mT4_P12ihipStream_tbEUlT_E_NS1_11comp_targetILNS1_3genE2ELNS1_11target_archE906ELNS1_3gpuE6ELNS1_3repE0EEENS1_30default_config_static_selectorELNS0_4arch9wavefront6targetE1EEEvT1_.num_named_barrier, 0
	.set _ZN7rocprim17ROCPRIM_400000_NS6detail17trampoline_kernelINS0_14default_configENS1_35adjacent_difference_config_selectorILb1ElEEZNS1_24adjacent_difference_implIS3_Lb1ELb0EPlS7_ZN2at6native12_GLOBAL__N_124unique_dim_cuda_templateIdEESt5tupleIJNS8_6TensorESD_SD_EERKSD_lbbbEUlllE1_EE10hipError_tPvRmT2_T3_mT4_P12ihipStream_tbEUlT_E_NS1_11comp_targetILNS1_3genE2ELNS1_11target_archE906ELNS1_3gpuE6ELNS1_3repE0EEENS1_30default_config_static_selectorELNS0_4arch9wavefront6targetE1EEEvT1_.private_seg_size, 0
	.set _ZN7rocprim17ROCPRIM_400000_NS6detail17trampoline_kernelINS0_14default_configENS1_35adjacent_difference_config_selectorILb1ElEEZNS1_24adjacent_difference_implIS3_Lb1ELb0EPlS7_ZN2at6native12_GLOBAL__N_124unique_dim_cuda_templateIdEESt5tupleIJNS8_6TensorESD_SD_EERKSD_lbbbEUlllE1_EE10hipError_tPvRmT2_T3_mT4_P12ihipStream_tbEUlT_E_NS1_11comp_targetILNS1_3genE2ELNS1_11target_archE906ELNS1_3gpuE6ELNS1_3repE0EEENS1_30default_config_static_selectorELNS0_4arch9wavefront6targetE1EEEvT1_.uses_vcc, 0
	.set _ZN7rocprim17ROCPRIM_400000_NS6detail17trampoline_kernelINS0_14default_configENS1_35adjacent_difference_config_selectorILb1ElEEZNS1_24adjacent_difference_implIS3_Lb1ELb0EPlS7_ZN2at6native12_GLOBAL__N_124unique_dim_cuda_templateIdEESt5tupleIJNS8_6TensorESD_SD_EERKSD_lbbbEUlllE1_EE10hipError_tPvRmT2_T3_mT4_P12ihipStream_tbEUlT_E_NS1_11comp_targetILNS1_3genE2ELNS1_11target_archE906ELNS1_3gpuE6ELNS1_3repE0EEENS1_30default_config_static_selectorELNS0_4arch9wavefront6targetE1EEEvT1_.uses_flat_scratch, 0
	.set _ZN7rocprim17ROCPRIM_400000_NS6detail17trampoline_kernelINS0_14default_configENS1_35adjacent_difference_config_selectorILb1ElEEZNS1_24adjacent_difference_implIS3_Lb1ELb0EPlS7_ZN2at6native12_GLOBAL__N_124unique_dim_cuda_templateIdEESt5tupleIJNS8_6TensorESD_SD_EERKSD_lbbbEUlllE1_EE10hipError_tPvRmT2_T3_mT4_P12ihipStream_tbEUlT_E_NS1_11comp_targetILNS1_3genE2ELNS1_11target_archE906ELNS1_3gpuE6ELNS1_3repE0EEENS1_30default_config_static_selectorELNS0_4arch9wavefront6targetE1EEEvT1_.has_dyn_sized_stack, 0
	.set _ZN7rocprim17ROCPRIM_400000_NS6detail17trampoline_kernelINS0_14default_configENS1_35adjacent_difference_config_selectorILb1ElEEZNS1_24adjacent_difference_implIS3_Lb1ELb0EPlS7_ZN2at6native12_GLOBAL__N_124unique_dim_cuda_templateIdEESt5tupleIJNS8_6TensorESD_SD_EERKSD_lbbbEUlllE1_EE10hipError_tPvRmT2_T3_mT4_P12ihipStream_tbEUlT_E_NS1_11comp_targetILNS1_3genE2ELNS1_11target_archE906ELNS1_3gpuE6ELNS1_3repE0EEENS1_30default_config_static_selectorELNS0_4arch9wavefront6targetE1EEEvT1_.has_recursion, 0
	.set _ZN7rocprim17ROCPRIM_400000_NS6detail17trampoline_kernelINS0_14default_configENS1_35adjacent_difference_config_selectorILb1ElEEZNS1_24adjacent_difference_implIS3_Lb1ELb0EPlS7_ZN2at6native12_GLOBAL__N_124unique_dim_cuda_templateIdEESt5tupleIJNS8_6TensorESD_SD_EERKSD_lbbbEUlllE1_EE10hipError_tPvRmT2_T3_mT4_P12ihipStream_tbEUlT_E_NS1_11comp_targetILNS1_3genE2ELNS1_11target_archE906ELNS1_3gpuE6ELNS1_3repE0EEENS1_30default_config_static_selectorELNS0_4arch9wavefront6targetE1EEEvT1_.has_indirect_call, 0
	.section	.AMDGPU.csdata,"",@progbits
; Kernel info:
; codeLenInByte = 0
; TotalNumSgprs: 6
; NumVgprs: 0
; NumAgprs: 0
; TotalNumVgprs: 0
; ScratchSize: 0
; MemoryBound: 0
; FloatMode: 240
; IeeeMode: 1
; LDSByteSize: 0 bytes/workgroup (compile time only)
; SGPRBlocks: 0
; VGPRBlocks: 0
; NumSGPRsForWavesPerEU: 6
; NumVGPRsForWavesPerEU: 1
; AccumOffset: 4
; Occupancy: 8
; WaveLimiterHint : 0
; COMPUTE_PGM_RSRC2:SCRATCH_EN: 0
; COMPUTE_PGM_RSRC2:USER_SGPR: 2
; COMPUTE_PGM_RSRC2:TRAP_HANDLER: 0
; COMPUTE_PGM_RSRC2:TGID_X_EN: 1
; COMPUTE_PGM_RSRC2:TGID_Y_EN: 0
; COMPUTE_PGM_RSRC2:TGID_Z_EN: 0
; COMPUTE_PGM_RSRC2:TIDIG_COMP_CNT: 0
; COMPUTE_PGM_RSRC3_GFX90A:ACCUM_OFFSET: 0
; COMPUTE_PGM_RSRC3_GFX90A:TG_SPLIT: 0
	.section	.text._ZN7rocprim17ROCPRIM_400000_NS6detail17trampoline_kernelINS0_14default_configENS1_35adjacent_difference_config_selectorILb1ElEEZNS1_24adjacent_difference_implIS3_Lb1ELb0EPlS7_ZN2at6native12_GLOBAL__N_124unique_dim_cuda_templateIdEESt5tupleIJNS8_6TensorESD_SD_EERKSD_lbbbEUlllE1_EE10hipError_tPvRmT2_T3_mT4_P12ihipStream_tbEUlT_E_NS1_11comp_targetILNS1_3genE9ELNS1_11target_archE1100ELNS1_3gpuE3ELNS1_3repE0EEENS1_30default_config_static_selectorELNS0_4arch9wavefront6targetE1EEEvT1_,"axG",@progbits,_ZN7rocprim17ROCPRIM_400000_NS6detail17trampoline_kernelINS0_14default_configENS1_35adjacent_difference_config_selectorILb1ElEEZNS1_24adjacent_difference_implIS3_Lb1ELb0EPlS7_ZN2at6native12_GLOBAL__N_124unique_dim_cuda_templateIdEESt5tupleIJNS8_6TensorESD_SD_EERKSD_lbbbEUlllE1_EE10hipError_tPvRmT2_T3_mT4_P12ihipStream_tbEUlT_E_NS1_11comp_targetILNS1_3genE9ELNS1_11target_archE1100ELNS1_3gpuE3ELNS1_3repE0EEENS1_30default_config_static_selectorELNS0_4arch9wavefront6targetE1EEEvT1_,comdat
	.globl	_ZN7rocprim17ROCPRIM_400000_NS6detail17trampoline_kernelINS0_14default_configENS1_35adjacent_difference_config_selectorILb1ElEEZNS1_24adjacent_difference_implIS3_Lb1ELb0EPlS7_ZN2at6native12_GLOBAL__N_124unique_dim_cuda_templateIdEESt5tupleIJNS8_6TensorESD_SD_EERKSD_lbbbEUlllE1_EE10hipError_tPvRmT2_T3_mT4_P12ihipStream_tbEUlT_E_NS1_11comp_targetILNS1_3genE9ELNS1_11target_archE1100ELNS1_3gpuE3ELNS1_3repE0EEENS1_30default_config_static_selectorELNS0_4arch9wavefront6targetE1EEEvT1_ ; -- Begin function _ZN7rocprim17ROCPRIM_400000_NS6detail17trampoline_kernelINS0_14default_configENS1_35adjacent_difference_config_selectorILb1ElEEZNS1_24adjacent_difference_implIS3_Lb1ELb0EPlS7_ZN2at6native12_GLOBAL__N_124unique_dim_cuda_templateIdEESt5tupleIJNS8_6TensorESD_SD_EERKSD_lbbbEUlllE1_EE10hipError_tPvRmT2_T3_mT4_P12ihipStream_tbEUlT_E_NS1_11comp_targetILNS1_3genE9ELNS1_11target_archE1100ELNS1_3gpuE3ELNS1_3repE0EEENS1_30default_config_static_selectorELNS0_4arch9wavefront6targetE1EEEvT1_
	.p2align	8
	.type	_ZN7rocprim17ROCPRIM_400000_NS6detail17trampoline_kernelINS0_14default_configENS1_35adjacent_difference_config_selectorILb1ElEEZNS1_24adjacent_difference_implIS3_Lb1ELb0EPlS7_ZN2at6native12_GLOBAL__N_124unique_dim_cuda_templateIdEESt5tupleIJNS8_6TensorESD_SD_EERKSD_lbbbEUlllE1_EE10hipError_tPvRmT2_T3_mT4_P12ihipStream_tbEUlT_E_NS1_11comp_targetILNS1_3genE9ELNS1_11target_archE1100ELNS1_3gpuE3ELNS1_3repE0EEENS1_30default_config_static_selectorELNS0_4arch9wavefront6targetE1EEEvT1_,@function
_ZN7rocprim17ROCPRIM_400000_NS6detail17trampoline_kernelINS0_14default_configENS1_35adjacent_difference_config_selectorILb1ElEEZNS1_24adjacent_difference_implIS3_Lb1ELb0EPlS7_ZN2at6native12_GLOBAL__N_124unique_dim_cuda_templateIdEESt5tupleIJNS8_6TensorESD_SD_EERKSD_lbbbEUlllE1_EE10hipError_tPvRmT2_T3_mT4_P12ihipStream_tbEUlT_E_NS1_11comp_targetILNS1_3genE9ELNS1_11target_archE1100ELNS1_3gpuE3ELNS1_3repE0EEENS1_30default_config_static_selectorELNS0_4arch9wavefront6targetE1EEEvT1_: ; @_ZN7rocprim17ROCPRIM_400000_NS6detail17trampoline_kernelINS0_14default_configENS1_35adjacent_difference_config_selectorILb1ElEEZNS1_24adjacent_difference_implIS3_Lb1ELb0EPlS7_ZN2at6native12_GLOBAL__N_124unique_dim_cuda_templateIdEESt5tupleIJNS8_6TensorESD_SD_EERKSD_lbbbEUlllE1_EE10hipError_tPvRmT2_T3_mT4_P12ihipStream_tbEUlT_E_NS1_11comp_targetILNS1_3genE9ELNS1_11target_archE1100ELNS1_3gpuE3ELNS1_3repE0EEENS1_30default_config_static_selectorELNS0_4arch9wavefront6targetE1EEEvT1_
; %bb.0:
	.section	.rodata,"a",@progbits
	.p2align	6, 0x0
	.amdhsa_kernel _ZN7rocprim17ROCPRIM_400000_NS6detail17trampoline_kernelINS0_14default_configENS1_35adjacent_difference_config_selectorILb1ElEEZNS1_24adjacent_difference_implIS3_Lb1ELb0EPlS7_ZN2at6native12_GLOBAL__N_124unique_dim_cuda_templateIdEESt5tupleIJNS8_6TensorESD_SD_EERKSD_lbbbEUlllE1_EE10hipError_tPvRmT2_T3_mT4_P12ihipStream_tbEUlT_E_NS1_11comp_targetILNS1_3genE9ELNS1_11target_archE1100ELNS1_3gpuE3ELNS1_3repE0EEENS1_30default_config_static_selectorELNS0_4arch9wavefront6targetE1EEEvT1_
		.amdhsa_group_segment_fixed_size 0
		.amdhsa_private_segment_fixed_size 0
		.amdhsa_kernarg_size 64
		.amdhsa_user_sgpr_count 2
		.amdhsa_user_sgpr_dispatch_ptr 0
		.amdhsa_user_sgpr_queue_ptr 0
		.amdhsa_user_sgpr_kernarg_segment_ptr 1
		.amdhsa_user_sgpr_dispatch_id 0
		.amdhsa_user_sgpr_kernarg_preload_length 0
		.amdhsa_user_sgpr_kernarg_preload_offset 0
		.amdhsa_user_sgpr_private_segment_size 0
		.amdhsa_uses_dynamic_stack 0
		.amdhsa_enable_private_segment 0
		.amdhsa_system_sgpr_workgroup_id_x 1
		.amdhsa_system_sgpr_workgroup_id_y 0
		.amdhsa_system_sgpr_workgroup_id_z 0
		.amdhsa_system_sgpr_workgroup_info 0
		.amdhsa_system_vgpr_workitem_id 0
		.amdhsa_next_free_vgpr 1
		.amdhsa_next_free_sgpr 0
		.amdhsa_accum_offset 4
		.amdhsa_reserve_vcc 0
		.amdhsa_float_round_mode_32 0
		.amdhsa_float_round_mode_16_64 0
		.amdhsa_float_denorm_mode_32 3
		.amdhsa_float_denorm_mode_16_64 3
		.amdhsa_dx10_clamp 1
		.amdhsa_ieee_mode 1
		.amdhsa_fp16_overflow 0
		.amdhsa_tg_split 0
		.amdhsa_exception_fp_ieee_invalid_op 0
		.amdhsa_exception_fp_denorm_src 0
		.amdhsa_exception_fp_ieee_div_zero 0
		.amdhsa_exception_fp_ieee_overflow 0
		.amdhsa_exception_fp_ieee_underflow 0
		.amdhsa_exception_fp_ieee_inexact 0
		.amdhsa_exception_int_div_zero 0
	.end_amdhsa_kernel
	.section	.text._ZN7rocprim17ROCPRIM_400000_NS6detail17trampoline_kernelINS0_14default_configENS1_35adjacent_difference_config_selectorILb1ElEEZNS1_24adjacent_difference_implIS3_Lb1ELb0EPlS7_ZN2at6native12_GLOBAL__N_124unique_dim_cuda_templateIdEESt5tupleIJNS8_6TensorESD_SD_EERKSD_lbbbEUlllE1_EE10hipError_tPvRmT2_T3_mT4_P12ihipStream_tbEUlT_E_NS1_11comp_targetILNS1_3genE9ELNS1_11target_archE1100ELNS1_3gpuE3ELNS1_3repE0EEENS1_30default_config_static_selectorELNS0_4arch9wavefront6targetE1EEEvT1_,"axG",@progbits,_ZN7rocprim17ROCPRIM_400000_NS6detail17trampoline_kernelINS0_14default_configENS1_35adjacent_difference_config_selectorILb1ElEEZNS1_24adjacent_difference_implIS3_Lb1ELb0EPlS7_ZN2at6native12_GLOBAL__N_124unique_dim_cuda_templateIdEESt5tupleIJNS8_6TensorESD_SD_EERKSD_lbbbEUlllE1_EE10hipError_tPvRmT2_T3_mT4_P12ihipStream_tbEUlT_E_NS1_11comp_targetILNS1_3genE9ELNS1_11target_archE1100ELNS1_3gpuE3ELNS1_3repE0EEENS1_30default_config_static_selectorELNS0_4arch9wavefront6targetE1EEEvT1_,comdat
.Lfunc_end805:
	.size	_ZN7rocprim17ROCPRIM_400000_NS6detail17trampoline_kernelINS0_14default_configENS1_35adjacent_difference_config_selectorILb1ElEEZNS1_24adjacent_difference_implIS3_Lb1ELb0EPlS7_ZN2at6native12_GLOBAL__N_124unique_dim_cuda_templateIdEESt5tupleIJNS8_6TensorESD_SD_EERKSD_lbbbEUlllE1_EE10hipError_tPvRmT2_T3_mT4_P12ihipStream_tbEUlT_E_NS1_11comp_targetILNS1_3genE9ELNS1_11target_archE1100ELNS1_3gpuE3ELNS1_3repE0EEENS1_30default_config_static_selectorELNS0_4arch9wavefront6targetE1EEEvT1_, .Lfunc_end805-_ZN7rocprim17ROCPRIM_400000_NS6detail17trampoline_kernelINS0_14default_configENS1_35adjacent_difference_config_selectorILb1ElEEZNS1_24adjacent_difference_implIS3_Lb1ELb0EPlS7_ZN2at6native12_GLOBAL__N_124unique_dim_cuda_templateIdEESt5tupleIJNS8_6TensorESD_SD_EERKSD_lbbbEUlllE1_EE10hipError_tPvRmT2_T3_mT4_P12ihipStream_tbEUlT_E_NS1_11comp_targetILNS1_3genE9ELNS1_11target_archE1100ELNS1_3gpuE3ELNS1_3repE0EEENS1_30default_config_static_selectorELNS0_4arch9wavefront6targetE1EEEvT1_
                                        ; -- End function
	.set _ZN7rocprim17ROCPRIM_400000_NS6detail17trampoline_kernelINS0_14default_configENS1_35adjacent_difference_config_selectorILb1ElEEZNS1_24adjacent_difference_implIS3_Lb1ELb0EPlS7_ZN2at6native12_GLOBAL__N_124unique_dim_cuda_templateIdEESt5tupleIJNS8_6TensorESD_SD_EERKSD_lbbbEUlllE1_EE10hipError_tPvRmT2_T3_mT4_P12ihipStream_tbEUlT_E_NS1_11comp_targetILNS1_3genE9ELNS1_11target_archE1100ELNS1_3gpuE3ELNS1_3repE0EEENS1_30default_config_static_selectorELNS0_4arch9wavefront6targetE1EEEvT1_.num_vgpr, 0
	.set _ZN7rocprim17ROCPRIM_400000_NS6detail17trampoline_kernelINS0_14default_configENS1_35adjacent_difference_config_selectorILb1ElEEZNS1_24adjacent_difference_implIS3_Lb1ELb0EPlS7_ZN2at6native12_GLOBAL__N_124unique_dim_cuda_templateIdEESt5tupleIJNS8_6TensorESD_SD_EERKSD_lbbbEUlllE1_EE10hipError_tPvRmT2_T3_mT4_P12ihipStream_tbEUlT_E_NS1_11comp_targetILNS1_3genE9ELNS1_11target_archE1100ELNS1_3gpuE3ELNS1_3repE0EEENS1_30default_config_static_selectorELNS0_4arch9wavefront6targetE1EEEvT1_.num_agpr, 0
	.set _ZN7rocprim17ROCPRIM_400000_NS6detail17trampoline_kernelINS0_14default_configENS1_35adjacent_difference_config_selectorILb1ElEEZNS1_24adjacent_difference_implIS3_Lb1ELb0EPlS7_ZN2at6native12_GLOBAL__N_124unique_dim_cuda_templateIdEESt5tupleIJNS8_6TensorESD_SD_EERKSD_lbbbEUlllE1_EE10hipError_tPvRmT2_T3_mT4_P12ihipStream_tbEUlT_E_NS1_11comp_targetILNS1_3genE9ELNS1_11target_archE1100ELNS1_3gpuE3ELNS1_3repE0EEENS1_30default_config_static_selectorELNS0_4arch9wavefront6targetE1EEEvT1_.numbered_sgpr, 0
	.set _ZN7rocprim17ROCPRIM_400000_NS6detail17trampoline_kernelINS0_14default_configENS1_35adjacent_difference_config_selectorILb1ElEEZNS1_24adjacent_difference_implIS3_Lb1ELb0EPlS7_ZN2at6native12_GLOBAL__N_124unique_dim_cuda_templateIdEESt5tupleIJNS8_6TensorESD_SD_EERKSD_lbbbEUlllE1_EE10hipError_tPvRmT2_T3_mT4_P12ihipStream_tbEUlT_E_NS1_11comp_targetILNS1_3genE9ELNS1_11target_archE1100ELNS1_3gpuE3ELNS1_3repE0EEENS1_30default_config_static_selectorELNS0_4arch9wavefront6targetE1EEEvT1_.num_named_barrier, 0
	.set _ZN7rocprim17ROCPRIM_400000_NS6detail17trampoline_kernelINS0_14default_configENS1_35adjacent_difference_config_selectorILb1ElEEZNS1_24adjacent_difference_implIS3_Lb1ELb0EPlS7_ZN2at6native12_GLOBAL__N_124unique_dim_cuda_templateIdEESt5tupleIJNS8_6TensorESD_SD_EERKSD_lbbbEUlllE1_EE10hipError_tPvRmT2_T3_mT4_P12ihipStream_tbEUlT_E_NS1_11comp_targetILNS1_3genE9ELNS1_11target_archE1100ELNS1_3gpuE3ELNS1_3repE0EEENS1_30default_config_static_selectorELNS0_4arch9wavefront6targetE1EEEvT1_.private_seg_size, 0
	.set _ZN7rocprim17ROCPRIM_400000_NS6detail17trampoline_kernelINS0_14default_configENS1_35adjacent_difference_config_selectorILb1ElEEZNS1_24adjacent_difference_implIS3_Lb1ELb0EPlS7_ZN2at6native12_GLOBAL__N_124unique_dim_cuda_templateIdEESt5tupleIJNS8_6TensorESD_SD_EERKSD_lbbbEUlllE1_EE10hipError_tPvRmT2_T3_mT4_P12ihipStream_tbEUlT_E_NS1_11comp_targetILNS1_3genE9ELNS1_11target_archE1100ELNS1_3gpuE3ELNS1_3repE0EEENS1_30default_config_static_selectorELNS0_4arch9wavefront6targetE1EEEvT1_.uses_vcc, 0
	.set _ZN7rocprim17ROCPRIM_400000_NS6detail17trampoline_kernelINS0_14default_configENS1_35adjacent_difference_config_selectorILb1ElEEZNS1_24adjacent_difference_implIS3_Lb1ELb0EPlS7_ZN2at6native12_GLOBAL__N_124unique_dim_cuda_templateIdEESt5tupleIJNS8_6TensorESD_SD_EERKSD_lbbbEUlllE1_EE10hipError_tPvRmT2_T3_mT4_P12ihipStream_tbEUlT_E_NS1_11comp_targetILNS1_3genE9ELNS1_11target_archE1100ELNS1_3gpuE3ELNS1_3repE0EEENS1_30default_config_static_selectorELNS0_4arch9wavefront6targetE1EEEvT1_.uses_flat_scratch, 0
	.set _ZN7rocprim17ROCPRIM_400000_NS6detail17trampoline_kernelINS0_14default_configENS1_35adjacent_difference_config_selectorILb1ElEEZNS1_24adjacent_difference_implIS3_Lb1ELb0EPlS7_ZN2at6native12_GLOBAL__N_124unique_dim_cuda_templateIdEESt5tupleIJNS8_6TensorESD_SD_EERKSD_lbbbEUlllE1_EE10hipError_tPvRmT2_T3_mT4_P12ihipStream_tbEUlT_E_NS1_11comp_targetILNS1_3genE9ELNS1_11target_archE1100ELNS1_3gpuE3ELNS1_3repE0EEENS1_30default_config_static_selectorELNS0_4arch9wavefront6targetE1EEEvT1_.has_dyn_sized_stack, 0
	.set _ZN7rocprim17ROCPRIM_400000_NS6detail17trampoline_kernelINS0_14default_configENS1_35adjacent_difference_config_selectorILb1ElEEZNS1_24adjacent_difference_implIS3_Lb1ELb0EPlS7_ZN2at6native12_GLOBAL__N_124unique_dim_cuda_templateIdEESt5tupleIJNS8_6TensorESD_SD_EERKSD_lbbbEUlllE1_EE10hipError_tPvRmT2_T3_mT4_P12ihipStream_tbEUlT_E_NS1_11comp_targetILNS1_3genE9ELNS1_11target_archE1100ELNS1_3gpuE3ELNS1_3repE0EEENS1_30default_config_static_selectorELNS0_4arch9wavefront6targetE1EEEvT1_.has_recursion, 0
	.set _ZN7rocprim17ROCPRIM_400000_NS6detail17trampoline_kernelINS0_14default_configENS1_35adjacent_difference_config_selectorILb1ElEEZNS1_24adjacent_difference_implIS3_Lb1ELb0EPlS7_ZN2at6native12_GLOBAL__N_124unique_dim_cuda_templateIdEESt5tupleIJNS8_6TensorESD_SD_EERKSD_lbbbEUlllE1_EE10hipError_tPvRmT2_T3_mT4_P12ihipStream_tbEUlT_E_NS1_11comp_targetILNS1_3genE9ELNS1_11target_archE1100ELNS1_3gpuE3ELNS1_3repE0EEENS1_30default_config_static_selectorELNS0_4arch9wavefront6targetE1EEEvT1_.has_indirect_call, 0
	.section	.AMDGPU.csdata,"",@progbits
; Kernel info:
; codeLenInByte = 0
; TotalNumSgprs: 6
; NumVgprs: 0
; NumAgprs: 0
; TotalNumVgprs: 0
; ScratchSize: 0
; MemoryBound: 0
; FloatMode: 240
; IeeeMode: 1
; LDSByteSize: 0 bytes/workgroup (compile time only)
; SGPRBlocks: 0
; VGPRBlocks: 0
; NumSGPRsForWavesPerEU: 6
; NumVGPRsForWavesPerEU: 1
; AccumOffset: 4
; Occupancy: 8
; WaveLimiterHint : 0
; COMPUTE_PGM_RSRC2:SCRATCH_EN: 0
; COMPUTE_PGM_RSRC2:USER_SGPR: 2
; COMPUTE_PGM_RSRC2:TRAP_HANDLER: 0
; COMPUTE_PGM_RSRC2:TGID_X_EN: 1
; COMPUTE_PGM_RSRC2:TGID_Y_EN: 0
; COMPUTE_PGM_RSRC2:TGID_Z_EN: 0
; COMPUTE_PGM_RSRC2:TIDIG_COMP_CNT: 0
; COMPUTE_PGM_RSRC3_GFX90A:ACCUM_OFFSET: 0
; COMPUTE_PGM_RSRC3_GFX90A:TG_SPLIT: 0
	.section	.text._ZN7rocprim17ROCPRIM_400000_NS6detail17trampoline_kernelINS0_14default_configENS1_35adjacent_difference_config_selectorILb1ElEEZNS1_24adjacent_difference_implIS3_Lb1ELb0EPlS7_ZN2at6native12_GLOBAL__N_124unique_dim_cuda_templateIdEESt5tupleIJNS8_6TensorESD_SD_EERKSD_lbbbEUlllE1_EE10hipError_tPvRmT2_T3_mT4_P12ihipStream_tbEUlT_E_NS1_11comp_targetILNS1_3genE8ELNS1_11target_archE1030ELNS1_3gpuE2ELNS1_3repE0EEENS1_30default_config_static_selectorELNS0_4arch9wavefront6targetE1EEEvT1_,"axG",@progbits,_ZN7rocprim17ROCPRIM_400000_NS6detail17trampoline_kernelINS0_14default_configENS1_35adjacent_difference_config_selectorILb1ElEEZNS1_24adjacent_difference_implIS3_Lb1ELb0EPlS7_ZN2at6native12_GLOBAL__N_124unique_dim_cuda_templateIdEESt5tupleIJNS8_6TensorESD_SD_EERKSD_lbbbEUlllE1_EE10hipError_tPvRmT2_T3_mT4_P12ihipStream_tbEUlT_E_NS1_11comp_targetILNS1_3genE8ELNS1_11target_archE1030ELNS1_3gpuE2ELNS1_3repE0EEENS1_30default_config_static_selectorELNS0_4arch9wavefront6targetE1EEEvT1_,comdat
	.globl	_ZN7rocprim17ROCPRIM_400000_NS6detail17trampoline_kernelINS0_14default_configENS1_35adjacent_difference_config_selectorILb1ElEEZNS1_24adjacent_difference_implIS3_Lb1ELb0EPlS7_ZN2at6native12_GLOBAL__N_124unique_dim_cuda_templateIdEESt5tupleIJNS8_6TensorESD_SD_EERKSD_lbbbEUlllE1_EE10hipError_tPvRmT2_T3_mT4_P12ihipStream_tbEUlT_E_NS1_11comp_targetILNS1_3genE8ELNS1_11target_archE1030ELNS1_3gpuE2ELNS1_3repE0EEENS1_30default_config_static_selectorELNS0_4arch9wavefront6targetE1EEEvT1_ ; -- Begin function _ZN7rocprim17ROCPRIM_400000_NS6detail17trampoline_kernelINS0_14default_configENS1_35adjacent_difference_config_selectorILb1ElEEZNS1_24adjacent_difference_implIS3_Lb1ELb0EPlS7_ZN2at6native12_GLOBAL__N_124unique_dim_cuda_templateIdEESt5tupleIJNS8_6TensorESD_SD_EERKSD_lbbbEUlllE1_EE10hipError_tPvRmT2_T3_mT4_P12ihipStream_tbEUlT_E_NS1_11comp_targetILNS1_3genE8ELNS1_11target_archE1030ELNS1_3gpuE2ELNS1_3repE0EEENS1_30default_config_static_selectorELNS0_4arch9wavefront6targetE1EEEvT1_
	.p2align	8
	.type	_ZN7rocprim17ROCPRIM_400000_NS6detail17trampoline_kernelINS0_14default_configENS1_35adjacent_difference_config_selectorILb1ElEEZNS1_24adjacent_difference_implIS3_Lb1ELb0EPlS7_ZN2at6native12_GLOBAL__N_124unique_dim_cuda_templateIdEESt5tupleIJNS8_6TensorESD_SD_EERKSD_lbbbEUlllE1_EE10hipError_tPvRmT2_T3_mT4_P12ihipStream_tbEUlT_E_NS1_11comp_targetILNS1_3genE8ELNS1_11target_archE1030ELNS1_3gpuE2ELNS1_3repE0EEENS1_30default_config_static_selectorELNS0_4arch9wavefront6targetE1EEEvT1_,@function
_ZN7rocprim17ROCPRIM_400000_NS6detail17trampoline_kernelINS0_14default_configENS1_35adjacent_difference_config_selectorILb1ElEEZNS1_24adjacent_difference_implIS3_Lb1ELb0EPlS7_ZN2at6native12_GLOBAL__N_124unique_dim_cuda_templateIdEESt5tupleIJNS8_6TensorESD_SD_EERKSD_lbbbEUlllE1_EE10hipError_tPvRmT2_T3_mT4_P12ihipStream_tbEUlT_E_NS1_11comp_targetILNS1_3genE8ELNS1_11target_archE1030ELNS1_3gpuE2ELNS1_3repE0EEENS1_30default_config_static_selectorELNS0_4arch9wavefront6targetE1EEEvT1_: ; @_ZN7rocprim17ROCPRIM_400000_NS6detail17trampoline_kernelINS0_14default_configENS1_35adjacent_difference_config_selectorILb1ElEEZNS1_24adjacent_difference_implIS3_Lb1ELb0EPlS7_ZN2at6native12_GLOBAL__N_124unique_dim_cuda_templateIdEESt5tupleIJNS8_6TensorESD_SD_EERKSD_lbbbEUlllE1_EE10hipError_tPvRmT2_T3_mT4_P12ihipStream_tbEUlT_E_NS1_11comp_targetILNS1_3genE8ELNS1_11target_archE1030ELNS1_3gpuE2ELNS1_3repE0EEENS1_30default_config_static_selectorELNS0_4arch9wavefront6targetE1EEEvT1_
; %bb.0:
	.section	.rodata,"a",@progbits
	.p2align	6, 0x0
	.amdhsa_kernel _ZN7rocprim17ROCPRIM_400000_NS6detail17trampoline_kernelINS0_14default_configENS1_35adjacent_difference_config_selectorILb1ElEEZNS1_24adjacent_difference_implIS3_Lb1ELb0EPlS7_ZN2at6native12_GLOBAL__N_124unique_dim_cuda_templateIdEESt5tupleIJNS8_6TensorESD_SD_EERKSD_lbbbEUlllE1_EE10hipError_tPvRmT2_T3_mT4_P12ihipStream_tbEUlT_E_NS1_11comp_targetILNS1_3genE8ELNS1_11target_archE1030ELNS1_3gpuE2ELNS1_3repE0EEENS1_30default_config_static_selectorELNS0_4arch9wavefront6targetE1EEEvT1_
		.amdhsa_group_segment_fixed_size 0
		.amdhsa_private_segment_fixed_size 0
		.amdhsa_kernarg_size 64
		.amdhsa_user_sgpr_count 2
		.amdhsa_user_sgpr_dispatch_ptr 0
		.amdhsa_user_sgpr_queue_ptr 0
		.amdhsa_user_sgpr_kernarg_segment_ptr 1
		.amdhsa_user_sgpr_dispatch_id 0
		.amdhsa_user_sgpr_kernarg_preload_length 0
		.amdhsa_user_sgpr_kernarg_preload_offset 0
		.amdhsa_user_sgpr_private_segment_size 0
		.amdhsa_uses_dynamic_stack 0
		.amdhsa_enable_private_segment 0
		.amdhsa_system_sgpr_workgroup_id_x 1
		.amdhsa_system_sgpr_workgroup_id_y 0
		.amdhsa_system_sgpr_workgroup_id_z 0
		.amdhsa_system_sgpr_workgroup_info 0
		.amdhsa_system_vgpr_workitem_id 0
		.amdhsa_next_free_vgpr 1
		.amdhsa_next_free_sgpr 0
		.amdhsa_accum_offset 4
		.amdhsa_reserve_vcc 0
		.amdhsa_float_round_mode_32 0
		.amdhsa_float_round_mode_16_64 0
		.amdhsa_float_denorm_mode_32 3
		.amdhsa_float_denorm_mode_16_64 3
		.amdhsa_dx10_clamp 1
		.amdhsa_ieee_mode 1
		.amdhsa_fp16_overflow 0
		.amdhsa_tg_split 0
		.amdhsa_exception_fp_ieee_invalid_op 0
		.amdhsa_exception_fp_denorm_src 0
		.amdhsa_exception_fp_ieee_div_zero 0
		.amdhsa_exception_fp_ieee_overflow 0
		.amdhsa_exception_fp_ieee_underflow 0
		.amdhsa_exception_fp_ieee_inexact 0
		.amdhsa_exception_int_div_zero 0
	.end_amdhsa_kernel
	.section	.text._ZN7rocprim17ROCPRIM_400000_NS6detail17trampoline_kernelINS0_14default_configENS1_35adjacent_difference_config_selectorILb1ElEEZNS1_24adjacent_difference_implIS3_Lb1ELb0EPlS7_ZN2at6native12_GLOBAL__N_124unique_dim_cuda_templateIdEESt5tupleIJNS8_6TensorESD_SD_EERKSD_lbbbEUlllE1_EE10hipError_tPvRmT2_T3_mT4_P12ihipStream_tbEUlT_E_NS1_11comp_targetILNS1_3genE8ELNS1_11target_archE1030ELNS1_3gpuE2ELNS1_3repE0EEENS1_30default_config_static_selectorELNS0_4arch9wavefront6targetE1EEEvT1_,"axG",@progbits,_ZN7rocprim17ROCPRIM_400000_NS6detail17trampoline_kernelINS0_14default_configENS1_35adjacent_difference_config_selectorILb1ElEEZNS1_24adjacent_difference_implIS3_Lb1ELb0EPlS7_ZN2at6native12_GLOBAL__N_124unique_dim_cuda_templateIdEESt5tupleIJNS8_6TensorESD_SD_EERKSD_lbbbEUlllE1_EE10hipError_tPvRmT2_T3_mT4_P12ihipStream_tbEUlT_E_NS1_11comp_targetILNS1_3genE8ELNS1_11target_archE1030ELNS1_3gpuE2ELNS1_3repE0EEENS1_30default_config_static_selectorELNS0_4arch9wavefront6targetE1EEEvT1_,comdat
.Lfunc_end806:
	.size	_ZN7rocprim17ROCPRIM_400000_NS6detail17trampoline_kernelINS0_14default_configENS1_35adjacent_difference_config_selectorILb1ElEEZNS1_24adjacent_difference_implIS3_Lb1ELb0EPlS7_ZN2at6native12_GLOBAL__N_124unique_dim_cuda_templateIdEESt5tupleIJNS8_6TensorESD_SD_EERKSD_lbbbEUlllE1_EE10hipError_tPvRmT2_T3_mT4_P12ihipStream_tbEUlT_E_NS1_11comp_targetILNS1_3genE8ELNS1_11target_archE1030ELNS1_3gpuE2ELNS1_3repE0EEENS1_30default_config_static_selectorELNS0_4arch9wavefront6targetE1EEEvT1_, .Lfunc_end806-_ZN7rocprim17ROCPRIM_400000_NS6detail17trampoline_kernelINS0_14default_configENS1_35adjacent_difference_config_selectorILb1ElEEZNS1_24adjacent_difference_implIS3_Lb1ELb0EPlS7_ZN2at6native12_GLOBAL__N_124unique_dim_cuda_templateIdEESt5tupleIJNS8_6TensorESD_SD_EERKSD_lbbbEUlllE1_EE10hipError_tPvRmT2_T3_mT4_P12ihipStream_tbEUlT_E_NS1_11comp_targetILNS1_3genE8ELNS1_11target_archE1030ELNS1_3gpuE2ELNS1_3repE0EEENS1_30default_config_static_selectorELNS0_4arch9wavefront6targetE1EEEvT1_
                                        ; -- End function
	.set _ZN7rocprim17ROCPRIM_400000_NS6detail17trampoline_kernelINS0_14default_configENS1_35adjacent_difference_config_selectorILb1ElEEZNS1_24adjacent_difference_implIS3_Lb1ELb0EPlS7_ZN2at6native12_GLOBAL__N_124unique_dim_cuda_templateIdEESt5tupleIJNS8_6TensorESD_SD_EERKSD_lbbbEUlllE1_EE10hipError_tPvRmT2_T3_mT4_P12ihipStream_tbEUlT_E_NS1_11comp_targetILNS1_3genE8ELNS1_11target_archE1030ELNS1_3gpuE2ELNS1_3repE0EEENS1_30default_config_static_selectorELNS0_4arch9wavefront6targetE1EEEvT1_.num_vgpr, 0
	.set _ZN7rocprim17ROCPRIM_400000_NS6detail17trampoline_kernelINS0_14default_configENS1_35adjacent_difference_config_selectorILb1ElEEZNS1_24adjacent_difference_implIS3_Lb1ELb0EPlS7_ZN2at6native12_GLOBAL__N_124unique_dim_cuda_templateIdEESt5tupleIJNS8_6TensorESD_SD_EERKSD_lbbbEUlllE1_EE10hipError_tPvRmT2_T3_mT4_P12ihipStream_tbEUlT_E_NS1_11comp_targetILNS1_3genE8ELNS1_11target_archE1030ELNS1_3gpuE2ELNS1_3repE0EEENS1_30default_config_static_selectorELNS0_4arch9wavefront6targetE1EEEvT1_.num_agpr, 0
	.set _ZN7rocprim17ROCPRIM_400000_NS6detail17trampoline_kernelINS0_14default_configENS1_35adjacent_difference_config_selectorILb1ElEEZNS1_24adjacent_difference_implIS3_Lb1ELb0EPlS7_ZN2at6native12_GLOBAL__N_124unique_dim_cuda_templateIdEESt5tupleIJNS8_6TensorESD_SD_EERKSD_lbbbEUlllE1_EE10hipError_tPvRmT2_T3_mT4_P12ihipStream_tbEUlT_E_NS1_11comp_targetILNS1_3genE8ELNS1_11target_archE1030ELNS1_3gpuE2ELNS1_3repE0EEENS1_30default_config_static_selectorELNS0_4arch9wavefront6targetE1EEEvT1_.numbered_sgpr, 0
	.set _ZN7rocprim17ROCPRIM_400000_NS6detail17trampoline_kernelINS0_14default_configENS1_35adjacent_difference_config_selectorILb1ElEEZNS1_24adjacent_difference_implIS3_Lb1ELb0EPlS7_ZN2at6native12_GLOBAL__N_124unique_dim_cuda_templateIdEESt5tupleIJNS8_6TensorESD_SD_EERKSD_lbbbEUlllE1_EE10hipError_tPvRmT2_T3_mT4_P12ihipStream_tbEUlT_E_NS1_11comp_targetILNS1_3genE8ELNS1_11target_archE1030ELNS1_3gpuE2ELNS1_3repE0EEENS1_30default_config_static_selectorELNS0_4arch9wavefront6targetE1EEEvT1_.num_named_barrier, 0
	.set _ZN7rocprim17ROCPRIM_400000_NS6detail17trampoline_kernelINS0_14default_configENS1_35adjacent_difference_config_selectorILb1ElEEZNS1_24adjacent_difference_implIS3_Lb1ELb0EPlS7_ZN2at6native12_GLOBAL__N_124unique_dim_cuda_templateIdEESt5tupleIJNS8_6TensorESD_SD_EERKSD_lbbbEUlllE1_EE10hipError_tPvRmT2_T3_mT4_P12ihipStream_tbEUlT_E_NS1_11comp_targetILNS1_3genE8ELNS1_11target_archE1030ELNS1_3gpuE2ELNS1_3repE0EEENS1_30default_config_static_selectorELNS0_4arch9wavefront6targetE1EEEvT1_.private_seg_size, 0
	.set _ZN7rocprim17ROCPRIM_400000_NS6detail17trampoline_kernelINS0_14default_configENS1_35adjacent_difference_config_selectorILb1ElEEZNS1_24adjacent_difference_implIS3_Lb1ELb0EPlS7_ZN2at6native12_GLOBAL__N_124unique_dim_cuda_templateIdEESt5tupleIJNS8_6TensorESD_SD_EERKSD_lbbbEUlllE1_EE10hipError_tPvRmT2_T3_mT4_P12ihipStream_tbEUlT_E_NS1_11comp_targetILNS1_3genE8ELNS1_11target_archE1030ELNS1_3gpuE2ELNS1_3repE0EEENS1_30default_config_static_selectorELNS0_4arch9wavefront6targetE1EEEvT1_.uses_vcc, 0
	.set _ZN7rocprim17ROCPRIM_400000_NS6detail17trampoline_kernelINS0_14default_configENS1_35adjacent_difference_config_selectorILb1ElEEZNS1_24adjacent_difference_implIS3_Lb1ELb0EPlS7_ZN2at6native12_GLOBAL__N_124unique_dim_cuda_templateIdEESt5tupleIJNS8_6TensorESD_SD_EERKSD_lbbbEUlllE1_EE10hipError_tPvRmT2_T3_mT4_P12ihipStream_tbEUlT_E_NS1_11comp_targetILNS1_3genE8ELNS1_11target_archE1030ELNS1_3gpuE2ELNS1_3repE0EEENS1_30default_config_static_selectorELNS0_4arch9wavefront6targetE1EEEvT1_.uses_flat_scratch, 0
	.set _ZN7rocprim17ROCPRIM_400000_NS6detail17trampoline_kernelINS0_14default_configENS1_35adjacent_difference_config_selectorILb1ElEEZNS1_24adjacent_difference_implIS3_Lb1ELb0EPlS7_ZN2at6native12_GLOBAL__N_124unique_dim_cuda_templateIdEESt5tupleIJNS8_6TensorESD_SD_EERKSD_lbbbEUlllE1_EE10hipError_tPvRmT2_T3_mT4_P12ihipStream_tbEUlT_E_NS1_11comp_targetILNS1_3genE8ELNS1_11target_archE1030ELNS1_3gpuE2ELNS1_3repE0EEENS1_30default_config_static_selectorELNS0_4arch9wavefront6targetE1EEEvT1_.has_dyn_sized_stack, 0
	.set _ZN7rocprim17ROCPRIM_400000_NS6detail17trampoline_kernelINS0_14default_configENS1_35adjacent_difference_config_selectorILb1ElEEZNS1_24adjacent_difference_implIS3_Lb1ELb0EPlS7_ZN2at6native12_GLOBAL__N_124unique_dim_cuda_templateIdEESt5tupleIJNS8_6TensorESD_SD_EERKSD_lbbbEUlllE1_EE10hipError_tPvRmT2_T3_mT4_P12ihipStream_tbEUlT_E_NS1_11comp_targetILNS1_3genE8ELNS1_11target_archE1030ELNS1_3gpuE2ELNS1_3repE0EEENS1_30default_config_static_selectorELNS0_4arch9wavefront6targetE1EEEvT1_.has_recursion, 0
	.set _ZN7rocprim17ROCPRIM_400000_NS6detail17trampoline_kernelINS0_14default_configENS1_35adjacent_difference_config_selectorILb1ElEEZNS1_24adjacent_difference_implIS3_Lb1ELb0EPlS7_ZN2at6native12_GLOBAL__N_124unique_dim_cuda_templateIdEESt5tupleIJNS8_6TensorESD_SD_EERKSD_lbbbEUlllE1_EE10hipError_tPvRmT2_T3_mT4_P12ihipStream_tbEUlT_E_NS1_11comp_targetILNS1_3genE8ELNS1_11target_archE1030ELNS1_3gpuE2ELNS1_3repE0EEENS1_30default_config_static_selectorELNS0_4arch9wavefront6targetE1EEEvT1_.has_indirect_call, 0
	.section	.AMDGPU.csdata,"",@progbits
; Kernel info:
; codeLenInByte = 0
; TotalNumSgprs: 6
; NumVgprs: 0
; NumAgprs: 0
; TotalNumVgprs: 0
; ScratchSize: 0
; MemoryBound: 0
; FloatMode: 240
; IeeeMode: 1
; LDSByteSize: 0 bytes/workgroup (compile time only)
; SGPRBlocks: 0
; VGPRBlocks: 0
; NumSGPRsForWavesPerEU: 6
; NumVGPRsForWavesPerEU: 1
; AccumOffset: 4
; Occupancy: 8
; WaveLimiterHint : 0
; COMPUTE_PGM_RSRC2:SCRATCH_EN: 0
; COMPUTE_PGM_RSRC2:USER_SGPR: 2
; COMPUTE_PGM_RSRC2:TRAP_HANDLER: 0
; COMPUTE_PGM_RSRC2:TGID_X_EN: 1
; COMPUTE_PGM_RSRC2:TGID_Y_EN: 0
; COMPUTE_PGM_RSRC2:TGID_Z_EN: 0
; COMPUTE_PGM_RSRC2:TIDIG_COMP_CNT: 0
; COMPUTE_PGM_RSRC3_GFX90A:ACCUM_OFFSET: 0
; COMPUTE_PGM_RSRC3_GFX90A:TG_SPLIT: 0
	.section	.text._ZN7rocprim17ROCPRIM_400000_NS6detail17trampoline_kernelINS0_14default_configENS1_25partition_config_selectorILNS1_17partition_subalgoE8ElNS0_10empty_typeEbEEZZNS1_14partition_implILS5_8ELb0ES3_jPlPS6_PKS6_NS0_5tupleIJS9_S6_EEENSD_IJSA_SA_EEENS0_18inequality_wrapperIZN2at6native12_GLOBAL__N_124unique_dim_cuda_templateIdEESt5tupleIJNSH_6TensorESM_SM_EERKSM_lbbbEUlllE0_EEPmJS6_EEE10hipError_tPvRmT3_T4_T5_T6_T7_T9_mT8_P12ihipStream_tbDpT10_ENKUlT_T0_E_clISt17integral_constantIbLb0EES1C_EEDaS17_S18_EUlS17_E_NS1_11comp_targetILNS1_3genE0ELNS1_11target_archE4294967295ELNS1_3gpuE0ELNS1_3repE0EEENS1_30default_config_static_selectorELNS0_4arch9wavefront6targetE1EEEvT1_,"axG",@progbits,_ZN7rocprim17ROCPRIM_400000_NS6detail17trampoline_kernelINS0_14default_configENS1_25partition_config_selectorILNS1_17partition_subalgoE8ElNS0_10empty_typeEbEEZZNS1_14partition_implILS5_8ELb0ES3_jPlPS6_PKS6_NS0_5tupleIJS9_S6_EEENSD_IJSA_SA_EEENS0_18inequality_wrapperIZN2at6native12_GLOBAL__N_124unique_dim_cuda_templateIdEESt5tupleIJNSH_6TensorESM_SM_EERKSM_lbbbEUlllE0_EEPmJS6_EEE10hipError_tPvRmT3_T4_T5_T6_T7_T9_mT8_P12ihipStream_tbDpT10_ENKUlT_T0_E_clISt17integral_constantIbLb0EES1C_EEDaS17_S18_EUlS17_E_NS1_11comp_targetILNS1_3genE0ELNS1_11target_archE4294967295ELNS1_3gpuE0ELNS1_3repE0EEENS1_30default_config_static_selectorELNS0_4arch9wavefront6targetE1EEEvT1_,comdat
	.globl	_ZN7rocprim17ROCPRIM_400000_NS6detail17trampoline_kernelINS0_14default_configENS1_25partition_config_selectorILNS1_17partition_subalgoE8ElNS0_10empty_typeEbEEZZNS1_14partition_implILS5_8ELb0ES3_jPlPS6_PKS6_NS0_5tupleIJS9_S6_EEENSD_IJSA_SA_EEENS0_18inequality_wrapperIZN2at6native12_GLOBAL__N_124unique_dim_cuda_templateIdEESt5tupleIJNSH_6TensorESM_SM_EERKSM_lbbbEUlllE0_EEPmJS6_EEE10hipError_tPvRmT3_T4_T5_T6_T7_T9_mT8_P12ihipStream_tbDpT10_ENKUlT_T0_E_clISt17integral_constantIbLb0EES1C_EEDaS17_S18_EUlS17_E_NS1_11comp_targetILNS1_3genE0ELNS1_11target_archE4294967295ELNS1_3gpuE0ELNS1_3repE0EEENS1_30default_config_static_selectorELNS0_4arch9wavefront6targetE1EEEvT1_ ; -- Begin function _ZN7rocprim17ROCPRIM_400000_NS6detail17trampoline_kernelINS0_14default_configENS1_25partition_config_selectorILNS1_17partition_subalgoE8ElNS0_10empty_typeEbEEZZNS1_14partition_implILS5_8ELb0ES3_jPlPS6_PKS6_NS0_5tupleIJS9_S6_EEENSD_IJSA_SA_EEENS0_18inequality_wrapperIZN2at6native12_GLOBAL__N_124unique_dim_cuda_templateIdEESt5tupleIJNSH_6TensorESM_SM_EERKSM_lbbbEUlllE0_EEPmJS6_EEE10hipError_tPvRmT3_T4_T5_T6_T7_T9_mT8_P12ihipStream_tbDpT10_ENKUlT_T0_E_clISt17integral_constantIbLb0EES1C_EEDaS17_S18_EUlS17_E_NS1_11comp_targetILNS1_3genE0ELNS1_11target_archE4294967295ELNS1_3gpuE0ELNS1_3repE0EEENS1_30default_config_static_selectorELNS0_4arch9wavefront6targetE1EEEvT1_
	.p2align	8
	.type	_ZN7rocprim17ROCPRIM_400000_NS6detail17trampoline_kernelINS0_14default_configENS1_25partition_config_selectorILNS1_17partition_subalgoE8ElNS0_10empty_typeEbEEZZNS1_14partition_implILS5_8ELb0ES3_jPlPS6_PKS6_NS0_5tupleIJS9_S6_EEENSD_IJSA_SA_EEENS0_18inequality_wrapperIZN2at6native12_GLOBAL__N_124unique_dim_cuda_templateIdEESt5tupleIJNSH_6TensorESM_SM_EERKSM_lbbbEUlllE0_EEPmJS6_EEE10hipError_tPvRmT3_T4_T5_T6_T7_T9_mT8_P12ihipStream_tbDpT10_ENKUlT_T0_E_clISt17integral_constantIbLb0EES1C_EEDaS17_S18_EUlS17_E_NS1_11comp_targetILNS1_3genE0ELNS1_11target_archE4294967295ELNS1_3gpuE0ELNS1_3repE0EEENS1_30default_config_static_selectorELNS0_4arch9wavefront6targetE1EEEvT1_,@function
_ZN7rocprim17ROCPRIM_400000_NS6detail17trampoline_kernelINS0_14default_configENS1_25partition_config_selectorILNS1_17partition_subalgoE8ElNS0_10empty_typeEbEEZZNS1_14partition_implILS5_8ELb0ES3_jPlPS6_PKS6_NS0_5tupleIJS9_S6_EEENSD_IJSA_SA_EEENS0_18inequality_wrapperIZN2at6native12_GLOBAL__N_124unique_dim_cuda_templateIdEESt5tupleIJNSH_6TensorESM_SM_EERKSM_lbbbEUlllE0_EEPmJS6_EEE10hipError_tPvRmT3_T4_T5_T6_T7_T9_mT8_P12ihipStream_tbDpT10_ENKUlT_T0_E_clISt17integral_constantIbLb0EES1C_EEDaS17_S18_EUlS17_E_NS1_11comp_targetILNS1_3genE0ELNS1_11target_archE4294967295ELNS1_3gpuE0ELNS1_3repE0EEENS1_30default_config_static_selectorELNS0_4arch9wavefront6targetE1EEEvT1_: ; @_ZN7rocprim17ROCPRIM_400000_NS6detail17trampoline_kernelINS0_14default_configENS1_25partition_config_selectorILNS1_17partition_subalgoE8ElNS0_10empty_typeEbEEZZNS1_14partition_implILS5_8ELb0ES3_jPlPS6_PKS6_NS0_5tupleIJS9_S6_EEENSD_IJSA_SA_EEENS0_18inequality_wrapperIZN2at6native12_GLOBAL__N_124unique_dim_cuda_templateIdEESt5tupleIJNSH_6TensorESM_SM_EERKSM_lbbbEUlllE0_EEPmJS6_EEE10hipError_tPvRmT3_T4_T5_T6_T7_T9_mT8_P12ihipStream_tbDpT10_ENKUlT_T0_E_clISt17integral_constantIbLb0EES1C_EEDaS17_S18_EUlS17_E_NS1_11comp_targetILNS1_3genE0ELNS1_11target_archE4294967295ELNS1_3gpuE0ELNS1_3repE0EEENS1_30default_config_static_selectorELNS0_4arch9wavefront6targetE1EEEvT1_
; %bb.0:
	s_load_dwordx4 s[4:7], s[0:1], 0x8
	s_load_dwordx8 s[24:31], s[0:1], 0x40
	s_load_dwordx4 s[20:23], s[0:1], 0x60
	s_load_dword s3, s[0:1], 0x70
	v_lshlrev_b32_e32 v18, 3, v0
	s_waitcnt lgkmcnt(0)
	s_lshl_b64 s[8:9], s[6:7], 3
	s_add_u32 s12, s4, s8
	s_addc_u32 s13, s5, s9
	s_mul_i32 s8, s3, 0xe00
	s_add_i32 s10, s3, -1
	s_add_i32 s3, s8, s6
	s_sub_i32 s3, s28, s3
	s_add_u32 s8, s6, s8
	s_addc_u32 s9, s7, 0
	v_mov_b64_e32 v[2:3], s[8:9]
	s_cmp_eq_u32 s2, s10
	s_load_dwordx2 s[26:27], s[26:27], 0x0
	v_cmp_le_u64_e32 vcc, s[28:29], v[2:3]
	s_cselect_b64 s[28:29], -1, 0
	s_mul_i32 s4, s2, 0xe00
	s_mov_b32 s5, 0
	s_and_b64 s[8:9], s[28:29], vcc
	s_xor_b64 s[34:35], s[8:9], -1
	s_lshl_b64 s[4:5], s[4:5], 3
	s_add_u32 s4, s12, s4
	s_mov_b64 s[10:11], -1
	s_addc_u32 s5, s13, s5
	s_and_b64 vcc, exec, s[34:35]
	s_cbranch_vccz .LBB807_2
; %bb.1:
	v_lshlrev_b32_e32 v2, 3, v0
	v_mov_b32_e32 v3, 0
	v_lshl_add_u64 v[4:5], s[4:5], 0, v[2:3]
	v_add_co_u32_e32 v8, vcc, 0x1000, v4
	global_load_dwordx2 v[6:7], v2, s[4:5]
	s_nop 0
	v_addc_co_u32_e32 v9, vcc, 0, v5, vcc
	v_add_co_u32_e32 v10, vcc, 0x2000, v4
	s_mov_b64 s[10:11], 0
	s_nop 0
	v_addc_co_u32_e32 v11, vcc, 0, v5, vcc
	v_add_co_u32_e32 v12, vcc, 0x3000, v4
	s_nop 1
	v_addc_co_u32_e32 v13, vcc, 0, v5, vcc
	v_add_co_u32_e32 v14, vcc, 0x4000, v4
	s_nop 1
	v_addc_co_u32_e32 v15, vcc, 0, v5, vcc
	global_load_dwordx2 v[16:17], v[8:9], off
	global_load_dwordx2 v[20:21], v[10:11], off
	;; [unrolled: 1-line block ×4, first 2 shown]
	v_add_co_u32_e32 v8, vcc, 0x5000, v4
	s_nop 1
	v_addc_co_u32_e32 v9, vcc, 0, v5, vcc
	v_add_co_u32_e32 v4, vcc, 0x6000, v4
	s_nop 1
	v_addc_co_u32_e32 v5, vcc, 0, v5, vcc
	global_load_dwordx2 v[10:11], v[8:9], off
	global_load_dwordx2 v[12:13], v[4:5], off
	s_waitcnt vmcnt(5)
	ds_write2st64_b64 v2, v[6:7], v[16:17] offset1:8
	s_waitcnt vmcnt(3)
	ds_write2st64_b64 v2, v[20:21], v[22:23] offset0:16 offset1:24
	s_waitcnt vmcnt(1)
	ds_write2st64_b64 v2, v[24:25], v[10:11] offset0:32 offset1:40
	s_waitcnt vmcnt(0)
	ds_write_b64 v2, v[12:13] offset:24576
	s_waitcnt lgkmcnt(0)
	s_barrier
.LBB807_2:
	s_andn2_b64 vcc, exec, s[10:11]
	s_addk_i32 s3, 0xe00
	s_cbranch_vccnz .LBB807_18
; %bb.3:
	v_mov_b32_e32 v2, 0
	v_cmp_gt_u32_e32 vcc, s3, v0
	v_mov_b32_e32 v3, v2
	v_mov_b32_e32 v4, v2
	;; [unrolled: 1-line block ×13, first 2 shown]
	s_and_saveexec_b64 s[10:11], vcc
	s_cbranch_execz .LBB807_5
; %bb.4:
	v_lshlrev_b32_e32 v1, 3, v0
	global_load_dwordx2 v[4:5], v1, s[4:5]
	v_mov_b32_e32 v6, v2
	v_mov_b32_e32 v7, v2
	;; [unrolled: 1-line block ×12, first 2 shown]
	s_waitcnt vmcnt(0)
	v_mov_b64_e32 v[2:3], v[4:5]
	v_mov_b64_e32 v[4:5], v[6:7]
	;; [unrolled: 1-line block ×8, first 2 shown]
.LBB807_5:
	s_or_b64 exec, exec, s[10:11]
	v_or_b32_e32 v1, 0x200, v0
	v_cmp_gt_u32_e32 vcc, s3, v1
	s_and_saveexec_b64 s[10:11], vcc
	s_cbranch_execz .LBB807_7
; %bb.6:
	v_lshlrev_b32_e32 v1, 3, v1
	global_load_dwordx2 v[4:5], v1, s[4:5]
.LBB807_7:
	s_or_b64 exec, exec, s[10:11]
	v_or_b32_e32 v1, 0x400, v0
	v_cmp_gt_u32_e32 vcc, s3, v1
	s_and_saveexec_b64 s[10:11], vcc
	s_cbranch_execz .LBB807_9
; %bb.8:
	v_lshlrev_b32_e32 v1, 3, v1
	global_load_dwordx2 v[6:7], v1, s[4:5]
.LBB807_9:
	;; [unrolled: 9-line block ×6, first 2 shown]
	s_or_b64 exec, exec, s[10:11]
	v_lshlrev_b32_e32 v1, 3, v0
	s_waitcnt vmcnt(0)
	ds_write2st64_b64 v1, v[2:3], v[4:5] offset1:8
	ds_write2st64_b64 v1, v[6:7], v[8:9] offset0:16 offset1:24
	ds_write2st64_b64 v1, v[10:11], v[12:13] offset0:32 offset1:40
	ds_write_b64 v1, v[14:15] offset:24576
	s_waitcnt lgkmcnt(0)
	s_barrier
.LBB807_18:
	v_mul_u32_u24_e32 v1, 7, v0
	v_lshlrev_b32_e32 v24, 3, v1
	s_waitcnt lgkmcnt(0)
	ds_read2_b64 v[10:13], v24 offset1:1
	ds_read2_b64 v[6:9], v24 offset0:2 offset1:3
	ds_read2_b64 v[2:5], v24 offset0:4 offset1:5
	ds_read_b64 v[14:15], v24 offset:48
	s_cmp_lg_u32 s2, 0
	s_cselect_b64 s[16:17], -1, 0
	s_cmp_lg_u64 s[6:7], 0
	s_cselect_b64 s[6:7], -1, 0
	s_or_b64 s[6:7], s[16:17], s[6:7]
	s_mov_b64 s[10:11], 0
	s_and_b64 vcc, exec, s[6:7]
	v_cmp_gt_i64_e64 s[12:13], s[30:31], 0
	s_waitcnt lgkmcnt(0)
	s_barrier
	s_cbranch_vccz .LBB807_34
; %bb.19:
	s_add_u32 s4, s4, -8
	s_addc_u32 s5, s5, -1
	s_load_dwordx2 s[10:11], s[4:5], 0x0
	v_cndmask_b32_e64 v16, 0, 1, s[12:13]
	v_lshlrev_b32_e32 v25, 3, v0
	s_mov_b64 s[6:7], 0
	s_and_b64 vcc, exec, s[34:35]
	v_cmp_ne_u32_e64 s[4:5], 1, v16
	ds_write_b64 v25, v[14:15]
	s_cbranch_vccz .LBB807_36
; %bb.20:
	s_and_b64 vcc, exec, s[4:5]
	s_cbranch_vccnz .LBB807_37
; %bb.21:
	v_mul_lo_u32 v19, v5, s30
	v_mul_lo_u32 v20, v4, s31
	v_mad_u64_u32 v[16:17], s[6:7], v4, s30, 0
	v_add3_u32 v17, v17, v20, v19
	v_mul_lo_u32 v19, v15, s30
	v_mul_lo_u32 v22, v14, s31
	v_mad_u64_u32 v[20:21], s[6:7], v14, s30, 0
	s_add_u32 s14, s30, -1
	v_lshl_add_u64 v[16:17], v[16:17], 3, s[20:21]
	v_add3_u32 v21, v21, v22, v19
	s_addc_u32 s15, s31, -1
	v_lshl_add_u64 v[20:21], v[20:21], 3, s[20:21]
	s_mov_b64 s[18:19], 0
	s_mov_b64 s[36:37], s[14:15]
	v_mov_b64_e32 v[22:23], v[16:17]
                                        ; implicit-def: $sgpr12_sgpr13
.LBB807_22:                             ; =>This Inner Loop Header: Depth=1
	global_load_dwordx2 v[26:27], v[22:23], off
	global_load_dwordx2 v[28:29], v[20:21], off
	s_add_u32 s6, s36, -1
	s_addc_u32 s7, s37, -1
	s_cmp_eq_u64 s[36:37], 0
	s_mov_b64 s[36:37], s[6:7]
	s_cselect_b64 s[38:39], -1, 0
	v_lshl_add_u64 v[22:23], v[22:23], 0, 8
	v_lshl_add_u64 v[20:21], v[20:21], 0, 8
	s_waitcnt vmcnt(0)
	v_cmp_neq_f64_e64 s[6:7], v[26:27], v[28:29]
	s_or_b64 s[6:7], s[6:7], s[38:39]
	s_and_b64 s[6:7], exec, s[6:7]
	v_cmp_eq_f64_e32 vcc, v[26:27], v[28:29]
	s_or_b64 s[18:19], s[6:7], s[18:19]
	s_andn2_b64 s[6:7], s[12:13], exec
	s_and_b64 s[12:13], vcc, exec
	s_or_b64 s[12:13], s[6:7], s[12:13]
	s_andn2_b64 exec, exec, s[18:19]
	s_cbranch_execnz .LBB807_22
; %bb.23:
	s_or_b64 exec, exec, s[18:19]
	v_mul_lo_u32 v19, v3, s30
	v_mul_lo_u32 v22, v2, s31
	v_mad_u64_u32 v[20:21], s[6:7], v2, s30, 0
	v_add3_u32 v21, v21, v22, v19
	v_lshl_add_u64 v[20:21], v[20:21], 3, s[20:21]
	s_mov_b64 s[36:37], 0
	s_mov_b64 s[38:39], s[14:15]
	v_mov_b64_e32 v[22:23], v[20:21]
                                        ; implicit-def: $sgpr18_sgpr19
.LBB807_24:                             ; =>This Inner Loop Header: Depth=1
	global_load_dwordx2 v[26:27], v[22:23], off
	global_load_dwordx2 v[28:29], v[16:17], off
	s_add_u32 s6, s38, -1
	s_addc_u32 s7, s39, -1
	s_cmp_eq_u64 s[38:39], 0
	s_mov_b64 s[38:39], s[6:7]
	s_cselect_b64 s[40:41], -1, 0
	v_lshl_add_u64 v[22:23], v[22:23], 0, 8
	v_lshl_add_u64 v[16:17], v[16:17], 0, 8
	s_waitcnt vmcnt(0)
	v_cmp_neq_f64_e64 s[6:7], v[26:27], v[28:29]
	s_or_b64 s[6:7], s[6:7], s[40:41]
	s_and_b64 s[6:7], exec, s[6:7]
	v_cmp_eq_f64_e32 vcc, v[26:27], v[28:29]
	s_or_b64 s[36:37], s[6:7], s[36:37]
	s_andn2_b64 s[6:7], s[18:19], exec
	s_and_b64 s[18:19], vcc, exec
	s_or_b64 s[18:19], s[6:7], s[18:19]
	s_andn2_b64 exec, exec, s[36:37]
	s_cbranch_execnz .LBB807_24
; %bb.25:
	s_or_b64 exec, exec, s[36:37]
	v_mul_lo_u32 v19, v9, s30
	v_mul_lo_u32 v22, v8, s31
	v_mad_u64_u32 v[16:17], s[6:7], v8, s30, 0
	v_add3_u32 v17, v17, v22, v19
	v_lshl_add_u64 v[16:17], v[16:17], 3, s[20:21]
	s_mov_b64 s[38:39], 0
	s_mov_b64 s[40:41], s[14:15]
	v_mov_b64_e32 v[22:23], v[16:17]
                                        ; implicit-def: $sgpr36_sgpr37
.LBB807_26:                             ; =>This Inner Loop Header: Depth=1
	global_load_dwordx2 v[26:27], v[22:23], off
	global_load_dwordx2 v[28:29], v[20:21], off
	s_add_u32 s6, s40, -1
	s_addc_u32 s7, s41, -1
	s_cmp_eq_u64 s[40:41], 0
	s_mov_b64 s[40:41], s[6:7]
	s_cselect_b64 s[42:43], -1, 0
	v_lshl_add_u64 v[22:23], v[22:23], 0, 8
	v_lshl_add_u64 v[20:21], v[20:21], 0, 8
	s_waitcnt vmcnt(0)
	v_cmp_neq_f64_e64 s[6:7], v[26:27], v[28:29]
	s_or_b64 s[6:7], s[6:7], s[42:43]
	s_and_b64 s[6:7], exec, s[6:7]
	v_cmp_eq_f64_e32 vcc, v[26:27], v[28:29]
	s_or_b64 s[38:39], s[6:7], s[38:39]
	s_andn2_b64 s[6:7], s[36:37], exec
	s_and_b64 s[36:37], vcc, exec
	s_or_b64 s[36:37], s[6:7], s[36:37]
	s_andn2_b64 exec, exec, s[38:39]
	s_cbranch_execnz .LBB807_26
; %bb.27:
	s_or_b64 exec, exec, s[38:39]
	v_mul_lo_u32 v19, v7, s30
	v_mul_lo_u32 v22, v6, s31
	v_mad_u64_u32 v[20:21], s[6:7], v6, s30, 0
	v_add3_u32 v21, v21, v22, v19
	v_lshl_add_u64 v[20:21], v[20:21], 3, s[20:21]
	s_mov_b64 s[40:41], 0
	s_mov_b64 s[42:43], s[14:15]
	v_mov_b64_e32 v[22:23], v[20:21]
                                        ; implicit-def: $sgpr38_sgpr39
.LBB807_28:                             ; =>This Inner Loop Header: Depth=1
	global_load_dwordx2 v[26:27], v[22:23], off
	global_load_dwordx2 v[28:29], v[16:17], off
	s_add_u32 s6, s42, -1
	s_addc_u32 s7, s43, -1
	s_cmp_eq_u64 s[42:43], 0
	s_mov_b64 s[42:43], s[6:7]
	s_cselect_b64 s[44:45], -1, 0
	v_lshl_add_u64 v[22:23], v[22:23], 0, 8
	v_lshl_add_u64 v[16:17], v[16:17], 0, 8
	s_waitcnt vmcnt(0)
	v_cmp_neq_f64_e64 s[6:7], v[26:27], v[28:29]
	s_or_b64 s[6:7], s[6:7], s[44:45]
	s_and_b64 s[6:7], exec, s[6:7]
	v_cmp_eq_f64_e32 vcc, v[26:27], v[28:29]
	s_or_b64 s[40:41], s[6:7], s[40:41]
	s_andn2_b64 s[6:7], s[38:39], exec
	s_and_b64 s[38:39], vcc, exec
	s_or_b64 s[38:39], s[6:7], s[38:39]
	s_andn2_b64 exec, exec, s[40:41]
	s_cbranch_execnz .LBB807_28
; %bb.29:
	s_or_b64 exec, exec, s[40:41]
	v_mul_lo_u32 v19, v13, s30
	v_mul_lo_u32 v22, v12, s31
	v_mad_u64_u32 v[16:17], s[6:7], v12, s30, 0
	v_add3_u32 v17, v17, v22, v19
	v_lshl_add_u64 v[16:17], v[16:17], 3, s[20:21]
	s_mov_b64 s[42:43], 0
	s_mov_b64 s[44:45], s[14:15]
	v_mov_b64_e32 v[22:23], v[16:17]
                                        ; implicit-def: $sgpr40_sgpr41
.LBB807_30:                             ; =>This Inner Loop Header: Depth=1
	global_load_dwordx2 v[26:27], v[22:23], off
	global_load_dwordx2 v[28:29], v[20:21], off
	s_add_u32 s6, s44, -1
	s_addc_u32 s7, s45, -1
	s_cmp_eq_u64 s[44:45], 0
	s_mov_b64 s[44:45], s[6:7]
	s_cselect_b64 s[46:47], -1, 0
	v_lshl_add_u64 v[22:23], v[22:23], 0, 8
	v_lshl_add_u64 v[20:21], v[20:21], 0, 8
	s_waitcnt vmcnt(0)
	v_cmp_neq_f64_e64 s[6:7], v[26:27], v[28:29]
	s_or_b64 s[6:7], s[6:7], s[46:47]
	s_and_b64 s[6:7], exec, s[6:7]
	v_cmp_eq_f64_e32 vcc, v[26:27], v[28:29]
	s_or_b64 s[42:43], s[6:7], s[42:43]
	s_andn2_b64 s[6:7], s[40:41], exec
	s_and_b64 s[40:41], vcc, exec
	s_or_b64 s[40:41], s[6:7], s[40:41]
	s_andn2_b64 exec, exec, s[42:43]
	s_cbranch_execnz .LBB807_30
; %bb.31:
	s_or_b64 exec, exec, s[42:43]
	v_mul_lo_u32 v19, v11, s30
	v_mul_lo_u32 v22, v10, s31
	v_mad_u64_u32 v[20:21], s[6:7], v10, s30, 0
	v_add3_u32 v21, v21, v22, v19
	v_lshl_add_u64 v[20:21], v[20:21], 3, s[20:21]
	s_mov_b64 s[44:45], 0
                                        ; implicit-def: $sgpr42_sgpr43
.LBB807_32:                             ; =>This Inner Loop Header: Depth=1
	global_load_dwordx2 v[22:23], v[20:21], off
	global_load_dwordx2 v[26:27], v[16:17], off
	s_add_u32 s6, s14, -1
	s_addc_u32 s7, s15, -1
	s_cmp_eq_u64 s[14:15], 0
	s_mov_b64 s[14:15], s[6:7]
	s_cselect_b64 s[46:47], -1, 0
	v_lshl_add_u64 v[20:21], v[20:21], 0, 8
	v_lshl_add_u64 v[16:17], v[16:17], 0, 8
	s_waitcnt vmcnt(0)
	v_cmp_neq_f64_e64 s[6:7], v[22:23], v[26:27]
	s_or_b64 s[6:7], s[6:7], s[46:47]
	s_and_b64 s[6:7], exec, s[6:7]
	v_cmp_eq_f64_e32 vcc, v[22:23], v[26:27]
	s_or_b64 s[44:45], s[6:7], s[44:45]
	s_andn2_b64 s[6:7], s[42:43], exec
	s_and_b64 s[42:43], vcc, exec
	s_or_b64 s[42:43], s[6:7], s[42:43]
	s_andn2_b64 exec, exec, s[44:45]
	s_cbranch_execnz .LBB807_32
; %bb.33:
	s_or_b64 exec, exec, s[44:45]
	s_xor_b64 s[6:7], s[18:19], -1
	v_cndmask_b32_e64 v40, 0, 1, s[6:7]
	s_xor_b64 s[6:7], s[38:39], -1
	v_cndmask_b32_e64 v16, 0, 1, s[6:7]
	v_lshlrev_b16_e32 v16, 8, v16
	s_xor_b64 s[6:7], s[12:13], -1
	v_lshrrev_b32_e32 v16, 8, v16
	v_mov_b32_e32 v20, 1
	s_xor_b64 s[12:13], s[40:41], -1
	v_cndmask_b32_e64 v19, 0, 1, s[6:7]
	s_xor_b64 s[6:7], s[36:37], -1
	v_and_b32_sdwa v16, v16, v20 dst_sel:BYTE_1 dst_unused:UNUSED_PAD src0_sel:DWORD src1_sel:DWORD
	v_cndmask_b32_e64 v20, 0, 1, s[12:13]
	v_cndmask_b32_e64 v17, 0, 1, s[6:7]
	s_xor_b64 s[6:7], s[42:43], -1
	v_or_b32_sdwa v22, v20, v16 dst_sel:WORD_1 dst_unused:UNUSED_PAD src0_sel:DWORD src1_sel:DWORD
	s_branch .LBB807_38
.LBB807_34:
                                        ; implicit-def: $sgpr6_sgpr7
                                        ; implicit-def: $vgpr19
                                        ; implicit-def: $vgpr40
                                        ; implicit-def: $vgpr17
                                        ; implicit-def: $vgpr21
	s_branch .LBB807_91
.LBB807_35:
                                        ; implicit-def: $vgpr42
                                        ; implicit-def: $vgpr41
                                        ; implicit-def: $vgpr20
	s_branch .LBB807_160
.LBB807_36:
                                        ; implicit-def: $sgpr6_sgpr7
                                        ; implicit-def: $vgpr19
                                        ; implicit-def: $vgpr40
                                        ; implicit-def: $vgpr17
                                        ; implicit-def: $vgpr21
	s_cbranch_execnz .LBB807_45
	s_branch .LBB807_90
.LBB807_37:
	v_mov_b32_e32 v22, 0
	v_mov_b32_e32 v19, 0
	v_mov_b32_e32 v40, 0
	v_mov_b32_e32 v17, 0
.LBB807_38:
	v_cmp_ne_u32_e32 vcc, 0, v0
	s_waitcnt lgkmcnt(0)
	v_mov_b64_e32 v[20:21], s[10:11]
	s_barrier
	s_and_saveexec_b64 s[12:13], vcc
; %bb.39:
	v_add_u32_e32 v16, -8, v25
	ds_read_b64 v[20:21], v16
; %bb.40:
	s_or_b64 exec, exec, s[12:13]
	v_cndmask_b32_e64 v23, 0, 1, s[6:7]
	v_lshrrev_b32_e32 v16, 16, v22
	s_mov_b32 s6, 0xc0c0304
	v_perm_b32 v16, v16, v22, s6
	v_lshlrev_b16_e32 v23, 8, v23
	s_movk_i32 s6, 0xff
	v_bitop3_b16 v22, v22, v23, s6 bitop3:0xec
	v_and_b32_e32 v26, 0xffff, v22
	s_mov_b64 s[12:13], 0
	s_and_b64 vcc, exec, s[4:5]
	s_mov_b64 s[6:7], 0
	s_cbranch_vccnz .LBB807_44
; %bb.41:
	s_waitcnt lgkmcnt(0)
	v_mul_lo_u32 v22, v21, s30
	v_mul_lo_u32 v23, v20, s31
	v_mad_u64_u32 v[20:21], s[6:7], v20, s30, 0
	v_add3_u32 v21, v21, v23, v22
	v_mul_lo_u32 v27, v11, s30
	v_mul_lo_u32 v28, v10, s31
	v_mad_u64_u32 v[22:23], s[6:7], v10, s30, 0
	v_add3_u32 v23, v23, v28, v27
	s_add_u32 s36, s30, -1
	v_lshl_add_u64 v[20:21], v[20:21], 3, s[20:21]
	v_lshl_add_u64 v[22:23], v[22:23], 3, s[20:21]
	s_addc_u32 s37, s31, -1
	s_mov_b64 s[14:15], 0
                                        ; implicit-def: $sgpr18_sgpr19
.LBB807_42:                             ; =>This Inner Loop Header: Depth=1
	global_load_dwordx2 v[28:29], v[20:21], off
	global_load_dwordx2 v[30:31], v[22:23], off
	s_add_u32 s6, s36, -1
	s_addc_u32 s7, s37, -1
	s_cmp_eq_u64 s[36:37], 0
	s_mov_b64 s[36:37], s[6:7]
	s_cselect_b64 s[38:39], -1, 0
	v_lshl_add_u64 v[20:21], v[20:21], 0, 8
	v_lshl_add_u64 v[22:23], v[22:23], 0, 8
	s_waitcnt vmcnt(0)
	v_cmp_neq_f64_e64 s[6:7], v[28:29], v[30:31]
	s_or_b64 s[6:7], s[6:7], s[38:39]
	s_and_b64 s[6:7], exec, s[6:7]
	v_cmp_eq_f64_e32 vcc, v[28:29], v[30:31]
	s_or_b64 s[14:15], s[6:7], s[14:15]
	s_andn2_b64 s[6:7], s[18:19], exec
	s_and_b64 s[18:19], vcc, exec
	s_or_b64 s[18:19], s[6:7], s[18:19]
	s_andn2_b64 exec, exec, s[14:15]
	s_cbranch_execnz .LBB807_42
; %bb.43:
	s_or_b64 exec, exec, s[14:15]
	s_xor_b64 s[6:7], s[18:19], -1
.LBB807_44:
	s_waitcnt lgkmcnt(0)
	v_lshl_or_b32 v21, v16, 16, v26
	s_and_b64 vcc, exec, s[12:13]
	s_cbranch_vccz .LBB807_90
.LBB807_45:
	v_add_u32_e32 v16, 6, v1
	v_cmp_gt_u32_e32 vcc, s3, v16
	s_mov_b64 s[14:15], 0
	s_mov_b64 s[12:13], 0
	s_and_saveexec_b64 s[18:19], vcc
	s_cbranch_execz .LBB807_51
; %bb.46:
	s_and_b64 vcc, exec, s[4:5]
	s_mov_b64 s[6:7], 0
	s_cbranch_vccnz .LBB807_50
; %bb.47:
	v_mul_lo_u32 v19, v5, s30
	v_mul_lo_u32 v20, v4, s31
	v_mad_u64_u32 v[16:17], s[6:7], v4, s30, 0
	v_add3_u32 v17, v17, v20, v19
	v_mul_lo_u32 v19, v15, s30
	v_mul_lo_u32 v22, v14, s31
	v_mad_u64_u32 v[20:21], s[6:7], v14, s30, 0
	v_add3_u32 v21, v21, v22, v19
	s_add_u32 s38, s30, -1
	v_lshl_add_u64 v[16:17], v[16:17], 3, s[20:21]
	v_lshl_add_u64 v[20:21], v[20:21], 3, s[20:21]
	s_addc_u32 s39, s31, -1
                                        ; implicit-def: $sgpr36_sgpr37
.LBB807_48:                             ; =>This Inner Loop Header: Depth=1
	global_load_dwordx2 v[22:23], v[16:17], off
	global_load_dwordx2 v[26:27], v[20:21], off
	s_add_u32 s6, s38, -1
	s_addc_u32 s7, s39, -1
	s_cmp_eq_u64 s[38:39], 0
	s_mov_b64 s[38:39], s[6:7]
	s_cselect_b64 s[40:41], -1, 0
	v_lshl_add_u64 v[16:17], v[16:17], 0, 8
	v_lshl_add_u64 v[20:21], v[20:21], 0, 8
	s_waitcnt vmcnt(0)
	v_cmp_neq_f64_e64 s[6:7], v[22:23], v[26:27]
	s_or_b64 s[6:7], s[6:7], s[40:41]
	s_and_b64 s[6:7], exec, s[6:7]
	v_cmp_eq_f64_e32 vcc, v[22:23], v[26:27]
	s_or_b64 s[12:13], s[6:7], s[12:13]
	s_andn2_b64 s[6:7], s[36:37], exec
	s_and_b64 s[36:37], vcc, exec
	s_or_b64 s[36:37], s[6:7], s[36:37]
	s_andn2_b64 exec, exec, s[12:13]
	s_cbranch_execnz .LBB807_48
; %bb.49:
	s_or_b64 exec, exec, s[12:13]
	s_xor_b64 s[6:7], s[36:37], -1
.LBB807_50:
	s_and_b64 s[12:13], s[6:7], exec
.LBB807_51:
	s_or_b64 exec, exec, s[18:19]
	v_add_u32_e32 v16, 5, v1
	v_cmp_gt_u32_e32 vcc, s3, v16
	s_and_saveexec_b64 s[18:19], vcc
	s_cbranch_execz .LBB807_57
; %bb.52:
	s_and_b64 vcc, exec, s[4:5]
	s_mov_b64 s[6:7], 0
	s_cbranch_vccnz .LBB807_56
; %bb.53:
	v_mul_lo_u32 v19, v3, s30
	v_mul_lo_u32 v20, v2, s31
	v_mad_u64_u32 v[16:17], s[6:7], v2, s30, 0
	v_add3_u32 v17, v17, v20, v19
	v_mul_lo_u32 v19, v5, s30
	v_mul_lo_u32 v22, v4, s31
	v_mad_u64_u32 v[20:21], s[6:7], v4, s30, 0
	v_add3_u32 v21, v21, v22, v19
	s_add_u32 s38, s30, -1
	v_lshl_add_u64 v[16:17], v[16:17], 3, s[20:21]
	v_lshl_add_u64 v[20:21], v[20:21], 3, s[20:21]
	s_addc_u32 s39, s31, -1
	s_mov_b64 s[14:15], 0
                                        ; implicit-def: $sgpr36_sgpr37
.LBB807_54:                             ; =>This Inner Loop Header: Depth=1
	global_load_dwordx2 v[22:23], v[16:17], off
	global_load_dwordx2 v[26:27], v[20:21], off
	s_add_u32 s6, s38, -1
	s_addc_u32 s7, s39, -1
	s_cmp_eq_u64 s[38:39], 0
	s_mov_b64 s[38:39], s[6:7]
	s_cselect_b64 s[40:41], -1, 0
	v_lshl_add_u64 v[16:17], v[16:17], 0, 8
	v_lshl_add_u64 v[20:21], v[20:21], 0, 8
	s_waitcnt vmcnt(0)
	v_cmp_neq_f64_e64 s[6:7], v[22:23], v[26:27]
	s_or_b64 s[6:7], s[6:7], s[40:41]
	s_and_b64 s[6:7], exec, s[6:7]
	v_cmp_eq_f64_e32 vcc, v[22:23], v[26:27]
	s_or_b64 s[14:15], s[6:7], s[14:15]
	s_andn2_b64 s[6:7], s[36:37], exec
	s_and_b64 s[36:37], vcc, exec
	s_or_b64 s[36:37], s[6:7], s[36:37]
	s_andn2_b64 exec, exec, s[14:15]
	s_cbranch_execnz .LBB807_54
; %bb.55:
	s_or_b64 exec, exec, s[14:15]
	s_xor_b64 s[6:7], s[36:37], -1
.LBB807_56:
	s_and_b64 s[14:15], s[6:7], exec
.LBB807_57:
	s_or_b64 exec, exec, s[18:19]
	v_add_u32_e32 v16, 4, v1
	v_cmp_gt_u32_e32 vcc, s3, v16
	s_mov_b64 s[36:37], 0
	s_mov_b64 s[18:19], 0
	s_and_saveexec_b64 s[38:39], vcc
	s_cbranch_execz .LBB807_63
; %bb.58:
	s_and_b64 vcc, exec, s[4:5]
	s_mov_b64 s[6:7], 0
	s_cbranch_vccnz .LBB807_62
; %bb.59:
	v_mul_lo_u32 v19, v9, s30
	v_mul_lo_u32 v20, v8, s31
	v_mad_u64_u32 v[16:17], s[6:7], v8, s30, 0
	v_add3_u32 v17, v17, v20, v19
	v_mul_lo_u32 v19, v3, s30
	v_mul_lo_u32 v22, v2, s31
	v_mad_u64_u32 v[20:21], s[6:7], v2, s30, 0
	v_add3_u32 v21, v21, v22, v19
	s_add_u32 s42, s30, -1
	v_lshl_add_u64 v[16:17], v[16:17], 3, s[20:21]
	v_lshl_add_u64 v[20:21], v[20:21], 3, s[20:21]
	s_addc_u32 s43, s31, -1
                                        ; implicit-def: $sgpr40_sgpr41
.LBB807_60:                             ; =>This Inner Loop Header: Depth=1
	global_load_dwordx2 v[22:23], v[16:17], off
	global_load_dwordx2 v[26:27], v[20:21], off
	s_add_u32 s6, s42, -1
	s_addc_u32 s7, s43, -1
	s_cmp_eq_u64 s[42:43], 0
	s_mov_b64 s[42:43], s[6:7]
	s_cselect_b64 s[44:45], -1, 0
	v_lshl_add_u64 v[16:17], v[16:17], 0, 8
	v_lshl_add_u64 v[20:21], v[20:21], 0, 8
	s_waitcnt vmcnt(0)
	v_cmp_neq_f64_e64 s[6:7], v[22:23], v[26:27]
	s_or_b64 s[6:7], s[6:7], s[44:45]
	s_and_b64 s[6:7], exec, s[6:7]
	v_cmp_eq_f64_e32 vcc, v[22:23], v[26:27]
	s_or_b64 s[18:19], s[6:7], s[18:19]
	s_andn2_b64 s[6:7], s[40:41], exec
	s_and_b64 s[40:41], vcc, exec
	s_or_b64 s[40:41], s[6:7], s[40:41]
	s_andn2_b64 exec, exec, s[18:19]
	s_cbranch_execnz .LBB807_60
; %bb.61:
	s_or_b64 exec, exec, s[18:19]
	s_xor_b64 s[6:7], s[40:41], -1
.LBB807_62:
	s_and_b64 s[18:19], s[6:7], exec
.LBB807_63:
	s_or_b64 exec, exec, s[38:39]
	v_add_u32_e32 v16, 3, v1
	v_cmp_gt_u32_e32 vcc, s3, v16
	s_and_saveexec_b64 s[38:39], vcc
	s_cbranch_execz .LBB807_69
; %bb.64:
	s_and_b64 vcc, exec, s[4:5]
	s_mov_b64 s[6:7], 0
	s_cbranch_vccnz .LBB807_68
; %bb.65:
	v_mul_lo_u32 v19, v7, s30
	v_mul_lo_u32 v20, v6, s31
	v_mad_u64_u32 v[16:17], s[6:7], v6, s30, 0
	v_add3_u32 v17, v17, v20, v19
	v_mul_lo_u32 v19, v9, s30
	v_mul_lo_u32 v22, v8, s31
	v_mad_u64_u32 v[20:21], s[6:7], v8, s30, 0
	v_add3_u32 v21, v21, v22, v19
	s_add_u32 s42, s30, -1
	v_lshl_add_u64 v[16:17], v[16:17], 3, s[20:21]
	v_lshl_add_u64 v[20:21], v[20:21], 3, s[20:21]
	s_addc_u32 s43, s31, -1
	s_mov_b64 s[36:37], 0
                                        ; implicit-def: $sgpr40_sgpr41
.LBB807_66:                             ; =>This Inner Loop Header: Depth=1
	global_load_dwordx2 v[22:23], v[16:17], off
	global_load_dwordx2 v[26:27], v[20:21], off
	s_add_u32 s6, s42, -1
	s_addc_u32 s7, s43, -1
	s_cmp_eq_u64 s[42:43], 0
	s_mov_b64 s[42:43], s[6:7]
	s_cselect_b64 s[44:45], -1, 0
	v_lshl_add_u64 v[16:17], v[16:17], 0, 8
	v_lshl_add_u64 v[20:21], v[20:21], 0, 8
	s_waitcnt vmcnt(0)
	v_cmp_neq_f64_e64 s[6:7], v[22:23], v[26:27]
	s_or_b64 s[6:7], s[6:7], s[44:45]
	s_and_b64 s[6:7], exec, s[6:7]
	v_cmp_eq_f64_e32 vcc, v[22:23], v[26:27]
	s_or_b64 s[36:37], s[6:7], s[36:37]
	s_andn2_b64 s[6:7], s[40:41], exec
	s_and_b64 s[40:41], vcc, exec
	s_or_b64 s[40:41], s[6:7], s[40:41]
	s_andn2_b64 exec, exec, s[36:37]
	s_cbranch_execnz .LBB807_66
; %bb.67:
	s_or_b64 exec, exec, s[36:37]
	s_xor_b64 s[6:7], s[40:41], -1
.LBB807_68:
	s_and_b64 s[36:37], s[6:7], exec
.LBB807_69:
	s_or_b64 exec, exec, s[38:39]
	v_add_u32_e32 v16, 2, v1
	v_cmp_gt_u32_e32 vcc, s3, v16
	s_mov_b64 s[38:39], 0
	s_mov_b64 s[40:41], 0
	s_and_saveexec_b64 s[42:43], vcc
	s_cbranch_execz .LBB807_75
; %bb.70:
	s_and_b64 vcc, exec, s[4:5]
	s_mov_b64 s[6:7], 0
	s_cbranch_vccnz .LBB807_74
; %bb.71:
	v_mul_lo_u32 v19, v13, s30
	v_mul_lo_u32 v20, v12, s31
	v_mad_u64_u32 v[16:17], s[6:7], v12, s30, 0
	v_add3_u32 v17, v17, v20, v19
	v_mul_lo_u32 v19, v7, s30
	v_mul_lo_u32 v22, v6, s31
	v_mad_u64_u32 v[20:21], s[6:7], v6, s30, 0
	v_add3_u32 v21, v21, v22, v19
	s_add_u32 s46, s30, -1
	v_lshl_add_u64 v[16:17], v[16:17], 3, s[20:21]
	v_lshl_add_u64 v[20:21], v[20:21], 3, s[20:21]
	s_addc_u32 s47, s31, -1
                                        ; implicit-def: $sgpr44_sgpr45
.LBB807_72:                             ; =>This Inner Loop Header: Depth=1
	global_load_dwordx2 v[22:23], v[16:17], off
	global_load_dwordx2 v[26:27], v[20:21], off
	s_add_u32 s6, s46, -1
	s_addc_u32 s7, s47, -1
	s_cmp_eq_u64 s[46:47], 0
	s_mov_b64 s[46:47], s[6:7]
	s_cselect_b64 s[48:49], -1, 0
	v_lshl_add_u64 v[16:17], v[16:17], 0, 8
	v_lshl_add_u64 v[20:21], v[20:21], 0, 8
	s_waitcnt vmcnt(0)
	v_cmp_neq_f64_e64 s[6:7], v[22:23], v[26:27]
	s_or_b64 s[6:7], s[6:7], s[48:49]
	s_and_b64 s[6:7], exec, s[6:7]
	v_cmp_eq_f64_e32 vcc, v[22:23], v[26:27]
	s_or_b64 s[40:41], s[6:7], s[40:41]
	s_andn2_b64 s[6:7], s[44:45], exec
	s_and_b64 s[44:45], vcc, exec
	s_or_b64 s[44:45], s[6:7], s[44:45]
	s_andn2_b64 exec, exec, s[40:41]
	s_cbranch_execnz .LBB807_72
; %bb.73:
	s_or_b64 exec, exec, s[40:41]
	s_xor_b64 s[6:7], s[44:45], -1
.LBB807_74:
	s_and_b64 s[40:41], s[6:7], exec
.LBB807_75:
	s_or_b64 exec, exec, s[42:43]
	v_add_u32_e32 v16, 1, v1
	v_cmp_gt_u32_e32 vcc, s3, v16
	s_and_saveexec_b64 s[42:43], vcc
	s_cbranch_execz .LBB807_81
; %bb.76:
	s_and_b64 vcc, exec, s[4:5]
	s_mov_b64 s[6:7], 0
	s_cbranch_vccnz .LBB807_80
; %bb.77:
	v_mul_lo_u32 v19, v11, s30
	v_mul_lo_u32 v20, v10, s31
	v_mad_u64_u32 v[16:17], s[6:7], v10, s30, 0
	v_add3_u32 v17, v17, v20, v19
	v_mul_lo_u32 v19, v13, s30
	v_mul_lo_u32 v22, v12, s31
	v_mad_u64_u32 v[20:21], s[6:7], v12, s30, 0
	v_add3_u32 v21, v21, v22, v19
	s_add_u32 s46, s30, -1
	v_lshl_add_u64 v[16:17], v[16:17], 3, s[20:21]
	v_lshl_add_u64 v[20:21], v[20:21], 3, s[20:21]
	s_addc_u32 s47, s31, -1
	s_mov_b64 s[38:39], 0
                                        ; implicit-def: $sgpr44_sgpr45
.LBB807_78:                             ; =>This Inner Loop Header: Depth=1
	global_load_dwordx2 v[22:23], v[16:17], off
	global_load_dwordx2 v[26:27], v[20:21], off
	s_add_u32 s6, s46, -1
	s_addc_u32 s7, s47, -1
	s_cmp_eq_u64 s[46:47], 0
	s_mov_b64 s[46:47], s[6:7]
	s_cselect_b64 s[48:49], -1, 0
	v_lshl_add_u64 v[16:17], v[16:17], 0, 8
	v_lshl_add_u64 v[20:21], v[20:21], 0, 8
	s_waitcnt vmcnt(0)
	v_cmp_neq_f64_e64 s[6:7], v[22:23], v[26:27]
	s_or_b64 s[6:7], s[6:7], s[48:49]
	s_and_b64 s[6:7], exec, s[6:7]
	v_cmp_eq_f64_e32 vcc, v[22:23], v[26:27]
	s_or_b64 s[38:39], s[6:7], s[38:39]
	s_andn2_b64 s[6:7], s[44:45], exec
	s_and_b64 s[44:45], vcc, exec
	s_or_b64 s[44:45], s[6:7], s[44:45]
	s_andn2_b64 exec, exec, s[38:39]
	s_cbranch_execnz .LBB807_78
; %bb.79:
	s_or_b64 exec, exec, s[38:39]
	s_xor_b64 s[6:7], s[44:45], -1
.LBB807_80:
	s_and_b64 s[38:39], s[6:7], exec
.LBB807_81:
	s_or_b64 exec, exec, s[42:43]
	v_cmp_ne_u32_e32 vcc, 0, v0
	s_waitcnt lgkmcnt(0)
	v_mov_b64_e32 v[16:17], s[10:11]
	s_barrier
	s_and_saveexec_b64 s[6:7], vcc
; %bb.82:
	v_add_u32_e32 v16, -8, v25
	ds_read_b64 v[16:17], v16
; %bb.83:
	s_or_b64 exec, exec, s[6:7]
	v_cndmask_b32_e64 v20, 0, 1, s[36:37]
	v_cndmask_b32_e64 v19, 0, 1, s[40:41]
	v_cndmask_b32_e64 v21, 0, 1, s[38:39]
	v_lshlrev_b16_e32 v20, 8, v20
	v_cmp_gt_u32_e32 vcc, s3, v1
	v_lshlrev_b16_e32 v22, 8, v21
	v_or_b32_sdwa v23, v19, v20 dst_sel:WORD_1 dst_unused:UNUSED_PAD src0_sel:DWORD src1_sel:DWORD
	s_mov_b64 s[6:7], 0
	s_and_saveexec_b64 s[10:11], vcc
	s_cbranch_execz .LBB807_89
; %bb.84:
	s_and_b64 vcc, exec, s[4:5]
	s_mov_b64 s[4:5], 0
	s_cbranch_vccnz .LBB807_88
; %bb.85:
	s_waitcnt lgkmcnt(0)
	v_mul_lo_u32 v19, v17, s30
	v_mul_lo_u32 v20, v16, s31
	v_mad_u64_u32 v[16:17], s[4:5], v16, s30, 0
	v_add3_u32 v17, v17, v20, v19
	v_mul_lo_u32 v19, v11, s30
	v_mul_lo_u32 v25, v10, s31
	v_mad_u64_u32 v[20:21], s[4:5], v10, s30, 0
	v_add3_u32 v21, v21, v25, v19
	s_add_u32 s38, s30, -1
	v_lshl_add_u64 v[16:17], v[16:17], 3, s[20:21]
	v_lshl_add_u64 v[20:21], v[20:21], 3, s[20:21]
	s_addc_u32 s39, s31, -1
                                        ; implicit-def: $sgpr36_sgpr37
.LBB807_86:                             ; =>This Inner Loop Header: Depth=1
	global_load_dwordx2 v[26:27], v[16:17], off
	global_load_dwordx2 v[28:29], v[20:21], off
	s_add_u32 s4, s38, -1
	s_addc_u32 s5, s39, -1
	s_cmp_eq_u64 s[38:39], 0
	s_mov_b64 s[38:39], s[4:5]
	s_cselect_b64 s[40:41], -1, 0
	v_lshl_add_u64 v[16:17], v[16:17], 0, 8
	v_lshl_add_u64 v[20:21], v[20:21], 0, 8
	s_waitcnt vmcnt(0)
	v_cmp_neq_f64_e64 s[4:5], v[26:27], v[28:29]
	s_or_b64 s[4:5], s[4:5], s[40:41]
	s_and_b64 s[4:5], exec, s[4:5]
	v_cmp_eq_f64_e32 vcc, v[26:27], v[28:29]
	s_or_b64 s[6:7], s[4:5], s[6:7]
	s_andn2_b64 s[4:5], s[36:37], exec
	s_and_b64 s[36:37], vcc, exec
	s_or_b64 s[36:37], s[4:5], s[36:37]
	s_andn2_b64 exec, exec, s[6:7]
	s_cbranch_execnz .LBB807_86
; %bb.87:
	s_or_b64 exec, exec, s[6:7]
	s_xor_b64 s[4:5], s[36:37], -1
.LBB807_88:
	s_and_b64 s[6:7], s[4:5], exec
.LBB807_89:
	s_or_b64 exec, exec, s[10:11]
	s_waitcnt lgkmcnt(0)
	v_cndmask_b32_e64 v17, 0, 1, s[18:19]
	v_cndmask_b32_e64 v40, 0, 1, s[14:15]
	;; [unrolled: 1-line block ×3, first 2 shown]
	v_or_b32_e32 v21, v22, v23
.LBB807_90:
	s_waitcnt lgkmcnt(0)
	s_mov_b64 s[10:11], -1
	s_cbranch_execnz .LBB807_35
.LBB807_91:
	s_movk_i32 s4, 0xffd0
	v_mad_i32_i24 v26, v0, s4, v24
	s_mov_b64 s[6:7], 0
	v_cmp_gt_i64_e64 s[12:13], s[30:31], 0
	s_and_b64 vcc, exec, s[34:35]
	ds_write_b64 v26, v[14:15]
	s_cbranch_vccz .LBB807_106
; %bb.92:
	v_cndmask_b32_e64 v16, 0, 1, s[12:13]
	v_cmp_ne_u32_e64 s[4:5], 1, v16
	s_andn2_b64 vcc, exec, s[12:13]
	s_cbranch_vccnz .LBB807_107
; %bb.93:
	v_mul_lo_u32 v19, v5, s30
	v_mul_lo_u32 v20, v4, s31
	v_mad_u64_u32 v[16:17], s[6:7], v4, s30, 0
	v_add3_u32 v17, v17, v20, v19
	v_mul_lo_u32 v19, v15, s30
	v_mul_lo_u32 v22, v14, s31
	v_mad_u64_u32 v[20:21], s[6:7], v14, s30, 0
	s_add_u32 s18, s30, -1
	v_lshl_add_u64 v[16:17], v[16:17], 3, s[20:21]
	v_add3_u32 v21, v21, v22, v19
	s_addc_u32 s19, s31, -1
	v_lshl_add_u64 v[20:21], v[20:21], 3, s[20:21]
	s_mov_b64 s[36:37], 0
	s_mov_b64 s[38:39], s[18:19]
	v_mov_b64_e32 v[22:23], v[16:17]
                                        ; implicit-def: $sgpr14_sgpr15
.LBB807_94:                             ; =>This Inner Loop Header: Depth=1
	global_load_dwordx2 v[24:25], v[22:23], off
	global_load_dwordx2 v[28:29], v[20:21], off
	s_add_u32 s6, s38, -1
	s_addc_u32 s7, s39, -1
	s_cmp_eq_u64 s[38:39], 0
	s_mov_b64 s[38:39], s[6:7]
	s_cselect_b64 s[40:41], -1, 0
	v_lshl_add_u64 v[22:23], v[22:23], 0, 8
	v_lshl_add_u64 v[20:21], v[20:21], 0, 8
	s_waitcnt vmcnt(0)
	v_cmp_neq_f64_e64 s[6:7], v[24:25], v[28:29]
	s_or_b64 s[6:7], s[6:7], s[40:41]
	s_and_b64 s[6:7], exec, s[6:7]
	v_cmp_eq_f64_e32 vcc, v[24:25], v[28:29]
	s_or_b64 s[36:37], s[6:7], s[36:37]
	s_andn2_b64 s[6:7], s[14:15], exec
	s_and_b64 s[14:15], vcc, exec
	s_or_b64 s[14:15], s[6:7], s[14:15]
	s_andn2_b64 exec, exec, s[36:37]
	s_cbranch_execnz .LBB807_94
; %bb.95:
	s_or_b64 exec, exec, s[36:37]
	v_mul_lo_u32 v19, v3, s30
	v_mul_lo_u32 v22, v2, s31
	v_mad_u64_u32 v[20:21], s[6:7], v2, s30, 0
	v_add3_u32 v21, v21, v22, v19
	v_lshl_add_u64 v[20:21], v[20:21], 3, s[20:21]
	s_mov_b64 s[38:39], 0
	s_mov_b64 s[40:41], s[18:19]
	v_mov_b64_e32 v[22:23], v[20:21]
                                        ; implicit-def: $sgpr36_sgpr37
.LBB807_96:                             ; =>This Inner Loop Header: Depth=1
	global_load_dwordx2 v[24:25], v[22:23], off
	global_load_dwordx2 v[28:29], v[16:17], off
	s_add_u32 s6, s40, -1
	s_addc_u32 s7, s41, -1
	s_cmp_eq_u64 s[40:41], 0
	s_mov_b64 s[40:41], s[6:7]
	s_cselect_b64 s[42:43], -1, 0
	v_lshl_add_u64 v[22:23], v[22:23], 0, 8
	v_lshl_add_u64 v[16:17], v[16:17], 0, 8
	s_waitcnt vmcnt(0)
	v_cmp_neq_f64_e64 s[6:7], v[24:25], v[28:29]
	s_or_b64 s[6:7], s[6:7], s[42:43]
	s_and_b64 s[6:7], exec, s[6:7]
	v_cmp_eq_f64_e32 vcc, v[24:25], v[28:29]
	s_or_b64 s[38:39], s[6:7], s[38:39]
	s_andn2_b64 s[6:7], s[36:37], exec
	s_and_b64 s[36:37], vcc, exec
	s_or_b64 s[36:37], s[6:7], s[36:37]
	s_andn2_b64 exec, exec, s[38:39]
	s_cbranch_execnz .LBB807_96
; %bb.97:
	s_or_b64 exec, exec, s[38:39]
	v_mul_lo_u32 v19, v9, s30
	v_mul_lo_u32 v22, v8, s31
	v_mad_u64_u32 v[16:17], s[6:7], v8, s30, 0
	v_add3_u32 v17, v17, v22, v19
	v_lshl_add_u64 v[16:17], v[16:17], 3, s[20:21]
	s_mov_b64 s[40:41], 0
	s_mov_b64 s[42:43], s[18:19]
	v_mov_b64_e32 v[22:23], v[16:17]
                                        ; implicit-def: $sgpr38_sgpr39
.LBB807_98:                             ; =>This Inner Loop Header: Depth=1
	global_load_dwordx2 v[24:25], v[22:23], off
	global_load_dwordx2 v[28:29], v[20:21], off
	s_add_u32 s6, s42, -1
	s_addc_u32 s7, s43, -1
	s_cmp_eq_u64 s[42:43], 0
	s_mov_b64 s[42:43], s[6:7]
	s_cselect_b64 s[44:45], -1, 0
	v_lshl_add_u64 v[22:23], v[22:23], 0, 8
	v_lshl_add_u64 v[20:21], v[20:21], 0, 8
	s_waitcnt vmcnt(0)
	v_cmp_neq_f64_e64 s[6:7], v[24:25], v[28:29]
	s_or_b64 s[6:7], s[6:7], s[44:45]
	s_and_b64 s[6:7], exec, s[6:7]
	v_cmp_eq_f64_e32 vcc, v[24:25], v[28:29]
	s_or_b64 s[40:41], s[6:7], s[40:41]
	s_andn2_b64 s[6:7], s[38:39], exec
	s_and_b64 s[38:39], vcc, exec
	s_or_b64 s[38:39], s[6:7], s[38:39]
	s_andn2_b64 exec, exec, s[40:41]
	s_cbranch_execnz .LBB807_98
; %bb.99:
	s_or_b64 exec, exec, s[40:41]
	v_mul_lo_u32 v19, v7, s30
	v_mul_lo_u32 v22, v6, s31
	v_mad_u64_u32 v[20:21], s[6:7], v6, s30, 0
	v_add3_u32 v21, v21, v22, v19
	v_lshl_add_u64 v[20:21], v[20:21], 3, s[20:21]
	s_mov_b64 s[42:43], 0
	s_mov_b64 s[44:45], s[18:19]
	v_mov_b64_e32 v[22:23], v[20:21]
                                        ; implicit-def: $sgpr40_sgpr41
.LBB807_100:                            ; =>This Inner Loop Header: Depth=1
	global_load_dwordx2 v[24:25], v[22:23], off
	global_load_dwordx2 v[28:29], v[16:17], off
	s_add_u32 s6, s44, -1
	s_addc_u32 s7, s45, -1
	s_cmp_eq_u64 s[44:45], 0
	s_mov_b64 s[44:45], s[6:7]
	s_cselect_b64 s[46:47], -1, 0
	v_lshl_add_u64 v[22:23], v[22:23], 0, 8
	v_lshl_add_u64 v[16:17], v[16:17], 0, 8
	s_waitcnt vmcnt(0)
	v_cmp_neq_f64_e64 s[6:7], v[24:25], v[28:29]
	s_or_b64 s[6:7], s[6:7], s[46:47]
	s_and_b64 s[6:7], exec, s[6:7]
	v_cmp_eq_f64_e32 vcc, v[24:25], v[28:29]
	s_or_b64 s[42:43], s[6:7], s[42:43]
	s_andn2_b64 s[6:7], s[40:41], exec
	s_and_b64 s[40:41], vcc, exec
	s_or_b64 s[40:41], s[6:7], s[40:41]
	s_andn2_b64 exec, exec, s[42:43]
	s_cbranch_execnz .LBB807_100
; %bb.101:
	s_or_b64 exec, exec, s[42:43]
	v_mul_lo_u32 v19, v13, s30
	v_mul_lo_u32 v22, v12, s31
	v_mad_u64_u32 v[16:17], s[6:7], v12, s30, 0
	v_add3_u32 v17, v17, v22, v19
	v_lshl_add_u64 v[16:17], v[16:17], 3, s[20:21]
	s_mov_b64 s[44:45], 0
	s_mov_b64 s[46:47], s[18:19]
	v_mov_b64_e32 v[22:23], v[16:17]
                                        ; implicit-def: $sgpr42_sgpr43
.LBB807_102:                            ; =>This Inner Loop Header: Depth=1
	global_load_dwordx2 v[24:25], v[22:23], off
	global_load_dwordx2 v[28:29], v[20:21], off
	s_add_u32 s6, s46, -1
	s_addc_u32 s7, s47, -1
	s_cmp_eq_u64 s[46:47], 0
	s_mov_b64 s[46:47], s[6:7]
	s_cselect_b64 s[48:49], -1, 0
	v_lshl_add_u64 v[22:23], v[22:23], 0, 8
	v_lshl_add_u64 v[20:21], v[20:21], 0, 8
	s_waitcnt vmcnt(0)
	v_cmp_neq_f64_e64 s[6:7], v[24:25], v[28:29]
	s_or_b64 s[6:7], s[6:7], s[48:49]
	s_and_b64 s[6:7], exec, s[6:7]
	v_cmp_eq_f64_e32 vcc, v[24:25], v[28:29]
	s_or_b64 s[44:45], s[6:7], s[44:45]
	s_andn2_b64 s[6:7], s[42:43], exec
	s_and_b64 s[42:43], vcc, exec
	s_or_b64 s[42:43], s[6:7], s[42:43]
	s_andn2_b64 exec, exec, s[44:45]
	s_cbranch_execnz .LBB807_102
; %bb.103:
	s_or_b64 exec, exec, s[44:45]
	v_mul_lo_u32 v19, v11, s30
	v_mul_lo_u32 v22, v10, s31
	v_mad_u64_u32 v[20:21], s[6:7], v10, s30, 0
	v_add3_u32 v21, v21, v22, v19
	v_lshl_add_u64 v[20:21], v[20:21], 3, s[20:21]
	s_mov_b64 s[46:47], 0
                                        ; implicit-def: $sgpr44_sgpr45
.LBB807_104:                            ; =>This Inner Loop Header: Depth=1
	global_load_dwordx2 v[22:23], v[20:21], off
	global_load_dwordx2 v[24:25], v[16:17], off
	s_add_u32 s6, s18, -1
	s_addc_u32 s7, s19, -1
	s_cmp_eq_u64 s[18:19], 0
	s_mov_b64 s[18:19], s[6:7]
	s_cselect_b64 s[48:49], -1, 0
	v_lshl_add_u64 v[20:21], v[20:21], 0, 8
	v_lshl_add_u64 v[16:17], v[16:17], 0, 8
	s_waitcnt vmcnt(0)
	v_cmp_neq_f64_e64 s[6:7], v[22:23], v[24:25]
	s_or_b64 s[6:7], s[6:7], s[48:49]
	s_and_b64 s[6:7], exec, s[6:7]
	v_cmp_eq_f64_e32 vcc, v[22:23], v[24:25]
	s_or_b64 s[46:47], s[6:7], s[46:47]
	s_andn2_b64 s[6:7], s[44:45], exec
	s_and_b64 s[44:45], vcc, exec
	s_or_b64 s[44:45], s[6:7], s[44:45]
	s_andn2_b64 exec, exec, s[46:47]
	s_cbranch_execnz .LBB807_104
; %bb.105:
	s_or_b64 exec, exec, s[46:47]
	s_xor_b64 s[6:7], s[36:37], -1
	v_cndmask_b32_e64 v40, 0, 1, s[6:7]
	s_xor_b64 s[6:7], s[40:41], -1
	v_cndmask_b32_e64 v16, 0, 1, s[6:7]
	v_lshlrev_b16_e32 v16, 8, v16
	s_xor_b64 s[6:7], s[14:15], -1
	v_lshrrev_b32_e32 v16, 8, v16
	v_mov_b32_e32 v20, 1
	s_xor_b64 s[14:15], s[42:43], -1
	v_cndmask_b32_e64 v19, 0, 1, s[6:7]
	s_xor_b64 s[6:7], s[38:39], -1
	v_and_b32_sdwa v16, v16, v20 dst_sel:BYTE_1 dst_unused:UNUSED_PAD src0_sel:DWORD src1_sel:DWORD
	v_cndmask_b32_e64 v20, 0, 1, s[14:15]
	v_cndmask_b32_e64 v17, 0, 1, s[6:7]
	s_xor_b64 s[6:7], s[44:45], -1
	v_or_b32_sdwa v16, v20, v16 dst_sel:WORD_1 dst_unused:UNUSED_PAD src0_sel:DWORD src1_sel:DWORD
	s_branch .LBB807_108
.LBB807_106:
                                        ; implicit-def: $sgpr6_sgpr7
                                        ; implicit-def: $vgpr19
                                        ; implicit-def: $vgpr40
                                        ; implicit-def: $vgpr17
                                        ; implicit-def: $vgpr21
                                        ; implicit-def: $vgpr42
                                        ; implicit-def: $vgpr41
                                        ; implicit-def: $vgpr20
	s_cbranch_execnz .LBB807_115
	s_branch .LBB807_160
.LBB807_107:
	v_mov_b32_e32 v16, 0
	v_mov_b32_e32 v19, 0
	;; [unrolled: 1-line block ×4, first 2 shown]
.LBB807_108:
	v_lshrrev_b32_e32 v41, 16, v16
	v_lshrrev_b32_e32 v20, 24, v16
	v_cndmask_b32_e64 v42, 0, 1, s[6:7]
	v_mov_b32_e32 v16, 1
	v_cmp_ne_u32_e32 vcc, 0, v0
	s_waitcnt lgkmcnt(0)
	s_barrier
                                        ; implicit-def: $sgpr6_sgpr7
                                        ; implicit-def: $vgpr21
	s_and_saveexec_b64 s[14:15], vcc
	s_xor_b64 s[14:15], exec, s[14:15]
	s_cbranch_execz .LBB807_114
; %bb.109:
	v_lshlrev_b16_e32 v21, 8, v20
	s_movk_i32 s6, 0xff
	v_bitop3_b16 v21, v41, v21, s6 bitop3:0xec
	v_lshlrev_b16_e32 v22, 8, v42
	v_lshlrev_b32_e32 v21, 16, v21
	v_or_b32_e32 v22, 1, v22
	v_or_b32_sdwa v21, v22, v21 dst_sel:DWORD dst_unused:UNUSED_PAD src0_sel:WORD_0 src1_sel:DWORD
	s_mov_b32 s33, 0x3020104
	s_and_b64 vcc, exec, s[4:5]
	s_mov_b64 s[6:7], 0
	s_cbranch_vccnz .LBB807_113
; %bb.110:
	v_add_u32_e32 v22, -8, v26
	ds_read_b64 v[22:23], v22
	v_mul_lo_u32 v27, v11, s30
	v_mul_lo_u32 v28, v10, s31
	s_add_u32 s36, s30, -1
	s_addc_u32 s37, s31, -1
	s_waitcnt lgkmcnt(0)
	v_mul_lo_u32 v24, v23, s30
	v_mul_lo_u32 v25, v22, s31
	v_mad_u64_u32 v[22:23], s[4:5], v22, s30, 0
	v_add3_u32 v23, v23, v25, v24
	v_mad_u64_u32 v[24:25], s[4:5], v10, s30, 0
	v_add3_u32 v25, v25, v28, v27
	v_lshl_add_u64 v[22:23], v[22:23], 3, s[20:21]
	v_lshl_add_u64 v[24:25], v[24:25], 3, s[20:21]
                                        ; implicit-def: $sgpr18_sgpr19
.LBB807_111:                            ; =>This Inner Loop Header: Depth=1
	global_load_dwordx2 v[28:29], v[22:23], off
	global_load_dwordx2 v[30:31], v[24:25], off
	s_add_u32 s4, s36, -1
	s_addc_u32 s5, s37, -1
	s_cmp_eq_u64 s[36:37], 0
	s_mov_b64 s[36:37], s[4:5]
	s_cselect_b64 s[38:39], -1, 0
	v_lshl_add_u64 v[22:23], v[22:23], 0, 8
	v_lshl_add_u64 v[24:25], v[24:25], 0, 8
	s_waitcnt vmcnt(0)
	v_cmp_neq_f64_e64 s[4:5], v[28:29], v[30:31]
	s_or_b64 s[4:5], s[4:5], s[38:39]
	s_and_b64 s[4:5], exec, s[4:5]
	v_cmp_eq_f64_e32 vcc, v[28:29], v[30:31]
	s_or_b64 s[6:7], s[4:5], s[6:7]
	s_andn2_b64 s[4:5], s[18:19], exec
	s_and_b64 s[18:19], vcc, exec
	s_or_b64 s[18:19], s[4:5], s[18:19]
	s_andn2_b64 exec, exec, s[6:7]
	s_cbranch_execnz .LBB807_111
; %bb.112:
	s_or_b64 exec, exec, s[6:7]
	s_xor_b64 s[6:7], s[18:19], -1
.LBB807_113:
	v_perm_b32 v21, v21, v21, s33
	s_or_b64 s[10:11], s[10:11], exec
.LBB807_114:
	s_or_b64 exec, exec, s[14:15]
	s_branch .LBB807_160
.LBB807_115:
	v_add_u32_e32 v16, 6, v1
	v_cmp_gt_u32_e32 vcc, s3, v16
	s_mov_b64 s[14:15], 0
	s_mov_b64 s[6:7], 0
	s_and_saveexec_b64 s[18:19], vcc
	s_cbranch_execz .LBB807_121
; %bb.116:
	s_andn2_b64 vcc, exec, s[12:13]
	s_mov_b64 s[4:5], 0
	s_cbranch_vccnz .LBB807_120
; %bb.117:
	v_mul_lo_u32 v19, v5, s30
	v_mul_lo_u32 v20, v4, s31
	v_mad_u64_u32 v[16:17], s[4:5], v4, s30, 0
	v_add3_u32 v17, v17, v20, v19
	v_mul_lo_u32 v19, v15, s30
	v_mul_lo_u32 v22, v14, s31
	v_mad_u64_u32 v[20:21], s[4:5], v14, s30, 0
	v_add3_u32 v21, v21, v22, v19
	s_add_u32 s38, s30, -1
	v_lshl_add_u64 v[16:17], v[16:17], 3, s[20:21]
	v_lshl_add_u64 v[20:21], v[20:21], 3, s[20:21]
	s_addc_u32 s39, s31, -1
                                        ; implicit-def: $sgpr36_sgpr37
.LBB807_118:                            ; =>This Inner Loop Header: Depth=1
	global_load_dwordx2 v[22:23], v[16:17], off
	global_load_dwordx2 v[24:25], v[20:21], off
	s_add_u32 s4, s38, -1
	s_addc_u32 s5, s39, -1
	s_cmp_eq_u64 s[38:39], 0
	s_mov_b64 s[38:39], s[4:5]
	s_cselect_b64 s[40:41], -1, 0
	v_lshl_add_u64 v[16:17], v[16:17], 0, 8
	v_lshl_add_u64 v[20:21], v[20:21], 0, 8
	s_waitcnt vmcnt(0)
	v_cmp_neq_f64_e64 s[4:5], v[22:23], v[24:25]
	s_or_b64 s[4:5], s[4:5], s[40:41]
	s_and_b64 s[4:5], exec, s[4:5]
	v_cmp_eq_f64_e32 vcc, v[22:23], v[24:25]
	s_or_b64 s[6:7], s[4:5], s[6:7]
	s_andn2_b64 s[4:5], s[36:37], exec
	s_and_b64 s[36:37], vcc, exec
	s_or_b64 s[36:37], s[4:5], s[36:37]
	s_andn2_b64 exec, exec, s[6:7]
	s_cbranch_execnz .LBB807_118
; %bb.119:
	s_or_b64 exec, exec, s[6:7]
	s_xor_b64 s[4:5], s[36:37], -1
.LBB807_120:
	s_and_b64 s[6:7], s[4:5], exec
.LBB807_121:
	s_or_b64 exec, exec, s[18:19]
	v_add_u32_e32 v16, 5, v1
	v_cmp_gt_u32_e32 vcc, s3, v16
	s_and_saveexec_b64 s[18:19], vcc
	s_cbranch_execz .LBB807_127
; %bb.122:
	s_andn2_b64 vcc, exec, s[12:13]
	s_mov_b64 s[4:5], 0
	s_cbranch_vccnz .LBB807_126
; %bb.123:
	v_mul_lo_u32 v19, v3, s30
	v_mul_lo_u32 v20, v2, s31
	v_mad_u64_u32 v[16:17], s[4:5], v2, s30, 0
	v_add3_u32 v17, v17, v20, v19
	v_mul_lo_u32 v19, v5, s30
	v_mul_lo_u32 v22, v4, s31
	v_mad_u64_u32 v[20:21], s[4:5], v4, s30, 0
	v_add3_u32 v21, v21, v22, v19
	s_add_u32 s38, s30, -1
	v_lshl_add_u64 v[16:17], v[16:17], 3, s[20:21]
	v_lshl_add_u64 v[20:21], v[20:21], 3, s[20:21]
	s_addc_u32 s39, s31, -1
	s_mov_b64 s[14:15], 0
                                        ; implicit-def: $sgpr36_sgpr37
.LBB807_124:                            ; =>This Inner Loop Header: Depth=1
	global_load_dwordx2 v[22:23], v[16:17], off
	global_load_dwordx2 v[24:25], v[20:21], off
	s_add_u32 s4, s38, -1
	s_addc_u32 s5, s39, -1
	s_cmp_eq_u64 s[38:39], 0
	s_mov_b64 s[38:39], s[4:5]
	s_cselect_b64 s[40:41], -1, 0
	v_lshl_add_u64 v[16:17], v[16:17], 0, 8
	v_lshl_add_u64 v[20:21], v[20:21], 0, 8
	s_waitcnt vmcnt(0)
	v_cmp_neq_f64_e64 s[4:5], v[22:23], v[24:25]
	s_or_b64 s[4:5], s[4:5], s[40:41]
	s_and_b64 s[4:5], exec, s[4:5]
	v_cmp_eq_f64_e32 vcc, v[22:23], v[24:25]
	s_or_b64 s[14:15], s[4:5], s[14:15]
	s_andn2_b64 s[4:5], s[36:37], exec
	s_and_b64 s[36:37], vcc, exec
	s_or_b64 s[36:37], s[4:5], s[36:37]
	s_andn2_b64 exec, exec, s[14:15]
	s_cbranch_execnz .LBB807_124
; %bb.125:
	s_or_b64 exec, exec, s[14:15]
	s_xor_b64 s[4:5], s[36:37], -1
.LBB807_126:
	s_and_b64 s[14:15], s[4:5], exec
.LBB807_127:
	s_or_b64 exec, exec, s[18:19]
	v_add_u32_e32 v16, 4, v1
	v_cmp_gt_u32_e32 vcc, s3, v16
	s_mov_b64 s[18:19], 0
	s_mov_b64 s[36:37], 0
	s_and_saveexec_b64 s[38:39], vcc
	s_cbranch_execz .LBB807_133
; %bb.128:
	s_andn2_b64 vcc, exec, s[12:13]
	s_mov_b64 s[4:5], 0
	s_cbranch_vccnz .LBB807_132
; %bb.129:
	v_mul_lo_u32 v19, v9, s30
	v_mul_lo_u32 v20, v8, s31
	v_mad_u64_u32 v[16:17], s[4:5], v8, s30, 0
	v_add3_u32 v17, v17, v20, v19
	v_mul_lo_u32 v19, v3, s30
	v_mul_lo_u32 v22, v2, s31
	v_mad_u64_u32 v[20:21], s[4:5], v2, s30, 0
	v_add3_u32 v21, v21, v22, v19
	s_add_u32 s42, s30, -1
	v_lshl_add_u64 v[16:17], v[16:17], 3, s[20:21]
	v_lshl_add_u64 v[20:21], v[20:21], 3, s[20:21]
	s_addc_u32 s43, s31, -1
                                        ; implicit-def: $sgpr40_sgpr41
.LBB807_130:                            ; =>This Inner Loop Header: Depth=1
	global_load_dwordx2 v[22:23], v[16:17], off
	global_load_dwordx2 v[24:25], v[20:21], off
	s_add_u32 s4, s42, -1
	s_addc_u32 s5, s43, -1
	s_cmp_eq_u64 s[42:43], 0
	s_mov_b64 s[42:43], s[4:5]
	s_cselect_b64 s[44:45], -1, 0
	v_lshl_add_u64 v[16:17], v[16:17], 0, 8
	v_lshl_add_u64 v[20:21], v[20:21], 0, 8
	s_waitcnt vmcnt(0)
	v_cmp_neq_f64_e64 s[4:5], v[22:23], v[24:25]
	s_or_b64 s[4:5], s[4:5], s[44:45]
	s_and_b64 s[4:5], exec, s[4:5]
	v_cmp_eq_f64_e32 vcc, v[22:23], v[24:25]
	s_or_b64 s[36:37], s[4:5], s[36:37]
	s_andn2_b64 s[4:5], s[40:41], exec
	s_and_b64 s[40:41], vcc, exec
	s_or_b64 s[40:41], s[4:5], s[40:41]
	s_andn2_b64 exec, exec, s[36:37]
	s_cbranch_execnz .LBB807_130
; %bb.131:
	s_or_b64 exec, exec, s[36:37]
	s_xor_b64 s[4:5], s[40:41], -1
.LBB807_132:
	s_and_b64 s[36:37], s[4:5], exec
.LBB807_133:
	s_or_b64 exec, exec, s[38:39]
	v_add_u32_e32 v16, 3, v1
	v_cmp_gt_u32_e32 vcc, s3, v16
	s_and_saveexec_b64 s[38:39], vcc
	s_cbranch_execz .LBB807_139
; %bb.134:
	s_andn2_b64 vcc, exec, s[12:13]
	s_mov_b64 s[4:5], 0
	s_cbranch_vccnz .LBB807_138
; %bb.135:
	v_mul_lo_u32 v19, v7, s30
	v_mul_lo_u32 v20, v6, s31
	v_mad_u64_u32 v[16:17], s[4:5], v6, s30, 0
	v_add3_u32 v17, v17, v20, v19
	v_mul_lo_u32 v19, v9, s30
	v_mul_lo_u32 v22, v8, s31
	v_mad_u64_u32 v[20:21], s[4:5], v8, s30, 0
	v_add3_u32 v21, v21, v22, v19
	s_add_u32 s42, s30, -1
	v_lshl_add_u64 v[16:17], v[16:17], 3, s[20:21]
	v_lshl_add_u64 v[20:21], v[20:21], 3, s[20:21]
	s_addc_u32 s43, s31, -1
	s_mov_b64 s[18:19], 0
                                        ; implicit-def: $sgpr40_sgpr41
.LBB807_136:                            ; =>This Inner Loop Header: Depth=1
	global_load_dwordx2 v[22:23], v[16:17], off
	global_load_dwordx2 v[24:25], v[20:21], off
	s_add_u32 s4, s42, -1
	s_addc_u32 s5, s43, -1
	s_cmp_eq_u64 s[42:43], 0
	s_mov_b64 s[42:43], s[4:5]
	s_cselect_b64 s[44:45], -1, 0
	v_lshl_add_u64 v[16:17], v[16:17], 0, 8
	v_lshl_add_u64 v[20:21], v[20:21], 0, 8
	s_waitcnt vmcnt(0)
	v_cmp_neq_f64_e64 s[4:5], v[22:23], v[24:25]
	s_or_b64 s[4:5], s[4:5], s[44:45]
	s_and_b64 s[4:5], exec, s[4:5]
	v_cmp_eq_f64_e32 vcc, v[22:23], v[24:25]
	s_or_b64 s[18:19], s[4:5], s[18:19]
	s_andn2_b64 s[4:5], s[40:41], exec
	s_and_b64 s[40:41], vcc, exec
	s_or_b64 s[40:41], s[4:5], s[40:41]
	s_andn2_b64 exec, exec, s[18:19]
	s_cbranch_execnz .LBB807_136
; %bb.137:
	s_or_b64 exec, exec, s[18:19]
	s_xor_b64 s[4:5], s[40:41], -1
.LBB807_138:
	s_and_b64 s[18:19], s[4:5], exec
.LBB807_139:
	s_or_b64 exec, exec, s[38:39]
	v_add_u32_e32 v16, 2, v1
	v_cmp_gt_u32_e32 vcc, s3, v16
	s_mov_b64 s[38:39], 0
	s_mov_b64 s[40:41], 0
	s_and_saveexec_b64 s[42:43], vcc
	s_cbranch_execz .LBB807_145
; %bb.140:
	s_andn2_b64 vcc, exec, s[12:13]
	s_mov_b64 s[4:5], 0
	s_cbranch_vccnz .LBB807_144
; %bb.141:
	v_mul_lo_u32 v19, v13, s30
	v_mul_lo_u32 v20, v12, s31
	v_mad_u64_u32 v[16:17], s[4:5], v12, s30, 0
	v_add3_u32 v17, v17, v20, v19
	v_mul_lo_u32 v19, v7, s30
	v_mul_lo_u32 v22, v6, s31
	v_mad_u64_u32 v[20:21], s[4:5], v6, s30, 0
	v_add3_u32 v21, v21, v22, v19
	s_add_u32 s46, s30, -1
	v_lshl_add_u64 v[16:17], v[16:17], 3, s[20:21]
	v_lshl_add_u64 v[20:21], v[20:21], 3, s[20:21]
	s_addc_u32 s47, s31, -1
                                        ; implicit-def: $sgpr44_sgpr45
.LBB807_142:                            ; =>This Inner Loop Header: Depth=1
	global_load_dwordx2 v[22:23], v[16:17], off
	global_load_dwordx2 v[24:25], v[20:21], off
	s_add_u32 s4, s46, -1
	s_addc_u32 s5, s47, -1
	s_cmp_eq_u64 s[46:47], 0
	s_mov_b64 s[46:47], s[4:5]
	s_cselect_b64 s[48:49], -1, 0
	v_lshl_add_u64 v[16:17], v[16:17], 0, 8
	v_lshl_add_u64 v[20:21], v[20:21], 0, 8
	s_waitcnt vmcnt(0)
	v_cmp_neq_f64_e64 s[4:5], v[22:23], v[24:25]
	s_or_b64 s[4:5], s[4:5], s[48:49]
	s_and_b64 s[4:5], exec, s[4:5]
	v_cmp_eq_f64_e32 vcc, v[22:23], v[24:25]
	s_or_b64 s[40:41], s[4:5], s[40:41]
	s_andn2_b64 s[4:5], s[44:45], exec
	s_and_b64 s[44:45], vcc, exec
	s_or_b64 s[44:45], s[4:5], s[44:45]
	s_andn2_b64 exec, exec, s[40:41]
	s_cbranch_execnz .LBB807_142
; %bb.143:
	s_or_b64 exec, exec, s[40:41]
	s_xor_b64 s[4:5], s[44:45], -1
.LBB807_144:
	s_and_b64 s[40:41], s[4:5], exec
.LBB807_145:
	s_or_b64 exec, exec, s[42:43]
	v_add_u32_e32 v16, 1, v1
	v_cmp_gt_u32_e32 vcc, s3, v16
	s_and_saveexec_b64 s[42:43], vcc
	s_cbranch_execz .LBB807_151
; %bb.146:
	s_andn2_b64 vcc, exec, s[12:13]
	s_mov_b64 s[4:5], 0
	s_cbranch_vccnz .LBB807_150
; %bb.147:
	v_mul_lo_u32 v19, v11, s30
	v_mul_lo_u32 v20, v10, s31
	v_mad_u64_u32 v[16:17], s[4:5], v10, s30, 0
	v_add3_u32 v17, v17, v20, v19
	v_mul_lo_u32 v19, v13, s30
	v_mul_lo_u32 v22, v12, s31
	v_mad_u64_u32 v[20:21], s[4:5], v12, s30, 0
	v_add3_u32 v21, v21, v22, v19
	s_add_u32 s46, s30, -1
	v_lshl_add_u64 v[16:17], v[16:17], 3, s[20:21]
	v_lshl_add_u64 v[20:21], v[20:21], 3, s[20:21]
	s_addc_u32 s47, s31, -1
	s_mov_b64 s[38:39], 0
                                        ; implicit-def: $sgpr44_sgpr45
.LBB807_148:                            ; =>This Inner Loop Header: Depth=1
	global_load_dwordx2 v[22:23], v[16:17], off
	global_load_dwordx2 v[24:25], v[20:21], off
	s_add_u32 s4, s46, -1
	s_addc_u32 s5, s47, -1
	s_cmp_eq_u64 s[46:47], 0
	s_mov_b64 s[46:47], s[4:5]
	s_cselect_b64 s[48:49], -1, 0
	v_lshl_add_u64 v[16:17], v[16:17], 0, 8
	v_lshl_add_u64 v[20:21], v[20:21], 0, 8
	s_waitcnt vmcnt(0)
	v_cmp_neq_f64_e64 s[4:5], v[22:23], v[24:25]
	s_or_b64 s[4:5], s[4:5], s[48:49]
	s_and_b64 s[4:5], exec, s[4:5]
	v_cmp_eq_f64_e32 vcc, v[22:23], v[24:25]
	s_or_b64 s[38:39], s[4:5], s[38:39]
	s_andn2_b64 s[4:5], s[44:45], exec
	s_and_b64 s[44:45], vcc, exec
	s_or_b64 s[44:45], s[4:5], s[44:45]
	s_andn2_b64 exec, exec, s[38:39]
	s_cbranch_execnz .LBB807_148
; %bb.149:
	s_or_b64 exec, exec, s[38:39]
	s_xor_b64 s[4:5], s[44:45], -1
.LBB807_150:
	s_and_b64 s[38:39], s[4:5], exec
.LBB807_151:
	s_or_b64 exec, exec, s[42:43]
	v_cndmask_b32_e64 v17, 0, 1, s[36:37]
	v_cndmask_b32_e64 v40, 0, 1, s[14:15]
	;; [unrolled: 1-line block ×6, first 2 shown]
	v_mov_b32_e32 v16, 1
	v_cmp_ne_u32_e32 vcc, 0, v0
	s_waitcnt lgkmcnt(0)
	s_barrier
                                        ; implicit-def: $sgpr6_sgpr7
                                        ; implicit-def: $vgpr21
	s_and_saveexec_b64 s[14:15], vcc
	s_cbranch_execz .LBB807_159
; %bb.152:
	v_lshlrev_b16_e32 v21, 8, v42
	v_lshlrev_b16_e32 v22, 8, v20
	v_or_b32_e32 v21, 1, v21
	v_or_b32_sdwa v22, v41, v22 dst_sel:WORD_1 dst_unused:UNUSED_PAD src0_sel:DWORD src1_sel:DWORD
	v_cmp_gt_u32_e32 vcc, s3, v1
	v_or_b32_sdwa v21, v21, v22 dst_sel:DWORD dst_unused:UNUSED_PAD src0_sel:WORD_0 src1_sel:DWORD
	s_mov_b32 s33, 0x3020104
	s_mov_b64 s[6:7], 0
	s_and_saveexec_b64 s[18:19], vcc
	s_cbranch_execz .LBB807_158
; %bb.153:
	s_andn2_b64 vcc, exec, s[12:13]
	s_mov_b64 s[4:5], 0
	s_cbranch_vccnz .LBB807_157
; %bb.154:
	v_add_u32_e32 v22, -8, v26
	ds_read_b64 v[22:23], v22
	v_mul_lo_u32 v26, v11, s30
	v_mul_lo_u32 v27, v10, s31
                                        ; implicit-def: $sgpr12_sgpr13
	s_waitcnt lgkmcnt(0)
	v_mul_lo_u32 v24, v23, s30
	v_mul_lo_u32 v25, v22, s31
	v_mad_u64_u32 v[22:23], s[4:5], v22, s30, 0
	v_add3_u32 v23, v23, v25, v24
	v_mad_u64_u32 v[24:25], s[4:5], v10, s30, 0
	v_add3_u32 v25, v25, v27, v26
	v_lshl_add_u64 v[22:23], v[22:23], 3, s[20:21]
	v_lshl_add_u64 v[24:25], v[24:25], 3, s[20:21]
	s_add_u32 s20, s30, -1
	s_addc_u32 s21, s31, -1
.LBB807_155:                            ; =>This Inner Loop Header: Depth=1
	global_load_dwordx2 v[26:27], v[22:23], off
	global_load_dwordx2 v[28:29], v[24:25], off
	s_add_u32 s4, s20, -1
	s_addc_u32 s5, s21, -1
	s_cmp_eq_u64 s[20:21], 0
	s_mov_b64 s[20:21], s[4:5]
	s_cselect_b64 s[30:31], -1, 0
	v_lshl_add_u64 v[22:23], v[22:23], 0, 8
	v_lshl_add_u64 v[24:25], v[24:25], 0, 8
	s_waitcnt vmcnt(0)
	v_cmp_neq_f64_e64 s[4:5], v[26:27], v[28:29]
	s_or_b64 s[4:5], s[4:5], s[30:31]
	s_and_b64 s[4:5], exec, s[4:5]
	v_cmp_eq_f64_e32 vcc, v[26:27], v[28:29]
	s_or_b64 s[6:7], s[4:5], s[6:7]
	s_andn2_b64 s[4:5], s[12:13], exec
	s_and_b64 s[12:13], vcc, exec
	s_or_b64 s[12:13], s[4:5], s[12:13]
	s_andn2_b64 exec, exec, s[6:7]
	s_cbranch_execnz .LBB807_155
; %bb.156:
	s_or_b64 exec, exec, s[6:7]
	s_xor_b64 s[4:5], s[12:13], -1
.LBB807_157:
	s_and_b64 s[6:7], s[4:5], exec
.LBB807_158:
	s_or_b64 exec, exec, s[18:19]
	v_perm_b32 v21, v21, v21, s33
	s_or_b64 s[10:11], s[10:11], exec
.LBB807_159:
	s_or_b64 exec, exec, s[14:15]
.LBB807_160:
	s_and_saveexec_b64 s[4:5], s[10:11]
; %bb.161:
	v_lshrrev_b32_e32 v20, 24, v21
	v_lshrrev_b32_e32 v41, 16, v21
	;; [unrolled: 1-line block ×3, first 2 shown]
	v_cndmask_b32_e64 v16, 0, 1, s[6:7]
; %bb.162:
	s_or_b64 exec, exec, s[4:5]
	s_andn2_b64 vcc, exec, s[8:9]
	s_cbranch_vccnz .LBB807_166
; %bb.163:
	s_mov_b32 s4, 0xc0c0004
	v_perm_b32 v20, v41, v20, s4
	v_perm_b32 v16, v16, v42, s4
	v_lshlrev_b32_e32 v20, 16, v20
	v_or_b32_e32 v16, v16, v20
	v_cmp_gt_u32_e32 vcc, s3, v1
	v_add_u32_e32 v22, 1, v1
	v_perm_b32 v17, v17, v40, s4
	v_cndmask_b32_e32 v20, v20, v16, vcc
	v_and_b32_e32 v20, 0xffff00ff, v20
	v_cmp_gt_u32_e32 vcc, s3, v22
	v_add_u32_e32 v22, 2, v1
	s_mov_b32 s4, 0x40c0100
	v_cndmask_b32_e32 v20, v20, v16, vcc
	v_lshrrev_b32_e32 v23, 24, v20
	v_and_b32_e32 v19, 0xff, v19
	v_perm_b32 v20, v23, v20, s4
	v_cmp_gt_u32_e32 vcc, s3, v22
	v_lshlrev_b32_e32 v19, 16, v19
	v_add_u32_e32 v22, 3, v1
	v_cndmask_b32_e32 v20, v20, v16, vcc
	s_mov_b32 s4, 0xffff00
	v_or_b32_e32 v21, v17, v19
	v_and_b32_e32 v20, 0xffffff, v20
	v_cmp_gt_u32_e32 vcc, s3, v22
	v_bitop3_b32 v17, v17, s4, v19 bitop3:0xc8
	v_add_u32_e32 v19, 4, v1
	v_cndmask_b32_e32 v20, v20, v16, vcc
	v_cmp_gt_u32_e32 vcc, s3, v19
	v_add_u32_e32 v19, 5, v1
	v_cmp_gt_u32_e64 s[4:5], s3, v19
	v_cndmask_b32_e32 v17, v17, v21, vcc
	v_and_b32_e32 v17, 0xffff00ff, v17
	s_or_b64 vcc, s[4:5], vcc
	v_cndmask_b32_e64 v17, v17, v21, s[4:5]
	v_cndmask_b32_e32 v16, v20, v16, vcc
	v_add_u32_e32 v1, 6, v1
	v_lshrrev_b32_e32 v41, 16, v16
	v_lshrrev_b32_e32 v42, 8, v16
	v_lshrrev_b64 v[20:21], 24, v[16:17]
	v_lshrrev_b32_e32 v19, 16, v17
	v_lshrrev_b32_e32 v40, 8, v17
	v_cmp_le_u32_e32 vcc, s3, v1
	s_and_saveexec_b64 s[4:5], vcc
; %bb.164:
	v_mov_b32_e32 v19, 0
; %bb.165:
	s_or_b64 exec, exec, s[4:5]
.LBB807_166:
	v_and_b32_e32 v1, 0xff, v16
	v_and_b32_e32 v21, 0xff, v42
	;; [unrolled: 1-line block ×5, first 2 shown]
	v_add3_u32 v23, v21, v1, v33
	v_and_b32_e32 v39, 0xff, v40
	v_and_b32_e32 v22, 0xff, v19
	v_add3_u32 v23, v23, v35, v37
	v_add3_u32 v45, v23, v39, v22
	v_mbcnt_lo_u32_b32 v22, -1, 0
	v_mbcnt_hi_u32_b32 v43, -1, v22
	v_and_b32_e32 v22, 15, v43
	v_cmp_eq_u32_e64 s[14:15], 0, v22
	v_cmp_lt_u32_e64 s[12:13], 1, v22
	v_cmp_lt_u32_e64 s[10:11], 3, v22
	;; [unrolled: 1-line block ×3, first 2 shown]
	v_and_b32_e32 v22, 16, v43
	v_cmp_eq_u32_e64 s[6:7], 0, v22
	v_or_b32_e32 v22, 63, v0
	v_cmp_lt_u32_e64 s[18:19], 31, v43
	v_lshrrev_b32_e32 v44, 6, v0
	v_cmp_eq_u32_e64 s[4:5], v0, v22
	s_and_b64 vcc, exec, s[16:17]
	s_waitcnt lgkmcnt(0)
	s_barrier
	s_cbranch_vccz .LBB807_188
; %bb.167:
	v_mov_b32_dpp v22, v45 row_shr:1 row_mask:0xf bank_mask:0xf
	v_cndmask_b32_e64 v22, v22, 0, s[14:15]
	v_add_u32_e32 v22, v22, v45
	s_nop 1
	v_mov_b32_dpp v23, v22 row_shr:2 row_mask:0xf bank_mask:0xf
	v_cndmask_b32_e64 v23, 0, v23, s[12:13]
	v_add_u32_e32 v22, v22, v23
	s_nop 1
	;; [unrolled: 4-line block ×4, first 2 shown]
	v_mov_b32_dpp v23, v22 row_bcast:15 row_mask:0xf bank_mask:0xf
	v_cndmask_b32_e64 v23, v23, 0, s[6:7]
	v_add_u32_e32 v22, v22, v23
	s_nop 1
	v_mov_b32_dpp v23, v22 row_bcast:31 row_mask:0xf bank_mask:0xf
	v_cndmask_b32_e64 v23, 0, v23, s[18:19]
	v_add_u32_e32 v22, v22, v23
	s_and_saveexec_b64 s[16:17], s[4:5]
; %bb.168:
	v_lshlrev_b32_e32 v23, 2, v44
	ds_write_b32 v23, v22
; %bb.169:
	s_or_b64 exec, exec, s[16:17]
	v_cmp_gt_u32_e32 vcc, 8, v0
	s_waitcnt lgkmcnt(0)
	s_barrier
	s_and_saveexec_b64 s[16:17], vcc
	s_cbranch_execz .LBB807_171
; %bb.170:
	v_lshlrev_b32_e32 v23, 2, v0
	ds_read_b32 v24, v23
	v_and_b32_e32 v25, 7, v43
	v_cmp_ne_u32_e32 vcc, 0, v25
	s_waitcnt lgkmcnt(0)
	v_mov_b32_dpp v26, v24 row_shr:1 row_mask:0xf bank_mask:0xf
	v_cndmask_b32_e32 v26, 0, v26, vcc
	v_add_u32_e32 v24, v26, v24
	v_cmp_lt_u32_e32 vcc, 1, v25
	s_nop 0
	v_mov_b32_dpp v26, v24 row_shr:2 row_mask:0xf bank_mask:0xf
	v_cndmask_b32_e32 v26, 0, v26, vcc
	v_add_u32_e32 v24, v24, v26
	v_cmp_lt_u32_e32 vcc, 3, v25
	s_nop 0
	v_mov_b32_dpp v26, v24 row_shr:4 row_mask:0xf bank_mask:0xf
	v_cndmask_b32_e32 v25, 0, v26, vcc
	v_add_u32_e32 v24, v24, v25
	ds_write_b32 v23, v24
.LBB807_171:
	s_or_b64 exec, exec, s[16:17]
	v_cmp_gt_u32_e32 vcc, 64, v0
	v_cmp_lt_u32_e64 s[16:17], 63, v0
	s_waitcnt lgkmcnt(0)
	s_barrier
                                        ; implicit-def: $vgpr32
	s_and_saveexec_b64 s[20:21], s[16:17]
	s_cbranch_execz .LBB807_173
; %bb.172:
	v_lshl_add_u32 v23, v44, 2, -4
	ds_read_b32 v32, v23
	s_waitcnt lgkmcnt(0)
	v_add_u32_e32 v22, v32, v22
.LBB807_173:
	s_or_b64 exec, exec, s[20:21]
	v_subrev_co_u32_e64 v23, s[16:17], 1, v43
	v_and_b32_e32 v24, 64, v43
	v_cmp_lt_i32_e64 s[20:21], v23, v24
	s_nop 1
	v_cndmask_b32_e64 v23, v23, v43, s[20:21]
	v_lshlrev_b32_e32 v23, 2, v23
	ds_bpermute_b32 v34, v23, v22
	s_and_saveexec_b64 s[20:21], vcc
	s_cbranch_execz .LBB807_193
; %bb.174:
	v_mov_b32_e32 v29, 0
	ds_read_b32 v22, v29 offset:28
	s_and_saveexec_b64 s[30:31], s[16:17]
	s_cbranch_execz .LBB807_176
; %bb.175:
	s_add_i32 s36, s2, 64
	s_mov_b32 s37, 0
	s_lshl_b64 s[36:37], s[36:37], 3
	s_add_u32 s36, s22, s36
	v_mov_b32_e32 v23, 1
	s_addc_u32 s37, s23, s37
	s_waitcnt lgkmcnt(0)
	global_store_dwordx2 v29, v[22:23], s[36:37] sc1
.LBB807_176:
	s_or_b64 exec, exec, s[30:31]
	v_xad_u32 v24, v43, -1, s2
	v_add_u32_e32 v28, 64, v24
	v_lshl_add_u64 v[30:31], v[28:29], 3, s[22:23]
	global_load_dwordx2 v[26:27], v[30:31], off sc1
	s_waitcnt vmcnt(0)
	v_cmp_eq_u16_sdwa s[36:37], v27, v29 src0_sel:BYTE_0 src1_sel:DWORD
	s_and_saveexec_b64 s[30:31], s[36:37]
	s_cbranch_execz .LBB807_180
; %bb.177:
	s_mov_b64 s[36:37], 0
	v_mov_b32_e32 v23, 0
.LBB807_178:                            ; =>This Inner Loop Header: Depth=1
	global_load_dwordx2 v[26:27], v[30:31], off sc1
	s_waitcnt vmcnt(0)
	v_cmp_ne_u16_sdwa s[38:39], v27, v23 src0_sel:BYTE_0 src1_sel:DWORD
	s_or_b64 s[36:37], s[38:39], s[36:37]
	s_andn2_b64 exec, exec, s[36:37]
	s_cbranch_execnz .LBB807_178
; %bb.179:
	s_or_b64 exec, exec, s[36:37]
.LBB807_180:
	s_or_b64 exec, exec, s[30:31]
	v_and_b32_e32 v38, 63, v43
	v_mov_b32_e32 v36, 2
	v_cmp_ne_u32_e32 vcc, 63, v38
	v_cmp_eq_u16_sdwa s[30:31], v27, v36 src0_sel:BYTE_0 src1_sel:DWORD
	v_lshlrev_b64 v[28:29], v43, -1
	v_addc_co_u32_e32 v30, vcc, 0, v43, vcc
	v_and_b32_e32 v23, s31, v29
	v_lshlrev_b32_e32 v46, 2, v30
	v_or_b32_e32 v23, 0x80000000, v23
	ds_bpermute_b32 v30, v46, v26
	v_and_b32_e32 v25, s30, v28
	v_ffbl_b32_e32 v23, v23
	v_add_u32_e32 v23, 32, v23
	v_ffbl_b32_e32 v25, v25
	v_min_u32_e32 v23, v25, v23
	v_cmp_lt_u32_e32 vcc, v38, v23
	v_add_u32_e32 v48, 2, v38
	v_add_u32_e32 v50, 4, v38
	s_waitcnt lgkmcnt(0)
	v_cndmask_b32_e32 v25, 0, v30, vcc
	v_cmp_gt_u32_e32 vcc, 62, v38
	v_add_u32_e32 v25, v25, v26
	v_add_u32_e32 v52, 8, v38
	v_cndmask_b32_e64 v26, 0, 2, vcc
	v_add_lshl_u32 v47, v26, v43, 2
	ds_bpermute_b32 v26, v47, v25
	v_cmp_le_u32_e32 vcc, v48, v23
	v_add_u32_e32 v54, 16, v38
	v_add_u32_e32 v56, 32, v38
	s_waitcnt lgkmcnt(0)
	v_cndmask_b32_e32 v26, 0, v26, vcc
	v_cmp_gt_u32_e32 vcc, 60, v38
	v_add_u32_e32 v25, v25, v26
	s_nop 0
	v_cndmask_b32_e64 v26, 0, 4, vcc
	v_add_lshl_u32 v49, v26, v43, 2
	ds_bpermute_b32 v26, v49, v25
	v_cmp_le_u32_e32 vcc, v50, v23
	s_waitcnt lgkmcnt(0)
	s_nop 0
	v_cndmask_b32_e32 v26, 0, v26, vcc
	v_cmp_gt_u32_e32 vcc, 56, v38
	v_add_u32_e32 v25, v25, v26
	s_nop 0
	v_cndmask_b32_e64 v26, 0, 8, vcc
	v_add_lshl_u32 v51, v26, v43, 2
	ds_bpermute_b32 v26, v51, v25
	v_cmp_le_u32_e32 vcc, v52, v23
	s_waitcnt lgkmcnt(0)
	s_nop 0
	;; [unrolled: 10-line block ×3, first 2 shown]
	v_cndmask_b32_e32 v26, 0, v26, vcc
	v_add_u32_e32 v25, v25, v26
	v_mov_b32_e32 v26, 0x80
	v_lshl_or_b32 v55, v43, 2, v26
	ds_bpermute_b32 v26, v55, v25
	v_cmp_le_u32_e32 vcc, v56, v23
	s_waitcnt lgkmcnt(0)
	s_nop 0
	v_cndmask_b32_e32 v23, 0, v26, vcc
	v_add_u32_e32 v26, v25, v23
	v_mov_b32_e32 v25, 0
	s_branch .LBB807_183
.LBB807_181:                            ;   in Loop: Header=BB807_183 Depth=1
	s_or_b64 exec, exec, s[30:31]
	v_cmp_eq_u16_sdwa s[30:31], v27, v36 src0_sel:BYTE_0 src1_sel:DWORD
	ds_bpermute_b32 v57, v46, v26
	v_subrev_u32_e32 v24, 64, v24
	v_and_b32_e32 v30, s31, v29
	v_or_b32_e32 v30, 0x80000000, v30
	v_and_b32_e32 v31, s30, v28
	v_ffbl_b32_e32 v30, v30
	v_add_u32_e32 v30, 32, v30
	v_ffbl_b32_e32 v31, v31
	v_min_u32_e32 v30, v31, v30
	v_cmp_lt_u32_e32 vcc, v38, v30
	s_mov_b64 s[30:31], 0
	s_waitcnt lgkmcnt(0)
	v_cndmask_b32_e32 v31, 0, v57, vcc
	v_add_u32_e32 v26, v31, v26
	ds_bpermute_b32 v31, v47, v26
	v_cmp_le_u32_e32 vcc, v48, v30
	s_waitcnt lgkmcnt(0)
	s_nop 0
	v_cndmask_b32_e32 v31, 0, v31, vcc
	v_add_u32_e32 v26, v26, v31
	ds_bpermute_b32 v31, v49, v26
	v_cmp_le_u32_e32 vcc, v50, v30
	s_waitcnt lgkmcnt(0)
	s_nop 0
	;; [unrolled: 6-line block ×5, first 2 shown]
	v_cndmask_b32_e32 v30, 0, v31, vcc
	v_add3_u32 v26, v30, v23, v26
.LBB807_182:                            ;   in Loop: Header=BB807_183 Depth=1
	s_and_b64 vcc, exec, s[30:31]
	s_cbranch_vccnz .LBB807_189
.LBB807_183:                            ; =>This Loop Header: Depth=1
                                        ;     Child Loop BB807_186 Depth 2
	v_cmp_ne_u16_sdwa s[30:31], v27, v36 src0_sel:BYTE_0 src1_sel:DWORD
	v_mov_b32_e32 v23, v26
	s_cmp_lg_u64 s[30:31], exec
	s_mov_b64 s[30:31], -1
                                        ; implicit-def: $vgpr26
                                        ; implicit-def: $vgpr27
	s_cbranch_scc1 .LBB807_182
; %bb.184:                              ;   in Loop: Header=BB807_183 Depth=1
	v_lshl_add_u64 v[30:31], v[24:25], 3, s[22:23]
	global_load_dwordx2 v[26:27], v[30:31], off sc1
	s_waitcnt vmcnt(0)
	v_cmp_eq_u16_sdwa s[36:37], v27, v25 src0_sel:BYTE_0 src1_sel:DWORD
	s_and_saveexec_b64 s[30:31], s[36:37]
	s_cbranch_execz .LBB807_181
; %bb.185:                              ;   in Loop: Header=BB807_183 Depth=1
	s_mov_b64 s[36:37], 0
.LBB807_186:                            ;   Parent Loop BB807_183 Depth=1
                                        ; =>  This Inner Loop Header: Depth=2
	global_load_dwordx2 v[26:27], v[30:31], off sc1
	s_waitcnt vmcnt(0)
	v_cmp_ne_u16_sdwa s[38:39], v27, v25 src0_sel:BYTE_0 src1_sel:DWORD
	s_or_b64 s[36:37], s[38:39], s[36:37]
	s_andn2_b64 exec, exec, s[36:37]
	s_cbranch_execnz .LBB807_186
; %bb.187:                              ;   in Loop: Header=BB807_183 Depth=1
	s_or_b64 exec, exec, s[36:37]
	s_branch .LBB807_181
.LBB807_188:
                                        ; implicit-def: $vgpr26
                                        ; implicit-def: $vgpr28
                                        ; implicit-def: $vgpr30
                                        ; implicit-def: $vgpr32
                                        ; implicit-def: $vgpr34
                                        ; implicit-def: $vgpr36
                                        ; implicit-def: $vgpr38
                                        ; implicit-def: $vgpr24
                                        ; implicit-def: $vgpr22
	s_load_dwordx2 s[2:3], s[0:1], 0x28
	s_cbranch_execnz .LBB807_194
	s_branch .LBB807_203
.LBB807_189:
	s_and_saveexec_b64 s[30:31], s[16:17]
	s_cbranch_execz .LBB807_191
; %bb.190:
	s_add_i32 s2, s2, 64
	s_mov_b32 s3, 0
	s_lshl_b64 s[2:3], s[2:3], 3
	s_add_u32 s2, s22, s2
	v_add_u32_e32 v24, v23, v22
	v_mov_b32_e32 v25, 2
	s_addc_u32 s3, s23, s3
	v_mov_b32_e32 v26, 0
	global_store_dwordx2 v26, v[24:25], s[2:3] sc1
	ds_write_b64 v26, v[22:23] offset:28672
.LBB807_191:
	s_or_b64 exec, exec, s[30:31]
	v_cmp_eq_u32_e32 vcc, 0, v0
	s_and_b64 exec, exec, vcc
; %bb.192:
	v_mov_b32_e32 v22, 0
	ds_write_b32 v22, v23 offset:28
.LBB807_193:
	s_or_b64 exec, exec, s[20:21]
	v_mov_b32_e32 v22, 0
	s_waitcnt lgkmcnt(0)
	s_barrier
	ds_read_b32 v23, v22 offset:28
	v_cndmask_b32_e64 v24, v34, v32, s[16:17]
	v_cmp_ne_u32_e32 vcc, 0, v0
	s_waitcnt lgkmcnt(0)
	s_barrier
	v_cndmask_b32_e32 v24, 0, v24, vcc
	v_add_u32_e32 v38, v23, v24
	v_add_u32_e32 v36, v38, v1
	ds_read_b64 v[22:23], v22 offset:28672
	v_add_u32_e32 v34, v36, v21
	v_add_u32_e32 v32, v34, v33
	;; [unrolled: 1-line block ×5, first 2 shown]
	s_waitcnt lgkmcnt(0)
	v_mov_b32_e32 v24, v23
	s_load_dwordx2 s[2:3], s[0:1], 0x28
	s_branch .LBB807_203
.LBB807_194:
	v_mov_b32_dpp v22, v45 row_shr:1 row_mask:0xf bank_mask:0xf
	v_cndmask_b32_e64 v22, v22, 0, s[14:15]
	v_add_u32_e32 v22, v22, v45
	s_nop 1
	v_mov_b32_dpp v23, v22 row_shr:2 row_mask:0xf bank_mask:0xf
	v_cndmask_b32_e64 v23, 0, v23, s[12:13]
	v_add_u32_e32 v22, v22, v23
	s_nop 1
	;; [unrolled: 4-line block ×4, first 2 shown]
	v_mov_b32_dpp v23, v22 row_bcast:15 row_mask:0xf bank_mask:0xf
	v_cndmask_b32_e64 v23, v23, 0, s[6:7]
	v_add_u32_e32 v22, v22, v23
	s_nop 1
	v_mov_b32_dpp v23, v22 row_bcast:31 row_mask:0xf bank_mask:0xf
	v_cndmask_b32_e64 v23, 0, v23, s[18:19]
	v_add_u32_e32 v22, v22, v23
	s_and_saveexec_b64 s[0:1], s[4:5]
; %bb.195:
	v_lshlrev_b32_e32 v23, 2, v44
	ds_write_b32 v23, v22
; %bb.196:
	s_or_b64 exec, exec, s[0:1]
	v_cmp_gt_u32_e32 vcc, 8, v0
	s_waitcnt lgkmcnt(0)
	s_barrier
	s_and_saveexec_b64 s[0:1], vcc
	s_cbranch_execz .LBB807_198
; %bb.197:
	v_lshlrev_b32_e32 v23, 2, v0
	ds_read_b32 v24, v23
	v_and_b32_e32 v25, 7, v43
	v_cmp_ne_u32_e32 vcc, 0, v25
	s_waitcnt lgkmcnt(0)
	v_mov_b32_dpp v26, v24 row_shr:1 row_mask:0xf bank_mask:0xf
	v_cndmask_b32_e32 v26, 0, v26, vcc
	v_add_u32_e32 v24, v26, v24
	v_cmp_lt_u32_e32 vcc, 1, v25
	s_nop 0
	v_mov_b32_dpp v26, v24 row_shr:2 row_mask:0xf bank_mask:0xf
	v_cndmask_b32_e32 v26, 0, v26, vcc
	v_add_u32_e32 v24, v24, v26
	v_cmp_lt_u32_e32 vcc, 3, v25
	s_nop 0
	v_mov_b32_dpp v26, v24 row_shr:4 row_mask:0xf bank_mask:0xf
	v_cndmask_b32_e32 v25, 0, v26, vcc
	v_add_u32_e32 v24, v24, v25
	ds_write_b32 v23, v24
.LBB807_198:
	s_or_b64 exec, exec, s[0:1]
	v_cmp_lt_u32_e32 vcc, 63, v0
	v_mov_b32_e32 v23, 0
	v_mov_b32_e32 v24, 0
	s_waitcnt lgkmcnt(0)
	s_barrier
	s_and_saveexec_b64 s[0:1], vcc
; %bb.199:
	v_lshl_add_u32 v24, v44, 2, -4
	ds_read_b32 v24, v24
; %bb.200:
	s_or_b64 exec, exec, s[0:1]
	v_subrev_co_u32_e32 v25, vcc, 1, v43
	v_and_b32_e32 v26, 64, v43
	v_cmp_lt_i32_e64 s[0:1], v25, v26
	s_waitcnt lgkmcnt(0)
	v_add_u32_e32 v22, v24, v22
	v_cndmask_b32_e64 v25, v25, v43, s[0:1]
	v_lshlrev_b32_e32 v25, 2, v25
	ds_bpermute_b32 v25, v25, v22
	ds_read_b32 v22, v23 offset:28
	v_cmp_eq_u32_e64 s[0:1], 0, v0
	s_and_saveexec_b64 s[4:5], s[0:1]
	s_cbranch_execz .LBB807_202
; %bb.201:
	v_mov_b32_e32 v26, 0
	v_mov_b32_e32 v23, 2
	s_waitcnt lgkmcnt(0)
	global_store_dwordx2 v26, v[22:23], s[22:23] offset:512 sc1
.LBB807_202:
	s_or_b64 exec, exec, s[4:5]
	s_waitcnt lgkmcnt(1)
	v_cndmask_b32_e32 v23, v25, v24, vcc
	v_cndmask_b32_e64 v38, v23, 0, s[0:1]
	v_add_u32_e32 v36, v38, v1
	v_add_u32_e32 v34, v36, v21
	;; [unrolled: 1-line block ×6, first 2 shown]
	s_waitcnt lgkmcnt(0)
	s_barrier
	v_mov_b32_e32 v24, 0
.LBB807_203:
	s_movk_i32 s0, 0x201
	v_cmp_gt_u32_e32 vcc, s0, v22
	v_and_b32_e32 v1, 1, v16
	s_mov_b64 s[4:5], -1
	v_cmp_eq_u32_e64 s[0:1], 1, v1
	s_cbranch_vccnz .LBB807_207
; %bb.204:
	s_and_b64 vcc, exec, s[4:5]
	s_cbranch_vccnz .LBB807_222
.LBB807_205:
	v_cmp_eq_u32_e32 vcc, 0, v0
	s_and_b64 s[0:1], vcc, s[28:29]
	s_waitcnt lgkmcnt(0)
	s_and_saveexec_b64 s[2:3], s[0:1]
	s_cbranch_execnz .LBB807_239
.LBB807_206:
	s_endpgm
.LBB807_207:
	v_add_u32_e32 v16, v24, v22
	v_cmp_lt_u32_e32 vcc, v38, v16
	s_or_b64 s[4:5], s[34:35], vcc
	s_and_b64 s[4:5], s[4:5], s[0:1]
	s_and_saveexec_b64 s[0:1], s[4:5]
	s_cbranch_execz .LBB807_209
; %bb.208:
	s_lshl_b64 s[4:5], s[26:27], 3
	s_waitcnt lgkmcnt(0)
	s_add_u32 s4, s2, s4
	s_addc_u32 s5, s3, s5
	v_mov_b32_e32 v39, 0
	v_lshl_add_u64 v[44:45], v[38:39], 3, s[4:5]
	global_store_dwordx2 v[44:45], v[10:11], off
.LBB807_209:
	s_or_b64 exec, exec, s[0:1]
	v_cmp_lt_u32_e32 vcc, v36, v16
	v_and_b32_e32 v21, 1, v42
	s_or_b64 s[0:1], s[34:35], vcc
	v_cmp_eq_u32_e32 vcc, 1, v21
	s_and_b64 s[4:5], s[0:1], vcc
	s_and_saveexec_b64 s[0:1], s[4:5]
	s_cbranch_execz .LBB807_211
; %bb.210:
	s_lshl_b64 s[4:5], s[26:27], 3
	s_waitcnt lgkmcnt(0)
	s_add_u32 s4, s2, s4
	s_addc_u32 s5, s3, s5
	v_mov_b32_e32 v37, 0
	v_lshl_add_u64 v[44:45], v[36:37], 3, s[4:5]
	global_store_dwordx2 v[44:45], v[12:13], off
.LBB807_211:
	s_or_b64 exec, exec, s[0:1]
	v_cmp_lt_u32_e32 vcc, v34, v16
	v_and_b32_e32 v21, 1, v41
	s_or_b64 s[0:1], s[34:35], vcc
	v_cmp_eq_u32_e32 vcc, 1, v21
	s_and_b64 s[4:5], s[0:1], vcc
	;; [unrolled: 17-line block ×6, first 2 shown]
	s_and_saveexec_b64 s[0:1], s[4:5]
	s_cbranch_execz .LBB807_221
; %bb.220:
	s_lshl_b64 s[4:5], s[26:27], 3
	s_waitcnt lgkmcnt(0)
	s_add_u32 s4, s2, s4
	s_addc_u32 s5, s3, s5
	v_mov_b32_e32 v27, 0
	v_lshl_add_u64 v[44:45], v[26:27], 3, s[4:5]
	global_store_dwordx2 v[44:45], v[14:15], off
.LBB807_221:
	s_or_b64 exec, exec, s[0:1]
	s_branch .LBB807_205
.LBB807_222:
	v_cmp_eq_u32_e32 vcc, 1, v1
	s_and_saveexec_b64 s[0:1], vcc
; %bb.223:
	v_sub_u32_e32 v1, v38, v24
	v_lshlrev_b32_e32 v1, 3, v1
	ds_write_b64 v1, v[10:11]
; %bb.224:
	s_or_b64 exec, exec, s[0:1]
	v_and_b32_e32 v1, 1, v42
	v_cmp_eq_u32_e32 vcc, 1, v1
	s_and_saveexec_b64 s[0:1], vcc
; %bb.225:
	v_sub_u32_e32 v1, v36, v24
	v_lshlrev_b32_e32 v1, 3, v1
	ds_write_b64 v1, v[12:13]
; %bb.226:
	s_or_b64 exec, exec, s[0:1]
	v_and_b32_e32 v1, 1, v41
	;; [unrolled: 9-line block ×6, first 2 shown]
	v_cmp_eq_u32_e32 vcc, 1, v1
	s_and_saveexec_b64 s[0:1], vcc
; %bb.235:
	v_sub_u32_e32 v1, v26, v24
	v_lshlrev_b32_e32 v1, 3, v1
	ds_write_b64 v1, v[14:15]
; %bb.236:
	s_or_b64 exec, exec, s[0:1]
	v_mov_b32_e32 v25, 0
	s_lshl_b64 s[0:1], s[26:27], 3
	v_lshlrev_b64 v[2:3], 3, v[24:25]
	v_lshl_add_u64 v[2:3], s[0:1], 0, v[2:3]
	v_mov_b32_e32 v19, v25
	s_waitcnt lgkmcnt(0)
	v_lshl_add_u64 v[2:3], s[2:3], 0, v[2:3]
	v_lshl_add_u64 v[2:3], v[2:3], 0, v[18:19]
	s_mov_b64 s[0:1], 0
	s_mov_b64 s[2:3], 0x1000
	v_mov_b32_e32 v1, v0
	s_barrier
.LBB807_237:                            ; =>This Inner Loop Header: Depth=1
	ds_read_b64 v[4:5], v18
	v_add_u32_e32 v1, 0x200, v1
	v_cmp_ge_u32_e32 vcc, v1, v22
	v_add_u32_e32 v18, 0x1000, v18
	s_or_b64 s[0:1], vcc, s[0:1]
	s_waitcnt lgkmcnt(0)
	global_store_dwordx2 v[2:3], v[4:5], off
	v_lshl_add_u64 v[2:3], v[2:3], 0, s[2:3]
	s_andn2_b64 exec, exec, s[0:1]
	s_cbranch_execnz .LBB807_237
; %bb.238:
	s_or_b64 exec, exec, s[0:1]
	v_cmp_eq_u32_e32 vcc, 0, v0
	s_and_b64 s[0:1], vcc, s[28:29]
	s_and_saveexec_b64 s[2:3], s[0:1]
	s_cbranch_execz .LBB807_206
.LBB807_239:
	v_mov_b32_e32 v23, 0
	v_lshl_add_u64 v[0:1], s[26:27], 0, v[22:23]
	v_mov_b32_e32 v25, v23
	v_lshl_add_u64 v[0:1], v[0:1], 0, v[24:25]
	global_store_dwordx2 v23, v[0:1], s[24:25]
	s_endpgm
	.section	.rodata,"a",@progbits
	.p2align	6, 0x0
	.amdhsa_kernel _ZN7rocprim17ROCPRIM_400000_NS6detail17trampoline_kernelINS0_14default_configENS1_25partition_config_selectorILNS1_17partition_subalgoE8ElNS0_10empty_typeEbEEZZNS1_14partition_implILS5_8ELb0ES3_jPlPS6_PKS6_NS0_5tupleIJS9_S6_EEENSD_IJSA_SA_EEENS0_18inequality_wrapperIZN2at6native12_GLOBAL__N_124unique_dim_cuda_templateIdEESt5tupleIJNSH_6TensorESM_SM_EERKSM_lbbbEUlllE0_EEPmJS6_EEE10hipError_tPvRmT3_T4_T5_T6_T7_T9_mT8_P12ihipStream_tbDpT10_ENKUlT_T0_E_clISt17integral_constantIbLb0EES1C_EEDaS17_S18_EUlS17_E_NS1_11comp_targetILNS1_3genE0ELNS1_11target_archE4294967295ELNS1_3gpuE0ELNS1_3repE0EEENS1_30default_config_static_selectorELNS0_4arch9wavefront6targetE1EEEvT1_
		.amdhsa_group_segment_fixed_size 28680
		.amdhsa_private_segment_fixed_size 0
		.amdhsa_kernarg_size 120
		.amdhsa_user_sgpr_count 2
		.amdhsa_user_sgpr_dispatch_ptr 0
		.amdhsa_user_sgpr_queue_ptr 0
		.amdhsa_user_sgpr_kernarg_segment_ptr 1
		.amdhsa_user_sgpr_dispatch_id 0
		.amdhsa_user_sgpr_kernarg_preload_length 0
		.amdhsa_user_sgpr_kernarg_preload_offset 0
		.amdhsa_user_sgpr_private_segment_size 0
		.amdhsa_uses_dynamic_stack 0
		.amdhsa_enable_private_segment 0
		.amdhsa_system_sgpr_workgroup_id_x 1
		.amdhsa_system_sgpr_workgroup_id_y 0
		.amdhsa_system_sgpr_workgroup_id_z 0
		.amdhsa_system_sgpr_workgroup_info 0
		.amdhsa_system_vgpr_workitem_id 0
		.amdhsa_next_free_vgpr 58
		.amdhsa_next_free_sgpr 50
		.amdhsa_accum_offset 60
		.amdhsa_reserve_vcc 1
		.amdhsa_float_round_mode_32 0
		.amdhsa_float_round_mode_16_64 0
		.amdhsa_float_denorm_mode_32 3
		.amdhsa_float_denorm_mode_16_64 3
		.amdhsa_dx10_clamp 1
		.amdhsa_ieee_mode 1
		.amdhsa_fp16_overflow 0
		.amdhsa_tg_split 0
		.amdhsa_exception_fp_ieee_invalid_op 0
		.amdhsa_exception_fp_denorm_src 0
		.amdhsa_exception_fp_ieee_div_zero 0
		.amdhsa_exception_fp_ieee_overflow 0
		.amdhsa_exception_fp_ieee_underflow 0
		.amdhsa_exception_fp_ieee_inexact 0
		.amdhsa_exception_int_div_zero 0
	.end_amdhsa_kernel
	.section	.text._ZN7rocprim17ROCPRIM_400000_NS6detail17trampoline_kernelINS0_14default_configENS1_25partition_config_selectorILNS1_17partition_subalgoE8ElNS0_10empty_typeEbEEZZNS1_14partition_implILS5_8ELb0ES3_jPlPS6_PKS6_NS0_5tupleIJS9_S6_EEENSD_IJSA_SA_EEENS0_18inequality_wrapperIZN2at6native12_GLOBAL__N_124unique_dim_cuda_templateIdEESt5tupleIJNSH_6TensorESM_SM_EERKSM_lbbbEUlllE0_EEPmJS6_EEE10hipError_tPvRmT3_T4_T5_T6_T7_T9_mT8_P12ihipStream_tbDpT10_ENKUlT_T0_E_clISt17integral_constantIbLb0EES1C_EEDaS17_S18_EUlS17_E_NS1_11comp_targetILNS1_3genE0ELNS1_11target_archE4294967295ELNS1_3gpuE0ELNS1_3repE0EEENS1_30default_config_static_selectorELNS0_4arch9wavefront6targetE1EEEvT1_,"axG",@progbits,_ZN7rocprim17ROCPRIM_400000_NS6detail17trampoline_kernelINS0_14default_configENS1_25partition_config_selectorILNS1_17partition_subalgoE8ElNS0_10empty_typeEbEEZZNS1_14partition_implILS5_8ELb0ES3_jPlPS6_PKS6_NS0_5tupleIJS9_S6_EEENSD_IJSA_SA_EEENS0_18inequality_wrapperIZN2at6native12_GLOBAL__N_124unique_dim_cuda_templateIdEESt5tupleIJNSH_6TensorESM_SM_EERKSM_lbbbEUlllE0_EEPmJS6_EEE10hipError_tPvRmT3_T4_T5_T6_T7_T9_mT8_P12ihipStream_tbDpT10_ENKUlT_T0_E_clISt17integral_constantIbLb0EES1C_EEDaS17_S18_EUlS17_E_NS1_11comp_targetILNS1_3genE0ELNS1_11target_archE4294967295ELNS1_3gpuE0ELNS1_3repE0EEENS1_30default_config_static_selectorELNS0_4arch9wavefront6targetE1EEEvT1_,comdat
.Lfunc_end807:
	.size	_ZN7rocprim17ROCPRIM_400000_NS6detail17trampoline_kernelINS0_14default_configENS1_25partition_config_selectorILNS1_17partition_subalgoE8ElNS0_10empty_typeEbEEZZNS1_14partition_implILS5_8ELb0ES3_jPlPS6_PKS6_NS0_5tupleIJS9_S6_EEENSD_IJSA_SA_EEENS0_18inequality_wrapperIZN2at6native12_GLOBAL__N_124unique_dim_cuda_templateIdEESt5tupleIJNSH_6TensorESM_SM_EERKSM_lbbbEUlllE0_EEPmJS6_EEE10hipError_tPvRmT3_T4_T5_T6_T7_T9_mT8_P12ihipStream_tbDpT10_ENKUlT_T0_E_clISt17integral_constantIbLb0EES1C_EEDaS17_S18_EUlS17_E_NS1_11comp_targetILNS1_3genE0ELNS1_11target_archE4294967295ELNS1_3gpuE0ELNS1_3repE0EEENS1_30default_config_static_selectorELNS0_4arch9wavefront6targetE1EEEvT1_, .Lfunc_end807-_ZN7rocprim17ROCPRIM_400000_NS6detail17trampoline_kernelINS0_14default_configENS1_25partition_config_selectorILNS1_17partition_subalgoE8ElNS0_10empty_typeEbEEZZNS1_14partition_implILS5_8ELb0ES3_jPlPS6_PKS6_NS0_5tupleIJS9_S6_EEENSD_IJSA_SA_EEENS0_18inequality_wrapperIZN2at6native12_GLOBAL__N_124unique_dim_cuda_templateIdEESt5tupleIJNSH_6TensorESM_SM_EERKSM_lbbbEUlllE0_EEPmJS6_EEE10hipError_tPvRmT3_T4_T5_T6_T7_T9_mT8_P12ihipStream_tbDpT10_ENKUlT_T0_E_clISt17integral_constantIbLb0EES1C_EEDaS17_S18_EUlS17_E_NS1_11comp_targetILNS1_3genE0ELNS1_11target_archE4294967295ELNS1_3gpuE0ELNS1_3repE0EEENS1_30default_config_static_selectorELNS0_4arch9wavefront6targetE1EEEvT1_
                                        ; -- End function
	.set _ZN7rocprim17ROCPRIM_400000_NS6detail17trampoline_kernelINS0_14default_configENS1_25partition_config_selectorILNS1_17partition_subalgoE8ElNS0_10empty_typeEbEEZZNS1_14partition_implILS5_8ELb0ES3_jPlPS6_PKS6_NS0_5tupleIJS9_S6_EEENSD_IJSA_SA_EEENS0_18inequality_wrapperIZN2at6native12_GLOBAL__N_124unique_dim_cuda_templateIdEESt5tupleIJNSH_6TensorESM_SM_EERKSM_lbbbEUlllE0_EEPmJS6_EEE10hipError_tPvRmT3_T4_T5_T6_T7_T9_mT8_P12ihipStream_tbDpT10_ENKUlT_T0_E_clISt17integral_constantIbLb0EES1C_EEDaS17_S18_EUlS17_E_NS1_11comp_targetILNS1_3genE0ELNS1_11target_archE4294967295ELNS1_3gpuE0ELNS1_3repE0EEENS1_30default_config_static_selectorELNS0_4arch9wavefront6targetE1EEEvT1_.num_vgpr, 58
	.set _ZN7rocprim17ROCPRIM_400000_NS6detail17trampoline_kernelINS0_14default_configENS1_25partition_config_selectorILNS1_17partition_subalgoE8ElNS0_10empty_typeEbEEZZNS1_14partition_implILS5_8ELb0ES3_jPlPS6_PKS6_NS0_5tupleIJS9_S6_EEENSD_IJSA_SA_EEENS0_18inequality_wrapperIZN2at6native12_GLOBAL__N_124unique_dim_cuda_templateIdEESt5tupleIJNSH_6TensorESM_SM_EERKSM_lbbbEUlllE0_EEPmJS6_EEE10hipError_tPvRmT3_T4_T5_T6_T7_T9_mT8_P12ihipStream_tbDpT10_ENKUlT_T0_E_clISt17integral_constantIbLb0EES1C_EEDaS17_S18_EUlS17_E_NS1_11comp_targetILNS1_3genE0ELNS1_11target_archE4294967295ELNS1_3gpuE0ELNS1_3repE0EEENS1_30default_config_static_selectorELNS0_4arch9wavefront6targetE1EEEvT1_.num_agpr, 0
	.set _ZN7rocprim17ROCPRIM_400000_NS6detail17trampoline_kernelINS0_14default_configENS1_25partition_config_selectorILNS1_17partition_subalgoE8ElNS0_10empty_typeEbEEZZNS1_14partition_implILS5_8ELb0ES3_jPlPS6_PKS6_NS0_5tupleIJS9_S6_EEENSD_IJSA_SA_EEENS0_18inequality_wrapperIZN2at6native12_GLOBAL__N_124unique_dim_cuda_templateIdEESt5tupleIJNSH_6TensorESM_SM_EERKSM_lbbbEUlllE0_EEPmJS6_EEE10hipError_tPvRmT3_T4_T5_T6_T7_T9_mT8_P12ihipStream_tbDpT10_ENKUlT_T0_E_clISt17integral_constantIbLb0EES1C_EEDaS17_S18_EUlS17_E_NS1_11comp_targetILNS1_3genE0ELNS1_11target_archE4294967295ELNS1_3gpuE0ELNS1_3repE0EEENS1_30default_config_static_selectorELNS0_4arch9wavefront6targetE1EEEvT1_.numbered_sgpr, 50
	.set _ZN7rocprim17ROCPRIM_400000_NS6detail17trampoline_kernelINS0_14default_configENS1_25partition_config_selectorILNS1_17partition_subalgoE8ElNS0_10empty_typeEbEEZZNS1_14partition_implILS5_8ELb0ES3_jPlPS6_PKS6_NS0_5tupleIJS9_S6_EEENSD_IJSA_SA_EEENS0_18inequality_wrapperIZN2at6native12_GLOBAL__N_124unique_dim_cuda_templateIdEESt5tupleIJNSH_6TensorESM_SM_EERKSM_lbbbEUlllE0_EEPmJS6_EEE10hipError_tPvRmT3_T4_T5_T6_T7_T9_mT8_P12ihipStream_tbDpT10_ENKUlT_T0_E_clISt17integral_constantIbLb0EES1C_EEDaS17_S18_EUlS17_E_NS1_11comp_targetILNS1_3genE0ELNS1_11target_archE4294967295ELNS1_3gpuE0ELNS1_3repE0EEENS1_30default_config_static_selectorELNS0_4arch9wavefront6targetE1EEEvT1_.num_named_barrier, 0
	.set _ZN7rocprim17ROCPRIM_400000_NS6detail17trampoline_kernelINS0_14default_configENS1_25partition_config_selectorILNS1_17partition_subalgoE8ElNS0_10empty_typeEbEEZZNS1_14partition_implILS5_8ELb0ES3_jPlPS6_PKS6_NS0_5tupleIJS9_S6_EEENSD_IJSA_SA_EEENS0_18inequality_wrapperIZN2at6native12_GLOBAL__N_124unique_dim_cuda_templateIdEESt5tupleIJNSH_6TensorESM_SM_EERKSM_lbbbEUlllE0_EEPmJS6_EEE10hipError_tPvRmT3_T4_T5_T6_T7_T9_mT8_P12ihipStream_tbDpT10_ENKUlT_T0_E_clISt17integral_constantIbLb0EES1C_EEDaS17_S18_EUlS17_E_NS1_11comp_targetILNS1_3genE0ELNS1_11target_archE4294967295ELNS1_3gpuE0ELNS1_3repE0EEENS1_30default_config_static_selectorELNS0_4arch9wavefront6targetE1EEEvT1_.private_seg_size, 0
	.set _ZN7rocprim17ROCPRIM_400000_NS6detail17trampoline_kernelINS0_14default_configENS1_25partition_config_selectorILNS1_17partition_subalgoE8ElNS0_10empty_typeEbEEZZNS1_14partition_implILS5_8ELb0ES3_jPlPS6_PKS6_NS0_5tupleIJS9_S6_EEENSD_IJSA_SA_EEENS0_18inequality_wrapperIZN2at6native12_GLOBAL__N_124unique_dim_cuda_templateIdEESt5tupleIJNSH_6TensorESM_SM_EERKSM_lbbbEUlllE0_EEPmJS6_EEE10hipError_tPvRmT3_T4_T5_T6_T7_T9_mT8_P12ihipStream_tbDpT10_ENKUlT_T0_E_clISt17integral_constantIbLb0EES1C_EEDaS17_S18_EUlS17_E_NS1_11comp_targetILNS1_3genE0ELNS1_11target_archE4294967295ELNS1_3gpuE0ELNS1_3repE0EEENS1_30default_config_static_selectorELNS0_4arch9wavefront6targetE1EEEvT1_.uses_vcc, 1
	.set _ZN7rocprim17ROCPRIM_400000_NS6detail17trampoline_kernelINS0_14default_configENS1_25partition_config_selectorILNS1_17partition_subalgoE8ElNS0_10empty_typeEbEEZZNS1_14partition_implILS5_8ELb0ES3_jPlPS6_PKS6_NS0_5tupleIJS9_S6_EEENSD_IJSA_SA_EEENS0_18inequality_wrapperIZN2at6native12_GLOBAL__N_124unique_dim_cuda_templateIdEESt5tupleIJNSH_6TensorESM_SM_EERKSM_lbbbEUlllE0_EEPmJS6_EEE10hipError_tPvRmT3_T4_T5_T6_T7_T9_mT8_P12ihipStream_tbDpT10_ENKUlT_T0_E_clISt17integral_constantIbLb0EES1C_EEDaS17_S18_EUlS17_E_NS1_11comp_targetILNS1_3genE0ELNS1_11target_archE4294967295ELNS1_3gpuE0ELNS1_3repE0EEENS1_30default_config_static_selectorELNS0_4arch9wavefront6targetE1EEEvT1_.uses_flat_scratch, 0
	.set _ZN7rocprim17ROCPRIM_400000_NS6detail17trampoline_kernelINS0_14default_configENS1_25partition_config_selectorILNS1_17partition_subalgoE8ElNS0_10empty_typeEbEEZZNS1_14partition_implILS5_8ELb0ES3_jPlPS6_PKS6_NS0_5tupleIJS9_S6_EEENSD_IJSA_SA_EEENS0_18inequality_wrapperIZN2at6native12_GLOBAL__N_124unique_dim_cuda_templateIdEESt5tupleIJNSH_6TensorESM_SM_EERKSM_lbbbEUlllE0_EEPmJS6_EEE10hipError_tPvRmT3_T4_T5_T6_T7_T9_mT8_P12ihipStream_tbDpT10_ENKUlT_T0_E_clISt17integral_constantIbLb0EES1C_EEDaS17_S18_EUlS17_E_NS1_11comp_targetILNS1_3genE0ELNS1_11target_archE4294967295ELNS1_3gpuE0ELNS1_3repE0EEENS1_30default_config_static_selectorELNS0_4arch9wavefront6targetE1EEEvT1_.has_dyn_sized_stack, 0
	.set _ZN7rocprim17ROCPRIM_400000_NS6detail17trampoline_kernelINS0_14default_configENS1_25partition_config_selectorILNS1_17partition_subalgoE8ElNS0_10empty_typeEbEEZZNS1_14partition_implILS5_8ELb0ES3_jPlPS6_PKS6_NS0_5tupleIJS9_S6_EEENSD_IJSA_SA_EEENS0_18inequality_wrapperIZN2at6native12_GLOBAL__N_124unique_dim_cuda_templateIdEESt5tupleIJNSH_6TensorESM_SM_EERKSM_lbbbEUlllE0_EEPmJS6_EEE10hipError_tPvRmT3_T4_T5_T6_T7_T9_mT8_P12ihipStream_tbDpT10_ENKUlT_T0_E_clISt17integral_constantIbLb0EES1C_EEDaS17_S18_EUlS17_E_NS1_11comp_targetILNS1_3genE0ELNS1_11target_archE4294967295ELNS1_3gpuE0ELNS1_3repE0EEENS1_30default_config_static_selectorELNS0_4arch9wavefront6targetE1EEEvT1_.has_recursion, 0
	.set _ZN7rocprim17ROCPRIM_400000_NS6detail17trampoline_kernelINS0_14default_configENS1_25partition_config_selectorILNS1_17partition_subalgoE8ElNS0_10empty_typeEbEEZZNS1_14partition_implILS5_8ELb0ES3_jPlPS6_PKS6_NS0_5tupleIJS9_S6_EEENSD_IJSA_SA_EEENS0_18inequality_wrapperIZN2at6native12_GLOBAL__N_124unique_dim_cuda_templateIdEESt5tupleIJNSH_6TensorESM_SM_EERKSM_lbbbEUlllE0_EEPmJS6_EEE10hipError_tPvRmT3_T4_T5_T6_T7_T9_mT8_P12ihipStream_tbDpT10_ENKUlT_T0_E_clISt17integral_constantIbLb0EES1C_EEDaS17_S18_EUlS17_E_NS1_11comp_targetILNS1_3genE0ELNS1_11target_archE4294967295ELNS1_3gpuE0ELNS1_3repE0EEENS1_30default_config_static_selectorELNS0_4arch9wavefront6targetE1EEEvT1_.has_indirect_call, 0
	.section	.AMDGPU.csdata,"",@progbits
; Kernel info:
; codeLenInByte = 10796
; TotalNumSgprs: 56
; NumVgprs: 58
; NumAgprs: 0
; TotalNumVgprs: 58
; ScratchSize: 0
; MemoryBound: 0
; FloatMode: 240
; IeeeMode: 1
; LDSByteSize: 28680 bytes/workgroup (compile time only)
; SGPRBlocks: 6
; VGPRBlocks: 7
; NumSGPRsForWavesPerEU: 56
; NumVGPRsForWavesPerEU: 58
; AccumOffset: 60
; Occupancy: 8
; WaveLimiterHint : 1
; COMPUTE_PGM_RSRC2:SCRATCH_EN: 0
; COMPUTE_PGM_RSRC2:USER_SGPR: 2
; COMPUTE_PGM_RSRC2:TRAP_HANDLER: 0
; COMPUTE_PGM_RSRC2:TGID_X_EN: 1
; COMPUTE_PGM_RSRC2:TGID_Y_EN: 0
; COMPUTE_PGM_RSRC2:TGID_Z_EN: 0
; COMPUTE_PGM_RSRC2:TIDIG_COMP_CNT: 0
; COMPUTE_PGM_RSRC3_GFX90A:ACCUM_OFFSET: 14
; COMPUTE_PGM_RSRC3_GFX90A:TG_SPLIT: 0
	.section	.text._ZN7rocprim17ROCPRIM_400000_NS6detail17trampoline_kernelINS0_14default_configENS1_25partition_config_selectorILNS1_17partition_subalgoE8ElNS0_10empty_typeEbEEZZNS1_14partition_implILS5_8ELb0ES3_jPlPS6_PKS6_NS0_5tupleIJS9_S6_EEENSD_IJSA_SA_EEENS0_18inequality_wrapperIZN2at6native12_GLOBAL__N_124unique_dim_cuda_templateIdEESt5tupleIJNSH_6TensorESM_SM_EERKSM_lbbbEUlllE0_EEPmJS6_EEE10hipError_tPvRmT3_T4_T5_T6_T7_T9_mT8_P12ihipStream_tbDpT10_ENKUlT_T0_E_clISt17integral_constantIbLb0EES1C_EEDaS17_S18_EUlS17_E_NS1_11comp_targetILNS1_3genE5ELNS1_11target_archE942ELNS1_3gpuE9ELNS1_3repE0EEENS1_30default_config_static_selectorELNS0_4arch9wavefront6targetE1EEEvT1_,"axG",@progbits,_ZN7rocprim17ROCPRIM_400000_NS6detail17trampoline_kernelINS0_14default_configENS1_25partition_config_selectorILNS1_17partition_subalgoE8ElNS0_10empty_typeEbEEZZNS1_14partition_implILS5_8ELb0ES3_jPlPS6_PKS6_NS0_5tupleIJS9_S6_EEENSD_IJSA_SA_EEENS0_18inequality_wrapperIZN2at6native12_GLOBAL__N_124unique_dim_cuda_templateIdEESt5tupleIJNSH_6TensorESM_SM_EERKSM_lbbbEUlllE0_EEPmJS6_EEE10hipError_tPvRmT3_T4_T5_T6_T7_T9_mT8_P12ihipStream_tbDpT10_ENKUlT_T0_E_clISt17integral_constantIbLb0EES1C_EEDaS17_S18_EUlS17_E_NS1_11comp_targetILNS1_3genE5ELNS1_11target_archE942ELNS1_3gpuE9ELNS1_3repE0EEENS1_30default_config_static_selectorELNS0_4arch9wavefront6targetE1EEEvT1_,comdat
	.globl	_ZN7rocprim17ROCPRIM_400000_NS6detail17trampoline_kernelINS0_14default_configENS1_25partition_config_selectorILNS1_17partition_subalgoE8ElNS0_10empty_typeEbEEZZNS1_14partition_implILS5_8ELb0ES3_jPlPS6_PKS6_NS0_5tupleIJS9_S6_EEENSD_IJSA_SA_EEENS0_18inequality_wrapperIZN2at6native12_GLOBAL__N_124unique_dim_cuda_templateIdEESt5tupleIJNSH_6TensorESM_SM_EERKSM_lbbbEUlllE0_EEPmJS6_EEE10hipError_tPvRmT3_T4_T5_T6_T7_T9_mT8_P12ihipStream_tbDpT10_ENKUlT_T0_E_clISt17integral_constantIbLb0EES1C_EEDaS17_S18_EUlS17_E_NS1_11comp_targetILNS1_3genE5ELNS1_11target_archE942ELNS1_3gpuE9ELNS1_3repE0EEENS1_30default_config_static_selectorELNS0_4arch9wavefront6targetE1EEEvT1_ ; -- Begin function _ZN7rocprim17ROCPRIM_400000_NS6detail17trampoline_kernelINS0_14default_configENS1_25partition_config_selectorILNS1_17partition_subalgoE8ElNS0_10empty_typeEbEEZZNS1_14partition_implILS5_8ELb0ES3_jPlPS6_PKS6_NS0_5tupleIJS9_S6_EEENSD_IJSA_SA_EEENS0_18inequality_wrapperIZN2at6native12_GLOBAL__N_124unique_dim_cuda_templateIdEESt5tupleIJNSH_6TensorESM_SM_EERKSM_lbbbEUlllE0_EEPmJS6_EEE10hipError_tPvRmT3_T4_T5_T6_T7_T9_mT8_P12ihipStream_tbDpT10_ENKUlT_T0_E_clISt17integral_constantIbLb0EES1C_EEDaS17_S18_EUlS17_E_NS1_11comp_targetILNS1_3genE5ELNS1_11target_archE942ELNS1_3gpuE9ELNS1_3repE0EEENS1_30default_config_static_selectorELNS0_4arch9wavefront6targetE1EEEvT1_
	.p2align	8
	.type	_ZN7rocprim17ROCPRIM_400000_NS6detail17trampoline_kernelINS0_14default_configENS1_25partition_config_selectorILNS1_17partition_subalgoE8ElNS0_10empty_typeEbEEZZNS1_14partition_implILS5_8ELb0ES3_jPlPS6_PKS6_NS0_5tupleIJS9_S6_EEENSD_IJSA_SA_EEENS0_18inequality_wrapperIZN2at6native12_GLOBAL__N_124unique_dim_cuda_templateIdEESt5tupleIJNSH_6TensorESM_SM_EERKSM_lbbbEUlllE0_EEPmJS6_EEE10hipError_tPvRmT3_T4_T5_T6_T7_T9_mT8_P12ihipStream_tbDpT10_ENKUlT_T0_E_clISt17integral_constantIbLb0EES1C_EEDaS17_S18_EUlS17_E_NS1_11comp_targetILNS1_3genE5ELNS1_11target_archE942ELNS1_3gpuE9ELNS1_3repE0EEENS1_30default_config_static_selectorELNS0_4arch9wavefront6targetE1EEEvT1_,@function
_ZN7rocprim17ROCPRIM_400000_NS6detail17trampoline_kernelINS0_14default_configENS1_25partition_config_selectorILNS1_17partition_subalgoE8ElNS0_10empty_typeEbEEZZNS1_14partition_implILS5_8ELb0ES3_jPlPS6_PKS6_NS0_5tupleIJS9_S6_EEENSD_IJSA_SA_EEENS0_18inequality_wrapperIZN2at6native12_GLOBAL__N_124unique_dim_cuda_templateIdEESt5tupleIJNSH_6TensorESM_SM_EERKSM_lbbbEUlllE0_EEPmJS6_EEE10hipError_tPvRmT3_T4_T5_T6_T7_T9_mT8_P12ihipStream_tbDpT10_ENKUlT_T0_E_clISt17integral_constantIbLb0EES1C_EEDaS17_S18_EUlS17_E_NS1_11comp_targetILNS1_3genE5ELNS1_11target_archE942ELNS1_3gpuE9ELNS1_3repE0EEENS1_30default_config_static_selectorELNS0_4arch9wavefront6targetE1EEEvT1_: ; @_ZN7rocprim17ROCPRIM_400000_NS6detail17trampoline_kernelINS0_14default_configENS1_25partition_config_selectorILNS1_17partition_subalgoE8ElNS0_10empty_typeEbEEZZNS1_14partition_implILS5_8ELb0ES3_jPlPS6_PKS6_NS0_5tupleIJS9_S6_EEENSD_IJSA_SA_EEENS0_18inequality_wrapperIZN2at6native12_GLOBAL__N_124unique_dim_cuda_templateIdEESt5tupleIJNSH_6TensorESM_SM_EERKSM_lbbbEUlllE0_EEPmJS6_EEE10hipError_tPvRmT3_T4_T5_T6_T7_T9_mT8_P12ihipStream_tbDpT10_ENKUlT_T0_E_clISt17integral_constantIbLb0EES1C_EEDaS17_S18_EUlS17_E_NS1_11comp_targetILNS1_3genE5ELNS1_11target_archE942ELNS1_3gpuE9ELNS1_3repE0EEENS1_30default_config_static_selectorELNS0_4arch9wavefront6targetE1EEEvT1_
; %bb.0:
	.section	.rodata,"a",@progbits
	.p2align	6, 0x0
	.amdhsa_kernel _ZN7rocprim17ROCPRIM_400000_NS6detail17trampoline_kernelINS0_14default_configENS1_25partition_config_selectorILNS1_17partition_subalgoE8ElNS0_10empty_typeEbEEZZNS1_14partition_implILS5_8ELb0ES3_jPlPS6_PKS6_NS0_5tupleIJS9_S6_EEENSD_IJSA_SA_EEENS0_18inequality_wrapperIZN2at6native12_GLOBAL__N_124unique_dim_cuda_templateIdEESt5tupleIJNSH_6TensorESM_SM_EERKSM_lbbbEUlllE0_EEPmJS6_EEE10hipError_tPvRmT3_T4_T5_T6_T7_T9_mT8_P12ihipStream_tbDpT10_ENKUlT_T0_E_clISt17integral_constantIbLb0EES1C_EEDaS17_S18_EUlS17_E_NS1_11comp_targetILNS1_3genE5ELNS1_11target_archE942ELNS1_3gpuE9ELNS1_3repE0EEENS1_30default_config_static_selectorELNS0_4arch9wavefront6targetE1EEEvT1_
		.amdhsa_group_segment_fixed_size 0
		.amdhsa_private_segment_fixed_size 0
		.amdhsa_kernarg_size 120
		.amdhsa_user_sgpr_count 2
		.amdhsa_user_sgpr_dispatch_ptr 0
		.amdhsa_user_sgpr_queue_ptr 0
		.amdhsa_user_sgpr_kernarg_segment_ptr 1
		.amdhsa_user_sgpr_dispatch_id 0
		.amdhsa_user_sgpr_kernarg_preload_length 0
		.amdhsa_user_sgpr_kernarg_preload_offset 0
		.amdhsa_user_sgpr_private_segment_size 0
		.amdhsa_uses_dynamic_stack 0
		.amdhsa_enable_private_segment 0
		.amdhsa_system_sgpr_workgroup_id_x 1
		.amdhsa_system_sgpr_workgroup_id_y 0
		.amdhsa_system_sgpr_workgroup_id_z 0
		.amdhsa_system_sgpr_workgroup_info 0
		.amdhsa_system_vgpr_workitem_id 0
		.amdhsa_next_free_vgpr 1
		.amdhsa_next_free_sgpr 0
		.amdhsa_accum_offset 4
		.amdhsa_reserve_vcc 0
		.amdhsa_float_round_mode_32 0
		.amdhsa_float_round_mode_16_64 0
		.amdhsa_float_denorm_mode_32 3
		.amdhsa_float_denorm_mode_16_64 3
		.amdhsa_dx10_clamp 1
		.amdhsa_ieee_mode 1
		.amdhsa_fp16_overflow 0
		.amdhsa_tg_split 0
		.amdhsa_exception_fp_ieee_invalid_op 0
		.amdhsa_exception_fp_denorm_src 0
		.amdhsa_exception_fp_ieee_div_zero 0
		.amdhsa_exception_fp_ieee_overflow 0
		.amdhsa_exception_fp_ieee_underflow 0
		.amdhsa_exception_fp_ieee_inexact 0
		.amdhsa_exception_int_div_zero 0
	.end_amdhsa_kernel
	.section	.text._ZN7rocprim17ROCPRIM_400000_NS6detail17trampoline_kernelINS0_14default_configENS1_25partition_config_selectorILNS1_17partition_subalgoE8ElNS0_10empty_typeEbEEZZNS1_14partition_implILS5_8ELb0ES3_jPlPS6_PKS6_NS0_5tupleIJS9_S6_EEENSD_IJSA_SA_EEENS0_18inequality_wrapperIZN2at6native12_GLOBAL__N_124unique_dim_cuda_templateIdEESt5tupleIJNSH_6TensorESM_SM_EERKSM_lbbbEUlllE0_EEPmJS6_EEE10hipError_tPvRmT3_T4_T5_T6_T7_T9_mT8_P12ihipStream_tbDpT10_ENKUlT_T0_E_clISt17integral_constantIbLb0EES1C_EEDaS17_S18_EUlS17_E_NS1_11comp_targetILNS1_3genE5ELNS1_11target_archE942ELNS1_3gpuE9ELNS1_3repE0EEENS1_30default_config_static_selectorELNS0_4arch9wavefront6targetE1EEEvT1_,"axG",@progbits,_ZN7rocprim17ROCPRIM_400000_NS6detail17trampoline_kernelINS0_14default_configENS1_25partition_config_selectorILNS1_17partition_subalgoE8ElNS0_10empty_typeEbEEZZNS1_14partition_implILS5_8ELb0ES3_jPlPS6_PKS6_NS0_5tupleIJS9_S6_EEENSD_IJSA_SA_EEENS0_18inequality_wrapperIZN2at6native12_GLOBAL__N_124unique_dim_cuda_templateIdEESt5tupleIJNSH_6TensorESM_SM_EERKSM_lbbbEUlllE0_EEPmJS6_EEE10hipError_tPvRmT3_T4_T5_T6_T7_T9_mT8_P12ihipStream_tbDpT10_ENKUlT_T0_E_clISt17integral_constantIbLb0EES1C_EEDaS17_S18_EUlS17_E_NS1_11comp_targetILNS1_3genE5ELNS1_11target_archE942ELNS1_3gpuE9ELNS1_3repE0EEENS1_30default_config_static_selectorELNS0_4arch9wavefront6targetE1EEEvT1_,comdat
.Lfunc_end808:
	.size	_ZN7rocprim17ROCPRIM_400000_NS6detail17trampoline_kernelINS0_14default_configENS1_25partition_config_selectorILNS1_17partition_subalgoE8ElNS0_10empty_typeEbEEZZNS1_14partition_implILS5_8ELb0ES3_jPlPS6_PKS6_NS0_5tupleIJS9_S6_EEENSD_IJSA_SA_EEENS0_18inequality_wrapperIZN2at6native12_GLOBAL__N_124unique_dim_cuda_templateIdEESt5tupleIJNSH_6TensorESM_SM_EERKSM_lbbbEUlllE0_EEPmJS6_EEE10hipError_tPvRmT3_T4_T5_T6_T7_T9_mT8_P12ihipStream_tbDpT10_ENKUlT_T0_E_clISt17integral_constantIbLb0EES1C_EEDaS17_S18_EUlS17_E_NS1_11comp_targetILNS1_3genE5ELNS1_11target_archE942ELNS1_3gpuE9ELNS1_3repE0EEENS1_30default_config_static_selectorELNS0_4arch9wavefront6targetE1EEEvT1_, .Lfunc_end808-_ZN7rocprim17ROCPRIM_400000_NS6detail17trampoline_kernelINS0_14default_configENS1_25partition_config_selectorILNS1_17partition_subalgoE8ElNS0_10empty_typeEbEEZZNS1_14partition_implILS5_8ELb0ES3_jPlPS6_PKS6_NS0_5tupleIJS9_S6_EEENSD_IJSA_SA_EEENS0_18inequality_wrapperIZN2at6native12_GLOBAL__N_124unique_dim_cuda_templateIdEESt5tupleIJNSH_6TensorESM_SM_EERKSM_lbbbEUlllE0_EEPmJS6_EEE10hipError_tPvRmT3_T4_T5_T6_T7_T9_mT8_P12ihipStream_tbDpT10_ENKUlT_T0_E_clISt17integral_constantIbLb0EES1C_EEDaS17_S18_EUlS17_E_NS1_11comp_targetILNS1_3genE5ELNS1_11target_archE942ELNS1_3gpuE9ELNS1_3repE0EEENS1_30default_config_static_selectorELNS0_4arch9wavefront6targetE1EEEvT1_
                                        ; -- End function
	.set _ZN7rocprim17ROCPRIM_400000_NS6detail17trampoline_kernelINS0_14default_configENS1_25partition_config_selectorILNS1_17partition_subalgoE8ElNS0_10empty_typeEbEEZZNS1_14partition_implILS5_8ELb0ES3_jPlPS6_PKS6_NS0_5tupleIJS9_S6_EEENSD_IJSA_SA_EEENS0_18inequality_wrapperIZN2at6native12_GLOBAL__N_124unique_dim_cuda_templateIdEESt5tupleIJNSH_6TensorESM_SM_EERKSM_lbbbEUlllE0_EEPmJS6_EEE10hipError_tPvRmT3_T4_T5_T6_T7_T9_mT8_P12ihipStream_tbDpT10_ENKUlT_T0_E_clISt17integral_constantIbLb0EES1C_EEDaS17_S18_EUlS17_E_NS1_11comp_targetILNS1_3genE5ELNS1_11target_archE942ELNS1_3gpuE9ELNS1_3repE0EEENS1_30default_config_static_selectorELNS0_4arch9wavefront6targetE1EEEvT1_.num_vgpr, 0
	.set _ZN7rocprim17ROCPRIM_400000_NS6detail17trampoline_kernelINS0_14default_configENS1_25partition_config_selectorILNS1_17partition_subalgoE8ElNS0_10empty_typeEbEEZZNS1_14partition_implILS5_8ELb0ES3_jPlPS6_PKS6_NS0_5tupleIJS9_S6_EEENSD_IJSA_SA_EEENS0_18inequality_wrapperIZN2at6native12_GLOBAL__N_124unique_dim_cuda_templateIdEESt5tupleIJNSH_6TensorESM_SM_EERKSM_lbbbEUlllE0_EEPmJS6_EEE10hipError_tPvRmT3_T4_T5_T6_T7_T9_mT8_P12ihipStream_tbDpT10_ENKUlT_T0_E_clISt17integral_constantIbLb0EES1C_EEDaS17_S18_EUlS17_E_NS1_11comp_targetILNS1_3genE5ELNS1_11target_archE942ELNS1_3gpuE9ELNS1_3repE0EEENS1_30default_config_static_selectorELNS0_4arch9wavefront6targetE1EEEvT1_.num_agpr, 0
	.set _ZN7rocprim17ROCPRIM_400000_NS6detail17trampoline_kernelINS0_14default_configENS1_25partition_config_selectorILNS1_17partition_subalgoE8ElNS0_10empty_typeEbEEZZNS1_14partition_implILS5_8ELb0ES3_jPlPS6_PKS6_NS0_5tupleIJS9_S6_EEENSD_IJSA_SA_EEENS0_18inequality_wrapperIZN2at6native12_GLOBAL__N_124unique_dim_cuda_templateIdEESt5tupleIJNSH_6TensorESM_SM_EERKSM_lbbbEUlllE0_EEPmJS6_EEE10hipError_tPvRmT3_T4_T5_T6_T7_T9_mT8_P12ihipStream_tbDpT10_ENKUlT_T0_E_clISt17integral_constantIbLb0EES1C_EEDaS17_S18_EUlS17_E_NS1_11comp_targetILNS1_3genE5ELNS1_11target_archE942ELNS1_3gpuE9ELNS1_3repE0EEENS1_30default_config_static_selectorELNS0_4arch9wavefront6targetE1EEEvT1_.numbered_sgpr, 0
	.set _ZN7rocprim17ROCPRIM_400000_NS6detail17trampoline_kernelINS0_14default_configENS1_25partition_config_selectorILNS1_17partition_subalgoE8ElNS0_10empty_typeEbEEZZNS1_14partition_implILS5_8ELb0ES3_jPlPS6_PKS6_NS0_5tupleIJS9_S6_EEENSD_IJSA_SA_EEENS0_18inequality_wrapperIZN2at6native12_GLOBAL__N_124unique_dim_cuda_templateIdEESt5tupleIJNSH_6TensorESM_SM_EERKSM_lbbbEUlllE0_EEPmJS6_EEE10hipError_tPvRmT3_T4_T5_T6_T7_T9_mT8_P12ihipStream_tbDpT10_ENKUlT_T0_E_clISt17integral_constantIbLb0EES1C_EEDaS17_S18_EUlS17_E_NS1_11comp_targetILNS1_3genE5ELNS1_11target_archE942ELNS1_3gpuE9ELNS1_3repE0EEENS1_30default_config_static_selectorELNS0_4arch9wavefront6targetE1EEEvT1_.num_named_barrier, 0
	.set _ZN7rocprim17ROCPRIM_400000_NS6detail17trampoline_kernelINS0_14default_configENS1_25partition_config_selectorILNS1_17partition_subalgoE8ElNS0_10empty_typeEbEEZZNS1_14partition_implILS5_8ELb0ES3_jPlPS6_PKS6_NS0_5tupleIJS9_S6_EEENSD_IJSA_SA_EEENS0_18inequality_wrapperIZN2at6native12_GLOBAL__N_124unique_dim_cuda_templateIdEESt5tupleIJNSH_6TensorESM_SM_EERKSM_lbbbEUlllE0_EEPmJS6_EEE10hipError_tPvRmT3_T4_T5_T6_T7_T9_mT8_P12ihipStream_tbDpT10_ENKUlT_T0_E_clISt17integral_constantIbLb0EES1C_EEDaS17_S18_EUlS17_E_NS1_11comp_targetILNS1_3genE5ELNS1_11target_archE942ELNS1_3gpuE9ELNS1_3repE0EEENS1_30default_config_static_selectorELNS0_4arch9wavefront6targetE1EEEvT1_.private_seg_size, 0
	.set _ZN7rocprim17ROCPRIM_400000_NS6detail17trampoline_kernelINS0_14default_configENS1_25partition_config_selectorILNS1_17partition_subalgoE8ElNS0_10empty_typeEbEEZZNS1_14partition_implILS5_8ELb0ES3_jPlPS6_PKS6_NS0_5tupleIJS9_S6_EEENSD_IJSA_SA_EEENS0_18inequality_wrapperIZN2at6native12_GLOBAL__N_124unique_dim_cuda_templateIdEESt5tupleIJNSH_6TensorESM_SM_EERKSM_lbbbEUlllE0_EEPmJS6_EEE10hipError_tPvRmT3_T4_T5_T6_T7_T9_mT8_P12ihipStream_tbDpT10_ENKUlT_T0_E_clISt17integral_constantIbLb0EES1C_EEDaS17_S18_EUlS17_E_NS1_11comp_targetILNS1_3genE5ELNS1_11target_archE942ELNS1_3gpuE9ELNS1_3repE0EEENS1_30default_config_static_selectorELNS0_4arch9wavefront6targetE1EEEvT1_.uses_vcc, 0
	.set _ZN7rocprim17ROCPRIM_400000_NS6detail17trampoline_kernelINS0_14default_configENS1_25partition_config_selectorILNS1_17partition_subalgoE8ElNS0_10empty_typeEbEEZZNS1_14partition_implILS5_8ELb0ES3_jPlPS6_PKS6_NS0_5tupleIJS9_S6_EEENSD_IJSA_SA_EEENS0_18inequality_wrapperIZN2at6native12_GLOBAL__N_124unique_dim_cuda_templateIdEESt5tupleIJNSH_6TensorESM_SM_EERKSM_lbbbEUlllE0_EEPmJS6_EEE10hipError_tPvRmT3_T4_T5_T6_T7_T9_mT8_P12ihipStream_tbDpT10_ENKUlT_T0_E_clISt17integral_constantIbLb0EES1C_EEDaS17_S18_EUlS17_E_NS1_11comp_targetILNS1_3genE5ELNS1_11target_archE942ELNS1_3gpuE9ELNS1_3repE0EEENS1_30default_config_static_selectorELNS0_4arch9wavefront6targetE1EEEvT1_.uses_flat_scratch, 0
	.set _ZN7rocprim17ROCPRIM_400000_NS6detail17trampoline_kernelINS0_14default_configENS1_25partition_config_selectorILNS1_17partition_subalgoE8ElNS0_10empty_typeEbEEZZNS1_14partition_implILS5_8ELb0ES3_jPlPS6_PKS6_NS0_5tupleIJS9_S6_EEENSD_IJSA_SA_EEENS0_18inequality_wrapperIZN2at6native12_GLOBAL__N_124unique_dim_cuda_templateIdEESt5tupleIJNSH_6TensorESM_SM_EERKSM_lbbbEUlllE0_EEPmJS6_EEE10hipError_tPvRmT3_T4_T5_T6_T7_T9_mT8_P12ihipStream_tbDpT10_ENKUlT_T0_E_clISt17integral_constantIbLb0EES1C_EEDaS17_S18_EUlS17_E_NS1_11comp_targetILNS1_3genE5ELNS1_11target_archE942ELNS1_3gpuE9ELNS1_3repE0EEENS1_30default_config_static_selectorELNS0_4arch9wavefront6targetE1EEEvT1_.has_dyn_sized_stack, 0
	.set _ZN7rocprim17ROCPRIM_400000_NS6detail17trampoline_kernelINS0_14default_configENS1_25partition_config_selectorILNS1_17partition_subalgoE8ElNS0_10empty_typeEbEEZZNS1_14partition_implILS5_8ELb0ES3_jPlPS6_PKS6_NS0_5tupleIJS9_S6_EEENSD_IJSA_SA_EEENS0_18inequality_wrapperIZN2at6native12_GLOBAL__N_124unique_dim_cuda_templateIdEESt5tupleIJNSH_6TensorESM_SM_EERKSM_lbbbEUlllE0_EEPmJS6_EEE10hipError_tPvRmT3_T4_T5_T6_T7_T9_mT8_P12ihipStream_tbDpT10_ENKUlT_T0_E_clISt17integral_constantIbLb0EES1C_EEDaS17_S18_EUlS17_E_NS1_11comp_targetILNS1_3genE5ELNS1_11target_archE942ELNS1_3gpuE9ELNS1_3repE0EEENS1_30default_config_static_selectorELNS0_4arch9wavefront6targetE1EEEvT1_.has_recursion, 0
	.set _ZN7rocprim17ROCPRIM_400000_NS6detail17trampoline_kernelINS0_14default_configENS1_25partition_config_selectorILNS1_17partition_subalgoE8ElNS0_10empty_typeEbEEZZNS1_14partition_implILS5_8ELb0ES3_jPlPS6_PKS6_NS0_5tupleIJS9_S6_EEENSD_IJSA_SA_EEENS0_18inequality_wrapperIZN2at6native12_GLOBAL__N_124unique_dim_cuda_templateIdEESt5tupleIJNSH_6TensorESM_SM_EERKSM_lbbbEUlllE0_EEPmJS6_EEE10hipError_tPvRmT3_T4_T5_T6_T7_T9_mT8_P12ihipStream_tbDpT10_ENKUlT_T0_E_clISt17integral_constantIbLb0EES1C_EEDaS17_S18_EUlS17_E_NS1_11comp_targetILNS1_3genE5ELNS1_11target_archE942ELNS1_3gpuE9ELNS1_3repE0EEENS1_30default_config_static_selectorELNS0_4arch9wavefront6targetE1EEEvT1_.has_indirect_call, 0
	.section	.AMDGPU.csdata,"",@progbits
; Kernel info:
; codeLenInByte = 0
; TotalNumSgprs: 6
; NumVgprs: 0
; NumAgprs: 0
; TotalNumVgprs: 0
; ScratchSize: 0
; MemoryBound: 0
; FloatMode: 240
; IeeeMode: 1
; LDSByteSize: 0 bytes/workgroup (compile time only)
; SGPRBlocks: 0
; VGPRBlocks: 0
; NumSGPRsForWavesPerEU: 6
; NumVGPRsForWavesPerEU: 1
; AccumOffset: 4
; Occupancy: 8
; WaveLimiterHint : 0
; COMPUTE_PGM_RSRC2:SCRATCH_EN: 0
; COMPUTE_PGM_RSRC2:USER_SGPR: 2
; COMPUTE_PGM_RSRC2:TRAP_HANDLER: 0
; COMPUTE_PGM_RSRC2:TGID_X_EN: 1
; COMPUTE_PGM_RSRC2:TGID_Y_EN: 0
; COMPUTE_PGM_RSRC2:TGID_Z_EN: 0
; COMPUTE_PGM_RSRC2:TIDIG_COMP_CNT: 0
; COMPUTE_PGM_RSRC3_GFX90A:ACCUM_OFFSET: 0
; COMPUTE_PGM_RSRC3_GFX90A:TG_SPLIT: 0
	.section	.text._ZN7rocprim17ROCPRIM_400000_NS6detail17trampoline_kernelINS0_14default_configENS1_25partition_config_selectorILNS1_17partition_subalgoE8ElNS0_10empty_typeEbEEZZNS1_14partition_implILS5_8ELb0ES3_jPlPS6_PKS6_NS0_5tupleIJS9_S6_EEENSD_IJSA_SA_EEENS0_18inequality_wrapperIZN2at6native12_GLOBAL__N_124unique_dim_cuda_templateIdEESt5tupleIJNSH_6TensorESM_SM_EERKSM_lbbbEUlllE0_EEPmJS6_EEE10hipError_tPvRmT3_T4_T5_T6_T7_T9_mT8_P12ihipStream_tbDpT10_ENKUlT_T0_E_clISt17integral_constantIbLb0EES1C_EEDaS17_S18_EUlS17_E_NS1_11comp_targetILNS1_3genE4ELNS1_11target_archE910ELNS1_3gpuE8ELNS1_3repE0EEENS1_30default_config_static_selectorELNS0_4arch9wavefront6targetE1EEEvT1_,"axG",@progbits,_ZN7rocprim17ROCPRIM_400000_NS6detail17trampoline_kernelINS0_14default_configENS1_25partition_config_selectorILNS1_17partition_subalgoE8ElNS0_10empty_typeEbEEZZNS1_14partition_implILS5_8ELb0ES3_jPlPS6_PKS6_NS0_5tupleIJS9_S6_EEENSD_IJSA_SA_EEENS0_18inequality_wrapperIZN2at6native12_GLOBAL__N_124unique_dim_cuda_templateIdEESt5tupleIJNSH_6TensorESM_SM_EERKSM_lbbbEUlllE0_EEPmJS6_EEE10hipError_tPvRmT3_T4_T5_T6_T7_T9_mT8_P12ihipStream_tbDpT10_ENKUlT_T0_E_clISt17integral_constantIbLb0EES1C_EEDaS17_S18_EUlS17_E_NS1_11comp_targetILNS1_3genE4ELNS1_11target_archE910ELNS1_3gpuE8ELNS1_3repE0EEENS1_30default_config_static_selectorELNS0_4arch9wavefront6targetE1EEEvT1_,comdat
	.globl	_ZN7rocprim17ROCPRIM_400000_NS6detail17trampoline_kernelINS0_14default_configENS1_25partition_config_selectorILNS1_17partition_subalgoE8ElNS0_10empty_typeEbEEZZNS1_14partition_implILS5_8ELb0ES3_jPlPS6_PKS6_NS0_5tupleIJS9_S6_EEENSD_IJSA_SA_EEENS0_18inequality_wrapperIZN2at6native12_GLOBAL__N_124unique_dim_cuda_templateIdEESt5tupleIJNSH_6TensorESM_SM_EERKSM_lbbbEUlllE0_EEPmJS6_EEE10hipError_tPvRmT3_T4_T5_T6_T7_T9_mT8_P12ihipStream_tbDpT10_ENKUlT_T0_E_clISt17integral_constantIbLb0EES1C_EEDaS17_S18_EUlS17_E_NS1_11comp_targetILNS1_3genE4ELNS1_11target_archE910ELNS1_3gpuE8ELNS1_3repE0EEENS1_30default_config_static_selectorELNS0_4arch9wavefront6targetE1EEEvT1_ ; -- Begin function _ZN7rocprim17ROCPRIM_400000_NS6detail17trampoline_kernelINS0_14default_configENS1_25partition_config_selectorILNS1_17partition_subalgoE8ElNS0_10empty_typeEbEEZZNS1_14partition_implILS5_8ELb0ES3_jPlPS6_PKS6_NS0_5tupleIJS9_S6_EEENSD_IJSA_SA_EEENS0_18inequality_wrapperIZN2at6native12_GLOBAL__N_124unique_dim_cuda_templateIdEESt5tupleIJNSH_6TensorESM_SM_EERKSM_lbbbEUlllE0_EEPmJS6_EEE10hipError_tPvRmT3_T4_T5_T6_T7_T9_mT8_P12ihipStream_tbDpT10_ENKUlT_T0_E_clISt17integral_constantIbLb0EES1C_EEDaS17_S18_EUlS17_E_NS1_11comp_targetILNS1_3genE4ELNS1_11target_archE910ELNS1_3gpuE8ELNS1_3repE0EEENS1_30default_config_static_selectorELNS0_4arch9wavefront6targetE1EEEvT1_
	.p2align	8
	.type	_ZN7rocprim17ROCPRIM_400000_NS6detail17trampoline_kernelINS0_14default_configENS1_25partition_config_selectorILNS1_17partition_subalgoE8ElNS0_10empty_typeEbEEZZNS1_14partition_implILS5_8ELb0ES3_jPlPS6_PKS6_NS0_5tupleIJS9_S6_EEENSD_IJSA_SA_EEENS0_18inequality_wrapperIZN2at6native12_GLOBAL__N_124unique_dim_cuda_templateIdEESt5tupleIJNSH_6TensorESM_SM_EERKSM_lbbbEUlllE0_EEPmJS6_EEE10hipError_tPvRmT3_T4_T5_T6_T7_T9_mT8_P12ihipStream_tbDpT10_ENKUlT_T0_E_clISt17integral_constantIbLb0EES1C_EEDaS17_S18_EUlS17_E_NS1_11comp_targetILNS1_3genE4ELNS1_11target_archE910ELNS1_3gpuE8ELNS1_3repE0EEENS1_30default_config_static_selectorELNS0_4arch9wavefront6targetE1EEEvT1_,@function
_ZN7rocprim17ROCPRIM_400000_NS6detail17trampoline_kernelINS0_14default_configENS1_25partition_config_selectorILNS1_17partition_subalgoE8ElNS0_10empty_typeEbEEZZNS1_14partition_implILS5_8ELb0ES3_jPlPS6_PKS6_NS0_5tupleIJS9_S6_EEENSD_IJSA_SA_EEENS0_18inequality_wrapperIZN2at6native12_GLOBAL__N_124unique_dim_cuda_templateIdEESt5tupleIJNSH_6TensorESM_SM_EERKSM_lbbbEUlllE0_EEPmJS6_EEE10hipError_tPvRmT3_T4_T5_T6_T7_T9_mT8_P12ihipStream_tbDpT10_ENKUlT_T0_E_clISt17integral_constantIbLb0EES1C_EEDaS17_S18_EUlS17_E_NS1_11comp_targetILNS1_3genE4ELNS1_11target_archE910ELNS1_3gpuE8ELNS1_3repE0EEENS1_30default_config_static_selectorELNS0_4arch9wavefront6targetE1EEEvT1_: ; @_ZN7rocprim17ROCPRIM_400000_NS6detail17trampoline_kernelINS0_14default_configENS1_25partition_config_selectorILNS1_17partition_subalgoE8ElNS0_10empty_typeEbEEZZNS1_14partition_implILS5_8ELb0ES3_jPlPS6_PKS6_NS0_5tupleIJS9_S6_EEENSD_IJSA_SA_EEENS0_18inequality_wrapperIZN2at6native12_GLOBAL__N_124unique_dim_cuda_templateIdEESt5tupleIJNSH_6TensorESM_SM_EERKSM_lbbbEUlllE0_EEPmJS6_EEE10hipError_tPvRmT3_T4_T5_T6_T7_T9_mT8_P12ihipStream_tbDpT10_ENKUlT_T0_E_clISt17integral_constantIbLb0EES1C_EEDaS17_S18_EUlS17_E_NS1_11comp_targetILNS1_3genE4ELNS1_11target_archE910ELNS1_3gpuE8ELNS1_3repE0EEENS1_30default_config_static_selectorELNS0_4arch9wavefront6targetE1EEEvT1_
; %bb.0:
	.section	.rodata,"a",@progbits
	.p2align	6, 0x0
	.amdhsa_kernel _ZN7rocprim17ROCPRIM_400000_NS6detail17trampoline_kernelINS0_14default_configENS1_25partition_config_selectorILNS1_17partition_subalgoE8ElNS0_10empty_typeEbEEZZNS1_14partition_implILS5_8ELb0ES3_jPlPS6_PKS6_NS0_5tupleIJS9_S6_EEENSD_IJSA_SA_EEENS0_18inequality_wrapperIZN2at6native12_GLOBAL__N_124unique_dim_cuda_templateIdEESt5tupleIJNSH_6TensorESM_SM_EERKSM_lbbbEUlllE0_EEPmJS6_EEE10hipError_tPvRmT3_T4_T5_T6_T7_T9_mT8_P12ihipStream_tbDpT10_ENKUlT_T0_E_clISt17integral_constantIbLb0EES1C_EEDaS17_S18_EUlS17_E_NS1_11comp_targetILNS1_3genE4ELNS1_11target_archE910ELNS1_3gpuE8ELNS1_3repE0EEENS1_30default_config_static_selectorELNS0_4arch9wavefront6targetE1EEEvT1_
		.amdhsa_group_segment_fixed_size 0
		.amdhsa_private_segment_fixed_size 0
		.amdhsa_kernarg_size 120
		.amdhsa_user_sgpr_count 2
		.amdhsa_user_sgpr_dispatch_ptr 0
		.amdhsa_user_sgpr_queue_ptr 0
		.amdhsa_user_sgpr_kernarg_segment_ptr 1
		.amdhsa_user_sgpr_dispatch_id 0
		.amdhsa_user_sgpr_kernarg_preload_length 0
		.amdhsa_user_sgpr_kernarg_preload_offset 0
		.amdhsa_user_sgpr_private_segment_size 0
		.amdhsa_uses_dynamic_stack 0
		.amdhsa_enable_private_segment 0
		.amdhsa_system_sgpr_workgroup_id_x 1
		.amdhsa_system_sgpr_workgroup_id_y 0
		.amdhsa_system_sgpr_workgroup_id_z 0
		.amdhsa_system_sgpr_workgroup_info 0
		.amdhsa_system_vgpr_workitem_id 0
		.amdhsa_next_free_vgpr 1
		.amdhsa_next_free_sgpr 0
		.amdhsa_accum_offset 4
		.amdhsa_reserve_vcc 0
		.amdhsa_float_round_mode_32 0
		.amdhsa_float_round_mode_16_64 0
		.amdhsa_float_denorm_mode_32 3
		.amdhsa_float_denorm_mode_16_64 3
		.amdhsa_dx10_clamp 1
		.amdhsa_ieee_mode 1
		.amdhsa_fp16_overflow 0
		.amdhsa_tg_split 0
		.amdhsa_exception_fp_ieee_invalid_op 0
		.amdhsa_exception_fp_denorm_src 0
		.amdhsa_exception_fp_ieee_div_zero 0
		.amdhsa_exception_fp_ieee_overflow 0
		.amdhsa_exception_fp_ieee_underflow 0
		.amdhsa_exception_fp_ieee_inexact 0
		.amdhsa_exception_int_div_zero 0
	.end_amdhsa_kernel
	.section	.text._ZN7rocprim17ROCPRIM_400000_NS6detail17trampoline_kernelINS0_14default_configENS1_25partition_config_selectorILNS1_17partition_subalgoE8ElNS0_10empty_typeEbEEZZNS1_14partition_implILS5_8ELb0ES3_jPlPS6_PKS6_NS0_5tupleIJS9_S6_EEENSD_IJSA_SA_EEENS0_18inequality_wrapperIZN2at6native12_GLOBAL__N_124unique_dim_cuda_templateIdEESt5tupleIJNSH_6TensorESM_SM_EERKSM_lbbbEUlllE0_EEPmJS6_EEE10hipError_tPvRmT3_T4_T5_T6_T7_T9_mT8_P12ihipStream_tbDpT10_ENKUlT_T0_E_clISt17integral_constantIbLb0EES1C_EEDaS17_S18_EUlS17_E_NS1_11comp_targetILNS1_3genE4ELNS1_11target_archE910ELNS1_3gpuE8ELNS1_3repE0EEENS1_30default_config_static_selectorELNS0_4arch9wavefront6targetE1EEEvT1_,"axG",@progbits,_ZN7rocprim17ROCPRIM_400000_NS6detail17trampoline_kernelINS0_14default_configENS1_25partition_config_selectorILNS1_17partition_subalgoE8ElNS0_10empty_typeEbEEZZNS1_14partition_implILS5_8ELb0ES3_jPlPS6_PKS6_NS0_5tupleIJS9_S6_EEENSD_IJSA_SA_EEENS0_18inequality_wrapperIZN2at6native12_GLOBAL__N_124unique_dim_cuda_templateIdEESt5tupleIJNSH_6TensorESM_SM_EERKSM_lbbbEUlllE0_EEPmJS6_EEE10hipError_tPvRmT3_T4_T5_T6_T7_T9_mT8_P12ihipStream_tbDpT10_ENKUlT_T0_E_clISt17integral_constantIbLb0EES1C_EEDaS17_S18_EUlS17_E_NS1_11comp_targetILNS1_3genE4ELNS1_11target_archE910ELNS1_3gpuE8ELNS1_3repE0EEENS1_30default_config_static_selectorELNS0_4arch9wavefront6targetE1EEEvT1_,comdat
.Lfunc_end809:
	.size	_ZN7rocprim17ROCPRIM_400000_NS6detail17trampoline_kernelINS0_14default_configENS1_25partition_config_selectorILNS1_17partition_subalgoE8ElNS0_10empty_typeEbEEZZNS1_14partition_implILS5_8ELb0ES3_jPlPS6_PKS6_NS0_5tupleIJS9_S6_EEENSD_IJSA_SA_EEENS0_18inequality_wrapperIZN2at6native12_GLOBAL__N_124unique_dim_cuda_templateIdEESt5tupleIJNSH_6TensorESM_SM_EERKSM_lbbbEUlllE0_EEPmJS6_EEE10hipError_tPvRmT3_T4_T5_T6_T7_T9_mT8_P12ihipStream_tbDpT10_ENKUlT_T0_E_clISt17integral_constantIbLb0EES1C_EEDaS17_S18_EUlS17_E_NS1_11comp_targetILNS1_3genE4ELNS1_11target_archE910ELNS1_3gpuE8ELNS1_3repE0EEENS1_30default_config_static_selectorELNS0_4arch9wavefront6targetE1EEEvT1_, .Lfunc_end809-_ZN7rocprim17ROCPRIM_400000_NS6detail17trampoline_kernelINS0_14default_configENS1_25partition_config_selectorILNS1_17partition_subalgoE8ElNS0_10empty_typeEbEEZZNS1_14partition_implILS5_8ELb0ES3_jPlPS6_PKS6_NS0_5tupleIJS9_S6_EEENSD_IJSA_SA_EEENS0_18inequality_wrapperIZN2at6native12_GLOBAL__N_124unique_dim_cuda_templateIdEESt5tupleIJNSH_6TensorESM_SM_EERKSM_lbbbEUlllE0_EEPmJS6_EEE10hipError_tPvRmT3_T4_T5_T6_T7_T9_mT8_P12ihipStream_tbDpT10_ENKUlT_T0_E_clISt17integral_constantIbLb0EES1C_EEDaS17_S18_EUlS17_E_NS1_11comp_targetILNS1_3genE4ELNS1_11target_archE910ELNS1_3gpuE8ELNS1_3repE0EEENS1_30default_config_static_selectorELNS0_4arch9wavefront6targetE1EEEvT1_
                                        ; -- End function
	.set _ZN7rocprim17ROCPRIM_400000_NS6detail17trampoline_kernelINS0_14default_configENS1_25partition_config_selectorILNS1_17partition_subalgoE8ElNS0_10empty_typeEbEEZZNS1_14partition_implILS5_8ELb0ES3_jPlPS6_PKS6_NS0_5tupleIJS9_S6_EEENSD_IJSA_SA_EEENS0_18inequality_wrapperIZN2at6native12_GLOBAL__N_124unique_dim_cuda_templateIdEESt5tupleIJNSH_6TensorESM_SM_EERKSM_lbbbEUlllE0_EEPmJS6_EEE10hipError_tPvRmT3_T4_T5_T6_T7_T9_mT8_P12ihipStream_tbDpT10_ENKUlT_T0_E_clISt17integral_constantIbLb0EES1C_EEDaS17_S18_EUlS17_E_NS1_11comp_targetILNS1_3genE4ELNS1_11target_archE910ELNS1_3gpuE8ELNS1_3repE0EEENS1_30default_config_static_selectorELNS0_4arch9wavefront6targetE1EEEvT1_.num_vgpr, 0
	.set _ZN7rocprim17ROCPRIM_400000_NS6detail17trampoline_kernelINS0_14default_configENS1_25partition_config_selectorILNS1_17partition_subalgoE8ElNS0_10empty_typeEbEEZZNS1_14partition_implILS5_8ELb0ES3_jPlPS6_PKS6_NS0_5tupleIJS9_S6_EEENSD_IJSA_SA_EEENS0_18inequality_wrapperIZN2at6native12_GLOBAL__N_124unique_dim_cuda_templateIdEESt5tupleIJNSH_6TensorESM_SM_EERKSM_lbbbEUlllE0_EEPmJS6_EEE10hipError_tPvRmT3_T4_T5_T6_T7_T9_mT8_P12ihipStream_tbDpT10_ENKUlT_T0_E_clISt17integral_constantIbLb0EES1C_EEDaS17_S18_EUlS17_E_NS1_11comp_targetILNS1_3genE4ELNS1_11target_archE910ELNS1_3gpuE8ELNS1_3repE0EEENS1_30default_config_static_selectorELNS0_4arch9wavefront6targetE1EEEvT1_.num_agpr, 0
	.set _ZN7rocprim17ROCPRIM_400000_NS6detail17trampoline_kernelINS0_14default_configENS1_25partition_config_selectorILNS1_17partition_subalgoE8ElNS0_10empty_typeEbEEZZNS1_14partition_implILS5_8ELb0ES3_jPlPS6_PKS6_NS0_5tupleIJS9_S6_EEENSD_IJSA_SA_EEENS0_18inequality_wrapperIZN2at6native12_GLOBAL__N_124unique_dim_cuda_templateIdEESt5tupleIJNSH_6TensorESM_SM_EERKSM_lbbbEUlllE0_EEPmJS6_EEE10hipError_tPvRmT3_T4_T5_T6_T7_T9_mT8_P12ihipStream_tbDpT10_ENKUlT_T0_E_clISt17integral_constantIbLb0EES1C_EEDaS17_S18_EUlS17_E_NS1_11comp_targetILNS1_3genE4ELNS1_11target_archE910ELNS1_3gpuE8ELNS1_3repE0EEENS1_30default_config_static_selectorELNS0_4arch9wavefront6targetE1EEEvT1_.numbered_sgpr, 0
	.set _ZN7rocprim17ROCPRIM_400000_NS6detail17trampoline_kernelINS0_14default_configENS1_25partition_config_selectorILNS1_17partition_subalgoE8ElNS0_10empty_typeEbEEZZNS1_14partition_implILS5_8ELb0ES3_jPlPS6_PKS6_NS0_5tupleIJS9_S6_EEENSD_IJSA_SA_EEENS0_18inequality_wrapperIZN2at6native12_GLOBAL__N_124unique_dim_cuda_templateIdEESt5tupleIJNSH_6TensorESM_SM_EERKSM_lbbbEUlllE0_EEPmJS6_EEE10hipError_tPvRmT3_T4_T5_T6_T7_T9_mT8_P12ihipStream_tbDpT10_ENKUlT_T0_E_clISt17integral_constantIbLb0EES1C_EEDaS17_S18_EUlS17_E_NS1_11comp_targetILNS1_3genE4ELNS1_11target_archE910ELNS1_3gpuE8ELNS1_3repE0EEENS1_30default_config_static_selectorELNS0_4arch9wavefront6targetE1EEEvT1_.num_named_barrier, 0
	.set _ZN7rocprim17ROCPRIM_400000_NS6detail17trampoline_kernelINS0_14default_configENS1_25partition_config_selectorILNS1_17partition_subalgoE8ElNS0_10empty_typeEbEEZZNS1_14partition_implILS5_8ELb0ES3_jPlPS6_PKS6_NS0_5tupleIJS9_S6_EEENSD_IJSA_SA_EEENS0_18inequality_wrapperIZN2at6native12_GLOBAL__N_124unique_dim_cuda_templateIdEESt5tupleIJNSH_6TensorESM_SM_EERKSM_lbbbEUlllE0_EEPmJS6_EEE10hipError_tPvRmT3_T4_T5_T6_T7_T9_mT8_P12ihipStream_tbDpT10_ENKUlT_T0_E_clISt17integral_constantIbLb0EES1C_EEDaS17_S18_EUlS17_E_NS1_11comp_targetILNS1_3genE4ELNS1_11target_archE910ELNS1_3gpuE8ELNS1_3repE0EEENS1_30default_config_static_selectorELNS0_4arch9wavefront6targetE1EEEvT1_.private_seg_size, 0
	.set _ZN7rocprim17ROCPRIM_400000_NS6detail17trampoline_kernelINS0_14default_configENS1_25partition_config_selectorILNS1_17partition_subalgoE8ElNS0_10empty_typeEbEEZZNS1_14partition_implILS5_8ELb0ES3_jPlPS6_PKS6_NS0_5tupleIJS9_S6_EEENSD_IJSA_SA_EEENS0_18inequality_wrapperIZN2at6native12_GLOBAL__N_124unique_dim_cuda_templateIdEESt5tupleIJNSH_6TensorESM_SM_EERKSM_lbbbEUlllE0_EEPmJS6_EEE10hipError_tPvRmT3_T4_T5_T6_T7_T9_mT8_P12ihipStream_tbDpT10_ENKUlT_T0_E_clISt17integral_constantIbLb0EES1C_EEDaS17_S18_EUlS17_E_NS1_11comp_targetILNS1_3genE4ELNS1_11target_archE910ELNS1_3gpuE8ELNS1_3repE0EEENS1_30default_config_static_selectorELNS0_4arch9wavefront6targetE1EEEvT1_.uses_vcc, 0
	.set _ZN7rocprim17ROCPRIM_400000_NS6detail17trampoline_kernelINS0_14default_configENS1_25partition_config_selectorILNS1_17partition_subalgoE8ElNS0_10empty_typeEbEEZZNS1_14partition_implILS5_8ELb0ES3_jPlPS6_PKS6_NS0_5tupleIJS9_S6_EEENSD_IJSA_SA_EEENS0_18inequality_wrapperIZN2at6native12_GLOBAL__N_124unique_dim_cuda_templateIdEESt5tupleIJNSH_6TensorESM_SM_EERKSM_lbbbEUlllE0_EEPmJS6_EEE10hipError_tPvRmT3_T4_T5_T6_T7_T9_mT8_P12ihipStream_tbDpT10_ENKUlT_T0_E_clISt17integral_constantIbLb0EES1C_EEDaS17_S18_EUlS17_E_NS1_11comp_targetILNS1_3genE4ELNS1_11target_archE910ELNS1_3gpuE8ELNS1_3repE0EEENS1_30default_config_static_selectorELNS0_4arch9wavefront6targetE1EEEvT1_.uses_flat_scratch, 0
	.set _ZN7rocprim17ROCPRIM_400000_NS6detail17trampoline_kernelINS0_14default_configENS1_25partition_config_selectorILNS1_17partition_subalgoE8ElNS0_10empty_typeEbEEZZNS1_14partition_implILS5_8ELb0ES3_jPlPS6_PKS6_NS0_5tupleIJS9_S6_EEENSD_IJSA_SA_EEENS0_18inequality_wrapperIZN2at6native12_GLOBAL__N_124unique_dim_cuda_templateIdEESt5tupleIJNSH_6TensorESM_SM_EERKSM_lbbbEUlllE0_EEPmJS6_EEE10hipError_tPvRmT3_T4_T5_T6_T7_T9_mT8_P12ihipStream_tbDpT10_ENKUlT_T0_E_clISt17integral_constantIbLb0EES1C_EEDaS17_S18_EUlS17_E_NS1_11comp_targetILNS1_3genE4ELNS1_11target_archE910ELNS1_3gpuE8ELNS1_3repE0EEENS1_30default_config_static_selectorELNS0_4arch9wavefront6targetE1EEEvT1_.has_dyn_sized_stack, 0
	.set _ZN7rocprim17ROCPRIM_400000_NS6detail17trampoline_kernelINS0_14default_configENS1_25partition_config_selectorILNS1_17partition_subalgoE8ElNS0_10empty_typeEbEEZZNS1_14partition_implILS5_8ELb0ES3_jPlPS6_PKS6_NS0_5tupleIJS9_S6_EEENSD_IJSA_SA_EEENS0_18inequality_wrapperIZN2at6native12_GLOBAL__N_124unique_dim_cuda_templateIdEESt5tupleIJNSH_6TensorESM_SM_EERKSM_lbbbEUlllE0_EEPmJS6_EEE10hipError_tPvRmT3_T4_T5_T6_T7_T9_mT8_P12ihipStream_tbDpT10_ENKUlT_T0_E_clISt17integral_constantIbLb0EES1C_EEDaS17_S18_EUlS17_E_NS1_11comp_targetILNS1_3genE4ELNS1_11target_archE910ELNS1_3gpuE8ELNS1_3repE0EEENS1_30default_config_static_selectorELNS0_4arch9wavefront6targetE1EEEvT1_.has_recursion, 0
	.set _ZN7rocprim17ROCPRIM_400000_NS6detail17trampoline_kernelINS0_14default_configENS1_25partition_config_selectorILNS1_17partition_subalgoE8ElNS0_10empty_typeEbEEZZNS1_14partition_implILS5_8ELb0ES3_jPlPS6_PKS6_NS0_5tupleIJS9_S6_EEENSD_IJSA_SA_EEENS0_18inequality_wrapperIZN2at6native12_GLOBAL__N_124unique_dim_cuda_templateIdEESt5tupleIJNSH_6TensorESM_SM_EERKSM_lbbbEUlllE0_EEPmJS6_EEE10hipError_tPvRmT3_T4_T5_T6_T7_T9_mT8_P12ihipStream_tbDpT10_ENKUlT_T0_E_clISt17integral_constantIbLb0EES1C_EEDaS17_S18_EUlS17_E_NS1_11comp_targetILNS1_3genE4ELNS1_11target_archE910ELNS1_3gpuE8ELNS1_3repE0EEENS1_30default_config_static_selectorELNS0_4arch9wavefront6targetE1EEEvT1_.has_indirect_call, 0
	.section	.AMDGPU.csdata,"",@progbits
; Kernel info:
; codeLenInByte = 0
; TotalNumSgprs: 6
; NumVgprs: 0
; NumAgprs: 0
; TotalNumVgprs: 0
; ScratchSize: 0
; MemoryBound: 0
; FloatMode: 240
; IeeeMode: 1
; LDSByteSize: 0 bytes/workgroup (compile time only)
; SGPRBlocks: 0
; VGPRBlocks: 0
; NumSGPRsForWavesPerEU: 6
; NumVGPRsForWavesPerEU: 1
; AccumOffset: 4
; Occupancy: 8
; WaveLimiterHint : 0
; COMPUTE_PGM_RSRC2:SCRATCH_EN: 0
; COMPUTE_PGM_RSRC2:USER_SGPR: 2
; COMPUTE_PGM_RSRC2:TRAP_HANDLER: 0
; COMPUTE_PGM_RSRC2:TGID_X_EN: 1
; COMPUTE_PGM_RSRC2:TGID_Y_EN: 0
; COMPUTE_PGM_RSRC2:TGID_Z_EN: 0
; COMPUTE_PGM_RSRC2:TIDIG_COMP_CNT: 0
; COMPUTE_PGM_RSRC3_GFX90A:ACCUM_OFFSET: 0
; COMPUTE_PGM_RSRC3_GFX90A:TG_SPLIT: 0
	.section	.text._ZN7rocprim17ROCPRIM_400000_NS6detail17trampoline_kernelINS0_14default_configENS1_25partition_config_selectorILNS1_17partition_subalgoE8ElNS0_10empty_typeEbEEZZNS1_14partition_implILS5_8ELb0ES3_jPlPS6_PKS6_NS0_5tupleIJS9_S6_EEENSD_IJSA_SA_EEENS0_18inequality_wrapperIZN2at6native12_GLOBAL__N_124unique_dim_cuda_templateIdEESt5tupleIJNSH_6TensorESM_SM_EERKSM_lbbbEUlllE0_EEPmJS6_EEE10hipError_tPvRmT3_T4_T5_T6_T7_T9_mT8_P12ihipStream_tbDpT10_ENKUlT_T0_E_clISt17integral_constantIbLb0EES1C_EEDaS17_S18_EUlS17_E_NS1_11comp_targetILNS1_3genE3ELNS1_11target_archE908ELNS1_3gpuE7ELNS1_3repE0EEENS1_30default_config_static_selectorELNS0_4arch9wavefront6targetE1EEEvT1_,"axG",@progbits,_ZN7rocprim17ROCPRIM_400000_NS6detail17trampoline_kernelINS0_14default_configENS1_25partition_config_selectorILNS1_17partition_subalgoE8ElNS0_10empty_typeEbEEZZNS1_14partition_implILS5_8ELb0ES3_jPlPS6_PKS6_NS0_5tupleIJS9_S6_EEENSD_IJSA_SA_EEENS0_18inequality_wrapperIZN2at6native12_GLOBAL__N_124unique_dim_cuda_templateIdEESt5tupleIJNSH_6TensorESM_SM_EERKSM_lbbbEUlllE0_EEPmJS6_EEE10hipError_tPvRmT3_T4_T5_T6_T7_T9_mT8_P12ihipStream_tbDpT10_ENKUlT_T0_E_clISt17integral_constantIbLb0EES1C_EEDaS17_S18_EUlS17_E_NS1_11comp_targetILNS1_3genE3ELNS1_11target_archE908ELNS1_3gpuE7ELNS1_3repE0EEENS1_30default_config_static_selectorELNS0_4arch9wavefront6targetE1EEEvT1_,comdat
	.globl	_ZN7rocprim17ROCPRIM_400000_NS6detail17trampoline_kernelINS0_14default_configENS1_25partition_config_selectorILNS1_17partition_subalgoE8ElNS0_10empty_typeEbEEZZNS1_14partition_implILS5_8ELb0ES3_jPlPS6_PKS6_NS0_5tupleIJS9_S6_EEENSD_IJSA_SA_EEENS0_18inequality_wrapperIZN2at6native12_GLOBAL__N_124unique_dim_cuda_templateIdEESt5tupleIJNSH_6TensorESM_SM_EERKSM_lbbbEUlllE0_EEPmJS6_EEE10hipError_tPvRmT3_T4_T5_T6_T7_T9_mT8_P12ihipStream_tbDpT10_ENKUlT_T0_E_clISt17integral_constantIbLb0EES1C_EEDaS17_S18_EUlS17_E_NS1_11comp_targetILNS1_3genE3ELNS1_11target_archE908ELNS1_3gpuE7ELNS1_3repE0EEENS1_30default_config_static_selectorELNS0_4arch9wavefront6targetE1EEEvT1_ ; -- Begin function _ZN7rocprim17ROCPRIM_400000_NS6detail17trampoline_kernelINS0_14default_configENS1_25partition_config_selectorILNS1_17partition_subalgoE8ElNS0_10empty_typeEbEEZZNS1_14partition_implILS5_8ELb0ES3_jPlPS6_PKS6_NS0_5tupleIJS9_S6_EEENSD_IJSA_SA_EEENS0_18inequality_wrapperIZN2at6native12_GLOBAL__N_124unique_dim_cuda_templateIdEESt5tupleIJNSH_6TensorESM_SM_EERKSM_lbbbEUlllE0_EEPmJS6_EEE10hipError_tPvRmT3_T4_T5_T6_T7_T9_mT8_P12ihipStream_tbDpT10_ENKUlT_T0_E_clISt17integral_constantIbLb0EES1C_EEDaS17_S18_EUlS17_E_NS1_11comp_targetILNS1_3genE3ELNS1_11target_archE908ELNS1_3gpuE7ELNS1_3repE0EEENS1_30default_config_static_selectorELNS0_4arch9wavefront6targetE1EEEvT1_
	.p2align	8
	.type	_ZN7rocprim17ROCPRIM_400000_NS6detail17trampoline_kernelINS0_14default_configENS1_25partition_config_selectorILNS1_17partition_subalgoE8ElNS0_10empty_typeEbEEZZNS1_14partition_implILS5_8ELb0ES3_jPlPS6_PKS6_NS0_5tupleIJS9_S6_EEENSD_IJSA_SA_EEENS0_18inequality_wrapperIZN2at6native12_GLOBAL__N_124unique_dim_cuda_templateIdEESt5tupleIJNSH_6TensorESM_SM_EERKSM_lbbbEUlllE0_EEPmJS6_EEE10hipError_tPvRmT3_T4_T5_T6_T7_T9_mT8_P12ihipStream_tbDpT10_ENKUlT_T0_E_clISt17integral_constantIbLb0EES1C_EEDaS17_S18_EUlS17_E_NS1_11comp_targetILNS1_3genE3ELNS1_11target_archE908ELNS1_3gpuE7ELNS1_3repE0EEENS1_30default_config_static_selectorELNS0_4arch9wavefront6targetE1EEEvT1_,@function
_ZN7rocprim17ROCPRIM_400000_NS6detail17trampoline_kernelINS0_14default_configENS1_25partition_config_selectorILNS1_17partition_subalgoE8ElNS0_10empty_typeEbEEZZNS1_14partition_implILS5_8ELb0ES3_jPlPS6_PKS6_NS0_5tupleIJS9_S6_EEENSD_IJSA_SA_EEENS0_18inequality_wrapperIZN2at6native12_GLOBAL__N_124unique_dim_cuda_templateIdEESt5tupleIJNSH_6TensorESM_SM_EERKSM_lbbbEUlllE0_EEPmJS6_EEE10hipError_tPvRmT3_T4_T5_T6_T7_T9_mT8_P12ihipStream_tbDpT10_ENKUlT_T0_E_clISt17integral_constantIbLb0EES1C_EEDaS17_S18_EUlS17_E_NS1_11comp_targetILNS1_3genE3ELNS1_11target_archE908ELNS1_3gpuE7ELNS1_3repE0EEENS1_30default_config_static_selectorELNS0_4arch9wavefront6targetE1EEEvT1_: ; @_ZN7rocprim17ROCPRIM_400000_NS6detail17trampoline_kernelINS0_14default_configENS1_25partition_config_selectorILNS1_17partition_subalgoE8ElNS0_10empty_typeEbEEZZNS1_14partition_implILS5_8ELb0ES3_jPlPS6_PKS6_NS0_5tupleIJS9_S6_EEENSD_IJSA_SA_EEENS0_18inequality_wrapperIZN2at6native12_GLOBAL__N_124unique_dim_cuda_templateIdEESt5tupleIJNSH_6TensorESM_SM_EERKSM_lbbbEUlllE0_EEPmJS6_EEE10hipError_tPvRmT3_T4_T5_T6_T7_T9_mT8_P12ihipStream_tbDpT10_ENKUlT_T0_E_clISt17integral_constantIbLb0EES1C_EEDaS17_S18_EUlS17_E_NS1_11comp_targetILNS1_3genE3ELNS1_11target_archE908ELNS1_3gpuE7ELNS1_3repE0EEENS1_30default_config_static_selectorELNS0_4arch9wavefront6targetE1EEEvT1_
; %bb.0:
	.section	.rodata,"a",@progbits
	.p2align	6, 0x0
	.amdhsa_kernel _ZN7rocprim17ROCPRIM_400000_NS6detail17trampoline_kernelINS0_14default_configENS1_25partition_config_selectorILNS1_17partition_subalgoE8ElNS0_10empty_typeEbEEZZNS1_14partition_implILS5_8ELb0ES3_jPlPS6_PKS6_NS0_5tupleIJS9_S6_EEENSD_IJSA_SA_EEENS0_18inequality_wrapperIZN2at6native12_GLOBAL__N_124unique_dim_cuda_templateIdEESt5tupleIJNSH_6TensorESM_SM_EERKSM_lbbbEUlllE0_EEPmJS6_EEE10hipError_tPvRmT3_T4_T5_T6_T7_T9_mT8_P12ihipStream_tbDpT10_ENKUlT_T0_E_clISt17integral_constantIbLb0EES1C_EEDaS17_S18_EUlS17_E_NS1_11comp_targetILNS1_3genE3ELNS1_11target_archE908ELNS1_3gpuE7ELNS1_3repE0EEENS1_30default_config_static_selectorELNS0_4arch9wavefront6targetE1EEEvT1_
		.amdhsa_group_segment_fixed_size 0
		.amdhsa_private_segment_fixed_size 0
		.amdhsa_kernarg_size 120
		.amdhsa_user_sgpr_count 2
		.amdhsa_user_sgpr_dispatch_ptr 0
		.amdhsa_user_sgpr_queue_ptr 0
		.amdhsa_user_sgpr_kernarg_segment_ptr 1
		.amdhsa_user_sgpr_dispatch_id 0
		.amdhsa_user_sgpr_kernarg_preload_length 0
		.amdhsa_user_sgpr_kernarg_preload_offset 0
		.amdhsa_user_sgpr_private_segment_size 0
		.amdhsa_uses_dynamic_stack 0
		.amdhsa_enable_private_segment 0
		.amdhsa_system_sgpr_workgroup_id_x 1
		.amdhsa_system_sgpr_workgroup_id_y 0
		.amdhsa_system_sgpr_workgroup_id_z 0
		.amdhsa_system_sgpr_workgroup_info 0
		.amdhsa_system_vgpr_workitem_id 0
		.amdhsa_next_free_vgpr 1
		.amdhsa_next_free_sgpr 0
		.amdhsa_accum_offset 4
		.amdhsa_reserve_vcc 0
		.amdhsa_float_round_mode_32 0
		.amdhsa_float_round_mode_16_64 0
		.amdhsa_float_denorm_mode_32 3
		.amdhsa_float_denorm_mode_16_64 3
		.amdhsa_dx10_clamp 1
		.amdhsa_ieee_mode 1
		.amdhsa_fp16_overflow 0
		.amdhsa_tg_split 0
		.amdhsa_exception_fp_ieee_invalid_op 0
		.amdhsa_exception_fp_denorm_src 0
		.amdhsa_exception_fp_ieee_div_zero 0
		.amdhsa_exception_fp_ieee_overflow 0
		.amdhsa_exception_fp_ieee_underflow 0
		.amdhsa_exception_fp_ieee_inexact 0
		.amdhsa_exception_int_div_zero 0
	.end_amdhsa_kernel
	.section	.text._ZN7rocprim17ROCPRIM_400000_NS6detail17trampoline_kernelINS0_14default_configENS1_25partition_config_selectorILNS1_17partition_subalgoE8ElNS0_10empty_typeEbEEZZNS1_14partition_implILS5_8ELb0ES3_jPlPS6_PKS6_NS0_5tupleIJS9_S6_EEENSD_IJSA_SA_EEENS0_18inequality_wrapperIZN2at6native12_GLOBAL__N_124unique_dim_cuda_templateIdEESt5tupleIJNSH_6TensorESM_SM_EERKSM_lbbbEUlllE0_EEPmJS6_EEE10hipError_tPvRmT3_T4_T5_T6_T7_T9_mT8_P12ihipStream_tbDpT10_ENKUlT_T0_E_clISt17integral_constantIbLb0EES1C_EEDaS17_S18_EUlS17_E_NS1_11comp_targetILNS1_3genE3ELNS1_11target_archE908ELNS1_3gpuE7ELNS1_3repE0EEENS1_30default_config_static_selectorELNS0_4arch9wavefront6targetE1EEEvT1_,"axG",@progbits,_ZN7rocprim17ROCPRIM_400000_NS6detail17trampoline_kernelINS0_14default_configENS1_25partition_config_selectorILNS1_17partition_subalgoE8ElNS0_10empty_typeEbEEZZNS1_14partition_implILS5_8ELb0ES3_jPlPS6_PKS6_NS0_5tupleIJS9_S6_EEENSD_IJSA_SA_EEENS0_18inequality_wrapperIZN2at6native12_GLOBAL__N_124unique_dim_cuda_templateIdEESt5tupleIJNSH_6TensorESM_SM_EERKSM_lbbbEUlllE0_EEPmJS6_EEE10hipError_tPvRmT3_T4_T5_T6_T7_T9_mT8_P12ihipStream_tbDpT10_ENKUlT_T0_E_clISt17integral_constantIbLb0EES1C_EEDaS17_S18_EUlS17_E_NS1_11comp_targetILNS1_3genE3ELNS1_11target_archE908ELNS1_3gpuE7ELNS1_3repE0EEENS1_30default_config_static_selectorELNS0_4arch9wavefront6targetE1EEEvT1_,comdat
.Lfunc_end810:
	.size	_ZN7rocprim17ROCPRIM_400000_NS6detail17trampoline_kernelINS0_14default_configENS1_25partition_config_selectorILNS1_17partition_subalgoE8ElNS0_10empty_typeEbEEZZNS1_14partition_implILS5_8ELb0ES3_jPlPS6_PKS6_NS0_5tupleIJS9_S6_EEENSD_IJSA_SA_EEENS0_18inequality_wrapperIZN2at6native12_GLOBAL__N_124unique_dim_cuda_templateIdEESt5tupleIJNSH_6TensorESM_SM_EERKSM_lbbbEUlllE0_EEPmJS6_EEE10hipError_tPvRmT3_T4_T5_T6_T7_T9_mT8_P12ihipStream_tbDpT10_ENKUlT_T0_E_clISt17integral_constantIbLb0EES1C_EEDaS17_S18_EUlS17_E_NS1_11comp_targetILNS1_3genE3ELNS1_11target_archE908ELNS1_3gpuE7ELNS1_3repE0EEENS1_30default_config_static_selectorELNS0_4arch9wavefront6targetE1EEEvT1_, .Lfunc_end810-_ZN7rocprim17ROCPRIM_400000_NS6detail17trampoline_kernelINS0_14default_configENS1_25partition_config_selectorILNS1_17partition_subalgoE8ElNS0_10empty_typeEbEEZZNS1_14partition_implILS5_8ELb0ES3_jPlPS6_PKS6_NS0_5tupleIJS9_S6_EEENSD_IJSA_SA_EEENS0_18inequality_wrapperIZN2at6native12_GLOBAL__N_124unique_dim_cuda_templateIdEESt5tupleIJNSH_6TensorESM_SM_EERKSM_lbbbEUlllE0_EEPmJS6_EEE10hipError_tPvRmT3_T4_T5_T6_T7_T9_mT8_P12ihipStream_tbDpT10_ENKUlT_T0_E_clISt17integral_constantIbLb0EES1C_EEDaS17_S18_EUlS17_E_NS1_11comp_targetILNS1_3genE3ELNS1_11target_archE908ELNS1_3gpuE7ELNS1_3repE0EEENS1_30default_config_static_selectorELNS0_4arch9wavefront6targetE1EEEvT1_
                                        ; -- End function
	.set _ZN7rocprim17ROCPRIM_400000_NS6detail17trampoline_kernelINS0_14default_configENS1_25partition_config_selectorILNS1_17partition_subalgoE8ElNS0_10empty_typeEbEEZZNS1_14partition_implILS5_8ELb0ES3_jPlPS6_PKS6_NS0_5tupleIJS9_S6_EEENSD_IJSA_SA_EEENS0_18inequality_wrapperIZN2at6native12_GLOBAL__N_124unique_dim_cuda_templateIdEESt5tupleIJNSH_6TensorESM_SM_EERKSM_lbbbEUlllE0_EEPmJS6_EEE10hipError_tPvRmT3_T4_T5_T6_T7_T9_mT8_P12ihipStream_tbDpT10_ENKUlT_T0_E_clISt17integral_constantIbLb0EES1C_EEDaS17_S18_EUlS17_E_NS1_11comp_targetILNS1_3genE3ELNS1_11target_archE908ELNS1_3gpuE7ELNS1_3repE0EEENS1_30default_config_static_selectorELNS0_4arch9wavefront6targetE1EEEvT1_.num_vgpr, 0
	.set _ZN7rocprim17ROCPRIM_400000_NS6detail17trampoline_kernelINS0_14default_configENS1_25partition_config_selectorILNS1_17partition_subalgoE8ElNS0_10empty_typeEbEEZZNS1_14partition_implILS5_8ELb0ES3_jPlPS6_PKS6_NS0_5tupleIJS9_S6_EEENSD_IJSA_SA_EEENS0_18inequality_wrapperIZN2at6native12_GLOBAL__N_124unique_dim_cuda_templateIdEESt5tupleIJNSH_6TensorESM_SM_EERKSM_lbbbEUlllE0_EEPmJS6_EEE10hipError_tPvRmT3_T4_T5_T6_T7_T9_mT8_P12ihipStream_tbDpT10_ENKUlT_T0_E_clISt17integral_constantIbLb0EES1C_EEDaS17_S18_EUlS17_E_NS1_11comp_targetILNS1_3genE3ELNS1_11target_archE908ELNS1_3gpuE7ELNS1_3repE0EEENS1_30default_config_static_selectorELNS0_4arch9wavefront6targetE1EEEvT1_.num_agpr, 0
	.set _ZN7rocprim17ROCPRIM_400000_NS6detail17trampoline_kernelINS0_14default_configENS1_25partition_config_selectorILNS1_17partition_subalgoE8ElNS0_10empty_typeEbEEZZNS1_14partition_implILS5_8ELb0ES3_jPlPS6_PKS6_NS0_5tupleIJS9_S6_EEENSD_IJSA_SA_EEENS0_18inequality_wrapperIZN2at6native12_GLOBAL__N_124unique_dim_cuda_templateIdEESt5tupleIJNSH_6TensorESM_SM_EERKSM_lbbbEUlllE0_EEPmJS6_EEE10hipError_tPvRmT3_T4_T5_T6_T7_T9_mT8_P12ihipStream_tbDpT10_ENKUlT_T0_E_clISt17integral_constantIbLb0EES1C_EEDaS17_S18_EUlS17_E_NS1_11comp_targetILNS1_3genE3ELNS1_11target_archE908ELNS1_3gpuE7ELNS1_3repE0EEENS1_30default_config_static_selectorELNS0_4arch9wavefront6targetE1EEEvT1_.numbered_sgpr, 0
	.set _ZN7rocprim17ROCPRIM_400000_NS6detail17trampoline_kernelINS0_14default_configENS1_25partition_config_selectorILNS1_17partition_subalgoE8ElNS0_10empty_typeEbEEZZNS1_14partition_implILS5_8ELb0ES3_jPlPS6_PKS6_NS0_5tupleIJS9_S6_EEENSD_IJSA_SA_EEENS0_18inequality_wrapperIZN2at6native12_GLOBAL__N_124unique_dim_cuda_templateIdEESt5tupleIJNSH_6TensorESM_SM_EERKSM_lbbbEUlllE0_EEPmJS6_EEE10hipError_tPvRmT3_T4_T5_T6_T7_T9_mT8_P12ihipStream_tbDpT10_ENKUlT_T0_E_clISt17integral_constantIbLb0EES1C_EEDaS17_S18_EUlS17_E_NS1_11comp_targetILNS1_3genE3ELNS1_11target_archE908ELNS1_3gpuE7ELNS1_3repE0EEENS1_30default_config_static_selectorELNS0_4arch9wavefront6targetE1EEEvT1_.num_named_barrier, 0
	.set _ZN7rocprim17ROCPRIM_400000_NS6detail17trampoline_kernelINS0_14default_configENS1_25partition_config_selectorILNS1_17partition_subalgoE8ElNS0_10empty_typeEbEEZZNS1_14partition_implILS5_8ELb0ES3_jPlPS6_PKS6_NS0_5tupleIJS9_S6_EEENSD_IJSA_SA_EEENS0_18inequality_wrapperIZN2at6native12_GLOBAL__N_124unique_dim_cuda_templateIdEESt5tupleIJNSH_6TensorESM_SM_EERKSM_lbbbEUlllE0_EEPmJS6_EEE10hipError_tPvRmT3_T4_T5_T6_T7_T9_mT8_P12ihipStream_tbDpT10_ENKUlT_T0_E_clISt17integral_constantIbLb0EES1C_EEDaS17_S18_EUlS17_E_NS1_11comp_targetILNS1_3genE3ELNS1_11target_archE908ELNS1_3gpuE7ELNS1_3repE0EEENS1_30default_config_static_selectorELNS0_4arch9wavefront6targetE1EEEvT1_.private_seg_size, 0
	.set _ZN7rocprim17ROCPRIM_400000_NS6detail17trampoline_kernelINS0_14default_configENS1_25partition_config_selectorILNS1_17partition_subalgoE8ElNS0_10empty_typeEbEEZZNS1_14partition_implILS5_8ELb0ES3_jPlPS6_PKS6_NS0_5tupleIJS9_S6_EEENSD_IJSA_SA_EEENS0_18inequality_wrapperIZN2at6native12_GLOBAL__N_124unique_dim_cuda_templateIdEESt5tupleIJNSH_6TensorESM_SM_EERKSM_lbbbEUlllE0_EEPmJS6_EEE10hipError_tPvRmT3_T4_T5_T6_T7_T9_mT8_P12ihipStream_tbDpT10_ENKUlT_T0_E_clISt17integral_constantIbLb0EES1C_EEDaS17_S18_EUlS17_E_NS1_11comp_targetILNS1_3genE3ELNS1_11target_archE908ELNS1_3gpuE7ELNS1_3repE0EEENS1_30default_config_static_selectorELNS0_4arch9wavefront6targetE1EEEvT1_.uses_vcc, 0
	.set _ZN7rocprim17ROCPRIM_400000_NS6detail17trampoline_kernelINS0_14default_configENS1_25partition_config_selectorILNS1_17partition_subalgoE8ElNS0_10empty_typeEbEEZZNS1_14partition_implILS5_8ELb0ES3_jPlPS6_PKS6_NS0_5tupleIJS9_S6_EEENSD_IJSA_SA_EEENS0_18inequality_wrapperIZN2at6native12_GLOBAL__N_124unique_dim_cuda_templateIdEESt5tupleIJNSH_6TensorESM_SM_EERKSM_lbbbEUlllE0_EEPmJS6_EEE10hipError_tPvRmT3_T4_T5_T6_T7_T9_mT8_P12ihipStream_tbDpT10_ENKUlT_T0_E_clISt17integral_constantIbLb0EES1C_EEDaS17_S18_EUlS17_E_NS1_11comp_targetILNS1_3genE3ELNS1_11target_archE908ELNS1_3gpuE7ELNS1_3repE0EEENS1_30default_config_static_selectorELNS0_4arch9wavefront6targetE1EEEvT1_.uses_flat_scratch, 0
	.set _ZN7rocprim17ROCPRIM_400000_NS6detail17trampoline_kernelINS0_14default_configENS1_25partition_config_selectorILNS1_17partition_subalgoE8ElNS0_10empty_typeEbEEZZNS1_14partition_implILS5_8ELb0ES3_jPlPS6_PKS6_NS0_5tupleIJS9_S6_EEENSD_IJSA_SA_EEENS0_18inequality_wrapperIZN2at6native12_GLOBAL__N_124unique_dim_cuda_templateIdEESt5tupleIJNSH_6TensorESM_SM_EERKSM_lbbbEUlllE0_EEPmJS6_EEE10hipError_tPvRmT3_T4_T5_T6_T7_T9_mT8_P12ihipStream_tbDpT10_ENKUlT_T0_E_clISt17integral_constantIbLb0EES1C_EEDaS17_S18_EUlS17_E_NS1_11comp_targetILNS1_3genE3ELNS1_11target_archE908ELNS1_3gpuE7ELNS1_3repE0EEENS1_30default_config_static_selectorELNS0_4arch9wavefront6targetE1EEEvT1_.has_dyn_sized_stack, 0
	.set _ZN7rocprim17ROCPRIM_400000_NS6detail17trampoline_kernelINS0_14default_configENS1_25partition_config_selectorILNS1_17partition_subalgoE8ElNS0_10empty_typeEbEEZZNS1_14partition_implILS5_8ELb0ES3_jPlPS6_PKS6_NS0_5tupleIJS9_S6_EEENSD_IJSA_SA_EEENS0_18inequality_wrapperIZN2at6native12_GLOBAL__N_124unique_dim_cuda_templateIdEESt5tupleIJNSH_6TensorESM_SM_EERKSM_lbbbEUlllE0_EEPmJS6_EEE10hipError_tPvRmT3_T4_T5_T6_T7_T9_mT8_P12ihipStream_tbDpT10_ENKUlT_T0_E_clISt17integral_constantIbLb0EES1C_EEDaS17_S18_EUlS17_E_NS1_11comp_targetILNS1_3genE3ELNS1_11target_archE908ELNS1_3gpuE7ELNS1_3repE0EEENS1_30default_config_static_selectorELNS0_4arch9wavefront6targetE1EEEvT1_.has_recursion, 0
	.set _ZN7rocprim17ROCPRIM_400000_NS6detail17trampoline_kernelINS0_14default_configENS1_25partition_config_selectorILNS1_17partition_subalgoE8ElNS0_10empty_typeEbEEZZNS1_14partition_implILS5_8ELb0ES3_jPlPS6_PKS6_NS0_5tupleIJS9_S6_EEENSD_IJSA_SA_EEENS0_18inequality_wrapperIZN2at6native12_GLOBAL__N_124unique_dim_cuda_templateIdEESt5tupleIJNSH_6TensorESM_SM_EERKSM_lbbbEUlllE0_EEPmJS6_EEE10hipError_tPvRmT3_T4_T5_T6_T7_T9_mT8_P12ihipStream_tbDpT10_ENKUlT_T0_E_clISt17integral_constantIbLb0EES1C_EEDaS17_S18_EUlS17_E_NS1_11comp_targetILNS1_3genE3ELNS1_11target_archE908ELNS1_3gpuE7ELNS1_3repE0EEENS1_30default_config_static_selectorELNS0_4arch9wavefront6targetE1EEEvT1_.has_indirect_call, 0
	.section	.AMDGPU.csdata,"",@progbits
; Kernel info:
; codeLenInByte = 0
; TotalNumSgprs: 6
; NumVgprs: 0
; NumAgprs: 0
; TotalNumVgprs: 0
; ScratchSize: 0
; MemoryBound: 0
; FloatMode: 240
; IeeeMode: 1
; LDSByteSize: 0 bytes/workgroup (compile time only)
; SGPRBlocks: 0
; VGPRBlocks: 0
; NumSGPRsForWavesPerEU: 6
; NumVGPRsForWavesPerEU: 1
; AccumOffset: 4
; Occupancy: 8
; WaveLimiterHint : 0
; COMPUTE_PGM_RSRC2:SCRATCH_EN: 0
; COMPUTE_PGM_RSRC2:USER_SGPR: 2
; COMPUTE_PGM_RSRC2:TRAP_HANDLER: 0
; COMPUTE_PGM_RSRC2:TGID_X_EN: 1
; COMPUTE_PGM_RSRC2:TGID_Y_EN: 0
; COMPUTE_PGM_RSRC2:TGID_Z_EN: 0
; COMPUTE_PGM_RSRC2:TIDIG_COMP_CNT: 0
; COMPUTE_PGM_RSRC3_GFX90A:ACCUM_OFFSET: 0
; COMPUTE_PGM_RSRC3_GFX90A:TG_SPLIT: 0
	.section	.text._ZN7rocprim17ROCPRIM_400000_NS6detail17trampoline_kernelINS0_14default_configENS1_25partition_config_selectorILNS1_17partition_subalgoE8ElNS0_10empty_typeEbEEZZNS1_14partition_implILS5_8ELb0ES3_jPlPS6_PKS6_NS0_5tupleIJS9_S6_EEENSD_IJSA_SA_EEENS0_18inequality_wrapperIZN2at6native12_GLOBAL__N_124unique_dim_cuda_templateIdEESt5tupleIJNSH_6TensorESM_SM_EERKSM_lbbbEUlllE0_EEPmJS6_EEE10hipError_tPvRmT3_T4_T5_T6_T7_T9_mT8_P12ihipStream_tbDpT10_ENKUlT_T0_E_clISt17integral_constantIbLb0EES1C_EEDaS17_S18_EUlS17_E_NS1_11comp_targetILNS1_3genE2ELNS1_11target_archE906ELNS1_3gpuE6ELNS1_3repE0EEENS1_30default_config_static_selectorELNS0_4arch9wavefront6targetE1EEEvT1_,"axG",@progbits,_ZN7rocprim17ROCPRIM_400000_NS6detail17trampoline_kernelINS0_14default_configENS1_25partition_config_selectorILNS1_17partition_subalgoE8ElNS0_10empty_typeEbEEZZNS1_14partition_implILS5_8ELb0ES3_jPlPS6_PKS6_NS0_5tupleIJS9_S6_EEENSD_IJSA_SA_EEENS0_18inequality_wrapperIZN2at6native12_GLOBAL__N_124unique_dim_cuda_templateIdEESt5tupleIJNSH_6TensorESM_SM_EERKSM_lbbbEUlllE0_EEPmJS6_EEE10hipError_tPvRmT3_T4_T5_T6_T7_T9_mT8_P12ihipStream_tbDpT10_ENKUlT_T0_E_clISt17integral_constantIbLb0EES1C_EEDaS17_S18_EUlS17_E_NS1_11comp_targetILNS1_3genE2ELNS1_11target_archE906ELNS1_3gpuE6ELNS1_3repE0EEENS1_30default_config_static_selectorELNS0_4arch9wavefront6targetE1EEEvT1_,comdat
	.globl	_ZN7rocprim17ROCPRIM_400000_NS6detail17trampoline_kernelINS0_14default_configENS1_25partition_config_selectorILNS1_17partition_subalgoE8ElNS0_10empty_typeEbEEZZNS1_14partition_implILS5_8ELb0ES3_jPlPS6_PKS6_NS0_5tupleIJS9_S6_EEENSD_IJSA_SA_EEENS0_18inequality_wrapperIZN2at6native12_GLOBAL__N_124unique_dim_cuda_templateIdEESt5tupleIJNSH_6TensorESM_SM_EERKSM_lbbbEUlllE0_EEPmJS6_EEE10hipError_tPvRmT3_T4_T5_T6_T7_T9_mT8_P12ihipStream_tbDpT10_ENKUlT_T0_E_clISt17integral_constantIbLb0EES1C_EEDaS17_S18_EUlS17_E_NS1_11comp_targetILNS1_3genE2ELNS1_11target_archE906ELNS1_3gpuE6ELNS1_3repE0EEENS1_30default_config_static_selectorELNS0_4arch9wavefront6targetE1EEEvT1_ ; -- Begin function _ZN7rocprim17ROCPRIM_400000_NS6detail17trampoline_kernelINS0_14default_configENS1_25partition_config_selectorILNS1_17partition_subalgoE8ElNS0_10empty_typeEbEEZZNS1_14partition_implILS5_8ELb0ES3_jPlPS6_PKS6_NS0_5tupleIJS9_S6_EEENSD_IJSA_SA_EEENS0_18inequality_wrapperIZN2at6native12_GLOBAL__N_124unique_dim_cuda_templateIdEESt5tupleIJNSH_6TensorESM_SM_EERKSM_lbbbEUlllE0_EEPmJS6_EEE10hipError_tPvRmT3_T4_T5_T6_T7_T9_mT8_P12ihipStream_tbDpT10_ENKUlT_T0_E_clISt17integral_constantIbLb0EES1C_EEDaS17_S18_EUlS17_E_NS1_11comp_targetILNS1_3genE2ELNS1_11target_archE906ELNS1_3gpuE6ELNS1_3repE0EEENS1_30default_config_static_selectorELNS0_4arch9wavefront6targetE1EEEvT1_
	.p2align	8
	.type	_ZN7rocprim17ROCPRIM_400000_NS6detail17trampoline_kernelINS0_14default_configENS1_25partition_config_selectorILNS1_17partition_subalgoE8ElNS0_10empty_typeEbEEZZNS1_14partition_implILS5_8ELb0ES3_jPlPS6_PKS6_NS0_5tupleIJS9_S6_EEENSD_IJSA_SA_EEENS0_18inequality_wrapperIZN2at6native12_GLOBAL__N_124unique_dim_cuda_templateIdEESt5tupleIJNSH_6TensorESM_SM_EERKSM_lbbbEUlllE0_EEPmJS6_EEE10hipError_tPvRmT3_T4_T5_T6_T7_T9_mT8_P12ihipStream_tbDpT10_ENKUlT_T0_E_clISt17integral_constantIbLb0EES1C_EEDaS17_S18_EUlS17_E_NS1_11comp_targetILNS1_3genE2ELNS1_11target_archE906ELNS1_3gpuE6ELNS1_3repE0EEENS1_30default_config_static_selectorELNS0_4arch9wavefront6targetE1EEEvT1_,@function
_ZN7rocprim17ROCPRIM_400000_NS6detail17trampoline_kernelINS0_14default_configENS1_25partition_config_selectorILNS1_17partition_subalgoE8ElNS0_10empty_typeEbEEZZNS1_14partition_implILS5_8ELb0ES3_jPlPS6_PKS6_NS0_5tupleIJS9_S6_EEENSD_IJSA_SA_EEENS0_18inequality_wrapperIZN2at6native12_GLOBAL__N_124unique_dim_cuda_templateIdEESt5tupleIJNSH_6TensorESM_SM_EERKSM_lbbbEUlllE0_EEPmJS6_EEE10hipError_tPvRmT3_T4_T5_T6_T7_T9_mT8_P12ihipStream_tbDpT10_ENKUlT_T0_E_clISt17integral_constantIbLb0EES1C_EEDaS17_S18_EUlS17_E_NS1_11comp_targetILNS1_3genE2ELNS1_11target_archE906ELNS1_3gpuE6ELNS1_3repE0EEENS1_30default_config_static_selectorELNS0_4arch9wavefront6targetE1EEEvT1_: ; @_ZN7rocprim17ROCPRIM_400000_NS6detail17trampoline_kernelINS0_14default_configENS1_25partition_config_selectorILNS1_17partition_subalgoE8ElNS0_10empty_typeEbEEZZNS1_14partition_implILS5_8ELb0ES3_jPlPS6_PKS6_NS0_5tupleIJS9_S6_EEENSD_IJSA_SA_EEENS0_18inequality_wrapperIZN2at6native12_GLOBAL__N_124unique_dim_cuda_templateIdEESt5tupleIJNSH_6TensorESM_SM_EERKSM_lbbbEUlllE0_EEPmJS6_EEE10hipError_tPvRmT3_T4_T5_T6_T7_T9_mT8_P12ihipStream_tbDpT10_ENKUlT_T0_E_clISt17integral_constantIbLb0EES1C_EEDaS17_S18_EUlS17_E_NS1_11comp_targetILNS1_3genE2ELNS1_11target_archE906ELNS1_3gpuE6ELNS1_3repE0EEENS1_30default_config_static_selectorELNS0_4arch9wavefront6targetE1EEEvT1_
; %bb.0:
	.section	.rodata,"a",@progbits
	.p2align	6, 0x0
	.amdhsa_kernel _ZN7rocprim17ROCPRIM_400000_NS6detail17trampoline_kernelINS0_14default_configENS1_25partition_config_selectorILNS1_17partition_subalgoE8ElNS0_10empty_typeEbEEZZNS1_14partition_implILS5_8ELb0ES3_jPlPS6_PKS6_NS0_5tupleIJS9_S6_EEENSD_IJSA_SA_EEENS0_18inequality_wrapperIZN2at6native12_GLOBAL__N_124unique_dim_cuda_templateIdEESt5tupleIJNSH_6TensorESM_SM_EERKSM_lbbbEUlllE0_EEPmJS6_EEE10hipError_tPvRmT3_T4_T5_T6_T7_T9_mT8_P12ihipStream_tbDpT10_ENKUlT_T0_E_clISt17integral_constantIbLb0EES1C_EEDaS17_S18_EUlS17_E_NS1_11comp_targetILNS1_3genE2ELNS1_11target_archE906ELNS1_3gpuE6ELNS1_3repE0EEENS1_30default_config_static_selectorELNS0_4arch9wavefront6targetE1EEEvT1_
		.amdhsa_group_segment_fixed_size 0
		.amdhsa_private_segment_fixed_size 0
		.amdhsa_kernarg_size 120
		.amdhsa_user_sgpr_count 2
		.amdhsa_user_sgpr_dispatch_ptr 0
		.amdhsa_user_sgpr_queue_ptr 0
		.amdhsa_user_sgpr_kernarg_segment_ptr 1
		.amdhsa_user_sgpr_dispatch_id 0
		.amdhsa_user_sgpr_kernarg_preload_length 0
		.amdhsa_user_sgpr_kernarg_preload_offset 0
		.amdhsa_user_sgpr_private_segment_size 0
		.amdhsa_uses_dynamic_stack 0
		.amdhsa_enable_private_segment 0
		.amdhsa_system_sgpr_workgroup_id_x 1
		.amdhsa_system_sgpr_workgroup_id_y 0
		.amdhsa_system_sgpr_workgroup_id_z 0
		.amdhsa_system_sgpr_workgroup_info 0
		.amdhsa_system_vgpr_workitem_id 0
		.amdhsa_next_free_vgpr 1
		.amdhsa_next_free_sgpr 0
		.amdhsa_accum_offset 4
		.amdhsa_reserve_vcc 0
		.amdhsa_float_round_mode_32 0
		.amdhsa_float_round_mode_16_64 0
		.amdhsa_float_denorm_mode_32 3
		.amdhsa_float_denorm_mode_16_64 3
		.amdhsa_dx10_clamp 1
		.amdhsa_ieee_mode 1
		.amdhsa_fp16_overflow 0
		.amdhsa_tg_split 0
		.amdhsa_exception_fp_ieee_invalid_op 0
		.amdhsa_exception_fp_denorm_src 0
		.amdhsa_exception_fp_ieee_div_zero 0
		.amdhsa_exception_fp_ieee_overflow 0
		.amdhsa_exception_fp_ieee_underflow 0
		.amdhsa_exception_fp_ieee_inexact 0
		.amdhsa_exception_int_div_zero 0
	.end_amdhsa_kernel
	.section	.text._ZN7rocprim17ROCPRIM_400000_NS6detail17trampoline_kernelINS0_14default_configENS1_25partition_config_selectorILNS1_17partition_subalgoE8ElNS0_10empty_typeEbEEZZNS1_14partition_implILS5_8ELb0ES3_jPlPS6_PKS6_NS0_5tupleIJS9_S6_EEENSD_IJSA_SA_EEENS0_18inequality_wrapperIZN2at6native12_GLOBAL__N_124unique_dim_cuda_templateIdEESt5tupleIJNSH_6TensorESM_SM_EERKSM_lbbbEUlllE0_EEPmJS6_EEE10hipError_tPvRmT3_T4_T5_T6_T7_T9_mT8_P12ihipStream_tbDpT10_ENKUlT_T0_E_clISt17integral_constantIbLb0EES1C_EEDaS17_S18_EUlS17_E_NS1_11comp_targetILNS1_3genE2ELNS1_11target_archE906ELNS1_3gpuE6ELNS1_3repE0EEENS1_30default_config_static_selectorELNS0_4arch9wavefront6targetE1EEEvT1_,"axG",@progbits,_ZN7rocprim17ROCPRIM_400000_NS6detail17trampoline_kernelINS0_14default_configENS1_25partition_config_selectorILNS1_17partition_subalgoE8ElNS0_10empty_typeEbEEZZNS1_14partition_implILS5_8ELb0ES3_jPlPS6_PKS6_NS0_5tupleIJS9_S6_EEENSD_IJSA_SA_EEENS0_18inequality_wrapperIZN2at6native12_GLOBAL__N_124unique_dim_cuda_templateIdEESt5tupleIJNSH_6TensorESM_SM_EERKSM_lbbbEUlllE0_EEPmJS6_EEE10hipError_tPvRmT3_T4_T5_T6_T7_T9_mT8_P12ihipStream_tbDpT10_ENKUlT_T0_E_clISt17integral_constantIbLb0EES1C_EEDaS17_S18_EUlS17_E_NS1_11comp_targetILNS1_3genE2ELNS1_11target_archE906ELNS1_3gpuE6ELNS1_3repE0EEENS1_30default_config_static_selectorELNS0_4arch9wavefront6targetE1EEEvT1_,comdat
.Lfunc_end811:
	.size	_ZN7rocprim17ROCPRIM_400000_NS6detail17trampoline_kernelINS0_14default_configENS1_25partition_config_selectorILNS1_17partition_subalgoE8ElNS0_10empty_typeEbEEZZNS1_14partition_implILS5_8ELb0ES3_jPlPS6_PKS6_NS0_5tupleIJS9_S6_EEENSD_IJSA_SA_EEENS0_18inequality_wrapperIZN2at6native12_GLOBAL__N_124unique_dim_cuda_templateIdEESt5tupleIJNSH_6TensorESM_SM_EERKSM_lbbbEUlllE0_EEPmJS6_EEE10hipError_tPvRmT3_T4_T5_T6_T7_T9_mT8_P12ihipStream_tbDpT10_ENKUlT_T0_E_clISt17integral_constantIbLb0EES1C_EEDaS17_S18_EUlS17_E_NS1_11comp_targetILNS1_3genE2ELNS1_11target_archE906ELNS1_3gpuE6ELNS1_3repE0EEENS1_30default_config_static_selectorELNS0_4arch9wavefront6targetE1EEEvT1_, .Lfunc_end811-_ZN7rocprim17ROCPRIM_400000_NS6detail17trampoline_kernelINS0_14default_configENS1_25partition_config_selectorILNS1_17partition_subalgoE8ElNS0_10empty_typeEbEEZZNS1_14partition_implILS5_8ELb0ES3_jPlPS6_PKS6_NS0_5tupleIJS9_S6_EEENSD_IJSA_SA_EEENS0_18inequality_wrapperIZN2at6native12_GLOBAL__N_124unique_dim_cuda_templateIdEESt5tupleIJNSH_6TensorESM_SM_EERKSM_lbbbEUlllE0_EEPmJS6_EEE10hipError_tPvRmT3_T4_T5_T6_T7_T9_mT8_P12ihipStream_tbDpT10_ENKUlT_T0_E_clISt17integral_constantIbLb0EES1C_EEDaS17_S18_EUlS17_E_NS1_11comp_targetILNS1_3genE2ELNS1_11target_archE906ELNS1_3gpuE6ELNS1_3repE0EEENS1_30default_config_static_selectorELNS0_4arch9wavefront6targetE1EEEvT1_
                                        ; -- End function
	.set _ZN7rocprim17ROCPRIM_400000_NS6detail17trampoline_kernelINS0_14default_configENS1_25partition_config_selectorILNS1_17partition_subalgoE8ElNS0_10empty_typeEbEEZZNS1_14partition_implILS5_8ELb0ES3_jPlPS6_PKS6_NS0_5tupleIJS9_S6_EEENSD_IJSA_SA_EEENS0_18inequality_wrapperIZN2at6native12_GLOBAL__N_124unique_dim_cuda_templateIdEESt5tupleIJNSH_6TensorESM_SM_EERKSM_lbbbEUlllE0_EEPmJS6_EEE10hipError_tPvRmT3_T4_T5_T6_T7_T9_mT8_P12ihipStream_tbDpT10_ENKUlT_T0_E_clISt17integral_constantIbLb0EES1C_EEDaS17_S18_EUlS17_E_NS1_11comp_targetILNS1_3genE2ELNS1_11target_archE906ELNS1_3gpuE6ELNS1_3repE0EEENS1_30default_config_static_selectorELNS0_4arch9wavefront6targetE1EEEvT1_.num_vgpr, 0
	.set _ZN7rocprim17ROCPRIM_400000_NS6detail17trampoline_kernelINS0_14default_configENS1_25partition_config_selectorILNS1_17partition_subalgoE8ElNS0_10empty_typeEbEEZZNS1_14partition_implILS5_8ELb0ES3_jPlPS6_PKS6_NS0_5tupleIJS9_S6_EEENSD_IJSA_SA_EEENS0_18inequality_wrapperIZN2at6native12_GLOBAL__N_124unique_dim_cuda_templateIdEESt5tupleIJNSH_6TensorESM_SM_EERKSM_lbbbEUlllE0_EEPmJS6_EEE10hipError_tPvRmT3_T4_T5_T6_T7_T9_mT8_P12ihipStream_tbDpT10_ENKUlT_T0_E_clISt17integral_constantIbLb0EES1C_EEDaS17_S18_EUlS17_E_NS1_11comp_targetILNS1_3genE2ELNS1_11target_archE906ELNS1_3gpuE6ELNS1_3repE0EEENS1_30default_config_static_selectorELNS0_4arch9wavefront6targetE1EEEvT1_.num_agpr, 0
	.set _ZN7rocprim17ROCPRIM_400000_NS6detail17trampoline_kernelINS0_14default_configENS1_25partition_config_selectorILNS1_17partition_subalgoE8ElNS0_10empty_typeEbEEZZNS1_14partition_implILS5_8ELb0ES3_jPlPS6_PKS6_NS0_5tupleIJS9_S6_EEENSD_IJSA_SA_EEENS0_18inequality_wrapperIZN2at6native12_GLOBAL__N_124unique_dim_cuda_templateIdEESt5tupleIJNSH_6TensorESM_SM_EERKSM_lbbbEUlllE0_EEPmJS6_EEE10hipError_tPvRmT3_T4_T5_T6_T7_T9_mT8_P12ihipStream_tbDpT10_ENKUlT_T0_E_clISt17integral_constantIbLb0EES1C_EEDaS17_S18_EUlS17_E_NS1_11comp_targetILNS1_3genE2ELNS1_11target_archE906ELNS1_3gpuE6ELNS1_3repE0EEENS1_30default_config_static_selectorELNS0_4arch9wavefront6targetE1EEEvT1_.numbered_sgpr, 0
	.set _ZN7rocprim17ROCPRIM_400000_NS6detail17trampoline_kernelINS0_14default_configENS1_25partition_config_selectorILNS1_17partition_subalgoE8ElNS0_10empty_typeEbEEZZNS1_14partition_implILS5_8ELb0ES3_jPlPS6_PKS6_NS0_5tupleIJS9_S6_EEENSD_IJSA_SA_EEENS0_18inequality_wrapperIZN2at6native12_GLOBAL__N_124unique_dim_cuda_templateIdEESt5tupleIJNSH_6TensorESM_SM_EERKSM_lbbbEUlllE0_EEPmJS6_EEE10hipError_tPvRmT3_T4_T5_T6_T7_T9_mT8_P12ihipStream_tbDpT10_ENKUlT_T0_E_clISt17integral_constantIbLb0EES1C_EEDaS17_S18_EUlS17_E_NS1_11comp_targetILNS1_3genE2ELNS1_11target_archE906ELNS1_3gpuE6ELNS1_3repE0EEENS1_30default_config_static_selectorELNS0_4arch9wavefront6targetE1EEEvT1_.num_named_barrier, 0
	.set _ZN7rocprim17ROCPRIM_400000_NS6detail17trampoline_kernelINS0_14default_configENS1_25partition_config_selectorILNS1_17partition_subalgoE8ElNS0_10empty_typeEbEEZZNS1_14partition_implILS5_8ELb0ES3_jPlPS6_PKS6_NS0_5tupleIJS9_S6_EEENSD_IJSA_SA_EEENS0_18inequality_wrapperIZN2at6native12_GLOBAL__N_124unique_dim_cuda_templateIdEESt5tupleIJNSH_6TensorESM_SM_EERKSM_lbbbEUlllE0_EEPmJS6_EEE10hipError_tPvRmT3_T4_T5_T6_T7_T9_mT8_P12ihipStream_tbDpT10_ENKUlT_T0_E_clISt17integral_constantIbLb0EES1C_EEDaS17_S18_EUlS17_E_NS1_11comp_targetILNS1_3genE2ELNS1_11target_archE906ELNS1_3gpuE6ELNS1_3repE0EEENS1_30default_config_static_selectorELNS0_4arch9wavefront6targetE1EEEvT1_.private_seg_size, 0
	.set _ZN7rocprim17ROCPRIM_400000_NS6detail17trampoline_kernelINS0_14default_configENS1_25partition_config_selectorILNS1_17partition_subalgoE8ElNS0_10empty_typeEbEEZZNS1_14partition_implILS5_8ELb0ES3_jPlPS6_PKS6_NS0_5tupleIJS9_S6_EEENSD_IJSA_SA_EEENS0_18inequality_wrapperIZN2at6native12_GLOBAL__N_124unique_dim_cuda_templateIdEESt5tupleIJNSH_6TensorESM_SM_EERKSM_lbbbEUlllE0_EEPmJS6_EEE10hipError_tPvRmT3_T4_T5_T6_T7_T9_mT8_P12ihipStream_tbDpT10_ENKUlT_T0_E_clISt17integral_constantIbLb0EES1C_EEDaS17_S18_EUlS17_E_NS1_11comp_targetILNS1_3genE2ELNS1_11target_archE906ELNS1_3gpuE6ELNS1_3repE0EEENS1_30default_config_static_selectorELNS0_4arch9wavefront6targetE1EEEvT1_.uses_vcc, 0
	.set _ZN7rocprim17ROCPRIM_400000_NS6detail17trampoline_kernelINS0_14default_configENS1_25partition_config_selectorILNS1_17partition_subalgoE8ElNS0_10empty_typeEbEEZZNS1_14partition_implILS5_8ELb0ES3_jPlPS6_PKS6_NS0_5tupleIJS9_S6_EEENSD_IJSA_SA_EEENS0_18inequality_wrapperIZN2at6native12_GLOBAL__N_124unique_dim_cuda_templateIdEESt5tupleIJNSH_6TensorESM_SM_EERKSM_lbbbEUlllE0_EEPmJS6_EEE10hipError_tPvRmT3_T4_T5_T6_T7_T9_mT8_P12ihipStream_tbDpT10_ENKUlT_T0_E_clISt17integral_constantIbLb0EES1C_EEDaS17_S18_EUlS17_E_NS1_11comp_targetILNS1_3genE2ELNS1_11target_archE906ELNS1_3gpuE6ELNS1_3repE0EEENS1_30default_config_static_selectorELNS0_4arch9wavefront6targetE1EEEvT1_.uses_flat_scratch, 0
	.set _ZN7rocprim17ROCPRIM_400000_NS6detail17trampoline_kernelINS0_14default_configENS1_25partition_config_selectorILNS1_17partition_subalgoE8ElNS0_10empty_typeEbEEZZNS1_14partition_implILS5_8ELb0ES3_jPlPS6_PKS6_NS0_5tupleIJS9_S6_EEENSD_IJSA_SA_EEENS0_18inequality_wrapperIZN2at6native12_GLOBAL__N_124unique_dim_cuda_templateIdEESt5tupleIJNSH_6TensorESM_SM_EERKSM_lbbbEUlllE0_EEPmJS6_EEE10hipError_tPvRmT3_T4_T5_T6_T7_T9_mT8_P12ihipStream_tbDpT10_ENKUlT_T0_E_clISt17integral_constantIbLb0EES1C_EEDaS17_S18_EUlS17_E_NS1_11comp_targetILNS1_3genE2ELNS1_11target_archE906ELNS1_3gpuE6ELNS1_3repE0EEENS1_30default_config_static_selectorELNS0_4arch9wavefront6targetE1EEEvT1_.has_dyn_sized_stack, 0
	.set _ZN7rocprim17ROCPRIM_400000_NS6detail17trampoline_kernelINS0_14default_configENS1_25partition_config_selectorILNS1_17partition_subalgoE8ElNS0_10empty_typeEbEEZZNS1_14partition_implILS5_8ELb0ES3_jPlPS6_PKS6_NS0_5tupleIJS9_S6_EEENSD_IJSA_SA_EEENS0_18inequality_wrapperIZN2at6native12_GLOBAL__N_124unique_dim_cuda_templateIdEESt5tupleIJNSH_6TensorESM_SM_EERKSM_lbbbEUlllE0_EEPmJS6_EEE10hipError_tPvRmT3_T4_T5_T6_T7_T9_mT8_P12ihipStream_tbDpT10_ENKUlT_T0_E_clISt17integral_constantIbLb0EES1C_EEDaS17_S18_EUlS17_E_NS1_11comp_targetILNS1_3genE2ELNS1_11target_archE906ELNS1_3gpuE6ELNS1_3repE0EEENS1_30default_config_static_selectorELNS0_4arch9wavefront6targetE1EEEvT1_.has_recursion, 0
	.set _ZN7rocprim17ROCPRIM_400000_NS6detail17trampoline_kernelINS0_14default_configENS1_25partition_config_selectorILNS1_17partition_subalgoE8ElNS0_10empty_typeEbEEZZNS1_14partition_implILS5_8ELb0ES3_jPlPS6_PKS6_NS0_5tupleIJS9_S6_EEENSD_IJSA_SA_EEENS0_18inequality_wrapperIZN2at6native12_GLOBAL__N_124unique_dim_cuda_templateIdEESt5tupleIJNSH_6TensorESM_SM_EERKSM_lbbbEUlllE0_EEPmJS6_EEE10hipError_tPvRmT3_T4_T5_T6_T7_T9_mT8_P12ihipStream_tbDpT10_ENKUlT_T0_E_clISt17integral_constantIbLb0EES1C_EEDaS17_S18_EUlS17_E_NS1_11comp_targetILNS1_3genE2ELNS1_11target_archE906ELNS1_3gpuE6ELNS1_3repE0EEENS1_30default_config_static_selectorELNS0_4arch9wavefront6targetE1EEEvT1_.has_indirect_call, 0
	.section	.AMDGPU.csdata,"",@progbits
; Kernel info:
; codeLenInByte = 0
; TotalNumSgprs: 6
; NumVgprs: 0
; NumAgprs: 0
; TotalNumVgprs: 0
; ScratchSize: 0
; MemoryBound: 0
; FloatMode: 240
; IeeeMode: 1
; LDSByteSize: 0 bytes/workgroup (compile time only)
; SGPRBlocks: 0
; VGPRBlocks: 0
; NumSGPRsForWavesPerEU: 6
; NumVGPRsForWavesPerEU: 1
; AccumOffset: 4
; Occupancy: 8
; WaveLimiterHint : 0
; COMPUTE_PGM_RSRC2:SCRATCH_EN: 0
; COMPUTE_PGM_RSRC2:USER_SGPR: 2
; COMPUTE_PGM_RSRC2:TRAP_HANDLER: 0
; COMPUTE_PGM_RSRC2:TGID_X_EN: 1
; COMPUTE_PGM_RSRC2:TGID_Y_EN: 0
; COMPUTE_PGM_RSRC2:TGID_Z_EN: 0
; COMPUTE_PGM_RSRC2:TIDIG_COMP_CNT: 0
; COMPUTE_PGM_RSRC3_GFX90A:ACCUM_OFFSET: 0
; COMPUTE_PGM_RSRC3_GFX90A:TG_SPLIT: 0
	.section	.text._ZN7rocprim17ROCPRIM_400000_NS6detail17trampoline_kernelINS0_14default_configENS1_25partition_config_selectorILNS1_17partition_subalgoE8ElNS0_10empty_typeEbEEZZNS1_14partition_implILS5_8ELb0ES3_jPlPS6_PKS6_NS0_5tupleIJS9_S6_EEENSD_IJSA_SA_EEENS0_18inequality_wrapperIZN2at6native12_GLOBAL__N_124unique_dim_cuda_templateIdEESt5tupleIJNSH_6TensorESM_SM_EERKSM_lbbbEUlllE0_EEPmJS6_EEE10hipError_tPvRmT3_T4_T5_T6_T7_T9_mT8_P12ihipStream_tbDpT10_ENKUlT_T0_E_clISt17integral_constantIbLb0EES1C_EEDaS17_S18_EUlS17_E_NS1_11comp_targetILNS1_3genE10ELNS1_11target_archE1200ELNS1_3gpuE4ELNS1_3repE0EEENS1_30default_config_static_selectorELNS0_4arch9wavefront6targetE1EEEvT1_,"axG",@progbits,_ZN7rocprim17ROCPRIM_400000_NS6detail17trampoline_kernelINS0_14default_configENS1_25partition_config_selectorILNS1_17partition_subalgoE8ElNS0_10empty_typeEbEEZZNS1_14partition_implILS5_8ELb0ES3_jPlPS6_PKS6_NS0_5tupleIJS9_S6_EEENSD_IJSA_SA_EEENS0_18inequality_wrapperIZN2at6native12_GLOBAL__N_124unique_dim_cuda_templateIdEESt5tupleIJNSH_6TensorESM_SM_EERKSM_lbbbEUlllE0_EEPmJS6_EEE10hipError_tPvRmT3_T4_T5_T6_T7_T9_mT8_P12ihipStream_tbDpT10_ENKUlT_T0_E_clISt17integral_constantIbLb0EES1C_EEDaS17_S18_EUlS17_E_NS1_11comp_targetILNS1_3genE10ELNS1_11target_archE1200ELNS1_3gpuE4ELNS1_3repE0EEENS1_30default_config_static_selectorELNS0_4arch9wavefront6targetE1EEEvT1_,comdat
	.globl	_ZN7rocprim17ROCPRIM_400000_NS6detail17trampoline_kernelINS0_14default_configENS1_25partition_config_selectorILNS1_17partition_subalgoE8ElNS0_10empty_typeEbEEZZNS1_14partition_implILS5_8ELb0ES3_jPlPS6_PKS6_NS0_5tupleIJS9_S6_EEENSD_IJSA_SA_EEENS0_18inequality_wrapperIZN2at6native12_GLOBAL__N_124unique_dim_cuda_templateIdEESt5tupleIJNSH_6TensorESM_SM_EERKSM_lbbbEUlllE0_EEPmJS6_EEE10hipError_tPvRmT3_T4_T5_T6_T7_T9_mT8_P12ihipStream_tbDpT10_ENKUlT_T0_E_clISt17integral_constantIbLb0EES1C_EEDaS17_S18_EUlS17_E_NS1_11comp_targetILNS1_3genE10ELNS1_11target_archE1200ELNS1_3gpuE4ELNS1_3repE0EEENS1_30default_config_static_selectorELNS0_4arch9wavefront6targetE1EEEvT1_ ; -- Begin function _ZN7rocprim17ROCPRIM_400000_NS6detail17trampoline_kernelINS0_14default_configENS1_25partition_config_selectorILNS1_17partition_subalgoE8ElNS0_10empty_typeEbEEZZNS1_14partition_implILS5_8ELb0ES3_jPlPS6_PKS6_NS0_5tupleIJS9_S6_EEENSD_IJSA_SA_EEENS0_18inequality_wrapperIZN2at6native12_GLOBAL__N_124unique_dim_cuda_templateIdEESt5tupleIJNSH_6TensorESM_SM_EERKSM_lbbbEUlllE0_EEPmJS6_EEE10hipError_tPvRmT3_T4_T5_T6_T7_T9_mT8_P12ihipStream_tbDpT10_ENKUlT_T0_E_clISt17integral_constantIbLb0EES1C_EEDaS17_S18_EUlS17_E_NS1_11comp_targetILNS1_3genE10ELNS1_11target_archE1200ELNS1_3gpuE4ELNS1_3repE0EEENS1_30default_config_static_selectorELNS0_4arch9wavefront6targetE1EEEvT1_
	.p2align	8
	.type	_ZN7rocprim17ROCPRIM_400000_NS6detail17trampoline_kernelINS0_14default_configENS1_25partition_config_selectorILNS1_17partition_subalgoE8ElNS0_10empty_typeEbEEZZNS1_14partition_implILS5_8ELb0ES3_jPlPS6_PKS6_NS0_5tupleIJS9_S6_EEENSD_IJSA_SA_EEENS0_18inequality_wrapperIZN2at6native12_GLOBAL__N_124unique_dim_cuda_templateIdEESt5tupleIJNSH_6TensorESM_SM_EERKSM_lbbbEUlllE0_EEPmJS6_EEE10hipError_tPvRmT3_T4_T5_T6_T7_T9_mT8_P12ihipStream_tbDpT10_ENKUlT_T0_E_clISt17integral_constantIbLb0EES1C_EEDaS17_S18_EUlS17_E_NS1_11comp_targetILNS1_3genE10ELNS1_11target_archE1200ELNS1_3gpuE4ELNS1_3repE0EEENS1_30default_config_static_selectorELNS0_4arch9wavefront6targetE1EEEvT1_,@function
_ZN7rocprim17ROCPRIM_400000_NS6detail17trampoline_kernelINS0_14default_configENS1_25partition_config_selectorILNS1_17partition_subalgoE8ElNS0_10empty_typeEbEEZZNS1_14partition_implILS5_8ELb0ES3_jPlPS6_PKS6_NS0_5tupleIJS9_S6_EEENSD_IJSA_SA_EEENS0_18inequality_wrapperIZN2at6native12_GLOBAL__N_124unique_dim_cuda_templateIdEESt5tupleIJNSH_6TensorESM_SM_EERKSM_lbbbEUlllE0_EEPmJS6_EEE10hipError_tPvRmT3_T4_T5_T6_T7_T9_mT8_P12ihipStream_tbDpT10_ENKUlT_T0_E_clISt17integral_constantIbLb0EES1C_EEDaS17_S18_EUlS17_E_NS1_11comp_targetILNS1_3genE10ELNS1_11target_archE1200ELNS1_3gpuE4ELNS1_3repE0EEENS1_30default_config_static_selectorELNS0_4arch9wavefront6targetE1EEEvT1_: ; @_ZN7rocprim17ROCPRIM_400000_NS6detail17trampoline_kernelINS0_14default_configENS1_25partition_config_selectorILNS1_17partition_subalgoE8ElNS0_10empty_typeEbEEZZNS1_14partition_implILS5_8ELb0ES3_jPlPS6_PKS6_NS0_5tupleIJS9_S6_EEENSD_IJSA_SA_EEENS0_18inequality_wrapperIZN2at6native12_GLOBAL__N_124unique_dim_cuda_templateIdEESt5tupleIJNSH_6TensorESM_SM_EERKSM_lbbbEUlllE0_EEPmJS6_EEE10hipError_tPvRmT3_T4_T5_T6_T7_T9_mT8_P12ihipStream_tbDpT10_ENKUlT_T0_E_clISt17integral_constantIbLb0EES1C_EEDaS17_S18_EUlS17_E_NS1_11comp_targetILNS1_3genE10ELNS1_11target_archE1200ELNS1_3gpuE4ELNS1_3repE0EEENS1_30default_config_static_selectorELNS0_4arch9wavefront6targetE1EEEvT1_
; %bb.0:
	.section	.rodata,"a",@progbits
	.p2align	6, 0x0
	.amdhsa_kernel _ZN7rocprim17ROCPRIM_400000_NS6detail17trampoline_kernelINS0_14default_configENS1_25partition_config_selectorILNS1_17partition_subalgoE8ElNS0_10empty_typeEbEEZZNS1_14partition_implILS5_8ELb0ES3_jPlPS6_PKS6_NS0_5tupleIJS9_S6_EEENSD_IJSA_SA_EEENS0_18inequality_wrapperIZN2at6native12_GLOBAL__N_124unique_dim_cuda_templateIdEESt5tupleIJNSH_6TensorESM_SM_EERKSM_lbbbEUlllE0_EEPmJS6_EEE10hipError_tPvRmT3_T4_T5_T6_T7_T9_mT8_P12ihipStream_tbDpT10_ENKUlT_T0_E_clISt17integral_constantIbLb0EES1C_EEDaS17_S18_EUlS17_E_NS1_11comp_targetILNS1_3genE10ELNS1_11target_archE1200ELNS1_3gpuE4ELNS1_3repE0EEENS1_30default_config_static_selectorELNS0_4arch9wavefront6targetE1EEEvT1_
		.amdhsa_group_segment_fixed_size 0
		.amdhsa_private_segment_fixed_size 0
		.amdhsa_kernarg_size 120
		.amdhsa_user_sgpr_count 2
		.amdhsa_user_sgpr_dispatch_ptr 0
		.amdhsa_user_sgpr_queue_ptr 0
		.amdhsa_user_sgpr_kernarg_segment_ptr 1
		.amdhsa_user_sgpr_dispatch_id 0
		.amdhsa_user_sgpr_kernarg_preload_length 0
		.amdhsa_user_sgpr_kernarg_preload_offset 0
		.amdhsa_user_sgpr_private_segment_size 0
		.amdhsa_uses_dynamic_stack 0
		.amdhsa_enable_private_segment 0
		.amdhsa_system_sgpr_workgroup_id_x 1
		.amdhsa_system_sgpr_workgroup_id_y 0
		.amdhsa_system_sgpr_workgroup_id_z 0
		.amdhsa_system_sgpr_workgroup_info 0
		.amdhsa_system_vgpr_workitem_id 0
		.amdhsa_next_free_vgpr 1
		.amdhsa_next_free_sgpr 0
		.amdhsa_accum_offset 4
		.amdhsa_reserve_vcc 0
		.amdhsa_float_round_mode_32 0
		.amdhsa_float_round_mode_16_64 0
		.amdhsa_float_denorm_mode_32 3
		.amdhsa_float_denorm_mode_16_64 3
		.amdhsa_dx10_clamp 1
		.amdhsa_ieee_mode 1
		.amdhsa_fp16_overflow 0
		.amdhsa_tg_split 0
		.amdhsa_exception_fp_ieee_invalid_op 0
		.amdhsa_exception_fp_denorm_src 0
		.amdhsa_exception_fp_ieee_div_zero 0
		.amdhsa_exception_fp_ieee_overflow 0
		.amdhsa_exception_fp_ieee_underflow 0
		.amdhsa_exception_fp_ieee_inexact 0
		.amdhsa_exception_int_div_zero 0
	.end_amdhsa_kernel
	.section	.text._ZN7rocprim17ROCPRIM_400000_NS6detail17trampoline_kernelINS0_14default_configENS1_25partition_config_selectorILNS1_17partition_subalgoE8ElNS0_10empty_typeEbEEZZNS1_14partition_implILS5_8ELb0ES3_jPlPS6_PKS6_NS0_5tupleIJS9_S6_EEENSD_IJSA_SA_EEENS0_18inequality_wrapperIZN2at6native12_GLOBAL__N_124unique_dim_cuda_templateIdEESt5tupleIJNSH_6TensorESM_SM_EERKSM_lbbbEUlllE0_EEPmJS6_EEE10hipError_tPvRmT3_T4_T5_T6_T7_T9_mT8_P12ihipStream_tbDpT10_ENKUlT_T0_E_clISt17integral_constantIbLb0EES1C_EEDaS17_S18_EUlS17_E_NS1_11comp_targetILNS1_3genE10ELNS1_11target_archE1200ELNS1_3gpuE4ELNS1_3repE0EEENS1_30default_config_static_selectorELNS0_4arch9wavefront6targetE1EEEvT1_,"axG",@progbits,_ZN7rocprim17ROCPRIM_400000_NS6detail17trampoline_kernelINS0_14default_configENS1_25partition_config_selectorILNS1_17partition_subalgoE8ElNS0_10empty_typeEbEEZZNS1_14partition_implILS5_8ELb0ES3_jPlPS6_PKS6_NS0_5tupleIJS9_S6_EEENSD_IJSA_SA_EEENS0_18inequality_wrapperIZN2at6native12_GLOBAL__N_124unique_dim_cuda_templateIdEESt5tupleIJNSH_6TensorESM_SM_EERKSM_lbbbEUlllE0_EEPmJS6_EEE10hipError_tPvRmT3_T4_T5_T6_T7_T9_mT8_P12ihipStream_tbDpT10_ENKUlT_T0_E_clISt17integral_constantIbLb0EES1C_EEDaS17_S18_EUlS17_E_NS1_11comp_targetILNS1_3genE10ELNS1_11target_archE1200ELNS1_3gpuE4ELNS1_3repE0EEENS1_30default_config_static_selectorELNS0_4arch9wavefront6targetE1EEEvT1_,comdat
.Lfunc_end812:
	.size	_ZN7rocprim17ROCPRIM_400000_NS6detail17trampoline_kernelINS0_14default_configENS1_25partition_config_selectorILNS1_17partition_subalgoE8ElNS0_10empty_typeEbEEZZNS1_14partition_implILS5_8ELb0ES3_jPlPS6_PKS6_NS0_5tupleIJS9_S6_EEENSD_IJSA_SA_EEENS0_18inequality_wrapperIZN2at6native12_GLOBAL__N_124unique_dim_cuda_templateIdEESt5tupleIJNSH_6TensorESM_SM_EERKSM_lbbbEUlllE0_EEPmJS6_EEE10hipError_tPvRmT3_T4_T5_T6_T7_T9_mT8_P12ihipStream_tbDpT10_ENKUlT_T0_E_clISt17integral_constantIbLb0EES1C_EEDaS17_S18_EUlS17_E_NS1_11comp_targetILNS1_3genE10ELNS1_11target_archE1200ELNS1_3gpuE4ELNS1_3repE0EEENS1_30default_config_static_selectorELNS0_4arch9wavefront6targetE1EEEvT1_, .Lfunc_end812-_ZN7rocprim17ROCPRIM_400000_NS6detail17trampoline_kernelINS0_14default_configENS1_25partition_config_selectorILNS1_17partition_subalgoE8ElNS0_10empty_typeEbEEZZNS1_14partition_implILS5_8ELb0ES3_jPlPS6_PKS6_NS0_5tupleIJS9_S6_EEENSD_IJSA_SA_EEENS0_18inequality_wrapperIZN2at6native12_GLOBAL__N_124unique_dim_cuda_templateIdEESt5tupleIJNSH_6TensorESM_SM_EERKSM_lbbbEUlllE0_EEPmJS6_EEE10hipError_tPvRmT3_T4_T5_T6_T7_T9_mT8_P12ihipStream_tbDpT10_ENKUlT_T0_E_clISt17integral_constantIbLb0EES1C_EEDaS17_S18_EUlS17_E_NS1_11comp_targetILNS1_3genE10ELNS1_11target_archE1200ELNS1_3gpuE4ELNS1_3repE0EEENS1_30default_config_static_selectorELNS0_4arch9wavefront6targetE1EEEvT1_
                                        ; -- End function
	.set _ZN7rocprim17ROCPRIM_400000_NS6detail17trampoline_kernelINS0_14default_configENS1_25partition_config_selectorILNS1_17partition_subalgoE8ElNS0_10empty_typeEbEEZZNS1_14partition_implILS5_8ELb0ES3_jPlPS6_PKS6_NS0_5tupleIJS9_S6_EEENSD_IJSA_SA_EEENS0_18inequality_wrapperIZN2at6native12_GLOBAL__N_124unique_dim_cuda_templateIdEESt5tupleIJNSH_6TensorESM_SM_EERKSM_lbbbEUlllE0_EEPmJS6_EEE10hipError_tPvRmT3_T4_T5_T6_T7_T9_mT8_P12ihipStream_tbDpT10_ENKUlT_T0_E_clISt17integral_constantIbLb0EES1C_EEDaS17_S18_EUlS17_E_NS1_11comp_targetILNS1_3genE10ELNS1_11target_archE1200ELNS1_3gpuE4ELNS1_3repE0EEENS1_30default_config_static_selectorELNS0_4arch9wavefront6targetE1EEEvT1_.num_vgpr, 0
	.set _ZN7rocprim17ROCPRIM_400000_NS6detail17trampoline_kernelINS0_14default_configENS1_25partition_config_selectorILNS1_17partition_subalgoE8ElNS0_10empty_typeEbEEZZNS1_14partition_implILS5_8ELb0ES3_jPlPS6_PKS6_NS0_5tupleIJS9_S6_EEENSD_IJSA_SA_EEENS0_18inequality_wrapperIZN2at6native12_GLOBAL__N_124unique_dim_cuda_templateIdEESt5tupleIJNSH_6TensorESM_SM_EERKSM_lbbbEUlllE0_EEPmJS6_EEE10hipError_tPvRmT3_T4_T5_T6_T7_T9_mT8_P12ihipStream_tbDpT10_ENKUlT_T0_E_clISt17integral_constantIbLb0EES1C_EEDaS17_S18_EUlS17_E_NS1_11comp_targetILNS1_3genE10ELNS1_11target_archE1200ELNS1_3gpuE4ELNS1_3repE0EEENS1_30default_config_static_selectorELNS0_4arch9wavefront6targetE1EEEvT1_.num_agpr, 0
	.set _ZN7rocprim17ROCPRIM_400000_NS6detail17trampoline_kernelINS0_14default_configENS1_25partition_config_selectorILNS1_17partition_subalgoE8ElNS0_10empty_typeEbEEZZNS1_14partition_implILS5_8ELb0ES3_jPlPS6_PKS6_NS0_5tupleIJS9_S6_EEENSD_IJSA_SA_EEENS0_18inequality_wrapperIZN2at6native12_GLOBAL__N_124unique_dim_cuda_templateIdEESt5tupleIJNSH_6TensorESM_SM_EERKSM_lbbbEUlllE0_EEPmJS6_EEE10hipError_tPvRmT3_T4_T5_T6_T7_T9_mT8_P12ihipStream_tbDpT10_ENKUlT_T0_E_clISt17integral_constantIbLb0EES1C_EEDaS17_S18_EUlS17_E_NS1_11comp_targetILNS1_3genE10ELNS1_11target_archE1200ELNS1_3gpuE4ELNS1_3repE0EEENS1_30default_config_static_selectorELNS0_4arch9wavefront6targetE1EEEvT1_.numbered_sgpr, 0
	.set _ZN7rocprim17ROCPRIM_400000_NS6detail17trampoline_kernelINS0_14default_configENS1_25partition_config_selectorILNS1_17partition_subalgoE8ElNS0_10empty_typeEbEEZZNS1_14partition_implILS5_8ELb0ES3_jPlPS6_PKS6_NS0_5tupleIJS9_S6_EEENSD_IJSA_SA_EEENS0_18inequality_wrapperIZN2at6native12_GLOBAL__N_124unique_dim_cuda_templateIdEESt5tupleIJNSH_6TensorESM_SM_EERKSM_lbbbEUlllE0_EEPmJS6_EEE10hipError_tPvRmT3_T4_T5_T6_T7_T9_mT8_P12ihipStream_tbDpT10_ENKUlT_T0_E_clISt17integral_constantIbLb0EES1C_EEDaS17_S18_EUlS17_E_NS1_11comp_targetILNS1_3genE10ELNS1_11target_archE1200ELNS1_3gpuE4ELNS1_3repE0EEENS1_30default_config_static_selectorELNS0_4arch9wavefront6targetE1EEEvT1_.num_named_barrier, 0
	.set _ZN7rocprim17ROCPRIM_400000_NS6detail17trampoline_kernelINS0_14default_configENS1_25partition_config_selectorILNS1_17partition_subalgoE8ElNS0_10empty_typeEbEEZZNS1_14partition_implILS5_8ELb0ES3_jPlPS6_PKS6_NS0_5tupleIJS9_S6_EEENSD_IJSA_SA_EEENS0_18inequality_wrapperIZN2at6native12_GLOBAL__N_124unique_dim_cuda_templateIdEESt5tupleIJNSH_6TensorESM_SM_EERKSM_lbbbEUlllE0_EEPmJS6_EEE10hipError_tPvRmT3_T4_T5_T6_T7_T9_mT8_P12ihipStream_tbDpT10_ENKUlT_T0_E_clISt17integral_constantIbLb0EES1C_EEDaS17_S18_EUlS17_E_NS1_11comp_targetILNS1_3genE10ELNS1_11target_archE1200ELNS1_3gpuE4ELNS1_3repE0EEENS1_30default_config_static_selectorELNS0_4arch9wavefront6targetE1EEEvT1_.private_seg_size, 0
	.set _ZN7rocprim17ROCPRIM_400000_NS6detail17trampoline_kernelINS0_14default_configENS1_25partition_config_selectorILNS1_17partition_subalgoE8ElNS0_10empty_typeEbEEZZNS1_14partition_implILS5_8ELb0ES3_jPlPS6_PKS6_NS0_5tupleIJS9_S6_EEENSD_IJSA_SA_EEENS0_18inequality_wrapperIZN2at6native12_GLOBAL__N_124unique_dim_cuda_templateIdEESt5tupleIJNSH_6TensorESM_SM_EERKSM_lbbbEUlllE0_EEPmJS6_EEE10hipError_tPvRmT3_T4_T5_T6_T7_T9_mT8_P12ihipStream_tbDpT10_ENKUlT_T0_E_clISt17integral_constantIbLb0EES1C_EEDaS17_S18_EUlS17_E_NS1_11comp_targetILNS1_3genE10ELNS1_11target_archE1200ELNS1_3gpuE4ELNS1_3repE0EEENS1_30default_config_static_selectorELNS0_4arch9wavefront6targetE1EEEvT1_.uses_vcc, 0
	.set _ZN7rocprim17ROCPRIM_400000_NS6detail17trampoline_kernelINS0_14default_configENS1_25partition_config_selectorILNS1_17partition_subalgoE8ElNS0_10empty_typeEbEEZZNS1_14partition_implILS5_8ELb0ES3_jPlPS6_PKS6_NS0_5tupleIJS9_S6_EEENSD_IJSA_SA_EEENS0_18inequality_wrapperIZN2at6native12_GLOBAL__N_124unique_dim_cuda_templateIdEESt5tupleIJNSH_6TensorESM_SM_EERKSM_lbbbEUlllE0_EEPmJS6_EEE10hipError_tPvRmT3_T4_T5_T6_T7_T9_mT8_P12ihipStream_tbDpT10_ENKUlT_T0_E_clISt17integral_constantIbLb0EES1C_EEDaS17_S18_EUlS17_E_NS1_11comp_targetILNS1_3genE10ELNS1_11target_archE1200ELNS1_3gpuE4ELNS1_3repE0EEENS1_30default_config_static_selectorELNS0_4arch9wavefront6targetE1EEEvT1_.uses_flat_scratch, 0
	.set _ZN7rocprim17ROCPRIM_400000_NS6detail17trampoline_kernelINS0_14default_configENS1_25partition_config_selectorILNS1_17partition_subalgoE8ElNS0_10empty_typeEbEEZZNS1_14partition_implILS5_8ELb0ES3_jPlPS6_PKS6_NS0_5tupleIJS9_S6_EEENSD_IJSA_SA_EEENS0_18inequality_wrapperIZN2at6native12_GLOBAL__N_124unique_dim_cuda_templateIdEESt5tupleIJNSH_6TensorESM_SM_EERKSM_lbbbEUlllE0_EEPmJS6_EEE10hipError_tPvRmT3_T4_T5_T6_T7_T9_mT8_P12ihipStream_tbDpT10_ENKUlT_T0_E_clISt17integral_constantIbLb0EES1C_EEDaS17_S18_EUlS17_E_NS1_11comp_targetILNS1_3genE10ELNS1_11target_archE1200ELNS1_3gpuE4ELNS1_3repE0EEENS1_30default_config_static_selectorELNS0_4arch9wavefront6targetE1EEEvT1_.has_dyn_sized_stack, 0
	.set _ZN7rocprim17ROCPRIM_400000_NS6detail17trampoline_kernelINS0_14default_configENS1_25partition_config_selectorILNS1_17partition_subalgoE8ElNS0_10empty_typeEbEEZZNS1_14partition_implILS5_8ELb0ES3_jPlPS6_PKS6_NS0_5tupleIJS9_S6_EEENSD_IJSA_SA_EEENS0_18inequality_wrapperIZN2at6native12_GLOBAL__N_124unique_dim_cuda_templateIdEESt5tupleIJNSH_6TensorESM_SM_EERKSM_lbbbEUlllE0_EEPmJS6_EEE10hipError_tPvRmT3_T4_T5_T6_T7_T9_mT8_P12ihipStream_tbDpT10_ENKUlT_T0_E_clISt17integral_constantIbLb0EES1C_EEDaS17_S18_EUlS17_E_NS1_11comp_targetILNS1_3genE10ELNS1_11target_archE1200ELNS1_3gpuE4ELNS1_3repE0EEENS1_30default_config_static_selectorELNS0_4arch9wavefront6targetE1EEEvT1_.has_recursion, 0
	.set _ZN7rocprim17ROCPRIM_400000_NS6detail17trampoline_kernelINS0_14default_configENS1_25partition_config_selectorILNS1_17partition_subalgoE8ElNS0_10empty_typeEbEEZZNS1_14partition_implILS5_8ELb0ES3_jPlPS6_PKS6_NS0_5tupleIJS9_S6_EEENSD_IJSA_SA_EEENS0_18inequality_wrapperIZN2at6native12_GLOBAL__N_124unique_dim_cuda_templateIdEESt5tupleIJNSH_6TensorESM_SM_EERKSM_lbbbEUlllE0_EEPmJS6_EEE10hipError_tPvRmT3_T4_T5_T6_T7_T9_mT8_P12ihipStream_tbDpT10_ENKUlT_T0_E_clISt17integral_constantIbLb0EES1C_EEDaS17_S18_EUlS17_E_NS1_11comp_targetILNS1_3genE10ELNS1_11target_archE1200ELNS1_3gpuE4ELNS1_3repE0EEENS1_30default_config_static_selectorELNS0_4arch9wavefront6targetE1EEEvT1_.has_indirect_call, 0
	.section	.AMDGPU.csdata,"",@progbits
; Kernel info:
; codeLenInByte = 0
; TotalNumSgprs: 6
; NumVgprs: 0
; NumAgprs: 0
; TotalNumVgprs: 0
; ScratchSize: 0
; MemoryBound: 0
; FloatMode: 240
; IeeeMode: 1
; LDSByteSize: 0 bytes/workgroup (compile time only)
; SGPRBlocks: 0
; VGPRBlocks: 0
; NumSGPRsForWavesPerEU: 6
; NumVGPRsForWavesPerEU: 1
; AccumOffset: 4
; Occupancy: 8
; WaveLimiterHint : 0
; COMPUTE_PGM_RSRC2:SCRATCH_EN: 0
; COMPUTE_PGM_RSRC2:USER_SGPR: 2
; COMPUTE_PGM_RSRC2:TRAP_HANDLER: 0
; COMPUTE_PGM_RSRC2:TGID_X_EN: 1
; COMPUTE_PGM_RSRC2:TGID_Y_EN: 0
; COMPUTE_PGM_RSRC2:TGID_Z_EN: 0
; COMPUTE_PGM_RSRC2:TIDIG_COMP_CNT: 0
; COMPUTE_PGM_RSRC3_GFX90A:ACCUM_OFFSET: 0
; COMPUTE_PGM_RSRC3_GFX90A:TG_SPLIT: 0
	.section	.text._ZN7rocprim17ROCPRIM_400000_NS6detail17trampoline_kernelINS0_14default_configENS1_25partition_config_selectorILNS1_17partition_subalgoE8ElNS0_10empty_typeEbEEZZNS1_14partition_implILS5_8ELb0ES3_jPlPS6_PKS6_NS0_5tupleIJS9_S6_EEENSD_IJSA_SA_EEENS0_18inequality_wrapperIZN2at6native12_GLOBAL__N_124unique_dim_cuda_templateIdEESt5tupleIJNSH_6TensorESM_SM_EERKSM_lbbbEUlllE0_EEPmJS6_EEE10hipError_tPvRmT3_T4_T5_T6_T7_T9_mT8_P12ihipStream_tbDpT10_ENKUlT_T0_E_clISt17integral_constantIbLb0EES1C_EEDaS17_S18_EUlS17_E_NS1_11comp_targetILNS1_3genE9ELNS1_11target_archE1100ELNS1_3gpuE3ELNS1_3repE0EEENS1_30default_config_static_selectorELNS0_4arch9wavefront6targetE1EEEvT1_,"axG",@progbits,_ZN7rocprim17ROCPRIM_400000_NS6detail17trampoline_kernelINS0_14default_configENS1_25partition_config_selectorILNS1_17partition_subalgoE8ElNS0_10empty_typeEbEEZZNS1_14partition_implILS5_8ELb0ES3_jPlPS6_PKS6_NS0_5tupleIJS9_S6_EEENSD_IJSA_SA_EEENS0_18inequality_wrapperIZN2at6native12_GLOBAL__N_124unique_dim_cuda_templateIdEESt5tupleIJNSH_6TensorESM_SM_EERKSM_lbbbEUlllE0_EEPmJS6_EEE10hipError_tPvRmT3_T4_T5_T6_T7_T9_mT8_P12ihipStream_tbDpT10_ENKUlT_T0_E_clISt17integral_constantIbLb0EES1C_EEDaS17_S18_EUlS17_E_NS1_11comp_targetILNS1_3genE9ELNS1_11target_archE1100ELNS1_3gpuE3ELNS1_3repE0EEENS1_30default_config_static_selectorELNS0_4arch9wavefront6targetE1EEEvT1_,comdat
	.globl	_ZN7rocprim17ROCPRIM_400000_NS6detail17trampoline_kernelINS0_14default_configENS1_25partition_config_selectorILNS1_17partition_subalgoE8ElNS0_10empty_typeEbEEZZNS1_14partition_implILS5_8ELb0ES3_jPlPS6_PKS6_NS0_5tupleIJS9_S6_EEENSD_IJSA_SA_EEENS0_18inequality_wrapperIZN2at6native12_GLOBAL__N_124unique_dim_cuda_templateIdEESt5tupleIJNSH_6TensorESM_SM_EERKSM_lbbbEUlllE0_EEPmJS6_EEE10hipError_tPvRmT3_T4_T5_T6_T7_T9_mT8_P12ihipStream_tbDpT10_ENKUlT_T0_E_clISt17integral_constantIbLb0EES1C_EEDaS17_S18_EUlS17_E_NS1_11comp_targetILNS1_3genE9ELNS1_11target_archE1100ELNS1_3gpuE3ELNS1_3repE0EEENS1_30default_config_static_selectorELNS0_4arch9wavefront6targetE1EEEvT1_ ; -- Begin function _ZN7rocprim17ROCPRIM_400000_NS6detail17trampoline_kernelINS0_14default_configENS1_25partition_config_selectorILNS1_17partition_subalgoE8ElNS0_10empty_typeEbEEZZNS1_14partition_implILS5_8ELb0ES3_jPlPS6_PKS6_NS0_5tupleIJS9_S6_EEENSD_IJSA_SA_EEENS0_18inequality_wrapperIZN2at6native12_GLOBAL__N_124unique_dim_cuda_templateIdEESt5tupleIJNSH_6TensorESM_SM_EERKSM_lbbbEUlllE0_EEPmJS6_EEE10hipError_tPvRmT3_T4_T5_T6_T7_T9_mT8_P12ihipStream_tbDpT10_ENKUlT_T0_E_clISt17integral_constantIbLb0EES1C_EEDaS17_S18_EUlS17_E_NS1_11comp_targetILNS1_3genE9ELNS1_11target_archE1100ELNS1_3gpuE3ELNS1_3repE0EEENS1_30default_config_static_selectorELNS0_4arch9wavefront6targetE1EEEvT1_
	.p2align	8
	.type	_ZN7rocprim17ROCPRIM_400000_NS6detail17trampoline_kernelINS0_14default_configENS1_25partition_config_selectorILNS1_17partition_subalgoE8ElNS0_10empty_typeEbEEZZNS1_14partition_implILS5_8ELb0ES3_jPlPS6_PKS6_NS0_5tupleIJS9_S6_EEENSD_IJSA_SA_EEENS0_18inequality_wrapperIZN2at6native12_GLOBAL__N_124unique_dim_cuda_templateIdEESt5tupleIJNSH_6TensorESM_SM_EERKSM_lbbbEUlllE0_EEPmJS6_EEE10hipError_tPvRmT3_T4_T5_T6_T7_T9_mT8_P12ihipStream_tbDpT10_ENKUlT_T0_E_clISt17integral_constantIbLb0EES1C_EEDaS17_S18_EUlS17_E_NS1_11comp_targetILNS1_3genE9ELNS1_11target_archE1100ELNS1_3gpuE3ELNS1_3repE0EEENS1_30default_config_static_selectorELNS0_4arch9wavefront6targetE1EEEvT1_,@function
_ZN7rocprim17ROCPRIM_400000_NS6detail17trampoline_kernelINS0_14default_configENS1_25partition_config_selectorILNS1_17partition_subalgoE8ElNS0_10empty_typeEbEEZZNS1_14partition_implILS5_8ELb0ES3_jPlPS6_PKS6_NS0_5tupleIJS9_S6_EEENSD_IJSA_SA_EEENS0_18inequality_wrapperIZN2at6native12_GLOBAL__N_124unique_dim_cuda_templateIdEESt5tupleIJNSH_6TensorESM_SM_EERKSM_lbbbEUlllE0_EEPmJS6_EEE10hipError_tPvRmT3_T4_T5_T6_T7_T9_mT8_P12ihipStream_tbDpT10_ENKUlT_T0_E_clISt17integral_constantIbLb0EES1C_EEDaS17_S18_EUlS17_E_NS1_11comp_targetILNS1_3genE9ELNS1_11target_archE1100ELNS1_3gpuE3ELNS1_3repE0EEENS1_30default_config_static_selectorELNS0_4arch9wavefront6targetE1EEEvT1_: ; @_ZN7rocprim17ROCPRIM_400000_NS6detail17trampoline_kernelINS0_14default_configENS1_25partition_config_selectorILNS1_17partition_subalgoE8ElNS0_10empty_typeEbEEZZNS1_14partition_implILS5_8ELb0ES3_jPlPS6_PKS6_NS0_5tupleIJS9_S6_EEENSD_IJSA_SA_EEENS0_18inequality_wrapperIZN2at6native12_GLOBAL__N_124unique_dim_cuda_templateIdEESt5tupleIJNSH_6TensorESM_SM_EERKSM_lbbbEUlllE0_EEPmJS6_EEE10hipError_tPvRmT3_T4_T5_T6_T7_T9_mT8_P12ihipStream_tbDpT10_ENKUlT_T0_E_clISt17integral_constantIbLb0EES1C_EEDaS17_S18_EUlS17_E_NS1_11comp_targetILNS1_3genE9ELNS1_11target_archE1100ELNS1_3gpuE3ELNS1_3repE0EEENS1_30default_config_static_selectorELNS0_4arch9wavefront6targetE1EEEvT1_
; %bb.0:
	.section	.rodata,"a",@progbits
	.p2align	6, 0x0
	.amdhsa_kernel _ZN7rocprim17ROCPRIM_400000_NS6detail17trampoline_kernelINS0_14default_configENS1_25partition_config_selectorILNS1_17partition_subalgoE8ElNS0_10empty_typeEbEEZZNS1_14partition_implILS5_8ELb0ES3_jPlPS6_PKS6_NS0_5tupleIJS9_S6_EEENSD_IJSA_SA_EEENS0_18inequality_wrapperIZN2at6native12_GLOBAL__N_124unique_dim_cuda_templateIdEESt5tupleIJNSH_6TensorESM_SM_EERKSM_lbbbEUlllE0_EEPmJS6_EEE10hipError_tPvRmT3_T4_T5_T6_T7_T9_mT8_P12ihipStream_tbDpT10_ENKUlT_T0_E_clISt17integral_constantIbLb0EES1C_EEDaS17_S18_EUlS17_E_NS1_11comp_targetILNS1_3genE9ELNS1_11target_archE1100ELNS1_3gpuE3ELNS1_3repE0EEENS1_30default_config_static_selectorELNS0_4arch9wavefront6targetE1EEEvT1_
		.amdhsa_group_segment_fixed_size 0
		.amdhsa_private_segment_fixed_size 0
		.amdhsa_kernarg_size 120
		.amdhsa_user_sgpr_count 2
		.amdhsa_user_sgpr_dispatch_ptr 0
		.amdhsa_user_sgpr_queue_ptr 0
		.amdhsa_user_sgpr_kernarg_segment_ptr 1
		.amdhsa_user_sgpr_dispatch_id 0
		.amdhsa_user_sgpr_kernarg_preload_length 0
		.amdhsa_user_sgpr_kernarg_preload_offset 0
		.amdhsa_user_sgpr_private_segment_size 0
		.amdhsa_uses_dynamic_stack 0
		.amdhsa_enable_private_segment 0
		.amdhsa_system_sgpr_workgroup_id_x 1
		.amdhsa_system_sgpr_workgroup_id_y 0
		.amdhsa_system_sgpr_workgroup_id_z 0
		.amdhsa_system_sgpr_workgroup_info 0
		.amdhsa_system_vgpr_workitem_id 0
		.amdhsa_next_free_vgpr 1
		.amdhsa_next_free_sgpr 0
		.amdhsa_accum_offset 4
		.amdhsa_reserve_vcc 0
		.amdhsa_float_round_mode_32 0
		.amdhsa_float_round_mode_16_64 0
		.amdhsa_float_denorm_mode_32 3
		.amdhsa_float_denorm_mode_16_64 3
		.amdhsa_dx10_clamp 1
		.amdhsa_ieee_mode 1
		.amdhsa_fp16_overflow 0
		.amdhsa_tg_split 0
		.amdhsa_exception_fp_ieee_invalid_op 0
		.amdhsa_exception_fp_denorm_src 0
		.amdhsa_exception_fp_ieee_div_zero 0
		.amdhsa_exception_fp_ieee_overflow 0
		.amdhsa_exception_fp_ieee_underflow 0
		.amdhsa_exception_fp_ieee_inexact 0
		.amdhsa_exception_int_div_zero 0
	.end_amdhsa_kernel
	.section	.text._ZN7rocprim17ROCPRIM_400000_NS6detail17trampoline_kernelINS0_14default_configENS1_25partition_config_selectorILNS1_17partition_subalgoE8ElNS0_10empty_typeEbEEZZNS1_14partition_implILS5_8ELb0ES3_jPlPS6_PKS6_NS0_5tupleIJS9_S6_EEENSD_IJSA_SA_EEENS0_18inequality_wrapperIZN2at6native12_GLOBAL__N_124unique_dim_cuda_templateIdEESt5tupleIJNSH_6TensorESM_SM_EERKSM_lbbbEUlllE0_EEPmJS6_EEE10hipError_tPvRmT3_T4_T5_T6_T7_T9_mT8_P12ihipStream_tbDpT10_ENKUlT_T0_E_clISt17integral_constantIbLb0EES1C_EEDaS17_S18_EUlS17_E_NS1_11comp_targetILNS1_3genE9ELNS1_11target_archE1100ELNS1_3gpuE3ELNS1_3repE0EEENS1_30default_config_static_selectorELNS0_4arch9wavefront6targetE1EEEvT1_,"axG",@progbits,_ZN7rocprim17ROCPRIM_400000_NS6detail17trampoline_kernelINS0_14default_configENS1_25partition_config_selectorILNS1_17partition_subalgoE8ElNS0_10empty_typeEbEEZZNS1_14partition_implILS5_8ELb0ES3_jPlPS6_PKS6_NS0_5tupleIJS9_S6_EEENSD_IJSA_SA_EEENS0_18inequality_wrapperIZN2at6native12_GLOBAL__N_124unique_dim_cuda_templateIdEESt5tupleIJNSH_6TensorESM_SM_EERKSM_lbbbEUlllE0_EEPmJS6_EEE10hipError_tPvRmT3_T4_T5_T6_T7_T9_mT8_P12ihipStream_tbDpT10_ENKUlT_T0_E_clISt17integral_constantIbLb0EES1C_EEDaS17_S18_EUlS17_E_NS1_11comp_targetILNS1_3genE9ELNS1_11target_archE1100ELNS1_3gpuE3ELNS1_3repE0EEENS1_30default_config_static_selectorELNS0_4arch9wavefront6targetE1EEEvT1_,comdat
.Lfunc_end813:
	.size	_ZN7rocprim17ROCPRIM_400000_NS6detail17trampoline_kernelINS0_14default_configENS1_25partition_config_selectorILNS1_17partition_subalgoE8ElNS0_10empty_typeEbEEZZNS1_14partition_implILS5_8ELb0ES3_jPlPS6_PKS6_NS0_5tupleIJS9_S6_EEENSD_IJSA_SA_EEENS0_18inequality_wrapperIZN2at6native12_GLOBAL__N_124unique_dim_cuda_templateIdEESt5tupleIJNSH_6TensorESM_SM_EERKSM_lbbbEUlllE0_EEPmJS6_EEE10hipError_tPvRmT3_T4_T5_T6_T7_T9_mT8_P12ihipStream_tbDpT10_ENKUlT_T0_E_clISt17integral_constantIbLb0EES1C_EEDaS17_S18_EUlS17_E_NS1_11comp_targetILNS1_3genE9ELNS1_11target_archE1100ELNS1_3gpuE3ELNS1_3repE0EEENS1_30default_config_static_selectorELNS0_4arch9wavefront6targetE1EEEvT1_, .Lfunc_end813-_ZN7rocprim17ROCPRIM_400000_NS6detail17trampoline_kernelINS0_14default_configENS1_25partition_config_selectorILNS1_17partition_subalgoE8ElNS0_10empty_typeEbEEZZNS1_14partition_implILS5_8ELb0ES3_jPlPS6_PKS6_NS0_5tupleIJS9_S6_EEENSD_IJSA_SA_EEENS0_18inequality_wrapperIZN2at6native12_GLOBAL__N_124unique_dim_cuda_templateIdEESt5tupleIJNSH_6TensorESM_SM_EERKSM_lbbbEUlllE0_EEPmJS6_EEE10hipError_tPvRmT3_T4_T5_T6_T7_T9_mT8_P12ihipStream_tbDpT10_ENKUlT_T0_E_clISt17integral_constantIbLb0EES1C_EEDaS17_S18_EUlS17_E_NS1_11comp_targetILNS1_3genE9ELNS1_11target_archE1100ELNS1_3gpuE3ELNS1_3repE0EEENS1_30default_config_static_selectorELNS0_4arch9wavefront6targetE1EEEvT1_
                                        ; -- End function
	.set _ZN7rocprim17ROCPRIM_400000_NS6detail17trampoline_kernelINS0_14default_configENS1_25partition_config_selectorILNS1_17partition_subalgoE8ElNS0_10empty_typeEbEEZZNS1_14partition_implILS5_8ELb0ES3_jPlPS6_PKS6_NS0_5tupleIJS9_S6_EEENSD_IJSA_SA_EEENS0_18inequality_wrapperIZN2at6native12_GLOBAL__N_124unique_dim_cuda_templateIdEESt5tupleIJNSH_6TensorESM_SM_EERKSM_lbbbEUlllE0_EEPmJS6_EEE10hipError_tPvRmT3_T4_T5_T6_T7_T9_mT8_P12ihipStream_tbDpT10_ENKUlT_T0_E_clISt17integral_constantIbLb0EES1C_EEDaS17_S18_EUlS17_E_NS1_11comp_targetILNS1_3genE9ELNS1_11target_archE1100ELNS1_3gpuE3ELNS1_3repE0EEENS1_30default_config_static_selectorELNS0_4arch9wavefront6targetE1EEEvT1_.num_vgpr, 0
	.set _ZN7rocprim17ROCPRIM_400000_NS6detail17trampoline_kernelINS0_14default_configENS1_25partition_config_selectorILNS1_17partition_subalgoE8ElNS0_10empty_typeEbEEZZNS1_14partition_implILS5_8ELb0ES3_jPlPS6_PKS6_NS0_5tupleIJS9_S6_EEENSD_IJSA_SA_EEENS0_18inequality_wrapperIZN2at6native12_GLOBAL__N_124unique_dim_cuda_templateIdEESt5tupleIJNSH_6TensorESM_SM_EERKSM_lbbbEUlllE0_EEPmJS6_EEE10hipError_tPvRmT3_T4_T5_T6_T7_T9_mT8_P12ihipStream_tbDpT10_ENKUlT_T0_E_clISt17integral_constantIbLb0EES1C_EEDaS17_S18_EUlS17_E_NS1_11comp_targetILNS1_3genE9ELNS1_11target_archE1100ELNS1_3gpuE3ELNS1_3repE0EEENS1_30default_config_static_selectorELNS0_4arch9wavefront6targetE1EEEvT1_.num_agpr, 0
	.set _ZN7rocprim17ROCPRIM_400000_NS6detail17trampoline_kernelINS0_14default_configENS1_25partition_config_selectorILNS1_17partition_subalgoE8ElNS0_10empty_typeEbEEZZNS1_14partition_implILS5_8ELb0ES3_jPlPS6_PKS6_NS0_5tupleIJS9_S6_EEENSD_IJSA_SA_EEENS0_18inequality_wrapperIZN2at6native12_GLOBAL__N_124unique_dim_cuda_templateIdEESt5tupleIJNSH_6TensorESM_SM_EERKSM_lbbbEUlllE0_EEPmJS6_EEE10hipError_tPvRmT3_T4_T5_T6_T7_T9_mT8_P12ihipStream_tbDpT10_ENKUlT_T0_E_clISt17integral_constantIbLb0EES1C_EEDaS17_S18_EUlS17_E_NS1_11comp_targetILNS1_3genE9ELNS1_11target_archE1100ELNS1_3gpuE3ELNS1_3repE0EEENS1_30default_config_static_selectorELNS0_4arch9wavefront6targetE1EEEvT1_.numbered_sgpr, 0
	.set _ZN7rocprim17ROCPRIM_400000_NS6detail17trampoline_kernelINS0_14default_configENS1_25partition_config_selectorILNS1_17partition_subalgoE8ElNS0_10empty_typeEbEEZZNS1_14partition_implILS5_8ELb0ES3_jPlPS6_PKS6_NS0_5tupleIJS9_S6_EEENSD_IJSA_SA_EEENS0_18inequality_wrapperIZN2at6native12_GLOBAL__N_124unique_dim_cuda_templateIdEESt5tupleIJNSH_6TensorESM_SM_EERKSM_lbbbEUlllE0_EEPmJS6_EEE10hipError_tPvRmT3_T4_T5_T6_T7_T9_mT8_P12ihipStream_tbDpT10_ENKUlT_T0_E_clISt17integral_constantIbLb0EES1C_EEDaS17_S18_EUlS17_E_NS1_11comp_targetILNS1_3genE9ELNS1_11target_archE1100ELNS1_3gpuE3ELNS1_3repE0EEENS1_30default_config_static_selectorELNS0_4arch9wavefront6targetE1EEEvT1_.num_named_barrier, 0
	.set _ZN7rocprim17ROCPRIM_400000_NS6detail17trampoline_kernelINS0_14default_configENS1_25partition_config_selectorILNS1_17partition_subalgoE8ElNS0_10empty_typeEbEEZZNS1_14partition_implILS5_8ELb0ES3_jPlPS6_PKS6_NS0_5tupleIJS9_S6_EEENSD_IJSA_SA_EEENS0_18inequality_wrapperIZN2at6native12_GLOBAL__N_124unique_dim_cuda_templateIdEESt5tupleIJNSH_6TensorESM_SM_EERKSM_lbbbEUlllE0_EEPmJS6_EEE10hipError_tPvRmT3_T4_T5_T6_T7_T9_mT8_P12ihipStream_tbDpT10_ENKUlT_T0_E_clISt17integral_constantIbLb0EES1C_EEDaS17_S18_EUlS17_E_NS1_11comp_targetILNS1_3genE9ELNS1_11target_archE1100ELNS1_3gpuE3ELNS1_3repE0EEENS1_30default_config_static_selectorELNS0_4arch9wavefront6targetE1EEEvT1_.private_seg_size, 0
	.set _ZN7rocprim17ROCPRIM_400000_NS6detail17trampoline_kernelINS0_14default_configENS1_25partition_config_selectorILNS1_17partition_subalgoE8ElNS0_10empty_typeEbEEZZNS1_14partition_implILS5_8ELb0ES3_jPlPS6_PKS6_NS0_5tupleIJS9_S6_EEENSD_IJSA_SA_EEENS0_18inequality_wrapperIZN2at6native12_GLOBAL__N_124unique_dim_cuda_templateIdEESt5tupleIJNSH_6TensorESM_SM_EERKSM_lbbbEUlllE0_EEPmJS6_EEE10hipError_tPvRmT3_T4_T5_T6_T7_T9_mT8_P12ihipStream_tbDpT10_ENKUlT_T0_E_clISt17integral_constantIbLb0EES1C_EEDaS17_S18_EUlS17_E_NS1_11comp_targetILNS1_3genE9ELNS1_11target_archE1100ELNS1_3gpuE3ELNS1_3repE0EEENS1_30default_config_static_selectorELNS0_4arch9wavefront6targetE1EEEvT1_.uses_vcc, 0
	.set _ZN7rocprim17ROCPRIM_400000_NS6detail17trampoline_kernelINS0_14default_configENS1_25partition_config_selectorILNS1_17partition_subalgoE8ElNS0_10empty_typeEbEEZZNS1_14partition_implILS5_8ELb0ES3_jPlPS6_PKS6_NS0_5tupleIJS9_S6_EEENSD_IJSA_SA_EEENS0_18inequality_wrapperIZN2at6native12_GLOBAL__N_124unique_dim_cuda_templateIdEESt5tupleIJNSH_6TensorESM_SM_EERKSM_lbbbEUlllE0_EEPmJS6_EEE10hipError_tPvRmT3_T4_T5_T6_T7_T9_mT8_P12ihipStream_tbDpT10_ENKUlT_T0_E_clISt17integral_constantIbLb0EES1C_EEDaS17_S18_EUlS17_E_NS1_11comp_targetILNS1_3genE9ELNS1_11target_archE1100ELNS1_3gpuE3ELNS1_3repE0EEENS1_30default_config_static_selectorELNS0_4arch9wavefront6targetE1EEEvT1_.uses_flat_scratch, 0
	.set _ZN7rocprim17ROCPRIM_400000_NS6detail17trampoline_kernelINS0_14default_configENS1_25partition_config_selectorILNS1_17partition_subalgoE8ElNS0_10empty_typeEbEEZZNS1_14partition_implILS5_8ELb0ES3_jPlPS6_PKS6_NS0_5tupleIJS9_S6_EEENSD_IJSA_SA_EEENS0_18inequality_wrapperIZN2at6native12_GLOBAL__N_124unique_dim_cuda_templateIdEESt5tupleIJNSH_6TensorESM_SM_EERKSM_lbbbEUlllE0_EEPmJS6_EEE10hipError_tPvRmT3_T4_T5_T6_T7_T9_mT8_P12ihipStream_tbDpT10_ENKUlT_T0_E_clISt17integral_constantIbLb0EES1C_EEDaS17_S18_EUlS17_E_NS1_11comp_targetILNS1_3genE9ELNS1_11target_archE1100ELNS1_3gpuE3ELNS1_3repE0EEENS1_30default_config_static_selectorELNS0_4arch9wavefront6targetE1EEEvT1_.has_dyn_sized_stack, 0
	.set _ZN7rocprim17ROCPRIM_400000_NS6detail17trampoline_kernelINS0_14default_configENS1_25partition_config_selectorILNS1_17partition_subalgoE8ElNS0_10empty_typeEbEEZZNS1_14partition_implILS5_8ELb0ES3_jPlPS6_PKS6_NS0_5tupleIJS9_S6_EEENSD_IJSA_SA_EEENS0_18inequality_wrapperIZN2at6native12_GLOBAL__N_124unique_dim_cuda_templateIdEESt5tupleIJNSH_6TensorESM_SM_EERKSM_lbbbEUlllE0_EEPmJS6_EEE10hipError_tPvRmT3_T4_T5_T6_T7_T9_mT8_P12ihipStream_tbDpT10_ENKUlT_T0_E_clISt17integral_constantIbLb0EES1C_EEDaS17_S18_EUlS17_E_NS1_11comp_targetILNS1_3genE9ELNS1_11target_archE1100ELNS1_3gpuE3ELNS1_3repE0EEENS1_30default_config_static_selectorELNS0_4arch9wavefront6targetE1EEEvT1_.has_recursion, 0
	.set _ZN7rocprim17ROCPRIM_400000_NS6detail17trampoline_kernelINS0_14default_configENS1_25partition_config_selectorILNS1_17partition_subalgoE8ElNS0_10empty_typeEbEEZZNS1_14partition_implILS5_8ELb0ES3_jPlPS6_PKS6_NS0_5tupleIJS9_S6_EEENSD_IJSA_SA_EEENS0_18inequality_wrapperIZN2at6native12_GLOBAL__N_124unique_dim_cuda_templateIdEESt5tupleIJNSH_6TensorESM_SM_EERKSM_lbbbEUlllE0_EEPmJS6_EEE10hipError_tPvRmT3_T4_T5_T6_T7_T9_mT8_P12ihipStream_tbDpT10_ENKUlT_T0_E_clISt17integral_constantIbLb0EES1C_EEDaS17_S18_EUlS17_E_NS1_11comp_targetILNS1_3genE9ELNS1_11target_archE1100ELNS1_3gpuE3ELNS1_3repE0EEENS1_30default_config_static_selectorELNS0_4arch9wavefront6targetE1EEEvT1_.has_indirect_call, 0
	.section	.AMDGPU.csdata,"",@progbits
; Kernel info:
; codeLenInByte = 0
; TotalNumSgprs: 6
; NumVgprs: 0
; NumAgprs: 0
; TotalNumVgprs: 0
; ScratchSize: 0
; MemoryBound: 0
; FloatMode: 240
; IeeeMode: 1
; LDSByteSize: 0 bytes/workgroup (compile time only)
; SGPRBlocks: 0
; VGPRBlocks: 0
; NumSGPRsForWavesPerEU: 6
; NumVGPRsForWavesPerEU: 1
; AccumOffset: 4
; Occupancy: 8
; WaveLimiterHint : 0
; COMPUTE_PGM_RSRC2:SCRATCH_EN: 0
; COMPUTE_PGM_RSRC2:USER_SGPR: 2
; COMPUTE_PGM_RSRC2:TRAP_HANDLER: 0
; COMPUTE_PGM_RSRC2:TGID_X_EN: 1
; COMPUTE_PGM_RSRC2:TGID_Y_EN: 0
; COMPUTE_PGM_RSRC2:TGID_Z_EN: 0
; COMPUTE_PGM_RSRC2:TIDIG_COMP_CNT: 0
; COMPUTE_PGM_RSRC3_GFX90A:ACCUM_OFFSET: 0
; COMPUTE_PGM_RSRC3_GFX90A:TG_SPLIT: 0
	.section	.text._ZN7rocprim17ROCPRIM_400000_NS6detail17trampoline_kernelINS0_14default_configENS1_25partition_config_selectorILNS1_17partition_subalgoE8ElNS0_10empty_typeEbEEZZNS1_14partition_implILS5_8ELb0ES3_jPlPS6_PKS6_NS0_5tupleIJS9_S6_EEENSD_IJSA_SA_EEENS0_18inequality_wrapperIZN2at6native12_GLOBAL__N_124unique_dim_cuda_templateIdEESt5tupleIJNSH_6TensorESM_SM_EERKSM_lbbbEUlllE0_EEPmJS6_EEE10hipError_tPvRmT3_T4_T5_T6_T7_T9_mT8_P12ihipStream_tbDpT10_ENKUlT_T0_E_clISt17integral_constantIbLb0EES1C_EEDaS17_S18_EUlS17_E_NS1_11comp_targetILNS1_3genE8ELNS1_11target_archE1030ELNS1_3gpuE2ELNS1_3repE0EEENS1_30default_config_static_selectorELNS0_4arch9wavefront6targetE1EEEvT1_,"axG",@progbits,_ZN7rocprim17ROCPRIM_400000_NS6detail17trampoline_kernelINS0_14default_configENS1_25partition_config_selectorILNS1_17partition_subalgoE8ElNS0_10empty_typeEbEEZZNS1_14partition_implILS5_8ELb0ES3_jPlPS6_PKS6_NS0_5tupleIJS9_S6_EEENSD_IJSA_SA_EEENS0_18inequality_wrapperIZN2at6native12_GLOBAL__N_124unique_dim_cuda_templateIdEESt5tupleIJNSH_6TensorESM_SM_EERKSM_lbbbEUlllE0_EEPmJS6_EEE10hipError_tPvRmT3_T4_T5_T6_T7_T9_mT8_P12ihipStream_tbDpT10_ENKUlT_T0_E_clISt17integral_constantIbLb0EES1C_EEDaS17_S18_EUlS17_E_NS1_11comp_targetILNS1_3genE8ELNS1_11target_archE1030ELNS1_3gpuE2ELNS1_3repE0EEENS1_30default_config_static_selectorELNS0_4arch9wavefront6targetE1EEEvT1_,comdat
	.globl	_ZN7rocprim17ROCPRIM_400000_NS6detail17trampoline_kernelINS0_14default_configENS1_25partition_config_selectorILNS1_17partition_subalgoE8ElNS0_10empty_typeEbEEZZNS1_14partition_implILS5_8ELb0ES3_jPlPS6_PKS6_NS0_5tupleIJS9_S6_EEENSD_IJSA_SA_EEENS0_18inequality_wrapperIZN2at6native12_GLOBAL__N_124unique_dim_cuda_templateIdEESt5tupleIJNSH_6TensorESM_SM_EERKSM_lbbbEUlllE0_EEPmJS6_EEE10hipError_tPvRmT3_T4_T5_T6_T7_T9_mT8_P12ihipStream_tbDpT10_ENKUlT_T0_E_clISt17integral_constantIbLb0EES1C_EEDaS17_S18_EUlS17_E_NS1_11comp_targetILNS1_3genE8ELNS1_11target_archE1030ELNS1_3gpuE2ELNS1_3repE0EEENS1_30default_config_static_selectorELNS0_4arch9wavefront6targetE1EEEvT1_ ; -- Begin function _ZN7rocprim17ROCPRIM_400000_NS6detail17trampoline_kernelINS0_14default_configENS1_25partition_config_selectorILNS1_17partition_subalgoE8ElNS0_10empty_typeEbEEZZNS1_14partition_implILS5_8ELb0ES3_jPlPS6_PKS6_NS0_5tupleIJS9_S6_EEENSD_IJSA_SA_EEENS0_18inequality_wrapperIZN2at6native12_GLOBAL__N_124unique_dim_cuda_templateIdEESt5tupleIJNSH_6TensorESM_SM_EERKSM_lbbbEUlllE0_EEPmJS6_EEE10hipError_tPvRmT3_T4_T5_T6_T7_T9_mT8_P12ihipStream_tbDpT10_ENKUlT_T0_E_clISt17integral_constantIbLb0EES1C_EEDaS17_S18_EUlS17_E_NS1_11comp_targetILNS1_3genE8ELNS1_11target_archE1030ELNS1_3gpuE2ELNS1_3repE0EEENS1_30default_config_static_selectorELNS0_4arch9wavefront6targetE1EEEvT1_
	.p2align	8
	.type	_ZN7rocprim17ROCPRIM_400000_NS6detail17trampoline_kernelINS0_14default_configENS1_25partition_config_selectorILNS1_17partition_subalgoE8ElNS0_10empty_typeEbEEZZNS1_14partition_implILS5_8ELb0ES3_jPlPS6_PKS6_NS0_5tupleIJS9_S6_EEENSD_IJSA_SA_EEENS0_18inequality_wrapperIZN2at6native12_GLOBAL__N_124unique_dim_cuda_templateIdEESt5tupleIJNSH_6TensorESM_SM_EERKSM_lbbbEUlllE0_EEPmJS6_EEE10hipError_tPvRmT3_T4_T5_T6_T7_T9_mT8_P12ihipStream_tbDpT10_ENKUlT_T0_E_clISt17integral_constantIbLb0EES1C_EEDaS17_S18_EUlS17_E_NS1_11comp_targetILNS1_3genE8ELNS1_11target_archE1030ELNS1_3gpuE2ELNS1_3repE0EEENS1_30default_config_static_selectorELNS0_4arch9wavefront6targetE1EEEvT1_,@function
_ZN7rocprim17ROCPRIM_400000_NS6detail17trampoline_kernelINS0_14default_configENS1_25partition_config_selectorILNS1_17partition_subalgoE8ElNS0_10empty_typeEbEEZZNS1_14partition_implILS5_8ELb0ES3_jPlPS6_PKS6_NS0_5tupleIJS9_S6_EEENSD_IJSA_SA_EEENS0_18inequality_wrapperIZN2at6native12_GLOBAL__N_124unique_dim_cuda_templateIdEESt5tupleIJNSH_6TensorESM_SM_EERKSM_lbbbEUlllE0_EEPmJS6_EEE10hipError_tPvRmT3_T4_T5_T6_T7_T9_mT8_P12ihipStream_tbDpT10_ENKUlT_T0_E_clISt17integral_constantIbLb0EES1C_EEDaS17_S18_EUlS17_E_NS1_11comp_targetILNS1_3genE8ELNS1_11target_archE1030ELNS1_3gpuE2ELNS1_3repE0EEENS1_30default_config_static_selectorELNS0_4arch9wavefront6targetE1EEEvT1_: ; @_ZN7rocprim17ROCPRIM_400000_NS6detail17trampoline_kernelINS0_14default_configENS1_25partition_config_selectorILNS1_17partition_subalgoE8ElNS0_10empty_typeEbEEZZNS1_14partition_implILS5_8ELb0ES3_jPlPS6_PKS6_NS0_5tupleIJS9_S6_EEENSD_IJSA_SA_EEENS0_18inequality_wrapperIZN2at6native12_GLOBAL__N_124unique_dim_cuda_templateIdEESt5tupleIJNSH_6TensorESM_SM_EERKSM_lbbbEUlllE0_EEPmJS6_EEE10hipError_tPvRmT3_T4_T5_T6_T7_T9_mT8_P12ihipStream_tbDpT10_ENKUlT_T0_E_clISt17integral_constantIbLb0EES1C_EEDaS17_S18_EUlS17_E_NS1_11comp_targetILNS1_3genE8ELNS1_11target_archE1030ELNS1_3gpuE2ELNS1_3repE0EEENS1_30default_config_static_selectorELNS0_4arch9wavefront6targetE1EEEvT1_
; %bb.0:
	.section	.rodata,"a",@progbits
	.p2align	6, 0x0
	.amdhsa_kernel _ZN7rocprim17ROCPRIM_400000_NS6detail17trampoline_kernelINS0_14default_configENS1_25partition_config_selectorILNS1_17partition_subalgoE8ElNS0_10empty_typeEbEEZZNS1_14partition_implILS5_8ELb0ES3_jPlPS6_PKS6_NS0_5tupleIJS9_S6_EEENSD_IJSA_SA_EEENS0_18inequality_wrapperIZN2at6native12_GLOBAL__N_124unique_dim_cuda_templateIdEESt5tupleIJNSH_6TensorESM_SM_EERKSM_lbbbEUlllE0_EEPmJS6_EEE10hipError_tPvRmT3_T4_T5_T6_T7_T9_mT8_P12ihipStream_tbDpT10_ENKUlT_T0_E_clISt17integral_constantIbLb0EES1C_EEDaS17_S18_EUlS17_E_NS1_11comp_targetILNS1_3genE8ELNS1_11target_archE1030ELNS1_3gpuE2ELNS1_3repE0EEENS1_30default_config_static_selectorELNS0_4arch9wavefront6targetE1EEEvT1_
		.amdhsa_group_segment_fixed_size 0
		.amdhsa_private_segment_fixed_size 0
		.amdhsa_kernarg_size 120
		.amdhsa_user_sgpr_count 2
		.amdhsa_user_sgpr_dispatch_ptr 0
		.amdhsa_user_sgpr_queue_ptr 0
		.amdhsa_user_sgpr_kernarg_segment_ptr 1
		.amdhsa_user_sgpr_dispatch_id 0
		.amdhsa_user_sgpr_kernarg_preload_length 0
		.amdhsa_user_sgpr_kernarg_preload_offset 0
		.amdhsa_user_sgpr_private_segment_size 0
		.amdhsa_uses_dynamic_stack 0
		.amdhsa_enable_private_segment 0
		.amdhsa_system_sgpr_workgroup_id_x 1
		.amdhsa_system_sgpr_workgroup_id_y 0
		.amdhsa_system_sgpr_workgroup_id_z 0
		.amdhsa_system_sgpr_workgroup_info 0
		.amdhsa_system_vgpr_workitem_id 0
		.amdhsa_next_free_vgpr 1
		.amdhsa_next_free_sgpr 0
		.amdhsa_accum_offset 4
		.amdhsa_reserve_vcc 0
		.amdhsa_float_round_mode_32 0
		.amdhsa_float_round_mode_16_64 0
		.amdhsa_float_denorm_mode_32 3
		.amdhsa_float_denorm_mode_16_64 3
		.amdhsa_dx10_clamp 1
		.amdhsa_ieee_mode 1
		.amdhsa_fp16_overflow 0
		.amdhsa_tg_split 0
		.amdhsa_exception_fp_ieee_invalid_op 0
		.amdhsa_exception_fp_denorm_src 0
		.amdhsa_exception_fp_ieee_div_zero 0
		.amdhsa_exception_fp_ieee_overflow 0
		.amdhsa_exception_fp_ieee_underflow 0
		.amdhsa_exception_fp_ieee_inexact 0
		.amdhsa_exception_int_div_zero 0
	.end_amdhsa_kernel
	.section	.text._ZN7rocprim17ROCPRIM_400000_NS6detail17trampoline_kernelINS0_14default_configENS1_25partition_config_selectorILNS1_17partition_subalgoE8ElNS0_10empty_typeEbEEZZNS1_14partition_implILS5_8ELb0ES3_jPlPS6_PKS6_NS0_5tupleIJS9_S6_EEENSD_IJSA_SA_EEENS0_18inequality_wrapperIZN2at6native12_GLOBAL__N_124unique_dim_cuda_templateIdEESt5tupleIJNSH_6TensorESM_SM_EERKSM_lbbbEUlllE0_EEPmJS6_EEE10hipError_tPvRmT3_T4_T5_T6_T7_T9_mT8_P12ihipStream_tbDpT10_ENKUlT_T0_E_clISt17integral_constantIbLb0EES1C_EEDaS17_S18_EUlS17_E_NS1_11comp_targetILNS1_3genE8ELNS1_11target_archE1030ELNS1_3gpuE2ELNS1_3repE0EEENS1_30default_config_static_selectorELNS0_4arch9wavefront6targetE1EEEvT1_,"axG",@progbits,_ZN7rocprim17ROCPRIM_400000_NS6detail17trampoline_kernelINS0_14default_configENS1_25partition_config_selectorILNS1_17partition_subalgoE8ElNS0_10empty_typeEbEEZZNS1_14partition_implILS5_8ELb0ES3_jPlPS6_PKS6_NS0_5tupleIJS9_S6_EEENSD_IJSA_SA_EEENS0_18inequality_wrapperIZN2at6native12_GLOBAL__N_124unique_dim_cuda_templateIdEESt5tupleIJNSH_6TensorESM_SM_EERKSM_lbbbEUlllE0_EEPmJS6_EEE10hipError_tPvRmT3_T4_T5_T6_T7_T9_mT8_P12ihipStream_tbDpT10_ENKUlT_T0_E_clISt17integral_constantIbLb0EES1C_EEDaS17_S18_EUlS17_E_NS1_11comp_targetILNS1_3genE8ELNS1_11target_archE1030ELNS1_3gpuE2ELNS1_3repE0EEENS1_30default_config_static_selectorELNS0_4arch9wavefront6targetE1EEEvT1_,comdat
.Lfunc_end814:
	.size	_ZN7rocprim17ROCPRIM_400000_NS6detail17trampoline_kernelINS0_14default_configENS1_25partition_config_selectorILNS1_17partition_subalgoE8ElNS0_10empty_typeEbEEZZNS1_14partition_implILS5_8ELb0ES3_jPlPS6_PKS6_NS0_5tupleIJS9_S6_EEENSD_IJSA_SA_EEENS0_18inequality_wrapperIZN2at6native12_GLOBAL__N_124unique_dim_cuda_templateIdEESt5tupleIJNSH_6TensorESM_SM_EERKSM_lbbbEUlllE0_EEPmJS6_EEE10hipError_tPvRmT3_T4_T5_T6_T7_T9_mT8_P12ihipStream_tbDpT10_ENKUlT_T0_E_clISt17integral_constantIbLb0EES1C_EEDaS17_S18_EUlS17_E_NS1_11comp_targetILNS1_3genE8ELNS1_11target_archE1030ELNS1_3gpuE2ELNS1_3repE0EEENS1_30default_config_static_selectorELNS0_4arch9wavefront6targetE1EEEvT1_, .Lfunc_end814-_ZN7rocprim17ROCPRIM_400000_NS6detail17trampoline_kernelINS0_14default_configENS1_25partition_config_selectorILNS1_17partition_subalgoE8ElNS0_10empty_typeEbEEZZNS1_14partition_implILS5_8ELb0ES3_jPlPS6_PKS6_NS0_5tupleIJS9_S6_EEENSD_IJSA_SA_EEENS0_18inequality_wrapperIZN2at6native12_GLOBAL__N_124unique_dim_cuda_templateIdEESt5tupleIJNSH_6TensorESM_SM_EERKSM_lbbbEUlllE0_EEPmJS6_EEE10hipError_tPvRmT3_T4_T5_T6_T7_T9_mT8_P12ihipStream_tbDpT10_ENKUlT_T0_E_clISt17integral_constantIbLb0EES1C_EEDaS17_S18_EUlS17_E_NS1_11comp_targetILNS1_3genE8ELNS1_11target_archE1030ELNS1_3gpuE2ELNS1_3repE0EEENS1_30default_config_static_selectorELNS0_4arch9wavefront6targetE1EEEvT1_
                                        ; -- End function
	.set _ZN7rocprim17ROCPRIM_400000_NS6detail17trampoline_kernelINS0_14default_configENS1_25partition_config_selectorILNS1_17partition_subalgoE8ElNS0_10empty_typeEbEEZZNS1_14partition_implILS5_8ELb0ES3_jPlPS6_PKS6_NS0_5tupleIJS9_S6_EEENSD_IJSA_SA_EEENS0_18inequality_wrapperIZN2at6native12_GLOBAL__N_124unique_dim_cuda_templateIdEESt5tupleIJNSH_6TensorESM_SM_EERKSM_lbbbEUlllE0_EEPmJS6_EEE10hipError_tPvRmT3_T4_T5_T6_T7_T9_mT8_P12ihipStream_tbDpT10_ENKUlT_T0_E_clISt17integral_constantIbLb0EES1C_EEDaS17_S18_EUlS17_E_NS1_11comp_targetILNS1_3genE8ELNS1_11target_archE1030ELNS1_3gpuE2ELNS1_3repE0EEENS1_30default_config_static_selectorELNS0_4arch9wavefront6targetE1EEEvT1_.num_vgpr, 0
	.set _ZN7rocprim17ROCPRIM_400000_NS6detail17trampoline_kernelINS0_14default_configENS1_25partition_config_selectorILNS1_17partition_subalgoE8ElNS0_10empty_typeEbEEZZNS1_14partition_implILS5_8ELb0ES3_jPlPS6_PKS6_NS0_5tupleIJS9_S6_EEENSD_IJSA_SA_EEENS0_18inequality_wrapperIZN2at6native12_GLOBAL__N_124unique_dim_cuda_templateIdEESt5tupleIJNSH_6TensorESM_SM_EERKSM_lbbbEUlllE0_EEPmJS6_EEE10hipError_tPvRmT3_T4_T5_T6_T7_T9_mT8_P12ihipStream_tbDpT10_ENKUlT_T0_E_clISt17integral_constantIbLb0EES1C_EEDaS17_S18_EUlS17_E_NS1_11comp_targetILNS1_3genE8ELNS1_11target_archE1030ELNS1_3gpuE2ELNS1_3repE0EEENS1_30default_config_static_selectorELNS0_4arch9wavefront6targetE1EEEvT1_.num_agpr, 0
	.set _ZN7rocprim17ROCPRIM_400000_NS6detail17trampoline_kernelINS0_14default_configENS1_25partition_config_selectorILNS1_17partition_subalgoE8ElNS0_10empty_typeEbEEZZNS1_14partition_implILS5_8ELb0ES3_jPlPS6_PKS6_NS0_5tupleIJS9_S6_EEENSD_IJSA_SA_EEENS0_18inequality_wrapperIZN2at6native12_GLOBAL__N_124unique_dim_cuda_templateIdEESt5tupleIJNSH_6TensorESM_SM_EERKSM_lbbbEUlllE0_EEPmJS6_EEE10hipError_tPvRmT3_T4_T5_T6_T7_T9_mT8_P12ihipStream_tbDpT10_ENKUlT_T0_E_clISt17integral_constantIbLb0EES1C_EEDaS17_S18_EUlS17_E_NS1_11comp_targetILNS1_3genE8ELNS1_11target_archE1030ELNS1_3gpuE2ELNS1_3repE0EEENS1_30default_config_static_selectorELNS0_4arch9wavefront6targetE1EEEvT1_.numbered_sgpr, 0
	.set _ZN7rocprim17ROCPRIM_400000_NS6detail17trampoline_kernelINS0_14default_configENS1_25partition_config_selectorILNS1_17partition_subalgoE8ElNS0_10empty_typeEbEEZZNS1_14partition_implILS5_8ELb0ES3_jPlPS6_PKS6_NS0_5tupleIJS9_S6_EEENSD_IJSA_SA_EEENS0_18inequality_wrapperIZN2at6native12_GLOBAL__N_124unique_dim_cuda_templateIdEESt5tupleIJNSH_6TensorESM_SM_EERKSM_lbbbEUlllE0_EEPmJS6_EEE10hipError_tPvRmT3_T4_T5_T6_T7_T9_mT8_P12ihipStream_tbDpT10_ENKUlT_T0_E_clISt17integral_constantIbLb0EES1C_EEDaS17_S18_EUlS17_E_NS1_11comp_targetILNS1_3genE8ELNS1_11target_archE1030ELNS1_3gpuE2ELNS1_3repE0EEENS1_30default_config_static_selectorELNS0_4arch9wavefront6targetE1EEEvT1_.num_named_barrier, 0
	.set _ZN7rocprim17ROCPRIM_400000_NS6detail17trampoline_kernelINS0_14default_configENS1_25partition_config_selectorILNS1_17partition_subalgoE8ElNS0_10empty_typeEbEEZZNS1_14partition_implILS5_8ELb0ES3_jPlPS6_PKS6_NS0_5tupleIJS9_S6_EEENSD_IJSA_SA_EEENS0_18inequality_wrapperIZN2at6native12_GLOBAL__N_124unique_dim_cuda_templateIdEESt5tupleIJNSH_6TensorESM_SM_EERKSM_lbbbEUlllE0_EEPmJS6_EEE10hipError_tPvRmT3_T4_T5_T6_T7_T9_mT8_P12ihipStream_tbDpT10_ENKUlT_T0_E_clISt17integral_constantIbLb0EES1C_EEDaS17_S18_EUlS17_E_NS1_11comp_targetILNS1_3genE8ELNS1_11target_archE1030ELNS1_3gpuE2ELNS1_3repE0EEENS1_30default_config_static_selectorELNS0_4arch9wavefront6targetE1EEEvT1_.private_seg_size, 0
	.set _ZN7rocprim17ROCPRIM_400000_NS6detail17trampoline_kernelINS0_14default_configENS1_25partition_config_selectorILNS1_17partition_subalgoE8ElNS0_10empty_typeEbEEZZNS1_14partition_implILS5_8ELb0ES3_jPlPS6_PKS6_NS0_5tupleIJS9_S6_EEENSD_IJSA_SA_EEENS0_18inequality_wrapperIZN2at6native12_GLOBAL__N_124unique_dim_cuda_templateIdEESt5tupleIJNSH_6TensorESM_SM_EERKSM_lbbbEUlllE0_EEPmJS6_EEE10hipError_tPvRmT3_T4_T5_T6_T7_T9_mT8_P12ihipStream_tbDpT10_ENKUlT_T0_E_clISt17integral_constantIbLb0EES1C_EEDaS17_S18_EUlS17_E_NS1_11comp_targetILNS1_3genE8ELNS1_11target_archE1030ELNS1_3gpuE2ELNS1_3repE0EEENS1_30default_config_static_selectorELNS0_4arch9wavefront6targetE1EEEvT1_.uses_vcc, 0
	.set _ZN7rocprim17ROCPRIM_400000_NS6detail17trampoline_kernelINS0_14default_configENS1_25partition_config_selectorILNS1_17partition_subalgoE8ElNS0_10empty_typeEbEEZZNS1_14partition_implILS5_8ELb0ES3_jPlPS6_PKS6_NS0_5tupleIJS9_S6_EEENSD_IJSA_SA_EEENS0_18inequality_wrapperIZN2at6native12_GLOBAL__N_124unique_dim_cuda_templateIdEESt5tupleIJNSH_6TensorESM_SM_EERKSM_lbbbEUlllE0_EEPmJS6_EEE10hipError_tPvRmT3_T4_T5_T6_T7_T9_mT8_P12ihipStream_tbDpT10_ENKUlT_T0_E_clISt17integral_constantIbLb0EES1C_EEDaS17_S18_EUlS17_E_NS1_11comp_targetILNS1_3genE8ELNS1_11target_archE1030ELNS1_3gpuE2ELNS1_3repE0EEENS1_30default_config_static_selectorELNS0_4arch9wavefront6targetE1EEEvT1_.uses_flat_scratch, 0
	.set _ZN7rocprim17ROCPRIM_400000_NS6detail17trampoline_kernelINS0_14default_configENS1_25partition_config_selectorILNS1_17partition_subalgoE8ElNS0_10empty_typeEbEEZZNS1_14partition_implILS5_8ELb0ES3_jPlPS6_PKS6_NS0_5tupleIJS9_S6_EEENSD_IJSA_SA_EEENS0_18inequality_wrapperIZN2at6native12_GLOBAL__N_124unique_dim_cuda_templateIdEESt5tupleIJNSH_6TensorESM_SM_EERKSM_lbbbEUlllE0_EEPmJS6_EEE10hipError_tPvRmT3_T4_T5_T6_T7_T9_mT8_P12ihipStream_tbDpT10_ENKUlT_T0_E_clISt17integral_constantIbLb0EES1C_EEDaS17_S18_EUlS17_E_NS1_11comp_targetILNS1_3genE8ELNS1_11target_archE1030ELNS1_3gpuE2ELNS1_3repE0EEENS1_30default_config_static_selectorELNS0_4arch9wavefront6targetE1EEEvT1_.has_dyn_sized_stack, 0
	.set _ZN7rocprim17ROCPRIM_400000_NS6detail17trampoline_kernelINS0_14default_configENS1_25partition_config_selectorILNS1_17partition_subalgoE8ElNS0_10empty_typeEbEEZZNS1_14partition_implILS5_8ELb0ES3_jPlPS6_PKS6_NS0_5tupleIJS9_S6_EEENSD_IJSA_SA_EEENS0_18inequality_wrapperIZN2at6native12_GLOBAL__N_124unique_dim_cuda_templateIdEESt5tupleIJNSH_6TensorESM_SM_EERKSM_lbbbEUlllE0_EEPmJS6_EEE10hipError_tPvRmT3_T4_T5_T6_T7_T9_mT8_P12ihipStream_tbDpT10_ENKUlT_T0_E_clISt17integral_constantIbLb0EES1C_EEDaS17_S18_EUlS17_E_NS1_11comp_targetILNS1_3genE8ELNS1_11target_archE1030ELNS1_3gpuE2ELNS1_3repE0EEENS1_30default_config_static_selectorELNS0_4arch9wavefront6targetE1EEEvT1_.has_recursion, 0
	.set _ZN7rocprim17ROCPRIM_400000_NS6detail17trampoline_kernelINS0_14default_configENS1_25partition_config_selectorILNS1_17partition_subalgoE8ElNS0_10empty_typeEbEEZZNS1_14partition_implILS5_8ELb0ES3_jPlPS6_PKS6_NS0_5tupleIJS9_S6_EEENSD_IJSA_SA_EEENS0_18inequality_wrapperIZN2at6native12_GLOBAL__N_124unique_dim_cuda_templateIdEESt5tupleIJNSH_6TensorESM_SM_EERKSM_lbbbEUlllE0_EEPmJS6_EEE10hipError_tPvRmT3_T4_T5_T6_T7_T9_mT8_P12ihipStream_tbDpT10_ENKUlT_T0_E_clISt17integral_constantIbLb0EES1C_EEDaS17_S18_EUlS17_E_NS1_11comp_targetILNS1_3genE8ELNS1_11target_archE1030ELNS1_3gpuE2ELNS1_3repE0EEENS1_30default_config_static_selectorELNS0_4arch9wavefront6targetE1EEEvT1_.has_indirect_call, 0
	.section	.AMDGPU.csdata,"",@progbits
; Kernel info:
; codeLenInByte = 0
; TotalNumSgprs: 6
; NumVgprs: 0
; NumAgprs: 0
; TotalNumVgprs: 0
; ScratchSize: 0
; MemoryBound: 0
; FloatMode: 240
; IeeeMode: 1
; LDSByteSize: 0 bytes/workgroup (compile time only)
; SGPRBlocks: 0
; VGPRBlocks: 0
; NumSGPRsForWavesPerEU: 6
; NumVGPRsForWavesPerEU: 1
; AccumOffset: 4
; Occupancy: 8
; WaveLimiterHint : 0
; COMPUTE_PGM_RSRC2:SCRATCH_EN: 0
; COMPUTE_PGM_RSRC2:USER_SGPR: 2
; COMPUTE_PGM_RSRC2:TRAP_HANDLER: 0
; COMPUTE_PGM_RSRC2:TGID_X_EN: 1
; COMPUTE_PGM_RSRC2:TGID_Y_EN: 0
; COMPUTE_PGM_RSRC2:TGID_Z_EN: 0
; COMPUTE_PGM_RSRC2:TIDIG_COMP_CNT: 0
; COMPUTE_PGM_RSRC3_GFX90A:ACCUM_OFFSET: 0
; COMPUTE_PGM_RSRC3_GFX90A:TG_SPLIT: 0
	.section	.text._ZN7rocprim17ROCPRIM_400000_NS6detail17trampoline_kernelINS0_14default_configENS1_25partition_config_selectorILNS1_17partition_subalgoE8ElNS0_10empty_typeEbEEZZNS1_14partition_implILS5_8ELb0ES3_jPlPS6_PKS6_NS0_5tupleIJS9_S6_EEENSD_IJSA_SA_EEENS0_18inequality_wrapperIZN2at6native12_GLOBAL__N_124unique_dim_cuda_templateIdEESt5tupleIJNSH_6TensorESM_SM_EERKSM_lbbbEUlllE0_EEPmJS6_EEE10hipError_tPvRmT3_T4_T5_T6_T7_T9_mT8_P12ihipStream_tbDpT10_ENKUlT_T0_E_clISt17integral_constantIbLb1EES1C_EEDaS17_S18_EUlS17_E_NS1_11comp_targetILNS1_3genE0ELNS1_11target_archE4294967295ELNS1_3gpuE0ELNS1_3repE0EEENS1_30default_config_static_selectorELNS0_4arch9wavefront6targetE1EEEvT1_,"axG",@progbits,_ZN7rocprim17ROCPRIM_400000_NS6detail17trampoline_kernelINS0_14default_configENS1_25partition_config_selectorILNS1_17partition_subalgoE8ElNS0_10empty_typeEbEEZZNS1_14partition_implILS5_8ELb0ES3_jPlPS6_PKS6_NS0_5tupleIJS9_S6_EEENSD_IJSA_SA_EEENS0_18inequality_wrapperIZN2at6native12_GLOBAL__N_124unique_dim_cuda_templateIdEESt5tupleIJNSH_6TensorESM_SM_EERKSM_lbbbEUlllE0_EEPmJS6_EEE10hipError_tPvRmT3_T4_T5_T6_T7_T9_mT8_P12ihipStream_tbDpT10_ENKUlT_T0_E_clISt17integral_constantIbLb1EES1C_EEDaS17_S18_EUlS17_E_NS1_11comp_targetILNS1_3genE0ELNS1_11target_archE4294967295ELNS1_3gpuE0ELNS1_3repE0EEENS1_30default_config_static_selectorELNS0_4arch9wavefront6targetE1EEEvT1_,comdat
	.globl	_ZN7rocprim17ROCPRIM_400000_NS6detail17trampoline_kernelINS0_14default_configENS1_25partition_config_selectorILNS1_17partition_subalgoE8ElNS0_10empty_typeEbEEZZNS1_14partition_implILS5_8ELb0ES3_jPlPS6_PKS6_NS0_5tupleIJS9_S6_EEENSD_IJSA_SA_EEENS0_18inequality_wrapperIZN2at6native12_GLOBAL__N_124unique_dim_cuda_templateIdEESt5tupleIJNSH_6TensorESM_SM_EERKSM_lbbbEUlllE0_EEPmJS6_EEE10hipError_tPvRmT3_T4_T5_T6_T7_T9_mT8_P12ihipStream_tbDpT10_ENKUlT_T0_E_clISt17integral_constantIbLb1EES1C_EEDaS17_S18_EUlS17_E_NS1_11comp_targetILNS1_3genE0ELNS1_11target_archE4294967295ELNS1_3gpuE0ELNS1_3repE0EEENS1_30default_config_static_selectorELNS0_4arch9wavefront6targetE1EEEvT1_ ; -- Begin function _ZN7rocprim17ROCPRIM_400000_NS6detail17trampoline_kernelINS0_14default_configENS1_25partition_config_selectorILNS1_17partition_subalgoE8ElNS0_10empty_typeEbEEZZNS1_14partition_implILS5_8ELb0ES3_jPlPS6_PKS6_NS0_5tupleIJS9_S6_EEENSD_IJSA_SA_EEENS0_18inequality_wrapperIZN2at6native12_GLOBAL__N_124unique_dim_cuda_templateIdEESt5tupleIJNSH_6TensorESM_SM_EERKSM_lbbbEUlllE0_EEPmJS6_EEE10hipError_tPvRmT3_T4_T5_T6_T7_T9_mT8_P12ihipStream_tbDpT10_ENKUlT_T0_E_clISt17integral_constantIbLb1EES1C_EEDaS17_S18_EUlS17_E_NS1_11comp_targetILNS1_3genE0ELNS1_11target_archE4294967295ELNS1_3gpuE0ELNS1_3repE0EEENS1_30default_config_static_selectorELNS0_4arch9wavefront6targetE1EEEvT1_
	.p2align	8
	.type	_ZN7rocprim17ROCPRIM_400000_NS6detail17trampoline_kernelINS0_14default_configENS1_25partition_config_selectorILNS1_17partition_subalgoE8ElNS0_10empty_typeEbEEZZNS1_14partition_implILS5_8ELb0ES3_jPlPS6_PKS6_NS0_5tupleIJS9_S6_EEENSD_IJSA_SA_EEENS0_18inequality_wrapperIZN2at6native12_GLOBAL__N_124unique_dim_cuda_templateIdEESt5tupleIJNSH_6TensorESM_SM_EERKSM_lbbbEUlllE0_EEPmJS6_EEE10hipError_tPvRmT3_T4_T5_T6_T7_T9_mT8_P12ihipStream_tbDpT10_ENKUlT_T0_E_clISt17integral_constantIbLb1EES1C_EEDaS17_S18_EUlS17_E_NS1_11comp_targetILNS1_3genE0ELNS1_11target_archE4294967295ELNS1_3gpuE0ELNS1_3repE0EEENS1_30default_config_static_selectorELNS0_4arch9wavefront6targetE1EEEvT1_,@function
_ZN7rocprim17ROCPRIM_400000_NS6detail17trampoline_kernelINS0_14default_configENS1_25partition_config_selectorILNS1_17partition_subalgoE8ElNS0_10empty_typeEbEEZZNS1_14partition_implILS5_8ELb0ES3_jPlPS6_PKS6_NS0_5tupleIJS9_S6_EEENSD_IJSA_SA_EEENS0_18inequality_wrapperIZN2at6native12_GLOBAL__N_124unique_dim_cuda_templateIdEESt5tupleIJNSH_6TensorESM_SM_EERKSM_lbbbEUlllE0_EEPmJS6_EEE10hipError_tPvRmT3_T4_T5_T6_T7_T9_mT8_P12ihipStream_tbDpT10_ENKUlT_T0_E_clISt17integral_constantIbLb1EES1C_EEDaS17_S18_EUlS17_E_NS1_11comp_targetILNS1_3genE0ELNS1_11target_archE4294967295ELNS1_3gpuE0ELNS1_3repE0EEENS1_30default_config_static_selectorELNS0_4arch9wavefront6targetE1EEEvT1_: ; @_ZN7rocprim17ROCPRIM_400000_NS6detail17trampoline_kernelINS0_14default_configENS1_25partition_config_selectorILNS1_17partition_subalgoE8ElNS0_10empty_typeEbEEZZNS1_14partition_implILS5_8ELb0ES3_jPlPS6_PKS6_NS0_5tupleIJS9_S6_EEENSD_IJSA_SA_EEENS0_18inequality_wrapperIZN2at6native12_GLOBAL__N_124unique_dim_cuda_templateIdEESt5tupleIJNSH_6TensorESM_SM_EERKSM_lbbbEUlllE0_EEPmJS6_EEE10hipError_tPvRmT3_T4_T5_T6_T7_T9_mT8_P12ihipStream_tbDpT10_ENKUlT_T0_E_clISt17integral_constantIbLb1EES1C_EEDaS17_S18_EUlS17_E_NS1_11comp_targetILNS1_3genE0ELNS1_11target_archE4294967295ELNS1_3gpuE0ELNS1_3repE0EEENS1_30default_config_static_selectorELNS0_4arch9wavefront6targetE1EEEvT1_
; %bb.0:
	s_endpgm
	.section	.rodata,"a",@progbits
	.p2align	6, 0x0
	.amdhsa_kernel _ZN7rocprim17ROCPRIM_400000_NS6detail17trampoline_kernelINS0_14default_configENS1_25partition_config_selectorILNS1_17partition_subalgoE8ElNS0_10empty_typeEbEEZZNS1_14partition_implILS5_8ELb0ES3_jPlPS6_PKS6_NS0_5tupleIJS9_S6_EEENSD_IJSA_SA_EEENS0_18inequality_wrapperIZN2at6native12_GLOBAL__N_124unique_dim_cuda_templateIdEESt5tupleIJNSH_6TensorESM_SM_EERKSM_lbbbEUlllE0_EEPmJS6_EEE10hipError_tPvRmT3_T4_T5_T6_T7_T9_mT8_P12ihipStream_tbDpT10_ENKUlT_T0_E_clISt17integral_constantIbLb1EES1C_EEDaS17_S18_EUlS17_E_NS1_11comp_targetILNS1_3genE0ELNS1_11target_archE4294967295ELNS1_3gpuE0ELNS1_3repE0EEENS1_30default_config_static_selectorELNS0_4arch9wavefront6targetE1EEEvT1_
		.amdhsa_group_segment_fixed_size 0
		.amdhsa_private_segment_fixed_size 0
		.amdhsa_kernarg_size 136
		.amdhsa_user_sgpr_count 2
		.amdhsa_user_sgpr_dispatch_ptr 0
		.amdhsa_user_sgpr_queue_ptr 0
		.amdhsa_user_sgpr_kernarg_segment_ptr 1
		.amdhsa_user_sgpr_dispatch_id 0
		.amdhsa_user_sgpr_kernarg_preload_length 0
		.amdhsa_user_sgpr_kernarg_preload_offset 0
		.amdhsa_user_sgpr_private_segment_size 0
		.amdhsa_uses_dynamic_stack 0
		.amdhsa_enable_private_segment 0
		.amdhsa_system_sgpr_workgroup_id_x 1
		.amdhsa_system_sgpr_workgroup_id_y 0
		.amdhsa_system_sgpr_workgroup_id_z 0
		.amdhsa_system_sgpr_workgroup_info 0
		.amdhsa_system_vgpr_workitem_id 0
		.amdhsa_next_free_vgpr 1
		.amdhsa_next_free_sgpr 0
		.amdhsa_accum_offset 4
		.amdhsa_reserve_vcc 0
		.amdhsa_float_round_mode_32 0
		.amdhsa_float_round_mode_16_64 0
		.amdhsa_float_denorm_mode_32 3
		.amdhsa_float_denorm_mode_16_64 3
		.amdhsa_dx10_clamp 1
		.amdhsa_ieee_mode 1
		.amdhsa_fp16_overflow 0
		.amdhsa_tg_split 0
		.amdhsa_exception_fp_ieee_invalid_op 0
		.amdhsa_exception_fp_denorm_src 0
		.amdhsa_exception_fp_ieee_div_zero 0
		.amdhsa_exception_fp_ieee_overflow 0
		.amdhsa_exception_fp_ieee_underflow 0
		.amdhsa_exception_fp_ieee_inexact 0
		.amdhsa_exception_int_div_zero 0
	.end_amdhsa_kernel
	.section	.text._ZN7rocprim17ROCPRIM_400000_NS6detail17trampoline_kernelINS0_14default_configENS1_25partition_config_selectorILNS1_17partition_subalgoE8ElNS0_10empty_typeEbEEZZNS1_14partition_implILS5_8ELb0ES3_jPlPS6_PKS6_NS0_5tupleIJS9_S6_EEENSD_IJSA_SA_EEENS0_18inequality_wrapperIZN2at6native12_GLOBAL__N_124unique_dim_cuda_templateIdEESt5tupleIJNSH_6TensorESM_SM_EERKSM_lbbbEUlllE0_EEPmJS6_EEE10hipError_tPvRmT3_T4_T5_T6_T7_T9_mT8_P12ihipStream_tbDpT10_ENKUlT_T0_E_clISt17integral_constantIbLb1EES1C_EEDaS17_S18_EUlS17_E_NS1_11comp_targetILNS1_3genE0ELNS1_11target_archE4294967295ELNS1_3gpuE0ELNS1_3repE0EEENS1_30default_config_static_selectorELNS0_4arch9wavefront6targetE1EEEvT1_,"axG",@progbits,_ZN7rocprim17ROCPRIM_400000_NS6detail17trampoline_kernelINS0_14default_configENS1_25partition_config_selectorILNS1_17partition_subalgoE8ElNS0_10empty_typeEbEEZZNS1_14partition_implILS5_8ELb0ES3_jPlPS6_PKS6_NS0_5tupleIJS9_S6_EEENSD_IJSA_SA_EEENS0_18inequality_wrapperIZN2at6native12_GLOBAL__N_124unique_dim_cuda_templateIdEESt5tupleIJNSH_6TensorESM_SM_EERKSM_lbbbEUlllE0_EEPmJS6_EEE10hipError_tPvRmT3_T4_T5_T6_T7_T9_mT8_P12ihipStream_tbDpT10_ENKUlT_T0_E_clISt17integral_constantIbLb1EES1C_EEDaS17_S18_EUlS17_E_NS1_11comp_targetILNS1_3genE0ELNS1_11target_archE4294967295ELNS1_3gpuE0ELNS1_3repE0EEENS1_30default_config_static_selectorELNS0_4arch9wavefront6targetE1EEEvT1_,comdat
.Lfunc_end815:
	.size	_ZN7rocprim17ROCPRIM_400000_NS6detail17trampoline_kernelINS0_14default_configENS1_25partition_config_selectorILNS1_17partition_subalgoE8ElNS0_10empty_typeEbEEZZNS1_14partition_implILS5_8ELb0ES3_jPlPS6_PKS6_NS0_5tupleIJS9_S6_EEENSD_IJSA_SA_EEENS0_18inequality_wrapperIZN2at6native12_GLOBAL__N_124unique_dim_cuda_templateIdEESt5tupleIJNSH_6TensorESM_SM_EERKSM_lbbbEUlllE0_EEPmJS6_EEE10hipError_tPvRmT3_T4_T5_T6_T7_T9_mT8_P12ihipStream_tbDpT10_ENKUlT_T0_E_clISt17integral_constantIbLb1EES1C_EEDaS17_S18_EUlS17_E_NS1_11comp_targetILNS1_3genE0ELNS1_11target_archE4294967295ELNS1_3gpuE0ELNS1_3repE0EEENS1_30default_config_static_selectorELNS0_4arch9wavefront6targetE1EEEvT1_, .Lfunc_end815-_ZN7rocprim17ROCPRIM_400000_NS6detail17trampoline_kernelINS0_14default_configENS1_25partition_config_selectorILNS1_17partition_subalgoE8ElNS0_10empty_typeEbEEZZNS1_14partition_implILS5_8ELb0ES3_jPlPS6_PKS6_NS0_5tupleIJS9_S6_EEENSD_IJSA_SA_EEENS0_18inequality_wrapperIZN2at6native12_GLOBAL__N_124unique_dim_cuda_templateIdEESt5tupleIJNSH_6TensorESM_SM_EERKSM_lbbbEUlllE0_EEPmJS6_EEE10hipError_tPvRmT3_T4_T5_T6_T7_T9_mT8_P12ihipStream_tbDpT10_ENKUlT_T0_E_clISt17integral_constantIbLb1EES1C_EEDaS17_S18_EUlS17_E_NS1_11comp_targetILNS1_3genE0ELNS1_11target_archE4294967295ELNS1_3gpuE0ELNS1_3repE0EEENS1_30default_config_static_selectorELNS0_4arch9wavefront6targetE1EEEvT1_
                                        ; -- End function
	.set _ZN7rocprim17ROCPRIM_400000_NS6detail17trampoline_kernelINS0_14default_configENS1_25partition_config_selectorILNS1_17partition_subalgoE8ElNS0_10empty_typeEbEEZZNS1_14partition_implILS5_8ELb0ES3_jPlPS6_PKS6_NS0_5tupleIJS9_S6_EEENSD_IJSA_SA_EEENS0_18inequality_wrapperIZN2at6native12_GLOBAL__N_124unique_dim_cuda_templateIdEESt5tupleIJNSH_6TensorESM_SM_EERKSM_lbbbEUlllE0_EEPmJS6_EEE10hipError_tPvRmT3_T4_T5_T6_T7_T9_mT8_P12ihipStream_tbDpT10_ENKUlT_T0_E_clISt17integral_constantIbLb1EES1C_EEDaS17_S18_EUlS17_E_NS1_11comp_targetILNS1_3genE0ELNS1_11target_archE4294967295ELNS1_3gpuE0ELNS1_3repE0EEENS1_30default_config_static_selectorELNS0_4arch9wavefront6targetE1EEEvT1_.num_vgpr, 0
	.set _ZN7rocprim17ROCPRIM_400000_NS6detail17trampoline_kernelINS0_14default_configENS1_25partition_config_selectorILNS1_17partition_subalgoE8ElNS0_10empty_typeEbEEZZNS1_14partition_implILS5_8ELb0ES3_jPlPS6_PKS6_NS0_5tupleIJS9_S6_EEENSD_IJSA_SA_EEENS0_18inequality_wrapperIZN2at6native12_GLOBAL__N_124unique_dim_cuda_templateIdEESt5tupleIJNSH_6TensorESM_SM_EERKSM_lbbbEUlllE0_EEPmJS6_EEE10hipError_tPvRmT3_T4_T5_T6_T7_T9_mT8_P12ihipStream_tbDpT10_ENKUlT_T0_E_clISt17integral_constantIbLb1EES1C_EEDaS17_S18_EUlS17_E_NS1_11comp_targetILNS1_3genE0ELNS1_11target_archE4294967295ELNS1_3gpuE0ELNS1_3repE0EEENS1_30default_config_static_selectorELNS0_4arch9wavefront6targetE1EEEvT1_.num_agpr, 0
	.set _ZN7rocprim17ROCPRIM_400000_NS6detail17trampoline_kernelINS0_14default_configENS1_25partition_config_selectorILNS1_17partition_subalgoE8ElNS0_10empty_typeEbEEZZNS1_14partition_implILS5_8ELb0ES3_jPlPS6_PKS6_NS0_5tupleIJS9_S6_EEENSD_IJSA_SA_EEENS0_18inequality_wrapperIZN2at6native12_GLOBAL__N_124unique_dim_cuda_templateIdEESt5tupleIJNSH_6TensorESM_SM_EERKSM_lbbbEUlllE0_EEPmJS6_EEE10hipError_tPvRmT3_T4_T5_T6_T7_T9_mT8_P12ihipStream_tbDpT10_ENKUlT_T0_E_clISt17integral_constantIbLb1EES1C_EEDaS17_S18_EUlS17_E_NS1_11comp_targetILNS1_3genE0ELNS1_11target_archE4294967295ELNS1_3gpuE0ELNS1_3repE0EEENS1_30default_config_static_selectorELNS0_4arch9wavefront6targetE1EEEvT1_.numbered_sgpr, 0
	.set _ZN7rocprim17ROCPRIM_400000_NS6detail17trampoline_kernelINS0_14default_configENS1_25partition_config_selectorILNS1_17partition_subalgoE8ElNS0_10empty_typeEbEEZZNS1_14partition_implILS5_8ELb0ES3_jPlPS6_PKS6_NS0_5tupleIJS9_S6_EEENSD_IJSA_SA_EEENS0_18inequality_wrapperIZN2at6native12_GLOBAL__N_124unique_dim_cuda_templateIdEESt5tupleIJNSH_6TensorESM_SM_EERKSM_lbbbEUlllE0_EEPmJS6_EEE10hipError_tPvRmT3_T4_T5_T6_T7_T9_mT8_P12ihipStream_tbDpT10_ENKUlT_T0_E_clISt17integral_constantIbLb1EES1C_EEDaS17_S18_EUlS17_E_NS1_11comp_targetILNS1_3genE0ELNS1_11target_archE4294967295ELNS1_3gpuE0ELNS1_3repE0EEENS1_30default_config_static_selectorELNS0_4arch9wavefront6targetE1EEEvT1_.num_named_barrier, 0
	.set _ZN7rocprim17ROCPRIM_400000_NS6detail17trampoline_kernelINS0_14default_configENS1_25partition_config_selectorILNS1_17partition_subalgoE8ElNS0_10empty_typeEbEEZZNS1_14partition_implILS5_8ELb0ES3_jPlPS6_PKS6_NS0_5tupleIJS9_S6_EEENSD_IJSA_SA_EEENS0_18inequality_wrapperIZN2at6native12_GLOBAL__N_124unique_dim_cuda_templateIdEESt5tupleIJNSH_6TensorESM_SM_EERKSM_lbbbEUlllE0_EEPmJS6_EEE10hipError_tPvRmT3_T4_T5_T6_T7_T9_mT8_P12ihipStream_tbDpT10_ENKUlT_T0_E_clISt17integral_constantIbLb1EES1C_EEDaS17_S18_EUlS17_E_NS1_11comp_targetILNS1_3genE0ELNS1_11target_archE4294967295ELNS1_3gpuE0ELNS1_3repE0EEENS1_30default_config_static_selectorELNS0_4arch9wavefront6targetE1EEEvT1_.private_seg_size, 0
	.set _ZN7rocprim17ROCPRIM_400000_NS6detail17trampoline_kernelINS0_14default_configENS1_25partition_config_selectorILNS1_17partition_subalgoE8ElNS0_10empty_typeEbEEZZNS1_14partition_implILS5_8ELb0ES3_jPlPS6_PKS6_NS0_5tupleIJS9_S6_EEENSD_IJSA_SA_EEENS0_18inequality_wrapperIZN2at6native12_GLOBAL__N_124unique_dim_cuda_templateIdEESt5tupleIJNSH_6TensorESM_SM_EERKSM_lbbbEUlllE0_EEPmJS6_EEE10hipError_tPvRmT3_T4_T5_T6_T7_T9_mT8_P12ihipStream_tbDpT10_ENKUlT_T0_E_clISt17integral_constantIbLb1EES1C_EEDaS17_S18_EUlS17_E_NS1_11comp_targetILNS1_3genE0ELNS1_11target_archE4294967295ELNS1_3gpuE0ELNS1_3repE0EEENS1_30default_config_static_selectorELNS0_4arch9wavefront6targetE1EEEvT1_.uses_vcc, 0
	.set _ZN7rocprim17ROCPRIM_400000_NS6detail17trampoline_kernelINS0_14default_configENS1_25partition_config_selectorILNS1_17partition_subalgoE8ElNS0_10empty_typeEbEEZZNS1_14partition_implILS5_8ELb0ES3_jPlPS6_PKS6_NS0_5tupleIJS9_S6_EEENSD_IJSA_SA_EEENS0_18inequality_wrapperIZN2at6native12_GLOBAL__N_124unique_dim_cuda_templateIdEESt5tupleIJNSH_6TensorESM_SM_EERKSM_lbbbEUlllE0_EEPmJS6_EEE10hipError_tPvRmT3_T4_T5_T6_T7_T9_mT8_P12ihipStream_tbDpT10_ENKUlT_T0_E_clISt17integral_constantIbLb1EES1C_EEDaS17_S18_EUlS17_E_NS1_11comp_targetILNS1_3genE0ELNS1_11target_archE4294967295ELNS1_3gpuE0ELNS1_3repE0EEENS1_30default_config_static_selectorELNS0_4arch9wavefront6targetE1EEEvT1_.uses_flat_scratch, 0
	.set _ZN7rocprim17ROCPRIM_400000_NS6detail17trampoline_kernelINS0_14default_configENS1_25partition_config_selectorILNS1_17partition_subalgoE8ElNS0_10empty_typeEbEEZZNS1_14partition_implILS5_8ELb0ES3_jPlPS6_PKS6_NS0_5tupleIJS9_S6_EEENSD_IJSA_SA_EEENS0_18inequality_wrapperIZN2at6native12_GLOBAL__N_124unique_dim_cuda_templateIdEESt5tupleIJNSH_6TensorESM_SM_EERKSM_lbbbEUlllE0_EEPmJS6_EEE10hipError_tPvRmT3_T4_T5_T6_T7_T9_mT8_P12ihipStream_tbDpT10_ENKUlT_T0_E_clISt17integral_constantIbLb1EES1C_EEDaS17_S18_EUlS17_E_NS1_11comp_targetILNS1_3genE0ELNS1_11target_archE4294967295ELNS1_3gpuE0ELNS1_3repE0EEENS1_30default_config_static_selectorELNS0_4arch9wavefront6targetE1EEEvT1_.has_dyn_sized_stack, 0
	.set _ZN7rocprim17ROCPRIM_400000_NS6detail17trampoline_kernelINS0_14default_configENS1_25partition_config_selectorILNS1_17partition_subalgoE8ElNS0_10empty_typeEbEEZZNS1_14partition_implILS5_8ELb0ES3_jPlPS6_PKS6_NS0_5tupleIJS9_S6_EEENSD_IJSA_SA_EEENS0_18inequality_wrapperIZN2at6native12_GLOBAL__N_124unique_dim_cuda_templateIdEESt5tupleIJNSH_6TensorESM_SM_EERKSM_lbbbEUlllE0_EEPmJS6_EEE10hipError_tPvRmT3_T4_T5_T6_T7_T9_mT8_P12ihipStream_tbDpT10_ENKUlT_T0_E_clISt17integral_constantIbLb1EES1C_EEDaS17_S18_EUlS17_E_NS1_11comp_targetILNS1_3genE0ELNS1_11target_archE4294967295ELNS1_3gpuE0ELNS1_3repE0EEENS1_30default_config_static_selectorELNS0_4arch9wavefront6targetE1EEEvT1_.has_recursion, 0
	.set _ZN7rocprim17ROCPRIM_400000_NS6detail17trampoline_kernelINS0_14default_configENS1_25partition_config_selectorILNS1_17partition_subalgoE8ElNS0_10empty_typeEbEEZZNS1_14partition_implILS5_8ELb0ES3_jPlPS6_PKS6_NS0_5tupleIJS9_S6_EEENSD_IJSA_SA_EEENS0_18inequality_wrapperIZN2at6native12_GLOBAL__N_124unique_dim_cuda_templateIdEESt5tupleIJNSH_6TensorESM_SM_EERKSM_lbbbEUlllE0_EEPmJS6_EEE10hipError_tPvRmT3_T4_T5_T6_T7_T9_mT8_P12ihipStream_tbDpT10_ENKUlT_T0_E_clISt17integral_constantIbLb1EES1C_EEDaS17_S18_EUlS17_E_NS1_11comp_targetILNS1_3genE0ELNS1_11target_archE4294967295ELNS1_3gpuE0ELNS1_3repE0EEENS1_30default_config_static_selectorELNS0_4arch9wavefront6targetE1EEEvT1_.has_indirect_call, 0
	.section	.AMDGPU.csdata,"",@progbits
; Kernel info:
; codeLenInByte = 4
; TotalNumSgprs: 6
; NumVgprs: 0
; NumAgprs: 0
; TotalNumVgprs: 0
; ScratchSize: 0
; MemoryBound: 0
; FloatMode: 240
; IeeeMode: 1
; LDSByteSize: 0 bytes/workgroup (compile time only)
; SGPRBlocks: 0
; VGPRBlocks: 0
; NumSGPRsForWavesPerEU: 6
; NumVGPRsForWavesPerEU: 1
; AccumOffset: 4
; Occupancy: 8
; WaveLimiterHint : 0
; COMPUTE_PGM_RSRC2:SCRATCH_EN: 0
; COMPUTE_PGM_RSRC2:USER_SGPR: 2
; COMPUTE_PGM_RSRC2:TRAP_HANDLER: 0
; COMPUTE_PGM_RSRC2:TGID_X_EN: 1
; COMPUTE_PGM_RSRC2:TGID_Y_EN: 0
; COMPUTE_PGM_RSRC2:TGID_Z_EN: 0
; COMPUTE_PGM_RSRC2:TIDIG_COMP_CNT: 0
; COMPUTE_PGM_RSRC3_GFX90A:ACCUM_OFFSET: 0
; COMPUTE_PGM_RSRC3_GFX90A:TG_SPLIT: 0
	.section	.text._ZN7rocprim17ROCPRIM_400000_NS6detail17trampoline_kernelINS0_14default_configENS1_25partition_config_selectorILNS1_17partition_subalgoE8ElNS0_10empty_typeEbEEZZNS1_14partition_implILS5_8ELb0ES3_jPlPS6_PKS6_NS0_5tupleIJS9_S6_EEENSD_IJSA_SA_EEENS0_18inequality_wrapperIZN2at6native12_GLOBAL__N_124unique_dim_cuda_templateIdEESt5tupleIJNSH_6TensorESM_SM_EERKSM_lbbbEUlllE0_EEPmJS6_EEE10hipError_tPvRmT3_T4_T5_T6_T7_T9_mT8_P12ihipStream_tbDpT10_ENKUlT_T0_E_clISt17integral_constantIbLb1EES1C_EEDaS17_S18_EUlS17_E_NS1_11comp_targetILNS1_3genE5ELNS1_11target_archE942ELNS1_3gpuE9ELNS1_3repE0EEENS1_30default_config_static_selectorELNS0_4arch9wavefront6targetE1EEEvT1_,"axG",@progbits,_ZN7rocprim17ROCPRIM_400000_NS6detail17trampoline_kernelINS0_14default_configENS1_25partition_config_selectorILNS1_17partition_subalgoE8ElNS0_10empty_typeEbEEZZNS1_14partition_implILS5_8ELb0ES3_jPlPS6_PKS6_NS0_5tupleIJS9_S6_EEENSD_IJSA_SA_EEENS0_18inequality_wrapperIZN2at6native12_GLOBAL__N_124unique_dim_cuda_templateIdEESt5tupleIJNSH_6TensorESM_SM_EERKSM_lbbbEUlllE0_EEPmJS6_EEE10hipError_tPvRmT3_T4_T5_T6_T7_T9_mT8_P12ihipStream_tbDpT10_ENKUlT_T0_E_clISt17integral_constantIbLb1EES1C_EEDaS17_S18_EUlS17_E_NS1_11comp_targetILNS1_3genE5ELNS1_11target_archE942ELNS1_3gpuE9ELNS1_3repE0EEENS1_30default_config_static_selectorELNS0_4arch9wavefront6targetE1EEEvT1_,comdat
	.globl	_ZN7rocprim17ROCPRIM_400000_NS6detail17trampoline_kernelINS0_14default_configENS1_25partition_config_selectorILNS1_17partition_subalgoE8ElNS0_10empty_typeEbEEZZNS1_14partition_implILS5_8ELb0ES3_jPlPS6_PKS6_NS0_5tupleIJS9_S6_EEENSD_IJSA_SA_EEENS0_18inequality_wrapperIZN2at6native12_GLOBAL__N_124unique_dim_cuda_templateIdEESt5tupleIJNSH_6TensorESM_SM_EERKSM_lbbbEUlllE0_EEPmJS6_EEE10hipError_tPvRmT3_T4_T5_T6_T7_T9_mT8_P12ihipStream_tbDpT10_ENKUlT_T0_E_clISt17integral_constantIbLb1EES1C_EEDaS17_S18_EUlS17_E_NS1_11comp_targetILNS1_3genE5ELNS1_11target_archE942ELNS1_3gpuE9ELNS1_3repE0EEENS1_30default_config_static_selectorELNS0_4arch9wavefront6targetE1EEEvT1_ ; -- Begin function _ZN7rocprim17ROCPRIM_400000_NS6detail17trampoline_kernelINS0_14default_configENS1_25partition_config_selectorILNS1_17partition_subalgoE8ElNS0_10empty_typeEbEEZZNS1_14partition_implILS5_8ELb0ES3_jPlPS6_PKS6_NS0_5tupleIJS9_S6_EEENSD_IJSA_SA_EEENS0_18inequality_wrapperIZN2at6native12_GLOBAL__N_124unique_dim_cuda_templateIdEESt5tupleIJNSH_6TensorESM_SM_EERKSM_lbbbEUlllE0_EEPmJS6_EEE10hipError_tPvRmT3_T4_T5_T6_T7_T9_mT8_P12ihipStream_tbDpT10_ENKUlT_T0_E_clISt17integral_constantIbLb1EES1C_EEDaS17_S18_EUlS17_E_NS1_11comp_targetILNS1_3genE5ELNS1_11target_archE942ELNS1_3gpuE9ELNS1_3repE0EEENS1_30default_config_static_selectorELNS0_4arch9wavefront6targetE1EEEvT1_
	.p2align	8
	.type	_ZN7rocprim17ROCPRIM_400000_NS6detail17trampoline_kernelINS0_14default_configENS1_25partition_config_selectorILNS1_17partition_subalgoE8ElNS0_10empty_typeEbEEZZNS1_14partition_implILS5_8ELb0ES3_jPlPS6_PKS6_NS0_5tupleIJS9_S6_EEENSD_IJSA_SA_EEENS0_18inequality_wrapperIZN2at6native12_GLOBAL__N_124unique_dim_cuda_templateIdEESt5tupleIJNSH_6TensorESM_SM_EERKSM_lbbbEUlllE0_EEPmJS6_EEE10hipError_tPvRmT3_T4_T5_T6_T7_T9_mT8_P12ihipStream_tbDpT10_ENKUlT_T0_E_clISt17integral_constantIbLb1EES1C_EEDaS17_S18_EUlS17_E_NS1_11comp_targetILNS1_3genE5ELNS1_11target_archE942ELNS1_3gpuE9ELNS1_3repE0EEENS1_30default_config_static_selectorELNS0_4arch9wavefront6targetE1EEEvT1_,@function
_ZN7rocprim17ROCPRIM_400000_NS6detail17trampoline_kernelINS0_14default_configENS1_25partition_config_selectorILNS1_17partition_subalgoE8ElNS0_10empty_typeEbEEZZNS1_14partition_implILS5_8ELb0ES3_jPlPS6_PKS6_NS0_5tupleIJS9_S6_EEENSD_IJSA_SA_EEENS0_18inequality_wrapperIZN2at6native12_GLOBAL__N_124unique_dim_cuda_templateIdEESt5tupleIJNSH_6TensorESM_SM_EERKSM_lbbbEUlllE0_EEPmJS6_EEE10hipError_tPvRmT3_T4_T5_T6_T7_T9_mT8_P12ihipStream_tbDpT10_ENKUlT_T0_E_clISt17integral_constantIbLb1EES1C_EEDaS17_S18_EUlS17_E_NS1_11comp_targetILNS1_3genE5ELNS1_11target_archE942ELNS1_3gpuE9ELNS1_3repE0EEENS1_30default_config_static_selectorELNS0_4arch9wavefront6targetE1EEEvT1_: ; @_ZN7rocprim17ROCPRIM_400000_NS6detail17trampoline_kernelINS0_14default_configENS1_25partition_config_selectorILNS1_17partition_subalgoE8ElNS0_10empty_typeEbEEZZNS1_14partition_implILS5_8ELb0ES3_jPlPS6_PKS6_NS0_5tupleIJS9_S6_EEENSD_IJSA_SA_EEENS0_18inequality_wrapperIZN2at6native12_GLOBAL__N_124unique_dim_cuda_templateIdEESt5tupleIJNSH_6TensorESM_SM_EERKSM_lbbbEUlllE0_EEPmJS6_EEE10hipError_tPvRmT3_T4_T5_T6_T7_T9_mT8_P12ihipStream_tbDpT10_ENKUlT_T0_E_clISt17integral_constantIbLb1EES1C_EEDaS17_S18_EUlS17_E_NS1_11comp_targetILNS1_3genE5ELNS1_11target_archE942ELNS1_3gpuE9ELNS1_3repE0EEENS1_30default_config_static_selectorELNS0_4arch9wavefront6targetE1EEEvT1_
; %bb.0:
	.section	.rodata,"a",@progbits
	.p2align	6, 0x0
	.amdhsa_kernel _ZN7rocprim17ROCPRIM_400000_NS6detail17trampoline_kernelINS0_14default_configENS1_25partition_config_selectorILNS1_17partition_subalgoE8ElNS0_10empty_typeEbEEZZNS1_14partition_implILS5_8ELb0ES3_jPlPS6_PKS6_NS0_5tupleIJS9_S6_EEENSD_IJSA_SA_EEENS0_18inequality_wrapperIZN2at6native12_GLOBAL__N_124unique_dim_cuda_templateIdEESt5tupleIJNSH_6TensorESM_SM_EERKSM_lbbbEUlllE0_EEPmJS6_EEE10hipError_tPvRmT3_T4_T5_T6_T7_T9_mT8_P12ihipStream_tbDpT10_ENKUlT_T0_E_clISt17integral_constantIbLb1EES1C_EEDaS17_S18_EUlS17_E_NS1_11comp_targetILNS1_3genE5ELNS1_11target_archE942ELNS1_3gpuE9ELNS1_3repE0EEENS1_30default_config_static_selectorELNS0_4arch9wavefront6targetE1EEEvT1_
		.amdhsa_group_segment_fixed_size 0
		.amdhsa_private_segment_fixed_size 0
		.amdhsa_kernarg_size 136
		.amdhsa_user_sgpr_count 2
		.amdhsa_user_sgpr_dispatch_ptr 0
		.amdhsa_user_sgpr_queue_ptr 0
		.amdhsa_user_sgpr_kernarg_segment_ptr 1
		.amdhsa_user_sgpr_dispatch_id 0
		.amdhsa_user_sgpr_kernarg_preload_length 0
		.amdhsa_user_sgpr_kernarg_preload_offset 0
		.amdhsa_user_sgpr_private_segment_size 0
		.amdhsa_uses_dynamic_stack 0
		.amdhsa_enable_private_segment 0
		.amdhsa_system_sgpr_workgroup_id_x 1
		.amdhsa_system_sgpr_workgroup_id_y 0
		.amdhsa_system_sgpr_workgroup_id_z 0
		.amdhsa_system_sgpr_workgroup_info 0
		.amdhsa_system_vgpr_workitem_id 0
		.amdhsa_next_free_vgpr 1
		.amdhsa_next_free_sgpr 0
		.amdhsa_accum_offset 4
		.amdhsa_reserve_vcc 0
		.amdhsa_float_round_mode_32 0
		.amdhsa_float_round_mode_16_64 0
		.amdhsa_float_denorm_mode_32 3
		.amdhsa_float_denorm_mode_16_64 3
		.amdhsa_dx10_clamp 1
		.amdhsa_ieee_mode 1
		.amdhsa_fp16_overflow 0
		.amdhsa_tg_split 0
		.amdhsa_exception_fp_ieee_invalid_op 0
		.amdhsa_exception_fp_denorm_src 0
		.amdhsa_exception_fp_ieee_div_zero 0
		.amdhsa_exception_fp_ieee_overflow 0
		.amdhsa_exception_fp_ieee_underflow 0
		.amdhsa_exception_fp_ieee_inexact 0
		.amdhsa_exception_int_div_zero 0
	.end_amdhsa_kernel
	.section	.text._ZN7rocprim17ROCPRIM_400000_NS6detail17trampoline_kernelINS0_14default_configENS1_25partition_config_selectorILNS1_17partition_subalgoE8ElNS0_10empty_typeEbEEZZNS1_14partition_implILS5_8ELb0ES3_jPlPS6_PKS6_NS0_5tupleIJS9_S6_EEENSD_IJSA_SA_EEENS0_18inequality_wrapperIZN2at6native12_GLOBAL__N_124unique_dim_cuda_templateIdEESt5tupleIJNSH_6TensorESM_SM_EERKSM_lbbbEUlllE0_EEPmJS6_EEE10hipError_tPvRmT3_T4_T5_T6_T7_T9_mT8_P12ihipStream_tbDpT10_ENKUlT_T0_E_clISt17integral_constantIbLb1EES1C_EEDaS17_S18_EUlS17_E_NS1_11comp_targetILNS1_3genE5ELNS1_11target_archE942ELNS1_3gpuE9ELNS1_3repE0EEENS1_30default_config_static_selectorELNS0_4arch9wavefront6targetE1EEEvT1_,"axG",@progbits,_ZN7rocprim17ROCPRIM_400000_NS6detail17trampoline_kernelINS0_14default_configENS1_25partition_config_selectorILNS1_17partition_subalgoE8ElNS0_10empty_typeEbEEZZNS1_14partition_implILS5_8ELb0ES3_jPlPS6_PKS6_NS0_5tupleIJS9_S6_EEENSD_IJSA_SA_EEENS0_18inequality_wrapperIZN2at6native12_GLOBAL__N_124unique_dim_cuda_templateIdEESt5tupleIJNSH_6TensorESM_SM_EERKSM_lbbbEUlllE0_EEPmJS6_EEE10hipError_tPvRmT3_T4_T5_T6_T7_T9_mT8_P12ihipStream_tbDpT10_ENKUlT_T0_E_clISt17integral_constantIbLb1EES1C_EEDaS17_S18_EUlS17_E_NS1_11comp_targetILNS1_3genE5ELNS1_11target_archE942ELNS1_3gpuE9ELNS1_3repE0EEENS1_30default_config_static_selectorELNS0_4arch9wavefront6targetE1EEEvT1_,comdat
.Lfunc_end816:
	.size	_ZN7rocprim17ROCPRIM_400000_NS6detail17trampoline_kernelINS0_14default_configENS1_25partition_config_selectorILNS1_17partition_subalgoE8ElNS0_10empty_typeEbEEZZNS1_14partition_implILS5_8ELb0ES3_jPlPS6_PKS6_NS0_5tupleIJS9_S6_EEENSD_IJSA_SA_EEENS0_18inequality_wrapperIZN2at6native12_GLOBAL__N_124unique_dim_cuda_templateIdEESt5tupleIJNSH_6TensorESM_SM_EERKSM_lbbbEUlllE0_EEPmJS6_EEE10hipError_tPvRmT3_T4_T5_T6_T7_T9_mT8_P12ihipStream_tbDpT10_ENKUlT_T0_E_clISt17integral_constantIbLb1EES1C_EEDaS17_S18_EUlS17_E_NS1_11comp_targetILNS1_3genE5ELNS1_11target_archE942ELNS1_3gpuE9ELNS1_3repE0EEENS1_30default_config_static_selectorELNS0_4arch9wavefront6targetE1EEEvT1_, .Lfunc_end816-_ZN7rocprim17ROCPRIM_400000_NS6detail17trampoline_kernelINS0_14default_configENS1_25partition_config_selectorILNS1_17partition_subalgoE8ElNS0_10empty_typeEbEEZZNS1_14partition_implILS5_8ELb0ES3_jPlPS6_PKS6_NS0_5tupleIJS9_S6_EEENSD_IJSA_SA_EEENS0_18inequality_wrapperIZN2at6native12_GLOBAL__N_124unique_dim_cuda_templateIdEESt5tupleIJNSH_6TensorESM_SM_EERKSM_lbbbEUlllE0_EEPmJS6_EEE10hipError_tPvRmT3_T4_T5_T6_T7_T9_mT8_P12ihipStream_tbDpT10_ENKUlT_T0_E_clISt17integral_constantIbLb1EES1C_EEDaS17_S18_EUlS17_E_NS1_11comp_targetILNS1_3genE5ELNS1_11target_archE942ELNS1_3gpuE9ELNS1_3repE0EEENS1_30default_config_static_selectorELNS0_4arch9wavefront6targetE1EEEvT1_
                                        ; -- End function
	.set _ZN7rocprim17ROCPRIM_400000_NS6detail17trampoline_kernelINS0_14default_configENS1_25partition_config_selectorILNS1_17partition_subalgoE8ElNS0_10empty_typeEbEEZZNS1_14partition_implILS5_8ELb0ES3_jPlPS6_PKS6_NS0_5tupleIJS9_S6_EEENSD_IJSA_SA_EEENS0_18inequality_wrapperIZN2at6native12_GLOBAL__N_124unique_dim_cuda_templateIdEESt5tupleIJNSH_6TensorESM_SM_EERKSM_lbbbEUlllE0_EEPmJS6_EEE10hipError_tPvRmT3_T4_T5_T6_T7_T9_mT8_P12ihipStream_tbDpT10_ENKUlT_T0_E_clISt17integral_constantIbLb1EES1C_EEDaS17_S18_EUlS17_E_NS1_11comp_targetILNS1_3genE5ELNS1_11target_archE942ELNS1_3gpuE9ELNS1_3repE0EEENS1_30default_config_static_selectorELNS0_4arch9wavefront6targetE1EEEvT1_.num_vgpr, 0
	.set _ZN7rocprim17ROCPRIM_400000_NS6detail17trampoline_kernelINS0_14default_configENS1_25partition_config_selectorILNS1_17partition_subalgoE8ElNS0_10empty_typeEbEEZZNS1_14partition_implILS5_8ELb0ES3_jPlPS6_PKS6_NS0_5tupleIJS9_S6_EEENSD_IJSA_SA_EEENS0_18inequality_wrapperIZN2at6native12_GLOBAL__N_124unique_dim_cuda_templateIdEESt5tupleIJNSH_6TensorESM_SM_EERKSM_lbbbEUlllE0_EEPmJS6_EEE10hipError_tPvRmT3_T4_T5_T6_T7_T9_mT8_P12ihipStream_tbDpT10_ENKUlT_T0_E_clISt17integral_constantIbLb1EES1C_EEDaS17_S18_EUlS17_E_NS1_11comp_targetILNS1_3genE5ELNS1_11target_archE942ELNS1_3gpuE9ELNS1_3repE0EEENS1_30default_config_static_selectorELNS0_4arch9wavefront6targetE1EEEvT1_.num_agpr, 0
	.set _ZN7rocprim17ROCPRIM_400000_NS6detail17trampoline_kernelINS0_14default_configENS1_25partition_config_selectorILNS1_17partition_subalgoE8ElNS0_10empty_typeEbEEZZNS1_14partition_implILS5_8ELb0ES3_jPlPS6_PKS6_NS0_5tupleIJS9_S6_EEENSD_IJSA_SA_EEENS0_18inequality_wrapperIZN2at6native12_GLOBAL__N_124unique_dim_cuda_templateIdEESt5tupleIJNSH_6TensorESM_SM_EERKSM_lbbbEUlllE0_EEPmJS6_EEE10hipError_tPvRmT3_T4_T5_T6_T7_T9_mT8_P12ihipStream_tbDpT10_ENKUlT_T0_E_clISt17integral_constantIbLb1EES1C_EEDaS17_S18_EUlS17_E_NS1_11comp_targetILNS1_3genE5ELNS1_11target_archE942ELNS1_3gpuE9ELNS1_3repE0EEENS1_30default_config_static_selectorELNS0_4arch9wavefront6targetE1EEEvT1_.numbered_sgpr, 0
	.set _ZN7rocprim17ROCPRIM_400000_NS6detail17trampoline_kernelINS0_14default_configENS1_25partition_config_selectorILNS1_17partition_subalgoE8ElNS0_10empty_typeEbEEZZNS1_14partition_implILS5_8ELb0ES3_jPlPS6_PKS6_NS0_5tupleIJS9_S6_EEENSD_IJSA_SA_EEENS0_18inequality_wrapperIZN2at6native12_GLOBAL__N_124unique_dim_cuda_templateIdEESt5tupleIJNSH_6TensorESM_SM_EERKSM_lbbbEUlllE0_EEPmJS6_EEE10hipError_tPvRmT3_T4_T5_T6_T7_T9_mT8_P12ihipStream_tbDpT10_ENKUlT_T0_E_clISt17integral_constantIbLb1EES1C_EEDaS17_S18_EUlS17_E_NS1_11comp_targetILNS1_3genE5ELNS1_11target_archE942ELNS1_3gpuE9ELNS1_3repE0EEENS1_30default_config_static_selectorELNS0_4arch9wavefront6targetE1EEEvT1_.num_named_barrier, 0
	.set _ZN7rocprim17ROCPRIM_400000_NS6detail17trampoline_kernelINS0_14default_configENS1_25partition_config_selectorILNS1_17partition_subalgoE8ElNS0_10empty_typeEbEEZZNS1_14partition_implILS5_8ELb0ES3_jPlPS6_PKS6_NS0_5tupleIJS9_S6_EEENSD_IJSA_SA_EEENS0_18inequality_wrapperIZN2at6native12_GLOBAL__N_124unique_dim_cuda_templateIdEESt5tupleIJNSH_6TensorESM_SM_EERKSM_lbbbEUlllE0_EEPmJS6_EEE10hipError_tPvRmT3_T4_T5_T6_T7_T9_mT8_P12ihipStream_tbDpT10_ENKUlT_T0_E_clISt17integral_constantIbLb1EES1C_EEDaS17_S18_EUlS17_E_NS1_11comp_targetILNS1_3genE5ELNS1_11target_archE942ELNS1_3gpuE9ELNS1_3repE0EEENS1_30default_config_static_selectorELNS0_4arch9wavefront6targetE1EEEvT1_.private_seg_size, 0
	.set _ZN7rocprim17ROCPRIM_400000_NS6detail17trampoline_kernelINS0_14default_configENS1_25partition_config_selectorILNS1_17partition_subalgoE8ElNS0_10empty_typeEbEEZZNS1_14partition_implILS5_8ELb0ES3_jPlPS6_PKS6_NS0_5tupleIJS9_S6_EEENSD_IJSA_SA_EEENS0_18inequality_wrapperIZN2at6native12_GLOBAL__N_124unique_dim_cuda_templateIdEESt5tupleIJNSH_6TensorESM_SM_EERKSM_lbbbEUlllE0_EEPmJS6_EEE10hipError_tPvRmT3_T4_T5_T6_T7_T9_mT8_P12ihipStream_tbDpT10_ENKUlT_T0_E_clISt17integral_constantIbLb1EES1C_EEDaS17_S18_EUlS17_E_NS1_11comp_targetILNS1_3genE5ELNS1_11target_archE942ELNS1_3gpuE9ELNS1_3repE0EEENS1_30default_config_static_selectorELNS0_4arch9wavefront6targetE1EEEvT1_.uses_vcc, 0
	.set _ZN7rocprim17ROCPRIM_400000_NS6detail17trampoline_kernelINS0_14default_configENS1_25partition_config_selectorILNS1_17partition_subalgoE8ElNS0_10empty_typeEbEEZZNS1_14partition_implILS5_8ELb0ES3_jPlPS6_PKS6_NS0_5tupleIJS9_S6_EEENSD_IJSA_SA_EEENS0_18inequality_wrapperIZN2at6native12_GLOBAL__N_124unique_dim_cuda_templateIdEESt5tupleIJNSH_6TensorESM_SM_EERKSM_lbbbEUlllE0_EEPmJS6_EEE10hipError_tPvRmT3_T4_T5_T6_T7_T9_mT8_P12ihipStream_tbDpT10_ENKUlT_T0_E_clISt17integral_constantIbLb1EES1C_EEDaS17_S18_EUlS17_E_NS1_11comp_targetILNS1_3genE5ELNS1_11target_archE942ELNS1_3gpuE9ELNS1_3repE0EEENS1_30default_config_static_selectorELNS0_4arch9wavefront6targetE1EEEvT1_.uses_flat_scratch, 0
	.set _ZN7rocprim17ROCPRIM_400000_NS6detail17trampoline_kernelINS0_14default_configENS1_25partition_config_selectorILNS1_17partition_subalgoE8ElNS0_10empty_typeEbEEZZNS1_14partition_implILS5_8ELb0ES3_jPlPS6_PKS6_NS0_5tupleIJS9_S6_EEENSD_IJSA_SA_EEENS0_18inequality_wrapperIZN2at6native12_GLOBAL__N_124unique_dim_cuda_templateIdEESt5tupleIJNSH_6TensorESM_SM_EERKSM_lbbbEUlllE0_EEPmJS6_EEE10hipError_tPvRmT3_T4_T5_T6_T7_T9_mT8_P12ihipStream_tbDpT10_ENKUlT_T0_E_clISt17integral_constantIbLb1EES1C_EEDaS17_S18_EUlS17_E_NS1_11comp_targetILNS1_3genE5ELNS1_11target_archE942ELNS1_3gpuE9ELNS1_3repE0EEENS1_30default_config_static_selectorELNS0_4arch9wavefront6targetE1EEEvT1_.has_dyn_sized_stack, 0
	.set _ZN7rocprim17ROCPRIM_400000_NS6detail17trampoline_kernelINS0_14default_configENS1_25partition_config_selectorILNS1_17partition_subalgoE8ElNS0_10empty_typeEbEEZZNS1_14partition_implILS5_8ELb0ES3_jPlPS6_PKS6_NS0_5tupleIJS9_S6_EEENSD_IJSA_SA_EEENS0_18inequality_wrapperIZN2at6native12_GLOBAL__N_124unique_dim_cuda_templateIdEESt5tupleIJNSH_6TensorESM_SM_EERKSM_lbbbEUlllE0_EEPmJS6_EEE10hipError_tPvRmT3_T4_T5_T6_T7_T9_mT8_P12ihipStream_tbDpT10_ENKUlT_T0_E_clISt17integral_constantIbLb1EES1C_EEDaS17_S18_EUlS17_E_NS1_11comp_targetILNS1_3genE5ELNS1_11target_archE942ELNS1_3gpuE9ELNS1_3repE0EEENS1_30default_config_static_selectorELNS0_4arch9wavefront6targetE1EEEvT1_.has_recursion, 0
	.set _ZN7rocprim17ROCPRIM_400000_NS6detail17trampoline_kernelINS0_14default_configENS1_25partition_config_selectorILNS1_17partition_subalgoE8ElNS0_10empty_typeEbEEZZNS1_14partition_implILS5_8ELb0ES3_jPlPS6_PKS6_NS0_5tupleIJS9_S6_EEENSD_IJSA_SA_EEENS0_18inequality_wrapperIZN2at6native12_GLOBAL__N_124unique_dim_cuda_templateIdEESt5tupleIJNSH_6TensorESM_SM_EERKSM_lbbbEUlllE0_EEPmJS6_EEE10hipError_tPvRmT3_T4_T5_T6_T7_T9_mT8_P12ihipStream_tbDpT10_ENKUlT_T0_E_clISt17integral_constantIbLb1EES1C_EEDaS17_S18_EUlS17_E_NS1_11comp_targetILNS1_3genE5ELNS1_11target_archE942ELNS1_3gpuE9ELNS1_3repE0EEENS1_30default_config_static_selectorELNS0_4arch9wavefront6targetE1EEEvT1_.has_indirect_call, 0
	.section	.AMDGPU.csdata,"",@progbits
; Kernel info:
; codeLenInByte = 0
; TotalNumSgprs: 6
; NumVgprs: 0
; NumAgprs: 0
; TotalNumVgprs: 0
; ScratchSize: 0
; MemoryBound: 0
; FloatMode: 240
; IeeeMode: 1
; LDSByteSize: 0 bytes/workgroup (compile time only)
; SGPRBlocks: 0
; VGPRBlocks: 0
; NumSGPRsForWavesPerEU: 6
; NumVGPRsForWavesPerEU: 1
; AccumOffset: 4
; Occupancy: 8
; WaveLimiterHint : 0
; COMPUTE_PGM_RSRC2:SCRATCH_EN: 0
; COMPUTE_PGM_RSRC2:USER_SGPR: 2
; COMPUTE_PGM_RSRC2:TRAP_HANDLER: 0
; COMPUTE_PGM_RSRC2:TGID_X_EN: 1
; COMPUTE_PGM_RSRC2:TGID_Y_EN: 0
; COMPUTE_PGM_RSRC2:TGID_Z_EN: 0
; COMPUTE_PGM_RSRC2:TIDIG_COMP_CNT: 0
; COMPUTE_PGM_RSRC3_GFX90A:ACCUM_OFFSET: 0
; COMPUTE_PGM_RSRC3_GFX90A:TG_SPLIT: 0
	.section	.text._ZN7rocprim17ROCPRIM_400000_NS6detail17trampoline_kernelINS0_14default_configENS1_25partition_config_selectorILNS1_17partition_subalgoE8ElNS0_10empty_typeEbEEZZNS1_14partition_implILS5_8ELb0ES3_jPlPS6_PKS6_NS0_5tupleIJS9_S6_EEENSD_IJSA_SA_EEENS0_18inequality_wrapperIZN2at6native12_GLOBAL__N_124unique_dim_cuda_templateIdEESt5tupleIJNSH_6TensorESM_SM_EERKSM_lbbbEUlllE0_EEPmJS6_EEE10hipError_tPvRmT3_T4_T5_T6_T7_T9_mT8_P12ihipStream_tbDpT10_ENKUlT_T0_E_clISt17integral_constantIbLb1EES1C_EEDaS17_S18_EUlS17_E_NS1_11comp_targetILNS1_3genE4ELNS1_11target_archE910ELNS1_3gpuE8ELNS1_3repE0EEENS1_30default_config_static_selectorELNS0_4arch9wavefront6targetE1EEEvT1_,"axG",@progbits,_ZN7rocprim17ROCPRIM_400000_NS6detail17trampoline_kernelINS0_14default_configENS1_25partition_config_selectorILNS1_17partition_subalgoE8ElNS0_10empty_typeEbEEZZNS1_14partition_implILS5_8ELb0ES3_jPlPS6_PKS6_NS0_5tupleIJS9_S6_EEENSD_IJSA_SA_EEENS0_18inequality_wrapperIZN2at6native12_GLOBAL__N_124unique_dim_cuda_templateIdEESt5tupleIJNSH_6TensorESM_SM_EERKSM_lbbbEUlllE0_EEPmJS6_EEE10hipError_tPvRmT3_T4_T5_T6_T7_T9_mT8_P12ihipStream_tbDpT10_ENKUlT_T0_E_clISt17integral_constantIbLb1EES1C_EEDaS17_S18_EUlS17_E_NS1_11comp_targetILNS1_3genE4ELNS1_11target_archE910ELNS1_3gpuE8ELNS1_3repE0EEENS1_30default_config_static_selectorELNS0_4arch9wavefront6targetE1EEEvT1_,comdat
	.globl	_ZN7rocprim17ROCPRIM_400000_NS6detail17trampoline_kernelINS0_14default_configENS1_25partition_config_selectorILNS1_17partition_subalgoE8ElNS0_10empty_typeEbEEZZNS1_14partition_implILS5_8ELb0ES3_jPlPS6_PKS6_NS0_5tupleIJS9_S6_EEENSD_IJSA_SA_EEENS0_18inequality_wrapperIZN2at6native12_GLOBAL__N_124unique_dim_cuda_templateIdEESt5tupleIJNSH_6TensorESM_SM_EERKSM_lbbbEUlllE0_EEPmJS6_EEE10hipError_tPvRmT3_T4_T5_T6_T7_T9_mT8_P12ihipStream_tbDpT10_ENKUlT_T0_E_clISt17integral_constantIbLb1EES1C_EEDaS17_S18_EUlS17_E_NS1_11comp_targetILNS1_3genE4ELNS1_11target_archE910ELNS1_3gpuE8ELNS1_3repE0EEENS1_30default_config_static_selectorELNS0_4arch9wavefront6targetE1EEEvT1_ ; -- Begin function _ZN7rocprim17ROCPRIM_400000_NS6detail17trampoline_kernelINS0_14default_configENS1_25partition_config_selectorILNS1_17partition_subalgoE8ElNS0_10empty_typeEbEEZZNS1_14partition_implILS5_8ELb0ES3_jPlPS6_PKS6_NS0_5tupleIJS9_S6_EEENSD_IJSA_SA_EEENS0_18inequality_wrapperIZN2at6native12_GLOBAL__N_124unique_dim_cuda_templateIdEESt5tupleIJNSH_6TensorESM_SM_EERKSM_lbbbEUlllE0_EEPmJS6_EEE10hipError_tPvRmT3_T4_T5_T6_T7_T9_mT8_P12ihipStream_tbDpT10_ENKUlT_T0_E_clISt17integral_constantIbLb1EES1C_EEDaS17_S18_EUlS17_E_NS1_11comp_targetILNS1_3genE4ELNS1_11target_archE910ELNS1_3gpuE8ELNS1_3repE0EEENS1_30default_config_static_selectorELNS0_4arch9wavefront6targetE1EEEvT1_
	.p2align	8
	.type	_ZN7rocprim17ROCPRIM_400000_NS6detail17trampoline_kernelINS0_14default_configENS1_25partition_config_selectorILNS1_17partition_subalgoE8ElNS0_10empty_typeEbEEZZNS1_14partition_implILS5_8ELb0ES3_jPlPS6_PKS6_NS0_5tupleIJS9_S6_EEENSD_IJSA_SA_EEENS0_18inequality_wrapperIZN2at6native12_GLOBAL__N_124unique_dim_cuda_templateIdEESt5tupleIJNSH_6TensorESM_SM_EERKSM_lbbbEUlllE0_EEPmJS6_EEE10hipError_tPvRmT3_T4_T5_T6_T7_T9_mT8_P12ihipStream_tbDpT10_ENKUlT_T0_E_clISt17integral_constantIbLb1EES1C_EEDaS17_S18_EUlS17_E_NS1_11comp_targetILNS1_3genE4ELNS1_11target_archE910ELNS1_3gpuE8ELNS1_3repE0EEENS1_30default_config_static_selectorELNS0_4arch9wavefront6targetE1EEEvT1_,@function
_ZN7rocprim17ROCPRIM_400000_NS6detail17trampoline_kernelINS0_14default_configENS1_25partition_config_selectorILNS1_17partition_subalgoE8ElNS0_10empty_typeEbEEZZNS1_14partition_implILS5_8ELb0ES3_jPlPS6_PKS6_NS0_5tupleIJS9_S6_EEENSD_IJSA_SA_EEENS0_18inequality_wrapperIZN2at6native12_GLOBAL__N_124unique_dim_cuda_templateIdEESt5tupleIJNSH_6TensorESM_SM_EERKSM_lbbbEUlllE0_EEPmJS6_EEE10hipError_tPvRmT3_T4_T5_T6_T7_T9_mT8_P12ihipStream_tbDpT10_ENKUlT_T0_E_clISt17integral_constantIbLb1EES1C_EEDaS17_S18_EUlS17_E_NS1_11comp_targetILNS1_3genE4ELNS1_11target_archE910ELNS1_3gpuE8ELNS1_3repE0EEENS1_30default_config_static_selectorELNS0_4arch9wavefront6targetE1EEEvT1_: ; @_ZN7rocprim17ROCPRIM_400000_NS6detail17trampoline_kernelINS0_14default_configENS1_25partition_config_selectorILNS1_17partition_subalgoE8ElNS0_10empty_typeEbEEZZNS1_14partition_implILS5_8ELb0ES3_jPlPS6_PKS6_NS0_5tupleIJS9_S6_EEENSD_IJSA_SA_EEENS0_18inequality_wrapperIZN2at6native12_GLOBAL__N_124unique_dim_cuda_templateIdEESt5tupleIJNSH_6TensorESM_SM_EERKSM_lbbbEUlllE0_EEPmJS6_EEE10hipError_tPvRmT3_T4_T5_T6_T7_T9_mT8_P12ihipStream_tbDpT10_ENKUlT_T0_E_clISt17integral_constantIbLb1EES1C_EEDaS17_S18_EUlS17_E_NS1_11comp_targetILNS1_3genE4ELNS1_11target_archE910ELNS1_3gpuE8ELNS1_3repE0EEENS1_30default_config_static_selectorELNS0_4arch9wavefront6targetE1EEEvT1_
; %bb.0:
	.section	.rodata,"a",@progbits
	.p2align	6, 0x0
	.amdhsa_kernel _ZN7rocprim17ROCPRIM_400000_NS6detail17trampoline_kernelINS0_14default_configENS1_25partition_config_selectorILNS1_17partition_subalgoE8ElNS0_10empty_typeEbEEZZNS1_14partition_implILS5_8ELb0ES3_jPlPS6_PKS6_NS0_5tupleIJS9_S6_EEENSD_IJSA_SA_EEENS0_18inequality_wrapperIZN2at6native12_GLOBAL__N_124unique_dim_cuda_templateIdEESt5tupleIJNSH_6TensorESM_SM_EERKSM_lbbbEUlllE0_EEPmJS6_EEE10hipError_tPvRmT3_T4_T5_T6_T7_T9_mT8_P12ihipStream_tbDpT10_ENKUlT_T0_E_clISt17integral_constantIbLb1EES1C_EEDaS17_S18_EUlS17_E_NS1_11comp_targetILNS1_3genE4ELNS1_11target_archE910ELNS1_3gpuE8ELNS1_3repE0EEENS1_30default_config_static_selectorELNS0_4arch9wavefront6targetE1EEEvT1_
		.amdhsa_group_segment_fixed_size 0
		.amdhsa_private_segment_fixed_size 0
		.amdhsa_kernarg_size 136
		.amdhsa_user_sgpr_count 2
		.amdhsa_user_sgpr_dispatch_ptr 0
		.amdhsa_user_sgpr_queue_ptr 0
		.amdhsa_user_sgpr_kernarg_segment_ptr 1
		.amdhsa_user_sgpr_dispatch_id 0
		.amdhsa_user_sgpr_kernarg_preload_length 0
		.amdhsa_user_sgpr_kernarg_preload_offset 0
		.amdhsa_user_sgpr_private_segment_size 0
		.amdhsa_uses_dynamic_stack 0
		.amdhsa_enable_private_segment 0
		.amdhsa_system_sgpr_workgroup_id_x 1
		.amdhsa_system_sgpr_workgroup_id_y 0
		.amdhsa_system_sgpr_workgroup_id_z 0
		.amdhsa_system_sgpr_workgroup_info 0
		.amdhsa_system_vgpr_workitem_id 0
		.amdhsa_next_free_vgpr 1
		.amdhsa_next_free_sgpr 0
		.amdhsa_accum_offset 4
		.amdhsa_reserve_vcc 0
		.amdhsa_float_round_mode_32 0
		.amdhsa_float_round_mode_16_64 0
		.amdhsa_float_denorm_mode_32 3
		.amdhsa_float_denorm_mode_16_64 3
		.amdhsa_dx10_clamp 1
		.amdhsa_ieee_mode 1
		.amdhsa_fp16_overflow 0
		.amdhsa_tg_split 0
		.amdhsa_exception_fp_ieee_invalid_op 0
		.amdhsa_exception_fp_denorm_src 0
		.amdhsa_exception_fp_ieee_div_zero 0
		.amdhsa_exception_fp_ieee_overflow 0
		.amdhsa_exception_fp_ieee_underflow 0
		.amdhsa_exception_fp_ieee_inexact 0
		.amdhsa_exception_int_div_zero 0
	.end_amdhsa_kernel
	.section	.text._ZN7rocprim17ROCPRIM_400000_NS6detail17trampoline_kernelINS0_14default_configENS1_25partition_config_selectorILNS1_17partition_subalgoE8ElNS0_10empty_typeEbEEZZNS1_14partition_implILS5_8ELb0ES3_jPlPS6_PKS6_NS0_5tupleIJS9_S6_EEENSD_IJSA_SA_EEENS0_18inequality_wrapperIZN2at6native12_GLOBAL__N_124unique_dim_cuda_templateIdEESt5tupleIJNSH_6TensorESM_SM_EERKSM_lbbbEUlllE0_EEPmJS6_EEE10hipError_tPvRmT3_T4_T5_T6_T7_T9_mT8_P12ihipStream_tbDpT10_ENKUlT_T0_E_clISt17integral_constantIbLb1EES1C_EEDaS17_S18_EUlS17_E_NS1_11comp_targetILNS1_3genE4ELNS1_11target_archE910ELNS1_3gpuE8ELNS1_3repE0EEENS1_30default_config_static_selectorELNS0_4arch9wavefront6targetE1EEEvT1_,"axG",@progbits,_ZN7rocprim17ROCPRIM_400000_NS6detail17trampoline_kernelINS0_14default_configENS1_25partition_config_selectorILNS1_17partition_subalgoE8ElNS0_10empty_typeEbEEZZNS1_14partition_implILS5_8ELb0ES3_jPlPS6_PKS6_NS0_5tupleIJS9_S6_EEENSD_IJSA_SA_EEENS0_18inequality_wrapperIZN2at6native12_GLOBAL__N_124unique_dim_cuda_templateIdEESt5tupleIJNSH_6TensorESM_SM_EERKSM_lbbbEUlllE0_EEPmJS6_EEE10hipError_tPvRmT3_T4_T5_T6_T7_T9_mT8_P12ihipStream_tbDpT10_ENKUlT_T0_E_clISt17integral_constantIbLb1EES1C_EEDaS17_S18_EUlS17_E_NS1_11comp_targetILNS1_3genE4ELNS1_11target_archE910ELNS1_3gpuE8ELNS1_3repE0EEENS1_30default_config_static_selectorELNS0_4arch9wavefront6targetE1EEEvT1_,comdat
.Lfunc_end817:
	.size	_ZN7rocprim17ROCPRIM_400000_NS6detail17trampoline_kernelINS0_14default_configENS1_25partition_config_selectorILNS1_17partition_subalgoE8ElNS0_10empty_typeEbEEZZNS1_14partition_implILS5_8ELb0ES3_jPlPS6_PKS6_NS0_5tupleIJS9_S6_EEENSD_IJSA_SA_EEENS0_18inequality_wrapperIZN2at6native12_GLOBAL__N_124unique_dim_cuda_templateIdEESt5tupleIJNSH_6TensorESM_SM_EERKSM_lbbbEUlllE0_EEPmJS6_EEE10hipError_tPvRmT3_T4_T5_T6_T7_T9_mT8_P12ihipStream_tbDpT10_ENKUlT_T0_E_clISt17integral_constantIbLb1EES1C_EEDaS17_S18_EUlS17_E_NS1_11comp_targetILNS1_3genE4ELNS1_11target_archE910ELNS1_3gpuE8ELNS1_3repE0EEENS1_30default_config_static_selectorELNS0_4arch9wavefront6targetE1EEEvT1_, .Lfunc_end817-_ZN7rocprim17ROCPRIM_400000_NS6detail17trampoline_kernelINS0_14default_configENS1_25partition_config_selectorILNS1_17partition_subalgoE8ElNS0_10empty_typeEbEEZZNS1_14partition_implILS5_8ELb0ES3_jPlPS6_PKS6_NS0_5tupleIJS9_S6_EEENSD_IJSA_SA_EEENS0_18inequality_wrapperIZN2at6native12_GLOBAL__N_124unique_dim_cuda_templateIdEESt5tupleIJNSH_6TensorESM_SM_EERKSM_lbbbEUlllE0_EEPmJS6_EEE10hipError_tPvRmT3_T4_T5_T6_T7_T9_mT8_P12ihipStream_tbDpT10_ENKUlT_T0_E_clISt17integral_constantIbLb1EES1C_EEDaS17_S18_EUlS17_E_NS1_11comp_targetILNS1_3genE4ELNS1_11target_archE910ELNS1_3gpuE8ELNS1_3repE0EEENS1_30default_config_static_selectorELNS0_4arch9wavefront6targetE1EEEvT1_
                                        ; -- End function
	.set _ZN7rocprim17ROCPRIM_400000_NS6detail17trampoline_kernelINS0_14default_configENS1_25partition_config_selectorILNS1_17partition_subalgoE8ElNS0_10empty_typeEbEEZZNS1_14partition_implILS5_8ELb0ES3_jPlPS6_PKS6_NS0_5tupleIJS9_S6_EEENSD_IJSA_SA_EEENS0_18inequality_wrapperIZN2at6native12_GLOBAL__N_124unique_dim_cuda_templateIdEESt5tupleIJNSH_6TensorESM_SM_EERKSM_lbbbEUlllE0_EEPmJS6_EEE10hipError_tPvRmT3_T4_T5_T6_T7_T9_mT8_P12ihipStream_tbDpT10_ENKUlT_T0_E_clISt17integral_constantIbLb1EES1C_EEDaS17_S18_EUlS17_E_NS1_11comp_targetILNS1_3genE4ELNS1_11target_archE910ELNS1_3gpuE8ELNS1_3repE0EEENS1_30default_config_static_selectorELNS0_4arch9wavefront6targetE1EEEvT1_.num_vgpr, 0
	.set _ZN7rocprim17ROCPRIM_400000_NS6detail17trampoline_kernelINS0_14default_configENS1_25partition_config_selectorILNS1_17partition_subalgoE8ElNS0_10empty_typeEbEEZZNS1_14partition_implILS5_8ELb0ES3_jPlPS6_PKS6_NS0_5tupleIJS9_S6_EEENSD_IJSA_SA_EEENS0_18inequality_wrapperIZN2at6native12_GLOBAL__N_124unique_dim_cuda_templateIdEESt5tupleIJNSH_6TensorESM_SM_EERKSM_lbbbEUlllE0_EEPmJS6_EEE10hipError_tPvRmT3_T4_T5_T6_T7_T9_mT8_P12ihipStream_tbDpT10_ENKUlT_T0_E_clISt17integral_constantIbLb1EES1C_EEDaS17_S18_EUlS17_E_NS1_11comp_targetILNS1_3genE4ELNS1_11target_archE910ELNS1_3gpuE8ELNS1_3repE0EEENS1_30default_config_static_selectorELNS0_4arch9wavefront6targetE1EEEvT1_.num_agpr, 0
	.set _ZN7rocprim17ROCPRIM_400000_NS6detail17trampoline_kernelINS0_14default_configENS1_25partition_config_selectorILNS1_17partition_subalgoE8ElNS0_10empty_typeEbEEZZNS1_14partition_implILS5_8ELb0ES3_jPlPS6_PKS6_NS0_5tupleIJS9_S6_EEENSD_IJSA_SA_EEENS0_18inequality_wrapperIZN2at6native12_GLOBAL__N_124unique_dim_cuda_templateIdEESt5tupleIJNSH_6TensorESM_SM_EERKSM_lbbbEUlllE0_EEPmJS6_EEE10hipError_tPvRmT3_T4_T5_T6_T7_T9_mT8_P12ihipStream_tbDpT10_ENKUlT_T0_E_clISt17integral_constantIbLb1EES1C_EEDaS17_S18_EUlS17_E_NS1_11comp_targetILNS1_3genE4ELNS1_11target_archE910ELNS1_3gpuE8ELNS1_3repE0EEENS1_30default_config_static_selectorELNS0_4arch9wavefront6targetE1EEEvT1_.numbered_sgpr, 0
	.set _ZN7rocprim17ROCPRIM_400000_NS6detail17trampoline_kernelINS0_14default_configENS1_25partition_config_selectorILNS1_17partition_subalgoE8ElNS0_10empty_typeEbEEZZNS1_14partition_implILS5_8ELb0ES3_jPlPS6_PKS6_NS0_5tupleIJS9_S6_EEENSD_IJSA_SA_EEENS0_18inequality_wrapperIZN2at6native12_GLOBAL__N_124unique_dim_cuda_templateIdEESt5tupleIJNSH_6TensorESM_SM_EERKSM_lbbbEUlllE0_EEPmJS6_EEE10hipError_tPvRmT3_T4_T5_T6_T7_T9_mT8_P12ihipStream_tbDpT10_ENKUlT_T0_E_clISt17integral_constantIbLb1EES1C_EEDaS17_S18_EUlS17_E_NS1_11comp_targetILNS1_3genE4ELNS1_11target_archE910ELNS1_3gpuE8ELNS1_3repE0EEENS1_30default_config_static_selectorELNS0_4arch9wavefront6targetE1EEEvT1_.num_named_barrier, 0
	.set _ZN7rocprim17ROCPRIM_400000_NS6detail17trampoline_kernelINS0_14default_configENS1_25partition_config_selectorILNS1_17partition_subalgoE8ElNS0_10empty_typeEbEEZZNS1_14partition_implILS5_8ELb0ES3_jPlPS6_PKS6_NS0_5tupleIJS9_S6_EEENSD_IJSA_SA_EEENS0_18inequality_wrapperIZN2at6native12_GLOBAL__N_124unique_dim_cuda_templateIdEESt5tupleIJNSH_6TensorESM_SM_EERKSM_lbbbEUlllE0_EEPmJS6_EEE10hipError_tPvRmT3_T4_T5_T6_T7_T9_mT8_P12ihipStream_tbDpT10_ENKUlT_T0_E_clISt17integral_constantIbLb1EES1C_EEDaS17_S18_EUlS17_E_NS1_11comp_targetILNS1_3genE4ELNS1_11target_archE910ELNS1_3gpuE8ELNS1_3repE0EEENS1_30default_config_static_selectorELNS0_4arch9wavefront6targetE1EEEvT1_.private_seg_size, 0
	.set _ZN7rocprim17ROCPRIM_400000_NS6detail17trampoline_kernelINS0_14default_configENS1_25partition_config_selectorILNS1_17partition_subalgoE8ElNS0_10empty_typeEbEEZZNS1_14partition_implILS5_8ELb0ES3_jPlPS6_PKS6_NS0_5tupleIJS9_S6_EEENSD_IJSA_SA_EEENS0_18inequality_wrapperIZN2at6native12_GLOBAL__N_124unique_dim_cuda_templateIdEESt5tupleIJNSH_6TensorESM_SM_EERKSM_lbbbEUlllE0_EEPmJS6_EEE10hipError_tPvRmT3_T4_T5_T6_T7_T9_mT8_P12ihipStream_tbDpT10_ENKUlT_T0_E_clISt17integral_constantIbLb1EES1C_EEDaS17_S18_EUlS17_E_NS1_11comp_targetILNS1_3genE4ELNS1_11target_archE910ELNS1_3gpuE8ELNS1_3repE0EEENS1_30default_config_static_selectorELNS0_4arch9wavefront6targetE1EEEvT1_.uses_vcc, 0
	.set _ZN7rocprim17ROCPRIM_400000_NS6detail17trampoline_kernelINS0_14default_configENS1_25partition_config_selectorILNS1_17partition_subalgoE8ElNS0_10empty_typeEbEEZZNS1_14partition_implILS5_8ELb0ES3_jPlPS6_PKS6_NS0_5tupleIJS9_S6_EEENSD_IJSA_SA_EEENS0_18inequality_wrapperIZN2at6native12_GLOBAL__N_124unique_dim_cuda_templateIdEESt5tupleIJNSH_6TensorESM_SM_EERKSM_lbbbEUlllE0_EEPmJS6_EEE10hipError_tPvRmT3_T4_T5_T6_T7_T9_mT8_P12ihipStream_tbDpT10_ENKUlT_T0_E_clISt17integral_constantIbLb1EES1C_EEDaS17_S18_EUlS17_E_NS1_11comp_targetILNS1_3genE4ELNS1_11target_archE910ELNS1_3gpuE8ELNS1_3repE0EEENS1_30default_config_static_selectorELNS0_4arch9wavefront6targetE1EEEvT1_.uses_flat_scratch, 0
	.set _ZN7rocprim17ROCPRIM_400000_NS6detail17trampoline_kernelINS0_14default_configENS1_25partition_config_selectorILNS1_17partition_subalgoE8ElNS0_10empty_typeEbEEZZNS1_14partition_implILS5_8ELb0ES3_jPlPS6_PKS6_NS0_5tupleIJS9_S6_EEENSD_IJSA_SA_EEENS0_18inequality_wrapperIZN2at6native12_GLOBAL__N_124unique_dim_cuda_templateIdEESt5tupleIJNSH_6TensorESM_SM_EERKSM_lbbbEUlllE0_EEPmJS6_EEE10hipError_tPvRmT3_T4_T5_T6_T7_T9_mT8_P12ihipStream_tbDpT10_ENKUlT_T0_E_clISt17integral_constantIbLb1EES1C_EEDaS17_S18_EUlS17_E_NS1_11comp_targetILNS1_3genE4ELNS1_11target_archE910ELNS1_3gpuE8ELNS1_3repE0EEENS1_30default_config_static_selectorELNS0_4arch9wavefront6targetE1EEEvT1_.has_dyn_sized_stack, 0
	.set _ZN7rocprim17ROCPRIM_400000_NS6detail17trampoline_kernelINS0_14default_configENS1_25partition_config_selectorILNS1_17partition_subalgoE8ElNS0_10empty_typeEbEEZZNS1_14partition_implILS5_8ELb0ES3_jPlPS6_PKS6_NS0_5tupleIJS9_S6_EEENSD_IJSA_SA_EEENS0_18inequality_wrapperIZN2at6native12_GLOBAL__N_124unique_dim_cuda_templateIdEESt5tupleIJNSH_6TensorESM_SM_EERKSM_lbbbEUlllE0_EEPmJS6_EEE10hipError_tPvRmT3_T4_T5_T6_T7_T9_mT8_P12ihipStream_tbDpT10_ENKUlT_T0_E_clISt17integral_constantIbLb1EES1C_EEDaS17_S18_EUlS17_E_NS1_11comp_targetILNS1_3genE4ELNS1_11target_archE910ELNS1_3gpuE8ELNS1_3repE0EEENS1_30default_config_static_selectorELNS0_4arch9wavefront6targetE1EEEvT1_.has_recursion, 0
	.set _ZN7rocprim17ROCPRIM_400000_NS6detail17trampoline_kernelINS0_14default_configENS1_25partition_config_selectorILNS1_17partition_subalgoE8ElNS0_10empty_typeEbEEZZNS1_14partition_implILS5_8ELb0ES3_jPlPS6_PKS6_NS0_5tupleIJS9_S6_EEENSD_IJSA_SA_EEENS0_18inequality_wrapperIZN2at6native12_GLOBAL__N_124unique_dim_cuda_templateIdEESt5tupleIJNSH_6TensorESM_SM_EERKSM_lbbbEUlllE0_EEPmJS6_EEE10hipError_tPvRmT3_T4_T5_T6_T7_T9_mT8_P12ihipStream_tbDpT10_ENKUlT_T0_E_clISt17integral_constantIbLb1EES1C_EEDaS17_S18_EUlS17_E_NS1_11comp_targetILNS1_3genE4ELNS1_11target_archE910ELNS1_3gpuE8ELNS1_3repE0EEENS1_30default_config_static_selectorELNS0_4arch9wavefront6targetE1EEEvT1_.has_indirect_call, 0
	.section	.AMDGPU.csdata,"",@progbits
; Kernel info:
; codeLenInByte = 0
; TotalNumSgprs: 6
; NumVgprs: 0
; NumAgprs: 0
; TotalNumVgprs: 0
; ScratchSize: 0
; MemoryBound: 0
; FloatMode: 240
; IeeeMode: 1
; LDSByteSize: 0 bytes/workgroup (compile time only)
; SGPRBlocks: 0
; VGPRBlocks: 0
; NumSGPRsForWavesPerEU: 6
; NumVGPRsForWavesPerEU: 1
; AccumOffset: 4
; Occupancy: 8
; WaveLimiterHint : 0
; COMPUTE_PGM_RSRC2:SCRATCH_EN: 0
; COMPUTE_PGM_RSRC2:USER_SGPR: 2
; COMPUTE_PGM_RSRC2:TRAP_HANDLER: 0
; COMPUTE_PGM_RSRC2:TGID_X_EN: 1
; COMPUTE_PGM_RSRC2:TGID_Y_EN: 0
; COMPUTE_PGM_RSRC2:TGID_Z_EN: 0
; COMPUTE_PGM_RSRC2:TIDIG_COMP_CNT: 0
; COMPUTE_PGM_RSRC3_GFX90A:ACCUM_OFFSET: 0
; COMPUTE_PGM_RSRC3_GFX90A:TG_SPLIT: 0
	.section	.text._ZN7rocprim17ROCPRIM_400000_NS6detail17trampoline_kernelINS0_14default_configENS1_25partition_config_selectorILNS1_17partition_subalgoE8ElNS0_10empty_typeEbEEZZNS1_14partition_implILS5_8ELb0ES3_jPlPS6_PKS6_NS0_5tupleIJS9_S6_EEENSD_IJSA_SA_EEENS0_18inequality_wrapperIZN2at6native12_GLOBAL__N_124unique_dim_cuda_templateIdEESt5tupleIJNSH_6TensorESM_SM_EERKSM_lbbbEUlllE0_EEPmJS6_EEE10hipError_tPvRmT3_T4_T5_T6_T7_T9_mT8_P12ihipStream_tbDpT10_ENKUlT_T0_E_clISt17integral_constantIbLb1EES1C_EEDaS17_S18_EUlS17_E_NS1_11comp_targetILNS1_3genE3ELNS1_11target_archE908ELNS1_3gpuE7ELNS1_3repE0EEENS1_30default_config_static_selectorELNS0_4arch9wavefront6targetE1EEEvT1_,"axG",@progbits,_ZN7rocprim17ROCPRIM_400000_NS6detail17trampoline_kernelINS0_14default_configENS1_25partition_config_selectorILNS1_17partition_subalgoE8ElNS0_10empty_typeEbEEZZNS1_14partition_implILS5_8ELb0ES3_jPlPS6_PKS6_NS0_5tupleIJS9_S6_EEENSD_IJSA_SA_EEENS0_18inequality_wrapperIZN2at6native12_GLOBAL__N_124unique_dim_cuda_templateIdEESt5tupleIJNSH_6TensorESM_SM_EERKSM_lbbbEUlllE0_EEPmJS6_EEE10hipError_tPvRmT3_T4_T5_T6_T7_T9_mT8_P12ihipStream_tbDpT10_ENKUlT_T0_E_clISt17integral_constantIbLb1EES1C_EEDaS17_S18_EUlS17_E_NS1_11comp_targetILNS1_3genE3ELNS1_11target_archE908ELNS1_3gpuE7ELNS1_3repE0EEENS1_30default_config_static_selectorELNS0_4arch9wavefront6targetE1EEEvT1_,comdat
	.globl	_ZN7rocprim17ROCPRIM_400000_NS6detail17trampoline_kernelINS0_14default_configENS1_25partition_config_selectorILNS1_17partition_subalgoE8ElNS0_10empty_typeEbEEZZNS1_14partition_implILS5_8ELb0ES3_jPlPS6_PKS6_NS0_5tupleIJS9_S6_EEENSD_IJSA_SA_EEENS0_18inequality_wrapperIZN2at6native12_GLOBAL__N_124unique_dim_cuda_templateIdEESt5tupleIJNSH_6TensorESM_SM_EERKSM_lbbbEUlllE0_EEPmJS6_EEE10hipError_tPvRmT3_T4_T5_T6_T7_T9_mT8_P12ihipStream_tbDpT10_ENKUlT_T0_E_clISt17integral_constantIbLb1EES1C_EEDaS17_S18_EUlS17_E_NS1_11comp_targetILNS1_3genE3ELNS1_11target_archE908ELNS1_3gpuE7ELNS1_3repE0EEENS1_30default_config_static_selectorELNS0_4arch9wavefront6targetE1EEEvT1_ ; -- Begin function _ZN7rocprim17ROCPRIM_400000_NS6detail17trampoline_kernelINS0_14default_configENS1_25partition_config_selectorILNS1_17partition_subalgoE8ElNS0_10empty_typeEbEEZZNS1_14partition_implILS5_8ELb0ES3_jPlPS6_PKS6_NS0_5tupleIJS9_S6_EEENSD_IJSA_SA_EEENS0_18inequality_wrapperIZN2at6native12_GLOBAL__N_124unique_dim_cuda_templateIdEESt5tupleIJNSH_6TensorESM_SM_EERKSM_lbbbEUlllE0_EEPmJS6_EEE10hipError_tPvRmT3_T4_T5_T6_T7_T9_mT8_P12ihipStream_tbDpT10_ENKUlT_T0_E_clISt17integral_constantIbLb1EES1C_EEDaS17_S18_EUlS17_E_NS1_11comp_targetILNS1_3genE3ELNS1_11target_archE908ELNS1_3gpuE7ELNS1_3repE0EEENS1_30default_config_static_selectorELNS0_4arch9wavefront6targetE1EEEvT1_
	.p2align	8
	.type	_ZN7rocprim17ROCPRIM_400000_NS6detail17trampoline_kernelINS0_14default_configENS1_25partition_config_selectorILNS1_17partition_subalgoE8ElNS0_10empty_typeEbEEZZNS1_14partition_implILS5_8ELb0ES3_jPlPS6_PKS6_NS0_5tupleIJS9_S6_EEENSD_IJSA_SA_EEENS0_18inequality_wrapperIZN2at6native12_GLOBAL__N_124unique_dim_cuda_templateIdEESt5tupleIJNSH_6TensorESM_SM_EERKSM_lbbbEUlllE0_EEPmJS6_EEE10hipError_tPvRmT3_T4_T5_T6_T7_T9_mT8_P12ihipStream_tbDpT10_ENKUlT_T0_E_clISt17integral_constantIbLb1EES1C_EEDaS17_S18_EUlS17_E_NS1_11comp_targetILNS1_3genE3ELNS1_11target_archE908ELNS1_3gpuE7ELNS1_3repE0EEENS1_30default_config_static_selectorELNS0_4arch9wavefront6targetE1EEEvT1_,@function
_ZN7rocprim17ROCPRIM_400000_NS6detail17trampoline_kernelINS0_14default_configENS1_25partition_config_selectorILNS1_17partition_subalgoE8ElNS0_10empty_typeEbEEZZNS1_14partition_implILS5_8ELb0ES3_jPlPS6_PKS6_NS0_5tupleIJS9_S6_EEENSD_IJSA_SA_EEENS0_18inequality_wrapperIZN2at6native12_GLOBAL__N_124unique_dim_cuda_templateIdEESt5tupleIJNSH_6TensorESM_SM_EERKSM_lbbbEUlllE0_EEPmJS6_EEE10hipError_tPvRmT3_T4_T5_T6_T7_T9_mT8_P12ihipStream_tbDpT10_ENKUlT_T0_E_clISt17integral_constantIbLb1EES1C_EEDaS17_S18_EUlS17_E_NS1_11comp_targetILNS1_3genE3ELNS1_11target_archE908ELNS1_3gpuE7ELNS1_3repE0EEENS1_30default_config_static_selectorELNS0_4arch9wavefront6targetE1EEEvT1_: ; @_ZN7rocprim17ROCPRIM_400000_NS6detail17trampoline_kernelINS0_14default_configENS1_25partition_config_selectorILNS1_17partition_subalgoE8ElNS0_10empty_typeEbEEZZNS1_14partition_implILS5_8ELb0ES3_jPlPS6_PKS6_NS0_5tupleIJS9_S6_EEENSD_IJSA_SA_EEENS0_18inequality_wrapperIZN2at6native12_GLOBAL__N_124unique_dim_cuda_templateIdEESt5tupleIJNSH_6TensorESM_SM_EERKSM_lbbbEUlllE0_EEPmJS6_EEE10hipError_tPvRmT3_T4_T5_T6_T7_T9_mT8_P12ihipStream_tbDpT10_ENKUlT_T0_E_clISt17integral_constantIbLb1EES1C_EEDaS17_S18_EUlS17_E_NS1_11comp_targetILNS1_3genE3ELNS1_11target_archE908ELNS1_3gpuE7ELNS1_3repE0EEENS1_30default_config_static_selectorELNS0_4arch9wavefront6targetE1EEEvT1_
; %bb.0:
	.section	.rodata,"a",@progbits
	.p2align	6, 0x0
	.amdhsa_kernel _ZN7rocprim17ROCPRIM_400000_NS6detail17trampoline_kernelINS0_14default_configENS1_25partition_config_selectorILNS1_17partition_subalgoE8ElNS0_10empty_typeEbEEZZNS1_14partition_implILS5_8ELb0ES3_jPlPS6_PKS6_NS0_5tupleIJS9_S6_EEENSD_IJSA_SA_EEENS0_18inequality_wrapperIZN2at6native12_GLOBAL__N_124unique_dim_cuda_templateIdEESt5tupleIJNSH_6TensorESM_SM_EERKSM_lbbbEUlllE0_EEPmJS6_EEE10hipError_tPvRmT3_T4_T5_T6_T7_T9_mT8_P12ihipStream_tbDpT10_ENKUlT_T0_E_clISt17integral_constantIbLb1EES1C_EEDaS17_S18_EUlS17_E_NS1_11comp_targetILNS1_3genE3ELNS1_11target_archE908ELNS1_3gpuE7ELNS1_3repE0EEENS1_30default_config_static_selectorELNS0_4arch9wavefront6targetE1EEEvT1_
		.amdhsa_group_segment_fixed_size 0
		.amdhsa_private_segment_fixed_size 0
		.amdhsa_kernarg_size 136
		.amdhsa_user_sgpr_count 2
		.amdhsa_user_sgpr_dispatch_ptr 0
		.amdhsa_user_sgpr_queue_ptr 0
		.amdhsa_user_sgpr_kernarg_segment_ptr 1
		.amdhsa_user_sgpr_dispatch_id 0
		.amdhsa_user_sgpr_kernarg_preload_length 0
		.amdhsa_user_sgpr_kernarg_preload_offset 0
		.amdhsa_user_sgpr_private_segment_size 0
		.amdhsa_uses_dynamic_stack 0
		.amdhsa_enable_private_segment 0
		.amdhsa_system_sgpr_workgroup_id_x 1
		.amdhsa_system_sgpr_workgroup_id_y 0
		.amdhsa_system_sgpr_workgroup_id_z 0
		.amdhsa_system_sgpr_workgroup_info 0
		.amdhsa_system_vgpr_workitem_id 0
		.amdhsa_next_free_vgpr 1
		.amdhsa_next_free_sgpr 0
		.amdhsa_accum_offset 4
		.amdhsa_reserve_vcc 0
		.amdhsa_float_round_mode_32 0
		.amdhsa_float_round_mode_16_64 0
		.amdhsa_float_denorm_mode_32 3
		.amdhsa_float_denorm_mode_16_64 3
		.amdhsa_dx10_clamp 1
		.amdhsa_ieee_mode 1
		.amdhsa_fp16_overflow 0
		.amdhsa_tg_split 0
		.amdhsa_exception_fp_ieee_invalid_op 0
		.amdhsa_exception_fp_denorm_src 0
		.amdhsa_exception_fp_ieee_div_zero 0
		.amdhsa_exception_fp_ieee_overflow 0
		.amdhsa_exception_fp_ieee_underflow 0
		.amdhsa_exception_fp_ieee_inexact 0
		.amdhsa_exception_int_div_zero 0
	.end_amdhsa_kernel
	.section	.text._ZN7rocprim17ROCPRIM_400000_NS6detail17trampoline_kernelINS0_14default_configENS1_25partition_config_selectorILNS1_17partition_subalgoE8ElNS0_10empty_typeEbEEZZNS1_14partition_implILS5_8ELb0ES3_jPlPS6_PKS6_NS0_5tupleIJS9_S6_EEENSD_IJSA_SA_EEENS0_18inequality_wrapperIZN2at6native12_GLOBAL__N_124unique_dim_cuda_templateIdEESt5tupleIJNSH_6TensorESM_SM_EERKSM_lbbbEUlllE0_EEPmJS6_EEE10hipError_tPvRmT3_T4_T5_T6_T7_T9_mT8_P12ihipStream_tbDpT10_ENKUlT_T0_E_clISt17integral_constantIbLb1EES1C_EEDaS17_S18_EUlS17_E_NS1_11comp_targetILNS1_3genE3ELNS1_11target_archE908ELNS1_3gpuE7ELNS1_3repE0EEENS1_30default_config_static_selectorELNS0_4arch9wavefront6targetE1EEEvT1_,"axG",@progbits,_ZN7rocprim17ROCPRIM_400000_NS6detail17trampoline_kernelINS0_14default_configENS1_25partition_config_selectorILNS1_17partition_subalgoE8ElNS0_10empty_typeEbEEZZNS1_14partition_implILS5_8ELb0ES3_jPlPS6_PKS6_NS0_5tupleIJS9_S6_EEENSD_IJSA_SA_EEENS0_18inequality_wrapperIZN2at6native12_GLOBAL__N_124unique_dim_cuda_templateIdEESt5tupleIJNSH_6TensorESM_SM_EERKSM_lbbbEUlllE0_EEPmJS6_EEE10hipError_tPvRmT3_T4_T5_T6_T7_T9_mT8_P12ihipStream_tbDpT10_ENKUlT_T0_E_clISt17integral_constantIbLb1EES1C_EEDaS17_S18_EUlS17_E_NS1_11comp_targetILNS1_3genE3ELNS1_11target_archE908ELNS1_3gpuE7ELNS1_3repE0EEENS1_30default_config_static_selectorELNS0_4arch9wavefront6targetE1EEEvT1_,comdat
.Lfunc_end818:
	.size	_ZN7rocprim17ROCPRIM_400000_NS6detail17trampoline_kernelINS0_14default_configENS1_25partition_config_selectorILNS1_17partition_subalgoE8ElNS0_10empty_typeEbEEZZNS1_14partition_implILS5_8ELb0ES3_jPlPS6_PKS6_NS0_5tupleIJS9_S6_EEENSD_IJSA_SA_EEENS0_18inequality_wrapperIZN2at6native12_GLOBAL__N_124unique_dim_cuda_templateIdEESt5tupleIJNSH_6TensorESM_SM_EERKSM_lbbbEUlllE0_EEPmJS6_EEE10hipError_tPvRmT3_T4_T5_T6_T7_T9_mT8_P12ihipStream_tbDpT10_ENKUlT_T0_E_clISt17integral_constantIbLb1EES1C_EEDaS17_S18_EUlS17_E_NS1_11comp_targetILNS1_3genE3ELNS1_11target_archE908ELNS1_3gpuE7ELNS1_3repE0EEENS1_30default_config_static_selectorELNS0_4arch9wavefront6targetE1EEEvT1_, .Lfunc_end818-_ZN7rocprim17ROCPRIM_400000_NS6detail17trampoline_kernelINS0_14default_configENS1_25partition_config_selectorILNS1_17partition_subalgoE8ElNS0_10empty_typeEbEEZZNS1_14partition_implILS5_8ELb0ES3_jPlPS6_PKS6_NS0_5tupleIJS9_S6_EEENSD_IJSA_SA_EEENS0_18inequality_wrapperIZN2at6native12_GLOBAL__N_124unique_dim_cuda_templateIdEESt5tupleIJNSH_6TensorESM_SM_EERKSM_lbbbEUlllE0_EEPmJS6_EEE10hipError_tPvRmT3_T4_T5_T6_T7_T9_mT8_P12ihipStream_tbDpT10_ENKUlT_T0_E_clISt17integral_constantIbLb1EES1C_EEDaS17_S18_EUlS17_E_NS1_11comp_targetILNS1_3genE3ELNS1_11target_archE908ELNS1_3gpuE7ELNS1_3repE0EEENS1_30default_config_static_selectorELNS0_4arch9wavefront6targetE1EEEvT1_
                                        ; -- End function
	.set _ZN7rocprim17ROCPRIM_400000_NS6detail17trampoline_kernelINS0_14default_configENS1_25partition_config_selectorILNS1_17partition_subalgoE8ElNS0_10empty_typeEbEEZZNS1_14partition_implILS5_8ELb0ES3_jPlPS6_PKS6_NS0_5tupleIJS9_S6_EEENSD_IJSA_SA_EEENS0_18inequality_wrapperIZN2at6native12_GLOBAL__N_124unique_dim_cuda_templateIdEESt5tupleIJNSH_6TensorESM_SM_EERKSM_lbbbEUlllE0_EEPmJS6_EEE10hipError_tPvRmT3_T4_T5_T6_T7_T9_mT8_P12ihipStream_tbDpT10_ENKUlT_T0_E_clISt17integral_constantIbLb1EES1C_EEDaS17_S18_EUlS17_E_NS1_11comp_targetILNS1_3genE3ELNS1_11target_archE908ELNS1_3gpuE7ELNS1_3repE0EEENS1_30default_config_static_selectorELNS0_4arch9wavefront6targetE1EEEvT1_.num_vgpr, 0
	.set _ZN7rocprim17ROCPRIM_400000_NS6detail17trampoline_kernelINS0_14default_configENS1_25partition_config_selectorILNS1_17partition_subalgoE8ElNS0_10empty_typeEbEEZZNS1_14partition_implILS5_8ELb0ES3_jPlPS6_PKS6_NS0_5tupleIJS9_S6_EEENSD_IJSA_SA_EEENS0_18inequality_wrapperIZN2at6native12_GLOBAL__N_124unique_dim_cuda_templateIdEESt5tupleIJNSH_6TensorESM_SM_EERKSM_lbbbEUlllE0_EEPmJS6_EEE10hipError_tPvRmT3_T4_T5_T6_T7_T9_mT8_P12ihipStream_tbDpT10_ENKUlT_T0_E_clISt17integral_constantIbLb1EES1C_EEDaS17_S18_EUlS17_E_NS1_11comp_targetILNS1_3genE3ELNS1_11target_archE908ELNS1_3gpuE7ELNS1_3repE0EEENS1_30default_config_static_selectorELNS0_4arch9wavefront6targetE1EEEvT1_.num_agpr, 0
	.set _ZN7rocprim17ROCPRIM_400000_NS6detail17trampoline_kernelINS0_14default_configENS1_25partition_config_selectorILNS1_17partition_subalgoE8ElNS0_10empty_typeEbEEZZNS1_14partition_implILS5_8ELb0ES3_jPlPS6_PKS6_NS0_5tupleIJS9_S6_EEENSD_IJSA_SA_EEENS0_18inequality_wrapperIZN2at6native12_GLOBAL__N_124unique_dim_cuda_templateIdEESt5tupleIJNSH_6TensorESM_SM_EERKSM_lbbbEUlllE0_EEPmJS6_EEE10hipError_tPvRmT3_T4_T5_T6_T7_T9_mT8_P12ihipStream_tbDpT10_ENKUlT_T0_E_clISt17integral_constantIbLb1EES1C_EEDaS17_S18_EUlS17_E_NS1_11comp_targetILNS1_3genE3ELNS1_11target_archE908ELNS1_3gpuE7ELNS1_3repE0EEENS1_30default_config_static_selectorELNS0_4arch9wavefront6targetE1EEEvT1_.numbered_sgpr, 0
	.set _ZN7rocprim17ROCPRIM_400000_NS6detail17trampoline_kernelINS0_14default_configENS1_25partition_config_selectorILNS1_17partition_subalgoE8ElNS0_10empty_typeEbEEZZNS1_14partition_implILS5_8ELb0ES3_jPlPS6_PKS6_NS0_5tupleIJS9_S6_EEENSD_IJSA_SA_EEENS0_18inequality_wrapperIZN2at6native12_GLOBAL__N_124unique_dim_cuda_templateIdEESt5tupleIJNSH_6TensorESM_SM_EERKSM_lbbbEUlllE0_EEPmJS6_EEE10hipError_tPvRmT3_T4_T5_T6_T7_T9_mT8_P12ihipStream_tbDpT10_ENKUlT_T0_E_clISt17integral_constantIbLb1EES1C_EEDaS17_S18_EUlS17_E_NS1_11comp_targetILNS1_3genE3ELNS1_11target_archE908ELNS1_3gpuE7ELNS1_3repE0EEENS1_30default_config_static_selectorELNS0_4arch9wavefront6targetE1EEEvT1_.num_named_barrier, 0
	.set _ZN7rocprim17ROCPRIM_400000_NS6detail17trampoline_kernelINS0_14default_configENS1_25partition_config_selectorILNS1_17partition_subalgoE8ElNS0_10empty_typeEbEEZZNS1_14partition_implILS5_8ELb0ES3_jPlPS6_PKS6_NS0_5tupleIJS9_S6_EEENSD_IJSA_SA_EEENS0_18inequality_wrapperIZN2at6native12_GLOBAL__N_124unique_dim_cuda_templateIdEESt5tupleIJNSH_6TensorESM_SM_EERKSM_lbbbEUlllE0_EEPmJS6_EEE10hipError_tPvRmT3_T4_T5_T6_T7_T9_mT8_P12ihipStream_tbDpT10_ENKUlT_T0_E_clISt17integral_constantIbLb1EES1C_EEDaS17_S18_EUlS17_E_NS1_11comp_targetILNS1_3genE3ELNS1_11target_archE908ELNS1_3gpuE7ELNS1_3repE0EEENS1_30default_config_static_selectorELNS0_4arch9wavefront6targetE1EEEvT1_.private_seg_size, 0
	.set _ZN7rocprim17ROCPRIM_400000_NS6detail17trampoline_kernelINS0_14default_configENS1_25partition_config_selectorILNS1_17partition_subalgoE8ElNS0_10empty_typeEbEEZZNS1_14partition_implILS5_8ELb0ES3_jPlPS6_PKS6_NS0_5tupleIJS9_S6_EEENSD_IJSA_SA_EEENS0_18inequality_wrapperIZN2at6native12_GLOBAL__N_124unique_dim_cuda_templateIdEESt5tupleIJNSH_6TensorESM_SM_EERKSM_lbbbEUlllE0_EEPmJS6_EEE10hipError_tPvRmT3_T4_T5_T6_T7_T9_mT8_P12ihipStream_tbDpT10_ENKUlT_T0_E_clISt17integral_constantIbLb1EES1C_EEDaS17_S18_EUlS17_E_NS1_11comp_targetILNS1_3genE3ELNS1_11target_archE908ELNS1_3gpuE7ELNS1_3repE0EEENS1_30default_config_static_selectorELNS0_4arch9wavefront6targetE1EEEvT1_.uses_vcc, 0
	.set _ZN7rocprim17ROCPRIM_400000_NS6detail17trampoline_kernelINS0_14default_configENS1_25partition_config_selectorILNS1_17partition_subalgoE8ElNS0_10empty_typeEbEEZZNS1_14partition_implILS5_8ELb0ES3_jPlPS6_PKS6_NS0_5tupleIJS9_S6_EEENSD_IJSA_SA_EEENS0_18inequality_wrapperIZN2at6native12_GLOBAL__N_124unique_dim_cuda_templateIdEESt5tupleIJNSH_6TensorESM_SM_EERKSM_lbbbEUlllE0_EEPmJS6_EEE10hipError_tPvRmT3_T4_T5_T6_T7_T9_mT8_P12ihipStream_tbDpT10_ENKUlT_T0_E_clISt17integral_constantIbLb1EES1C_EEDaS17_S18_EUlS17_E_NS1_11comp_targetILNS1_3genE3ELNS1_11target_archE908ELNS1_3gpuE7ELNS1_3repE0EEENS1_30default_config_static_selectorELNS0_4arch9wavefront6targetE1EEEvT1_.uses_flat_scratch, 0
	.set _ZN7rocprim17ROCPRIM_400000_NS6detail17trampoline_kernelINS0_14default_configENS1_25partition_config_selectorILNS1_17partition_subalgoE8ElNS0_10empty_typeEbEEZZNS1_14partition_implILS5_8ELb0ES3_jPlPS6_PKS6_NS0_5tupleIJS9_S6_EEENSD_IJSA_SA_EEENS0_18inequality_wrapperIZN2at6native12_GLOBAL__N_124unique_dim_cuda_templateIdEESt5tupleIJNSH_6TensorESM_SM_EERKSM_lbbbEUlllE0_EEPmJS6_EEE10hipError_tPvRmT3_T4_T5_T6_T7_T9_mT8_P12ihipStream_tbDpT10_ENKUlT_T0_E_clISt17integral_constantIbLb1EES1C_EEDaS17_S18_EUlS17_E_NS1_11comp_targetILNS1_3genE3ELNS1_11target_archE908ELNS1_3gpuE7ELNS1_3repE0EEENS1_30default_config_static_selectorELNS0_4arch9wavefront6targetE1EEEvT1_.has_dyn_sized_stack, 0
	.set _ZN7rocprim17ROCPRIM_400000_NS6detail17trampoline_kernelINS0_14default_configENS1_25partition_config_selectorILNS1_17partition_subalgoE8ElNS0_10empty_typeEbEEZZNS1_14partition_implILS5_8ELb0ES3_jPlPS6_PKS6_NS0_5tupleIJS9_S6_EEENSD_IJSA_SA_EEENS0_18inequality_wrapperIZN2at6native12_GLOBAL__N_124unique_dim_cuda_templateIdEESt5tupleIJNSH_6TensorESM_SM_EERKSM_lbbbEUlllE0_EEPmJS6_EEE10hipError_tPvRmT3_T4_T5_T6_T7_T9_mT8_P12ihipStream_tbDpT10_ENKUlT_T0_E_clISt17integral_constantIbLb1EES1C_EEDaS17_S18_EUlS17_E_NS1_11comp_targetILNS1_3genE3ELNS1_11target_archE908ELNS1_3gpuE7ELNS1_3repE0EEENS1_30default_config_static_selectorELNS0_4arch9wavefront6targetE1EEEvT1_.has_recursion, 0
	.set _ZN7rocprim17ROCPRIM_400000_NS6detail17trampoline_kernelINS0_14default_configENS1_25partition_config_selectorILNS1_17partition_subalgoE8ElNS0_10empty_typeEbEEZZNS1_14partition_implILS5_8ELb0ES3_jPlPS6_PKS6_NS0_5tupleIJS9_S6_EEENSD_IJSA_SA_EEENS0_18inequality_wrapperIZN2at6native12_GLOBAL__N_124unique_dim_cuda_templateIdEESt5tupleIJNSH_6TensorESM_SM_EERKSM_lbbbEUlllE0_EEPmJS6_EEE10hipError_tPvRmT3_T4_T5_T6_T7_T9_mT8_P12ihipStream_tbDpT10_ENKUlT_T0_E_clISt17integral_constantIbLb1EES1C_EEDaS17_S18_EUlS17_E_NS1_11comp_targetILNS1_3genE3ELNS1_11target_archE908ELNS1_3gpuE7ELNS1_3repE0EEENS1_30default_config_static_selectorELNS0_4arch9wavefront6targetE1EEEvT1_.has_indirect_call, 0
	.section	.AMDGPU.csdata,"",@progbits
; Kernel info:
; codeLenInByte = 0
; TotalNumSgprs: 6
; NumVgprs: 0
; NumAgprs: 0
; TotalNumVgprs: 0
; ScratchSize: 0
; MemoryBound: 0
; FloatMode: 240
; IeeeMode: 1
; LDSByteSize: 0 bytes/workgroup (compile time only)
; SGPRBlocks: 0
; VGPRBlocks: 0
; NumSGPRsForWavesPerEU: 6
; NumVGPRsForWavesPerEU: 1
; AccumOffset: 4
; Occupancy: 8
; WaveLimiterHint : 0
; COMPUTE_PGM_RSRC2:SCRATCH_EN: 0
; COMPUTE_PGM_RSRC2:USER_SGPR: 2
; COMPUTE_PGM_RSRC2:TRAP_HANDLER: 0
; COMPUTE_PGM_RSRC2:TGID_X_EN: 1
; COMPUTE_PGM_RSRC2:TGID_Y_EN: 0
; COMPUTE_PGM_RSRC2:TGID_Z_EN: 0
; COMPUTE_PGM_RSRC2:TIDIG_COMP_CNT: 0
; COMPUTE_PGM_RSRC3_GFX90A:ACCUM_OFFSET: 0
; COMPUTE_PGM_RSRC3_GFX90A:TG_SPLIT: 0
	.section	.text._ZN7rocprim17ROCPRIM_400000_NS6detail17trampoline_kernelINS0_14default_configENS1_25partition_config_selectorILNS1_17partition_subalgoE8ElNS0_10empty_typeEbEEZZNS1_14partition_implILS5_8ELb0ES3_jPlPS6_PKS6_NS0_5tupleIJS9_S6_EEENSD_IJSA_SA_EEENS0_18inequality_wrapperIZN2at6native12_GLOBAL__N_124unique_dim_cuda_templateIdEESt5tupleIJNSH_6TensorESM_SM_EERKSM_lbbbEUlllE0_EEPmJS6_EEE10hipError_tPvRmT3_T4_T5_T6_T7_T9_mT8_P12ihipStream_tbDpT10_ENKUlT_T0_E_clISt17integral_constantIbLb1EES1C_EEDaS17_S18_EUlS17_E_NS1_11comp_targetILNS1_3genE2ELNS1_11target_archE906ELNS1_3gpuE6ELNS1_3repE0EEENS1_30default_config_static_selectorELNS0_4arch9wavefront6targetE1EEEvT1_,"axG",@progbits,_ZN7rocprim17ROCPRIM_400000_NS6detail17trampoline_kernelINS0_14default_configENS1_25partition_config_selectorILNS1_17partition_subalgoE8ElNS0_10empty_typeEbEEZZNS1_14partition_implILS5_8ELb0ES3_jPlPS6_PKS6_NS0_5tupleIJS9_S6_EEENSD_IJSA_SA_EEENS0_18inequality_wrapperIZN2at6native12_GLOBAL__N_124unique_dim_cuda_templateIdEESt5tupleIJNSH_6TensorESM_SM_EERKSM_lbbbEUlllE0_EEPmJS6_EEE10hipError_tPvRmT3_T4_T5_T6_T7_T9_mT8_P12ihipStream_tbDpT10_ENKUlT_T0_E_clISt17integral_constantIbLb1EES1C_EEDaS17_S18_EUlS17_E_NS1_11comp_targetILNS1_3genE2ELNS1_11target_archE906ELNS1_3gpuE6ELNS1_3repE0EEENS1_30default_config_static_selectorELNS0_4arch9wavefront6targetE1EEEvT1_,comdat
	.globl	_ZN7rocprim17ROCPRIM_400000_NS6detail17trampoline_kernelINS0_14default_configENS1_25partition_config_selectorILNS1_17partition_subalgoE8ElNS0_10empty_typeEbEEZZNS1_14partition_implILS5_8ELb0ES3_jPlPS6_PKS6_NS0_5tupleIJS9_S6_EEENSD_IJSA_SA_EEENS0_18inequality_wrapperIZN2at6native12_GLOBAL__N_124unique_dim_cuda_templateIdEESt5tupleIJNSH_6TensorESM_SM_EERKSM_lbbbEUlllE0_EEPmJS6_EEE10hipError_tPvRmT3_T4_T5_T6_T7_T9_mT8_P12ihipStream_tbDpT10_ENKUlT_T0_E_clISt17integral_constantIbLb1EES1C_EEDaS17_S18_EUlS17_E_NS1_11comp_targetILNS1_3genE2ELNS1_11target_archE906ELNS1_3gpuE6ELNS1_3repE0EEENS1_30default_config_static_selectorELNS0_4arch9wavefront6targetE1EEEvT1_ ; -- Begin function _ZN7rocprim17ROCPRIM_400000_NS6detail17trampoline_kernelINS0_14default_configENS1_25partition_config_selectorILNS1_17partition_subalgoE8ElNS0_10empty_typeEbEEZZNS1_14partition_implILS5_8ELb0ES3_jPlPS6_PKS6_NS0_5tupleIJS9_S6_EEENSD_IJSA_SA_EEENS0_18inequality_wrapperIZN2at6native12_GLOBAL__N_124unique_dim_cuda_templateIdEESt5tupleIJNSH_6TensorESM_SM_EERKSM_lbbbEUlllE0_EEPmJS6_EEE10hipError_tPvRmT3_T4_T5_T6_T7_T9_mT8_P12ihipStream_tbDpT10_ENKUlT_T0_E_clISt17integral_constantIbLb1EES1C_EEDaS17_S18_EUlS17_E_NS1_11comp_targetILNS1_3genE2ELNS1_11target_archE906ELNS1_3gpuE6ELNS1_3repE0EEENS1_30default_config_static_selectorELNS0_4arch9wavefront6targetE1EEEvT1_
	.p2align	8
	.type	_ZN7rocprim17ROCPRIM_400000_NS6detail17trampoline_kernelINS0_14default_configENS1_25partition_config_selectorILNS1_17partition_subalgoE8ElNS0_10empty_typeEbEEZZNS1_14partition_implILS5_8ELb0ES3_jPlPS6_PKS6_NS0_5tupleIJS9_S6_EEENSD_IJSA_SA_EEENS0_18inequality_wrapperIZN2at6native12_GLOBAL__N_124unique_dim_cuda_templateIdEESt5tupleIJNSH_6TensorESM_SM_EERKSM_lbbbEUlllE0_EEPmJS6_EEE10hipError_tPvRmT3_T4_T5_T6_T7_T9_mT8_P12ihipStream_tbDpT10_ENKUlT_T0_E_clISt17integral_constantIbLb1EES1C_EEDaS17_S18_EUlS17_E_NS1_11comp_targetILNS1_3genE2ELNS1_11target_archE906ELNS1_3gpuE6ELNS1_3repE0EEENS1_30default_config_static_selectorELNS0_4arch9wavefront6targetE1EEEvT1_,@function
_ZN7rocprim17ROCPRIM_400000_NS6detail17trampoline_kernelINS0_14default_configENS1_25partition_config_selectorILNS1_17partition_subalgoE8ElNS0_10empty_typeEbEEZZNS1_14partition_implILS5_8ELb0ES3_jPlPS6_PKS6_NS0_5tupleIJS9_S6_EEENSD_IJSA_SA_EEENS0_18inequality_wrapperIZN2at6native12_GLOBAL__N_124unique_dim_cuda_templateIdEESt5tupleIJNSH_6TensorESM_SM_EERKSM_lbbbEUlllE0_EEPmJS6_EEE10hipError_tPvRmT3_T4_T5_T6_T7_T9_mT8_P12ihipStream_tbDpT10_ENKUlT_T0_E_clISt17integral_constantIbLb1EES1C_EEDaS17_S18_EUlS17_E_NS1_11comp_targetILNS1_3genE2ELNS1_11target_archE906ELNS1_3gpuE6ELNS1_3repE0EEENS1_30default_config_static_selectorELNS0_4arch9wavefront6targetE1EEEvT1_: ; @_ZN7rocprim17ROCPRIM_400000_NS6detail17trampoline_kernelINS0_14default_configENS1_25partition_config_selectorILNS1_17partition_subalgoE8ElNS0_10empty_typeEbEEZZNS1_14partition_implILS5_8ELb0ES3_jPlPS6_PKS6_NS0_5tupleIJS9_S6_EEENSD_IJSA_SA_EEENS0_18inequality_wrapperIZN2at6native12_GLOBAL__N_124unique_dim_cuda_templateIdEESt5tupleIJNSH_6TensorESM_SM_EERKSM_lbbbEUlllE0_EEPmJS6_EEE10hipError_tPvRmT3_T4_T5_T6_T7_T9_mT8_P12ihipStream_tbDpT10_ENKUlT_T0_E_clISt17integral_constantIbLb1EES1C_EEDaS17_S18_EUlS17_E_NS1_11comp_targetILNS1_3genE2ELNS1_11target_archE906ELNS1_3gpuE6ELNS1_3repE0EEENS1_30default_config_static_selectorELNS0_4arch9wavefront6targetE1EEEvT1_
; %bb.0:
	.section	.rodata,"a",@progbits
	.p2align	6, 0x0
	.amdhsa_kernel _ZN7rocprim17ROCPRIM_400000_NS6detail17trampoline_kernelINS0_14default_configENS1_25partition_config_selectorILNS1_17partition_subalgoE8ElNS0_10empty_typeEbEEZZNS1_14partition_implILS5_8ELb0ES3_jPlPS6_PKS6_NS0_5tupleIJS9_S6_EEENSD_IJSA_SA_EEENS0_18inequality_wrapperIZN2at6native12_GLOBAL__N_124unique_dim_cuda_templateIdEESt5tupleIJNSH_6TensorESM_SM_EERKSM_lbbbEUlllE0_EEPmJS6_EEE10hipError_tPvRmT3_T4_T5_T6_T7_T9_mT8_P12ihipStream_tbDpT10_ENKUlT_T0_E_clISt17integral_constantIbLb1EES1C_EEDaS17_S18_EUlS17_E_NS1_11comp_targetILNS1_3genE2ELNS1_11target_archE906ELNS1_3gpuE6ELNS1_3repE0EEENS1_30default_config_static_selectorELNS0_4arch9wavefront6targetE1EEEvT1_
		.amdhsa_group_segment_fixed_size 0
		.amdhsa_private_segment_fixed_size 0
		.amdhsa_kernarg_size 136
		.amdhsa_user_sgpr_count 2
		.amdhsa_user_sgpr_dispatch_ptr 0
		.amdhsa_user_sgpr_queue_ptr 0
		.amdhsa_user_sgpr_kernarg_segment_ptr 1
		.amdhsa_user_sgpr_dispatch_id 0
		.amdhsa_user_sgpr_kernarg_preload_length 0
		.amdhsa_user_sgpr_kernarg_preload_offset 0
		.amdhsa_user_sgpr_private_segment_size 0
		.amdhsa_uses_dynamic_stack 0
		.amdhsa_enable_private_segment 0
		.amdhsa_system_sgpr_workgroup_id_x 1
		.amdhsa_system_sgpr_workgroup_id_y 0
		.amdhsa_system_sgpr_workgroup_id_z 0
		.amdhsa_system_sgpr_workgroup_info 0
		.amdhsa_system_vgpr_workitem_id 0
		.amdhsa_next_free_vgpr 1
		.amdhsa_next_free_sgpr 0
		.amdhsa_accum_offset 4
		.amdhsa_reserve_vcc 0
		.amdhsa_float_round_mode_32 0
		.amdhsa_float_round_mode_16_64 0
		.amdhsa_float_denorm_mode_32 3
		.amdhsa_float_denorm_mode_16_64 3
		.amdhsa_dx10_clamp 1
		.amdhsa_ieee_mode 1
		.amdhsa_fp16_overflow 0
		.amdhsa_tg_split 0
		.amdhsa_exception_fp_ieee_invalid_op 0
		.amdhsa_exception_fp_denorm_src 0
		.amdhsa_exception_fp_ieee_div_zero 0
		.amdhsa_exception_fp_ieee_overflow 0
		.amdhsa_exception_fp_ieee_underflow 0
		.amdhsa_exception_fp_ieee_inexact 0
		.amdhsa_exception_int_div_zero 0
	.end_amdhsa_kernel
	.section	.text._ZN7rocprim17ROCPRIM_400000_NS6detail17trampoline_kernelINS0_14default_configENS1_25partition_config_selectorILNS1_17partition_subalgoE8ElNS0_10empty_typeEbEEZZNS1_14partition_implILS5_8ELb0ES3_jPlPS6_PKS6_NS0_5tupleIJS9_S6_EEENSD_IJSA_SA_EEENS0_18inequality_wrapperIZN2at6native12_GLOBAL__N_124unique_dim_cuda_templateIdEESt5tupleIJNSH_6TensorESM_SM_EERKSM_lbbbEUlllE0_EEPmJS6_EEE10hipError_tPvRmT3_T4_T5_T6_T7_T9_mT8_P12ihipStream_tbDpT10_ENKUlT_T0_E_clISt17integral_constantIbLb1EES1C_EEDaS17_S18_EUlS17_E_NS1_11comp_targetILNS1_3genE2ELNS1_11target_archE906ELNS1_3gpuE6ELNS1_3repE0EEENS1_30default_config_static_selectorELNS0_4arch9wavefront6targetE1EEEvT1_,"axG",@progbits,_ZN7rocprim17ROCPRIM_400000_NS6detail17trampoline_kernelINS0_14default_configENS1_25partition_config_selectorILNS1_17partition_subalgoE8ElNS0_10empty_typeEbEEZZNS1_14partition_implILS5_8ELb0ES3_jPlPS6_PKS6_NS0_5tupleIJS9_S6_EEENSD_IJSA_SA_EEENS0_18inequality_wrapperIZN2at6native12_GLOBAL__N_124unique_dim_cuda_templateIdEESt5tupleIJNSH_6TensorESM_SM_EERKSM_lbbbEUlllE0_EEPmJS6_EEE10hipError_tPvRmT3_T4_T5_T6_T7_T9_mT8_P12ihipStream_tbDpT10_ENKUlT_T0_E_clISt17integral_constantIbLb1EES1C_EEDaS17_S18_EUlS17_E_NS1_11comp_targetILNS1_3genE2ELNS1_11target_archE906ELNS1_3gpuE6ELNS1_3repE0EEENS1_30default_config_static_selectorELNS0_4arch9wavefront6targetE1EEEvT1_,comdat
.Lfunc_end819:
	.size	_ZN7rocprim17ROCPRIM_400000_NS6detail17trampoline_kernelINS0_14default_configENS1_25partition_config_selectorILNS1_17partition_subalgoE8ElNS0_10empty_typeEbEEZZNS1_14partition_implILS5_8ELb0ES3_jPlPS6_PKS6_NS0_5tupleIJS9_S6_EEENSD_IJSA_SA_EEENS0_18inequality_wrapperIZN2at6native12_GLOBAL__N_124unique_dim_cuda_templateIdEESt5tupleIJNSH_6TensorESM_SM_EERKSM_lbbbEUlllE0_EEPmJS6_EEE10hipError_tPvRmT3_T4_T5_T6_T7_T9_mT8_P12ihipStream_tbDpT10_ENKUlT_T0_E_clISt17integral_constantIbLb1EES1C_EEDaS17_S18_EUlS17_E_NS1_11comp_targetILNS1_3genE2ELNS1_11target_archE906ELNS1_3gpuE6ELNS1_3repE0EEENS1_30default_config_static_selectorELNS0_4arch9wavefront6targetE1EEEvT1_, .Lfunc_end819-_ZN7rocprim17ROCPRIM_400000_NS6detail17trampoline_kernelINS0_14default_configENS1_25partition_config_selectorILNS1_17partition_subalgoE8ElNS0_10empty_typeEbEEZZNS1_14partition_implILS5_8ELb0ES3_jPlPS6_PKS6_NS0_5tupleIJS9_S6_EEENSD_IJSA_SA_EEENS0_18inequality_wrapperIZN2at6native12_GLOBAL__N_124unique_dim_cuda_templateIdEESt5tupleIJNSH_6TensorESM_SM_EERKSM_lbbbEUlllE0_EEPmJS6_EEE10hipError_tPvRmT3_T4_T5_T6_T7_T9_mT8_P12ihipStream_tbDpT10_ENKUlT_T0_E_clISt17integral_constantIbLb1EES1C_EEDaS17_S18_EUlS17_E_NS1_11comp_targetILNS1_3genE2ELNS1_11target_archE906ELNS1_3gpuE6ELNS1_3repE0EEENS1_30default_config_static_selectorELNS0_4arch9wavefront6targetE1EEEvT1_
                                        ; -- End function
	.set _ZN7rocprim17ROCPRIM_400000_NS6detail17trampoline_kernelINS0_14default_configENS1_25partition_config_selectorILNS1_17partition_subalgoE8ElNS0_10empty_typeEbEEZZNS1_14partition_implILS5_8ELb0ES3_jPlPS6_PKS6_NS0_5tupleIJS9_S6_EEENSD_IJSA_SA_EEENS0_18inequality_wrapperIZN2at6native12_GLOBAL__N_124unique_dim_cuda_templateIdEESt5tupleIJNSH_6TensorESM_SM_EERKSM_lbbbEUlllE0_EEPmJS6_EEE10hipError_tPvRmT3_T4_T5_T6_T7_T9_mT8_P12ihipStream_tbDpT10_ENKUlT_T0_E_clISt17integral_constantIbLb1EES1C_EEDaS17_S18_EUlS17_E_NS1_11comp_targetILNS1_3genE2ELNS1_11target_archE906ELNS1_3gpuE6ELNS1_3repE0EEENS1_30default_config_static_selectorELNS0_4arch9wavefront6targetE1EEEvT1_.num_vgpr, 0
	.set _ZN7rocprim17ROCPRIM_400000_NS6detail17trampoline_kernelINS0_14default_configENS1_25partition_config_selectorILNS1_17partition_subalgoE8ElNS0_10empty_typeEbEEZZNS1_14partition_implILS5_8ELb0ES3_jPlPS6_PKS6_NS0_5tupleIJS9_S6_EEENSD_IJSA_SA_EEENS0_18inequality_wrapperIZN2at6native12_GLOBAL__N_124unique_dim_cuda_templateIdEESt5tupleIJNSH_6TensorESM_SM_EERKSM_lbbbEUlllE0_EEPmJS6_EEE10hipError_tPvRmT3_T4_T5_T6_T7_T9_mT8_P12ihipStream_tbDpT10_ENKUlT_T0_E_clISt17integral_constantIbLb1EES1C_EEDaS17_S18_EUlS17_E_NS1_11comp_targetILNS1_3genE2ELNS1_11target_archE906ELNS1_3gpuE6ELNS1_3repE0EEENS1_30default_config_static_selectorELNS0_4arch9wavefront6targetE1EEEvT1_.num_agpr, 0
	.set _ZN7rocprim17ROCPRIM_400000_NS6detail17trampoline_kernelINS0_14default_configENS1_25partition_config_selectorILNS1_17partition_subalgoE8ElNS0_10empty_typeEbEEZZNS1_14partition_implILS5_8ELb0ES3_jPlPS6_PKS6_NS0_5tupleIJS9_S6_EEENSD_IJSA_SA_EEENS0_18inequality_wrapperIZN2at6native12_GLOBAL__N_124unique_dim_cuda_templateIdEESt5tupleIJNSH_6TensorESM_SM_EERKSM_lbbbEUlllE0_EEPmJS6_EEE10hipError_tPvRmT3_T4_T5_T6_T7_T9_mT8_P12ihipStream_tbDpT10_ENKUlT_T0_E_clISt17integral_constantIbLb1EES1C_EEDaS17_S18_EUlS17_E_NS1_11comp_targetILNS1_3genE2ELNS1_11target_archE906ELNS1_3gpuE6ELNS1_3repE0EEENS1_30default_config_static_selectorELNS0_4arch9wavefront6targetE1EEEvT1_.numbered_sgpr, 0
	.set _ZN7rocprim17ROCPRIM_400000_NS6detail17trampoline_kernelINS0_14default_configENS1_25partition_config_selectorILNS1_17partition_subalgoE8ElNS0_10empty_typeEbEEZZNS1_14partition_implILS5_8ELb0ES3_jPlPS6_PKS6_NS0_5tupleIJS9_S6_EEENSD_IJSA_SA_EEENS0_18inequality_wrapperIZN2at6native12_GLOBAL__N_124unique_dim_cuda_templateIdEESt5tupleIJNSH_6TensorESM_SM_EERKSM_lbbbEUlllE0_EEPmJS6_EEE10hipError_tPvRmT3_T4_T5_T6_T7_T9_mT8_P12ihipStream_tbDpT10_ENKUlT_T0_E_clISt17integral_constantIbLb1EES1C_EEDaS17_S18_EUlS17_E_NS1_11comp_targetILNS1_3genE2ELNS1_11target_archE906ELNS1_3gpuE6ELNS1_3repE0EEENS1_30default_config_static_selectorELNS0_4arch9wavefront6targetE1EEEvT1_.num_named_barrier, 0
	.set _ZN7rocprim17ROCPRIM_400000_NS6detail17trampoline_kernelINS0_14default_configENS1_25partition_config_selectorILNS1_17partition_subalgoE8ElNS0_10empty_typeEbEEZZNS1_14partition_implILS5_8ELb0ES3_jPlPS6_PKS6_NS0_5tupleIJS9_S6_EEENSD_IJSA_SA_EEENS0_18inequality_wrapperIZN2at6native12_GLOBAL__N_124unique_dim_cuda_templateIdEESt5tupleIJNSH_6TensorESM_SM_EERKSM_lbbbEUlllE0_EEPmJS6_EEE10hipError_tPvRmT3_T4_T5_T6_T7_T9_mT8_P12ihipStream_tbDpT10_ENKUlT_T0_E_clISt17integral_constantIbLb1EES1C_EEDaS17_S18_EUlS17_E_NS1_11comp_targetILNS1_3genE2ELNS1_11target_archE906ELNS1_3gpuE6ELNS1_3repE0EEENS1_30default_config_static_selectorELNS0_4arch9wavefront6targetE1EEEvT1_.private_seg_size, 0
	.set _ZN7rocprim17ROCPRIM_400000_NS6detail17trampoline_kernelINS0_14default_configENS1_25partition_config_selectorILNS1_17partition_subalgoE8ElNS0_10empty_typeEbEEZZNS1_14partition_implILS5_8ELb0ES3_jPlPS6_PKS6_NS0_5tupleIJS9_S6_EEENSD_IJSA_SA_EEENS0_18inequality_wrapperIZN2at6native12_GLOBAL__N_124unique_dim_cuda_templateIdEESt5tupleIJNSH_6TensorESM_SM_EERKSM_lbbbEUlllE0_EEPmJS6_EEE10hipError_tPvRmT3_T4_T5_T6_T7_T9_mT8_P12ihipStream_tbDpT10_ENKUlT_T0_E_clISt17integral_constantIbLb1EES1C_EEDaS17_S18_EUlS17_E_NS1_11comp_targetILNS1_3genE2ELNS1_11target_archE906ELNS1_3gpuE6ELNS1_3repE0EEENS1_30default_config_static_selectorELNS0_4arch9wavefront6targetE1EEEvT1_.uses_vcc, 0
	.set _ZN7rocprim17ROCPRIM_400000_NS6detail17trampoline_kernelINS0_14default_configENS1_25partition_config_selectorILNS1_17partition_subalgoE8ElNS0_10empty_typeEbEEZZNS1_14partition_implILS5_8ELb0ES3_jPlPS6_PKS6_NS0_5tupleIJS9_S6_EEENSD_IJSA_SA_EEENS0_18inequality_wrapperIZN2at6native12_GLOBAL__N_124unique_dim_cuda_templateIdEESt5tupleIJNSH_6TensorESM_SM_EERKSM_lbbbEUlllE0_EEPmJS6_EEE10hipError_tPvRmT3_T4_T5_T6_T7_T9_mT8_P12ihipStream_tbDpT10_ENKUlT_T0_E_clISt17integral_constantIbLb1EES1C_EEDaS17_S18_EUlS17_E_NS1_11comp_targetILNS1_3genE2ELNS1_11target_archE906ELNS1_3gpuE6ELNS1_3repE0EEENS1_30default_config_static_selectorELNS0_4arch9wavefront6targetE1EEEvT1_.uses_flat_scratch, 0
	.set _ZN7rocprim17ROCPRIM_400000_NS6detail17trampoline_kernelINS0_14default_configENS1_25partition_config_selectorILNS1_17partition_subalgoE8ElNS0_10empty_typeEbEEZZNS1_14partition_implILS5_8ELb0ES3_jPlPS6_PKS6_NS0_5tupleIJS9_S6_EEENSD_IJSA_SA_EEENS0_18inequality_wrapperIZN2at6native12_GLOBAL__N_124unique_dim_cuda_templateIdEESt5tupleIJNSH_6TensorESM_SM_EERKSM_lbbbEUlllE0_EEPmJS6_EEE10hipError_tPvRmT3_T4_T5_T6_T7_T9_mT8_P12ihipStream_tbDpT10_ENKUlT_T0_E_clISt17integral_constantIbLb1EES1C_EEDaS17_S18_EUlS17_E_NS1_11comp_targetILNS1_3genE2ELNS1_11target_archE906ELNS1_3gpuE6ELNS1_3repE0EEENS1_30default_config_static_selectorELNS0_4arch9wavefront6targetE1EEEvT1_.has_dyn_sized_stack, 0
	.set _ZN7rocprim17ROCPRIM_400000_NS6detail17trampoline_kernelINS0_14default_configENS1_25partition_config_selectorILNS1_17partition_subalgoE8ElNS0_10empty_typeEbEEZZNS1_14partition_implILS5_8ELb0ES3_jPlPS6_PKS6_NS0_5tupleIJS9_S6_EEENSD_IJSA_SA_EEENS0_18inequality_wrapperIZN2at6native12_GLOBAL__N_124unique_dim_cuda_templateIdEESt5tupleIJNSH_6TensorESM_SM_EERKSM_lbbbEUlllE0_EEPmJS6_EEE10hipError_tPvRmT3_T4_T5_T6_T7_T9_mT8_P12ihipStream_tbDpT10_ENKUlT_T0_E_clISt17integral_constantIbLb1EES1C_EEDaS17_S18_EUlS17_E_NS1_11comp_targetILNS1_3genE2ELNS1_11target_archE906ELNS1_3gpuE6ELNS1_3repE0EEENS1_30default_config_static_selectorELNS0_4arch9wavefront6targetE1EEEvT1_.has_recursion, 0
	.set _ZN7rocprim17ROCPRIM_400000_NS6detail17trampoline_kernelINS0_14default_configENS1_25partition_config_selectorILNS1_17partition_subalgoE8ElNS0_10empty_typeEbEEZZNS1_14partition_implILS5_8ELb0ES3_jPlPS6_PKS6_NS0_5tupleIJS9_S6_EEENSD_IJSA_SA_EEENS0_18inequality_wrapperIZN2at6native12_GLOBAL__N_124unique_dim_cuda_templateIdEESt5tupleIJNSH_6TensorESM_SM_EERKSM_lbbbEUlllE0_EEPmJS6_EEE10hipError_tPvRmT3_T4_T5_T6_T7_T9_mT8_P12ihipStream_tbDpT10_ENKUlT_T0_E_clISt17integral_constantIbLb1EES1C_EEDaS17_S18_EUlS17_E_NS1_11comp_targetILNS1_3genE2ELNS1_11target_archE906ELNS1_3gpuE6ELNS1_3repE0EEENS1_30default_config_static_selectorELNS0_4arch9wavefront6targetE1EEEvT1_.has_indirect_call, 0
	.section	.AMDGPU.csdata,"",@progbits
; Kernel info:
; codeLenInByte = 0
; TotalNumSgprs: 6
; NumVgprs: 0
; NumAgprs: 0
; TotalNumVgprs: 0
; ScratchSize: 0
; MemoryBound: 0
; FloatMode: 240
; IeeeMode: 1
; LDSByteSize: 0 bytes/workgroup (compile time only)
; SGPRBlocks: 0
; VGPRBlocks: 0
; NumSGPRsForWavesPerEU: 6
; NumVGPRsForWavesPerEU: 1
; AccumOffset: 4
; Occupancy: 8
; WaveLimiterHint : 0
; COMPUTE_PGM_RSRC2:SCRATCH_EN: 0
; COMPUTE_PGM_RSRC2:USER_SGPR: 2
; COMPUTE_PGM_RSRC2:TRAP_HANDLER: 0
; COMPUTE_PGM_RSRC2:TGID_X_EN: 1
; COMPUTE_PGM_RSRC2:TGID_Y_EN: 0
; COMPUTE_PGM_RSRC2:TGID_Z_EN: 0
; COMPUTE_PGM_RSRC2:TIDIG_COMP_CNT: 0
; COMPUTE_PGM_RSRC3_GFX90A:ACCUM_OFFSET: 0
; COMPUTE_PGM_RSRC3_GFX90A:TG_SPLIT: 0
	.section	.text._ZN7rocprim17ROCPRIM_400000_NS6detail17trampoline_kernelINS0_14default_configENS1_25partition_config_selectorILNS1_17partition_subalgoE8ElNS0_10empty_typeEbEEZZNS1_14partition_implILS5_8ELb0ES3_jPlPS6_PKS6_NS0_5tupleIJS9_S6_EEENSD_IJSA_SA_EEENS0_18inequality_wrapperIZN2at6native12_GLOBAL__N_124unique_dim_cuda_templateIdEESt5tupleIJNSH_6TensorESM_SM_EERKSM_lbbbEUlllE0_EEPmJS6_EEE10hipError_tPvRmT3_T4_T5_T6_T7_T9_mT8_P12ihipStream_tbDpT10_ENKUlT_T0_E_clISt17integral_constantIbLb1EES1C_EEDaS17_S18_EUlS17_E_NS1_11comp_targetILNS1_3genE10ELNS1_11target_archE1200ELNS1_3gpuE4ELNS1_3repE0EEENS1_30default_config_static_selectorELNS0_4arch9wavefront6targetE1EEEvT1_,"axG",@progbits,_ZN7rocprim17ROCPRIM_400000_NS6detail17trampoline_kernelINS0_14default_configENS1_25partition_config_selectorILNS1_17partition_subalgoE8ElNS0_10empty_typeEbEEZZNS1_14partition_implILS5_8ELb0ES3_jPlPS6_PKS6_NS0_5tupleIJS9_S6_EEENSD_IJSA_SA_EEENS0_18inequality_wrapperIZN2at6native12_GLOBAL__N_124unique_dim_cuda_templateIdEESt5tupleIJNSH_6TensorESM_SM_EERKSM_lbbbEUlllE0_EEPmJS6_EEE10hipError_tPvRmT3_T4_T5_T6_T7_T9_mT8_P12ihipStream_tbDpT10_ENKUlT_T0_E_clISt17integral_constantIbLb1EES1C_EEDaS17_S18_EUlS17_E_NS1_11comp_targetILNS1_3genE10ELNS1_11target_archE1200ELNS1_3gpuE4ELNS1_3repE0EEENS1_30default_config_static_selectorELNS0_4arch9wavefront6targetE1EEEvT1_,comdat
	.globl	_ZN7rocprim17ROCPRIM_400000_NS6detail17trampoline_kernelINS0_14default_configENS1_25partition_config_selectorILNS1_17partition_subalgoE8ElNS0_10empty_typeEbEEZZNS1_14partition_implILS5_8ELb0ES3_jPlPS6_PKS6_NS0_5tupleIJS9_S6_EEENSD_IJSA_SA_EEENS0_18inequality_wrapperIZN2at6native12_GLOBAL__N_124unique_dim_cuda_templateIdEESt5tupleIJNSH_6TensorESM_SM_EERKSM_lbbbEUlllE0_EEPmJS6_EEE10hipError_tPvRmT3_T4_T5_T6_T7_T9_mT8_P12ihipStream_tbDpT10_ENKUlT_T0_E_clISt17integral_constantIbLb1EES1C_EEDaS17_S18_EUlS17_E_NS1_11comp_targetILNS1_3genE10ELNS1_11target_archE1200ELNS1_3gpuE4ELNS1_3repE0EEENS1_30default_config_static_selectorELNS0_4arch9wavefront6targetE1EEEvT1_ ; -- Begin function _ZN7rocprim17ROCPRIM_400000_NS6detail17trampoline_kernelINS0_14default_configENS1_25partition_config_selectorILNS1_17partition_subalgoE8ElNS0_10empty_typeEbEEZZNS1_14partition_implILS5_8ELb0ES3_jPlPS6_PKS6_NS0_5tupleIJS9_S6_EEENSD_IJSA_SA_EEENS0_18inequality_wrapperIZN2at6native12_GLOBAL__N_124unique_dim_cuda_templateIdEESt5tupleIJNSH_6TensorESM_SM_EERKSM_lbbbEUlllE0_EEPmJS6_EEE10hipError_tPvRmT3_T4_T5_T6_T7_T9_mT8_P12ihipStream_tbDpT10_ENKUlT_T0_E_clISt17integral_constantIbLb1EES1C_EEDaS17_S18_EUlS17_E_NS1_11comp_targetILNS1_3genE10ELNS1_11target_archE1200ELNS1_3gpuE4ELNS1_3repE0EEENS1_30default_config_static_selectorELNS0_4arch9wavefront6targetE1EEEvT1_
	.p2align	8
	.type	_ZN7rocprim17ROCPRIM_400000_NS6detail17trampoline_kernelINS0_14default_configENS1_25partition_config_selectorILNS1_17partition_subalgoE8ElNS0_10empty_typeEbEEZZNS1_14partition_implILS5_8ELb0ES3_jPlPS6_PKS6_NS0_5tupleIJS9_S6_EEENSD_IJSA_SA_EEENS0_18inequality_wrapperIZN2at6native12_GLOBAL__N_124unique_dim_cuda_templateIdEESt5tupleIJNSH_6TensorESM_SM_EERKSM_lbbbEUlllE0_EEPmJS6_EEE10hipError_tPvRmT3_T4_T5_T6_T7_T9_mT8_P12ihipStream_tbDpT10_ENKUlT_T0_E_clISt17integral_constantIbLb1EES1C_EEDaS17_S18_EUlS17_E_NS1_11comp_targetILNS1_3genE10ELNS1_11target_archE1200ELNS1_3gpuE4ELNS1_3repE0EEENS1_30default_config_static_selectorELNS0_4arch9wavefront6targetE1EEEvT1_,@function
_ZN7rocprim17ROCPRIM_400000_NS6detail17trampoline_kernelINS0_14default_configENS1_25partition_config_selectorILNS1_17partition_subalgoE8ElNS0_10empty_typeEbEEZZNS1_14partition_implILS5_8ELb0ES3_jPlPS6_PKS6_NS0_5tupleIJS9_S6_EEENSD_IJSA_SA_EEENS0_18inequality_wrapperIZN2at6native12_GLOBAL__N_124unique_dim_cuda_templateIdEESt5tupleIJNSH_6TensorESM_SM_EERKSM_lbbbEUlllE0_EEPmJS6_EEE10hipError_tPvRmT3_T4_T5_T6_T7_T9_mT8_P12ihipStream_tbDpT10_ENKUlT_T0_E_clISt17integral_constantIbLb1EES1C_EEDaS17_S18_EUlS17_E_NS1_11comp_targetILNS1_3genE10ELNS1_11target_archE1200ELNS1_3gpuE4ELNS1_3repE0EEENS1_30default_config_static_selectorELNS0_4arch9wavefront6targetE1EEEvT1_: ; @_ZN7rocprim17ROCPRIM_400000_NS6detail17trampoline_kernelINS0_14default_configENS1_25partition_config_selectorILNS1_17partition_subalgoE8ElNS0_10empty_typeEbEEZZNS1_14partition_implILS5_8ELb0ES3_jPlPS6_PKS6_NS0_5tupleIJS9_S6_EEENSD_IJSA_SA_EEENS0_18inequality_wrapperIZN2at6native12_GLOBAL__N_124unique_dim_cuda_templateIdEESt5tupleIJNSH_6TensorESM_SM_EERKSM_lbbbEUlllE0_EEPmJS6_EEE10hipError_tPvRmT3_T4_T5_T6_T7_T9_mT8_P12ihipStream_tbDpT10_ENKUlT_T0_E_clISt17integral_constantIbLb1EES1C_EEDaS17_S18_EUlS17_E_NS1_11comp_targetILNS1_3genE10ELNS1_11target_archE1200ELNS1_3gpuE4ELNS1_3repE0EEENS1_30default_config_static_selectorELNS0_4arch9wavefront6targetE1EEEvT1_
; %bb.0:
	.section	.rodata,"a",@progbits
	.p2align	6, 0x0
	.amdhsa_kernel _ZN7rocprim17ROCPRIM_400000_NS6detail17trampoline_kernelINS0_14default_configENS1_25partition_config_selectorILNS1_17partition_subalgoE8ElNS0_10empty_typeEbEEZZNS1_14partition_implILS5_8ELb0ES3_jPlPS6_PKS6_NS0_5tupleIJS9_S6_EEENSD_IJSA_SA_EEENS0_18inequality_wrapperIZN2at6native12_GLOBAL__N_124unique_dim_cuda_templateIdEESt5tupleIJNSH_6TensorESM_SM_EERKSM_lbbbEUlllE0_EEPmJS6_EEE10hipError_tPvRmT3_T4_T5_T6_T7_T9_mT8_P12ihipStream_tbDpT10_ENKUlT_T0_E_clISt17integral_constantIbLb1EES1C_EEDaS17_S18_EUlS17_E_NS1_11comp_targetILNS1_3genE10ELNS1_11target_archE1200ELNS1_3gpuE4ELNS1_3repE0EEENS1_30default_config_static_selectorELNS0_4arch9wavefront6targetE1EEEvT1_
		.amdhsa_group_segment_fixed_size 0
		.amdhsa_private_segment_fixed_size 0
		.amdhsa_kernarg_size 136
		.amdhsa_user_sgpr_count 2
		.amdhsa_user_sgpr_dispatch_ptr 0
		.amdhsa_user_sgpr_queue_ptr 0
		.amdhsa_user_sgpr_kernarg_segment_ptr 1
		.amdhsa_user_sgpr_dispatch_id 0
		.amdhsa_user_sgpr_kernarg_preload_length 0
		.amdhsa_user_sgpr_kernarg_preload_offset 0
		.amdhsa_user_sgpr_private_segment_size 0
		.amdhsa_uses_dynamic_stack 0
		.amdhsa_enable_private_segment 0
		.amdhsa_system_sgpr_workgroup_id_x 1
		.amdhsa_system_sgpr_workgroup_id_y 0
		.amdhsa_system_sgpr_workgroup_id_z 0
		.amdhsa_system_sgpr_workgroup_info 0
		.amdhsa_system_vgpr_workitem_id 0
		.amdhsa_next_free_vgpr 1
		.amdhsa_next_free_sgpr 0
		.amdhsa_accum_offset 4
		.amdhsa_reserve_vcc 0
		.amdhsa_float_round_mode_32 0
		.amdhsa_float_round_mode_16_64 0
		.amdhsa_float_denorm_mode_32 3
		.amdhsa_float_denorm_mode_16_64 3
		.amdhsa_dx10_clamp 1
		.amdhsa_ieee_mode 1
		.amdhsa_fp16_overflow 0
		.amdhsa_tg_split 0
		.amdhsa_exception_fp_ieee_invalid_op 0
		.amdhsa_exception_fp_denorm_src 0
		.amdhsa_exception_fp_ieee_div_zero 0
		.amdhsa_exception_fp_ieee_overflow 0
		.amdhsa_exception_fp_ieee_underflow 0
		.amdhsa_exception_fp_ieee_inexact 0
		.amdhsa_exception_int_div_zero 0
	.end_amdhsa_kernel
	.section	.text._ZN7rocprim17ROCPRIM_400000_NS6detail17trampoline_kernelINS0_14default_configENS1_25partition_config_selectorILNS1_17partition_subalgoE8ElNS0_10empty_typeEbEEZZNS1_14partition_implILS5_8ELb0ES3_jPlPS6_PKS6_NS0_5tupleIJS9_S6_EEENSD_IJSA_SA_EEENS0_18inequality_wrapperIZN2at6native12_GLOBAL__N_124unique_dim_cuda_templateIdEESt5tupleIJNSH_6TensorESM_SM_EERKSM_lbbbEUlllE0_EEPmJS6_EEE10hipError_tPvRmT3_T4_T5_T6_T7_T9_mT8_P12ihipStream_tbDpT10_ENKUlT_T0_E_clISt17integral_constantIbLb1EES1C_EEDaS17_S18_EUlS17_E_NS1_11comp_targetILNS1_3genE10ELNS1_11target_archE1200ELNS1_3gpuE4ELNS1_3repE0EEENS1_30default_config_static_selectorELNS0_4arch9wavefront6targetE1EEEvT1_,"axG",@progbits,_ZN7rocprim17ROCPRIM_400000_NS6detail17trampoline_kernelINS0_14default_configENS1_25partition_config_selectorILNS1_17partition_subalgoE8ElNS0_10empty_typeEbEEZZNS1_14partition_implILS5_8ELb0ES3_jPlPS6_PKS6_NS0_5tupleIJS9_S6_EEENSD_IJSA_SA_EEENS0_18inequality_wrapperIZN2at6native12_GLOBAL__N_124unique_dim_cuda_templateIdEESt5tupleIJNSH_6TensorESM_SM_EERKSM_lbbbEUlllE0_EEPmJS6_EEE10hipError_tPvRmT3_T4_T5_T6_T7_T9_mT8_P12ihipStream_tbDpT10_ENKUlT_T0_E_clISt17integral_constantIbLb1EES1C_EEDaS17_S18_EUlS17_E_NS1_11comp_targetILNS1_3genE10ELNS1_11target_archE1200ELNS1_3gpuE4ELNS1_3repE0EEENS1_30default_config_static_selectorELNS0_4arch9wavefront6targetE1EEEvT1_,comdat
.Lfunc_end820:
	.size	_ZN7rocprim17ROCPRIM_400000_NS6detail17trampoline_kernelINS0_14default_configENS1_25partition_config_selectorILNS1_17partition_subalgoE8ElNS0_10empty_typeEbEEZZNS1_14partition_implILS5_8ELb0ES3_jPlPS6_PKS6_NS0_5tupleIJS9_S6_EEENSD_IJSA_SA_EEENS0_18inequality_wrapperIZN2at6native12_GLOBAL__N_124unique_dim_cuda_templateIdEESt5tupleIJNSH_6TensorESM_SM_EERKSM_lbbbEUlllE0_EEPmJS6_EEE10hipError_tPvRmT3_T4_T5_T6_T7_T9_mT8_P12ihipStream_tbDpT10_ENKUlT_T0_E_clISt17integral_constantIbLb1EES1C_EEDaS17_S18_EUlS17_E_NS1_11comp_targetILNS1_3genE10ELNS1_11target_archE1200ELNS1_3gpuE4ELNS1_3repE0EEENS1_30default_config_static_selectorELNS0_4arch9wavefront6targetE1EEEvT1_, .Lfunc_end820-_ZN7rocprim17ROCPRIM_400000_NS6detail17trampoline_kernelINS0_14default_configENS1_25partition_config_selectorILNS1_17partition_subalgoE8ElNS0_10empty_typeEbEEZZNS1_14partition_implILS5_8ELb0ES3_jPlPS6_PKS6_NS0_5tupleIJS9_S6_EEENSD_IJSA_SA_EEENS0_18inequality_wrapperIZN2at6native12_GLOBAL__N_124unique_dim_cuda_templateIdEESt5tupleIJNSH_6TensorESM_SM_EERKSM_lbbbEUlllE0_EEPmJS6_EEE10hipError_tPvRmT3_T4_T5_T6_T7_T9_mT8_P12ihipStream_tbDpT10_ENKUlT_T0_E_clISt17integral_constantIbLb1EES1C_EEDaS17_S18_EUlS17_E_NS1_11comp_targetILNS1_3genE10ELNS1_11target_archE1200ELNS1_3gpuE4ELNS1_3repE0EEENS1_30default_config_static_selectorELNS0_4arch9wavefront6targetE1EEEvT1_
                                        ; -- End function
	.set _ZN7rocprim17ROCPRIM_400000_NS6detail17trampoline_kernelINS0_14default_configENS1_25partition_config_selectorILNS1_17partition_subalgoE8ElNS0_10empty_typeEbEEZZNS1_14partition_implILS5_8ELb0ES3_jPlPS6_PKS6_NS0_5tupleIJS9_S6_EEENSD_IJSA_SA_EEENS0_18inequality_wrapperIZN2at6native12_GLOBAL__N_124unique_dim_cuda_templateIdEESt5tupleIJNSH_6TensorESM_SM_EERKSM_lbbbEUlllE0_EEPmJS6_EEE10hipError_tPvRmT3_T4_T5_T6_T7_T9_mT8_P12ihipStream_tbDpT10_ENKUlT_T0_E_clISt17integral_constantIbLb1EES1C_EEDaS17_S18_EUlS17_E_NS1_11comp_targetILNS1_3genE10ELNS1_11target_archE1200ELNS1_3gpuE4ELNS1_3repE0EEENS1_30default_config_static_selectorELNS0_4arch9wavefront6targetE1EEEvT1_.num_vgpr, 0
	.set _ZN7rocprim17ROCPRIM_400000_NS6detail17trampoline_kernelINS0_14default_configENS1_25partition_config_selectorILNS1_17partition_subalgoE8ElNS0_10empty_typeEbEEZZNS1_14partition_implILS5_8ELb0ES3_jPlPS6_PKS6_NS0_5tupleIJS9_S6_EEENSD_IJSA_SA_EEENS0_18inequality_wrapperIZN2at6native12_GLOBAL__N_124unique_dim_cuda_templateIdEESt5tupleIJNSH_6TensorESM_SM_EERKSM_lbbbEUlllE0_EEPmJS6_EEE10hipError_tPvRmT3_T4_T5_T6_T7_T9_mT8_P12ihipStream_tbDpT10_ENKUlT_T0_E_clISt17integral_constantIbLb1EES1C_EEDaS17_S18_EUlS17_E_NS1_11comp_targetILNS1_3genE10ELNS1_11target_archE1200ELNS1_3gpuE4ELNS1_3repE0EEENS1_30default_config_static_selectorELNS0_4arch9wavefront6targetE1EEEvT1_.num_agpr, 0
	.set _ZN7rocprim17ROCPRIM_400000_NS6detail17trampoline_kernelINS0_14default_configENS1_25partition_config_selectorILNS1_17partition_subalgoE8ElNS0_10empty_typeEbEEZZNS1_14partition_implILS5_8ELb0ES3_jPlPS6_PKS6_NS0_5tupleIJS9_S6_EEENSD_IJSA_SA_EEENS0_18inequality_wrapperIZN2at6native12_GLOBAL__N_124unique_dim_cuda_templateIdEESt5tupleIJNSH_6TensorESM_SM_EERKSM_lbbbEUlllE0_EEPmJS6_EEE10hipError_tPvRmT3_T4_T5_T6_T7_T9_mT8_P12ihipStream_tbDpT10_ENKUlT_T0_E_clISt17integral_constantIbLb1EES1C_EEDaS17_S18_EUlS17_E_NS1_11comp_targetILNS1_3genE10ELNS1_11target_archE1200ELNS1_3gpuE4ELNS1_3repE0EEENS1_30default_config_static_selectorELNS0_4arch9wavefront6targetE1EEEvT1_.numbered_sgpr, 0
	.set _ZN7rocprim17ROCPRIM_400000_NS6detail17trampoline_kernelINS0_14default_configENS1_25partition_config_selectorILNS1_17partition_subalgoE8ElNS0_10empty_typeEbEEZZNS1_14partition_implILS5_8ELb0ES3_jPlPS6_PKS6_NS0_5tupleIJS9_S6_EEENSD_IJSA_SA_EEENS0_18inequality_wrapperIZN2at6native12_GLOBAL__N_124unique_dim_cuda_templateIdEESt5tupleIJNSH_6TensorESM_SM_EERKSM_lbbbEUlllE0_EEPmJS6_EEE10hipError_tPvRmT3_T4_T5_T6_T7_T9_mT8_P12ihipStream_tbDpT10_ENKUlT_T0_E_clISt17integral_constantIbLb1EES1C_EEDaS17_S18_EUlS17_E_NS1_11comp_targetILNS1_3genE10ELNS1_11target_archE1200ELNS1_3gpuE4ELNS1_3repE0EEENS1_30default_config_static_selectorELNS0_4arch9wavefront6targetE1EEEvT1_.num_named_barrier, 0
	.set _ZN7rocprim17ROCPRIM_400000_NS6detail17trampoline_kernelINS0_14default_configENS1_25partition_config_selectorILNS1_17partition_subalgoE8ElNS0_10empty_typeEbEEZZNS1_14partition_implILS5_8ELb0ES3_jPlPS6_PKS6_NS0_5tupleIJS9_S6_EEENSD_IJSA_SA_EEENS0_18inequality_wrapperIZN2at6native12_GLOBAL__N_124unique_dim_cuda_templateIdEESt5tupleIJNSH_6TensorESM_SM_EERKSM_lbbbEUlllE0_EEPmJS6_EEE10hipError_tPvRmT3_T4_T5_T6_T7_T9_mT8_P12ihipStream_tbDpT10_ENKUlT_T0_E_clISt17integral_constantIbLb1EES1C_EEDaS17_S18_EUlS17_E_NS1_11comp_targetILNS1_3genE10ELNS1_11target_archE1200ELNS1_3gpuE4ELNS1_3repE0EEENS1_30default_config_static_selectorELNS0_4arch9wavefront6targetE1EEEvT1_.private_seg_size, 0
	.set _ZN7rocprim17ROCPRIM_400000_NS6detail17trampoline_kernelINS0_14default_configENS1_25partition_config_selectorILNS1_17partition_subalgoE8ElNS0_10empty_typeEbEEZZNS1_14partition_implILS5_8ELb0ES3_jPlPS6_PKS6_NS0_5tupleIJS9_S6_EEENSD_IJSA_SA_EEENS0_18inequality_wrapperIZN2at6native12_GLOBAL__N_124unique_dim_cuda_templateIdEESt5tupleIJNSH_6TensorESM_SM_EERKSM_lbbbEUlllE0_EEPmJS6_EEE10hipError_tPvRmT3_T4_T5_T6_T7_T9_mT8_P12ihipStream_tbDpT10_ENKUlT_T0_E_clISt17integral_constantIbLb1EES1C_EEDaS17_S18_EUlS17_E_NS1_11comp_targetILNS1_3genE10ELNS1_11target_archE1200ELNS1_3gpuE4ELNS1_3repE0EEENS1_30default_config_static_selectorELNS0_4arch9wavefront6targetE1EEEvT1_.uses_vcc, 0
	.set _ZN7rocprim17ROCPRIM_400000_NS6detail17trampoline_kernelINS0_14default_configENS1_25partition_config_selectorILNS1_17partition_subalgoE8ElNS0_10empty_typeEbEEZZNS1_14partition_implILS5_8ELb0ES3_jPlPS6_PKS6_NS0_5tupleIJS9_S6_EEENSD_IJSA_SA_EEENS0_18inequality_wrapperIZN2at6native12_GLOBAL__N_124unique_dim_cuda_templateIdEESt5tupleIJNSH_6TensorESM_SM_EERKSM_lbbbEUlllE0_EEPmJS6_EEE10hipError_tPvRmT3_T4_T5_T6_T7_T9_mT8_P12ihipStream_tbDpT10_ENKUlT_T0_E_clISt17integral_constantIbLb1EES1C_EEDaS17_S18_EUlS17_E_NS1_11comp_targetILNS1_3genE10ELNS1_11target_archE1200ELNS1_3gpuE4ELNS1_3repE0EEENS1_30default_config_static_selectorELNS0_4arch9wavefront6targetE1EEEvT1_.uses_flat_scratch, 0
	.set _ZN7rocprim17ROCPRIM_400000_NS6detail17trampoline_kernelINS0_14default_configENS1_25partition_config_selectorILNS1_17partition_subalgoE8ElNS0_10empty_typeEbEEZZNS1_14partition_implILS5_8ELb0ES3_jPlPS6_PKS6_NS0_5tupleIJS9_S6_EEENSD_IJSA_SA_EEENS0_18inequality_wrapperIZN2at6native12_GLOBAL__N_124unique_dim_cuda_templateIdEESt5tupleIJNSH_6TensorESM_SM_EERKSM_lbbbEUlllE0_EEPmJS6_EEE10hipError_tPvRmT3_T4_T5_T6_T7_T9_mT8_P12ihipStream_tbDpT10_ENKUlT_T0_E_clISt17integral_constantIbLb1EES1C_EEDaS17_S18_EUlS17_E_NS1_11comp_targetILNS1_3genE10ELNS1_11target_archE1200ELNS1_3gpuE4ELNS1_3repE0EEENS1_30default_config_static_selectorELNS0_4arch9wavefront6targetE1EEEvT1_.has_dyn_sized_stack, 0
	.set _ZN7rocprim17ROCPRIM_400000_NS6detail17trampoline_kernelINS0_14default_configENS1_25partition_config_selectorILNS1_17partition_subalgoE8ElNS0_10empty_typeEbEEZZNS1_14partition_implILS5_8ELb0ES3_jPlPS6_PKS6_NS0_5tupleIJS9_S6_EEENSD_IJSA_SA_EEENS0_18inequality_wrapperIZN2at6native12_GLOBAL__N_124unique_dim_cuda_templateIdEESt5tupleIJNSH_6TensorESM_SM_EERKSM_lbbbEUlllE0_EEPmJS6_EEE10hipError_tPvRmT3_T4_T5_T6_T7_T9_mT8_P12ihipStream_tbDpT10_ENKUlT_T0_E_clISt17integral_constantIbLb1EES1C_EEDaS17_S18_EUlS17_E_NS1_11comp_targetILNS1_3genE10ELNS1_11target_archE1200ELNS1_3gpuE4ELNS1_3repE0EEENS1_30default_config_static_selectorELNS0_4arch9wavefront6targetE1EEEvT1_.has_recursion, 0
	.set _ZN7rocprim17ROCPRIM_400000_NS6detail17trampoline_kernelINS0_14default_configENS1_25partition_config_selectorILNS1_17partition_subalgoE8ElNS0_10empty_typeEbEEZZNS1_14partition_implILS5_8ELb0ES3_jPlPS6_PKS6_NS0_5tupleIJS9_S6_EEENSD_IJSA_SA_EEENS0_18inequality_wrapperIZN2at6native12_GLOBAL__N_124unique_dim_cuda_templateIdEESt5tupleIJNSH_6TensorESM_SM_EERKSM_lbbbEUlllE0_EEPmJS6_EEE10hipError_tPvRmT3_T4_T5_T6_T7_T9_mT8_P12ihipStream_tbDpT10_ENKUlT_T0_E_clISt17integral_constantIbLb1EES1C_EEDaS17_S18_EUlS17_E_NS1_11comp_targetILNS1_3genE10ELNS1_11target_archE1200ELNS1_3gpuE4ELNS1_3repE0EEENS1_30default_config_static_selectorELNS0_4arch9wavefront6targetE1EEEvT1_.has_indirect_call, 0
	.section	.AMDGPU.csdata,"",@progbits
; Kernel info:
; codeLenInByte = 0
; TotalNumSgprs: 6
; NumVgprs: 0
; NumAgprs: 0
; TotalNumVgprs: 0
; ScratchSize: 0
; MemoryBound: 0
; FloatMode: 240
; IeeeMode: 1
; LDSByteSize: 0 bytes/workgroup (compile time only)
; SGPRBlocks: 0
; VGPRBlocks: 0
; NumSGPRsForWavesPerEU: 6
; NumVGPRsForWavesPerEU: 1
; AccumOffset: 4
; Occupancy: 8
; WaveLimiterHint : 0
; COMPUTE_PGM_RSRC2:SCRATCH_EN: 0
; COMPUTE_PGM_RSRC2:USER_SGPR: 2
; COMPUTE_PGM_RSRC2:TRAP_HANDLER: 0
; COMPUTE_PGM_RSRC2:TGID_X_EN: 1
; COMPUTE_PGM_RSRC2:TGID_Y_EN: 0
; COMPUTE_PGM_RSRC2:TGID_Z_EN: 0
; COMPUTE_PGM_RSRC2:TIDIG_COMP_CNT: 0
; COMPUTE_PGM_RSRC3_GFX90A:ACCUM_OFFSET: 0
; COMPUTE_PGM_RSRC3_GFX90A:TG_SPLIT: 0
	.section	.text._ZN7rocprim17ROCPRIM_400000_NS6detail17trampoline_kernelINS0_14default_configENS1_25partition_config_selectorILNS1_17partition_subalgoE8ElNS0_10empty_typeEbEEZZNS1_14partition_implILS5_8ELb0ES3_jPlPS6_PKS6_NS0_5tupleIJS9_S6_EEENSD_IJSA_SA_EEENS0_18inequality_wrapperIZN2at6native12_GLOBAL__N_124unique_dim_cuda_templateIdEESt5tupleIJNSH_6TensorESM_SM_EERKSM_lbbbEUlllE0_EEPmJS6_EEE10hipError_tPvRmT3_T4_T5_T6_T7_T9_mT8_P12ihipStream_tbDpT10_ENKUlT_T0_E_clISt17integral_constantIbLb1EES1C_EEDaS17_S18_EUlS17_E_NS1_11comp_targetILNS1_3genE9ELNS1_11target_archE1100ELNS1_3gpuE3ELNS1_3repE0EEENS1_30default_config_static_selectorELNS0_4arch9wavefront6targetE1EEEvT1_,"axG",@progbits,_ZN7rocprim17ROCPRIM_400000_NS6detail17trampoline_kernelINS0_14default_configENS1_25partition_config_selectorILNS1_17partition_subalgoE8ElNS0_10empty_typeEbEEZZNS1_14partition_implILS5_8ELb0ES3_jPlPS6_PKS6_NS0_5tupleIJS9_S6_EEENSD_IJSA_SA_EEENS0_18inequality_wrapperIZN2at6native12_GLOBAL__N_124unique_dim_cuda_templateIdEESt5tupleIJNSH_6TensorESM_SM_EERKSM_lbbbEUlllE0_EEPmJS6_EEE10hipError_tPvRmT3_T4_T5_T6_T7_T9_mT8_P12ihipStream_tbDpT10_ENKUlT_T0_E_clISt17integral_constantIbLb1EES1C_EEDaS17_S18_EUlS17_E_NS1_11comp_targetILNS1_3genE9ELNS1_11target_archE1100ELNS1_3gpuE3ELNS1_3repE0EEENS1_30default_config_static_selectorELNS0_4arch9wavefront6targetE1EEEvT1_,comdat
	.globl	_ZN7rocprim17ROCPRIM_400000_NS6detail17trampoline_kernelINS0_14default_configENS1_25partition_config_selectorILNS1_17partition_subalgoE8ElNS0_10empty_typeEbEEZZNS1_14partition_implILS5_8ELb0ES3_jPlPS6_PKS6_NS0_5tupleIJS9_S6_EEENSD_IJSA_SA_EEENS0_18inequality_wrapperIZN2at6native12_GLOBAL__N_124unique_dim_cuda_templateIdEESt5tupleIJNSH_6TensorESM_SM_EERKSM_lbbbEUlllE0_EEPmJS6_EEE10hipError_tPvRmT3_T4_T5_T6_T7_T9_mT8_P12ihipStream_tbDpT10_ENKUlT_T0_E_clISt17integral_constantIbLb1EES1C_EEDaS17_S18_EUlS17_E_NS1_11comp_targetILNS1_3genE9ELNS1_11target_archE1100ELNS1_3gpuE3ELNS1_3repE0EEENS1_30default_config_static_selectorELNS0_4arch9wavefront6targetE1EEEvT1_ ; -- Begin function _ZN7rocprim17ROCPRIM_400000_NS6detail17trampoline_kernelINS0_14default_configENS1_25partition_config_selectorILNS1_17partition_subalgoE8ElNS0_10empty_typeEbEEZZNS1_14partition_implILS5_8ELb0ES3_jPlPS6_PKS6_NS0_5tupleIJS9_S6_EEENSD_IJSA_SA_EEENS0_18inequality_wrapperIZN2at6native12_GLOBAL__N_124unique_dim_cuda_templateIdEESt5tupleIJNSH_6TensorESM_SM_EERKSM_lbbbEUlllE0_EEPmJS6_EEE10hipError_tPvRmT3_T4_T5_T6_T7_T9_mT8_P12ihipStream_tbDpT10_ENKUlT_T0_E_clISt17integral_constantIbLb1EES1C_EEDaS17_S18_EUlS17_E_NS1_11comp_targetILNS1_3genE9ELNS1_11target_archE1100ELNS1_3gpuE3ELNS1_3repE0EEENS1_30default_config_static_selectorELNS0_4arch9wavefront6targetE1EEEvT1_
	.p2align	8
	.type	_ZN7rocprim17ROCPRIM_400000_NS6detail17trampoline_kernelINS0_14default_configENS1_25partition_config_selectorILNS1_17partition_subalgoE8ElNS0_10empty_typeEbEEZZNS1_14partition_implILS5_8ELb0ES3_jPlPS6_PKS6_NS0_5tupleIJS9_S6_EEENSD_IJSA_SA_EEENS0_18inequality_wrapperIZN2at6native12_GLOBAL__N_124unique_dim_cuda_templateIdEESt5tupleIJNSH_6TensorESM_SM_EERKSM_lbbbEUlllE0_EEPmJS6_EEE10hipError_tPvRmT3_T4_T5_T6_T7_T9_mT8_P12ihipStream_tbDpT10_ENKUlT_T0_E_clISt17integral_constantIbLb1EES1C_EEDaS17_S18_EUlS17_E_NS1_11comp_targetILNS1_3genE9ELNS1_11target_archE1100ELNS1_3gpuE3ELNS1_3repE0EEENS1_30default_config_static_selectorELNS0_4arch9wavefront6targetE1EEEvT1_,@function
_ZN7rocprim17ROCPRIM_400000_NS6detail17trampoline_kernelINS0_14default_configENS1_25partition_config_selectorILNS1_17partition_subalgoE8ElNS0_10empty_typeEbEEZZNS1_14partition_implILS5_8ELb0ES3_jPlPS6_PKS6_NS0_5tupleIJS9_S6_EEENSD_IJSA_SA_EEENS0_18inequality_wrapperIZN2at6native12_GLOBAL__N_124unique_dim_cuda_templateIdEESt5tupleIJNSH_6TensorESM_SM_EERKSM_lbbbEUlllE0_EEPmJS6_EEE10hipError_tPvRmT3_T4_T5_T6_T7_T9_mT8_P12ihipStream_tbDpT10_ENKUlT_T0_E_clISt17integral_constantIbLb1EES1C_EEDaS17_S18_EUlS17_E_NS1_11comp_targetILNS1_3genE9ELNS1_11target_archE1100ELNS1_3gpuE3ELNS1_3repE0EEENS1_30default_config_static_selectorELNS0_4arch9wavefront6targetE1EEEvT1_: ; @_ZN7rocprim17ROCPRIM_400000_NS6detail17trampoline_kernelINS0_14default_configENS1_25partition_config_selectorILNS1_17partition_subalgoE8ElNS0_10empty_typeEbEEZZNS1_14partition_implILS5_8ELb0ES3_jPlPS6_PKS6_NS0_5tupleIJS9_S6_EEENSD_IJSA_SA_EEENS0_18inequality_wrapperIZN2at6native12_GLOBAL__N_124unique_dim_cuda_templateIdEESt5tupleIJNSH_6TensorESM_SM_EERKSM_lbbbEUlllE0_EEPmJS6_EEE10hipError_tPvRmT3_T4_T5_T6_T7_T9_mT8_P12ihipStream_tbDpT10_ENKUlT_T0_E_clISt17integral_constantIbLb1EES1C_EEDaS17_S18_EUlS17_E_NS1_11comp_targetILNS1_3genE9ELNS1_11target_archE1100ELNS1_3gpuE3ELNS1_3repE0EEENS1_30default_config_static_selectorELNS0_4arch9wavefront6targetE1EEEvT1_
; %bb.0:
	.section	.rodata,"a",@progbits
	.p2align	6, 0x0
	.amdhsa_kernel _ZN7rocprim17ROCPRIM_400000_NS6detail17trampoline_kernelINS0_14default_configENS1_25partition_config_selectorILNS1_17partition_subalgoE8ElNS0_10empty_typeEbEEZZNS1_14partition_implILS5_8ELb0ES3_jPlPS6_PKS6_NS0_5tupleIJS9_S6_EEENSD_IJSA_SA_EEENS0_18inequality_wrapperIZN2at6native12_GLOBAL__N_124unique_dim_cuda_templateIdEESt5tupleIJNSH_6TensorESM_SM_EERKSM_lbbbEUlllE0_EEPmJS6_EEE10hipError_tPvRmT3_T4_T5_T6_T7_T9_mT8_P12ihipStream_tbDpT10_ENKUlT_T0_E_clISt17integral_constantIbLb1EES1C_EEDaS17_S18_EUlS17_E_NS1_11comp_targetILNS1_3genE9ELNS1_11target_archE1100ELNS1_3gpuE3ELNS1_3repE0EEENS1_30default_config_static_selectorELNS0_4arch9wavefront6targetE1EEEvT1_
		.amdhsa_group_segment_fixed_size 0
		.amdhsa_private_segment_fixed_size 0
		.amdhsa_kernarg_size 136
		.amdhsa_user_sgpr_count 2
		.amdhsa_user_sgpr_dispatch_ptr 0
		.amdhsa_user_sgpr_queue_ptr 0
		.amdhsa_user_sgpr_kernarg_segment_ptr 1
		.amdhsa_user_sgpr_dispatch_id 0
		.amdhsa_user_sgpr_kernarg_preload_length 0
		.amdhsa_user_sgpr_kernarg_preload_offset 0
		.amdhsa_user_sgpr_private_segment_size 0
		.amdhsa_uses_dynamic_stack 0
		.amdhsa_enable_private_segment 0
		.amdhsa_system_sgpr_workgroup_id_x 1
		.amdhsa_system_sgpr_workgroup_id_y 0
		.amdhsa_system_sgpr_workgroup_id_z 0
		.amdhsa_system_sgpr_workgroup_info 0
		.amdhsa_system_vgpr_workitem_id 0
		.amdhsa_next_free_vgpr 1
		.amdhsa_next_free_sgpr 0
		.amdhsa_accum_offset 4
		.amdhsa_reserve_vcc 0
		.amdhsa_float_round_mode_32 0
		.amdhsa_float_round_mode_16_64 0
		.amdhsa_float_denorm_mode_32 3
		.amdhsa_float_denorm_mode_16_64 3
		.amdhsa_dx10_clamp 1
		.amdhsa_ieee_mode 1
		.amdhsa_fp16_overflow 0
		.amdhsa_tg_split 0
		.amdhsa_exception_fp_ieee_invalid_op 0
		.amdhsa_exception_fp_denorm_src 0
		.amdhsa_exception_fp_ieee_div_zero 0
		.amdhsa_exception_fp_ieee_overflow 0
		.amdhsa_exception_fp_ieee_underflow 0
		.amdhsa_exception_fp_ieee_inexact 0
		.amdhsa_exception_int_div_zero 0
	.end_amdhsa_kernel
	.section	.text._ZN7rocprim17ROCPRIM_400000_NS6detail17trampoline_kernelINS0_14default_configENS1_25partition_config_selectorILNS1_17partition_subalgoE8ElNS0_10empty_typeEbEEZZNS1_14partition_implILS5_8ELb0ES3_jPlPS6_PKS6_NS0_5tupleIJS9_S6_EEENSD_IJSA_SA_EEENS0_18inequality_wrapperIZN2at6native12_GLOBAL__N_124unique_dim_cuda_templateIdEESt5tupleIJNSH_6TensorESM_SM_EERKSM_lbbbEUlllE0_EEPmJS6_EEE10hipError_tPvRmT3_T4_T5_T6_T7_T9_mT8_P12ihipStream_tbDpT10_ENKUlT_T0_E_clISt17integral_constantIbLb1EES1C_EEDaS17_S18_EUlS17_E_NS1_11comp_targetILNS1_3genE9ELNS1_11target_archE1100ELNS1_3gpuE3ELNS1_3repE0EEENS1_30default_config_static_selectorELNS0_4arch9wavefront6targetE1EEEvT1_,"axG",@progbits,_ZN7rocprim17ROCPRIM_400000_NS6detail17trampoline_kernelINS0_14default_configENS1_25partition_config_selectorILNS1_17partition_subalgoE8ElNS0_10empty_typeEbEEZZNS1_14partition_implILS5_8ELb0ES3_jPlPS6_PKS6_NS0_5tupleIJS9_S6_EEENSD_IJSA_SA_EEENS0_18inequality_wrapperIZN2at6native12_GLOBAL__N_124unique_dim_cuda_templateIdEESt5tupleIJNSH_6TensorESM_SM_EERKSM_lbbbEUlllE0_EEPmJS6_EEE10hipError_tPvRmT3_T4_T5_T6_T7_T9_mT8_P12ihipStream_tbDpT10_ENKUlT_T0_E_clISt17integral_constantIbLb1EES1C_EEDaS17_S18_EUlS17_E_NS1_11comp_targetILNS1_3genE9ELNS1_11target_archE1100ELNS1_3gpuE3ELNS1_3repE0EEENS1_30default_config_static_selectorELNS0_4arch9wavefront6targetE1EEEvT1_,comdat
.Lfunc_end821:
	.size	_ZN7rocprim17ROCPRIM_400000_NS6detail17trampoline_kernelINS0_14default_configENS1_25partition_config_selectorILNS1_17partition_subalgoE8ElNS0_10empty_typeEbEEZZNS1_14partition_implILS5_8ELb0ES3_jPlPS6_PKS6_NS0_5tupleIJS9_S6_EEENSD_IJSA_SA_EEENS0_18inequality_wrapperIZN2at6native12_GLOBAL__N_124unique_dim_cuda_templateIdEESt5tupleIJNSH_6TensorESM_SM_EERKSM_lbbbEUlllE0_EEPmJS6_EEE10hipError_tPvRmT3_T4_T5_T6_T7_T9_mT8_P12ihipStream_tbDpT10_ENKUlT_T0_E_clISt17integral_constantIbLb1EES1C_EEDaS17_S18_EUlS17_E_NS1_11comp_targetILNS1_3genE9ELNS1_11target_archE1100ELNS1_3gpuE3ELNS1_3repE0EEENS1_30default_config_static_selectorELNS0_4arch9wavefront6targetE1EEEvT1_, .Lfunc_end821-_ZN7rocprim17ROCPRIM_400000_NS6detail17trampoline_kernelINS0_14default_configENS1_25partition_config_selectorILNS1_17partition_subalgoE8ElNS0_10empty_typeEbEEZZNS1_14partition_implILS5_8ELb0ES3_jPlPS6_PKS6_NS0_5tupleIJS9_S6_EEENSD_IJSA_SA_EEENS0_18inequality_wrapperIZN2at6native12_GLOBAL__N_124unique_dim_cuda_templateIdEESt5tupleIJNSH_6TensorESM_SM_EERKSM_lbbbEUlllE0_EEPmJS6_EEE10hipError_tPvRmT3_T4_T5_T6_T7_T9_mT8_P12ihipStream_tbDpT10_ENKUlT_T0_E_clISt17integral_constantIbLb1EES1C_EEDaS17_S18_EUlS17_E_NS1_11comp_targetILNS1_3genE9ELNS1_11target_archE1100ELNS1_3gpuE3ELNS1_3repE0EEENS1_30default_config_static_selectorELNS0_4arch9wavefront6targetE1EEEvT1_
                                        ; -- End function
	.set _ZN7rocprim17ROCPRIM_400000_NS6detail17trampoline_kernelINS0_14default_configENS1_25partition_config_selectorILNS1_17partition_subalgoE8ElNS0_10empty_typeEbEEZZNS1_14partition_implILS5_8ELb0ES3_jPlPS6_PKS6_NS0_5tupleIJS9_S6_EEENSD_IJSA_SA_EEENS0_18inequality_wrapperIZN2at6native12_GLOBAL__N_124unique_dim_cuda_templateIdEESt5tupleIJNSH_6TensorESM_SM_EERKSM_lbbbEUlllE0_EEPmJS6_EEE10hipError_tPvRmT3_T4_T5_T6_T7_T9_mT8_P12ihipStream_tbDpT10_ENKUlT_T0_E_clISt17integral_constantIbLb1EES1C_EEDaS17_S18_EUlS17_E_NS1_11comp_targetILNS1_3genE9ELNS1_11target_archE1100ELNS1_3gpuE3ELNS1_3repE0EEENS1_30default_config_static_selectorELNS0_4arch9wavefront6targetE1EEEvT1_.num_vgpr, 0
	.set _ZN7rocprim17ROCPRIM_400000_NS6detail17trampoline_kernelINS0_14default_configENS1_25partition_config_selectorILNS1_17partition_subalgoE8ElNS0_10empty_typeEbEEZZNS1_14partition_implILS5_8ELb0ES3_jPlPS6_PKS6_NS0_5tupleIJS9_S6_EEENSD_IJSA_SA_EEENS0_18inequality_wrapperIZN2at6native12_GLOBAL__N_124unique_dim_cuda_templateIdEESt5tupleIJNSH_6TensorESM_SM_EERKSM_lbbbEUlllE0_EEPmJS6_EEE10hipError_tPvRmT3_T4_T5_T6_T7_T9_mT8_P12ihipStream_tbDpT10_ENKUlT_T0_E_clISt17integral_constantIbLb1EES1C_EEDaS17_S18_EUlS17_E_NS1_11comp_targetILNS1_3genE9ELNS1_11target_archE1100ELNS1_3gpuE3ELNS1_3repE0EEENS1_30default_config_static_selectorELNS0_4arch9wavefront6targetE1EEEvT1_.num_agpr, 0
	.set _ZN7rocprim17ROCPRIM_400000_NS6detail17trampoline_kernelINS0_14default_configENS1_25partition_config_selectorILNS1_17partition_subalgoE8ElNS0_10empty_typeEbEEZZNS1_14partition_implILS5_8ELb0ES3_jPlPS6_PKS6_NS0_5tupleIJS9_S6_EEENSD_IJSA_SA_EEENS0_18inequality_wrapperIZN2at6native12_GLOBAL__N_124unique_dim_cuda_templateIdEESt5tupleIJNSH_6TensorESM_SM_EERKSM_lbbbEUlllE0_EEPmJS6_EEE10hipError_tPvRmT3_T4_T5_T6_T7_T9_mT8_P12ihipStream_tbDpT10_ENKUlT_T0_E_clISt17integral_constantIbLb1EES1C_EEDaS17_S18_EUlS17_E_NS1_11comp_targetILNS1_3genE9ELNS1_11target_archE1100ELNS1_3gpuE3ELNS1_3repE0EEENS1_30default_config_static_selectorELNS0_4arch9wavefront6targetE1EEEvT1_.numbered_sgpr, 0
	.set _ZN7rocprim17ROCPRIM_400000_NS6detail17trampoline_kernelINS0_14default_configENS1_25partition_config_selectorILNS1_17partition_subalgoE8ElNS0_10empty_typeEbEEZZNS1_14partition_implILS5_8ELb0ES3_jPlPS6_PKS6_NS0_5tupleIJS9_S6_EEENSD_IJSA_SA_EEENS0_18inequality_wrapperIZN2at6native12_GLOBAL__N_124unique_dim_cuda_templateIdEESt5tupleIJNSH_6TensorESM_SM_EERKSM_lbbbEUlllE0_EEPmJS6_EEE10hipError_tPvRmT3_T4_T5_T6_T7_T9_mT8_P12ihipStream_tbDpT10_ENKUlT_T0_E_clISt17integral_constantIbLb1EES1C_EEDaS17_S18_EUlS17_E_NS1_11comp_targetILNS1_3genE9ELNS1_11target_archE1100ELNS1_3gpuE3ELNS1_3repE0EEENS1_30default_config_static_selectorELNS0_4arch9wavefront6targetE1EEEvT1_.num_named_barrier, 0
	.set _ZN7rocprim17ROCPRIM_400000_NS6detail17trampoline_kernelINS0_14default_configENS1_25partition_config_selectorILNS1_17partition_subalgoE8ElNS0_10empty_typeEbEEZZNS1_14partition_implILS5_8ELb0ES3_jPlPS6_PKS6_NS0_5tupleIJS9_S6_EEENSD_IJSA_SA_EEENS0_18inequality_wrapperIZN2at6native12_GLOBAL__N_124unique_dim_cuda_templateIdEESt5tupleIJNSH_6TensorESM_SM_EERKSM_lbbbEUlllE0_EEPmJS6_EEE10hipError_tPvRmT3_T4_T5_T6_T7_T9_mT8_P12ihipStream_tbDpT10_ENKUlT_T0_E_clISt17integral_constantIbLb1EES1C_EEDaS17_S18_EUlS17_E_NS1_11comp_targetILNS1_3genE9ELNS1_11target_archE1100ELNS1_3gpuE3ELNS1_3repE0EEENS1_30default_config_static_selectorELNS0_4arch9wavefront6targetE1EEEvT1_.private_seg_size, 0
	.set _ZN7rocprim17ROCPRIM_400000_NS6detail17trampoline_kernelINS0_14default_configENS1_25partition_config_selectorILNS1_17partition_subalgoE8ElNS0_10empty_typeEbEEZZNS1_14partition_implILS5_8ELb0ES3_jPlPS6_PKS6_NS0_5tupleIJS9_S6_EEENSD_IJSA_SA_EEENS0_18inequality_wrapperIZN2at6native12_GLOBAL__N_124unique_dim_cuda_templateIdEESt5tupleIJNSH_6TensorESM_SM_EERKSM_lbbbEUlllE0_EEPmJS6_EEE10hipError_tPvRmT3_T4_T5_T6_T7_T9_mT8_P12ihipStream_tbDpT10_ENKUlT_T0_E_clISt17integral_constantIbLb1EES1C_EEDaS17_S18_EUlS17_E_NS1_11comp_targetILNS1_3genE9ELNS1_11target_archE1100ELNS1_3gpuE3ELNS1_3repE0EEENS1_30default_config_static_selectorELNS0_4arch9wavefront6targetE1EEEvT1_.uses_vcc, 0
	.set _ZN7rocprim17ROCPRIM_400000_NS6detail17trampoline_kernelINS0_14default_configENS1_25partition_config_selectorILNS1_17partition_subalgoE8ElNS0_10empty_typeEbEEZZNS1_14partition_implILS5_8ELb0ES3_jPlPS6_PKS6_NS0_5tupleIJS9_S6_EEENSD_IJSA_SA_EEENS0_18inequality_wrapperIZN2at6native12_GLOBAL__N_124unique_dim_cuda_templateIdEESt5tupleIJNSH_6TensorESM_SM_EERKSM_lbbbEUlllE0_EEPmJS6_EEE10hipError_tPvRmT3_T4_T5_T6_T7_T9_mT8_P12ihipStream_tbDpT10_ENKUlT_T0_E_clISt17integral_constantIbLb1EES1C_EEDaS17_S18_EUlS17_E_NS1_11comp_targetILNS1_3genE9ELNS1_11target_archE1100ELNS1_3gpuE3ELNS1_3repE0EEENS1_30default_config_static_selectorELNS0_4arch9wavefront6targetE1EEEvT1_.uses_flat_scratch, 0
	.set _ZN7rocprim17ROCPRIM_400000_NS6detail17trampoline_kernelINS0_14default_configENS1_25partition_config_selectorILNS1_17partition_subalgoE8ElNS0_10empty_typeEbEEZZNS1_14partition_implILS5_8ELb0ES3_jPlPS6_PKS6_NS0_5tupleIJS9_S6_EEENSD_IJSA_SA_EEENS0_18inequality_wrapperIZN2at6native12_GLOBAL__N_124unique_dim_cuda_templateIdEESt5tupleIJNSH_6TensorESM_SM_EERKSM_lbbbEUlllE0_EEPmJS6_EEE10hipError_tPvRmT3_T4_T5_T6_T7_T9_mT8_P12ihipStream_tbDpT10_ENKUlT_T0_E_clISt17integral_constantIbLb1EES1C_EEDaS17_S18_EUlS17_E_NS1_11comp_targetILNS1_3genE9ELNS1_11target_archE1100ELNS1_3gpuE3ELNS1_3repE0EEENS1_30default_config_static_selectorELNS0_4arch9wavefront6targetE1EEEvT1_.has_dyn_sized_stack, 0
	.set _ZN7rocprim17ROCPRIM_400000_NS6detail17trampoline_kernelINS0_14default_configENS1_25partition_config_selectorILNS1_17partition_subalgoE8ElNS0_10empty_typeEbEEZZNS1_14partition_implILS5_8ELb0ES3_jPlPS6_PKS6_NS0_5tupleIJS9_S6_EEENSD_IJSA_SA_EEENS0_18inequality_wrapperIZN2at6native12_GLOBAL__N_124unique_dim_cuda_templateIdEESt5tupleIJNSH_6TensorESM_SM_EERKSM_lbbbEUlllE0_EEPmJS6_EEE10hipError_tPvRmT3_T4_T5_T6_T7_T9_mT8_P12ihipStream_tbDpT10_ENKUlT_T0_E_clISt17integral_constantIbLb1EES1C_EEDaS17_S18_EUlS17_E_NS1_11comp_targetILNS1_3genE9ELNS1_11target_archE1100ELNS1_3gpuE3ELNS1_3repE0EEENS1_30default_config_static_selectorELNS0_4arch9wavefront6targetE1EEEvT1_.has_recursion, 0
	.set _ZN7rocprim17ROCPRIM_400000_NS6detail17trampoline_kernelINS0_14default_configENS1_25partition_config_selectorILNS1_17partition_subalgoE8ElNS0_10empty_typeEbEEZZNS1_14partition_implILS5_8ELb0ES3_jPlPS6_PKS6_NS0_5tupleIJS9_S6_EEENSD_IJSA_SA_EEENS0_18inequality_wrapperIZN2at6native12_GLOBAL__N_124unique_dim_cuda_templateIdEESt5tupleIJNSH_6TensorESM_SM_EERKSM_lbbbEUlllE0_EEPmJS6_EEE10hipError_tPvRmT3_T4_T5_T6_T7_T9_mT8_P12ihipStream_tbDpT10_ENKUlT_T0_E_clISt17integral_constantIbLb1EES1C_EEDaS17_S18_EUlS17_E_NS1_11comp_targetILNS1_3genE9ELNS1_11target_archE1100ELNS1_3gpuE3ELNS1_3repE0EEENS1_30default_config_static_selectorELNS0_4arch9wavefront6targetE1EEEvT1_.has_indirect_call, 0
	.section	.AMDGPU.csdata,"",@progbits
; Kernel info:
; codeLenInByte = 0
; TotalNumSgprs: 6
; NumVgprs: 0
; NumAgprs: 0
; TotalNumVgprs: 0
; ScratchSize: 0
; MemoryBound: 0
; FloatMode: 240
; IeeeMode: 1
; LDSByteSize: 0 bytes/workgroup (compile time only)
; SGPRBlocks: 0
; VGPRBlocks: 0
; NumSGPRsForWavesPerEU: 6
; NumVGPRsForWavesPerEU: 1
; AccumOffset: 4
; Occupancy: 8
; WaveLimiterHint : 0
; COMPUTE_PGM_RSRC2:SCRATCH_EN: 0
; COMPUTE_PGM_RSRC2:USER_SGPR: 2
; COMPUTE_PGM_RSRC2:TRAP_HANDLER: 0
; COMPUTE_PGM_RSRC2:TGID_X_EN: 1
; COMPUTE_PGM_RSRC2:TGID_Y_EN: 0
; COMPUTE_PGM_RSRC2:TGID_Z_EN: 0
; COMPUTE_PGM_RSRC2:TIDIG_COMP_CNT: 0
; COMPUTE_PGM_RSRC3_GFX90A:ACCUM_OFFSET: 0
; COMPUTE_PGM_RSRC3_GFX90A:TG_SPLIT: 0
	.section	.text._ZN7rocprim17ROCPRIM_400000_NS6detail17trampoline_kernelINS0_14default_configENS1_25partition_config_selectorILNS1_17partition_subalgoE8ElNS0_10empty_typeEbEEZZNS1_14partition_implILS5_8ELb0ES3_jPlPS6_PKS6_NS0_5tupleIJS9_S6_EEENSD_IJSA_SA_EEENS0_18inequality_wrapperIZN2at6native12_GLOBAL__N_124unique_dim_cuda_templateIdEESt5tupleIJNSH_6TensorESM_SM_EERKSM_lbbbEUlllE0_EEPmJS6_EEE10hipError_tPvRmT3_T4_T5_T6_T7_T9_mT8_P12ihipStream_tbDpT10_ENKUlT_T0_E_clISt17integral_constantIbLb1EES1C_EEDaS17_S18_EUlS17_E_NS1_11comp_targetILNS1_3genE8ELNS1_11target_archE1030ELNS1_3gpuE2ELNS1_3repE0EEENS1_30default_config_static_selectorELNS0_4arch9wavefront6targetE1EEEvT1_,"axG",@progbits,_ZN7rocprim17ROCPRIM_400000_NS6detail17trampoline_kernelINS0_14default_configENS1_25partition_config_selectorILNS1_17partition_subalgoE8ElNS0_10empty_typeEbEEZZNS1_14partition_implILS5_8ELb0ES3_jPlPS6_PKS6_NS0_5tupleIJS9_S6_EEENSD_IJSA_SA_EEENS0_18inequality_wrapperIZN2at6native12_GLOBAL__N_124unique_dim_cuda_templateIdEESt5tupleIJNSH_6TensorESM_SM_EERKSM_lbbbEUlllE0_EEPmJS6_EEE10hipError_tPvRmT3_T4_T5_T6_T7_T9_mT8_P12ihipStream_tbDpT10_ENKUlT_T0_E_clISt17integral_constantIbLb1EES1C_EEDaS17_S18_EUlS17_E_NS1_11comp_targetILNS1_3genE8ELNS1_11target_archE1030ELNS1_3gpuE2ELNS1_3repE0EEENS1_30default_config_static_selectorELNS0_4arch9wavefront6targetE1EEEvT1_,comdat
	.globl	_ZN7rocprim17ROCPRIM_400000_NS6detail17trampoline_kernelINS0_14default_configENS1_25partition_config_selectorILNS1_17partition_subalgoE8ElNS0_10empty_typeEbEEZZNS1_14partition_implILS5_8ELb0ES3_jPlPS6_PKS6_NS0_5tupleIJS9_S6_EEENSD_IJSA_SA_EEENS0_18inequality_wrapperIZN2at6native12_GLOBAL__N_124unique_dim_cuda_templateIdEESt5tupleIJNSH_6TensorESM_SM_EERKSM_lbbbEUlllE0_EEPmJS6_EEE10hipError_tPvRmT3_T4_T5_T6_T7_T9_mT8_P12ihipStream_tbDpT10_ENKUlT_T0_E_clISt17integral_constantIbLb1EES1C_EEDaS17_S18_EUlS17_E_NS1_11comp_targetILNS1_3genE8ELNS1_11target_archE1030ELNS1_3gpuE2ELNS1_3repE0EEENS1_30default_config_static_selectorELNS0_4arch9wavefront6targetE1EEEvT1_ ; -- Begin function _ZN7rocprim17ROCPRIM_400000_NS6detail17trampoline_kernelINS0_14default_configENS1_25partition_config_selectorILNS1_17partition_subalgoE8ElNS0_10empty_typeEbEEZZNS1_14partition_implILS5_8ELb0ES3_jPlPS6_PKS6_NS0_5tupleIJS9_S6_EEENSD_IJSA_SA_EEENS0_18inequality_wrapperIZN2at6native12_GLOBAL__N_124unique_dim_cuda_templateIdEESt5tupleIJNSH_6TensorESM_SM_EERKSM_lbbbEUlllE0_EEPmJS6_EEE10hipError_tPvRmT3_T4_T5_T6_T7_T9_mT8_P12ihipStream_tbDpT10_ENKUlT_T0_E_clISt17integral_constantIbLb1EES1C_EEDaS17_S18_EUlS17_E_NS1_11comp_targetILNS1_3genE8ELNS1_11target_archE1030ELNS1_3gpuE2ELNS1_3repE0EEENS1_30default_config_static_selectorELNS0_4arch9wavefront6targetE1EEEvT1_
	.p2align	8
	.type	_ZN7rocprim17ROCPRIM_400000_NS6detail17trampoline_kernelINS0_14default_configENS1_25partition_config_selectorILNS1_17partition_subalgoE8ElNS0_10empty_typeEbEEZZNS1_14partition_implILS5_8ELb0ES3_jPlPS6_PKS6_NS0_5tupleIJS9_S6_EEENSD_IJSA_SA_EEENS0_18inequality_wrapperIZN2at6native12_GLOBAL__N_124unique_dim_cuda_templateIdEESt5tupleIJNSH_6TensorESM_SM_EERKSM_lbbbEUlllE0_EEPmJS6_EEE10hipError_tPvRmT3_T4_T5_T6_T7_T9_mT8_P12ihipStream_tbDpT10_ENKUlT_T0_E_clISt17integral_constantIbLb1EES1C_EEDaS17_S18_EUlS17_E_NS1_11comp_targetILNS1_3genE8ELNS1_11target_archE1030ELNS1_3gpuE2ELNS1_3repE0EEENS1_30default_config_static_selectorELNS0_4arch9wavefront6targetE1EEEvT1_,@function
_ZN7rocprim17ROCPRIM_400000_NS6detail17trampoline_kernelINS0_14default_configENS1_25partition_config_selectorILNS1_17partition_subalgoE8ElNS0_10empty_typeEbEEZZNS1_14partition_implILS5_8ELb0ES3_jPlPS6_PKS6_NS0_5tupleIJS9_S6_EEENSD_IJSA_SA_EEENS0_18inequality_wrapperIZN2at6native12_GLOBAL__N_124unique_dim_cuda_templateIdEESt5tupleIJNSH_6TensorESM_SM_EERKSM_lbbbEUlllE0_EEPmJS6_EEE10hipError_tPvRmT3_T4_T5_T6_T7_T9_mT8_P12ihipStream_tbDpT10_ENKUlT_T0_E_clISt17integral_constantIbLb1EES1C_EEDaS17_S18_EUlS17_E_NS1_11comp_targetILNS1_3genE8ELNS1_11target_archE1030ELNS1_3gpuE2ELNS1_3repE0EEENS1_30default_config_static_selectorELNS0_4arch9wavefront6targetE1EEEvT1_: ; @_ZN7rocprim17ROCPRIM_400000_NS6detail17trampoline_kernelINS0_14default_configENS1_25partition_config_selectorILNS1_17partition_subalgoE8ElNS0_10empty_typeEbEEZZNS1_14partition_implILS5_8ELb0ES3_jPlPS6_PKS6_NS0_5tupleIJS9_S6_EEENSD_IJSA_SA_EEENS0_18inequality_wrapperIZN2at6native12_GLOBAL__N_124unique_dim_cuda_templateIdEESt5tupleIJNSH_6TensorESM_SM_EERKSM_lbbbEUlllE0_EEPmJS6_EEE10hipError_tPvRmT3_T4_T5_T6_T7_T9_mT8_P12ihipStream_tbDpT10_ENKUlT_T0_E_clISt17integral_constantIbLb1EES1C_EEDaS17_S18_EUlS17_E_NS1_11comp_targetILNS1_3genE8ELNS1_11target_archE1030ELNS1_3gpuE2ELNS1_3repE0EEENS1_30default_config_static_selectorELNS0_4arch9wavefront6targetE1EEEvT1_
; %bb.0:
	.section	.rodata,"a",@progbits
	.p2align	6, 0x0
	.amdhsa_kernel _ZN7rocprim17ROCPRIM_400000_NS6detail17trampoline_kernelINS0_14default_configENS1_25partition_config_selectorILNS1_17partition_subalgoE8ElNS0_10empty_typeEbEEZZNS1_14partition_implILS5_8ELb0ES3_jPlPS6_PKS6_NS0_5tupleIJS9_S6_EEENSD_IJSA_SA_EEENS0_18inequality_wrapperIZN2at6native12_GLOBAL__N_124unique_dim_cuda_templateIdEESt5tupleIJNSH_6TensorESM_SM_EERKSM_lbbbEUlllE0_EEPmJS6_EEE10hipError_tPvRmT3_T4_T5_T6_T7_T9_mT8_P12ihipStream_tbDpT10_ENKUlT_T0_E_clISt17integral_constantIbLb1EES1C_EEDaS17_S18_EUlS17_E_NS1_11comp_targetILNS1_3genE8ELNS1_11target_archE1030ELNS1_3gpuE2ELNS1_3repE0EEENS1_30default_config_static_selectorELNS0_4arch9wavefront6targetE1EEEvT1_
		.amdhsa_group_segment_fixed_size 0
		.amdhsa_private_segment_fixed_size 0
		.amdhsa_kernarg_size 136
		.amdhsa_user_sgpr_count 2
		.amdhsa_user_sgpr_dispatch_ptr 0
		.amdhsa_user_sgpr_queue_ptr 0
		.amdhsa_user_sgpr_kernarg_segment_ptr 1
		.amdhsa_user_sgpr_dispatch_id 0
		.amdhsa_user_sgpr_kernarg_preload_length 0
		.amdhsa_user_sgpr_kernarg_preload_offset 0
		.amdhsa_user_sgpr_private_segment_size 0
		.amdhsa_uses_dynamic_stack 0
		.amdhsa_enable_private_segment 0
		.amdhsa_system_sgpr_workgroup_id_x 1
		.amdhsa_system_sgpr_workgroup_id_y 0
		.amdhsa_system_sgpr_workgroup_id_z 0
		.amdhsa_system_sgpr_workgroup_info 0
		.amdhsa_system_vgpr_workitem_id 0
		.amdhsa_next_free_vgpr 1
		.amdhsa_next_free_sgpr 0
		.amdhsa_accum_offset 4
		.amdhsa_reserve_vcc 0
		.amdhsa_float_round_mode_32 0
		.amdhsa_float_round_mode_16_64 0
		.amdhsa_float_denorm_mode_32 3
		.amdhsa_float_denorm_mode_16_64 3
		.amdhsa_dx10_clamp 1
		.amdhsa_ieee_mode 1
		.amdhsa_fp16_overflow 0
		.amdhsa_tg_split 0
		.amdhsa_exception_fp_ieee_invalid_op 0
		.amdhsa_exception_fp_denorm_src 0
		.amdhsa_exception_fp_ieee_div_zero 0
		.amdhsa_exception_fp_ieee_overflow 0
		.amdhsa_exception_fp_ieee_underflow 0
		.amdhsa_exception_fp_ieee_inexact 0
		.amdhsa_exception_int_div_zero 0
	.end_amdhsa_kernel
	.section	.text._ZN7rocprim17ROCPRIM_400000_NS6detail17trampoline_kernelINS0_14default_configENS1_25partition_config_selectorILNS1_17partition_subalgoE8ElNS0_10empty_typeEbEEZZNS1_14partition_implILS5_8ELb0ES3_jPlPS6_PKS6_NS0_5tupleIJS9_S6_EEENSD_IJSA_SA_EEENS0_18inequality_wrapperIZN2at6native12_GLOBAL__N_124unique_dim_cuda_templateIdEESt5tupleIJNSH_6TensorESM_SM_EERKSM_lbbbEUlllE0_EEPmJS6_EEE10hipError_tPvRmT3_T4_T5_T6_T7_T9_mT8_P12ihipStream_tbDpT10_ENKUlT_T0_E_clISt17integral_constantIbLb1EES1C_EEDaS17_S18_EUlS17_E_NS1_11comp_targetILNS1_3genE8ELNS1_11target_archE1030ELNS1_3gpuE2ELNS1_3repE0EEENS1_30default_config_static_selectorELNS0_4arch9wavefront6targetE1EEEvT1_,"axG",@progbits,_ZN7rocprim17ROCPRIM_400000_NS6detail17trampoline_kernelINS0_14default_configENS1_25partition_config_selectorILNS1_17partition_subalgoE8ElNS0_10empty_typeEbEEZZNS1_14partition_implILS5_8ELb0ES3_jPlPS6_PKS6_NS0_5tupleIJS9_S6_EEENSD_IJSA_SA_EEENS0_18inequality_wrapperIZN2at6native12_GLOBAL__N_124unique_dim_cuda_templateIdEESt5tupleIJNSH_6TensorESM_SM_EERKSM_lbbbEUlllE0_EEPmJS6_EEE10hipError_tPvRmT3_T4_T5_T6_T7_T9_mT8_P12ihipStream_tbDpT10_ENKUlT_T0_E_clISt17integral_constantIbLb1EES1C_EEDaS17_S18_EUlS17_E_NS1_11comp_targetILNS1_3genE8ELNS1_11target_archE1030ELNS1_3gpuE2ELNS1_3repE0EEENS1_30default_config_static_selectorELNS0_4arch9wavefront6targetE1EEEvT1_,comdat
.Lfunc_end822:
	.size	_ZN7rocprim17ROCPRIM_400000_NS6detail17trampoline_kernelINS0_14default_configENS1_25partition_config_selectorILNS1_17partition_subalgoE8ElNS0_10empty_typeEbEEZZNS1_14partition_implILS5_8ELb0ES3_jPlPS6_PKS6_NS0_5tupleIJS9_S6_EEENSD_IJSA_SA_EEENS0_18inequality_wrapperIZN2at6native12_GLOBAL__N_124unique_dim_cuda_templateIdEESt5tupleIJNSH_6TensorESM_SM_EERKSM_lbbbEUlllE0_EEPmJS6_EEE10hipError_tPvRmT3_T4_T5_T6_T7_T9_mT8_P12ihipStream_tbDpT10_ENKUlT_T0_E_clISt17integral_constantIbLb1EES1C_EEDaS17_S18_EUlS17_E_NS1_11comp_targetILNS1_3genE8ELNS1_11target_archE1030ELNS1_3gpuE2ELNS1_3repE0EEENS1_30default_config_static_selectorELNS0_4arch9wavefront6targetE1EEEvT1_, .Lfunc_end822-_ZN7rocprim17ROCPRIM_400000_NS6detail17trampoline_kernelINS0_14default_configENS1_25partition_config_selectorILNS1_17partition_subalgoE8ElNS0_10empty_typeEbEEZZNS1_14partition_implILS5_8ELb0ES3_jPlPS6_PKS6_NS0_5tupleIJS9_S6_EEENSD_IJSA_SA_EEENS0_18inequality_wrapperIZN2at6native12_GLOBAL__N_124unique_dim_cuda_templateIdEESt5tupleIJNSH_6TensorESM_SM_EERKSM_lbbbEUlllE0_EEPmJS6_EEE10hipError_tPvRmT3_T4_T5_T6_T7_T9_mT8_P12ihipStream_tbDpT10_ENKUlT_T0_E_clISt17integral_constantIbLb1EES1C_EEDaS17_S18_EUlS17_E_NS1_11comp_targetILNS1_3genE8ELNS1_11target_archE1030ELNS1_3gpuE2ELNS1_3repE0EEENS1_30default_config_static_selectorELNS0_4arch9wavefront6targetE1EEEvT1_
                                        ; -- End function
	.set _ZN7rocprim17ROCPRIM_400000_NS6detail17trampoline_kernelINS0_14default_configENS1_25partition_config_selectorILNS1_17partition_subalgoE8ElNS0_10empty_typeEbEEZZNS1_14partition_implILS5_8ELb0ES3_jPlPS6_PKS6_NS0_5tupleIJS9_S6_EEENSD_IJSA_SA_EEENS0_18inequality_wrapperIZN2at6native12_GLOBAL__N_124unique_dim_cuda_templateIdEESt5tupleIJNSH_6TensorESM_SM_EERKSM_lbbbEUlllE0_EEPmJS6_EEE10hipError_tPvRmT3_T4_T5_T6_T7_T9_mT8_P12ihipStream_tbDpT10_ENKUlT_T0_E_clISt17integral_constantIbLb1EES1C_EEDaS17_S18_EUlS17_E_NS1_11comp_targetILNS1_3genE8ELNS1_11target_archE1030ELNS1_3gpuE2ELNS1_3repE0EEENS1_30default_config_static_selectorELNS0_4arch9wavefront6targetE1EEEvT1_.num_vgpr, 0
	.set _ZN7rocprim17ROCPRIM_400000_NS6detail17trampoline_kernelINS0_14default_configENS1_25partition_config_selectorILNS1_17partition_subalgoE8ElNS0_10empty_typeEbEEZZNS1_14partition_implILS5_8ELb0ES3_jPlPS6_PKS6_NS0_5tupleIJS9_S6_EEENSD_IJSA_SA_EEENS0_18inequality_wrapperIZN2at6native12_GLOBAL__N_124unique_dim_cuda_templateIdEESt5tupleIJNSH_6TensorESM_SM_EERKSM_lbbbEUlllE0_EEPmJS6_EEE10hipError_tPvRmT3_T4_T5_T6_T7_T9_mT8_P12ihipStream_tbDpT10_ENKUlT_T0_E_clISt17integral_constantIbLb1EES1C_EEDaS17_S18_EUlS17_E_NS1_11comp_targetILNS1_3genE8ELNS1_11target_archE1030ELNS1_3gpuE2ELNS1_3repE0EEENS1_30default_config_static_selectorELNS0_4arch9wavefront6targetE1EEEvT1_.num_agpr, 0
	.set _ZN7rocprim17ROCPRIM_400000_NS6detail17trampoline_kernelINS0_14default_configENS1_25partition_config_selectorILNS1_17partition_subalgoE8ElNS0_10empty_typeEbEEZZNS1_14partition_implILS5_8ELb0ES3_jPlPS6_PKS6_NS0_5tupleIJS9_S6_EEENSD_IJSA_SA_EEENS0_18inequality_wrapperIZN2at6native12_GLOBAL__N_124unique_dim_cuda_templateIdEESt5tupleIJNSH_6TensorESM_SM_EERKSM_lbbbEUlllE0_EEPmJS6_EEE10hipError_tPvRmT3_T4_T5_T6_T7_T9_mT8_P12ihipStream_tbDpT10_ENKUlT_T0_E_clISt17integral_constantIbLb1EES1C_EEDaS17_S18_EUlS17_E_NS1_11comp_targetILNS1_3genE8ELNS1_11target_archE1030ELNS1_3gpuE2ELNS1_3repE0EEENS1_30default_config_static_selectorELNS0_4arch9wavefront6targetE1EEEvT1_.numbered_sgpr, 0
	.set _ZN7rocprim17ROCPRIM_400000_NS6detail17trampoline_kernelINS0_14default_configENS1_25partition_config_selectorILNS1_17partition_subalgoE8ElNS0_10empty_typeEbEEZZNS1_14partition_implILS5_8ELb0ES3_jPlPS6_PKS6_NS0_5tupleIJS9_S6_EEENSD_IJSA_SA_EEENS0_18inequality_wrapperIZN2at6native12_GLOBAL__N_124unique_dim_cuda_templateIdEESt5tupleIJNSH_6TensorESM_SM_EERKSM_lbbbEUlllE0_EEPmJS6_EEE10hipError_tPvRmT3_T4_T5_T6_T7_T9_mT8_P12ihipStream_tbDpT10_ENKUlT_T0_E_clISt17integral_constantIbLb1EES1C_EEDaS17_S18_EUlS17_E_NS1_11comp_targetILNS1_3genE8ELNS1_11target_archE1030ELNS1_3gpuE2ELNS1_3repE0EEENS1_30default_config_static_selectorELNS0_4arch9wavefront6targetE1EEEvT1_.num_named_barrier, 0
	.set _ZN7rocprim17ROCPRIM_400000_NS6detail17trampoline_kernelINS0_14default_configENS1_25partition_config_selectorILNS1_17partition_subalgoE8ElNS0_10empty_typeEbEEZZNS1_14partition_implILS5_8ELb0ES3_jPlPS6_PKS6_NS0_5tupleIJS9_S6_EEENSD_IJSA_SA_EEENS0_18inequality_wrapperIZN2at6native12_GLOBAL__N_124unique_dim_cuda_templateIdEESt5tupleIJNSH_6TensorESM_SM_EERKSM_lbbbEUlllE0_EEPmJS6_EEE10hipError_tPvRmT3_T4_T5_T6_T7_T9_mT8_P12ihipStream_tbDpT10_ENKUlT_T0_E_clISt17integral_constantIbLb1EES1C_EEDaS17_S18_EUlS17_E_NS1_11comp_targetILNS1_3genE8ELNS1_11target_archE1030ELNS1_3gpuE2ELNS1_3repE0EEENS1_30default_config_static_selectorELNS0_4arch9wavefront6targetE1EEEvT1_.private_seg_size, 0
	.set _ZN7rocprim17ROCPRIM_400000_NS6detail17trampoline_kernelINS0_14default_configENS1_25partition_config_selectorILNS1_17partition_subalgoE8ElNS0_10empty_typeEbEEZZNS1_14partition_implILS5_8ELb0ES3_jPlPS6_PKS6_NS0_5tupleIJS9_S6_EEENSD_IJSA_SA_EEENS0_18inequality_wrapperIZN2at6native12_GLOBAL__N_124unique_dim_cuda_templateIdEESt5tupleIJNSH_6TensorESM_SM_EERKSM_lbbbEUlllE0_EEPmJS6_EEE10hipError_tPvRmT3_T4_T5_T6_T7_T9_mT8_P12ihipStream_tbDpT10_ENKUlT_T0_E_clISt17integral_constantIbLb1EES1C_EEDaS17_S18_EUlS17_E_NS1_11comp_targetILNS1_3genE8ELNS1_11target_archE1030ELNS1_3gpuE2ELNS1_3repE0EEENS1_30default_config_static_selectorELNS0_4arch9wavefront6targetE1EEEvT1_.uses_vcc, 0
	.set _ZN7rocprim17ROCPRIM_400000_NS6detail17trampoline_kernelINS0_14default_configENS1_25partition_config_selectorILNS1_17partition_subalgoE8ElNS0_10empty_typeEbEEZZNS1_14partition_implILS5_8ELb0ES3_jPlPS6_PKS6_NS0_5tupleIJS9_S6_EEENSD_IJSA_SA_EEENS0_18inequality_wrapperIZN2at6native12_GLOBAL__N_124unique_dim_cuda_templateIdEESt5tupleIJNSH_6TensorESM_SM_EERKSM_lbbbEUlllE0_EEPmJS6_EEE10hipError_tPvRmT3_T4_T5_T6_T7_T9_mT8_P12ihipStream_tbDpT10_ENKUlT_T0_E_clISt17integral_constantIbLb1EES1C_EEDaS17_S18_EUlS17_E_NS1_11comp_targetILNS1_3genE8ELNS1_11target_archE1030ELNS1_3gpuE2ELNS1_3repE0EEENS1_30default_config_static_selectorELNS0_4arch9wavefront6targetE1EEEvT1_.uses_flat_scratch, 0
	.set _ZN7rocprim17ROCPRIM_400000_NS6detail17trampoline_kernelINS0_14default_configENS1_25partition_config_selectorILNS1_17partition_subalgoE8ElNS0_10empty_typeEbEEZZNS1_14partition_implILS5_8ELb0ES3_jPlPS6_PKS6_NS0_5tupleIJS9_S6_EEENSD_IJSA_SA_EEENS0_18inequality_wrapperIZN2at6native12_GLOBAL__N_124unique_dim_cuda_templateIdEESt5tupleIJNSH_6TensorESM_SM_EERKSM_lbbbEUlllE0_EEPmJS6_EEE10hipError_tPvRmT3_T4_T5_T6_T7_T9_mT8_P12ihipStream_tbDpT10_ENKUlT_T0_E_clISt17integral_constantIbLb1EES1C_EEDaS17_S18_EUlS17_E_NS1_11comp_targetILNS1_3genE8ELNS1_11target_archE1030ELNS1_3gpuE2ELNS1_3repE0EEENS1_30default_config_static_selectorELNS0_4arch9wavefront6targetE1EEEvT1_.has_dyn_sized_stack, 0
	.set _ZN7rocprim17ROCPRIM_400000_NS6detail17trampoline_kernelINS0_14default_configENS1_25partition_config_selectorILNS1_17partition_subalgoE8ElNS0_10empty_typeEbEEZZNS1_14partition_implILS5_8ELb0ES3_jPlPS6_PKS6_NS0_5tupleIJS9_S6_EEENSD_IJSA_SA_EEENS0_18inequality_wrapperIZN2at6native12_GLOBAL__N_124unique_dim_cuda_templateIdEESt5tupleIJNSH_6TensorESM_SM_EERKSM_lbbbEUlllE0_EEPmJS6_EEE10hipError_tPvRmT3_T4_T5_T6_T7_T9_mT8_P12ihipStream_tbDpT10_ENKUlT_T0_E_clISt17integral_constantIbLb1EES1C_EEDaS17_S18_EUlS17_E_NS1_11comp_targetILNS1_3genE8ELNS1_11target_archE1030ELNS1_3gpuE2ELNS1_3repE0EEENS1_30default_config_static_selectorELNS0_4arch9wavefront6targetE1EEEvT1_.has_recursion, 0
	.set _ZN7rocprim17ROCPRIM_400000_NS6detail17trampoline_kernelINS0_14default_configENS1_25partition_config_selectorILNS1_17partition_subalgoE8ElNS0_10empty_typeEbEEZZNS1_14partition_implILS5_8ELb0ES3_jPlPS6_PKS6_NS0_5tupleIJS9_S6_EEENSD_IJSA_SA_EEENS0_18inequality_wrapperIZN2at6native12_GLOBAL__N_124unique_dim_cuda_templateIdEESt5tupleIJNSH_6TensorESM_SM_EERKSM_lbbbEUlllE0_EEPmJS6_EEE10hipError_tPvRmT3_T4_T5_T6_T7_T9_mT8_P12ihipStream_tbDpT10_ENKUlT_T0_E_clISt17integral_constantIbLb1EES1C_EEDaS17_S18_EUlS17_E_NS1_11comp_targetILNS1_3genE8ELNS1_11target_archE1030ELNS1_3gpuE2ELNS1_3repE0EEENS1_30default_config_static_selectorELNS0_4arch9wavefront6targetE1EEEvT1_.has_indirect_call, 0
	.section	.AMDGPU.csdata,"",@progbits
; Kernel info:
; codeLenInByte = 0
; TotalNumSgprs: 6
; NumVgprs: 0
; NumAgprs: 0
; TotalNumVgprs: 0
; ScratchSize: 0
; MemoryBound: 0
; FloatMode: 240
; IeeeMode: 1
; LDSByteSize: 0 bytes/workgroup (compile time only)
; SGPRBlocks: 0
; VGPRBlocks: 0
; NumSGPRsForWavesPerEU: 6
; NumVGPRsForWavesPerEU: 1
; AccumOffset: 4
; Occupancy: 8
; WaveLimiterHint : 0
; COMPUTE_PGM_RSRC2:SCRATCH_EN: 0
; COMPUTE_PGM_RSRC2:USER_SGPR: 2
; COMPUTE_PGM_RSRC2:TRAP_HANDLER: 0
; COMPUTE_PGM_RSRC2:TGID_X_EN: 1
; COMPUTE_PGM_RSRC2:TGID_Y_EN: 0
; COMPUTE_PGM_RSRC2:TGID_Z_EN: 0
; COMPUTE_PGM_RSRC2:TIDIG_COMP_CNT: 0
; COMPUTE_PGM_RSRC3_GFX90A:ACCUM_OFFSET: 0
; COMPUTE_PGM_RSRC3_GFX90A:TG_SPLIT: 0
	.section	.text._ZN7rocprim17ROCPRIM_400000_NS6detail17trampoline_kernelINS0_14default_configENS1_25partition_config_selectorILNS1_17partition_subalgoE8ElNS0_10empty_typeEbEEZZNS1_14partition_implILS5_8ELb0ES3_jPlPS6_PKS6_NS0_5tupleIJS9_S6_EEENSD_IJSA_SA_EEENS0_18inequality_wrapperIZN2at6native12_GLOBAL__N_124unique_dim_cuda_templateIdEESt5tupleIJNSH_6TensorESM_SM_EERKSM_lbbbEUlllE0_EEPmJS6_EEE10hipError_tPvRmT3_T4_T5_T6_T7_T9_mT8_P12ihipStream_tbDpT10_ENKUlT_T0_E_clISt17integral_constantIbLb1EES1B_IbLb0EEEEDaS17_S18_EUlS17_E_NS1_11comp_targetILNS1_3genE0ELNS1_11target_archE4294967295ELNS1_3gpuE0ELNS1_3repE0EEENS1_30default_config_static_selectorELNS0_4arch9wavefront6targetE1EEEvT1_,"axG",@progbits,_ZN7rocprim17ROCPRIM_400000_NS6detail17trampoline_kernelINS0_14default_configENS1_25partition_config_selectorILNS1_17partition_subalgoE8ElNS0_10empty_typeEbEEZZNS1_14partition_implILS5_8ELb0ES3_jPlPS6_PKS6_NS0_5tupleIJS9_S6_EEENSD_IJSA_SA_EEENS0_18inequality_wrapperIZN2at6native12_GLOBAL__N_124unique_dim_cuda_templateIdEESt5tupleIJNSH_6TensorESM_SM_EERKSM_lbbbEUlllE0_EEPmJS6_EEE10hipError_tPvRmT3_T4_T5_T6_T7_T9_mT8_P12ihipStream_tbDpT10_ENKUlT_T0_E_clISt17integral_constantIbLb1EES1B_IbLb0EEEEDaS17_S18_EUlS17_E_NS1_11comp_targetILNS1_3genE0ELNS1_11target_archE4294967295ELNS1_3gpuE0ELNS1_3repE0EEENS1_30default_config_static_selectorELNS0_4arch9wavefront6targetE1EEEvT1_,comdat
	.globl	_ZN7rocprim17ROCPRIM_400000_NS6detail17trampoline_kernelINS0_14default_configENS1_25partition_config_selectorILNS1_17partition_subalgoE8ElNS0_10empty_typeEbEEZZNS1_14partition_implILS5_8ELb0ES3_jPlPS6_PKS6_NS0_5tupleIJS9_S6_EEENSD_IJSA_SA_EEENS0_18inequality_wrapperIZN2at6native12_GLOBAL__N_124unique_dim_cuda_templateIdEESt5tupleIJNSH_6TensorESM_SM_EERKSM_lbbbEUlllE0_EEPmJS6_EEE10hipError_tPvRmT3_T4_T5_T6_T7_T9_mT8_P12ihipStream_tbDpT10_ENKUlT_T0_E_clISt17integral_constantIbLb1EES1B_IbLb0EEEEDaS17_S18_EUlS17_E_NS1_11comp_targetILNS1_3genE0ELNS1_11target_archE4294967295ELNS1_3gpuE0ELNS1_3repE0EEENS1_30default_config_static_selectorELNS0_4arch9wavefront6targetE1EEEvT1_ ; -- Begin function _ZN7rocprim17ROCPRIM_400000_NS6detail17trampoline_kernelINS0_14default_configENS1_25partition_config_selectorILNS1_17partition_subalgoE8ElNS0_10empty_typeEbEEZZNS1_14partition_implILS5_8ELb0ES3_jPlPS6_PKS6_NS0_5tupleIJS9_S6_EEENSD_IJSA_SA_EEENS0_18inequality_wrapperIZN2at6native12_GLOBAL__N_124unique_dim_cuda_templateIdEESt5tupleIJNSH_6TensorESM_SM_EERKSM_lbbbEUlllE0_EEPmJS6_EEE10hipError_tPvRmT3_T4_T5_T6_T7_T9_mT8_P12ihipStream_tbDpT10_ENKUlT_T0_E_clISt17integral_constantIbLb1EES1B_IbLb0EEEEDaS17_S18_EUlS17_E_NS1_11comp_targetILNS1_3genE0ELNS1_11target_archE4294967295ELNS1_3gpuE0ELNS1_3repE0EEENS1_30default_config_static_selectorELNS0_4arch9wavefront6targetE1EEEvT1_
	.p2align	8
	.type	_ZN7rocprim17ROCPRIM_400000_NS6detail17trampoline_kernelINS0_14default_configENS1_25partition_config_selectorILNS1_17partition_subalgoE8ElNS0_10empty_typeEbEEZZNS1_14partition_implILS5_8ELb0ES3_jPlPS6_PKS6_NS0_5tupleIJS9_S6_EEENSD_IJSA_SA_EEENS0_18inequality_wrapperIZN2at6native12_GLOBAL__N_124unique_dim_cuda_templateIdEESt5tupleIJNSH_6TensorESM_SM_EERKSM_lbbbEUlllE0_EEPmJS6_EEE10hipError_tPvRmT3_T4_T5_T6_T7_T9_mT8_P12ihipStream_tbDpT10_ENKUlT_T0_E_clISt17integral_constantIbLb1EES1B_IbLb0EEEEDaS17_S18_EUlS17_E_NS1_11comp_targetILNS1_3genE0ELNS1_11target_archE4294967295ELNS1_3gpuE0ELNS1_3repE0EEENS1_30default_config_static_selectorELNS0_4arch9wavefront6targetE1EEEvT1_,@function
_ZN7rocprim17ROCPRIM_400000_NS6detail17trampoline_kernelINS0_14default_configENS1_25partition_config_selectorILNS1_17partition_subalgoE8ElNS0_10empty_typeEbEEZZNS1_14partition_implILS5_8ELb0ES3_jPlPS6_PKS6_NS0_5tupleIJS9_S6_EEENSD_IJSA_SA_EEENS0_18inequality_wrapperIZN2at6native12_GLOBAL__N_124unique_dim_cuda_templateIdEESt5tupleIJNSH_6TensorESM_SM_EERKSM_lbbbEUlllE0_EEPmJS6_EEE10hipError_tPvRmT3_T4_T5_T6_T7_T9_mT8_P12ihipStream_tbDpT10_ENKUlT_T0_E_clISt17integral_constantIbLb1EES1B_IbLb0EEEEDaS17_S18_EUlS17_E_NS1_11comp_targetILNS1_3genE0ELNS1_11target_archE4294967295ELNS1_3gpuE0ELNS1_3repE0EEENS1_30default_config_static_selectorELNS0_4arch9wavefront6targetE1EEEvT1_: ; @_ZN7rocprim17ROCPRIM_400000_NS6detail17trampoline_kernelINS0_14default_configENS1_25partition_config_selectorILNS1_17partition_subalgoE8ElNS0_10empty_typeEbEEZZNS1_14partition_implILS5_8ELb0ES3_jPlPS6_PKS6_NS0_5tupleIJS9_S6_EEENSD_IJSA_SA_EEENS0_18inequality_wrapperIZN2at6native12_GLOBAL__N_124unique_dim_cuda_templateIdEESt5tupleIJNSH_6TensorESM_SM_EERKSM_lbbbEUlllE0_EEPmJS6_EEE10hipError_tPvRmT3_T4_T5_T6_T7_T9_mT8_P12ihipStream_tbDpT10_ENKUlT_T0_E_clISt17integral_constantIbLb1EES1B_IbLb0EEEEDaS17_S18_EUlS17_E_NS1_11comp_targetILNS1_3genE0ELNS1_11target_archE4294967295ELNS1_3gpuE0ELNS1_3repE0EEENS1_30default_config_static_selectorELNS0_4arch9wavefront6targetE1EEEvT1_
; %bb.0:
	s_endpgm
	.section	.rodata,"a",@progbits
	.p2align	6, 0x0
	.amdhsa_kernel _ZN7rocprim17ROCPRIM_400000_NS6detail17trampoline_kernelINS0_14default_configENS1_25partition_config_selectorILNS1_17partition_subalgoE8ElNS0_10empty_typeEbEEZZNS1_14partition_implILS5_8ELb0ES3_jPlPS6_PKS6_NS0_5tupleIJS9_S6_EEENSD_IJSA_SA_EEENS0_18inequality_wrapperIZN2at6native12_GLOBAL__N_124unique_dim_cuda_templateIdEESt5tupleIJNSH_6TensorESM_SM_EERKSM_lbbbEUlllE0_EEPmJS6_EEE10hipError_tPvRmT3_T4_T5_T6_T7_T9_mT8_P12ihipStream_tbDpT10_ENKUlT_T0_E_clISt17integral_constantIbLb1EES1B_IbLb0EEEEDaS17_S18_EUlS17_E_NS1_11comp_targetILNS1_3genE0ELNS1_11target_archE4294967295ELNS1_3gpuE0ELNS1_3repE0EEENS1_30default_config_static_selectorELNS0_4arch9wavefront6targetE1EEEvT1_
		.amdhsa_group_segment_fixed_size 0
		.amdhsa_private_segment_fixed_size 0
		.amdhsa_kernarg_size 120
		.amdhsa_user_sgpr_count 2
		.amdhsa_user_sgpr_dispatch_ptr 0
		.amdhsa_user_sgpr_queue_ptr 0
		.amdhsa_user_sgpr_kernarg_segment_ptr 1
		.amdhsa_user_sgpr_dispatch_id 0
		.amdhsa_user_sgpr_kernarg_preload_length 0
		.amdhsa_user_sgpr_kernarg_preload_offset 0
		.amdhsa_user_sgpr_private_segment_size 0
		.amdhsa_uses_dynamic_stack 0
		.amdhsa_enable_private_segment 0
		.amdhsa_system_sgpr_workgroup_id_x 1
		.amdhsa_system_sgpr_workgroup_id_y 0
		.amdhsa_system_sgpr_workgroup_id_z 0
		.amdhsa_system_sgpr_workgroup_info 0
		.amdhsa_system_vgpr_workitem_id 0
		.amdhsa_next_free_vgpr 1
		.amdhsa_next_free_sgpr 0
		.amdhsa_accum_offset 4
		.amdhsa_reserve_vcc 0
		.amdhsa_float_round_mode_32 0
		.amdhsa_float_round_mode_16_64 0
		.amdhsa_float_denorm_mode_32 3
		.amdhsa_float_denorm_mode_16_64 3
		.amdhsa_dx10_clamp 1
		.amdhsa_ieee_mode 1
		.amdhsa_fp16_overflow 0
		.amdhsa_tg_split 0
		.amdhsa_exception_fp_ieee_invalid_op 0
		.amdhsa_exception_fp_denorm_src 0
		.amdhsa_exception_fp_ieee_div_zero 0
		.amdhsa_exception_fp_ieee_overflow 0
		.amdhsa_exception_fp_ieee_underflow 0
		.amdhsa_exception_fp_ieee_inexact 0
		.amdhsa_exception_int_div_zero 0
	.end_amdhsa_kernel
	.section	.text._ZN7rocprim17ROCPRIM_400000_NS6detail17trampoline_kernelINS0_14default_configENS1_25partition_config_selectorILNS1_17partition_subalgoE8ElNS0_10empty_typeEbEEZZNS1_14partition_implILS5_8ELb0ES3_jPlPS6_PKS6_NS0_5tupleIJS9_S6_EEENSD_IJSA_SA_EEENS0_18inequality_wrapperIZN2at6native12_GLOBAL__N_124unique_dim_cuda_templateIdEESt5tupleIJNSH_6TensorESM_SM_EERKSM_lbbbEUlllE0_EEPmJS6_EEE10hipError_tPvRmT3_T4_T5_T6_T7_T9_mT8_P12ihipStream_tbDpT10_ENKUlT_T0_E_clISt17integral_constantIbLb1EES1B_IbLb0EEEEDaS17_S18_EUlS17_E_NS1_11comp_targetILNS1_3genE0ELNS1_11target_archE4294967295ELNS1_3gpuE0ELNS1_3repE0EEENS1_30default_config_static_selectorELNS0_4arch9wavefront6targetE1EEEvT1_,"axG",@progbits,_ZN7rocprim17ROCPRIM_400000_NS6detail17trampoline_kernelINS0_14default_configENS1_25partition_config_selectorILNS1_17partition_subalgoE8ElNS0_10empty_typeEbEEZZNS1_14partition_implILS5_8ELb0ES3_jPlPS6_PKS6_NS0_5tupleIJS9_S6_EEENSD_IJSA_SA_EEENS0_18inequality_wrapperIZN2at6native12_GLOBAL__N_124unique_dim_cuda_templateIdEESt5tupleIJNSH_6TensorESM_SM_EERKSM_lbbbEUlllE0_EEPmJS6_EEE10hipError_tPvRmT3_T4_T5_T6_T7_T9_mT8_P12ihipStream_tbDpT10_ENKUlT_T0_E_clISt17integral_constantIbLb1EES1B_IbLb0EEEEDaS17_S18_EUlS17_E_NS1_11comp_targetILNS1_3genE0ELNS1_11target_archE4294967295ELNS1_3gpuE0ELNS1_3repE0EEENS1_30default_config_static_selectorELNS0_4arch9wavefront6targetE1EEEvT1_,comdat
.Lfunc_end823:
	.size	_ZN7rocprim17ROCPRIM_400000_NS6detail17trampoline_kernelINS0_14default_configENS1_25partition_config_selectorILNS1_17partition_subalgoE8ElNS0_10empty_typeEbEEZZNS1_14partition_implILS5_8ELb0ES3_jPlPS6_PKS6_NS0_5tupleIJS9_S6_EEENSD_IJSA_SA_EEENS0_18inequality_wrapperIZN2at6native12_GLOBAL__N_124unique_dim_cuda_templateIdEESt5tupleIJNSH_6TensorESM_SM_EERKSM_lbbbEUlllE0_EEPmJS6_EEE10hipError_tPvRmT3_T4_T5_T6_T7_T9_mT8_P12ihipStream_tbDpT10_ENKUlT_T0_E_clISt17integral_constantIbLb1EES1B_IbLb0EEEEDaS17_S18_EUlS17_E_NS1_11comp_targetILNS1_3genE0ELNS1_11target_archE4294967295ELNS1_3gpuE0ELNS1_3repE0EEENS1_30default_config_static_selectorELNS0_4arch9wavefront6targetE1EEEvT1_, .Lfunc_end823-_ZN7rocprim17ROCPRIM_400000_NS6detail17trampoline_kernelINS0_14default_configENS1_25partition_config_selectorILNS1_17partition_subalgoE8ElNS0_10empty_typeEbEEZZNS1_14partition_implILS5_8ELb0ES3_jPlPS6_PKS6_NS0_5tupleIJS9_S6_EEENSD_IJSA_SA_EEENS0_18inequality_wrapperIZN2at6native12_GLOBAL__N_124unique_dim_cuda_templateIdEESt5tupleIJNSH_6TensorESM_SM_EERKSM_lbbbEUlllE0_EEPmJS6_EEE10hipError_tPvRmT3_T4_T5_T6_T7_T9_mT8_P12ihipStream_tbDpT10_ENKUlT_T0_E_clISt17integral_constantIbLb1EES1B_IbLb0EEEEDaS17_S18_EUlS17_E_NS1_11comp_targetILNS1_3genE0ELNS1_11target_archE4294967295ELNS1_3gpuE0ELNS1_3repE0EEENS1_30default_config_static_selectorELNS0_4arch9wavefront6targetE1EEEvT1_
                                        ; -- End function
	.set _ZN7rocprim17ROCPRIM_400000_NS6detail17trampoline_kernelINS0_14default_configENS1_25partition_config_selectorILNS1_17partition_subalgoE8ElNS0_10empty_typeEbEEZZNS1_14partition_implILS5_8ELb0ES3_jPlPS6_PKS6_NS0_5tupleIJS9_S6_EEENSD_IJSA_SA_EEENS0_18inequality_wrapperIZN2at6native12_GLOBAL__N_124unique_dim_cuda_templateIdEESt5tupleIJNSH_6TensorESM_SM_EERKSM_lbbbEUlllE0_EEPmJS6_EEE10hipError_tPvRmT3_T4_T5_T6_T7_T9_mT8_P12ihipStream_tbDpT10_ENKUlT_T0_E_clISt17integral_constantIbLb1EES1B_IbLb0EEEEDaS17_S18_EUlS17_E_NS1_11comp_targetILNS1_3genE0ELNS1_11target_archE4294967295ELNS1_3gpuE0ELNS1_3repE0EEENS1_30default_config_static_selectorELNS0_4arch9wavefront6targetE1EEEvT1_.num_vgpr, 0
	.set _ZN7rocprim17ROCPRIM_400000_NS6detail17trampoline_kernelINS0_14default_configENS1_25partition_config_selectorILNS1_17partition_subalgoE8ElNS0_10empty_typeEbEEZZNS1_14partition_implILS5_8ELb0ES3_jPlPS6_PKS6_NS0_5tupleIJS9_S6_EEENSD_IJSA_SA_EEENS0_18inequality_wrapperIZN2at6native12_GLOBAL__N_124unique_dim_cuda_templateIdEESt5tupleIJNSH_6TensorESM_SM_EERKSM_lbbbEUlllE0_EEPmJS6_EEE10hipError_tPvRmT3_T4_T5_T6_T7_T9_mT8_P12ihipStream_tbDpT10_ENKUlT_T0_E_clISt17integral_constantIbLb1EES1B_IbLb0EEEEDaS17_S18_EUlS17_E_NS1_11comp_targetILNS1_3genE0ELNS1_11target_archE4294967295ELNS1_3gpuE0ELNS1_3repE0EEENS1_30default_config_static_selectorELNS0_4arch9wavefront6targetE1EEEvT1_.num_agpr, 0
	.set _ZN7rocprim17ROCPRIM_400000_NS6detail17trampoline_kernelINS0_14default_configENS1_25partition_config_selectorILNS1_17partition_subalgoE8ElNS0_10empty_typeEbEEZZNS1_14partition_implILS5_8ELb0ES3_jPlPS6_PKS6_NS0_5tupleIJS9_S6_EEENSD_IJSA_SA_EEENS0_18inequality_wrapperIZN2at6native12_GLOBAL__N_124unique_dim_cuda_templateIdEESt5tupleIJNSH_6TensorESM_SM_EERKSM_lbbbEUlllE0_EEPmJS6_EEE10hipError_tPvRmT3_T4_T5_T6_T7_T9_mT8_P12ihipStream_tbDpT10_ENKUlT_T0_E_clISt17integral_constantIbLb1EES1B_IbLb0EEEEDaS17_S18_EUlS17_E_NS1_11comp_targetILNS1_3genE0ELNS1_11target_archE4294967295ELNS1_3gpuE0ELNS1_3repE0EEENS1_30default_config_static_selectorELNS0_4arch9wavefront6targetE1EEEvT1_.numbered_sgpr, 0
	.set _ZN7rocprim17ROCPRIM_400000_NS6detail17trampoline_kernelINS0_14default_configENS1_25partition_config_selectorILNS1_17partition_subalgoE8ElNS0_10empty_typeEbEEZZNS1_14partition_implILS5_8ELb0ES3_jPlPS6_PKS6_NS0_5tupleIJS9_S6_EEENSD_IJSA_SA_EEENS0_18inequality_wrapperIZN2at6native12_GLOBAL__N_124unique_dim_cuda_templateIdEESt5tupleIJNSH_6TensorESM_SM_EERKSM_lbbbEUlllE0_EEPmJS6_EEE10hipError_tPvRmT3_T4_T5_T6_T7_T9_mT8_P12ihipStream_tbDpT10_ENKUlT_T0_E_clISt17integral_constantIbLb1EES1B_IbLb0EEEEDaS17_S18_EUlS17_E_NS1_11comp_targetILNS1_3genE0ELNS1_11target_archE4294967295ELNS1_3gpuE0ELNS1_3repE0EEENS1_30default_config_static_selectorELNS0_4arch9wavefront6targetE1EEEvT1_.num_named_barrier, 0
	.set _ZN7rocprim17ROCPRIM_400000_NS6detail17trampoline_kernelINS0_14default_configENS1_25partition_config_selectorILNS1_17partition_subalgoE8ElNS0_10empty_typeEbEEZZNS1_14partition_implILS5_8ELb0ES3_jPlPS6_PKS6_NS0_5tupleIJS9_S6_EEENSD_IJSA_SA_EEENS0_18inequality_wrapperIZN2at6native12_GLOBAL__N_124unique_dim_cuda_templateIdEESt5tupleIJNSH_6TensorESM_SM_EERKSM_lbbbEUlllE0_EEPmJS6_EEE10hipError_tPvRmT3_T4_T5_T6_T7_T9_mT8_P12ihipStream_tbDpT10_ENKUlT_T0_E_clISt17integral_constantIbLb1EES1B_IbLb0EEEEDaS17_S18_EUlS17_E_NS1_11comp_targetILNS1_3genE0ELNS1_11target_archE4294967295ELNS1_3gpuE0ELNS1_3repE0EEENS1_30default_config_static_selectorELNS0_4arch9wavefront6targetE1EEEvT1_.private_seg_size, 0
	.set _ZN7rocprim17ROCPRIM_400000_NS6detail17trampoline_kernelINS0_14default_configENS1_25partition_config_selectorILNS1_17partition_subalgoE8ElNS0_10empty_typeEbEEZZNS1_14partition_implILS5_8ELb0ES3_jPlPS6_PKS6_NS0_5tupleIJS9_S6_EEENSD_IJSA_SA_EEENS0_18inequality_wrapperIZN2at6native12_GLOBAL__N_124unique_dim_cuda_templateIdEESt5tupleIJNSH_6TensorESM_SM_EERKSM_lbbbEUlllE0_EEPmJS6_EEE10hipError_tPvRmT3_T4_T5_T6_T7_T9_mT8_P12ihipStream_tbDpT10_ENKUlT_T0_E_clISt17integral_constantIbLb1EES1B_IbLb0EEEEDaS17_S18_EUlS17_E_NS1_11comp_targetILNS1_3genE0ELNS1_11target_archE4294967295ELNS1_3gpuE0ELNS1_3repE0EEENS1_30default_config_static_selectorELNS0_4arch9wavefront6targetE1EEEvT1_.uses_vcc, 0
	.set _ZN7rocprim17ROCPRIM_400000_NS6detail17trampoline_kernelINS0_14default_configENS1_25partition_config_selectorILNS1_17partition_subalgoE8ElNS0_10empty_typeEbEEZZNS1_14partition_implILS5_8ELb0ES3_jPlPS6_PKS6_NS0_5tupleIJS9_S6_EEENSD_IJSA_SA_EEENS0_18inequality_wrapperIZN2at6native12_GLOBAL__N_124unique_dim_cuda_templateIdEESt5tupleIJNSH_6TensorESM_SM_EERKSM_lbbbEUlllE0_EEPmJS6_EEE10hipError_tPvRmT3_T4_T5_T6_T7_T9_mT8_P12ihipStream_tbDpT10_ENKUlT_T0_E_clISt17integral_constantIbLb1EES1B_IbLb0EEEEDaS17_S18_EUlS17_E_NS1_11comp_targetILNS1_3genE0ELNS1_11target_archE4294967295ELNS1_3gpuE0ELNS1_3repE0EEENS1_30default_config_static_selectorELNS0_4arch9wavefront6targetE1EEEvT1_.uses_flat_scratch, 0
	.set _ZN7rocprim17ROCPRIM_400000_NS6detail17trampoline_kernelINS0_14default_configENS1_25partition_config_selectorILNS1_17partition_subalgoE8ElNS0_10empty_typeEbEEZZNS1_14partition_implILS5_8ELb0ES3_jPlPS6_PKS6_NS0_5tupleIJS9_S6_EEENSD_IJSA_SA_EEENS0_18inequality_wrapperIZN2at6native12_GLOBAL__N_124unique_dim_cuda_templateIdEESt5tupleIJNSH_6TensorESM_SM_EERKSM_lbbbEUlllE0_EEPmJS6_EEE10hipError_tPvRmT3_T4_T5_T6_T7_T9_mT8_P12ihipStream_tbDpT10_ENKUlT_T0_E_clISt17integral_constantIbLb1EES1B_IbLb0EEEEDaS17_S18_EUlS17_E_NS1_11comp_targetILNS1_3genE0ELNS1_11target_archE4294967295ELNS1_3gpuE0ELNS1_3repE0EEENS1_30default_config_static_selectorELNS0_4arch9wavefront6targetE1EEEvT1_.has_dyn_sized_stack, 0
	.set _ZN7rocprim17ROCPRIM_400000_NS6detail17trampoline_kernelINS0_14default_configENS1_25partition_config_selectorILNS1_17partition_subalgoE8ElNS0_10empty_typeEbEEZZNS1_14partition_implILS5_8ELb0ES3_jPlPS6_PKS6_NS0_5tupleIJS9_S6_EEENSD_IJSA_SA_EEENS0_18inequality_wrapperIZN2at6native12_GLOBAL__N_124unique_dim_cuda_templateIdEESt5tupleIJNSH_6TensorESM_SM_EERKSM_lbbbEUlllE0_EEPmJS6_EEE10hipError_tPvRmT3_T4_T5_T6_T7_T9_mT8_P12ihipStream_tbDpT10_ENKUlT_T0_E_clISt17integral_constantIbLb1EES1B_IbLb0EEEEDaS17_S18_EUlS17_E_NS1_11comp_targetILNS1_3genE0ELNS1_11target_archE4294967295ELNS1_3gpuE0ELNS1_3repE0EEENS1_30default_config_static_selectorELNS0_4arch9wavefront6targetE1EEEvT1_.has_recursion, 0
	.set _ZN7rocprim17ROCPRIM_400000_NS6detail17trampoline_kernelINS0_14default_configENS1_25partition_config_selectorILNS1_17partition_subalgoE8ElNS0_10empty_typeEbEEZZNS1_14partition_implILS5_8ELb0ES3_jPlPS6_PKS6_NS0_5tupleIJS9_S6_EEENSD_IJSA_SA_EEENS0_18inequality_wrapperIZN2at6native12_GLOBAL__N_124unique_dim_cuda_templateIdEESt5tupleIJNSH_6TensorESM_SM_EERKSM_lbbbEUlllE0_EEPmJS6_EEE10hipError_tPvRmT3_T4_T5_T6_T7_T9_mT8_P12ihipStream_tbDpT10_ENKUlT_T0_E_clISt17integral_constantIbLb1EES1B_IbLb0EEEEDaS17_S18_EUlS17_E_NS1_11comp_targetILNS1_3genE0ELNS1_11target_archE4294967295ELNS1_3gpuE0ELNS1_3repE0EEENS1_30default_config_static_selectorELNS0_4arch9wavefront6targetE1EEEvT1_.has_indirect_call, 0
	.section	.AMDGPU.csdata,"",@progbits
; Kernel info:
; codeLenInByte = 4
; TotalNumSgprs: 6
; NumVgprs: 0
; NumAgprs: 0
; TotalNumVgprs: 0
; ScratchSize: 0
; MemoryBound: 0
; FloatMode: 240
; IeeeMode: 1
; LDSByteSize: 0 bytes/workgroup (compile time only)
; SGPRBlocks: 0
; VGPRBlocks: 0
; NumSGPRsForWavesPerEU: 6
; NumVGPRsForWavesPerEU: 1
; AccumOffset: 4
; Occupancy: 8
; WaveLimiterHint : 0
; COMPUTE_PGM_RSRC2:SCRATCH_EN: 0
; COMPUTE_PGM_RSRC2:USER_SGPR: 2
; COMPUTE_PGM_RSRC2:TRAP_HANDLER: 0
; COMPUTE_PGM_RSRC2:TGID_X_EN: 1
; COMPUTE_PGM_RSRC2:TGID_Y_EN: 0
; COMPUTE_PGM_RSRC2:TGID_Z_EN: 0
; COMPUTE_PGM_RSRC2:TIDIG_COMP_CNT: 0
; COMPUTE_PGM_RSRC3_GFX90A:ACCUM_OFFSET: 0
; COMPUTE_PGM_RSRC3_GFX90A:TG_SPLIT: 0
	.section	.text._ZN7rocprim17ROCPRIM_400000_NS6detail17trampoline_kernelINS0_14default_configENS1_25partition_config_selectorILNS1_17partition_subalgoE8ElNS0_10empty_typeEbEEZZNS1_14partition_implILS5_8ELb0ES3_jPlPS6_PKS6_NS0_5tupleIJS9_S6_EEENSD_IJSA_SA_EEENS0_18inequality_wrapperIZN2at6native12_GLOBAL__N_124unique_dim_cuda_templateIdEESt5tupleIJNSH_6TensorESM_SM_EERKSM_lbbbEUlllE0_EEPmJS6_EEE10hipError_tPvRmT3_T4_T5_T6_T7_T9_mT8_P12ihipStream_tbDpT10_ENKUlT_T0_E_clISt17integral_constantIbLb1EES1B_IbLb0EEEEDaS17_S18_EUlS17_E_NS1_11comp_targetILNS1_3genE5ELNS1_11target_archE942ELNS1_3gpuE9ELNS1_3repE0EEENS1_30default_config_static_selectorELNS0_4arch9wavefront6targetE1EEEvT1_,"axG",@progbits,_ZN7rocprim17ROCPRIM_400000_NS6detail17trampoline_kernelINS0_14default_configENS1_25partition_config_selectorILNS1_17partition_subalgoE8ElNS0_10empty_typeEbEEZZNS1_14partition_implILS5_8ELb0ES3_jPlPS6_PKS6_NS0_5tupleIJS9_S6_EEENSD_IJSA_SA_EEENS0_18inequality_wrapperIZN2at6native12_GLOBAL__N_124unique_dim_cuda_templateIdEESt5tupleIJNSH_6TensorESM_SM_EERKSM_lbbbEUlllE0_EEPmJS6_EEE10hipError_tPvRmT3_T4_T5_T6_T7_T9_mT8_P12ihipStream_tbDpT10_ENKUlT_T0_E_clISt17integral_constantIbLb1EES1B_IbLb0EEEEDaS17_S18_EUlS17_E_NS1_11comp_targetILNS1_3genE5ELNS1_11target_archE942ELNS1_3gpuE9ELNS1_3repE0EEENS1_30default_config_static_selectorELNS0_4arch9wavefront6targetE1EEEvT1_,comdat
	.globl	_ZN7rocprim17ROCPRIM_400000_NS6detail17trampoline_kernelINS0_14default_configENS1_25partition_config_selectorILNS1_17partition_subalgoE8ElNS0_10empty_typeEbEEZZNS1_14partition_implILS5_8ELb0ES3_jPlPS6_PKS6_NS0_5tupleIJS9_S6_EEENSD_IJSA_SA_EEENS0_18inequality_wrapperIZN2at6native12_GLOBAL__N_124unique_dim_cuda_templateIdEESt5tupleIJNSH_6TensorESM_SM_EERKSM_lbbbEUlllE0_EEPmJS6_EEE10hipError_tPvRmT3_T4_T5_T6_T7_T9_mT8_P12ihipStream_tbDpT10_ENKUlT_T0_E_clISt17integral_constantIbLb1EES1B_IbLb0EEEEDaS17_S18_EUlS17_E_NS1_11comp_targetILNS1_3genE5ELNS1_11target_archE942ELNS1_3gpuE9ELNS1_3repE0EEENS1_30default_config_static_selectorELNS0_4arch9wavefront6targetE1EEEvT1_ ; -- Begin function _ZN7rocprim17ROCPRIM_400000_NS6detail17trampoline_kernelINS0_14default_configENS1_25partition_config_selectorILNS1_17partition_subalgoE8ElNS0_10empty_typeEbEEZZNS1_14partition_implILS5_8ELb0ES3_jPlPS6_PKS6_NS0_5tupleIJS9_S6_EEENSD_IJSA_SA_EEENS0_18inequality_wrapperIZN2at6native12_GLOBAL__N_124unique_dim_cuda_templateIdEESt5tupleIJNSH_6TensorESM_SM_EERKSM_lbbbEUlllE0_EEPmJS6_EEE10hipError_tPvRmT3_T4_T5_T6_T7_T9_mT8_P12ihipStream_tbDpT10_ENKUlT_T0_E_clISt17integral_constantIbLb1EES1B_IbLb0EEEEDaS17_S18_EUlS17_E_NS1_11comp_targetILNS1_3genE5ELNS1_11target_archE942ELNS1_3gpuE9ELNS1_3repE0EEENS1_30default_config_static_selectorELNS0_4arch9wavefront6targetE1EEEvT1_
	.p2align	8
	.type	_ZN7rocprim17ROCPRIM_400000_NS6detail17trampoline_kernelINS0_14default_configENS1_25partition_config_selectorILNS1_17partition_subalgoE8ElNS0_10empty_typeEbEEZZNS1_14partition_implILS5_8ELb0ES3_jPlPS6_PKS6_NS0_5tupleIJS9_S6_EEENSD_IJSA_SA_EEENS0_18inequality_wrapperIZN2at6native12_GLOBAL__N_124unique_dim_cuda_templateIdEESt5tupleIJNSH_6TensorESM_SM_EERKSM_lbbbEUlllE0_EEPmJS6_EEE10hipError_tPvRmT3_T4_T5_T6_T7_T9_mT8_P12ihipStream_tbDpT10_ENKUlT_T0_E_clISt17integral_constantIbLb1EES1B_IbLb0EEEEDaS17_S18_EUlS17_E_NS1_11comp_targetILNS1_3genE5ELNS1_11target_archE942ELNS1_3gpuE9ELNS1_3repE0EEENS1_30default_config_static_selectorELNS0_4arch9wavefront6targetE1EEEvT1_,@function
_ZN7rocprim17ROCPRIM_400000_NS6detail17trampoline_kernelINS0_14default_configENS1_25partition_config_selectorILNS1_17partition_subalgoE8ElNS0_10empty_typeEbEEZZNS1_14partition_implILS5_8ELb0ES3_jPlPS6_PKS6_NS0_5tupleIJS9_S6_EEENSD_IJSA_SA_EEENS0_18inequality_wrapperIZN2at6native12_GLOBAL__N_124unique_dim_cuda_templateIdEESt5tupleIJNSH_6TensorESM_SM_EERKSM_lbbbEUlllE0_EEPmJS6_EEE10hipError_tPvRmT3_T4_T5_T6_T7_T9_mT8_P12ihipStream_tbDpT10_ENKUlT_T0_E_clISt17integral_constantIbLb1EES1B_IbLb0EEEEDaS17_S18_EUlS17_E_NS1_11comp_targetILNS1_3genE5ELNS1_11target_archE942ELNS1_3gpuE9ELNS1_3repE0EEENS1_30default_config_static_selectorELNS0_4arch9wavefront6targetE1EEEvT1_: ; @_ZN7rocprim17ROCPRIM_400000_NS6detail17trampoline_kernelINS0_14default_configENS1_25partition_config_selectorILNS1_17partition_subalgoE8ElNS0_10empty_typeEbEEZZNS1_14partition_implILS5_8ELb0ES3_jPlPS6_PKS6_NS0_5tupleIJS9_S6_EEENSD_IJSA_SA_EEENS0_18inequality_wrapperIZN2at6native12_GLOBAL__N_124unique_dim_cuda_templateIdEESt5tupleIJNSH_6TensorESM_SM_EERKSM_lbbbEUlllE0_EEPmJS6_EEE10hipError_tPvRmT3_T4_T5_T6_T7_T9_mT8_P12ihipStream_tbDpT10_ENKUlT_T0_E_clISt17integral_constantIbLb1EES1B_IbLb0EEEEDaS17_S18_EUlS17_E_NS1_11comp_targetILNS1_3genE5ELNS1_11target_archE942ELNS1_3gpuE9ELNS1_3repE0EEENS1_30default_config_static_selectorELNS0_4arch9wavefront6targetE1EEEvT1_
; %bb.0:
	.section	.rodata,"a",@progbits
	.p2align	6, 0x0
	.amdhsa_kernel _ZN7rocprim17ROCPRIM_400000_NS6detail17trampoline_kernelINS0_14default_configENS1_25partition_config_selectorILNS1_17partition_subalgoE8ElNS0_10empty_typeEbEEZZNS1_14partition_implILS5_8ELb0ES3_jPlPS6_PKS6_NS0_5tupleIJS9_S6_EEENSD_IJSA_SA_EEENS0_18inequality_wrapperIZN2at6native12_GLOBAL__N_124unique_dim_cuda_templateIdEESt5tupleIJNSH_6TensorESM_SM_EERKSM_lbbbEUlllE0_EEPmJS6_EEE10hipError_tPvRmT3_T4_T5_T6_T7_T9_mT8_P12ihipStream_tbDpT10_ENKUlT_T0_E_clISt17integral_constantIbLb1EES1B_IbLb0EEEEDaS17_S18_EUlS17_E_NS1_11comp_targetILNS1_3genE5ELNS1_11target_archE942ELNS1_3gpuE9ELNS1_3repE0EEENS1_30default_config_static_selectorELNS0_4arch9wavefront6targetE1EEEvT1_
		.amdhsa_group_segment_fixed_size 0
		.amdhsa_private_segment_fixed_size 0
		.amdhsa_kernarg_size 120
		.amdhsa_user_sgpr_count 2
		.amdhsa_user_sgpr_dispatch_ptr 0
		.amdhsa_user_sgpr_queue_ptr 0
		.amdhsa_user_sgpr_kernarg_segment_ptr 1
		.amdhsa_user_sgpr_dispatch_id 0
		.amdhsa_user_sgpr_kernarg_preload_length 0
		.amdhsa_user_sgpr_kernarg_preload_offset 0
		.amdhsa_user_sgpr_private_segment_size 0
		.amdhsa_uses_dynamic_stack 0
		.amdhsa_enable_private_segment 0
		.amdhsa_system_sgpr_workgroup_id_x 1
		.amdhsa_system_sgpr_workgroup_id_y 0
		.amdhsa_system_sgpr_workgroup_id_z 0
		.amdhsa_system_sgpr_workgroup_info 0
		.amdhsa_system_vgpr_workitem_id 0
		.amdhsa_next_free_vgpr 1
		.amdhsa_next_free_sgpr 0
		.amdhsa_accum_offset 4
		.amdhsa_reserve_vcc 0
		.amdhsa_float_round_mode_32 0
		.amdhsa_float_round_mode_16_64 0
		.amdhsa_float_denorm_mode_32 3
		.amdhsa_float_denorm_mode_16_64 3
		.amdhsa_dx10_clamp 1
		.amdhsa_ieee_mode 1
		.amdhsa_fp16_overflow 0
		.amdhsa_tg_split 0
		.amdhsa_exception_fp_ieee_invalid_op 0
		.amdhsa_exception_fp_denorm_src 0
		.amdhsa_exception_fp_ieee_div_zero 0
		.amdhsa_exception_fp_ieee_overflow 0
		.amdhsa_exception_fp_ieee_underflow 0
		.amdhsa_exception_fp_ieee_inexact 0
		.amdhsa_exception_int_div_zero 0
	.end_amdhsa_kernel
	.section	.text._ZN7rocprim17ROCPRIM_400000_NS6detail17trampoline_kernelINS0_14default_configENS1_25partition_config_selectorILNS1_17partition_subalgoE8ElNS0_10empty_typeEbEEZZNS1_14partition_implILS5_8ELb0ES3_jPlPS6_PKS6_NS0_5tupleIJS9_S6_EEENSD_IJSA_SA_EEENS0_18inequality_wrapperIZN2at6native12_GLOBAL__N_124unique_dim_cuda_templateIdEESt5tupleIJNSH_6TensorESM_SM_EERKSM_lbbbEUlllE0_EEPmJS6_EEE10hipError_tPvRmT3_T4_T5_T6_T7_T9_mT8_P12ihipStream_tbDpT10_ENKUlT_T0_E_clISt17integral_constantIbLb1EES1B_IbLb0EEEEDaS17_S18_EUlS17_E_NS1_11comp_targetILNS1_3genE5ELNS1_11target_archE942ELNS1_3gpuE9ELNS1_3repE0EEENS1_30default_config_static_selectorELNS0_4arch9wavefront6targetE1EEEvT1_,"axG",@progbits,_ZN7rocprim17ROCPRIM_400000_NS6detail17trampoline_kernelINS0_14default_configENS1_25partition_config_selectorILNS1_17partition_subalgoE8ElNS0_10empty_typeEbEEZZNS1_14partition_implILS5_8ELb0ES3_jPlPS6_PKS6_NS0_5tupleIJS9_S6_EEENSD_IJSA_SA_EEENS0_18inequality_wrapperIZN2at6native12_GLOBAL__N_124unique_dim_cuda_templateIdEESt5tupleIJNSH_6TensorESM_SM_EERKSM_lbbbEUlllE0_EEPmJS6_EEE10hipError_tPvRmT3_T4_T5_T6_T7_T9_mT8_P12ihipStream_tbDpT10_ENKUlT_T0_E_clISt17integral_constantIbLb1EES1B_IbLb0EEEEDaS17_S18_EUlS17_E_NS1_11comp_targetILNS1_3genE5ELNS1_11target_archE942ELNS1_3gpuE9ELNS1_3repE0EEENS1_30default_config_static_selectorELNS0_4arch9wavefront6targetE1EEEvT1_,comdat
.Lfunc_end824:
	.size	_ZN7rocprim17ROCPRIM_400000_NS6detail17trampoline_kernelINS0_14default_configENS1_25partition_config_selectorILNS1_17partition_subalgoE8ElNS0_10empty_typeEbEEZZNS1_14partition_implILS5_8ELb0ES3_jPlPS6_PKS6_NS0_5tupleIJS9_S6_EEENSD_IJSA_SA_EEENS0_18inequality_wrapperIZN2at6native12_GLOBAL__N_124unique_dim_cuda_templateIdEESt5tupleIJNSH_6TensorESM_SM_EERKSM_lbbbEUlllE0_EEPmJS6_EEE10hipError_tPvRmT3_T4_T5_T6_T7_T9_mT8_P12ihipStream_tbDpT10_ENKUlT_T0_E_clISt17integral_constantIbLb1EES1B_IbLb0EEEEDaS17_S18_EUlS17_E_NS1_11comp_targetILNS1_3genE5ELNS1_11target_archE942ELNS1_3gpuE9ELNS1_3repE0EEENS1_30default_config_static_selectorELNS0_4arch9wavefront6targetE1EEEvT1_, .Lfunc_end824-_ZN7rocprim17ROCPRIM_400000_NS6detail17trampoline_kernelINS0_14default_configENS1_25partition_config_selectorILNS1_17partition_subalgoE8ElNS0_10empty_typeEbEEZZNS1_14partition_implILS5_8ELb0ES3_jPlPS6_PKS6_NS0_5tupleIJS9_S6_EEENSD_IJSA_SA_EEENS0_18inequality_wrapperIZN2at6native12_GLOBAL__N_124unique_dim_cuda_templateIdEESt5tupleIJNSH_6TensorESM_SM_EERKSM_lbbbEUlllE0_EEPmJS6_EEE10hipError_tPvRmT3_T4_T5_T6_T7_T9_mT8_P12ihipStream_tbDpT10_ENKUlT_T0_E_clISt17integral_constantIbLb1EES1B_IbLb0EEEEDaS17_S18_EUlS17_E_NS1_11comp_targetILNS1_3genE5ELNS1_11target_archE942ELNS1_3gpuE9ELNS1_3repE0EEENS1_30default_config_static_selectorELNS0_4arch9wavefront6targetE1EEEvT1_
                                        ; -- End function
	.set _ZN7rocprim17ROCPRIM_400000_NS6detail17trampoline_kernelINS0_14default_configENS1_25partition_config_selectorILNS1_17partition_subalgoE8ElNS0_10empty_typeEbEEZZNS1_14partition_implILS5_8ELb0ES3_jPlPS6_PKS6_NS0_5tupleIJS9_S6_EEENSD_IJSA_SA_EEENS0_18inequality_wrapperIZN2at6native12_GLOBAL__N_124unique_dim_cuda_templateIdEESt5tupleIJNSH_6TensorESM_SM_EERKSM_lbbbEUlllE0_EEPmJS6_EEE10hipError_tPvRmT3_T4_T5_T6_T7_T9_mT8_P12ihipStream_tbDpT10_ENKUlT_T0_E_clISt17integral_constantIbLb1EES1B_IbLb0EEEEDaS17_S18_EUlS17_E_NS1_11comp_targetILNS1_3genE5ELNS1_11target_archE942ELNS1_3gpuE9ELNS1_3repE0EEENS1_30default_config_static_selectorELNS0_4arch9wavefront6targetE1EEEvT1_.num_vgpr, 0
	.set _ZN7rocprim17ROCPRIM_400000_NS6detail17trampoline_kernelINS0_14default_configENS1_25partition_config_selectorILNS1_17partition_subalgoE8ElNS0_10empty_typeEbEEZZNS1_14partition_implILS5_8ELb0ES3_jPlPS6_PKS6_NS0_5tupleIJS9_S6_EEENSD_IJSA_SA_EEENS0_18inequality_wrapperIZN2at6native12_GLOBAL__N_124unique_dim_cuda_templateIdEESt5tupleIJNSH_6TensorESM_SM_EERKSM_lbbbEUlllE0_EEPmJS6_EEE10hipError_tPvRmT3_T4_T5_T6_T7_T9_mT8_P12ihipStream_tbDpT10_ENKUlT_T0_E_clISt17integral_constantIbLb1EES1B_IbLb0EEEEDaS17_S18_EUlS17_E_NS1_11comp_targetILNS1_3genE5ELNS1_11target_archE942ELNS1_3gpuE9ELNS1_3repE0EEENS1_30default_config_static_selectorELNS0_4arch9wavefront6targetE1EEEvT1_.num_agpr, 0
	.set _ZN7rocprim17ROCPRIM_400000_NS6detail17trampoline_kernelINS0_14default_configENS1_25partition_config_selectorILNS1_17partition_subalgoE8ElNS0_10empty_typeEbEEZZNS1_14partition_implILS5_8ELb0ES3_jPlPS6_PKS6_NS0_5tupleIJS9_S6_EEENSD_IJSA_SA_EEENS0_18inequality_wrapperIZN2at6native12_GLOBAL__N_124unique_dim_cuda_templateIdEESt5tupleIJNSH_6TensorESM_SM_EERKSM_lbbbEUlllE0_EEPmJS6_EEE10hipError_tPvRmT3_T4_T5_T6_T7_T9_mT8_P12ihipStream_tbDpT10_ENKUlT_T0_E_clISt17integral_constantIbLb1EES1B_IbLb0EEEEDaS17_S18_EUlS17_E_NS1_11comp_targetILNS1_3genE5ELNS1_11target_archE942ELNS1_3gpuE9ELNS1_3repE0EEENS1_30default_config_static_selectorELNS0_4arch9wavefront6targetE1EEEvT1_.numbered_sgpr, 0
	.set _ZN7rocprim17ROCPRIM_400000_NS6detail17trampoline_kernelINS0_14default_configENS1_25partition_config_selectorILNS1_17partition_subalgoE8ElNS0_10empty_typeEbEEZZNS1_14partition_implILS5_8ELb0ES3_jPlPS6_PKS6_NS0_5tupleIJS9_S6_EEENSD_IJSA_SA_EEENS0_18inequality_wrapperIZN2at6native12_GLOBAL__N_124unique_dim_cuda_templateIdEESt5tupleIJNSH_6TensorESM_SM_EERKSM_lbbbEUlllE0_EEPmJS6_EEE10hipError_tPvRmT3_T4_T5_T6_T7_T9_mT8_P12ihipStream_tbDpT10_ENKUlT_T0_E_clISt17integral_constantIbLb1EES1B_IbLb0EEEEDaS17_S18_EUlS17_E_NS1_11comp_targetILNS1_3genE5ELNS1_11target_archE942ELNS1_3gpuE9ELNS1_3repE0EEENS1_30default_config_static_selectorELNS0_4arch9wavefront6targetE1EEEvT1_.num_named_barrier, 0
	.set _ZN7rocprim17ROCPRIM_400000_NS6detail17trampoline_kernelINS0_14default_configENS1_25partition_config_selectorILNS1_17partition_subalgoE8ElNS0_10empty_typeEbEEZZNS1_14partition_implILS5_8ELb0ES3_jPlPS6_PKS6_NS0_5tupleIJS9_S6_EEENSD_IJSA_SA_EEENS0_18inequality_wrapperIZN2at6native12_GLOBAL__N_124unique_dim_cuda_templateIdEESt5tupleIJNSH_6TensorESM_SM_EERKSM_lbbbEUlllE0_EEPmJS6_EEE10hipError_tPvRmT3_T4_T5_T6_T7_T9_mT8_P12ihipStream_tbDpT10_ENKUlT_T0_E_clISt17integral_constantIbLb1EES1B_IbLb0EEEEDaS17_S18_EUlS17_E_NS1_11comp_targetILNS1_3genE5ELNS1_11target_archE942ELNS1_3gpuE9ELNS1_3repE0EEENS1_30default_config_static_selectorELNS0_4arch9wavefront6targetE1EEEvT1_.private_seg_size, 0
	.set _ZN7rocprim17ROCPRIM_400000_NS6detail17trampoline_kernelINS0_14default_configENS1_25partition_config_selectorILNS1_17partition_subalgoE8ElNS0_10empty_typeEbEEZZNS1_14partition_implILS5_8ELb0ES3_jPlPS6_PKS6_NS0_5tupleIJS9_S6_EEENSD_IJSA_SA_EEENS0_18inequality_wrapperIZN2at6native12_GLOBAL__N_124unique_dim_cuda_templateIdEESt5tupleIJNSH_6TensorESM_SM_EERKSM_lbbbEUlllE0_EEPmJS6_EEE10hipError_tPvRmT3_T4_T5_T6_T7_T9_mT8_P12ihipStream_tbDpT10_ENKUlT_T0_E_clISt17integral_constantIbLb1EES1B_IbLb0EEEEDaS17_S18_EUlS17_E_NS1_11comp_targetILNS1_3genE5ELNS1_11target_archE942ELNS1_3gpuE9ELNS1_3repE0EEENS1_30default_config_static_selectorELNS0_4arch9wavefront6targetE1EEEvT1_.uses_vcc, 0
	.set _ZN7rocprim17ROCPRIM_400000_NS6detail17trampoline_kernelINS0_14default_configENS1_25partition_config_selectorILNS1_17partition_subalgoE8ElNS0_10empty_typeEbEEZZNS1_14partition_implILS5_8ELb0ES3_jPlPS6_PKS6_NS0_5tupleIJS9_S6_EEENSD_IJSA_SA_EEENS0_18inequality_wrapperIZN2at6native12_GLOBAL__N_124unique_dim_cuda_templateIdEESt5tupleIJNSH_6TensorESM_SM_EERKSM_lbbbEUlllE0_EEPmJS6_EEE10hipError_tPvRmT3_T4_T5_T6_T7_T9_mT8_P12ihipStream_tbDpT10_ENKUlT_T0_E_clISt17integral_constantIbLb1EES1B_IbLb0EEEEDaS17_S18_EUlS17_E_NS1_11comp_targetILNS1_3genE5ELNS1_11target_archE942ELNS1_3gpuE9ELNS1_3repE0EEENS1_30default_config_static_selectorELNS0_4arch9wavefront6targetE1EEEvT1_.uses_flat_scratch, 0
	.set _ZN7rocprim17ROCPRIM_400000_NS6detail17trampoline_kernelINS0_14default_configENS1_25partition_config_selectorILNS1_17partition_subalgoE8ElNS0_10empty_typeEbEEZZNS1_14partition_implILS5_8ELb0ES3_jPlPS6_PKS6_NS0_5tupleIJS9_S6_EEENSD_IJSA_SA_EEENS0_18inequality_wrapperIZN2at6native12_GLOBAL__N_124unique_dim_cuda_templateIdEESt5tupleIJNSH_6TensorESM_SM_EERKSM_lbbbEUlllE0_EEPmJS6_EEE10hipError_tPvRmT3_T4_T5_T6_T7_T9_mT8_P12ihipStream_tbDpT10_ENKUlT_T0_E_clISt17integral_constantIbLb1EES1B_IbLb0EEEEDaS17_S18_EUlS17_E_NS1_11comp_targetILNS1_3genE5ELNS1_11target_archE942ELNS1_3gpuE9ELNS1_3repE0EEENS1_30default_config_static_selectorELNS0_4arch9wavefront6targetE1EEEvT1_.has_dyn_sized_stack, 0
	.set _ZN7rocprim17ROCPRIM_400000_NS6detail17trampoline_kernelINS0_14default_configENS1_25partition_config_selectorILNS1_17partition_subalgoE8ElNS0_10empty_typeEbEEZZNS1_14partition_implILS5_8ELb0ES3_jPlPS6_PKS6_NS0_5tupleIJS9_S6_EEENSD_IJSA_SA_EEENS0_18inequality_wrapperIZN2at6native12_GLOBAL__N_124unique_dim_cuda_templateIdEESt5tupleIJNSH_6TensorESM_SM_EERKSM_lbbbEUlllE0_EEPmJS6_EEE10hipError_tPvRmT3_T4_T5_T6_T7_T9_mT8_P12ihipStream_tbDpT10_ENKUlT_T0_E_clISt17integral_constantIbLb1EES1B_IbLb0EEEEDaS17_S18_EUlS17_E_NS1_11comp_targetILNS1_3genE5ELNS1_11target_archE942ELNS1_3gpuE9ELNS1_3repE0EEENS1_30default_config_static_selectorELNS0_4arch9wavefront6targetE1EEEvT1_.has_recursion, 0
	.set _ZN7rocprim17ROCPRIM_400000_NS6detail17trampoline_kernelINS0_14default_configENS1_25partition_config_selectorILNS1_17partition_subalgoE8ElNS0_10empty_typeEbEEZZNS1_14partition_implILS5_8ELb0ES3_jPlPS6_PKS6_NS0_5tupleIJS9_S6_EEENSD_IJSA_SA_EEENS0_18inequality_wrapperIZN2at6native12_GLOBAL__N_124unique_dim_cuda_templateIdEESt5tupleIJNSH_6TensorESM_SM_EERKSM_lbbbEUlllE0_EEPmJS6_EEE10hipError_tPvRmT3_T4_T5_T6_T7_T9_mT8_P12ihipStream_tbDpT10_ENKUlT_T0_E_clISt17integral_constantIbLb1EES1B_IbLb0EEEEDaS17_S18_EUlS17_E_NS1_11comp_targetILNS1_3genE5ELNS1_11target_archE942ELNS1_3gpuE9ELNS1_3repE0EEENS1_30default_config_static_selectorELNS0_4arch9wavefront6targetE1EEEvT1_.has_indirect_call, 0
	.section	.AMDGPU.csdata,"",@progbits
; Kernel info:
; codeLenInByte = 0
; TotalNumSgprs: 6
; NumVgprs: 0
; NumAgprs: 0
; TotalNumVgprs: 0
; ScratchSize: 0
; MemoryBound: 0
; FloatMode: 240
; IeeeMode: 1
; LDSByteSize: 0 bytes/workgroup (compile time only)
; SGPRBlocks: 0
; VGPRBlocks: 0
; NumSGPRsForWavesPerEU: 6
; NumVGPRsForWavesPerEU: 1
; AccumOffset: 4
; Occupancy: 8
; WaveLimiterHint : 0
; COMPUTE_PGM_RSRC2:SCRATCH_EN: 0
; COMPUTE_PGM_RSRC2:USER_SGPR: 2
; COMPUTE_PGM_RSRC2:TRAP_HANDLER: 0
; COMPUTE_PGM_RSRC2:TGID_X_EN: 1
; COMPUTE_PGM_RSRC2:TGID_Y_EN: 0
; COMPUTE_PGM_RSRC2:TGID_Z_EN: 0
; COMPUTE_PGM_RSRC2:TIDIG_COMP_CNT: 0
; COMPUTE_PGM_RSRC3_GFX90A:ACCUM_OFFSET: 0
; COMPUTE_PGM_RSRC3_GFX90A:TG_SPLIT: 0
	.section	.text._ZN7rocprim17ROCPRIM_400000_NS6detail17trampoline_kernelINS0_14default_configENS1_25partition_config_selectorILNS1_17partition_subalgoE8ElNS0_10empty_typeEbEEZZNS1_14partition_implILS5_8ELb0ES3_jPlPS6_PKS6_NS0_5tupleIJS9_S6_EEENSD_IJSA_SA_EEENS0_18inequality_wrapperIZN2at6native12_GLOBAL__N_124unique_dim_cuda_templateIdEESt5tupleIJNSH_6TensorESM_SM_EERKSM_lbbbEUlllE0_EEPmJS6_EEE10hipError_tPvRmT3_T4_T5_T6_T7_T9_mT8_P12ihipStream_tbDpT10_ENKUlT_T0_E_clISt17integral_constantIbLb1EES1B_IbLb0EEEEDaS17_S18_EUlS17_E_NS1_11comp_targetILNS1_3genE4ELNS1_11target_archE910ELNS1_3gpuE8ELNS1_3repE0EEENS1_30default_config_static_selectorELNS0_4arch9wavefront6targetE1EEEvT1_,"axG",@progbits,_ZN7rocprim17ROCPRIM_400000_NS6detail17trampoline_kernelINS0_14default_configENS1_25partition_config_selectorILNS1_17partition_subalgoE8ElNS0_10empty_typeEbEEZZNS1_14partition_implILS5_8ELb0ES3_jPlPS6_PKS6_NS0_5tupleIJS9_S6_EEENSD_IJSA_SA_EEENS0_18inequality_wrapperIZN2at6native12_GLOBAL__N_124unique_dim_cuda_templateIdEESt5tupleIJNSH_6TensorESM_SM_EERKSM_lbbbEUlllE0_EEPmJS6_EEE10hipError_tPvRmT3_T4_T5_T6_T7_T9_mT8_P12ihipStream_tbDpT10_ENKUlT_T0_E_clISt17integral_constantIbLb1EES1B_IbLb0EEEEDaS17_S18_EUlS17_E_NS1_11comp_targetILNS1_3genE4ELNS1_11target_archE910ELNS1_3gpuE8ELNS1_3repE0EEENS1_30default_config_static_selectorELNS0_4arch9wavefront6targetE1EEEvT1_,comdat
	.globl	_ZN7rocprim17ROCPRIM_400000_NS6detail17trampoline_kernelINS0_14default_configENS1_25partition_config_selectorILNS1_17partition_subalgoE8ElNS0_10empty_typeEbEEZZNS1_14partition_implILS5_8ELb0ES3_jPlPS6_PKS6_NS0_5tupleIJS9_S6_EEENSD_IJSA_SA_EEENS0_18inequality_wrapperIZN2at6native12_GLOBAL__N_124unique_dim_cuda_templateIdEESt5tupleIJNSH_6TensorESM_SM_EERKSM_lbbbEUlllE0_EEPmJS6_EEE10hipError_tPvRmT3_T4_T5_T6_T7_T9_mT8_P12ihipStream_tbDpT10_ENKUlT_T0_E_clISt17integral_constantIbLb1EES1B_IbLb0EEEEDaS17_S18_EUlS17_E_NS1_11comp_targetILNS1_3genE4ELNS1_11target_archE910ELNS1_3gpuE8ELNS1_3repE0EEENS1_30default_config_static_selectorELNS0_4arch9wavefront6targetE1EEEvT1_ ; -- Begin function _ZN7rocprim17ROCPRIM_400000_NS6detail17trampoline_kernelINS0_14default_configENS1_25partition_config_selectorILNS1_17partition_subalgoE8ElNS0_10empty_typeEbEEZZNS1_14partition_implILS5_8ELb0ES3_jPlPS6_PKS6_NS0_5tupleIJS9_S6_EEENSD_IJSA_SA_EEENS0_18inequality_wrapperIZN2at6native12_GLOBAL__N_124unique_dim_cuda_templateIdEESt5tupleIJNSH_6TensorESM_SM_EERKSM_lbbbEUlllE0_EEPmJS6_EEE10hipError_tPvRmT3_T4_T5_T6_T7_T9_mT8_P12ihipStream_tbDpT10_ENKUlT_T0_E_clISt17integral_constantIbLb1EES1B_IbLb0EEEEDaS17_S18_EUlS17_E_NS1_11comp_targetILNS1_3genE4ELNS1_11target_archE910ELNS1_3gpuE8ELNS1_3repE0EEENS1_30default_config_static_selectorELNS0_4arch9wavefront6targetE1EEEvT1_
	.p2align	8
	.type	_ZN7rocprim17ROCPRIM_400000_NS6detail17trampoline_kernelINS0_14default_configENS1_25partition_config_selectorILNS1_17partition_subalgoE8ElNS0_10empty_typeEbEEZZNS1_14partition_implILS5_8ELb0ES3_jPlPS6_PKS6_NS0_5tupleIJS9_S6_EEENSD_IJSA_SA_EEENS0_18inequality_wrapperIZN2at6native12_GLOBAL__N_124unique_dim_cuda_templateIdEESt5tupleIJNSH_6TensorESM_SM_EERKSM_lbbbEUlllE0_EEPmJS6_EEE10hipError_tPvRmT3_T4_T5_T6_T7_T9_mT8_P12ihipStream_tbDpT10_ENKUlT_T0_E_clISt17integral_constantIbLb1EES1B_IbLb0EEEEDaS17_S18_EUlS17_E_NS1_11comp_targetILNS1_3genE4ELNS1_11target_archE910ELNS1_3gpuE8ELNS1_3repE0EEENS1_30default_config_static_selectorELNS0_4arch9wavefront6targetE1EEEvT1_,@function
_ZN7rocprim17ROCPRIM_400000_NS6detail17trampoline_kernelINS0_14default_configENS1_25partition_config_selectorILNS1_17partition_subalgoE8ElNS0_10empty_typeEbEEZZNS1_14partition_implILS5_8ELb0ES3_jPlPS6_PKS6_NS0_5tupleIJS9_S6_EEENSD_IJSA_SA_EEENS0_18inequality_wrapperIZN2at6native12_GLOBAL__N_124unique_dim_cuda_templateIdEESt5tupleIJNSH_6TensorESM_SM_EERKSM_lbbbEUlllE0_EEPmJS6_EEE10hipError_tPvRmT3_T4_T5_T6_T7_T9_mT8_P12ihipStream_tbDpT10_ENKUlT_T0_E_clISt17integral_constantIbLb1EES1B_IbLb0EEEEDaS17_S18_EUlS17_E_NS1_11comp_targetILNS1_3genE4ELNS1_11target_archE910ELNS1_3gpuE8ELNS1_3repE0EEENS1_30default_config_static_selectorELNS0_4arch9wavefront6targetE1EEEvT1_: ; @_ZN7rocprim17ROCPRIM_400000_NS6detail17trampoline_kernelINS0_14default_configENS1_25partition_config_selectorILNS1_17partition_subalgoE8ElNS0_10empty_typeEbEEZZNS1_14partition_implILS5_8ELb0ES3_jPlPS6_PKS6_NS0_5tupleIJS9_S6_EEENSD_IJSA_SA_EEENS0_18inequality_wrapperIZN2at6native12_GLOBAL__N_124unique_dim_cuda_templateIdEESt5tupleIJNSH_6TensorESM_SM_EERKSM_lbbbEUlllE0_EEPmJS6_EEE10hipError_tPvRmT3_T4_T5_T6_T7_T9_mT8_P12ihipStream_tbDpT10_ENKUlT_T0_E_clISt17integral_constantIbLb1EES1B_IbLb0EEEEDaS17_S18_EUlS17_E_NS1_11comp_targetILNS1_3genE4ELNS1_11target_archE910ELNS1_3gpuE8ELNS1_3repE0EEENS1_30default_config_static_selectorELNS0_4arch9wavefront6targetE1EEEvT1_
; %bb.0:
	.section	.rodata,"a",@progbits
	.p2align	6, 0x0
	.amdhsa_kernel _ZN7rocprim17ROCPRIM_400000_NS6detail17trampoline_kernelINS0_14default_configENS1_25partition_config_selectorILNS1_17partition_subalgoE8ElNS0_10empty_typeEbEEZZNS1_14partition_implILS5_8ELb0ES3_jPlPS6_PKS6_NS0_5tupleIJS9_S6_EEENSD_IJSA_SA_EEENS0_18inequality_wrapperIZN2at6native12_GLOBAL__N_124unique_dim_cuda_templateIdEESt5tupleIJNSH_6TensorESM_SM_EERKSM_lbbbEUlllE0_EEPmJS6_EEE10hipError_tPvRmT3_T4_T5_T6_T7_T9_mT8_P12ihipStream_tbDpT10_ENKUlT_T0_E_clISt17integral_constantIbLb1EES1B_IbLb0EEEEDaS17_S18_EUlS17_E_NS1_11comp_targetILNS1_3genE4ELNS1_11target_archE910ELNS1_3gpuE8ELNS1_3repE0EEENS1_30default_config_static_selectorELNS0_4arch9wavefront6targetE1EEEvT1_
		.amdhsa_group_segment_fixed_size 0
		.amdhsa_private_segment_fixed_size 0
		.amdhsa_kernarg_size 120
		.amdhsa_user_sgpr_count 2
		.amdhsa_user_sgpr_dispatch_ptr 0
		.amdhsa_user_sgpr_queue_ptr 0
		.amdhsa_user_sgpr_kernarg_segment_ptr 1
		.amdhsa_user_sgpr_dispatch_id 0
		.amdhsa_user_sgpr_kernarg_preload_length 0
		.amdhsa_user_sgpr_kernarg_preload_offset 0
		.amdhsa_user_sgpr_private_segment_size 0
		.amdhsa_uses_dynamic_stack 0
		.amdhsa_enable_private_segment 0
		.amdhsa_system_sgpr_workgroup_id_x 1
		.amdhsa_system_sgpr_workgroup_id_y 0
		.amdhsa_system_sgpr_workgroup_id_z 0
		.amdhsa_system_sgpr_workgroup_info 0
		.amdhsa_system_vgpr_workitem_id 0
		.amdhsa_next_free_vgpr 1
		.amdhsa_next_free_sgpr 0
		.amdhsa_accum_offset 4
		.amdhsa_reserve_vcc 0
		.amdhsa_float_round_mode_32 0
		.amdhsa_float_round_mode_16_64 0
		.amdhsa_float_denorm_mode_32 3
		.amdhsa_float_denorm_mode_16_64 3
		.amdhsa_dx10_clamp 1
		.amdhsa_ieee_mode 1
		.amdhsa_fp16_overflow 0
		.amdhsa_tg_split 0
		.amdhsa_exception_fp_ieee_invalid_op 0
		.amdhsa_exception_fp_denorm_src 0
		.amdhsa_exception_fp_ieee_div_zero 0
		.amdhsa_exception_fp_ieee_overflow 0
		.amdhsa_exception_fp_ieee_underflow 0
		.amdhsa_exception_fp_ieee_inexact 0
		.amdhsa_exception_int_div_zero 0
	.end_amdhsa_kernel
	.section	.text._ZN7rocprim17ROCPRIM_400000_NS6detail17trampoline_kernelINS0_14default_configENS1_25partition_config_selectorILNS1_17partition_subalgoE8ElNS0_10empty_typeEbEEZZNS1_14partition_implILS5_8ELb0ES3_jPlPS6_PKS6_NS0_5tupleIJS9_S6_EEENSD_IJSA_SA_EEENS0_18inequality_wrapperIZN2at6native12_GLOBAL__N_124unique_dim_cuda_templateIdEESt5tupleIJNSH_6TensorESM_SM_EERKSM_lbbbEUlllE0_EEPmJS6_EEE10hipError_tPvRmT3_T4_T5_T6_T7_T9_mT8_P12ihipStream_tbDpT10_ENKUlT_T0_E_clISt17integral_constantIbLb1EES1B_IbLb0EEEEDaS17_S18_EUlS17_E_NS1_11comp_targetILNS1_3genE4ELNS1_11target_archE910ELNS1_3gpuE8ELNS1_3repE0EEENS1_30default_config_static_selectorELNS0_4arch9wavefront6targetE1EEEvT1_,"axG",@progbits,_ZN7rocprim17ROCPRIM_400000_NS6detail17trampoline_kernelINS0_14default_configENS1_25partition_config_selectorILNS1_17partition_subalgoE8ElNS0_10empty_typeEbEEZZNS1_14partition_implILS5_8ELb0ES3_jPlPS6_PKS6_NS0_5tupleIJS9_S6_EEENSD_IJSA_SA_EEENS0_18inequality_wrapperIZN2at6native12_GLOBAL__N_124unique_dim_cuda_templateIdEESt5tupleIJNSH_6TensorESM_SM_EERKSM_lbbbEUlllE0_EEPmJS6_EEE10hipError_tPvRmT3_T4_T5_T6_T7_T9_mT8_P12ihipStream_tbDpT10_ENKUlT_T0_E_clISt17integral_constantIbLb1EES1B_IbLb0EEEEDaS17_S18_EUlS17_E_NS1_11comp_targetILNS1_3genE4ELNS1_11target_archE910ELNS1_3gpuE8ELNS1_3repE0EEENS1_30default_config_static_selectorELNS0_4arch9wavefront6targetE1EEEvT1_,comdat
.Lfunc_end825:
	.size	_ZN7rocprim17ROCPRIM_400000_NS6detail17trampoline_kernelINS0_14default_configENS1_25partition_config_selectorILNS1_17partition_subalgoE8ElNS0_10empty_typeEbEEZZNS1_14partition_implILS5_8ELb0ES3_jPlPS6_PKS6_NS0_5tupleIJS9_S6_EEENSD_IJSA_SA_EEENS0_18inequality_wrapperIZN2at6native12_GLOBAL__N_124unique_dim_cuda_templateIdEESt5tupleIJNSH_6TensorESM_SM_EERKSM_lbbbEUlllE0_EEPmJS6_EEE10hipError_tPvRmT3_T4_T5_T6_T7_T9_mT8_P12ihipStream_tbDpT10_ENKUlT_T0_E_clISt17integral_constantIbLb1EES1B_IbLb0EEEEDaS17_S18_EUlS17_E_NS1_11comp_targetILNS1_3genE4ELNS1_11target_archE910ELNS1_3gpuE8ELNS1_3repE0EEENS1_30default_config_static_selectorELNS0_4arch9wavefront6targetE1EEEvT1_, .Lfunc_end825-_ZN7rocprim17ROCPRIM_400000_NS6detail17trampoline_kernelINS0_14default_configENS1_25partition_config_selectorILNS1_17partition_subalgoE8ElNS0_10empty_typeEbEEZZNS1_14partition_implILS5_8ELb0ES3_jPlPS6_PKS6_NS0_5tupleIJS9_S6_EEENSD_IJSA_SA_EEENS0_18inequality_wrapperIZN2at6native12_GLOBAL__N_124unique_dim_cuda_templateIdEESt5tupleIJNSH_6TensorESM_SM_EERKSM_lbbbEUlllE0_EEPmJS6_EEE10hipError_tPvRmT3_T4_T5_T6_T7_T9_mT8_P12ihipStream_tbDpT10_ENKUlT_T0_E_clISt17integral_constantIbLb1EES1B_IbLb0EEEEDaS17_S18_EUlS17_E_NS1_11comp_targetILNS1_3genE4ELNS1_11target_archE910ELNS1_3gpuE8ELNS1_3repE0EEENS1_30default_config_static_selectorELNS0_4arch9wavefront6targetE1EEEvT1_
                                        ; -- End function
	.set _ZN7rocprim17ROCPRIM_400000_NS6detail17trampoline_kernelINS0_14default_configENS1_25partition_config_selectorILNS1_17partition_subalgoE8ElNS0_10empty_typeEbEEZZNS1_14partition_implILS5_8ELb0ES3_jPlPS6_PKS6_NS0_5tupleIJS9_S6_EEENSD_IJSA_SA_EEENS0_18inequality_wrapperIZN2at6native12_GLOBAL__N_124unique_dim_cuda_templateIdEESt5tupleIJNSH_6TensorESM_SM_EERKSM_lbbbEUlllE0_EEPmJS6_EEE10hipError_tPvRmT3_T4_T5_T6_T7_T9_mT8_P12ihipStream_tbDpT10_ENKUlT_T0_E_clISt17integral_constantIbLb1EES1B_IbLb0EEEEDaS17_S18_EUlS17_E_NS1_11comp_targetILNS1_3genE4ELNS1_11target_archE910ELNS1_3gpuE8ELNS1_3repE0EEENS1_30default_config_static_selectorELNS0_4arch9wavefront6targetE1EEEvT1_.num_vgpr, 0
	.set _ZN7rocprim17ROCPRIM_400000_NS6detail17trampoline_kernelINS0_14default_configENS1_25partition_config_selectorILNS1_17partition_subalgoE8ElNS0_10empty_typeEbEEZZNS1_14partition_implILS5_8ELb0ES3_jPlPS6_PKS6_NS0_5tupleIJS9_S6_EEENSD_IJSA_SA_EEENS0_18inequality_wrapperIZN2at6native12_GLOBAL__N_124unique_dim_cuda_templateIdEESt5tupleIJNSH_6TensorESM_SM_EERKSM_lbbbEUlllE0_EEPmJS6_EEE10hipError_tPvRmT3_T4_T5_T6_T7_T9_mT8_P12ihipStream_tbDpT10_ENKUlT_T0_E_clISt17integral_constantIbLb1EES1B_IbLb0EEEEDaS17_S18_EUlS17_E_NS1_11comp_targetILNS1_3genE4ELNS1_11target_archE910ELNS1_3gpuE8ELNS1_3repE0EEENS1_30default_config_static_selectorELNS0_4arch9wavefront6targetE1EEEvT1_.num_agpr, 0
	.set _ZN7rocprim17ROCPRIM_400000_NS6detail17trampoline_kernelINS0_14default_configENS1_25partition_config_selectorILNS1_17partition_subalgoE8ElNS0_10empty_typeEbEEZZNS1_14partition_implILS5_8ELb0ES3_jPlPS6_PKS6_NS0_5tupleIJS9_S6_EEENSD_IJSA_SA_EEENS0_18inequality_wrapperIZN2at6native12_GLOBAL__N_124unique_dim_cuda_templateIdEESt5tupleIJNSH_6TensorESM_SM_EERKSM_lbbbEUlllE0_EEPmJS6_EEE10hipError_tPvRmT3_T4_T5_T6_T7_T9_mT8_P12ihipStream_tbDpT10_ENKUlT_T0_E_clISt17integral_constantIbLb1EES1B_IbLb0EEEEDaS17_S18_EUlS17_E_NS1_11comp_targetILNS1_3genE4ELNS1_11target_archE910ELNS1_3gpuE8ELNS1_3repE0EEENS1_30default_config_static_selectorELNS0_4arch9wavefront6targetE1EEEvT1_.numbered_sgpr, 0
	.set _ZN7rocprim17ROCPRIM_400000_NS6detail17trampoline_kernelINS0_14default_configENS1_25partition_config_selectorILNS1_17partition_subalgoE8ElNS0_10empty_typeEbEEZZNS1_14partition_implILS5_8ELb0ES3_jPlPS6_PKS6_NS0_5tupleIJS9_S6_EEENSD_IJSA_SA_EEENS0_18inequality_wrapperIZN2at6native12_GLOBAL__N_124unique_dim_cuda_templateIdEESt5tupleIJNSH_6TensorESM_SM_EERKSM_lbbbEUlllE0_EEPmJS6_EEE10hipError_tPvRmT3_T4_T5_T6_T7_T9_mT8_P12ihipStream_tbDpT10_ENKUlT_T0_E_clISt17integral_constantIbLb1EES1B_IbLb0EEEEDaS17_S18_EUlS17_E_NS1_11comp_targetILNS1_3genE4ELNS1_11target_archE910ELNS1_3gpuE8ELNS1_3repE0EEENS1_30default_config_static_selectorELNS0_4arch9wavefront6targetE1EEEvT1_.num_named_barrier, 0
	.set _ZN7rocprim17ROCPRIM_400000_NS6detail17trampoline_kernelINS0_14default_configENS1_25partition_config_selectorILNS1_17partition_subalgoE8ElNS0_10empty_typeEbEEZZNS1_14partition_implILS5_8ELb0ES3_jPlPS6_PKS6_NS0_5tupleIJS9_S6_EEENSD_IJSA_SA_EEENS0_18inequality_wrapperIZN2at6native12_GLOBAL__N_124unique_dim_cuda_templateIdEESt5tupleIJNSH_6TensorESM_SM_EERKSM_lbbbEUlllE0_EEPmJS6_EEE10hipError_tPvRmT3_T4_T5_T6_T7_T9_mT8_P12ihipStream_tbDpT10_ENKUlT_T0_E_clISt17integral_constantIbLb1EES1B_IbLb0EEEEDaS17_S18_EUlS17_E_NS1_11comp_targetILNS1_3genE4ELNS1_11target_archE910ELNS1_3gpuE8ELNS1_3repE0EEENS1_30default_config_static_selectorELNS0_4arch9wavefront6targetE1EEEvT1_.private_seg_size, 0
	.set _ZN7rocprim17ROCPRIM_400000_NS6detail17trampoline_kernelINS0_14default_configENS1_25partition_config_selectorILNS1_17partition_subalgoE8ElNS0_10empty_typeEbEEZZNS1_14partition_implILS5_8ELb0ES3_jPlPS6_PKS6_NS0_5tupleIJS9_S6_EEENSD_IJSA_SA_EEENS0_18inequality_wrapperIZN2at6native12_GLOBAL__N_124unique_dim_cuda_templateIdEESt5tupleIJNSH_6TensorESM_SM_EERKSM_lbbbEUlllE0_EEPmJS6_EEE10hipError_tPvRmT3_T4_T5_T6_T7_T9_mT8_P12ihipStream_tbDpT10_ENKUlT_T0_E_clISt17integral_constantIbLb1EES1B_IbLb0EEEEDaS17_S18_EUlS17_E_NS1_11comp_targetILNS1_3genE4ELNS1_11target_archE910ELNS1_3gpuE8ELNS1_3repE0EEENS1_30default_config_static_selectorELNS0_4arch9wavefront6targetE1EEEvT1_.uses_vcc, 0
	.set _ZN7rocprim17ROCPRIM_400000_NS6detail17trampoline_kernelINS0_14default_configENS1_25partition_config_selectorILNS1_17partition_subalgoE8ElNS0_10empty_typeEbEEZZNS1_14partition_implILS5_8ELb0ES3_jPlPS6_PKS6_NS0_5tupleIJS9_S6_EEENSD_IJSA_SA_EEENS0_18inequality_wrapperIZN2at6native12_GLOBAL__N_124unique_dim_cuda_templateIdEESt5tupleIJNSH_6TensorESM_SM_EERKSM_lbbbEUlllE0_EEPmJS6_EEE10hipError_tPvRmT3_T4_T5_T6_T7_T9_mT8_P12ihipStream_tbDpT10_ENKUlT_T0_E_clISt17integral_constantIbLb1EES1B_IbLb0EEEEDaS17_S18_EUlS17_E_NS1_11comp_targetILNS1_3genE4ELNS1_11target_archE910ELNS1_3gpuE8ELNS1_3repE0EEENS1_30default_config_static_selectorELNS0_4arch9wavefront6targetE1EEEvT1_.uses_flat_scratch, 0
	.set _ZN7rocprim17ROCPRIM_400000_NS6detail17trampoline_kernelINS0_14default_configENS1_25partition_config_selectorILNS1_17partition_subalgoE8ElNS0_10empty_typeEbEEZZNS1_14partition_implILS5_8ELb0ES3_jPlPS6_PKS6_NS0_5tupleIJS9_S6_EEENSD_IJSA_SA_EEENS0_18inequality_wrapperIZN2at6native12_GLOBAL__N_124unique_dim_cuda_templateIdEESt5tupleIJNSH_6TensorESM_SM_EERKSM_lbbbEUlllE0_EEPmJS6_EEE10hipError_tPvRmT3_T4_T5_T6_T7_T9_mT8_P12ihipStream_tbDpT10_ENKUlT_T0_E_clISt17integral_constantIbLb1EES1B_IbLb0EEEEDaS17_S18_EUlS17_E_NS1_11comp_targetILNS1_3genE4ELNS1_11target_archE910ELNS1_3gpuE8ELNS1_3repE0EEENS1_30default_config_static_selectorELNS0_4arch9wavefront6targetE1EEEvT1_.has_dyn_sized_stack, 0
	.set _ZN7rocprim17ROCPRIM_400000_NS6detail17trampoline_kernelINS0_14default_configENS1_25partition_config_selectorILNS1_17partition_subalgoE8ElNS0_10empty_typeEbEEZZNS1_14partition_implILS5_8ELb0ES3_jPlPS6_PKS6_NS0_5tupleIJS9_S6_EEENSD_IJSA_SA_EEENS0_18inequality_wrapperIZN2at6native12_GLOBAL__N_124unique_dim_cuda_templateIdEESt5tupleIJNSH_6TensorESM_SM_EERKSM_lbbbEUlllE0_EEPmJS6_EEE10hipError_tPvRmT3_T4_T5_T6_T7_T9_mT8_P12ihipStream_tbDpT10_ENKUlT_T0_E_clISt17integral_constantIbLb1EES1B_IbLb0EEEEDaS17_S18_EUlS17_E_NS1_11comp_targetILNS1_3genE4ELNS1_11target_archE910ELNS1_3gpuE8ELNS1_3repE0EEENS1_30default_config_static_selectorELNS0_4arch9wavefront6targetE1EEEvT1_.has_recursion, 0
	.set _ZN7rocprim17ROCPRIM_400000_NS6detail17trampoline_kernelINS0_14default_configENS1_25partition_config_selectorILNS1_17partition_subalgoE8ElNS0_10empty_typeEbEEZZNS1_14partition_implILS5_8ELb0ES3_jPlPS6_PKS6_NS0_5tupleIJS9_S6_EEENSD_IJSA_SA_EEENS0_18inequality_wrapperIZN2at6native12_GLOBAL__N_124unique_dim_cuda_templateIdEESt5tupleIJNSH_6TensorESM_SM_EERKSM_lbbbEUlllE0_EEPmJS6_EEE10hipError_tPvRmT3_T4_T5_T6_T7_T9_mT8_P12ihipStream_tbDpT10_ENKUlT_T0_E_clISt17integral_constantIbLb1EES1B_IbLb0EEEEDaS17_S18_EUlS17_E_NS1_11comp_targetILNS1_3genE4ELNS1_11target_archE910ELNS1_3gpuE8ELNS1_3repE0EEENS1_30default_config_static_selectorELNS0_4arch9wavefront6targetE1EEEvT1_.has_indirect_call, 0
	.section	.AMDGPU.csdata,"",@progbits
; Kernel info:
; codeLenInByte = 0
; TotalNumSgprs: 6
; NumVgprs: 0
; NumAgprs: 0
; TotalNumVgprs: 0
; ScratchSize: 0
; MemoryBound: 0
; FloatMode: 240
; IeeeMode: 1
; LDSByteSize: 0 bytes/workgroup (compile time only)
; SGPRBlocks: 0
; VGPRBlocks: 0
; NumSGPRsForWavesPerEU: 6
; NumVGPRsForWavesPerEU: 1
; AccumOffset: 4
; Occupancy: 8
; WaveLimiterHint : 0
; COMPUTE_PGM_RSRC2:SCRATCH_EN: 0
; COMPUTE_PGM_RSRC2:USER_SGPR: 2
; COMPUTE_PGM_RSRC2:TRAP_HANDLER: 0
; COMPUTE_PGM_RSRC2:TGID_X_EN: 1
; COMPUTE_PGM_RSRC2:TGID_Y_EN: 0
; COMPUTE_PGM_RSRC2:TGID_Z_EN: 0
; COMPUTE_PGM_RSRC2:TIDIG_COMP_CNT: 0
; COMPUTE_PGM_RSRC3_GFX90A:ACCUM_OFFSET: 0
; COMPUTE_PGM_RSRC3_GFX90A:TG_SPLIT: 0
	.section	.text._ZN7rocprim17ROCPRIM_400000_NS6detail17trampoline_kernelINS0_14default_configENS1_25partition_config_selectorILNS1_17partition_subalgoE8ElNS0_10empty_typeEbEEZZNS1_14partition_implILS5_8ELb0ES3_jPlPS6_PKS6_NS0_5tupleIJS9_S6_EEENSD_IJSA_SA_EEENS0_18inequality_wrapperIZN2at6native12_GLOBAL__N_124unique_dim_cuda_templateIdEESt5tupleIJNSH_6TensorESM_SM_EERKSM_lbbbEUlllE0_EEPmJS6_EEE10hipError_tPvRmT3_T4_T5_T6_T7_T9_mT8_P12ihipStream_tbDpT10_ENKUlT_T0_E_clISt17integral_constantIbLb1EES1B_IbLb0EEEEDaS17_S18_EUlS17_E_NS1_11comp_targetILNS1_3genE3ELNS1_11target_archE908ELNS1_3gpuE7ELNS1_3repE0EEENS1_30default_config_static_selectorELNS0_4arch9wavefront6targetE1EEEvT1_,"axG",@progbits,_ZN7rocprim17ROCPRIM_400000_NS6detail17trampoline_kernelINS0_14default_configENS1_25partition_config_selectorILNS1_17partition_subalgoE8ElNS0_10empty_typeEbEEZZNS1_14partition_implILS5_8ELb0ES3_jPlPS6_PKS6_NS0_5tupleIJS9_S6_EEENSD_IJSA_SA_EEENS0_18inequality_wrapperIZN2at6native12_GLOBAL__N_124unique_dim_cuda_templateIdEESt5tupleIJNSH_6TensorESM_SM_EERKSM_lbbbEUlllE0_EEPmJS6_EEE10hipError_tPvRmT3_T4_T5_T6_T7_T9_mT8_P12ihipStream_tbDpT10_ENKUlT_T0_E_clISt17integral_constantIbLb1EES1B_IbLb0EEEEDaS17_S18_EUlS17_E_NS1_11comp_targetILNS1_3genE3ELNS1_11target_archE908ELNS1_3gpuE7ELNS1_3repE0EEENS1_30default_config_static_selectorELNS0_4arch9wavefront6targetE1EEEvT1_,comdat
	.globl	_ZN7rocprim17ROCPRIM_400000_NS6detail17trampoline_kernelINS0_14default_configENS1_25partition_config_selectorILNS1_17partition_subalgoE8ElNS0_10empty_typeEbEEZZNS1_14partition_implILS5_8ELb0ES3_jPlPS6_PKS6_NS0_5tupleIJS9_S6_EEENSD_IJSA_SA_EEENS0_18inequality_wrapperIZN2at6native12_GLOBAL__N_124unique_dim_cuda_templateIdEESt5tupleIJNSH_6TensorESM_SM_EERKSM_lbbbEUlllE0_EEPmJS6_EEE10hipError_tPvRmT3_T4_T5_T6_T7_T9_mT8_P12ihipStream_tbDpT10_ENKUlT_T0_E_clISt17integral_constantIbLb1EES1B_IbLb0EEEEDaS17_S18_EUlS17_E_NS1_11comp_targetILNS1_3genE3ELNS1_11target_archE908ELNS1_3gpuE7ELNS1_3repE0EEENS1_30default_config_static_selectorELNS0_4arch9wavefront6targetE1EEEvT1_ ; -- Begin function _ZN7rocprim17ROCPRIM_400000_NS6detail17trampoline_kernelINS0_14default_configENS1_25partition_config_selectorILNS1_17partition_subalgoE8ElNS0_10empty_typeEbEEZZNS1_14partition_implILS5_8ELb0ES3_jPlPS6_PKS6_NS0_5tupleIJS9_S6_EEENSD_IJSA_SA_EEENS0_18inequality_wrapperIZN2at6native12_GLOBAL__N_124unique_dim_cuda_templateIdEESt5tupleIJNSH_6TensorESM_SM_EERKSM_lbbbEUlllE0_EEPmJS6_EEE10hipError_tPvRmT3_T4_T5_T6_T7_T9_mT8_P12ihipStream_tbDpT10_ENKUlT_T0_E_clISt17integral_constantIbLb1EES1B_IbLb0EEEEDaS17_S18_EUlS17_E_NS1_11comp_targetILNS1_3genE3ELNS1_11target_archE908ELNS1_3gpuE7ELNS1_3repE0EEENS1_30default_config_static_selectorELNS0_4arch9wavefront6targetE1EEEvT1_
	.p2align	8
	.type	_ZN7rocprim17ROCPRIM_400000_NS6detail17trampoline_kernelINS0_14default_configENS1_25partition_config_selectorILNS1_17partition_subalgoE8ElNS0_10empty_typeEbEEZZNS1_14partition_implILS5_8ELb0ES3_jPlPS6_PKS6_NS0_5tupleIJS9_S6_EEENSD_IJSA_SA_EEENS0_18inequality_wrapperIZN2at6native12_GLOBAL__N_124unique_dim_cuda_templateIdEESt5tupleIJNSH_6TensorESM_SM_EERKSM_lbbbEUlllE0_EEPmJS6_EEE10hipError_tPvRmT3_T4_T5_T6_T7_T9_mT8_P12ihipStream_tbDpT10_ENKUlT_T0_E_clISt17integral_constantIbLb1EES1B_IbLb0EEEEDaS17_S18_EUlS17_E_NS1_11comp_targetILNS1_3genE3ELNS1_11target_archE908ELNS1_3gpuE7ELNS1_3repE0EEENS1_30default_config_static_selectorELNS0_4arch9wavefront6targetE1EEEvT1_,@function
_ZN7rocprim17ROCPRIM_400000_NS6detail17trampoline_kernelINS0_14default_configENS1_25partition_config_selectorILNS1_17partition_subalgoE8ElNS0_10empty_typeEbEEZZNS1_14partition_implILS5_8ELb0ES3_jPlPS6_PKS6_NS0_5tupleIJS9_S6_EEENSD_IJSA_SA_EEENS0_18inequality_wrapperIZN2at6native12_GLOBAL__N_124unique_dim_cuda_templateIdEESt5tupleIJNSH_6TensorESM_SM_EERKSM_lbbbEUlllE0_EEPmJS6_EEE10hipError_tPvRmT3_T4_T5_T6_T7_T9_mT8_P12ihipStream_tbDpT10_ENKUlT_T0_E_clISt17integral_constantIbLb1EES1B_IbLb0EEEEDaS17_S18_EUlS17_E_NS1_11comp_targetILNS1_3genE3ELNS1_11target_archE908ELNS1_3gpuE7ELNS1_3repE0EEENS1_30default_config_static_selectorELNS0_4arch9wavefront6targetE1EEEvT1_: ; @_ZN7rocprim17ROCPRIM_400000_NS6detail17trampoline_kernelINS0_14default_configENS1_25partition_config_selectorILNS1_17partition_subalgoE8ElNS0_10empty_typeEbEEZZNS1_14partition_implILS5_8ELb0ES3_jPlPS6_PKS6_NS0_5tupleIJS9_S6_EEENSD_IJSA_SA_EEENS0_18inequality_wrapperIZN2at6native12_GLOBAL__N_124unique_dim_cuda_templateIdEESt5tupleIJNSH_6TensorESM_SM_EERKSM_lbbbEUlllE0_EEPmJS6_EEE10hipError_tPvRmT3_T4_T5_T6_T7_T9_mT8_P12ihipStream_tbDpT10_ENKUlT_T0_E_clISt17integral_constantIbLb1EES1B_IbLb0EEEEDaS17_S18_EUlS17_E_NS1_11comp_targetILNS1_3genE3ELNS1_11target_archE908ELNS1_3gpuE7ELNS1_3repE0EEENS1_30default_config_static_selectorELNS0_4arch9wavefront6targetE1EEEvT1_
; %bb.0:
	.section	.rodata,"a",@progbits
	.p2align	6, 0x0
	.amdhsa_kernel _ZN7rocprim17ROCPRIM_400000_NS6detail17trampoline_kernelINS0_14default_configENS1_25partition_config_selectorILNS1_17partition_subalgoE8ElNS0_10empty_typeEbEEZZNS1_14partition_implILS5_8ELb0ES3_jPlPS6_PKS6_NS0_5tupleIJS9_S6_EEENSD_IJSA_SA_EEENS0_18inequality_wrapperIZN2at6native12_GLOBAL__N_124unique_dim_cuda_templateIdEESt5tupleIJNSH_6TensorESM_SM_EERKSM_lbbbEUlllE0_EEPmJS6_EEE10hipError_tPvRmT3_T4_T5_T6_T7_T9_mT8_P12ihipStream_tbDpT10_ENKUlT_T0_E_clISt17integral_constantIbLb1EES1B_IbLb0EEEEDaS17_S18_EUlS17_E_NS1_11comp_targetILNS1_3genE3ELNS1_11target_archE908ELNS1_3gpuE7ELNS1_3repE0EEENS1_30default_config_static_selectorELNS0_4arch9wavefront6targetE1EEEvT1_
		.amdhsa_group_segment_fixed_size 0
		.amdhsa_private_segment_fixed_size 0
		.amdhsa_kernarg_size 120
		.amdhsa_user_sgpr_count 2
		.amdhsa_user_sgpr_dispatch_ptr 0
		.amdhsa_user_sgpr_queue_ptr 0
		.amdhsa_user_sgpr_kernarg_segment_ptr 1
		.amdhsa_user_sgpr_dispatch_id 0
		.amdhsa_user_sgpr_kernarg_preload_length 0
		.amdhsa_user_sgpr_kernarg_preload_offset 0
		.amdhsa_user_sgpr_private_segment_size 0
		.amdhsa_uses_dynamic_stack 0
		.amdhsa_enable_private_segment 0
		.amdhsa_system_sgpr_workgroup_id_x 1
		.amdhsa_system_sgpr_workgroup_id_y 0
		.amdhsa_system_sgpr_workgroup_id_z 0
		.amdhsa_system_sgpr_workgroup_info 0
		.amdhsa_system_vgpr_workitem_id 0
		.amdhsa_next_free_vgpr 1
		.amdhsa_next_free_sgpr 0
		.amdhsa_accum_offset 4
		.amdhsa_reserve_vcc 0
		.amdhsa_float_round_mode_32 0
		.amdhsa_float_round_mode_16_64 0
		.amdhsa_float_denorm_mode_32 3
		.amdhsa_float_denorm_mode_16_64 3
		.amdhsa_dx10_clamp 1
		.amdhsa_ieee_mode 1
		.amdhsa_fp16_overflow 0
		.amdhsa_tg_split 0
		.amdhsa_exception_fp_ieee_invalid_op 0
		.amdhsa_exception_fp_denorm_src 0
		.amdhsa_exception_fp_ieee_div_zero 0
		.amdhsa_exception_fp_ieee_overflow 0
		.amdhsa_exception_fp_ieee_underflow 0
		.amdhsa_exception_fp_ieee_inexact 0
		.amdhsa_exception_int_div_zero 0
	.end_amdhsa_kernel
	.section	.text._ZN7rocprim17ROCPRIM_400000_NS6detail17trampoline_kernelINS0_14default_configENS1_25partition_config_selectorILNS1_17partition_subalgoE8ElNS0_10empty_typeEbEEZZNS1_14partition_implILS5_8ELb0ES3_jPlPS6_PKS6_NS0_5tupleIJS9_S6_EEENSD_IJSA_SA_EEENS0_18inequality_wrapperIZN2at6native12_GLOBAL__N_124unique_dim_cuda_templateIdEESt5tupleIJNSH_6TensorESM_SM_EERKSM_lbbbEUlllE0_EEPmJS6_EEE10hipError_tPvRmT3_T4_T5_T6_T7_T9_mT8_P12ihipStream_tbDpT10_ENKUlT_T0_E_clISt17integral_constantIbLb1EES1B_IbLb0EEEEDaS17_S18_EUlS17_E_NS1_11comp_targetILNS1_3genE3ELNS1_11target_archE908ELNS1_3gpuE7ELNS1_3repE0EEENS1_30default_config_static_selectorELNS0_4arch9wavefront6targetE1EEEvT1_,"axG",@progbits,_ZN7rocprim17ROCPRIM_400000_NS6detail17trampoline_kernelINS0_14default_configENS1_25partition_config_selectorILNS1_17partition_subalgoE8ElNS0_10empty_typeEbEEZZNS1_14partition_implILS5_8ELb0ES3_jPlPS6_PKS6_NS0_5tupleIJS9_S6_EEENSD_IJSA_SA_EEENS0_18inequality_wrapperIZN2at6native12_GLOBAL__N_124unique_dim_cuda_templateIdEESt5tupleIJNSH_6TensorESM_SM_EERKSM_lbbbEUlllE0_EEPmJS6_EEE10hipError_tPvRmT3_T4_T5_T6_T7_T9_mT8_P12ihipStream_tbDpT10_ENKUlT_T0_E_clISt17integral_constantIbLb1EES1B_IbLb0EEEEDaS17_S18_EUlS17_E_NS1_11comp_targetILNS1_3genE3ELNS1_11target_archE908ELNS1_3gpuE7ELNS1_3repE0EEENS1_30default_config_static_selectorELNS0_4arch9wavefront6targetE1EEEvT1_,comdat
.Lfunc_end826:
	.size	_ZN7rocprim17ROCPRIM_400000_NS6detail17trampoline_kernelINS0_14default_configENS1_25partition_config_selectorILNS1_17partition_subalgoE8ElNS0_10empty_typeEbEEZZNS1_14partition_implILS5_8ELb0ES3_jPlPS6_PKS6_NS0_5tupleIJS9_S6_EEENSD_IJSA_SA_EEENS0_18inequality_wrapperIZN2at6native12_GLOBAL__N_124unique_dim_cuda_templateIdEESt5tupleIJNSH_6TensorESM_SM_EERKSM_lbbbEUlllE0_EEPmJS6_EEE10hipError_tPvRmT3_T4_T5_T6_T7_T9_mT8_P12ihipStream_tbDpT10_ENKUlT_T0_E_clISt17integral_constantIbLb1EES1B_IbLb0EEEEDaS17_S18_EUlS17_E_NS1_11comp_targetILNS1_3genE3ELNS1_11target_archE908ELNS1_3gpuE7ELNS1_3repE0EEENS1_30default_config_static_selectorELNS0_4arch9wavefront6targetE1EEEvT1_, .Lfunc_end826-_ZN7rocprim17ROCPRIM_400000_NS6detail17trampoline_kernelINS0_14default_configENS1_25partition_config_selectorILNS1_17partition_subalgoE8ElNS0_10empty_typeEbEEZZNS1_14partition_implILS5_8ELb0ES3_jPlPS6_PKS6_NS0_5tupleIJS9_S6_EEENSD_IJSA_SA_EEENS0_18inequality_wrapperIZN2at6native12_GLOBAL__N_124unique_dim_cuda_templateIdEESt5tupleIJNSH_6TensorESM_SM_EERKSM_lbbbEUlllE0_EEPmJS6_EEE10hipError_tPvRmT3_T4_T5_T6_T7_T9_mT8_P12ihipStream_tbDpT10_ENKUlT_T0_E_clISt17integral_constantIbLb1EES1B_IbLb0EEEEDaS17_S18_EUlS17_E_NS1_11comp_targetILNS1_3genE3ELNS1_11target_archE908ELNS1_3gpuE7ELNS1_3repE0EEENS1_30default_config_static_selectorELNS0_4arch9wavefront6targetE1EEEvT1_
                                        ; -- End function
	.set _ZN7rocprim17ROCPRIM_400000_NS6detail17trampoline_kernelINS0_14default_configENS1_25partition_config_selectorILNS1_17partition_subalgoE8ElNS0_10empty_typeEbEEZZNS1_14partition_implILS5_8ELb0ES3_jPlPS6_PKS6_NS0_5tupleIJS9_S6_EEENSD_IJSA_SA_EEENS0_18inequality_wrapperIZN2at6native12_GLOBAL__N_124unique_dim_cuda_templateIdEESt5tupleIJNSH_6TensorESM_SM_EERKSM_lbbbEUlllE0_EEPmJS6_EEE10hipError_tPvRmT3_T4_T5_T6_T7_T9_mT8_P12ihipStream_tbDpT10_ENKUlT_T0_E_clISt17integral_constantIbLb1EES1B_IbLb0EEEEDaS17_S18_EUlS17_E_NS1_11comp_targetILNS1_3genE3ELNS1_11target_archE908ELNS1_3gpuE7ELNS1_3repE0EEENS1_30default_config_static_selectorELNS0_4arch9wavefront6targetE1EEEvT1_.num_vgpr, 0
	.set _ZN7rocprim17ROCPRIM_400000_NS6detail17trampoline_kernelINS0_14default_configENS1_25partition_config_selectorILNS1_17partition_subalgoE8ElNS0_10empty_typeEbEEZZNS1_14partition_implILS5_8ELb0ES3_jPlPS6_PKS6_NS0_5tupleIJS9_S6_EEENSD_IJSA_SA_EEENS0_18inequality_wrapperIZN2at6native12_GLOBAL__N_124unique_dim_cuda_templateIdEESt5tupleIJNSH_6TensorESM_SM_EERKSM_lbbbEUlllE0_EEPmJS6_EEE10hipError_tPvRmT3_T4_T5_T6_T7_T9_mT8_P12ihipStream_tbDpT10_ENKUlT_T0_E_clISt17integral_constantIbLb1EES1B_IbLb0EEEEDaS17_S18_EUlS17_E_NS1_11comp_targetILNS1_3genE3ELNS1_11target_archE908ELNS1_3gpuE7ELNS1_3repE0EEENS1_30default_config_static_selectorELNS0_4arch9wavefront6targetE1EEEvT1_.num_agpr, 0
	.set _ZN7rocprim17ROCPRIM_400000_NS6detail17trampoline_kernelINS0_14default_configENS1_25partition_config_selectorILNS1_17partition_subalgoE8ElNS0_10empty_typeEbEEZZNS1_14partition_implILS5_8ELb0ES3_jPlPS6_PKS6_NS0_5tupleIJS9_S6_EEENSD_IJSA_SA_EEENS0_18inequality_wrapperIZN2at6native12_GLOBAL__N_124unique_dim_cuda_templateIdEESt5tupleIJNSH_6TensorESM_SM_EERKSM_lbbbEUlllE0_EEPmJS6_EEE10hipError_tPvRmT3_T4_T5_T6_T7_T9_mT8_P12ihipStream_tbDpT10_ENKUlT_T0_E_clISt17integral_constantIbLb1EES1B_IbLb0EEEEDaS17_S18_EUlS17_E_NS1_11comp_targetILNS1_3genE3ELNS1_11target_archE908ELNS1_3gpuE7ELNS1_3repE0EEENS1_30default_config_static_selectorELNS0_4arch9wavefront6targetE1EEEvT1_.numbered_sgpr, 0
	.set _ZN7rocprim17ROCPRIM_400000_NS6detail17trampoline_kernelINS0_14default_configENS1_25partition_config_selectorILNS1_17partition_subalgoE8ElNS0_10empty_typeEbEEZZNS1_14partition_implILS5_8ELb0ES3_jPlPS6_PKS6_NS0_5tupleIJS9_S6_EEENSD_IJSA_SA_EEENS0_18inequality_wrapperIZN2at6native12_GLOBAL__N_124unique_dim_cuda_templateIdEESt5tupleIJNSH_6TensorESM_SM_EERKSM_lbbbEUlllE0_EEPmJS6_EEE10hipError_tPvRmT3_T4_T5_T6_T7_T9_mT8_P12ihipStream_tbDpT10_ENKUlT_T0_E_clISt17integral_constantIbLb1EES1B_IbLb0EEEEDaS17_S18_EUlS17_E_NS1_11comp_targetILNS1_3genE3ELNS1_11target_archE908ELNS1_3gpuE7ELNS1_3repE0EEENS1_30default_config_static_selectorELNS0_4arch9wavefront6targetE1EEEvT1_.num_named_barrier, 0
	.set _ZN7rocprim17ROCPRIM_400000_NS6detail17trampoline_kernelINS0_14default_configENS1_25partition_config_selectorILNS1_17partition_subalgoE8ElNS0_10empty_typeEbEEZZNS1_14partition_implILS5_8ELb0ES3_jPlPS6_PKS6_NS0_5tupleIJS9_S6_EEENSD_IJSA_SA_EEENS0_18inequality_wrapperIZN2at6native12_GLOBAL__N_124unique_dim_cuda_templateIdEESt5tupleIJNSH_6TensorESM_SM_EERKSM_lbbbEUlllE0_EEPmJS6_EEE10hipError_tPvRmT3_T4_T5_T6_T7_T9_mT8_P12ihipStream_tbDpT10_ENKUlT_T0_E_clISt17integral_constantIbLb1EES1B_IbLb0EEEEDaS17_S18_EUlS17_E_NS1_11comp_targetILNS1_3genE3ELNS1_11target_archE908ELNS1_3gpuE7ELNS1_3repE0EEENS1_30default_config_static_selectorELNS0_4arch9wavefront6targetE1EEEvT1_.private_seg_size, 0
	.set _ZN7rocprim17ROCPRIM_400000_NS6detail17trampoline_kernelINS0_14default_configENS1_25partition_config_selectorILNS1_17partition_subalgoE8ElNS0_10empty_typeEbEEZZNS1_14partition_implILS5_8ELb0ES3_jPlPS6_PKS6_NS0_5tupleIJS9_S6_EEENSD_IJSA_SA_EEENS0_18inequality_wrapperIZN2at6native12_GLOBAL__N_124unique_dim_cuda_templateIdEESt5tupleIJNSH_6TensorESM_SM_EERKSM_lbbbEUlllE0_EEPmJS6_EEE10hipError_tPvRmT3_T4_T5_T6_T7_T9_mT8_P12ihipStream_tbDpT10_ENKUlT_T0_E_clISt17integral_constantIbLb1EES1B_IbLb0EEEEDaS17_S18_EUlS17_E_NS1_11comp_targetILNS1_3genE3ELNS1_11target_archE908ELNS1_3gpuE7ELNS1_3repE0EEENS1_30default_config_static_selectorELNS0_4arch9wavefront6targetE1EEEvT1_.uses_vcc, 0
	.set _ZN7rocprim17ROCPRIM_400000_NS6detail17trampoline_kernelINS0_14default_configENS1_25partition_config_selectorILNS1_17partition_subalgoE8ElNS0_10empty_typeEbEEZZNS1_14partition_implILS5_8ELb0ES3_jPlPS6_PKS6_NS0_5tupleIJS9_S6_EEENSD_IJSA_SA_EEENS0_18inequality_wrapperIZN2at6native12_GLOBAL__N_124unique_dim_cuda_templateIdEESt5tupleIJNSH_6TensorESM_SM_EERKSM_lbbbEUlllE0_EEPmJS6_EEE10hipError_tPvRmT3_T4_T5_T6_T7_T9_mT8_P12ihipStream_tbDpT10_ENKUlT_T0_E_clISt17integral_constantIbLb1EES1B_IbLb0EEEEDaS17_S18_EUlS17_E_NS1_11comp_targetILNS1_3genE3ELNS1_11target_archE908ELNS1_3gpuE7ELNS1_3repE0EEENS1_30default_config_static_selectorELNS0_4arch9wavefront6targetE1EEEvT1_.uses_flat_scratch, 0
	.set _ZN7rocprim17ROCPRIM_400000_NS6detail17trampoline_kernelINS0_14default_configENS1_25partition_config_selectorILNS1_17partition_subalgoE8ElNS0_10empty_typeEbEEZZNS1_14partition_implILS5_8ELb0ES3_jPlPS6_PKS6_NS0_5tupleIJS9_S6_EEENSD_IJSA_SA_EEENS0_18inequality_wrapperIZN2at6native12_GLOBAL__N_124unique_dim_cuda_templateIdEESt5tupleIJNSH_6TensorESM_SM_EERKSM_lbbbEUlllE0_EEPmJS6_EEE10hipError_tPvRmT3_T4_T5_T6_T7_T9_mT8_P12ihipStream_tbDpT10_ENKUlT_T0_E_clISt17integral_constantIbLb1EES1B_IbLb0EEEEDaS17_S18_EUlS17_E_NS1_11comp_targetILNS1_3genE3ELNS1_11target_archE908ELNS1_3gpuE7ELNS1_3repE0EEENS1_30default_config_static_selectorELNS0_4arch9wavefront6targetE1EEEvT1_.has_dyn_sized_stack, 0
	.set _ZN7rocprim17ROCPRIM_400000_NS6detail17trampoline_kernelINS0_14default_configENS1_25partition_config_selectorILNS1_17partition_subalgoE8ElNS0_10empty_typeEbEEZZNS1_14partition_implILS5_8ELb0ES3_jPlPS6_PKS6_NS0_5tupleIJS9_S6_EEENSD_IJSA_SA_EEENS0_18inequality_wrapperIZN2at6native12_GLOBAL__N_124unique_dim_cuda_templateIdEESt5tupleIJNSH_6TensorESM_SM_EERKSM_lbbbEUlllE0_EEPmJS6_EEE10hipError_tPvRmT3_T4_T5_T6_T7_T9_mT8_P12ihipStream_tbDpT10_ENKUlT_T0_E_clISt17integral_constantIbLb1EES1B_IbLb0EEEEDaS17_S18_EUlS17_E_NS1_11comp_targetILNS1_3genE3ELNS1_11target_archE908ELNS1_3gpuE7ELNS1_3repE0EEENS1_30default_config_static_selectorELNS0_4arch9wavefront6targetE1EEEvT1_.has_recursion, 0
	.set _ZN7rocprim17ROCPRIM_400000_NS6detail17trampoline_kernelINS0_14default_configENS1_25partition_config_selectorILNS1_17partition_subalgoE8ElNS0_10empty_typeEbEEZZNS1_14partition_implILS5_8ELb0ES3_jPlPS6_PKS6_NS0_5tupleIJS9_S6_EEENSD_IJSA_SA_EEENS0_18inequality_wrapperIZN2at6native12_GLOBAL__N_124unique_dim_cuda_templateIdEESt5tupleIJNSH_6TensorESM_SM_EERKSM_lbbbEUlllE0_EEPmJS6_EEE10hipError_tPvRmT3_T4_T5_T6_T7_T9_mT8_P12ihipStream_tbDpT10_ENKUlT_T0_E_clISt17integral_constantIbLb1EES1B_IbLb0EEEEDaS17_S18_EUlS17_E_NS1_11comp_targetILNS1_3genE3ELNS1_11target_archE908ELNS1_3gpuE7ELNS1_3repE0EEENS1_30default_config_static_selectorELNS0_4arch9wavefront6targetE1EEEvT1_.has_indirect_call, 0
	.section	.AMDGPU.csdata,"",@progbits
; Kernel info:
; codeLenInByte = 0
; TotalNumSgprs: 6
; NumVgprs: 0
; NumAgprs: 0
; TotalNumVgprs: 0
; ScratchSize: 0
; MemoryBound: 0
; FloatMode: 240
; IeeeMode: 1
; LDSByteSize: 0 bytes/workgroup (compile time only)
; SGPRBlocks: 0
; VGPRBlocks: 0
; NumSGPRsForWavesPerEU: 6
; NumVGPRsForWavesPerEU: 1
; AccumOffset: 4
; Occupancy: 8
; WaveLimiterHint : 0
; COMPUTE_PGM_RSRC2:SCRATCH_EN: 0
; COMPUTE_PGM_RSRC2:USER_SGPR: 2
; COMPUTE_PGM_RSRC2:TRAP_HANDLER: 0
; COMPUTE_PGM_RSRC2:TGID_X_EN: 1
; COMPUTE_PGM_RSRC2:TGID_Y_EN: 0
; COMPUTE_PGM_RSRC2:TGID_Z_EN: 0
; COMPUTE_PGM_RSRC2:TIDIG_COMP_CNT: 0
; COMPUTE_PGM_RSRC3_GFX90A:ACCUM_OFFSET: 0
; COMPUTE_PGM_RSRC3_GFX90A:TG_SPLIT: 0
	.section	.text._ZN7rocprim17ROCPRIM_400000_NS6detail17trampoline_kernelINS0_14default_configENS1_25partition_config_selectorILNS1_17partition_subalgoE8ElNS0_10empty_typeEbEEZZNS1_14partition_implILS5_8ELb0ES3_jPlPS6_PKS6_NS0_5tupleIJS9_S6_EEENSD_IJSA_SA_EEENS0_18inequality_wrapperIZN2at6native12_GLOBAL__N_124unique_dim_cuda_templateIdEESt5tupleIJNSH_6TensorESM_SM_EERKSM_lbbbEUlllE0_EEPmJS6_EEE10hipError_tPvRmT3_T4_T5_T6_T7_T9_mT8_P12ihipStream_tbDpT10_ENKUlT_T0_E_clISt17integral_constantIbLb1EES1B_IbLb0EEEEDaS17_S18_EUlS17_E_NS1_11comp_targetILNS1_3genE2ELNS1_11target_archE906ELNS1_3gpuE6ELNS1_3repE0EEENS1_30default_config_static_selectorELNS0_4arch9wavefront6targetE1EEEvT1_,"axG",@progbits,_ZN7rocprim17ROCPRIM_400000_NS6detail17trampoline_kernelINS0_14default_configENS1_25partition_config_selectorILNS1_17partition_subalgoE8ElNS0_10empty_typeEbEEZZNS1_14partition_implILS5_8ELb0ES3_jPlPS6_PKS6_NS0_5tupleIJS9_S6_EEENSD_IJSA_SA_EEENS0_18inequality_wrapperIZN2at6native12_GLOBAL__N_124unique_dim_cuda_templateIdEESt5tupleIJNSH_6TensorESM_SM_EERKSM_lbbbEUlllE0_EEPmJS6_EEE10hipError_tPvRmT3_T4_T5_T6_T7_T9_mT8_P12ihipStream_tbDpT10_ENKUlT_T0_E_clISt17integral_constantIbLb1EES1B_IbLb0EEEEDaS17_S18_EUlS17_E_NS1_11comp_targetILNS1_3genE2ELNS1_11target_archE906ELNS1_3gpuE6ELNS1_3repE0EEENS1_30default_config_static_selectorELNS0_4arch9wavefront6targetE1EEEvT1_,comdat
	.globl	_ZN7rocprim17ROCPRIM_400000_NS6detail17trampoline_kernelINS0_14default_configENS1_25partition_config_selectorILNS1_17partition_subalgoE8ElNS0_10empty_typeEbEEZZNS1_14partition_implILS5_8ELb0ES3_jPlPS6_PKS6_NS0_5tupleIJS9_S6_EEENSD_IJSA_SA_EEENS0_18inequality_wrapperIZN2at6native12_GLOBAL__N_124unique_dim_cuda_templateIdEESt5tupleIJNSH_6TensorESM_SM_EERKSM_lbbbEUlllE0_EEPmJS6_EEE10hipError_tPvRmT3_T4_T5_T6_T7_T9_mT8_P12ihipStream_tbDpT10_ENKUlT_T0_E_clISt17integral_constantIbLb1EES1B_IbLb0EEEEDaS17_S18_EUlS17_E_NS1_11comp_targetILNS1_3genE2ELNS1_11target_archE906ELNS1_3gpuE6ELNS1_3repE0EEENS1_30default_config_static_selectorELNS0_4arch9wavefront6targetE1EEEvT1_ ; -- Begin function _ZN7rocprim17ROCPRIM_400000_NS6detail17trampoline_kernelINS0_14default_configENS1_25partition_config_selectorILNS1_17partition_subalgoE8ElNS0_10empty_typeEbEEZZNS1_14partition_implILS5_8ELb0ES3_jPlPS6_PKS6_NS0_5tupleIJS9_S6_EEENSD_IJSA_SA_EEENS0_18inequality_wrapperIZN2at6native12_GLOBAL__N_124unique_dim_cuda_templateIdEESt5tupleIJNSH_6TensorESM_SM_EERKSM_lbbbEUlllE0_EEPmJS6_EEE10hipError_tPvRmT3_T4_T5_T6_T7_T9_mT8_P12ihipStream_tbDpT10_ENKUlT_T0_E_clISt17integral_constantIbLb1EES1B_IbLb0EEEEDaS17_S18_EUlS17_E_NS1_11comp_targetILNS1_3genE2ELNS1_11target_archE906ELNS1_3gpuE6ELNS1_3repE0EEENS1_30default_config_static_selectorELNS0_4arch9wavefront6targetE1EEEvT1_
	.p2align	8
	.type	_ZN7rocprim17ROCPRIM_400000_NS6detail17trampoline_kernelINS0_14default_configENS1_25partition_config_selectorILNS1_17partition_subalgoE8ElNS0_10empty_typeEbEEZZNS1_14partition_implILS5_8ELb0ES3_jPlPS6_PKS6_NS0_5tupleIJS9_S6_EEENSD_IJSA_SA_EEENS0_18inequality_wrapperIZN2at6native12_GLOBAL__N_124unique_dim_cuda_templateIdEESt5tupleIJNSH_6TensorESM_SM_EERKSM_lbbbEUlllE0_EEPmJS6_EEE10hipError_tPvRmT3_T4_T5_T6_T7_T9_mT8_P12ihipStream_tbDpT10_ENKUlT_T0_E_clISt17integral_constantIbLb1EES1B_IbLb0EEEEDaS17_S18_EUlS17_E_NS1_11comp_targetILNS1_3genE2ELNS1_11target_archE906ELNS1_3gpuE6ELNS1_3repE0EEENS1_30default_config_static_selectorELNS0_4arch9wavefront6targetE1EEEvT1_,@function
_ZN7rocprim17ROCPRIM_400000_NS6detail17trampoline_kernelINS0_14default_configENS1_25partition_config_selectorILNS1_17partition_subalgoE8ElNS0_10empty_typeEbEEZZNS1_14partition_implILS5_8ELb0ES3_jPlPS6_PKS6_NS0_5tupleIJS9_S6_EEENSD_IJSA_SA_EEENS0_18inequality_wrapperIZN2at6native12_GLOBAL__N_124unique_dim_cuda_templateIdEESt5tupleIJNSH_6TensorESM_SM_EERKSM_lbbbEUlllE0_EEPmJS6_EEE10hipError_tPvRmT3_T4_T5_T6_T7_T9_mT8_P12ihipStream_tbDpT10_ENKUlT_T0_E_clISt17integral_constantIbLb1EES1B_IbLb0EEEEDaS17_S18_EUlS17_E_NS1_11comp_targetILNS1_3genE2ELNS1_11target_archE906ELNS1_3gpuE6ELNS1_3repE0EEENS1_30default_config_static_selectorELNS0_4arch9wavefront6targetE1EEEvT1_: ; @_ZN7rocprim17ROCPRIM_400000_NS6detail17trampoline_kernelINS0_14default_configENS1_25partition_config_selectorILNS1_17partition_subalgoE8ElNS0_10empty_typeEbEEZZNS1_14partition_implILS5_8ELb0ES3_jPlPS6_PKS6_NS0_5tupleIJS9_S6_EEENSD_IJSA_SA_EEENS0_18inequality_wrapperIZN2at6native12_GLOBAL__N_124unique_dim_cuda_templateIdEESt5tupleIJNSH_6TensorESM_SM_EERKSM_lbbbEUlllE0_EEPmJS6_EEE10hipError_tPvRmT3_T4_T5_T6_T7_T9_mT8_P12ihipStream_tbDpT10_ENKUlT_T0_E_clISt17integral_constantIbLb1EES1B_IbLb0EEEEDaS17_S18_EUlS17_E_NS1_11comp_targetILNS1_3genE2ELNS1_11target_archE906ELNS1_3gpuE6ELNS1_3repE0EEENS1_30default_config_static_selectorELNS0_4arch9wavefront6targetE1EEEvT1_
; %bb.0:
	.section	.rodata,"a",@progbits
	.p2align	6, 0x0
	.amdhsa_kernel _ZN7rocprim17ROCPRIM_400000_NS6detail17trampoline_kernelINS0_14default_configENS1_25partition_config_selectorILNS1_17partition_subalgoE8ElNS0_10empty_typeEbEEZZNS1_14partition_implILS5_8ELb0ES3_jPlPS6_PKS6_NS0_5tupleIJS9_S6_EEENSD_IJSA_SA_EEENS0_18inequality_wrapperIZN2at6native12_GLOBAL__N_124unique_dim_cuda_templateIdEESt5tupleIJNSH_6TensorESM_SM_EERKSM_lbbbEUlllE0_EEPmJS6_EEE10hipError_tPvRmT3_T4_T5_T6_T7_T9_mT8_P12ihipStream_tbDpT10_ENKUlT_T0_E_clISt17integral_constantIbLb1EES1B_IbLb0EEEEDaS17_S18_EUlS17_E_NS1_11comp_targetILNS1_3genE2ELNS1_11target_archE906ELNS1_3gpuE6ELNS1_3repE0EEENS1_30default_config_static_selectorELNS0_4arch9wavefront6targetE1EEEvT1_
		.amdhsa_group_segment_fixed_size 0
		.amdhsa_private_segment_fixed_size 0
		.amdhsa_kernarg_size 120
		.amdhsa_user_sgpr_count 2
		.amdhsa_user_sgpr_dispatch_ptr 0
		.amdhsa_user_sgpr_queue_ptr 0
		.amdhsa_user_sgpr_kernarg_segment_ptr 1
		.amdhsa_user_sgpr_dispatch_id 0
		.amdhsa_user_sgpr_kernarg_preload_length 0
		.amdhsa_user_sgpr_kernarg_preload_offset 0
		.amdhsa_user_sgpr_private_segment_size 0
		.amdhsa_uses_dynamic_stack 0
		.amdhsa_enable_private_segment 0
		.amdhsa_system_sgpr_workgroup_id_x 1
		.amdhsa_system_sgpr_workgroup_id_y 0
		.amdhsa_system_sgpr_workgroup_id_z 0
		.amdhsa_system_sgpr_workgroup_info 0
		.amdhsa_system_vgpr_workitem_id 0
		.amdhsa_next_free_vgpr 1
		.amdhsa_next_free_sgpr 0
		.amdhsa_accum_offset 4
		.amdhsa_reserve_vcc 0
		.amdhsa_float_round_mode_32 0
		.amdhsa_float_round_mode_16_64 0
		.amdhsa_float_denorm_mode_32 3
		.amdhsa_float_denorm_mode_16_64 3
		.amdhsa_dx10_clamp 1
		.amdhsa_ieee_mode 1
		.amdhsa_fp16_overflow 0
		.amdhsa_tg_split 0
		.amdhsa_exception_fp_ieee_invalid_op 0
		.amdhsa_exception_fp_denorm_src 0
		.amdhsa_exception_fp_ieee_div_zero 0
		.amdhsa_exception_fp_ieee_overflow 0
		.amdhsa_exception_fp_ieee_underflow 0
		.amdhsa_exception_fp_ieee_inexact 0
		.amdhsa_exception_int_div_zero 0
	.end_amdhsa_kernel
	.section	.text._ZN7rocprim17ROCPRIM_400000_NS6detail17trampoline_kernelINS0_14default_configENS1_25partition_config_selectorILNS1_17partition_subalgoE8ElNS0_10empty_typeEbEEZZNS1_14partition_implILS5_8ELb0ES3_jPlPS6_PKS6_NS0_5tupleIJS9_S6_EEENSD_IJSA_SA_EEENS0_18inequality_wrapperIZN2at6native12_GLOBAL__N_124unique_dim_cuda_templateIdEESt5tupleIJNSH_6TensorESM_SM_EERKSM_lbbbEUlllE0_EEPmJS6_EEE10hipError_tPvRmT3_T4_T5_T6_T7_T9_mT8_P12ihipStream_tbDpT10_ENKUlT_T0_E_clISt17integral_constantIbLb1EES1B_IbLb0EEEEDaS17_S18_EUlS17_E_NS1_11comp_targetILNS1_3genE2ELNS1_11target_archE906ELNS1_3gpuE6ELNS1_3repE0EEENS1_30default_config_static_selectorELNS0_4arch9wavefront6targetE1EEEvT1_,"axG",@progbits,_ZN7rocprim17ROCPRIM_400000_NS6detail17trampoline_kernelINS0_14default_configENS1_25partition_config_selectorILNS1_17partition_subalgoE8ElNS0_10empty_typeEbEEZZNS1_14partition_implILS5_8ELb0ES3_jPlPS6_PKS6_NS0_5tupleIJS9_S6_EEENSD_IJSA_SA_EEENS0_18inequality_wrapperIZN2at6native12_GLOBAL__N_124unique_dim_cuda_templateIdEESt5tupleIJNSH_6TensorESM_SM_EERKSM_lbbbEUlllE0_EEPmJS6_EEE10hipError_tPvRmT3_T4_T5_T6_T7_T9_mT8_P12ihipStream_tbDpT10_ENKUlT_T0_E_clISt17integral_constantIbLb1EES1B_IbLb0EEEEDaS17_S18_EUlS17_E_NS1_11comp_targetILNS1_3genE2ELNS1_11target_archE906ELNS1_3gpuE6ELNS1_3repE0EEENS1_30default_config_static_selectorELNS0_4arch9wavefront6targetE1EEEvT1_,comdat
.Lfunc_end827:
	.size	_ZN7rocprim17ROCPRIM_400000_NS6detail17trampoline_kernelINS0_14default_configENS1_25partition_config_selectorILNS1_17partition_subalgoE8ElNS0_10empty_typeEbEEZZNS1_14partition_implILS5_8ELb0ES3_jPlPS6_PKS6_NS0_5tupleIJS9_S6_EEENSD_IJSA_SA_EEENS0_18inequality_wrapperIZN2at6native12_GLOBAL__N_124unique_dim_cuda_templateIdEESt5tupleIJNSH_6TensorESM_SM_EERKSM_lbbbEUlllE0_EEPmJS6_EEE10hipError_tPvRmT3_T4_T5_T6_T7_T9_mT8_P12ihipStream_tbDpT10_ENKUlT_T0_E_clISt17integral_constantIbLb1EES1B_IbLb0EEEEDaS17_S18_EUlS17_E_NS1_11comp_targetILNS1_3genE2ELNS1_11target_archE906ELNS1_3gpuE6ELNS1_3repE0EEENS1_30default_config_static_selectorELNS0_4arch9wavefront6targetE1EEEvT1_, .Lfunc_end827-_ZN7rocprim17ROCPRIM_400000_NS6detail17trampoline_kernelINS0_14default_configENS1_25partition_config_selectorILNS1_17partition_subalgoE8ElNS0_10empty_typeEbEEZZNS1_14partition_implILS5_8ELb0ES3_jPlPS6_PKS6_NS0_5tupleIJS9_S6_EEENSD_IJSA_SA_EEENS0_18inequality_wrapperIZN2at6native12_GLOBAL__N_124unique_dim_cuda_templateIdEESt5tupleIJNSH_6TensorESM_SM_EERKSM_lbbbEUlllE0_EEPmJS6_EEE10hipError_tPvRmT3_T4_T5_T6_T7_T9_mT8_P12ihipStream_tbDpT10_ENKUlT_T0_E_clISt17integral_constantIbLb1EES1B_IbLb0EEEEDaS17_S18_EUlS17_E_NS1_11comp_targetILNS1_3genE2ELNS1_11target_archE906ELNS1_3gpuE6ELNS1_3repE0EEENS1_30default_config_static_selectorELNS0_4arch9wavefront6targetE1EEEvT1_
                                        ; -- End function
	.set _ZN7rocprim17ROCPRIM_400000_NS6detail17trampoline_kernelINS0_14default_configENS1_25partition_config_selectorILNS1_17partition_subalgoE8ElNS0_10empty_typeEbEEZZNS1_14partition_implILS5_8ELb0ES3_jPlPS6_PKS6_NS0_5tupleIJS9_S6_EEENSD_IJSA_SA_EEENS0_18inequality_wrapperIZN2at6native12_GLOBAL__N_124unique_dim_cuda_templateIdEESt5tupleIJNSH_6TensorESM_SM_EERKSM_lbbbEUlllE0_EEPmJS6_EEE10hipError_tPvRmT3_T4_T5_T6_T7_T9_mT8_P12ihipStream_tbDpT10_ENKUlT_T0_E_clISt17integral_constantIbLb1EES1B_IbLb0EEEEDaS17_S18_EUlS17_E_NS1_11comp_targetILNS1_3genE2ELNS1_11target_archE906ELNS1_3gpuE6ELNS1_3repE0EEENS1_30default_config_static_selectorELNS0_4arch9wavefront6targetE1EEEvT1_.num_vgpr, 0
	.set _ZN7rocprim17ROCPRIM_400000_NS6detail17trampoline_kernelINS0_14default_configENS1_25partition_config_selectorILNS1_17partition_subalgoE8ElNS0_10empty_typeEbEEZZNS1_14partition_implILS5_8ELb0ES3_jPlPS6_PKS6_NS0_5tupleIJS9_S6_EEENSD_IJSA_SA_EEENS0_18inequality_wrapperIZN2at6native12_GLOBAL__N_124unique_dim_cuda_templateIdEESt5tupleIJNSH_6TensorESM_SM_EERKSM_lbbbEUlllE0_EEPmJS6_EEE10hipError_tPvRmT3_T4_T5_T6_T7_T9_mT8_P12ihipStream_tbDpT10_ENKUlT_T0_E_clISt17integral_constantIbLb1EES1B_IbLb0EEEEDaS17_S18_EUlS17_E_NS1_11comp_targetILNS1_3genE2ELNS1_11target_archE906ELNS1_3gpuE6ELNS1_3repE0EEENS1_30default_config_static_selectorELNS0_4arch9wavefront6targetE1EEEvT1_.num_agpr, 0
	.set _ZN7rocprim17ROCPRIM_400000_NS6detail17trampoline_kernelINS0_14default_configENS1_25partition_config_selectorILNS1_17partition_subalgoE8ElNS0_10empty_typeEbEEZZNS1_14partition_implILS5_8ELb0ES3_jPlPS6_PKS6_NS0_5tupleIJS9_S6_EEENSD_IJSA_SA_EEENS0_18inequality_wrapperIZN2at6native12_GLOBAL__N_124unique_dim_cuda_templateIdEESt5tupleIJNSH_6TensorESM_SM_EERKSM_lbbbEUlllE0_EEPmJS6_EEE10hipError_tPvRmT3_T4_T5_T6_T7_T9_mT8_P12ihipStream_tbDpT10_ENKUlT_T0_E_clISt17integral_constantIbLb1EES1B_IbLb0EEEEDaS17_S18_EUlS17_E_NS1_11comp_targetILNS1_3genE2ELNS1_11target_archE906ELNS1_3gpuE6ELNS1_3repE0EEENS1_30default_config_static_selectorELNS0_4arch9wavefront6targetE1EEEvT1_.numbered_sgpr, 0
	.set _ZN7rocprim17ROCPRIM_400000_NS6detail17trampoline_kernelINS0_14default_configENS1_25partition_config_selectorILNS1_17partition_subalgoE8ElNS0_10empty_typeEbEEZZNS1_14partition_implILS5_8ELb0ES3_jPlPS6_PKS6_NS0_5tupleIJS9_S6_EEENSD_IJSA_SA_EEENS0_18inequality_wrapperIZN2at6native12_GLOBAL__N_124unique_dim_cuda_templateIdEESt5tupleIJNSH_6TensorESM_SM_EERKSM_lbbbEUlllE0_EEPmJS6_EEE10hipError_tPvRmT3_T4_T5_T6_T7_T9_mT8_P12ihipStream_tbDpT10_ENKUlT_T0_E_clISt17integral_constantIbLb1EES1B_IbLb0EEEEDaS17_S18_EUlS17_E_NS1_11comp_targetILNS1_3genE2ELNS1_11target_archE906ELNS1_3gpuE6ELNS1_3repE0EEENS1_30default_config_static_selectorELNS0_4arch9wavefront6targetE1EEEvT1_.num_named_barrier, 0
	.set _ZN7rocprim17ROCPRIM_400000_NS6detail17trampoline_kernelINS0_14default_configENS1_25partition_config_selectorILNS1_17partition_subalgoE8ElNS0_10empty_typeEbEEZZNS1_14partition_implILS5_8ELb0ES3_jPlPS6_PKS6_NS0_5tupleIJS9_S6_EEENSD_IJSA_SA_EEENS0_18inequality_wrapperIZN2at6native12_GLOBAL__N_124unique_dim_cuda_templateIdEESt5tupleIJNSH_6TensorESM_SM_EERKSM_lbbbEUlllE0_EEPmJS6_EEE10hipError_tPvRmT3_T4_T5_T6_T7_T9_mT8_P12ihipStream_tbDpT10_ENKUlT_T0_E_clISt17integral_constantIbLb1EES1B_IbLb0EEEEDaS17_S18_EUlS17_E_NS1_11comp_targetILNS1_3genE2ELNS1_11target_archE906ELNS1_3gpuE6ELNS1_3repE0EEENS1_30default_config_static_selectorELNS0_4arch9wavefront6targetE1EEEvT1_.private_seg_size, 0
	.set _ZN7rocprim17ROCPRIM_400000_NS6detail17trampoline_kernelINS0_14default_configENS1_25partition_config_selectorILNS1_17partition_subalgoE8ElNS0_10empty_typeEbEEZZNS1_14partition_implILS5_8ELb0ES3_jPlPS6_PKS6_NS0_5tupleIJS9_S6_EEENSD_IJSA_SA_EEENS0_18inequality_wrapperIZN2at6native12_GLOBAL__N_124unique_dim_cuda_templateIdEESt5tupleIJNSH_6TensorESM_SM_EERKSM_lbbbEUlllE0_EEPmJS6_EEE10hipError_tPvRmT3_T4_T5_T6_T7_T9_mT8_P12ihipStream_tbDpT10_ENKUlT_T0_E_clISt17integral_constantIbLb1EES1B_IbLb0EEEEDaS17_S18_EUlS17_E_NS1_11comp_targetILNS1_3genE2ELNS1_11target_archE906ELNS1_3gpuE6ELNS1_3repE0EEENS1_30default_config_static_selectorELNS0_4arch9wavefront6targetE1EEEvT1_.uses_vcc, 0
	.set _ZN7rocprim17ROCPRIM_400000_NS6detail17trampoline_kernelINS0_14default_configENS1_25partition_config_selectorILNS1_17partition_subalgoE8ElNS0_10empty_typeEbEEZZNS1_14partition_implILS5_8ELb0ES3_jPlPS6_PKS6_NS0_5tupleIJS9_S6_EEENSD_IJSA_SA_EEENS0_18inequality_wrapperIZN2at6native12_GLOBAL__N_124unique_dim_cuda_templateIdEESt5tupleIJNSH_6TensorESM_SM_EERKSM_lbbbEUlllE0_EEPmJS6_EEE10hipError_tPvRmT3_T4_T5_T6_T7_T9_mT8_P12ihipStream_tbDpT10_ENKUlT_T0_E_clISt17integral_constantIbLb1EES1B_IbLb0EEEEDaS17_S18_EUlS17_E_NS1_11comp_targetILNS1_3genE2ELNS1_11target_archE906ELNS1_3gpuE6ELNS1_3repE0EEENS1_30default_config_static_selectorELNS0_4arch9wavefront6targetE1EEEvT1_.uses_flat_scratch, 0
	.set _ZN7rocprim17ROCPRIM_400000_NS6detail17trampoline_kernelINS0_14default_configENS1_25partition_config_selectorILNS1_17partition_subalgoE8ElNS0_10empty_typeEbEEZZNS1_14partition_implILS5_8ELb0ES3_jPlPS6_PKS6_NS0_5tupleIJS9_S6_EEENSD_IJSA_SA_EEENS0_18inequality_wrapperIZN2at6native12_GLOBAL__N_124unique_dim_cuda_templateIdEESt5tupleIJNSH_6TensorESM_SM_EERKSM_lbbbEUlllE0_EEPmJS6_EEE10hipError_tPvRmT3_T4_T5_T6_T7_T9_mT8_P12ihipStream_tbDpT10_ENKUlT_T0_E_clISt17integral_constantIbLb1EES1B_IbLb0EEEEDaS17_S18_EUlS17_E_NS1_11comp_targetILNS1_3genE2ELNS1_11target_archE906ELNS1_3gpuE6ELNS1_3repE0EEENS1_30default_config_static_selectorELNS0_4arch9wavefront6targetE1EEEvT1_.has_dyn_sized_stack, 0
	.set _ZN7rocprim17ROCPRIM_400000_NS6detail17trampoline_kernelINS0_14default_configENS1_25partition_config_selectorILNS1_17partition_subalgoE8ElNS0_10empty_typeEbEEZZNS1_14partition_implILS5_8ELb0ES3_jPlPS6_PKS6_NS0_5tupleIJS9_S6_EEENSD_IJSA_SA_EEENS0_18inequality_wrapperIZN2at6native12_GLOBAL__N_124unique_dim_cuda_templateIdEESt5tupleIJNSH_6TensorESM_SM_EERKSM_lbbbEUlllE0_EEPmJS6_EEE10hipError_tPvRmT3_T4_T5_T6_T7_T9_mT8_P12ihipStream_tbDpT10_ENKUlT_T0_E_clISt17integral_constantIbLb1EES1B_IbLb0EEEEDaS17_S18_EUlS17_E_NS1_11comp_targetILNS1_3genE2ELNS1_11target_archE906ELNS1_3gpuE6ELNS1_3repE0EEENS1_30default_config_static_selectorELNS0_4arch9wavefront6targetE1EEEvT1_.has_recursion, 0
	.set _ZN7rocprim17ROCPRIM_400000_NS6detail17trampoline_kernelINS0_14default_configENS1_25partition_config_selectorILNS1_17partition_subalgoE8ElNS0_10empty_typeEbEEZZNS1_14partition_implILS5_8ELb0ES3_jPlPS6_PKS6_NS0_5tupleIJS9_S6_EEENSD_IJSA_SA_EEENS0_18inequality_wrapperIZN2at6native12_GLOBAL__N_124unique_dim_cuda_templateIdEESt5tupleIJNSH_6TensorESM_SM_EERKSM_lbbbEUlllE0_EEPmJS6_EEE10hipError_tPvRmT3_T4_T5_T6_T7_T9_mT8_P12ihipStream_tbDpT10_ENKUlT_T0_E_clISt17integral_constantIbLb1EES1B_IbLb0EEEEDaS17_S18_EUlS17_E_NS1_11comp_targetILNS1_3genE2ELNS1_11target_archE906ELNS1_3gpuE6ELNS1_3repE0EEENS1_30default_config_static_selectorELNS0_4arch9wavefront6targetE1EEEvT1_.has_indirect_call, 0
	.section	.AMDGPU.csdata,"",@progbits
; Kernel info:
; codeLenInByte = 0
; TotalNumSgprs: 6
; NumVgprs: 0
; NumAgprs: 0
; TotalNumVgprs: 0
; ScratchSize: 0
; MemoryBound: 0
; FloatMode: 240
; IeeeMode: 1
; LDSByteSize: 0 bytes/workgroup (compile time only)
; SGPRBlocks: 0
; VGPRBlocks: 0
; NumSGPRsForWavesPerEU: 6
; NumVGPRsForWavesPerEU: 1
; AccumOffset: 4
; Occupancy: 8
; WaveLimiterHint : 0
; COMPUTE_PGM_RSRC2:SCRATCH_EN: 0
; COMPUTE_PGM_RSRC2:USER_SGPR: 2
; COMPUTE_PGM_RSRC2:TRAP_HANDLER: 0
; COMPUTE_PGM_RSRC2:TGID_X_EN: 1
; COMPUTE_PGM_RSRC2:TGID_Y_EN: 0
; COMPUTE_PGM_RSRC2:TGID_Z_EN: 0
; COMPUTE_PGM_RSRC2:TIDIG_COMP_CNT: 0
; COMPUTE_PGM_RSRC3_GFX90A:ACCUM_OFFSET: 0
; COMPUTE_PGM_RSRC3_GFX90A:TG_SPLIT: 0
	.section	.text._ZN7rocprim17ROCPRIM_400000_NS6detail17trampoline_kernelINS0_14default_configENS1_25partition_config_selectorILNS1_17partition_subalgoE8ElNS0_10empty_typeEbEEZZNS1_14partition_implILS5_8ELb0ES3_jPlPS6_PKS6_NS0_5tupleIJS9_S6_EEENSD_IJSA_SA_EEENS0_18inequality_wrapperIZN2at6native12_GLOBAL__N_124unique_dim_cuda_templateIdEESt5tupleIJNSH_6TensorESM_SM_EERKSM_lbbbEUlllE0_EEPmJS6_EEE10hipError_tPvRmT3_T4_T5_T6_T7_T9_mT8_P12ihipStream_tbDpT10_ENKUlT_T0_E_clISt17integral_constantIbLb1EES1B_IbLb0EEEEDaS17_S18_EUlS17_E_NS1_11comp_targetILNS1_3genE10ELNS1_11target_archE1200ELNS1_3gpuE4ELNS1_3repE0EEENS1_30default_config_static_selectorELNS0_4arch9wavefront6targetE1EEEvT1_,"axG",@progbits,_ZN7rocprim17ROCPRIM_400000_NS6detail17trampoline_kernelINS0_14default_configENS1_25partition_config_selectorILNS1_17partition_subalgoE8ElNS0_10empty_typeEbEEZZNS1_14partition_implILS5_8ELb0ES3_jPlPS6_PKS6_NS0_5tupleIJS9_S6_EEENSD_IJSA_SA_EEENS0_18inequality_wrapperIZN2at6native12_GLOBAL__N_124unique_dim_cuda_templateIdEESt5tupleIJNSH_6TensorESM_SM_EERKSM_lbbbEUlllE0_EEPmJS6_EEE10hipError_tPvRmT3_T4_T5_T6_T7_T9_mT8_P12ihipStream_tbDpT10_ENKUlT_T0_E_clISt17integral_constantIbLb1EES1B_IbLb0EEEEDaS17_S18_EUlS17_E_NS1_11comp_targetILNS1_3genE10ELNS1_11target_archE1200ELNS1_3gpuE4ELNS1_3repE0EEENS1_30default_config_static_selectorELNS0_4arch9wavefront6targetE1EEEvT1_,comdat
	.globl	_ZN7rocprim17ROCPRIM_400000_NS6detail17trampoline_kernelINS0_14default_configENS1_25partition_config_selectorILNS1_17partition_subalgoE8ElNS0_10empty_typeEbEEZZNS1_14partition_implILS5_8ELb0ES3_jPlPS6_PKS6_NS0_5tupleIJS9_S6_EEENSD_IJSA_SA_EEENS0_18inequality_wrapperIZN2at6native12_GLOBAL__N_124unique_dim_cuda_templateIdEESt5tupleIJNSH_6TensorESM_SM_EERKSM_lbbbEUlllE0_EEPmJS6_EEE10hipError_tPvRmT3_T4_T5_T6_T7_T9_mT8_P12ihipStream_tbDpT10_ENKUlT_T0_E_clISt17integral_constantIbLb1EES1B_IbLb0EEEEDaS17_S18_EUlS17_E_NS1_11comp_targetILNS1_3genE10ELNS1_11target_archE1200ELNS1_3gpuE4ELNS1_3repE0EEENS1_30default_config_static_selectorELNS0_4arch9wavefront6targetE1EEEvT1_ ; -- Begin function _ZN7rocprim17ROCPRIM_400000_NS6detail17trampoline_kernelINS0_14default_configENS1_25partition_config_selectorILNS1_17partition_subalgoE8ElNS0_10empty_typeEbEEZZNS1_14partition_implILS5_8ELb0ES3_jPlPS6_PKS6_NS0_5tupleIJS9_S6_EEENSD_IJSA_SA_EEENS0_18inequality_wrapperIZN2at6native12_GLOBAL__N_124unique_dim_cuda_templateIdEESt5tupleIJNSH_6TensorESM_SM_EERKSM_lbbbEUlllE0_EEPmJS6_EEE10hipError_tPvRmT3_T4_T5_T6_T7_T9_mT8_P12ihipStream_tbDpT10_ENKUlT_T0_E_clISt17integral_constantIbLb1EES1B_IbLb0EEEEDaS17_S18_EUlS17_E_NS1_11comp_targetILNS1_3genE10ELNS1_11target_archE1200ELNS1_3gpuE4ELNS1_3repE0EEENS1_30default_config_static_selectorELNS0_4arch9wavefront6targetE1EEEvT1_
	.p2align	8
	.type	_ZN7rocprim17ROCPRIM_400000_NS6detail17trampoline_kernelINS0_14default_configENS1_25partition_config_selectorILNS1_17partition_subalgoE8ElNS0_10empty_typeEbEEZZNS1_14partition_implILS5_8ELb0ES3_jPlPS6_PKS6_NS0_5tupleIJS9_S6_EEENSD_IJSA_SA_EEENS0_18inequality_wrapperIZN2at6native12_GLOBAL__N_124unique_dim_cuda_templateIdEESt5tupleIJNSH_6TensorESM_SM_EERKSM_lbbbEUlllE0_EEPmJS6_EEE10hipError_tPvRmT3_T4_T5_T6_T7_T9_mT8_P12ihipStream_tbDpT10_ENKUlT_T0_E_clISt17integral_constantIbLb1EES1B_IbLb0EEEEDaS17_S18_EUlS17_E_NS1_11comp_targetILNS1_3genE10ELNS1_11target_archE1200ELNS1_3gpuE4ELNS1_3repE0EEENS1_30default_config_static_selectorELNS0_4arch9wavefront6targetE1EEEvT1_,@function
_ZN7rocprim17ROCPRIM_400000_NS6detail17trampoline_kernelINS0_14default_configENS1_25partition_config_selectorILNS1_17partition_subalgoE8ElNS0_10empty_typeEbEEZZNS1_14partition_implILS5_8ELb0ES3_jPlPS6_PKS6_NS0_5tupleIJS9_S6_EEENSD_IJSA_SA_EEENS0_18inequality_wrapperIZN2at6native12_GLOBAL__N_124unique_dim_cuda_templateIdEESt5tupleIJNSH_6TensorESM_SM_EERKSM_lbbbEUlllE0_EEPmJS6_EEE10hipError_tPvRmT3_T4_T5_T6_T7_T9_mT8_P12ihipStream_tbDpT10_ENKUlT_T0_E_clISt17integral_constantIbLb1EES1B_IbLb0EEEEDaS17_S18_EUlS17_E_NS1_11comp_targetILNS1_3genE10ELNS1_11target_archE1200ELNS1_3gpuE4ELNS1_3repE0EEENS1_30default_config_static_selectorELNS0_4arch9wavefront6targetE1EEEvT1_: ; @_ZN7rocprim17ROCPRIM_400000_NS6detail17trampoline_kernelINS0_14default_configENS1_25partition_config_selectorILNS1_17partition_subalgoE8ElNS0_10empty_typeEbEEZZNS1_14partition_implILS5_8ELb0ES3_jPlPS6_PKS6_NS0_5tupleIJS9_S6_EEENSD_IJSA_SA_EEENS0_18inequality_wrapperIZN2at6native12_GLOBAL__N_124unique_dim_cuda_templateIdEESt5tupleIJNSH_6TensorESM_SM_EERKSM_lbbbEUlllE0_EEPmJS6_EEE10hipError_tPvRmT3_T4_T5_T6_T7_T9_mT8_P12ihipStream_tbDpT10_ENKUlT_T0_E_clISt17integral_constantIbLb1EES1B_IbLb0EEEEDaS17_S18_EUlS17_E_NS1_11comp_targetILNS1_3genE10ELNS1_11target_archE1200ELNS1_3gpuE4ELNS1_3repE0EEENS1_30default_config_static_selectorELNS0_4arch9wavefront6targetE1EEEvT1_
; %bb.0:
	.section	.rodata,"a",@progbits
	.p2align	6, 0x0
	.amdhsa_kernel _ZN7rocprim17ROCPRIM_400000_NS6detail17trampoline_kernelINS0_14default_configENS1_25partition_config_selectorILNS1_17partition_subalgoE8ElNS0_10empty_typeEbEEZZNS1_14partition_implILS5_8ELb0ES3_jPlPS6_PKS6_NS0_5tupleIJS9_S6_EEENSD_IJSA_SA_EEENS0_18inequality_wrapperIZN2at6native12_GLOBAL__N_124unique_dim_cuda_templateIdEESt5tupleIJNSH_6TensorESM_SM_EERKSM_lbbbEUlllE0_EEPmJS6_EEE10hipError_tPvRmT3_T4_T5_T6_T7_T9_mT8_P12ihipStream_tbDpT10_ENKUlT_T0_E_clISt17integral_constantIbLb1EES1B_IbLb0EEEEDaS17_S18_EUlS17_E_NS1_11comp_targetILNS1_3genE10ELNS1_11target_archE1200ELNS1_3gpuE4ELNS1_3repE0EEENS1_30default_config_static_selectorELNS0_4arch9wavefront6targetE1EEEvT1_
		.amdhsa_group_segment_fixed_size 0
		.amdhsa_private_segment_fixed_size 0
		.amdhsa_kernarg_size 120
		.amdhsa_user_sgpr_count 2
		.amdhsa_user_sgpr_dispatch_ptr 0
		.amdhsa_user_sgpr_queue_ptr 0
		.amdhsa_user_sgpr_kernarg_segment_ptr 1
		.amdhsa_user_sgpr_dispatch_id 0
		.amdhsa_user_sgpr_kernarg_preload_length 0
		.amdhsa_user_sgpr_kernarg_preload_offset 0
		.amdhsa_user_sgpr_private_segment_size 0
		.amdhsa_uses_dynamic_stack 0
		.amdhsa_enable_private_segment 0
		.amdhsa_system_sgpr_workgroup_id_x 1
		.amdhsa_system_sgpr_workgroup_id_y 0
		.amdhsa_system_sgpr_workgroup_id_z 0
		.amdhsa_system_sgpr_workgroup_info 0
		.amdhsa_system_vgpr_workitem_id 0
		.amdhsa_next_free_vgpr 1
		.amdhsa_next_free_sgpr 0
		.amdhsa_accum_offset 4
		.amdhsa_reserve_vcc 0
		.amdhsa_float_round_mode_32 0
		.amdhsa_float_round_mode_16_64 0
		.amdhsa_float_denorm_mode_32 3
		.amdhsa_float_denorm_mode_16_64 3
		.amdhsa_dx10_clamp 1
		.amdhsa_ieee_mode 1
		.amdhsa_fp16_overflow 0
		.amdhsa_tg_split 0
		.amdhsa_exception_fp_ieee_invalid_op 0
		.amdhsa_exception_fp_denorm_src 0
		.amdhsa_exception_fp_ieee_div_zero 0
		.amdhsa_exception_fp_ieee_overflow 0
		.amdhsa_exception_fp_ieee_underflow 0
		.amdhsa_exception_fp_ieee_inexact 0
		.amdhsa_exception_int_div_zero 0
	.end_amdhsa_kernel
	.section	.text._ZN7rocprim17ROCPRIM_400000_NS6detail17trampoline_kernelINS0_14default_configENS1_25partition_config_selectorILNS1_17partition_subalgoE8ElNS0_10empty_typeEbEEZZNS1_14partition_implILS5_8ELb0ES3_jPlPS6_PKS6_NS0_5tupleIJS9_S6_EEENSD_IJSA_SA_EEENS0_18inequality_wrapperIZN2at6native12_GLOBAL__N_124unique_dim_cuda_templateIdEESt5tupleIJNSH_6TensorESM_SM_EERKSM_lbbbEUlllE0_EEPmJS6_EEE10hipError_tPvRmT3_T4_T5_T6_T7_T9_mT8_P12ihipStream_tbDpT10_ENKUlT_T0_E_clISt17integral_constantIbLb1EES1B_IbLb0EEEEDaS17_S18_EUlS17_E_NS1_11comp_targetILNS1_3genE10ELNS1_11target_archE1200ELNS1_3gpuE4ELNS1_3repE0EEENS1_30default_config_static_selectorELNS0_4arch9wavefront6targetE1EEEvT1_,"axG",@progbits,_ZN7rocprim17ROCPRIM_400000_NS6detail17trampoline_kernelINS0_14default_configENS1_25partition_config_selectorILNS1_17partition_subalgoE8ElNS0_10empty_typeEbEEZZNS1_14partition_implILS5_8ELb0ES3_jPlPS6_PKS6_NS0_5tupleIJS9_S6_EEENSD_IJSA_SA_EEENS0_18inequality_wrapperIZN2at6native12_GLOBAL__N_124unique_dim_cuda_templateIdEESt5tupleIJNSH_6TensorESM_SM_EERKSM_lbbbEUlllE0_EEPmJS6_EEE10hipError_tPvRmT3_T4_T5_T6_T7_T9_mT8_P12ihipStream_tbDpT10_ENKUlT_T0_E_clISt17integral_constantIbLb1EES1B_IbLb0EEEEDaS17_S18_EUlS17_E_NS1_11comp_targetILNS1_3genE10ELNS1_11target_archE1200ELNS1_3gpuE4ELNS1_3repE0EEENS1_30default_config_static_selectorELNS0_4arch9wavefront6targetE1EEEvT1_,comdat
.Lfunc_end828:
	.size	_ZN7rocprim17ROCPRIM_400000_NS6detail17trampoline_kernelINS0_14default_configENS1_25partition_config_selectorILNS1_17partition_subalgoE8ElNS0_10empty_typeEbEEZZNS1_14partition_implILS5_8ELb0ES3_jPlPS6_PKS6_NS0_5tupleIJS9_S6_EEENSD_IJSA_SA_EEENS0_18inequality_wrapperIZN2at6native12_GLOBAL__N_124unique_dim_cuda_templateIdEESt5tupleIJNSH_6TensorESM_SM_EERKSM_lbbbEUlllE0_EEPmJS6_EEE10hipError_tPvRmT3_T4_T5_T6_T7_T9_mT8_P12ihipStream_tbDpT10_ENKUlT_T0_E_clISt17integral_constantIbLb1EES1B_IbLb0EEEEDaS17_S18_EUlS17_E_NS1_11comp_targetILNS1_3genE10ELNS1_11target_archE1200ELNS1_3gpuE4ELNS1_3repE0EEENS1_30default_config_static_selectorELNS0_4arch9wavefront6targetE1EEEvT1_, .Lfunc_end828-_ZN7rocprim17ROCPRIM_400000_NS6detail17trampoline_kernelINS0_14default_configENS1_25partition_config_selectorILNS1_17partition_subalgoE8ElNS0_10empty_typeEbEEZZNS1_14partition_implILS5_8ELb0ES3_jPlPS6_PKS6_NS0_5tupleIJS9_S6_EEENSD_IJSA_SA_EEENS0_18inequality_wrapperIZN2at6native12_GLOBAL__N_124unique_dim_cuda_templateIdEESt5tupleIJNSH_6TensorESM_SM_EERKSM_lbbbEUlllE0_EEPmJS6_EEE10hipError_tPvRmT3_T4_T5_T6_T7_T9_mT8_P12ihipStream_tbDpT10_ENKUlT_T0_E_clISt17integral_constantIbLb1EES1B_IbLb0EEEEDaS17_S18_EUlS17_E_NS1_11comp_targetILNS1_3genE10ELNS1_11target_archE1200ELNS1_3gpuE4ELNS1_3repE0EEENS1_30default_config_static_selectorELNS0_4arch9wavefront6targetE1EEEvT1_
                                        ; -- End function
	.set _ZN7rocprim17ROCPRIM_400000_NS6detail17trampoline_kernelINS0_14default_configENS1_25partition_config_selectorILNS1_17partition_subalgoE8ElNS0_10empty_typeEbEEZZNS1_14partition_implILS5_8ELb0ES3_jPlPS6_PKS6_NS0_5tupleIJS9_S6_EEENSD_IJSA_SA_EEENS0_18inequality_wrapperIZN2at6native12_GLOBAL__N_124unique_dim_cuda_templateIdEESt5tupleIJNSH_6TensorESM_SM_EERKSM_lbbbEUlllE0_EEPmJS6_EEE10hipError_tPvRmT3_T4_T5_T6_T7_T9_mT8_P12ihipStream_tbDpT10_ENKUlT_T0_E_clISt17integral_constantIbLb1EES1B_IbLb0EEEEDaS17_S18_EUlS17_E_NS1_11comp_targetILNS1_3genE10ELNS1_11target_archE1200ELNS1_3gpuE4ELNS1_3repE0EEENS1_30default_config_static_selectorELNS0_4arch9wavefront6targetE1EEEvT1_.num_vgpr, 0
	.set _ZN7rocprim17ROCPRIM_400000_NS6detail17trampoline_kernelINS0_14default_configENS1_25partition_config_selectorILNS1_17partition_subalgoE8ElNS0_10empty_typeEbEEZZNS1_14partition_implILS5_8ELb0ES3_jPlPS6_PKS6_NS0_5tupleIJS9_S6_EEENSD_IJSA_SA_EEENS0_18inequality_wrapperIZN2at6native12_GLOBAL__N_124unique_dim_cuda_templateIdEESt5tupleIJNSH_6TensorESM_SM_EERKSM_lbbbEUlllE0_EEPmJS6_EEE10hipError_tPvRmT3_T4_T5_T6_T7_T9_mT8_P12ihipStream_tbDpT10_ENKUlT_T0_E_clISt17integral_constantIbLb1EES1B_IbLb0EEEEDaS17_S18_EUlS17_E_NS1_11comp_targetILNS1_3genE10ELNS1_11target_archE1200ELNS1_3gpuE4ELNS1_3repE0EEENS1_30default_config_static_selectorELNS0_4arch9wavefront6targetE1EEEvT1_.num_agpr, 0
	.set _ZN7rocprim17ROCPRIM_400000_NS6detail17trampoline_kernelINS0_14default_configENS1_25partition_config_selectorILNS1_17partition_subalgoE8ElNS0_10empty_typeEbEEZZNS1_14partition_implILS5_8ELb0ES3_jPlPS6_PKS6_NS0_5tupleIJS9_S6_EEENSD_IJSA_SA_EEENS0_18inequality_wrapperIZN2at6native12_GLOBAL__N_124unique_dim_cuda_templateIdEESt5tupleIJNSH_6TensorESM_SM_EERKSM_lbbbEUlllE0_EEPmJS6_EEE10hipError_tPvRmT3_T4_T5_T6_T7_T9_mT8_P12ihipStream_tbDpT10_ENKUlT_T0_E_clISt17integral_constantIbLb1EES1B_IbLb0EEEEDaS17_S18_EUlS17_E_NS1_11comp_targetILNS1_3genE10ELNS1_11target_archE1200ELNS1_3gpuE4ELNS1_3repE0EEENS1_30default_config_static_selectorELNS0_4arch9wavefront6targetE1EEEvT1_.numbered_sgpr, 0
	.set _ZN7rocprim17ROCPRIM_400000_NS6detail17trampoline_kernelINS0_14default_configENS1_25partition_config_selectorILNS1_17partition_subalgoE8ElNS0_10empty_typeEbEEZZNS1_14partition_implILS5_8ELb0ES3_jPlPS6_PKS6_NS0_5tupleIJS9_S6_EEENSD_IJSA_SA_EEENS0_18inequality_wrapperIZN2at6native12_GLOBAL__N_124unique_dim_cuda_templateIdEESt5tupleIJNSH_6TensorESM_SM_EERKSM_lbbbEUlllE0_EEPmJS6_EEE10hipError_tPvRmT3_T4_T5_T6_T7_T9_mT8_P12ihipStream_tbDpT10_ENKUlT_T0_E_clISt17integral_constantIbLb1EES1B_IbLb0EEEEDaS17_S18_EUlS17_E_NS1_11comp_targetILNS1_3genE10ELNS1_11target_archE1200ELNS1_3gpuE4ELNS1_3repE0EEENS1_30default_config_static_selectorELNS0_4arch9wavefront6targetE1EEEvT1_.num_named_barrier, 0
	.set _ZN7rocprim17ROCPRIM_400000_NS6detail17trampoline_kernelINS0_14default_configENS1_25partition_config_selectorILNS1_17partition_subalgoE8ElNS0_10empty_typeEbEEZZNS1_14partition_implILS5_8ELb0ES3_jPlPS6_PKS6_NS0_5tupleIJS9_S6_EEENSD_IJSA_SA_EEENS0_18inequality_wrapperIZN2at6native12_GLOBAL__N_124unique_dim_cuda_templateIdEESt5tupleIJNSH_6TensorESM_SM_EERKSM_lbbbEUlllE0_EEPmJS6_EEE10hipError_tPvRmT3_T4_T5_T6_T7_T9_mT8_P12ihipStream_tbDpT10_ENKUlT_T0_E_clISt17integral_constantIbLb1EES1B_IbLb0EEEEDaS17_S18_EUlS17_E_NS1_11comp_targetILNS1_3genE10ELNS1_11target_archE1200ELNS1_3gpuE4ELNS1_3repE0EEENS1_30default_config_static_selectorELNS0_4arch9wavefront6targetE1EEEvT1_.private_seg_size, 0
	.set _ZN7rocprim17ROCPRIM_400000_NS6detail17trampoline_kernelINS0_14default_configENS1_25partition_config_selectorILNS1_17partition_subalgoE8ElNS0_10empty_typeEbEEZZNS1_14partition_implILS5_8ELb0ES3_jPlPS6_PKS6_NS0_5tupleIJS9_S6_EEENSD_IJSA_SA_EEENS0_18inequality_wrapperIZN2at6native12_GLOBAL__N_124unique_dim_cuda_templateIdEESt5tupleIJNSH_6TensorESM_SM_EERKSM_lbbbEUlllE0_EEPmJS6_EEE10hipError_tPvRmT3_T4_T5_T6_T7_T9_mT8_P12ihipStream_tbDpT10_ENKUlT_T0_E_clISt17integral_constantIbLb1EES1B_IbLb0EEEEDaS17_S18_EUlS17_E_NS1_11comp_targetILNS1_3genE10ELNS1_11target_archE1200ELNS1_3gpuE4ELNS1_3repE0EEENS1_30default_config_static_selectorELNS0_4arch9wavefront6targetE1EEEvT1_.uses_vcc, 0
	.set _ZN7rocprim17ROCPRIM_400000_NS6detail17trampoline_kernelINS0_14default_configENS1_25partition_config_selectorILNS1_17partition_subalgoE8ElNS0_10empty_typeEbEEZZNS1_14partition_implILS5_8ELb0ES3_jPlPS6_PKS6_NS0_5tupleIJS9_S6_EEENSD_IJSA_SA_EEENS0_18inequality_wrapperIZN2at6native12_GLOBAL__N_124unique_dim_cuda_templateIdEESt5tupleIJNSH_6TensorESM_SM_EERKSM_lbbbEUlllE0_EEPmJS6_EEE10hipError_tPvRmT3_T4_T5_T6_T7_T9_mT8_P12ihipStream_tbDpT10_ENKUlT_T0_E_clISt17integral_constantIbLb1EES1B_IbLb0EEEEDaS17_S18_EUlS17_E_NS1_11comp_targetILNS1_3genE10ELNS1_11target_archE1200ELNS1_3gpuE4ELNS1_3repE0EEENS1_30default_config_static_selectorELNS0_4arch9wavefront6targetE1EEEvT1_.uses_flat_scratch, 0
	.set _ZN7rocprim17ROCPRIM_400000_NS6detail17trampoline_kernelINS0_14default_configENS1_25partition_config_selectorILNS1_17partition_subalgoE8ElNS0_10empty_typeEbEEZZNS1_14partition_implILS5_8ELb0ES3_jPlPS6_PKS6_NS0_5tupleIJS9_S6_EEENSD_IJSA_SA_EEENS0_18inequality_wrapperIZN2at6native12_GLOBAL__N_124unique_dim_cuda_templateIdEESt5tupleIJNSH_6TensorESM_SM_EERKSM_lbbbEUlllE0_EEPmJS6_EEE10hipError_tPvRmT3_T4_T5_T6_T7_T9_mT8_P12ihipStream_tbDpT10_ENKUlT_T0_E_clISt17integral_constantIbLb1EES1B_IbLb0EEEEDaS17_S18_EUlS17_E_NS1_11comp_targetILNS1_3genE10ELNS1_11target_archE1200ELNS1_3gpuE4ELNS1_3repE0EEENS1_30default_config_static_selectorELNS0_4arch9wavefront6targetE1EEEvT1_.has_dyn_sized_stack, 0
	.set _ZN7rocprim17ROCPRIM_400000_NS6detail17trampoline_kernelINS0_14default_configENS1_25partition_config_selectorILNS1_17partition_subalgoE8ElNS0_10empty_typeEbEEZZNS1_14partition_implILS5_8ELb0ES3_jPlPS6_PKS6_NS0_5tupleIJS9_S6_EEENSD_IJSA_SA_EEENS0_18inequality_wrapperIZN2at6native12_GLOBAL__N_124unique_dim_cuda_templateIdEESt5tupleIJNSH_6TensorESM_SM_EERKSM_lbbbEUlllE0_EEPmJS6_EEE10hipError_tPvRmT3_T4_T5_T6_T7_T9_mT8_P12ihipStream_tbDpT10_ENKUlT_T0_E_clISt17integral_constantIbLb1EES1B_IbLb0EEEEDaS17_S18_EUlS17_E_NS1_11comp_targetILNS1_3genE10ELNS1_11target_archE1200ELNS1_3gpuE4ELNS1_3repE0EEENS1_30default_config_static_selectorELNS0_4arch9wavefront6targetE1EEEvT1_.has_recursion, 0
	.set _ZN7rocprim17ROCPRIM_400000_NS6detail17trampoline_kernelINS0_14default_configENS1_25partition_config_selectorILNS1_17partition_subalgoE8ElNS0_10empty_typeEbEEZZNS1_14partition_implILS5_8ELb0ES3_jPlPS6_PKS6_NS0_5tupleIJS9_S6_EEENSD_IJSA_SA_EEENS0_18inequality_wrapperIZN2at6native12_GLOBAL__N_124unique_dim_cuda_templateIdEESt5tupleIJNSH_6TensorESM_SM_EERKSM_lbbbEUlllE0_EEPmJS6_EEE10hipError_tPvRmT3_T4_T5_T6_T7_T9_mT8_P12ihipStream_tbDpT10_ENKUlT_T0_E_clISt17integral_constantIbLb1EES1B_IbLb0EEEEDaS17_S18_EUlS17_E_NS1_11comp_targetILNS1_3genE10ELNS1_11target_archE1200ELNS1_3gpuE4ELNS1_3repE0EEENS1_30default_config_static_selectorELNS0_4arch9wavefront6targetE1EEEvT1_.has_indirect_call, 0
	.section	.AMDGPU.csdata,"",@progbits
; Kernel info:
; codeLenInByte = 0
; TotalNumSgprs: 6
; NumVgprs: 0
; NumAgprs: 0
; TotalNumVgprs: 0
; ScratchSize: 0
; MemoryBound: 0
; FloatMode: 240
; IeeeMode: 1
; LDSByteSize: 0 bytes/workgroup (compile time only)
; SGPRBlocks: 0
; VGPRBlocks: 0
; NumSGPRsForWavesPerEU: 6
; NumVGPRsForWavesPerEU: 1
; AccumOffset: 4
; Occupancy: 8
; WaveLimiterHint : 0
; COMPUTE_PGM_RSRC2:SCRATCH_EN: 0
; COMPUTE_PGM_RSRC2:USER_SGPR: 2
; COMPUTE_PGM_RSRC2:TRAP_HANDLER: 0
; COMPUTE_PGM_RSRC2:TGID_X_EN: 1
; COMPUTE_PGM_RSRC2:TGID_Y_EN: 0
; COMPUTE_PGM_RSRC2:TGID_Z_EN: 0
; COMPUTE_PGM_RSRC2:TIDIG_COMP_CNT: 0
; COMPUTE_PGM_RSRC3_GFX90A:ACCUM_OFFSET: 0
; COMPUTE_PGM_RSRC3_GFX90A:TG_SPLIT: 0
	.section	.text._ZN7rocprim17ROCPRIM_400000_NS6detail17trampoline_kernelINS0_14default_configENS1_25partition_config_selectorILNS1_17partition_subalgoE8ElNS0_10empty_typeEbEEZZNS1_14partition_implILS5_8ELb0ES3_jPlPS6_PKS6_NS0_5tupleIJS9_S6_EEENSD_IJSA_SA_EEENS0_18inequality_wrapperIZN2at6native12_GLOBAL__N_124unique_dim_cuda_templateIdEESt5tupleIJNSH_6TensorESM_SM_EERKSM_lbbbEUlllE0_EEPmJS6_EEE10hipError_tPvRmT3_T4_T5_T6_T7_T9_mT8_P12ihipStream_tbDpT10_ENKUlT_T0_E_clISt17integral_constantIbLb1EES1B_IbLb0EEEEDaS17_S18_EUlS17_E_NS1_11comp_targetILNS1_3genE9ELNS1_11target_archE1100ELNS1_3gpuE3ELNS1_3repE0EEENS1_30default_config_static_selectorELNS0_4arch9wavefront6targetE1EEEvT1_,"axG",@progbits,_ZN7rocprim17ROCPRIM_400000_NS6detail17trampoline_kernelINS0_14default_configENS1_25partition_config_selectorILNS1_17partition_subalgoE8ElNS0_10empty_typeEbEEZZNS1_14partition_implILS5_8ELb0ES3_jPlPS6_PKS6_NS0_5tupleIJS9_S6_EEENSD_IJSA_SA_EEENS0_18inequality_wrapperIZN2at6native12_GLOBAL__N_124unique_dim_cuda_templateIdEESt5tupleIJNSH_6TensorESM_SM_EERKSM_lbbbEUlllE0_EEPmJS6_EEE10hipError_tPvRmT3_T4_T5_T6_T7_T9_mT8_P12ihipStream_tbDpT10_ENKUlT_T0_E_clISt17integral_constantIbLb1EES1B_IbLb0EEEEDaS17_S18_EUlS17_E_NS1_11comp_targetILNS1_3genE9ELNS1_11target_archE1100ELNS1_3gpuE3ELNS1_3repE0EEENS1_30default_config_static_selectorELNS0_4arch9wavefront6targetE1EEEvT1_,comdat
	.globl	_ZN7rocprim17ROCPRIM_400000_NS6detail17trampoline_kernelINS0_14default_configENS1_25partition_config_selectorILNS1_17partition_subalgoE8ElNS0_10empty_typeEbEEZZNS1_14partition_implILS5_8ELb0ES3_jPlPS6_PKS6_NS0_5tupleIJS9_S6_EEENSD_IJSA_SA_EEENS0_18inequality_wrapperIZN2at6native12_GLOBAL__N_124unique_dim_cuda_templateIdEESt5tupleIJNSH_6TensorESM_SM_EERKSM_lbbbEUlllE0_EEPmJS6_EEE10hipError_tPvRmT3_T4_T5_T6_T7_T9_mT8_P12ihipStream_tbDpT10_ENKUlT_T0_E_clISt17integral_constantIbLb1EES1B_IbLb0EEEEDaS17_S18_EUlS17_E_NS1_11comp_targetILNS1_3genE9ELNS1_11target_archE1100ELNS1_3gpuE3ELNS1_3repE0EEENS1_30default_config_static_selectorELNS0_4arch9wavefront6targetE1EEEvT1_ ; -- Begin function _ZN7rocprim17ROCPRIM_400000_NS6detail17trampoline_kernelINS0_14default_configENS1_25partition_config_selectorILNS1_17partition_subalgoE8ElNS0_10empty_typeEbEEZZNS1_14partition_implILS5_8ELb0ES3_jPlPS6_PKS6_NS0_5tupleIJS9_S6_EEENSD_IJSA_SA_EEENS0_18inequality_wrapperIZN2at6native12_GLOBAL__N_124unique_dim_cuda_templateIdEESt5tupleIJNSH_6TensorESM_SM_EERKSM_lbbbEUlllE0_EEPmJS6_EEE10hipError_tPvRmT3_T4_T5_T6_T7_T9_mT8_P12ihipStream_tbDpT10_ENKUlT_T0_E_clISt17integral_constantIbLb1EES1B_IbLb0EEEEDaS17_S18_EUlS17_E_NS1_11comp_targetILNS1_3genE9ELNS1_11target_archE1100ELNS1_3gpuE3ELNS1_3repE0EEENS1_30default_config_static_selectorELNS0_4arch9wavefront6targetE1EEEvT1_
	.p2align	8
	.type	_ZN7rocprim17ROCPRIM_400000_NS6detail17trampoline_kernelINS0_14default_configENS1_25partition_config_selectorILNS1_17partition_subalgoE8ElNS0_10empty_typeEbEEZZNS1_14partition_implILS5_8ELb0ES3_jPlPS6_PKS6_NS0_5tupleIJS9_S6_EEENSD_IJSA_SA_EEENS0_18inequality_wrapperIZN2at6native12_GLOBAL__N_124unique_dim_cuda_templateIdEESt5tupleIJNSH_6TensorESM_SM_EERKSM_lbbbEUlllE0_EEPmJS6_EEE10hipError_tPvRmT3_T4_T5_T6_T7_T9_mT8_P12ihipStream_tbDpT10_ENKUlT_T0_E_clISt17integral_constantIbLb1EES1B_IbLb0EEEEDaS17_S18_EUlS17_E_NS1_11comp_targetILNS1_3genE9ELNS1_11target_archE1100ELNS1_3gpuE3ELNS1_3repE0EEENS1_30default_config_static_selectorELNS0_4arch9wavefront6targetE1EEEvT1_,@function
_ZN7rocprim17ROCPRIM_400000_NS6detail17trampoline_kernelINS0_14default_configENS1_25partition_config_selectorILNS1_17partition_subalgoE8ElNS0_10empty_typeEbEEZZNS1_14partition_implILS5_8ELb0ES3_jPlPS6_PKS6_NS0_5tupleIJS9_S6_EEENSD_IJSA_SA_EEENS0_18inequality_wrapperIZN2at6native12_GLOBAL__N_124unique_dim_cuda_templateIdEESt5tupleIJNSH_6TensorESM_SM_EERKSM_lbbbEUlllE0_EEPmJS6_EEE10hipError_tPvRmT3_T4_T5_T6_T7_T9_mT8_P12ihipStream_tbDpT10_ENKUlT_T0_E_clISt17integral_constantIbLb1EES1B_IbLb0EEEEDaS17_S18_EUlS17_E_NS1_11comp_targetILNS1_3genE9ELNS1_11target_archE1100ELNS1_3gpuE3ELNS1_3repE0EEENS1_30default_config_static_selectorELNS0_4arch9wavefront6targetE1EEEvT1_: ; @_ZN7rocprim17ROCPRIM_400000_NS6detail17trampoline_kernelINS0_14default_configENS1_25partition_config_selectorILNS1_17partition_subalgoE8ElNS0_10empty_typeEbEEZZNS1_14partition_implILS5_8ELb0ES3_jPlPS6_PKS6_NS0_5tupleIJS9_S6_EEENSD_IJSA_SA_EEENS0_18inequality_wrapperIZN2at6native12_GLOBAL__N_124unique_dim_cuda_templateIdEESt5tupleIJNSH_6TensorESM_SM_EERKSM_lbbbEUlllE0_EEPmJS6_EEE10hipError_tPvRmT3_T4_T5_T6_T7_T9_mT8_P12ihipStream_tbDpT10_ENKUlT_T0_E_clISt17integral_constantIbLb1EES1B_IbLb0EEEEDaS17_S18_EUlS17_E_NS1_11comp_targetILNS1_3genE9ELNS1_11target_archE1100ELNS1_3gpuE3ELNS1_3repE0EEENS1_30default_config_static_selectorELNS0_4arch9wavefront6targetE1EEEvT1_
; %bb.0:
	.section	.rodata,"a",@progbits
	.p2align	6, 0x0
	.amdhsa_kernel _ZN7rocprim17ROCPRIM_400000_NS6detail17trampoline_kernelINS0_14default_configENS1_25partition_config_selectorILNS1_17partition_subalgoE8ElNS0_10empty_typeEbEEZZNS1_14partition_implILS5_8ELb0ES3_jPlPS6_PKS6_NS0_5tupleIJS9_S6_EEENSD_IJSA_SA_EEENS0_18inequality_wrapperIZN2at6native12_GLOBAL__N_124unique_dim_cuda_templateIdEESt5tupleIJNSH_6TensorESM_SM_EERKSM_lbbbEUlllE0_EEPmJS6_EEE10hipError_tPvRmT3_T4_T5_T6_T7_T9_mT8_P12ihipStream_tbDpT10_ENKUlT_T0_E_clISt17integral_constantIbLb1EES1B_IbLb0EEEEDaS17_S18_EUlS17_E_NS1_11comp_targetILNS1_3genE9ELNS1_11target_archE1100ELNS1_3gpuE3ELNS1_3repE0EEENS1_30default_config_static_selectorELNS0_4arch9wavefront6targetE1EEEvT1_
		.amdhsa_group_segment_fixed_size 0
		.amdhsa_private_segment_fixed_size 0
		.amdhsa_kernarg_size 120
		.amdhsa_user_sgpr_count 2
		.amdhsa_user_sgpr_dispatch_ptr 0
		.amdhsa_user_sgpr_queue_ptr 0
		.amdhsa_user_sgpr_kernarg_segment_ptr 1
		.amdhsa_user_sgpr_dispatch_id 0
		.amdhsa_user_sgpr_kernarg_preload_length 0
		.amdhsa_user_sgpr_kernarg_preload_offset 0
		.amdhsa_user_sgpr_private_segment_size 0
		.amdhsa_uses_dynamic_stack 0
		.amdhsa_enable_private_segment 0
		.amdhsa_system_sgpr_workgroup_id_x 1
		.amdhsa_system_sgpr_workgroup_id_y 0
		.amdhsa_system_sgpr_workgroup_id_z 0
		.amdhsa_system_sgpr_workgroup_info 0
		.amdhsa_system_vgpr_workitem_id 0
		.amdhsa_next_free_vgpr 1
		.amdhsa_next_free_sgpr 0
		.amdhsa_accum_offset 4
		.amdhsa_reserve_vcc 0
		.amdhsa_float_round_mode_32 0
		.amdhsa_float_round_mode_16_64 0
		.amdhsa_float_denorm_mode_32 3
		.amdhsa_float_denorm_mode_16_64 3
		.amdhsa_dx10_clamp 1
		.amdhsa_ieee_mode 1
		.amdhsa_fp16_overflow 0
		.amdhsa_tg_split 0
		.amdhsa_exception_fp_ieee_invalid_op 0
		.amdhsa_exception_fp_denorm_src 0
		.amdhsa_exception_fp_ieee_div_zero 0
		.amdhsa_exception_fp_ieee_overflow 0
		.amdhsa_exception_fp_ieee_underflow 0
		.amdhsa_exception_fp_ieee_inexact 0
		.amdhsa_exception_int_div_zero 0
	.end_amdhsa_kernel
	.section	.text._ZN7rocprim17ROCPRIM_400000_NS6detail17trampoline_kernelINS0_14default_configENS1_25partition_config_selectorILNS1_17partition_subalgoE8ElNS0_10empty_typeEbEEZZNS1_14partition_implILS5_8ELb0ES3_jPlPS6_PKS6_NS0_5tupleIJS9_S6_EEENSD_IJSA_SA_EEENS0_18inequality_wrapperIZN2at6native12_GLOBAL__N_124unique_dim_cuda_templateIdEESt5tupleIJNSH_6TensorESM_SM_EERKSM_lbbbEUlllE0_EEPmJS6_EEE10hipError_tPvRmT3_T4_T5_T6_T7_T9_mT8_P12ihipStream_tbDpT10_ENKUlT_T0_E_clISt17integral_constantIbLb1EES1B_IbLb0EEEEDaS17_S18_EUlS17_E_NS1_11comp_targetILNS1_3genE9ELNS1_11target_archE1100ELNS1_3gpuE3ELNS1_3repE0EEENS1_30default_config_static_selectorELNS0_4arch9wavefront6targetE1EEEvT1_,"axG",@progbits,_ZN7rocprim17ROCPRIM_400000_NS6detail17trampoline_kernelINS0_14default_configENS1_25partition_config_selectorILNS1_17partition_subalgoE8ElNS0_10empty_typeEbEEZZNS1_14partition_implILS5_8ELb0ES3_jPlPS6_PKS6_NS0_5tupleIJS9_S6_EEENSD_IJSA_SA_EEENS0_18inequality_wrapperIZN2at6native12_GLOBAL__N_124unique_dim_cuda_templateIdEESt5tupleIJNSH_6TensorESM_SM_EERKSM_lbbbEUlllE0_EEPmJS6_EEE10hipError_tPvRmT3_T4_T5_T6_T7_T9_mT8_P12ihipStream_tbDpT10_ENKUlT_T0_E_clISt17integral_constantIbLb1EES1B_IbLb0EEEEDaS17_S18_EUlS17_E_NS1_11comp_targetILNS1_3genE9ELNS1_11target_archE1100ELNS1_3gpuE3ELNS1_3repE0EEENS1_30default_config_static_selectorELNS0_4arch9wavefront6targetE1EEEvT1_,comdat
.Lfunc_end829:
	.size	_ZN7rocprim17ROCPRIM_400000_NS6detail17trampoline_kernelINS0_14default_configENS1_25partition_config_selectorILNS1_17partition_subalgoE8ElNS0_10empty_typeEbEEZZNS1_14partition_implILS5_8ELb0ES3_jPlPS6_PKS6_NS0_5tupleIJS9_S6_EEENSD_IJSA_SA_EEENS0_18inequality_wrapperIZN2at6native12_GLOBAL__N_124unique_dim_cuda_templateIdEESt5tupleIJNSH_6TensorESM_SM_EERKSM_lbbbEUlllE0_EEPmJS6_EEE10hipError_tPvRmT3_T4_T5_T6_T7_T9_mT8_P12ihipStream_tbDpT10_ENKUlT_T0_E_clISt17integral_constantIbLb1EES1B_IbLb0EEEEDaS17_S18_EUlS17_E_NS1_11comp_targetILNS1_3genE9ELNS1_11target_archE1100ELNS1_3gpuE3ELNS1_3repE0EEENS1_30default_config_static_selectorELNS0_4arch9wavefront6targetE1EEEvT1_, .Lfunc_end829-_ZN7rocprim17ROCPRIM_400000_NS6detail17trampoline_kernelINS0_14default_configENS1_25partition_config_selectorILNS1_17partition_subalgoE8ElNS0_10empty_typeEbEEZZNS1_14partition_implILS5_8ELb0ES3_jPlPS6_PKS6_NS0_5tupleIJS9_S6_EEENSD_IJSA_SA_EEENS0_18inequality_wrapperIZN2at6native12_GLOBAL__N_124unique_dim_cuda_templateIdEESt5tupleIJNSH_6TensorESM_SM_EERKSM_lbbbEUlllE0_EEPmJS6_EEE10hipError_tPvRmT3_T4_T5_T6_T7_T9_mT8_P12ihipStream_tbDpT10_ENKUlT_T0_E_clISt17integral_constantIbLb1EES1B_IbLb0EEEEDaS17_S18_EUlS17_E_NS1_11comp_targetILNS1_3genE9ELNS1_11target_archE1100ELNS1_3gpuE3ELNS1_3repE0EEENS1_30default_config_static_selectorELNS0_4arch9wavefront6targetE1EEEvT1_
                                        ; -- End function
	.set _ZN7rocprim17ROCPRIM_400000_NS6detail17trampoline_kernelINS0_14default_configENS1_25partition_config_selectorILNS1_17partition_subalgoE8ElNS0_10empty_typeEbEEZZNS1_14partition_implILS5_8ELb0ES3_jPlPS6_PKS6_NS0_5tupleIJS9_S6_EEENSD_IJSA_SA_EEENS0_18inequality_wrapperIZN2at6native12_GLOBAL__N_124unique_dim_cuda_templateIdEESt5tupleIJNSH_6TensorESM_SM_EERKSM_lbbbEUlllE0_EEPmJS6_EEE10hipError_tPvRmT3_T4_T5_T6_T7_T9_mT8_P12ihipStream_tbDpT10_ENKUlT_T0_E_clISt17integral_constantIbLb1EES1B_IbLb0EEEEDaS17_S18_EUlS17_E_NS1_11comp_targetILNS1_3genE9ELNS1_11target_archE1100ELNS1_3gpuE3ELNS1_3repE0EEENS1_30default_config_static_selectorELNS0_4arch9wavefront6targetE1EEEvT1_.num_vgpr, 0
	.set _ZN7rocprim17ROCPRIM_400000_NS6detail17trampoline_kernelINS0_14default_configENS1_25partition_config_selectorILNS1_17partition_subalgoE8ElNS0_10empty_typeEbEEZZNS1_14partition_implILS5_8ELb0ES3_jPlPS6_PKS6_NS0_5tupleIJS9_S6_EEENSD_IJSA_SA_EEENS0_18inequality_wrapperIZN2at6native12_GLOBAL__N_124unique_dim_cuda_templateIdEESt5tupleIJNSH_6TensorESM_SM_EERKSM_lbbbEUlllE0_EEPmJS6_EEE10hipError_tPvRmT3_T4_T5_T6_T7_T9_mT8_P12ihipStream_tbDpT10_ENKUlT_T0_E_clISt17integral_constantIbLb1EES1B_IbLb0EEEEDaS17_S18_EUlS17_E_NS1_11comp_targetILNS1_3genE9ELNS1_11target_archE1100ELNS1_3gpuE3ELNS1_3repE0EEENS1_30default_config_static_selectorELNS0_4arch9wavefront6targetE1EEEvT1_.num_agpr, 0
	.set _ZN7rocprim17ROCPRIM_400000_NS6detail17trampoline_kernelINS0_14default_configENS1_25partition_config_selectorILNS1_17partition_subalgoE8ElNS0_10empty_typeEbEEZZNS1_14partition_implILS5_8ELb0ES3_jPlPS6_PKS6_NS0_5tupleIJS9_S6_EEENSD_IJSA_SA_EEENS0_18inequality_wrapperIZN2at6native12_GLOBAL__N_124unique_dim_cuda_templateIdEESt5tupleIJNSH_6TensorESM_SM_EERKSM_lbbbEUlllE0_EEPmJS6_EEE10hipError_tPvRmT3_T4_T5_T6_T7_T9_mT8_P12ihipStream_tbDpT10_ENKUlT_T0_E_clISt17integral_constantIbLb1EES1B_IbLb0EEEEDaS17_S18_EUlS17_E_NS1_11comp_targetILNS1_3genE9ELNS1_11target_archE1100ELNS1_3gpuE3ELNS1_3repE0EEENS1_30default_config_static_selectorELNS0_4arch9wavefront6targetE1EEEvT1_.numbered_sgpr, 0
	.set _ZN7rocprim17ROCPRIM_400000_NS6detail17trampoline_kernelINS0_14default_configENS1_25partition_config_selectorILNS1_17partition_subalgoE8ElNS0_10empty_typeEbEEZZNS1_14partition_implILS5_8ELb0ES3_jPlPS6_PKS6_NS0_5tupleIJS9_S6_EEENSD_IJSA_SA_EEENS0_18inequality_wrapperIZN2at6native12_GLOBAL__N_124unique_dim_cuda_templateIdEESt5tupleIJNSH_6TensorESM_SM_EERKSM_lbbbEUlllE0_EEPmJS6_EEE10hipError_tPvRmT3_T4_T5_T6_T7_T9_mT8_P12ihipStream_tbDpT10_ENKUlT_T0_E_clISt17integral_constantIbLb1EES1B_IbLb0EEEEDaS17_S18_EUlS17_E_NS1_11comp_targetILNS1_3genE9ELNS1_11target_archE1100ELNS1_3gpuE3ELNS1_3repE0EEENS1_30default_config_static_selectorELNS0_4arch9wavefront6targetE1EEEvT1_.num_named_barrier, 0
	.set _ZN7rocprim17ROCPRIM_400000_NS6detail17trampoline_kernelINS0_14default_configENS1_25partition_config_selectorILNS1_17partition_subalgoE8ElNS0_10empty_typeEbEEZZNS1_14partition_implILS5_8ELb0ES3_jPlPS6_PKS6_NS0_5tupleIJS9_S6_EEENSD_IJSA_SA_EEENS0_18inequality_wrapperIZN2at6native12_GLOBAL__N_124unique_dim_cuda_templateIdEESt5tupleIJNSH_6TensorESM_SM_EERKSM_lbbbEUlllE0_EEPmJS6_EEE10hipError_tPvRmT3_T4_T5_T6_T7_T9_mT8_P12ihipStream_tbDpT10_ENKUlT_T0_E_clISt17integral_constantIbLb1EES1B_IbLb0EEEEDaS17_S18_EUlS17_E_NS1_11comp_targetILNS1_3genE9ELNS1_11target_archE1100ELNS1_3gpuE3ELNS1_3repE0EEENS1_30default_config_static_selectorELNS0_4arch9wavefront6targetE1EEEvT1_.private_seg_size, 0
	.set _ZN7rocprim17ROCPRIM_400000_NS6detail17trampoline_kernelINS0_14default_configENS1_25partition_config_selectorILNS1_17partition_subalgoE8ElNS0_10empty_typeEbEEZZNS1_14partition_implILS5_8ELb0ES3_jPlPS6_PKS6_NS0_5tupleIJS9_S6_EEENSD_IJSA_SA_EEENS0_18inequality_wrapperIZN2at6native12_GLOBAL__N_124unique_dim_cuda_templateIdEESt5tupleIJNSH_6TensorESM_SM_EERKSM_lbbbEUlllE0_EEPmJS6_EEE10hipError_tPvRmT3_T4_T5_T6_T7_T9_mT8_P12ihipStream_tbDpT10_ENKUlT_T0_E_clISt17integral_constantIbLb1EES1B_IbLb0EEEEDaS17_S18_EUlS17_E_NS1_11comp_targetILNS1_3genE9ELNS1_11target_archE1100ELNS1_3gpuE3ELNS1_3repE0EEENS1_30default_config_static_selectorELNS0_4arch9wavefront6targetE1EEEvT1_.uses_vcc, 0
	.set _ZN7rocprim17ROCPRIM_400000_NS6detail17trampoline_kernelINS0_14default_configENS1_25partition_config_selectorILNS1_17partition_subalgoE8ElNS0_10empty_typeEbEEZZNS1_14partition_implILS5_8ELb0ES3_jPlPS6_PKS6_NS0_5tupleIJS9_S6_EEENSD_IJSA_SA_EEENS0_18inequality_wrapperIZN2at6native12_GLOBAL__N_124unique_dim_cuda_templateIdEESt5tupleIJNSH_6TensorESM_SM_EERKSM_lbbbEUlllE0_EEPmJS6_EEE10hipError_tPvRmT3_T4_T5_T6_T7_T9_mT8_P12ihipStream_tbDpT10_ENKUlT_T0_E_clISt17integral_constantIbLb1EES1B_IbLb0EEEEDaS17_S18_EUlS17_E_NS1_11comp_targetILNS1_3genE9ELNS1_11target_archE1100ELNS1_3gpuE3ELNS1_3repE0EEENS1_30default_config_static_selectorELNS0_4arch9wavefront6targetE1EEEvT1_.uses_flat_scratch, 0
	.set _ZN7rocprim17ROCPRIM_400000_NS6detail17trampoline_kernelINS0_14default_configENS1_25partition_config_selectorILNS1_17partition_subalgoE8ElNS0_10empty_typeEbEEZZNS1_14partition_implILS5_8ELb0ES3_jPlPS6_PKS6_NS0_5tupleIJS9_S6_EEENSD_IJSA_SA_EEENS0_18inequality_wrapperIZN2at6native12_GLOBAL__N_124unique_dim_cuda_templateIdEESt5tupleIJNSH_6TensorESM_SM_EERKSM_lbbbEUlllE0_EEPmJS6_EEE10hipError_tPvRmT3_T4_T5_T6_T7_T9_mT8_P12ihipStream_tbDpT10_ENKUlT_T0_E_clISt17integral_constantIbLb1EES1B_IbLb0EEEEDaS17_S18_EUlS17_E_NS1_11comp_targetILNS1_3genE9ELNS1_11target_archE1100ELNS1_3gpuE3ELNS1_3repE0EEENS1_30default_config_static_selectorELNS0_4arch9wavefront6targetE1EEEvT1_.has_dyn_sized_stack, 0
	.set _ZN7rocprim17ROCPRIM_400000_NS6detail17trampoline_kernelINS0_14default_configENS1_25partition_config_selectorILNS1_17partition_subalgoE8ElNS0_10empty_typeEbEEZZNS1_14partition_implILS5_8ELb0ES3_jPlPS6_PKS6_NS0_5tupleIJS9_S6_EEENSD_IJSA_SA_EEENS0_18inequality_wrapperIZN2at6native12_GLOBAL__N_124unique_dim_cuda_templateIdEESt5tupleIJNSH_6TensorESM_SM_EERKSM_lbbbEUlllE0_EEPmJS6_EEE10hipError_tPvRmT3_T4_T5_T6_T7_T9_mT8_P12ihipStream_tbDpT10_ENKUlT_T0_E_clISt17integral_constantIbLb1EES1B_IbLb0EEEEDaS17_S18_EUlS17_E_NS1_11comp_targetILNS1_3genE9ELNS1_11target_archE1100ELNS1_3gpuE3ELNS1_3repE0EEENS1_30default_config_static_selectorELNS0_4arch9wavefront6targetE1EEEvT1_.has_recursion, 0
	.set _ZN7rocprim17ROCPRIM_400000_NS6detail17trampoline_kernelINS0_14default_configENS1_25partition_config_selectorILNS1_17partition_subalgoE8ElNS0_10empty_typeEbEEZZNS1_14partition_implILS5_8ELb0ES3_jPlPS6_PKS6_NS0_5tupleIJS9_S6_EEENSD_IJSA_SA_EEENS0_18inequality_wrapperIZN2at6native12_GLOBAL__N_124unique_dim_cuda_templateIdEESt5tupleIJNSH_6TensorESM_SM_EERKSM_lbbbEUlllE0_EEPmJS6_EEE10hipError_tPvRmT3_T4_T5_T6_T7_T9_mT8_P12ihipStream_tbDpT10_ENKUlT_T0_E_clISt17integral_constantIbLb1EES1B_IbLb0EEEEDaS17_S18_EUlS17_E_NS1_11comp_targetILNS1_3genE9ELNS1_11target_archE1100ELNS1_3gpuE3ELNS1_3repE0EEENS1_30default_config_static_selectorELNS0_4arch9wavefront6targetE1EEEvT1_.has_indirect_call, 0
	.section	.AMDGPU.csdata,"",@progbits
; Kernel info:
; codeLenInByte = 0
; TotalNumSgprs: 6
; NumVgprs: 0
; NumAgprs: 0
; TotalNumVgprs: 0
; ScratchSize: 0
; MemoryBound: 0
; FloatMode: 240
; IeeeMode: 1
; LDSByteSize: 0 bytes/workgroup (compile time only)
; SGPRBlocks: 0
; VGPRBlocks: 0
; NumSGPRsForWavesPerEU: 6
; NumVGPRsForWavesPerEU: 1
; AccumOffset: 4
; Occupancy: 8
; WaveLimiterHint : 0
; COMPUTE_PGM_RSRC2:SCRATCH_EN: 0
; COMPUTE_PGM_RSRC2:USER_SGPR: 2
; COMPUTE_PGM_RSRC2:TRAP_HANDLER: 0
; COMPUTE_PGM_RSRC2:TGID_X_EN: 1
; COMPUTE_PGM_RSRC2:TGID_Y_EN: 0
; COMPUTE_PGM_RSRC2:TGID_Z_EN: 0
; COMPUTE_PGM_RSRC2:TIDIG_COMP_CNT: 0
; COMPUTE_PGM_RSRC3_GFX90A:ACCUM_OFFSET: 0
; COMPUTE_PGM_RSRC3_GFX90A:TG_SPLIT: 0
	.section	.text._ZN7rocprim17ROCPRIM_400000_NS6detail17trampoline_kernelINS0_14default_configENS1_25partition_config_selectorILNS1_17partition_subalgoE8ElNS0_10empty_typeEbEEZZNS1_14partition_implILS5_8ELb0ES3_jPlPS6_PKS6_NS0_5tupleIJS9_S6_EEENSD_IJSA_SA_EEENS0_18inequality_wrapperIZN2at6native12_GLOBAL__N_124unique_dim_cuda_templateIdEESt5tupleIJNSH_6TensorESM_SM_EERKSM_lbbbEUlllE0_EEPmJS6_EEE10hipError_tPvRmT3_T4_T5_T6_T7_T9_mT8_P12ihipStream_tbDpT10_ENKUlT_T0_E_clISt17integral_constantIbLb1EES1B_IbLb0EEEEDaS17_S18_EUlS17_E_NS1_11comp_targetILNS1_3genE8ELNS1_11target_archE1030ELNS1_3gpuE2ELNS1_3repE0EEENS1_30default_config_static_selectorELNS0_4arch9wavefront6targetE1EEEvT1_,"axG",@progbits,_ZN7rocprim17ROCPRIM_400000_NS6detail17trampoline_kernelINS0_14default_configENS1_25partition_config_selectorILNS1_17partition_subalgoE8ElNS0_10empty_typeEbEEZZNS1_14partition_implILS5_8ELb0ES3_jPlPS6_PKS6_NS0_5tupleIJS9_S6_EEENSD_IJSA_SA_EEENS0_18inequality_wrapperIZN2at6native12_GLOBAL__N_124unique_dim_cuda_templateIdEESt5tupleIJNSH_6TensorESM_SM_EERKSM_lbbbEUlllE0_EEPmJS6_EEE10hipError_tPvRmT3_T4_T5_T6_T7_T9_mT8_P12ihipStream_tbDpT10_ENKUlT_T0_E_clISt17integral_constantIbLb1EES1B_IbLb0EEEEDaS17_S18_EUlS17_E_NS1_11comp_targetILNS1_3genE8ELNS1_11target_archE1030ELNS1_3gpuE2ELNS1_3repE0EEENS1_30default_config_static_selectorELNS0_4arch9wavefront6targetE1EEEvT1_,comdat
	.globl	_ZN7rocprim17ROCPRIM_400000_NS6detail17trampoline_kernelINS0_14default_configENS1_25partition_config_selectorILNS1_17partition_subalgoE8ElNS0_10empty_typeEbEEZZNS1_14partition_implILS5_8ELb0ES3_jPlPS6_PKS6_NS0_5tupleIJS9_S6_EEENSD_IJSA_SA_EEENS0_18inequality_wrapperIZN2at6native12_GLOBAL__N_124unique_dim_cuda_templateIdEESt5tupleIJNSH_6TensorESM_SM_EERKSM_lbbbEUlllE0_EEPmJS6_EEE10hipError_tPvRmT3_T4_T5_T6_T7_T9_mT8_P12ihipStream_tbDpT10_ENKUlT_T0_E_clISt17integral_constantIbLb1EES1B_IbLb0EEEEDaS17_S18_EUlS17_E_NS1_11comp_targetILNS1_3genE8ELNS1_11target_archE1030ELNS1_3gpuE2ELNS1_3repE0EEENS1_30default_config_static_selectorELNS0_4arch9wavefront6targetE1EEEvT1_ ; -- Begin function _ZN7rocprim17ROCPRIM_400000_NS6detail17trampoline_kernelINS0_14default_configENS1_25partition_config_selectorILNS1_17partition_subalgoE8ElNS0_10empty_typeEbEEZZNS1_14partition_implILS5_8ELb0ES3_jPlPS6_PKS6_NS0_5tupleIJS9_S6_EEENSD_IJSA_SA_EEENS0_18inequality_wrapperIZN2at6native12_GLOBAL__N_124unique_dim_cuda_templateIdEESt5tupleIJNSH_6TensorESM_SM_EERKSM_lbbbEUlllE0_EEPmJS6_EEE10hipError_tPvRmT3_T4_T5_T6_T7_T9_mT8_P12ihipStream_tbDpT10_ENKUlT_T0_E_clISt17integral_constantIbLb1EES1B_IbLb0EEEEDaS17_S18_EUlS17_E_NS1_11comp_targetILNS1_3genE8ELNS1_11target_archE1030ELNS1_3gpuE2ELNS1_3repE0EEENS1_30default_config_static_selectorELNS0_4arch9wavefront6targetE1EEEvT1_
	.p2align	8
	.type	_ZN7rocprim17ROCPRIM_400000_NS6detail17trampoline_kernelINS0_14default_configENS1_25partition_config_selectorILNS1_17partition_subalgoE8ElNS0_10empty_typeEbEEZZNS1_14partition_implILS5_8ELb0ES3_jPlPS6_PKS6_NS0_5tupleIJS9_S6_EEENSD_IJSA_SA_EEENS0_18inequality_wrapperIZN2at6native12_GLOBAL__N_124unique_dim_cuda_templateIdEESt5tupleIJNSH_6TensorESM_SM_EERKSM_lbbbEUlllE0_EEPmJS6_EEE10hipError_tPvRmT3_T4_T5_T6_T7_T9_mT8_P12ihipStream_tbDpT10_ENKUlT_T0_E_clISt17integral_constantIbLb1EES1B_IbLb0EEEEDaS17_S18_EUlS17_E_NS1_11comp_targetILNS1_3genE8ELNS1_11target_archE1030ELNS1_3gpuE2ELNS1_3repE0EEENS1_30default_config_static_selectorELNS0_4arch9wavefront6targetE1EEEvT1_,@function
_ZN7rocprim17ROCPRIM_400000_NS6detail17trampoline_kernelINS0_14default_configENS1_25partition_config_selectorILNS1_17partition_subalgoE8ElNS0_10empty_typeEbEEZZNS1_14partition_implILS5_8ELb0ES3_jPlPS6_PKS6_NS0_5tupleIJS9_S6_EEENSD_IJSA_SA_EEENS0_18inequality_wrapperIZN2at6native12_GLOBAL__N_124unique_dim_cuda_templateIdEESt5tupleIJNSH_6TensorESM_SM_EERKSM_lbbbEUlllE0_EEPmJS6_EEE10hipError_tPvRmT3_T4_T5_T6_T7_T9_mT8_P12ihipStream_tbDpT10_ENKUlT_T0_E_clISt17integral_constantIbLb1EES1B_IbLb0EEEEDaS17_S18_EUlS17_E_NS1_11comp_targetILNS1_3genE8ELNS1_11target_archE1030ELNS1_3gpuE2ELNS1_3repE0EEENS1_30default_config_static_selectorELNS0_4arch9wavefront6targetE1EEEvT1_: ; @_ZN7rocprim17ROCPRIM_400000_NS6detail17trampoline_kernelINS0_14default_configENS1_25partition_config_selectorILNS1_17partition_subalgoE8ElNS0_10empty_typeEbEEZZNS1_14partition_implILS5_8ELb0ES3_jPlPS6_PKS6_NS0_5tupleIJS9_S6_EEENSD_IJSA_SA_EEENS0_18inequality_wrapperIZN2at6native12_GLOBAL__N_124unique_dim_cuda_templateIdEESt5tupleIJNSH_6TensorESM_SM_EERKSM_lbbbEUlllE0_EEPmJS6_EEE10hipError_tPvRmT3_T4_T5_T6_T7_T9_mT8_P12ihipStream_tbDpT10_ENKUlT_T0_E_clISt17integral_constantIbLb1EES1B_IbLb0EEEEDaS17_S18_EUlS17_E_NS1_11comp_targetILNS1_3genE8ELNS1_11target_archE1030ELNS1_3gpuE2ELNS1_3repE0EEENS1_30default_config_static_selectorELNS0_4arch9wavefront6targetE1EEEvT1_
; %bb.0:
	.section	.rodata,"a",@progbits
	.p2align	6, 0x0
	.amdhsa_kernel _ZN7rocprim17ROCPRIM_400000_NS6detail17trampoline_kernelINS0_14default_configENS1_25partition_config_selectorILNS1_17partition_subalgoE8ElNS0_10empty_typeEbEEZZNS1_14partition_implILS5_8ELb0ES3_jPlPS6_PKS6_NS0_5tupleIJS9_S6_EEENSD_IJSA_SA_EEENS0_18inequality_wrapperIZN2at6native12_GLOBAL__N_124unique_dim_cuda_templateIdEESt5tupleIJNSH_6TensorESM_SM_EERKSM_lbbbEUlllE0_EEPmJS6_EEE10hipError_tPvRmT3_T4_T5_T6_T7_T9_mT8_P12ihipStream_tbDpT10_ENKUlT_T0_E_clISt17integral_constantIbLb1EES1B_IbLb0EEEEDaS17_S18_EUlS17_E_NS1_11comp_targetILNS1_3genE8ELNS1_11target_archE1030ELNS1_3gpuE2ELNS1_3repE0EEENS1_30default_config_static_selectorELNS0_4arch9wavefront6targetE1EEEvT1_
		.amdhsa_group_segment_fixed_size 0
		.amdhsa_private_segment_fixed_size 0
		.amdhsa_kernarg_size 120
		.amdhsa_user_sgpr_count 2
		.amdhsa_user_sgpr_dispatch_ptr 0
		.amdhsa_user_sgpr_queue_ptr 0
		.amdhsa_user_sgpr_kernarg_segment_ptr 1
		.amdhsa_user_sgpr_dispatch_id 0
		.amdhsa_user_sgpr_kernarg_preload_length 0
		.amdhsa_user_sgpr_kernarg_preload_offset 0
		.amdhsa_user_sgpr_private_segment_size 0
		.amdhsa_uses_dynamic_stack 0
		.amdhsa_enable_private_segment 0
		.amdhsa_system_sgpr_workgroup_id_x 1
		.amdhsa_system_sgpr_workgroup_id_y 0
		.amdhsa_system_sgpr_workgroup_id_z 0
		.amdhsa_system_sgpr_workgroup_info 0
		.amdhsa_system_vgpr_workitem_id 0
		.amdhsa_next_free_vgpr 1
		.amdhsa_next_free_sgpr 0
		.amdhsa_accum_offset 4
		.amdhsa_reserve_vcc 0
		.amdhsa_float_round_mode_32 0
		.amdhsa_float_round_mode_16_64 0
		.amdhsa_float_denorm_mode_32 3
		.amdhsa_float_denorm_mode_16_64 3
		.amdhsa_dx10_clamp 1
		.amdhsa_ieee_mode 1
		.amdhsa_fp16_overflow 0
		.amdhsa_tg_split 0
		.amdhsa_exception_fp_ieee_invalid_op 0
		.amdhsa_exception_fp_denorm_src 0
		.amdhsa_exception_fp_ieee_div_zero 0
		.amdhsa_exception_fp_ieee_overflow 0
		.amdhsa_exception_fp_ieee_underflow 0
		.amdhsa_exception_fp_ieee_inexact 0
		.amdhsa_exception_int_div_zero 0
	.end_amdhsa_kernel
	.section	.text._ZN7rocprim17ROCPRIM_400000_NS6detail17trampoline_kernelINS0_14default_configENS1_25partition_config_selectorILNS1_17partition_subalgoE8ElNS0_10empty_typeEbEEZZNS1_14partition_implILS5_8ELb0ES3_jPlPS6_PKS6_NS0_5tupleIJS9_S6_EEENSD_IJSA_SA_EEENS0_18inequality_wrapperIZN2at6native12_GLOBAL__N_124unique_dim_cuda_templateIdEESt5tupleIJNSH_6TensorESM_SM_EERKSM_lbbbEUlllE0_EEPmJS6_EEE10hipError_tPvRmT3_T4_T5_T6_T7_T9_mT8_P12ihipStream_tbDpT10_ENKUlT_T0_E_clISt17integral_constantIbLb1EES1B_IbLb0EEEEDaS17_S18_EUlS17_E_NS1_11comp_targetILNS1_3genE8ELNS1_11target_archE1030ELNS1_3gpuE2ELNS1_3repE0EEENS1_30default_config_static_selectorELNS0_4arch9wavefront6targetE1EEEvT1_,"axG",@progbits,_ZN7rocprim17ROCPRIM_400000_NS6detail17trampoline_kernelINS0_14default_configENS1_25partition_config_selectorILNS1_17partition_subalgoE8ElNS0_10empty_typeEbEEZZNS1_14partition_implILS5_8ELb0ES3_jPlPS6_PKS6_NS0_5tupleIJS9_S6_EEENSD_IJSA_SA_EEENS0_18inequality_wrapperIZN2at6native12_GLOBAL__N_124unique_dim_cuda_templateIdEESt5tupleIJNSH_6TensorESM_SM_EERKSM_lbbbEUlllE0_EEPmJS6_EEE10hipError_tPvRmT3_T4_T5_T6_T7_T9_mT8_P12ihipStream_tbDpT10_ENKUlT_T0_E_clISt17integral_constantIbLb1EES1B_IbLb0EEEEDaS17_S18_EUlS17_E_NS1_11comp_targetILNS1_3genE8ELNS1_11target_archE1030ELNS1_3gpuE2ELNS1_3repE0EEENS1_30default_config_static_selectorELNS0_4arch9wavefront6targetE1EEEvT1_,comdat
.Lfunc_end830:
	.size	_ZN7rocprim17ROCPRIM_400000_NS6detail17trampoline_kernelINS0_14default_configENS1_25partition_config_selectorILNS1_17partition_subalgoE8ElNS0_10empty_typeEbEEZZNS1_14partition_implILS5_8ELb0ES3_jPlPS6_PKS6_NS0_5tupleIJS9_S6_EEENSD_IJSA_SA_EEENS0_18inequality_wrapperIZN2at6native12_GLOBAL__N_124unique_dim_cuda_templateIdEESt5tupleIJNSH_6TensorESM_SM_EERKSM_lbbbEUlllE0_EEPmJS6_EEE10hipError_tPvRmT3_T4_T5_T6_T7_T9_mT8_P12ihipStream_tbDpT10_ENKUlT_T0_E_clISt17integral_constantIbLb1EES1B_IbLb0EEEEDaS17_S18_EUlS17_E_NS1_11comp_targetILNS1_3genE8ELNS1_11target_archE1030ELNS1_3gpuE2ELNS1_3repE0EEENS1_30default_config_static_selectorELNS0_4arch9wavefront6targetE1EEEvT1_, .Lfunc_end830-_ZN7rocprim17ROCPRIM_400000_NS6detail17trampoline_kernelINS0_14default_configENS1_25partition_config_selectorILNS1_17partition_subalgoE8ElNS0_10empty_typeEbEEZZNS1_14partition_implILS5_8ELb0ES3_jPlPS6_PKS6_NS0_5tupleIJS9_S6_EEENSD_IJSA_SA_EEENS0_18inequality_wrapperIZN2at6native12_GLOBAL__N_124unique_dim_cuda_templateIdEESt5tupleIJNSH_6TensorESM_SM_EERKSM_lbbbEUlllE0_EEPmJS6_EEE10hipError_tPvRmT3_T4_T5_T6_T7_T9_mT8_P12ihipStream_tbDpT10_ENKUlT_T0_E_clISt17integral_constantIbLb1EES1B_IbLb0EEEEDaS17_S18_EUlS17_E_NS1_11comp_targetILNS1_3genE8ELNS1_11target_archE1030ELNS1_3gpuE2ELNS1_3repE0EEENS1_30default_config_static_selectorELNS0_4arch9wavefront6targetE1EEEvT1_
                                        ; -- End function
	.set _ZN7rocprim17ROCPRIM_400000_NS6detail17trampoline_kernelINS0_14default_configENS1_25partition_config_selectorILNS1_17partition_subalgoE8ElNS0_10empty_typeEbEEZZNS1_14partition_implILS5_8ELb0ES3_jPlPS6_PKS6_NS0_5tupleIJS9_S6_EEENSD_IJSA_SA_EEENS0_18inequality_wrapperIZN2at6native12_GLOBAL__N_124unique_dim_cuda_templateIdEESt5tupleIJNSH_6TensorESM_SM_EERKSM_lbbbEUlllE0_EEPmJS6_EEE10hipError_tPvRmT3_T4_T5_T6_T7_T9_mT8_P12ihipStream_tbDpT10_ENKUlT_T0_E_clISt17integral_constantIbLb1EES1B_IbLb0EEEEDaS17_S18_EUlS17_E_NS1_11comp_targetILNS1_3genE8ELNS1_11target_archE1030ELNS1_3gpuE2ELNS1_3repE0EEENS1_30default_config_static_selectorELNS0_4arch9wavefront6targetE1EEEvT1_.num_vgpr, 0
	.set _ZN7rocprim17ROCPRIM_400000_NS6detail17trampoline_kernelINS0_14default_configENS1_25partition_config_selectorILNS1_17partition_subalgoE8ElNS0_10empty_typeEbEEZZNS1_14partition_implILS5_8ELb0ES3_jPlPS6_PKS6_NS0_5tupleIJS9_S6_EEENSD_IJSA_SA_EEENS0_18inequality_wrapperIZN2at6native12_GLOBAL__N_124unique_dim_cuda_templateIdEESt5tupleIJNSH_6TensorESM_SM_EERKSM_lbbbEUlllE0_EEPmJS6_EEE10hipError_tPvRmT3_T4_T5_T6_T7_T9_mT8_P12ihipStream_tbDpT10_ENKUlT_T0_E_clISt17integral_constantIbLb1EES1B_IbLb0EEEEDaS17_S18_EUlS17_E_NS1_11comp_targetILNS1_3genE8ELNS1_11target_archE1030ELNS1_3gpuE2ELNS1_3repE0EEENS1_30default_config_static_selectorELNS0_4arch9wavefront6targetE1EEEvT1_.num_agpr, 0
	.set _ZN7rocprim17ROCPRIM_400000_NS6detail17trampoline_kernelINS0_14default_configENS1_25partition_config_selectorILNS1_17partition_subalgoE8ElNS0_10empty_typeEbEEZZNS1_14partition_implILS5_8ELb0ES3_jPlPS6_PKS6_NS0_5tupleIJS9_S6_EEENSD_IJSA_SA_EEENS0_18inequality_wrapperIZN2at6native12_GLOBAL__N_124unique_dim_cuda_templateIdEESt5tupleIJNSH_6TensorESM_SM_EERKSM_lbbbEUlllE0_EEPmJS6_EEE10hipError_tPvRmT3_T4_T5_T6_T7_T9_mT8_P12ihipStream_tbDpT10_ENKUlT_T0_E_clISt17integral_constantIbLb1EES1B_IbLb0EEEEDaS17_S18_EUlS17_E_NS1_11comp_targetILNS1_3genE8ELNS1_11target_archE1030ELNS1_3gpuE2ELNS1_3repE0EEENS1_30default_config_static_selectorELNS0_4arch9wavefront6targetE1EEEvT1_.numbered_sgpr, 0
	.set _ZN7rocprim17ROCPRIM_400000_NS6detail17trampoline_kernelINS0_14default_configENS1_25partition_config_selectorILNS1_17partition_subalgoE8ElNS0_10empty_typeEbEEZZNS1_14partition_implILS5_8ELb0ES3_jPlPS6_PKS6_NS0_5tupleIJS9_S6_EEENSD_IJSA_SA_EEENS0_18inequality_wrapperIZN2at6native12_GLOBAL__N_124unique_dim_cuda_templateIdEESt5tupleIJNSH_6TensorESM_SM_EERKSM_lbbbEUlllE0_EEPmJS6_EEE10hipError_tPvRmT3_T4_T5_T6_T7_T9_mT8_P12ihipStream_tbDpT10_ENKUlT_T0_E_clISt17integral_constantIbLb1EES1B_IbLb0EEEEDaS17_S18_EUlS17_E_NS1_11comp_targetILNS1_3genE8ELNS1_11target_archE1030ELNS1_3gpuE2ELNS1_3repE0EEENS1_30default_config_static_selectorELNS0_4arch9wavefront6targetE1EEEvT1_.num_named_barrier, 0
	.set _ZN7rocprim17ROCPRIM_400000_NS6detail17trampoline_kernelINS0_14default_configENS1_25partition_config_selectorILNS1_17partition_subalgoE8ElNS0_10empty_typeEbEEZZNS1_14partition_implILS5_8ELb0ES3_jPlPS6_PKS6_NS0_5tupleIJS9_S6_EEENSD_IJSA_SA_EEENS0_18inequality_wrapperIZN2at6native12_GLOBAL__N_124unique_dim_cuda_templateIdEESt5tupleIJNSH_6TensorESM_SM_EERKSM_lbbbEUlllE0_EEPmJS6_EEE10hipError_tPvRmT3_T4_T5_T6_T7_T9_mT8_P12ihipStream_tbDpT10_ENKUlT_T0_E_clISt17integral_constantIbLb1EES1B_IbLb0EEEEDaS17_S18_EUlS17_E_NS1_11comp_targetILNS1_3genE8ELNS1_11target_archE1030ELNS1_3gpuE2ELNS1_3repE0EEENS1_30default_config_static_selectorELNS0_4arch9wavefront6targetE1EEEvT1_.private_seg_size, 0
	.set _ZN7rocprim17ROCPRIM_400000_NS6detail17trampoline_kernelINS0_14default_configENS1_25partition_config_selectorILNS1_17partition_subalgoE8ElNS0_10empty_typeEbEEZZNS1_14partition_implILS5_8ELb0ES3_jPlPS6_PKS6_NS0_5tupleIJS9_S6_EEENSD_IJSA_SA_EEENS0_18inequality_wrapperIZN2at6native12_GLOBAL__N_124unique_dim_cuda_templateIdEESt5tupleIJNSH_6TensorESM_SM_EERKSM_lbbbEUlllE0_EEPmJS6_EEE10hipError_tPvRmT3_T4_T5_T6_T7_T9_mT8_P12ihipStream_tbDpT10_ENKUlT_T0_E_clISt17integral_constantIbLb1EES1B_IbLb0EEEEDaS17_S18_EUlS17_E_NS1_11comp_targetILNS1_3genE8ELNS1_11target_archE1030ELNS1_3gpuE2ELNS1_3repE0EEENS1_30default_config_static_selectorELNS0_4arch9wavefront6targetE1EEEvT1_.uses_vcc, 0
	.set _ZN7rocprim17ROCPRIM_400000_NS6detail17trampoline_kernelINS0_14default_configENS1_25partition_config_selectorILNS1_17partition_subalgoE8ElNS0_10empty_typeEbEEZZNS1_14partition_implILS5_8ELb0ES3_jPlPS6_PKS6_NS0_5tupleIJS9_S6_EEENSD_IJSA_SA_EEENS0_18inequality_wrapperIZN2at6native12_GLOBAL__N_124unique_dim_cuda_templateIdEESt5tupleIJNSH_6TensorESM_SM_EERKSM_lbbbEUlllE0_EEPmJS6_EEE10hipError_tPvRmT3_T4_T5_T6_T7_T9_mT8_P12ihipStream_tbDpT10_ENKUlT_T0_E_clISt17integral_constantIbLb1EES1B_IbLb0EEEEDaS17_S18_EUlS17_E_NS1_11comp_targetILNS1_3genE8ELNS1_11target_archE1030ELNS1_3gpuE2ELNS1_3repE0EEENS1_30default_config_static_selectorELNS0_4arch9wavefront6targetE1EEEvT1_.uses_flat_scratch, 0
	.set _ZN7rocprim17ROCPRIM_400000_NS6detail17trampoline_kernelINS0_14default_configENS1_25partition_config_selectorILNS1_17partition_subalgoE8ElNS0_10empty_typeEbEEZZNS1_14partition_implILS5_8ELb0ES3_jPlPS6_PKS6_NS0_5tupleIJS9_S6_EEENSD_IJSA_SA_EEENS0_18inequality_wrapperIZN2at6native12_GLOBAL__N_124unique_dim_cuda_templateIdEESt5tupleIJNSH_6TensorESM_SM_EERKSM_lbbbEUlllE0_EEPmJS6_EEE10hipError_tPvRmT3_T4_T5_T6_T7_T9_mT8_P12ihipStream_tbDpT10_ENKUlT_T0_E_clISt17integral_constantIbLb1EES1B_IbLb0EEEEDaS17_S18_EUlS17_E_NS1_11comp_targetILNS1_3genE8ELNS1_11target_archE1030ELNS1_3gpuE2ELNS1_3repE0EEENS1_30default_config_static_selectorELNS0_4arch9wavefront6targetE1EEEvT1_.has_dyn_sized_stack, 0
	.set _ZN7rocprim17ROCPRIM_400000_NS6detail17trampoline_kernelINS0_14default_configENS1_25partition_config_selectorILNS1_17partition_subalgoE8ElNS0_10empty_typeEbEEZZNS1_14partition_implILS5_8ELb0ES3_jPlPS6_PKS6_NS0_5tupleIJS9_S6_EEENSD_IJSA_SA_EEENS0_18inequality_wrapperIZN2at6native12_GLOBAL__N_124unique_dim_cuda_templateIdEESt5tupleIJNSH_6TensorESM_SM_EERKSM_lbbbEUlllE0_EEPmJS6_EEE10hipError_tPvRmT3_T4_T5_T6_T7_T9_mT8_P12ihipStream_tbDpT10_ENKUlT_T0_E_clISt17integral_constantIbLb1EES1B_IbLb0EEEEDaS17_S18_EUlS17_E_NS1_11comp_targetILNS1_3genE8ELNS1_11target_archE1030ELNS1_3gpuE2ELNS1_3repE0EEENS1_30default_config_static_selectorELNS0_4arch9wavefront6targetE1EEEvT1_.has_recursion, 0
	.set _ZN7rocprim17ROCPRIM_400000_NS6detail17trampoline_kernelINS0_14default_configENS1_25partition_config_selectorILNS1_17partition_subalgoE8ElNS0_10empty_typeEbEEZZNS1_14partition_implILS5_8ELb0ES3_jPlPS6_PKS6_NS0_5tupleIJS9_S6_EEENSD_IJSA_SA_EEENS0_18inequality_wrapperIZN2at6native12_GLOBAL__N_124unique_dim_cuda_templateIdEESt5tupleIJNSH_6TensorESM_SM_EERKSM_lbbbEUlllE0_EEPmJS6_EEE10hipError_tPvRmT3_T4_T5_T6_T7_T9_mT8_P12ihipStream_tbDpT10_ENKUlT_T0_E_clISt17integral_constantIbLb1EES1B_IbLb0EEEEDaS17_S18_EUlS17_E_NS1_11comp_targetILNS1_3genE8ELNS1_11target_archE1030ELNS1_3gpuE2ELNS1_3repE0EEENS1_30default_config_static_selectorELNS0_4arch9wavefront6targetE1EEEvT1_.has_indirect_call, 0
	.section	.AMDGPU.csdata,"",@progbits
; Kernel info:
; codeLenInByte = 0
; TotalNumSgprs: 6
; NumVgprs: 0
; NumAgprs: 0
; TotalNumVgprs: 0
; ScratchSize: 0
; MemoryBound: 0
; FloatMode: 240
; IeeeMode: 1
; LDSByteSize: 0 bytes/workgroup (compile time only)
; SGPRBlocks: 0
; VGPRBlocks: 0
; NumSGPRsForWavesPerEU: 6
; NumVGPRsForWavesPerEU: 1
; AccumOffset: 4
; Occupancy: 8
; WaveLimiterHint : 0
; COMPUTE_PGM_RSRC2:SCRATCH_EN: 0
; COMPUTE_PGM_RSRC2:USER_SGPR: 2
; COMPUTE_PGM_RSRC2:TRAP_HANDLER: 0
; COMPUTE_PGM_RSRC2:TGID_X_EN: 1
; COMPUTE_PGM_RSRC2:TGID_Y_EN: 0
; COMPUTE_PGM_RSRC2:TGID_Z_EN: 0
; COMPUTE_PGM_RSRC2:TIDIG_COMP_CNT: 0
; COMPUTE_PGM_RSRC3_GFX90A:ACCUM_OFFSET: 0
; COMPUTE_PGM_RSRC3_GFX90A:TG_SPLIT: 0
	.section	.text._ZN7rocprim17ROCPRIM_400000_NS6detail17trampoline_kernelINS0_14default_configENS1_25partition_config_selectorILNS1_17partition_subalgoE8ElNS0_10empty_typeEbEEZZNS1_14partition_implILS5_8ELb0ES3_jPlPS6_PKS6_NS0_5tupleIJS9_S6_EEENSD_IJSA_SA_EEENS0_18inequality_wrapperIZN2at6native12_GLOBAL__N_124unique_dim_cuda_templateIdEESt5tupleIJNSH_6TensorESM_SM_EERKSM_lbbbEUlllE0_EEPmJS6_EEE10hipError_tPvRmT3_T4_T5_T6_T7_T9_mT8_P12ihipStream_tbDpT10_ENKUlT_T0_E_clISt17integral_constantIbLb0EES1B_IbLb1EEEEDaS17_S18_EUlS17_E_NS1_11comp_targetILNS1_3genE0ELNS1_11target_archE4294967295ELNS1_3gpuE0ELNS1_3repE0EEENS1_30default_config_static_selectorELNS0_4arch9wavefront6targetE1EEEvT1_,"axG",@progbits,_ZN7rocprim17ROCPRIM_400000_NS6detail17trampoline_kernelINS0_14default_configENS1_25partition_config_selectorILNS1_17partition_subalgoE8ElNS0_10empty_typeEbEEZZNS1_14partition_implILS5_8ELb0ES3_jPlPS6_PKS6_NS0_5tupleIJS9_S6_EEENSD_IJSA_SA_EEENS0_18inequality_wrapperIZN2at6native12_GLOBAL__N_124unique_dim_cuda_templateIdEESt5tupleIJNSH_6TensorESM_SM_EERKSM_lbbbEUlllE0_EEPmJS6_EEE10hipError_tPvRmT3_T4_T5_T6_T7_T9_mT8_P12ihipStream_tbDpT10_ENKUlT_T0_E_clISt17integral_constantIbLb0EES1B_IbLb1EEEEDaS17_S18_EUlS17_E_NS1_11comp_targetILNS1_3genE0ELNS1_11target_archE4294967295ELNS1_3gpuE0ELNS1_3repE0EEENS1_30default_config_static_selectorELNS0_4arch9wavefront6targetE1EEEvT1_,comdat
	.globl	_ZN7rocprim17ROCPRIM_400000_NS6detail17trampoline_kernelINS0_14default_configENS1_25partition_config_selectorILNS1_17partition_subalgoE8ElNS0_10empty_typeEbEEZZNS1_14partition_implILS5_8ELb0ES3_jPlPS6_PKS6_NS0_5tupleIJS9_S6_EEENSD_IJSA_SA_EEENS0_18inequality_wrapperIZN2at6native12_GLOBAL__N_124unique_dim_cuda_templateIdEESt5tupleIJNSH_6TensorESM_SM_EERKSM_lbbbEUlllE0_EEPmJS6_EEE10hipError_tPvRmT3_T4_T5_T6_T7_T9_mT8_P12ihipStream_tbDpT10_ENKUlT_T0_E_clISt17integral_constantIbLb0EES1B_IbLb1EEEEDaS17_S18_EUlS17_E_NS1_11comp_targetILNS1_3genE0ELNS1_11target_archE4294967295ELNS1_3gpuE0ELNS1_3repE0EEENS1_30default_config_static_selectorELNS0_4arch9wavefront6targetE1EEEvT1_ ; -- Begin function _ZN7rocprim17ROCPRIM_400000_NS6detail17trampoline_kernelINS0_14default_configENS1_25partition_config_selectorILNS1_17partition_subalgoE8ElNS0_10empty_typeEbEEZZNS1_14partition_implILS5_8ELb0ES3_jPlPS6_PKS6_NS0_5tupleIJS9_S6_EEENSD_IJSA_SA_EEENS0_18inequality_wrapperIZN2at6native12_GLOBAL__N_124unique_dim_cuda_templateIdEESt5tupleIJNSH_6TensorESM_SM_EERKSM_lbbbEUlllE0_EEPmJS6_EEE10hipError_tPvRmT3_T4_T5_T6_T7_T9_mT8_P12ihipStream_tbDpT10_ENKUlT_T0_E_clISt17integral_constantIbLb0EES1B_IbLb1EEEEDaS17_S18_EUlS17_E_NS1_11comp_targetILNS1_3genE0ELNS1_11target_archE4294967295ELNS1_3gpuE0ELNS1_3repE0EEENS1_30default_config_static_selectorELNS0_4arch9wavefront6targetE1EEEvT1_
	.p2align	8
	.type	_ZN7rocprim17ROCPRIM_400000_NS6detail17trampoline_kernelINS0_14default_configENS1_25partition_config_selectorILNS1_17partition_subalgoE8ElNS0_10empty_typeEbEEZZNS1_14partition_implILS5_8ELb0ES3_jPlPS6_PKS6_NS0_5tupleIJS9_S6_EEENSD_IJSA_SA_EEENS0_18inequality_wrapperIZN2at6native12_GLOBAL__N_124unique_dim_cuda_templateIdEESt5tupleIJNSH_6TensorESM_SM_EERKSM_lbbbEUlllE0_EEPmJS6_EEE10hipError_tPvRmT3_T4_T5_T6_T7_T9_mT8_P12ihipStream_tbDpT10_ENKUlT_T0_E_clISt17integral_constantIbLb0EES1B_IbLb1EEEEDaS17_S18_EUlS17_E_NS1_11comp_targetILNS1_3genE0ELNS1_11target_archE4294967295ELNS1_3gpuE0ELNS1_3repE0EEENS1_30default_config_static_selectorELNS0_4arch9wavefront6targetE1EEEvT1_,@function
_ZN7rocprim17ROCPRIM_400000_NS6detail17trampoline_kernelINS0_14default_configENS1_25partition_config_selectorILNS1_17partition_subalgoE8ElNS0_10empty_typeEbEEZZNS1_14partition_implILS5_8ELb0ES3_jPlPS6_PKS6_NS0_5tupleIJS9_S6_EEENSD_IJSA_SA_EEENS0_18inequality_wrapperIZN2at6native12_GLOBAL__N_124unique_dim_cuda_templateIdEESt5tupleIJNSH_6TensorESM_SM_EERKSM_lbbbEUlllE0_EEPmJS6_EEE10hipError_tPvRmT3_T4_T5_T6_T7_T9_mT8_P12ihipStream_tbDpT10_ENKUlT_T0_E_clISt17integral_constantIbLb0EES1B_IbLb1EEEEDaS17_S18_EUlS17_E_NS1_11comp_targetILNS1_3genE0ELNS1_11target_archE4294967295ELNS1_3gpuE0ELNS1_3repE0EEENS1_30default_config_static_selectorELNS0_4arch9wavefront6targetE1EEEvT1_: ; @_ZN7rocprim17ROCPRIM_400000_NS6detail17trampoline_kernelINS0_14default_configENS1_25partition_config_selectorILNS1_17partition_subalgoE8ElNS0_10empty_typeEbEEZZNS1_14partition_implILS5_8ELb0ES3_jPlPS6_PKS6_NS0_5tupleIJS9_S6_EEENSD_IJSA_SA_EEENS0_18inequality_wrapperIZN2at6native12_GLOBAL__N_124unique_dim_cuda_templateIdEESt5tupleIJNSH_6TensorESM_SM_EERKSM_lbbbEUlllE0_EEPmJS6_EEE10hipError_tPvRmT3_T4_T5_T6_T7_T9_mT8_P12ihipStream_tbDpT10_ENKUlT_T0_E_clISt17integral_constantIbLb0EES1B_IbLb1EEEEDaS17_S18_EUlS17_E_NS1_11comp_targetILNS1_3genE0ELNS1_11target_archE4294967295ELNS1_3gpuE0ELNS1_3repE0EEENS1_30default_config_static_selectorELNS0_4arch9wavefront6targetE1EEEvT1_
; %bb.0:
	s_load_dwordx2 s[34:35], s[0:1], 0x28
	s_load_dwordx8 s[20:27], s[0:1], 0x40
	s_load_dwordx4 s[28:31], s[0:1], 0x60
	v_cmp_ne_u32_e64 s[2:3], 0, v0
	v_cmp_eq_u32_e64 s[18:19], 0, v0
	s_and_saveexec_b64 s[4:5], s[18:19]
	s_cbranch_execz .LBB831_4
; %bb.1:
	s_mov_b64 s[8:9], exec
	v_mbcnt_lo_u32_b32 v1, s8, 0
	v_mbcnt_hi_u32_b32 v1, s9, v1
	v_cmp_eq_u32_e32 vcc, 0, v1
                                        ; implicit-def: $vgpr2
	s_and_saveexec_b64 s[6:7], vcc
	s_cbranch_execz .LBB831_3
; %bb.2:
	s_load_dwordx2 s[10:11], s[0:1], 0x78
	s_bcnt1_i32_b64 s8, s[8:9]
	v_mov_b32_e32 v2, 0
	v_mov_b32_e32 v3, s8
	s_waitcnt lgkmcnt(0)
	global_atomic_add v2, v2, v3, s[10:11] sc0
.LBB831_3:
	s_or_b64 exec, exec, s[6:7]
	s_waitcnt vmcnt(0)
	v_readfirstlane_b32 s6, v2
	v_mov_b32_e32 v2, 0
	s_nop 0
	v_add_u32_e32 v1, s6, v1
	ds_write_b32 v2, v1
.LBB831_4:
	s_or_b64 exec, exec, s[4:5]
	v_mov_b32_e32 v3, 0
	s_load_dwordx4 s[4:7], s[0:1], 0x8
	s_load_dword s8, s[0:1], 0x70
	s_waitcnt lgkmcnt(0)
	s_barrier
	ds_read_b32 v1, v3
	s_waitcnt lgkmcnt(0)
	s_barrier
	global_load_dwordx2 v[4:5], v3, s[22:23]
	s_lshl_b64 s[10:11], s[6:7], 3
	s_mul_i32 s9, s8, 0xe00
	s_add_u32 s4, s4, s10
	s_addc_u32 s5, s5, s11
	s_add_i32 s10, s8, -1
	s_add_i32 s8, s9, s6
	s_sub_i32 s50, s24, s8
	s_add_u32 s8, s6, s9
	s_addc_u32 s9, s7, 0
	v_readfirstlane_b32 s33, v1
	v_mov_b64_e32 v[6:7], s[8:9]
	s_cmp_eq_u32 s33, s10
	s_movk_i32 s12, 0xe00
	v_cmp_le_u64_e32 vcc, s[24:25], v[6:7]
	s_cselect_b64 s[24:25], -1, 0
	v_mul_lo_u32 v2, v1, s12
	s_and_b64 s[8:9], vcc, s[24:25]
	v_lshlrev_b64 v[6:7], 3, v[2:3]
	s_xor_b64 s[36:37], s[8:9], -1
	s_mov_b64 s[0:1], -1
	v_lshlrev_b32_e32 v18, 3, v0
	v_lshl_add_u64 v[20:21], s[4:5], 0, v[6:7]
	s_and_b64 vcc, exec, s[36:37]
	s_waitcnt vmcnt(0)
	v_readfirstlane_b32 s22, v4
	v_readfirstlane_b32 s23, v5
	s_cbranch_vccz .LBB831_6
; %bb.5:
	v_lshlrev_b32_e32 v2, 3, v0
	v_lshl_add_u64 v[4:5], v[20:21], 0, v[2:3]
	v_add_co_u32_e32 v8, vcc, 0x1000, v4
	v_readfirstlane_b32 s0, v20
	s_nop 0
	v_addc_co_u32_e32 v9, vcc, 0, v5, vcc
	v_add_co_u32_e32 v10, vcc, 0x2000, v4
	v_readfirstlane_b32 s1, v21
	s_nop 0
	v_addc_co_u32_e32 v11, vcc, 0, v5, vcc
	v_add_co_u32_e32 v12, vcc, 0x3000, v4
	s_nop 1
	v_addc_co_u32_e32 v13, vcc, 0, v5, vcc
	v_add_co_u32_e32 v14, vcc, 0x4000, v4
	global_load_dwordx2 v[6:7], v2, s[0:1]
	s_nop 0
	v_addc_co_u32_e32 v15, vcc, 0, v5, vcc
	global_load_dwordx2 v[16:17], v[8:9], off
	global_load_dwordx2 v[22:23], v[10:11], off
	;; [unrolled: 1-line block ×4, first 2 shown]
	v_add_co_u32_e32 v8, vcc, 0x5000, v4
	s_mov_b64 s[0:1], 0
	s_nop 0
	v_addc_co_u32_e32 v9, vcc, 0, v5, vcc
	v_add_co_u32_e32 v4, vcc, 0x6000, v4
	s_nop 1
	v_addc_co_u32_e32 v5, vcc, 0, v5, vcc
	global_load_dwordx2 v[10:11], v[8:9], off
	global_load_dwordx2 v[12:13], v[4:5], off
	s_waitcnt vmcnt(5)
	ds_write2st64_b64 v2, v[6:7], v[16:17] offset1:8
	s_waitcnt vmcnt(3)
	ds_write2st64_b64 v2, v[22:23], v[24:25] offset0:16 offset1:24
	s_waitcnt vmcnt(1)
	ds_write2st64_b64 v2, v[26:27], v[10:11] offset0:32 offset1:40
	s_waitcnt vmcnt(0)
	ds_write_b64 v2, v[12:13] offset:24576
	s_waitcnt lgkmcnt(0)
	s_barrier
.LBB831_6:
	s_andn2_b64 vcc, exec, s[0:1]
	s_addk_i32 s50, 0xe00
	s_cbranch_vccnz .LBB831_22
; %bb.7:
	v_mov_b32_e32 v2, 0
	v_cmp_gt_u32_e32 vcc, s50, v0
	v_mov_b32_e32 v3, v2
	v_mov_b32_e32 v4, v2
	v_mov_b32_e32 v5, v2
	v_mov_b32_e32 v6, v2
	v_mov_b32_e32 v7, v2
	v_mov_b32_e32 v8, v2
	v_mov_b32_e32 v9, v2
	v_mov_b32_e32 v10, v2
	v_mov_b32_e32 v11, v2
	v_mov_b32_e32 v12, v2
	v_mov_b32_e32 v13, v2
	v_mov_b32_e32 v14, v2
	v_mov_b32_e32 v15, v2
	s_and_saveexec_b64 s[0:1], vcc
	s_cbranch_execz .LBB831_9
; %bb.8:
	v_lshlrev_b32_e32 v1, 3, v0
	v_readfirstlane_b32 s4, v20
	v_readfirstlane_b32 s5, v21
	v_mov_b32_e32 v6, v2
	v_mov_b32_e32 v7, v2
	;; [unrolled: 1-line block ×5, first 2 shown]
	global_load_dwordx2 v[4:5], v1, s[4:5]
	v_mov_b32_e32 v11, v2
	v_mov_b32_e32 v12, v2
	;; [unrolled: 1-line block ×7, first 2 shown]
	s_waitcnt vmcnt(0)
	v_mov_b64_e32 v[2:3], v[4:5]
	v_mov_b64_e32 v[4:5], v[6:7]
	v_mov_b64_e32 v[6:7], v[8:9]
	v_mov_b64_e32 v[8:9], v[10:11]
	v_mov_b64_e32 v[10:11], v[12:13]
	v_mov_b64_e32 v[12:13], v[14:15]
	v_mov_b64_e32 v[14:15], v[16:17]
	v_mov_b64_e32 v[16:17], v[18:19]
.LBB831_9:
	s_or_b64 exec, exec, s[0:1]
	v_or_b32_e32 v1, 0x200, v0
	v_cmp_gt_u32_e32 vcc, s50, v1
	s_and_saveexec_b64 s[0:1], vcc
	s_cbranch_execz .LBB831_11
; %bb.10:
	v_lshlrev_b32_e32 v1, 3, v1
	v_readfirstlane_b32 s4, v20
	v_readfirstlane_b32 s5, v21
	s_nop 4
	global_load_dwordx2 v[4:5], v1, s[4:5]
.LBB831_11:
	s_or_b64 exec, exec, s[0:1]
	v_or_b32_e32 v1, 0x400, v0
	v_cmp_gt_u32_e32 vcc, s50, v1
	s_and_saveexec_b64 s[0:1], vcc
	s_cbranch_execz .LBB831_13
; %bb.12:
	v_lshlrev_b32_e32 v1, 3, v1
	v_readfirstlane_b32 s4, v20
	v_readfirstlane_b32 s5, v21
	s_nop 4
	global_load_dwordx2 v[6:7], v1, s[4:5]
.LBB831_13:
	;; [unrolled: 12-line block ×6, first 2 shown]
	s_or_b64 exec, exec, s[0:1]
	v_lshlrev_b32_e32 v1, 3, v0
	s_waitcnt vmcnt(0)
	ds_write2st64_b64 v1, v[2:3], v[4:5] offset1:8
	ds_write2st64_b64 v1, v[6:7], v[8:9] offset0:16 offset1:24
	ds_write2st64_b64 v1, v[10:11], v[12:13] offset0:32 offset1:40
	ds_write_b64 v1, v[14:15] offset:24576
	s_waitcnt lgkmcnt(0)
	s_barrier
.LBB831_22:
	v_mul_u32_u24_e32 v1, 7, v0
	v_lshlrev_b32_e32 v26, 3, v1
	ds_read2_b64 v[10:13], v26 offset1:1
	ds_read2_b64 v[6:9], v26 offset0:2 offset1:3
	ds_read2_b64 v[2:5], v26 offset0:4 offset1:5
	ds_read_b64 v[14:15], v26 offset:48
	s_cmp_lg_u32 s33, 0
	s_cselect_b64 s[16:17], -1, 0
	s_cmp_lg_u64 s[6:7], 0
	s_cselect_b64 s[0:1], -1, 0
	s_or_b64 s[0:1], s[0:1], s[16:17]
	s_mov_b64 s[10:11], 0
	s_and_b64 vcc, exec, s[0:1]
	v_cmp_gt_i64_e64 s[4:5], s[26:27], 0
	s_waitcnt lgkmcnt(0)
	s_barrier
	s_cbranch_vccz .LBB831_38
; %bb.23:
	global_load_dwordx2 v[20:21], v[20:21], off offset:-8
	v_cndmask_b32_e64 v16, 0, 1, s[4:5]
	v_lshlrev_b32_e32 v27, 3, v0
	s_mov_b64 s[0:1], 0
	s_and_b64 vcc, exec, s[36:37]
	v_cmp_ne_u32_e64 s[4:5], 1, v16
	ds_write_b64 v27, v[14:15]
	s_cbranch_vccz .LBB831_40
; %bb.24:
	s_and_b64 vcc, exec, s[4:5]
	s_cbranch_vccnz .LBB831_41
; %bb.25:
	v_mul_lo_u32 v19, v5, s26
	v_mul_lo_u32 v22, v4, s27
	v_mad_u64_u32 v[16:17], s[0:1], v4, s26, 0
	v_add3_u32 v17, v17, v22, v19
	v_mul_lo_u32 v19, v15, s26
	v_mul_lo_u32 v24, v14, s27
	v_mad_u64_u32 v[22:23], s[0:1], v14, s26, 0
	s_add_u32 s10, s26, -1
	v_lshl_add_u64 v[16:17], v[16:17], 3, s[28:29]
	v_add3_u32 v23, v23, v24, v19
	s_addc_u32 s11, s27, -1
	v_lshl_add_u64 v[22:23], v[22:23], 3, s[28:29]
	s_mov_b64 s[12:13], 0
	s_mov_b64 s[14:15], s[10:11]
	v_mov_b64_e32 v[24:25], v[16:17]
                                        ; implicit-def: $sgpr6_sgpr7
.LBB831_26:                             ; =>This Inner Loop Header: Depth=1
	global_load_dwordx2 v[28:29], v[24:25], off
	global_load_dwordx2 v[30:31], v[22:23], off
	s_add_u32 s0, s14, -1
	s_addc_u32 s1, s15, -1
	s_cmp_eq_u64 s[14:15], 0
	s_mov_b64 s[14:15], s[0:1]
	s_cselect_b64 s[38:39], -1, 0
	v_lshl_add_u64 v[24:25], v[24:25], 0, 8
	v_lshl_add_u64 v[22:23], v[22:23], 0, 8
	s_waitcnt vmcnt(0)
	v_cmp_neq_f64_e64 s[0:1], v[28:29], v[30:31]
	s_or_b64 s[0:1], s[0:1], s[38:39]
	s_and_b64 s[0:1], exec, s[0:1]
	v_cmp_eq_f64_e32 vcc, v[28:29], v[30:31]
	s_or_b64 s[12:13], s[0:1], s[12:13]
	s_andn2_b64 s[0:1], s[6:7], exec
	s_and_b64 s[6:7], vcc, exec
	s_or_b64 s[6:7], s[0:1], s[6:7]
	s_andn2_b64 exec, exec, s[12:13]
	s_cbranch_execnz .LBB831_26
; %bb.27:
	s_or_b64 exec, exec, s[12:13]
	v_mul_lo_u32 v19, v3, s26
	v_mul_lo_u32 v24, v2, s27
	v_mad_u64_u32 v[22:23], s[0:1], v2, s26, 0
	v_add3_u32 v23, v23, v24, v19
	v_lshl_add_u64 v[22:23], v[22:23], 3, s[28:29]
	s_mov_b64 s[14:15], 0
	s_mov_b64 s[38:39], s[10:11]
	v_mov_b64_e32 v[24:25], v[22:23]
                                        ; implicit-def: $sgpr12_sgpr13
.LBB831_28:                             ; =>This Inner Loop Header: Depth=1
	global_load_dwordx2 v[28:29], v[24:25], off
	global_load_dwordx2 v[30:31], v[16:17], off
	s_add_u32 s0, s38, -1
	s_addc_u32 s1, s39, -1
	s_cmp_eq_u64 s[38:39], 0
	s_mov_b64 s[38:39], s[0:1]
	s_cselect_b64 s[40:41], -1, 0
	v_lshl_add_u64 v[24:25], v[24:25], 0, 8
	v_lshl_add_u64 v[16:17], v[16:17], 0, 8
	s_waitcnt vmcnt(0)
	v_cmp_neq_f64_e64 s[0:1], v[28:29], v[30:31]
	s_or_b64 s[0:1], s[0:1], s[40:41]
	s_and_b64 s[0:1], exec, s[0:1]
	v_cmp_eq_f64_e32 vcc, v[28:29], v[30:31]
	s_or_b64 s[14:15], s[0:1], s[14:15]
	s_andn2_b64 s[0:1], s[12:13], exec
	s_and_b64 s[12:13], vcc, exec
	s_or_b64 s[12:13], s[0:1], s[12:13]
	s_andn2_b64 exec, exec, s[14:15]
	s_cbranch_execnz .LBB831_28
; %bb.29:
	s_or_b64 exec, exec, s[14:15]
	v_mul_lo_u32 v19, v9, s26
	v_mul_lo_u32 v24, v8, s27
	v_mad_u64_u32 v[16:17], s[0:1], v8, s26, 0
	v_add3_u32 v17, v17, v24, v19
	v_lshl_add_u64 v[16:17], v[16:17], 3, s[28:29]
	s_mov_b64 s[38:39], 0
	s_mov_b64 s[40:41], s[10:11]
	v_mov_b64_e32 v[24:25], v[16:17]
                                        ; implicit-def: $sgpr14_sgpr15
.LBB831_30:                             ; =>This Inner Loop Header: Depth=1
	global_load_dwordx2 v[28:29], v[24:25], off
	global_load_dwordx2 v[30:31], v[22:23], off
	s_add_u32 s0, s40, -1
	s_addc_u32 s1, s41, -1
	s_cmp_eq_u64 s[40:41], 0
	s_mov_b64 s[40:41], s[0:1]
	s_cselect_b64 s[42:43], -1, 0
	v_lshl_add_u64 v[24:25], v[24:25], 0, 8
	v_lshl_add_u64 v[22:23], v[22:23], 0, 8
	s_waitcnt vmcnt(0)
	v_cmp_neq_f64_e64 s[0:1], v[28:29], v[30:31]
	s_or_b64 s[0:1], s[0:1], s[42:43]
	s_and_b64 s[0:1], exec, s[0:1]
	v_cmp_eq_f64_e32 vcc, v[28:29], v[30:31]
	s_or_b64 s[38:39], s[0:1], s[38:39]
	s_andn2_b64 s[0:1], s[14:15], exec
	s_and_b64 s[14:15], vcc, exec
	s_or_b64 s[14:15], s[0:1], s[14:15]
	s_andn2_b64 exec, exec, s[38:39]
	s_cbranch_execnz .LBB831_30
; %bb.31:
	s_or_b64 exec, exec, s[38:39]
	v_mul_lo_u32 v19, v7, s26
	v_mul_lo_u32 v24, v6, s27
	v_mad_u64_u32 v[22:23], s[0:1], v6, s26, 0
	v_add3_u32 v23, v23, v24, v19
	v_lshl_add_u64 v[22:23], v[22:23], 3, s[28:29]
	s_mov_b64 s[40:41], 0
	s_mov_b64 s[42:43], s[10:11]
	v_mov_b64_e32 v[24:25], v[22:23]
                                        ; implicit-def: $sgpr38_sgpr39
.LBB831_32:                             ; =>This Inner Loop Header: Depth=1
	global_load_dwordx2 v[28:29], v[24:25], off
	global_load_dwordx2 v[30:31], v[16:17], off
	s_add_u32 s0, s42, -1
	s_addc_u32 s1, s43, -1
	s_cmp_eq_u64 s[42:43], 0
	s_mov_b64 s[42:43], s[0:1]
	s_cselect_b64 s[44:45], -1, 0
	v_lshl_add_u64 v[24:25], v[24:25], 0, 8
	v_lshl_add_u64 v[16:17], v[16:17], 0, 8
	s_waitcnt vmcnt(0)
	v_cmp_neq_f64_e64 s[0:1], v[28:29], v[30:31]
	s_or_b64 s[0:1], s[0:1], s[44:45]
	s_and_b64 s[0:1], exec, s[0:1]
	v_cmp_eq_f64_e32 vcc, v[28:29], v[30:31]
	s_or_b64 s[40:41], s[0:1], s[40:41]
	s_andn2_b64 s[0:1], s[38:39], exec
	s_and_b64 s[38:39], vcc, exec
	s_or_b64 s[38:39], s[0:1], s[38:39]
	s_andn2_b64 exec, exec, s[40:41]
	s_cbranch_execnz .LBB831_32
; %bb.33:
	s_or_b64 exec, exec, s[40:41]
	v_mul_lo_u32 v19, v13, s26
	v_mul_lo_u32 v24, v12, s27
	v_mad_u64_u32 v[16:17], s[0:1], v12, s26, 0
	v_add3_u32 v17, v17, v24, v19
	v_lshl_add_u64 v[16:17], v[16:17], 3, s[28:29]
	s_mov_b64 s[42:43], 0
	s_mov_b64 s[44:45], s[10:11]
	v_mov_b64_e32 v[24:25], v[16:17]
                                        ; implicit-def: $sgpr40_sgpr41
.LBB831_34:                             ; =>This Inner Loop Header: Depth=1
	global_load_dwordx2 v[28:29], v[24:25], off
	global_load_dwordx2 v[30:31], v[22:23], off
	s_add_u32 s0, s44, -1
	s_addc_u32 s1, s45, -1
	s_cmp_eq_u64 s[44:45], 0
	s_mov_b64 s[44:45], s[0:1]
	s_cselect_b64 s[46:47], -1, 0
	v_lshl_add_u64 v[24:25], v[24:25], 0, 8
	v_lshl_add_u64 v[22:23], v[22:23], 0, 8
	s_waitcnt vmcnt(0)
	v_cmp_neq_f64_e64 s[0:1], v[28:29], v[30:31]
	s_or_b64 s[0:1], s[0:1], s[46:47]
	s_and_b64 s[0:1], exec, s[0:1]
	v_cmp_eq_f64_e32 vcc, v[28:29], v[30:31]
	s_or_b64 s[42:43], s[0:1], s[42:43]
	s_andn2_b64 s[0:1], s[40:41], exec
	s_and_b64 s[40:41], vcc, exec
	s_or_b64 s[40:41], s[0:1], s[40:41]
	s_andn2_b64 exec, exec, s[42:43]
	s_cbranch_execnz .LBB831_34
; %bb.35:
	s_or_b64 exec, exec, s[42:43]
	v_mul_lo_u32 v19, v11, s26
	v_mul_lo_u32 v24, v10, s27
	v_mad_u64_u32 v[22:23], s[0:1], v10, s26, 0
	v_add3_u32 v23, v23, v24, v19
	v_lshl_add_u64 v[22:23], v[22:23], 3, s[28:29]
	s_mov_b64 s[44:45], 0
                                        ; implicit-def: $sgpr42_sgpr43
.LBB831_36:                             ; =>This Inner Loop Header: Depth=1
	global_load_dwordx2 v[24:25], v[22:23], off
	global_load_dwordx2 v[28:29], v[16:17], off
	s_add_u32 s0, s10, -1
	s_addc_u32 s1, s11, -1
	s_cmp_eq_u64 s[10:11], 0
	s_mov_b64 s[10:11], s[0:1]
	s_cselect_b64 s[46:47], -1, 0
	v_lshl_add_u64 v[22:23], v[22:23], 0, 8
	v_lshl_add_u64 v[16:17], v[16:17], 0, 8
	s_waitcnt vmcnt(0)
	v_cmp_neq_f64_e64 s[0:1], v[24:25], v[28:29]
	s_or_b64 s[0:1], s[0:1], s[46:47]
	s_and_b64 s[0:1], exec, s[0:1]
	v_cmp_eq_f64_e32 vcc, v[24:25], v[28:29]
	s_or_b64 s[44:45], s[0:1], s[44:45]
	s_andn2_b64 s[0:1], s[42:43], exec
	s_and_b64 s[42:43], vcc, exec
	s_or_b64 s[42:43], s[0:1], s[42:43]
	s_andn2_b64 exec, exec, s[44:45]
	s_cbranch_execnz .LBB831_36
; %bb.37:
	s_or_b64 exec, exec, s[44:45]
	s_xor_b64 s[0:1], s[12:13], -1
	v_cndmask_b32_e64 v40, 0, 1, s[0:1]
	s_xor_b64 s[0:1], s[38:39], -1
	v_cndmask_b32_e64 v16, 0, 1, s[0:1]
	v_lshlrev_b16_e32 v16, 8, v16
	s_xor_b64 s[0:1], s[6:7], -1
	v_lshrrev_b32_e32 v16, 8, v16
	v_mov_b32_e32 v22, 1
	s_xor_b64 s[6:7], s[40:41], -1
	v_cndmask_b32_e64 v19, 0, 1, s[0:1]
	s_xor_b64 s[0:1], s[14:15], -1
	v_and_b32_sdwa v16, v16, v22 dst_sel:BYTE_1 dst_unused:UNUSED_PAD src0_sel:DWORD src1_sel:DWORD
	v_cndmask_b32_e64 v22, 0, 1, s[6:7]
	v_cndmask_b32_e64 v17, 0, 1, s[0:1]
	s_xor_b64 s[0:1], s[42:43], -1
	v_or_b32_sdwa v24, v22, v16 dst_sel:WORD_1 dst_unused:UNUSED_PAD src0_sel:DWORD src1_sel:DWORD
	s_branch .LBB831_42
.LBB831_38:
                                        ; implicit-def: $sgpr0_sgpr1
                                        ; implicit-def: $vgpr19
                                        ; implicit-def: $vgpr40
                                        ; implicit-def: $vgpr17
                                        ; implicit-def: $vgpr22
	s_branch .LBB831_95
.LBB831_39:
                                        ; implicit-def: $vgpr42
                                        ; implicit-def: $vgpr41
                                        ; implicit-def: $vgpr20
	s_branch .LBB831_164
.LBB831_40:
                                        ; implicit-def: $sgpr0_sgpr1
                                        ; implicit-def: $vgpr19
                                        ; implicit-def: $vgpr40
                                        ; implicit-def: $vgpr17
                                        ; implicit-def: $vgpr22
	s_cbranch_execnz .LBB831_49
	s_branch .LBB831_94
.LBB831_41:
	v_mov_b32_e32 v24, 0
	v_mov_b32_e32 v19, 0
	v_mov_b32_e32 v40, 0
	v_mov_b32_e32 v17, 0
.LBB831_42:
	s_waitcnt vmcnt(0)
	v_mov_b64_e32 v[22:23], v[20:21]
	s_waitcnt lgkmcnt(0)
	s_barrier
	s_and_saveexec_b64 s[6:7], s[2:3]
; %bb.43:
	v_add_u32_e32 v16, -8, v27
	ds_read_b64 v[22:23], v16
; %bb.44:
	s_or_b64 exec, exec, s[6:7]
	v_cndmask_b32_e64 v25, 0, 1, s[0:1]
	v_lshrrev_b32_e32 v16, 16, v24
	s_mov_b32 s0, 0xc0c0304
	v_perm_b32 v16, v16, v24, s0
	v_lshlrev_b16_e32 v25, 8, v25
	s_movk_i32 s0, 0xff
	v_bitop3_b16 v24, v24, v25, s0 bitop3:0xec
	v_and_b32_e32 v28, 0xffff, v24
	s_mov_b64 s[6:7], 0
	s_and_b64 vcc, exec, s[4:5]
	s_mov_b64 s[0:1], 0
	s_cbranch_vccnz .LBB831_48
; %bb.45:
	s_waitcnt lgkmcnt(0)
	v_mul_lo_u32 v24, v23, s26
	v_mul_lo_u32 v25, v22, s27
	v_mad_u64_u32 v[22:23], s[0:1], v22, s26, 0
	v_add3_u32 v23, v23, v25, v24
	v_mul_lo_u32 v29, v11, s26
	v_mul_lo_u32 v30, v10, s27
	v_mad_u64_u32 v[24:25], s[0:1], v10, s26, 0
	v_add3_u32 v25, v25, v30, v29
	s_add_u32 s14, s26, -1
	v_lshl_add_u64 v[22:23], v[22:23], 3, s[28:29]
	v_lshl_add_u64 v[24:25], v[24:25], 3, s[28:29]
	s_addc_u32 s15, s27, -1
	s_mov_b64 s[10:11], 0
                                        ; implicit-def: $sgpr12_sgpr13
.LBB831_46:                             ; =>This Inner Loop Header: Depth=1
	global_load_dwordx2 v[30:31], v[22:23], off
	global_load_dwordx2 v[32:33], v[24:25], off
	s_add_u32 s0, s14, -1
	s_addc_u32 s1, s15, -1
	s_cmp_eq_u64 s[14:15], 0
	s_mov_b64 s[14:15], s[0:1]
	s_cselect_b64 s[38:39], -1, 0
	v_lshl_add_u64 v[22:23], v[22:23], 0, 8
	v_lshl_add_u64 v[24:25], v[24:25], 0, 8
	s_waitcnt vmcnt(0)
	v_cmp_neq_f64_e64 s[0:1], v[30:31], v[32:33]
	s_or_b64 s[0:1], s[0:1], s[38:39]
	s_and_b64 s[0:1], exec, s[0:1]
	v_cmp_eq_f64_e32 vcc, v[30:31], v[32:33]
	s_or_b64 s[10:11], s[0:1], s[10:11]
	s_andn2_b64 s[0:1], s[12:13], exec
	s_and_b64 s[12:13], vcc, exec
	s_or_b64 s[12:13], s[0:1], s[12:13]
	s_andn2_b64 exec, exec, s[10:11]
	s_cbranch_execnz .LBB831_46
; %bb.47:
	s_or_b64 exec, exec, s[10:11]
	s_xor_b64 s[0:1], s[12:13], -1
.LBB831_48:
	s_waitcnt lgkmcnt(0)
	v_lshl_or_b32 v22, v16, 16, v28
	s_and_b64 vcc, exec, s[6:7]
	s_cbranch_vccz .LBB831_94
.LBB831_49:
	v_add_u32_e32 v16, 6, v1
	v_cmp_gt_u32_e32 vcc, s50, v16
	s_mov_b64 s[10:11], 0
	s_mov_b64 s[6:7], 0
	s_and_saveexec_b64 s[12:13], vcc
	s_cbranch_execz .LBB831_55
; %bb.50:
	s_and_b64 vcc, exec, s[4:5]
	s_mov_b64 s[0:1], 0
	s_cbranch_vccnz .LBB831_54
; %bb.51:
	v_mul_lo_u32 v19, v5, s26
	v_mul_lo_u32 v22, v4, s27
	v_mad_u64_u32 v[16:17], s[0:1], v4, s26, 0
	v_add3_u32 v17, v17, v22, v19
	v_mul_lo_u32 v19, v15, s26
	v_mul_lo_u32 v24, v14, s27
	v_mad_u64_u32 v[22:23], s[0:1], v14, s26, 0
	v_add3_u32 v23, v23, v24, v19
	s_add_u32 s38, s26, -1
	v_lshl_add_u64 v[16:17], v[16:17], 3, s[28:29]
	v_lshl_add_u64 v[22:23], v[22:23], 3, s[28:29]
	s_addc_u32 s39, s27, -1
                                        ; implicit-def: $sgpr14_sgpr15
.LBB831_52:                             ; =>This Inner Loop Header: Depth=1
	global_load_dwordx2 v[24:25], v[16:17], off
	global_load_dwordx2 v[28:29], v[22:23], off
	s_add_u32 s0, s38, -1
	s_addc_u32 s1, s39, -1
	s_cmp_eq_u64 s[38:39], 0
	s_mov_b64 s[38:39], s[0:1]
	s_cselect_b64 s[40:41], -1, 0
	v_lshl_add_u64 v[16:17], v[16:17], 0, 8
	v_lshl_add_u64 v[22:23], v[22:23], 0, 8
	s_waitcnt vmcnt(0)
	v_cmp_neq_f64_e64 s[0:1], v[24:25], v[28:29]
	s_or_b64 s[0:1], s[0:1], s[40:41]
	s_and_b64 s[0:1], exec, s[0:1]
	v_cmp_eq_f64_e32 vcc, v[24:25], v[28:29]
	s_or_b64 s[6:7], s[0:1], s[6:7]
	s_andn2_b64 s[0:1], s[14:15], exec
	s_and_b64 s[14:15], vcc, exec
	s_or_b64 s[14:15], s[0:1], s[14:15]
	s_andn2_b64 exec, exec, s[6:7]
	s_cbranch_execnz .LBB831_52
; %bb.53:
	s_or_b64 exec, exec, s[6:7]
	s_xor_b64 s[0:1], s[14:15], -1
.LBB831_54:
	s_and_b64 s[6:7], s[0:1], exec
.LBB831_55:
	s_or_b64 exec, exec, s[12:13]
	v_add_u32_e32 v16, 5, v1
	v_cmp_gt_u32_e32 vcc, s50, v16
	s_and_saveexec_b64 s[12:13], vcc
	s_cbranch_execz .LBB831_61
; %bb.56:
	s_and_b64 vcc, exec, s[4:5]
	s_mov_b64 s[0:1], 0
	s_cbranch_vccnz .LBB831_60
; %bb.57:
	v_mul_lo_u32 v19, v3, s26
	v_mul_lo_u32 v22, v2, s27
	v_mad_u64_u32 v[16:17], s[0:1], v2, s26, 0
	v_add3_u32 v17, v17, v22, v19
	v_mul_lo_u32 v19, v5, s26
	v_mul_lo_u32 v24, v4, s27
	v_mad_u64_u32 v[22:23], s[0:1], v4, s26, 0
	v_add3_u32 v23, v23, v24, v19
	s_add_u32 s38, s26, -1
	v_lshl_add_u64 v[16:17], v[16:17], 3, s[28:29]
	v_lshl_add_u64 v[22:23], v[22:23], 3, s[28:29]
	s_addc_u32 s39, s27, -1
	s_mov_b64 s[10:11], 0
                                        ; implicit-def: $sgpr14_sgpr15
.LBB831_58:                             ; =>This Inner Loop Header: Depth=1
	global_load_dwordx2 v[24:25], v[16:17], off
	global_load_dwordx2 v[28:29], v[22:23], off
	s_add_u32 s0, s38, -1
	s_addc_u32 s1, s39, -1
	s_cmp_eq_u64 s[38:39], 0
	s_mov_b64 s[38:39], s[0:1]
	s_cselect_b64 s[40:41], -1, 0
	v_lshl_add_u64 v[16:17], v[16:17], 0, 8
	v_lshl_add_u64 v[22:23], v[22:23], 0, 8
	s_waitcnt vmcnt(0)
	v_cmp_neq_f64_e64 s[0:1], v[24:25], v[28:29]
	s_or_b64 s[0:1], s[0:1], s[40:41]
	s_and_b64 s[0:1], exec, s[0:1]
	v_cmp_eq_f64_e32 vcc, v[24:25], v[28:29]
	s_or_b64 s[10:11], s[0:1], s[10:11]
	s_andn2_b64 s[0:1], s[14:15], exec
	s_and_b64 s[14:15], vcc, exec
	s_or_b64 s[14:15], s[0:1], s[14:15]
	s_andn2_b64 exec, exec, s[10:11]
	s_cbranch_execnz .LBB831_58
; %bb.59:
	s_or_b64 exec, exec, s[10:11]
	s_xor_b64 s[0:1], s[14:15], -1
.LBB831_60:
	s_and_b64 s[10:11], s[0:1], exec
.LBB831_61:
	s_or_b64 exec, exec, s[12:13]
	v_add_u32_e32 v16, 4, v1
	v_cmp_gt_u32_e32 vcc, s50, v16
	s_mov_b64 s[14:15], 0
	s_mov_b64 s[12:13], 0
	s_and_saveexec_b64 s[38:39], vcc
	s_cbranch_execz .LBB831_67
; %bb.62:
	s_and_b64 vcc, exec, s[4:5]
	s_mov_b64 s[0:1], 0
	s_cbranch_vccnz .LBB831_66
; %bb.63:
	v_mul_lo_u32 v19, v9, s26
	v_mul_lo_u32 v22, v8, s27
	v_mad_u64_u32 v[16:17], s[0:1], v8, s26, 0
	v_add3_u32 v17, v17, v22, v19
	v_mul_lo_u32 v19, v3, s26
	v_mul_lo_u32 v24, v2, s27
	v_mad_u64_u32 v[22:23], s[0:1], v2, s26, 0
	v_add3_u32 v23, v23, v24, v19
	s_add_u32 s42, s26, -1
	v_lshl_add_u64 v[16:17], v[16:17], 3, s[28:29]
	v_lshl_add_u64 v[22:23], v[22:23], 3, s[28:29]
	s_addc_u32 s43, s27, -1
                                        ; implicit-def: $sgpr40_sgpr41
.LBB831_64:                             ; =>This Inner Loop Header: Depth=1
	global_load_dwordx2 v[24:25], v[16:17], off
	global_load_dwordx2 v[28:29], v[22:23], off
	s_add_u32 s0, s42, -1
	s_addc_u32 s1, s43, -1
	s_cmp_eq_u64 s[42:43], 0
	s_mov_b64 s[42:43], s[0:1]
	s_cselect_b64 s[44:45], -1, 0
	v_lshl_add_u64 v[16:17], v[16:17], 0, 8
	v_lshl_add_u64 v[22:23], v[22:23], 0, 8
	s_waitcnt vmcnt(0)
	v_cmp_neq_f64_e64 s[0:1], v[24:25], v[28:29]
	s_or_b64 s[0:1], s[0:1], s[44:45]
	s_and_b64 s[0:1], exec, s[0:1]
	v_cmp_eq_f64_e32 vcc, v[24:25], v[28:29]
	s_or_b64 s[12:13], s[0:1], s[12:13]
	s_andn2_b64 s[0:1], s[40:41], exec
	s_and_b64 s[40:41], vcc, exec
	s_or_b64 s[40:41], s[0:1], s[40:41]
	s_andn2_b64 exec, exec, s[12:13]
	s_cbranch_execnz .LBB831_64
; %bb.65:
	s_or_b64 exec, exec, s[12:13]
	s_xor_b64 s[0:1], s[40:41], -1
.LBB831_66:
	s_and_b64 s[12:13], s[0:1], exec
.LBB831_67:
	s_or_b64 exec, exec, s[38:39]
	v_add_u32_e32 v16, 3, v1
	v_cmp_gt_u32_e32 vcc, s50, v16
	s_and_saveexec_b64 s[38:39], vcc
	s_cbranch_execz .LBB831_73
; %bb.68:
	s_and_b64 vcc, exec, s[4:5]
	s_mov_b64 s[0:1], 0
	s_cbranch_vccnz .LBB831_72
; %bb.69:
	v_mul_lo_u32 v19, v7, s26
	v_mul_lo_u32 v22, v6, s27
	v_mad_u64_u32 v[16:17], s[0:1], v6, s26, 0
	v_add3_u32 v17, v17, v22, v19
	v_mul_lo_u32 v19, v9, s26
	v_mul_lo_u32 v24, v8, s27
	v_mad_u64_u32 v[22:23], s[0:1], v8, s26, 0
	v_add3_u32 v23, v23, v24, v19
	s_add_u32 s42, s26, -1
	v_lshl_add_u64 v[16:17], v[16:17], 3, s[28:29]
	v_lshl_add_u64 v[22:23], v[22:23], 3, s[28:29]
	s_addc_u32 s43, s27, -1
	s_mov_b64 s[14:15], 0
                                        ; implicit-def: $sgpr40_sgpr41
.LBB831_70:                             ; =>This Inner Loop Header: Depth=1
	global_load_dwordx2 v[24:25], v[16:17], off
	global_load_dwordx2 v[28:29], v[22:23], off
	s_add_u32 s0, s42, -1
	s_addc_u32 s1, s43, -1
	s_cmp_eq_u64 s[42:43], 0
	s_mov_b64 s[42:43], s[0:1]
	s_cselect_b64 s[44:45], -1, 0
	v_lshl_add_u64 v[16:17], v[16:17], 0, 8
	v_lshl_add_u64 v[22:23], v[22:23], 0, 8
	s_waitcnt vmcnt(0)
	v_cmp_neq_f64_e64 s[0:1], v[24:25], v[28:29]
	s_or_b64 s[0:1], s[0:1], s[44:45]
	s_and_b64 s[0:1], exec, s[0:1]
	v_cmp_eq_f64_e32 vcc, v[24:25], v[28:29]
	s_or_b64 s[14:15], s[0:1], s[14:15]
	s_andn2_b64 s[0:1], s[40:41], exec
	s_and_b64 s[40:41], vcc, exec
	s_or_b64 s[40:41], s[0:1], s[40:41]
	s_andn2_b64 exec, exec, s[14:15]
	s_cbranch_execnz .LBB831_70
; %bb.71:
	s_or_b64 exec, exec, s[14:15]
	s_xor_b64 s[0:1], s[40:41], -1
.LBB831_72:
	s_and_b64 s[14:15], s[0:1], exec
.LBB831_73:
	s_or_b64 exec, exec, s[38:39]
	v_add_u32_e32 v16, 2, v1
	v_cmp_gt_u32_e32 vcc, s50, v16
	s_mov_b64 s[38:39], 0
	s_mov_b64 s[40:41], 0
	s_and_saveexec_b64 s[42:43], vcc
	s_cbranch_execz .LBB831_79
; %bb.74:
	s_and_b64 vcc, exec, s[4:5]
	s_mov_b64 s[0:1], 0
	s_cbranch_vccnz .LBB831_78
; %bb.75:
	v_mul_lo_u32 v19, v13, s26
	v_mul_lo_u32 v22, v12, s27
	v_mad_u64_u32 v[16:17], s[0:1], v12, s26, 0
	v_add3_u32 v17, v17, v22, v19
	v_mul_lo_u32 v19, v7, s26
	v_mul_lo_u32 v24, v6, s27
	v_mad_u64_u32 v[22:23], s[0:1], v6, s26, 0
	v_add3_u32 v23, v23, v24, v19
	s_add_u32 s46, s26, -1
	v_lshl_add_u64 v[16:17], v[16:17], 3, s[28:29]
	v_lshl_add_u64 v[22:23], v[22:23], 3, s[28:29]
	s_addc_u32 s47, s27, -1
                                        ; implicit-def: $sgpr44_sgpr45
.LBB831_76:                             ; =>This Inner Loop Header: Depth=1
	global_load_dwordx2 v[24:25], v[16:17], off
	global_load_dwordx2 v[28:29], v[22:23], off
	s_add_u32 s0, s46, -1
	s_addc_u32 s1, s47, -1
	s_cmp_eq_u64 s[46:47], 0
	s_mov_b64 s[46:47], s[0:1]
	s_cselect_b64 s[48:49], -1, 0
	v_lshl_add_u64 v[16:17], v[16:17], 0, 8
	v_lshl_add_u64 v[22:23], v[22:23], 0, 8
	s_waitcnt vmcnt(0)
	v_cmp_neq_f64_e64 s[0:1], v[24:25], v[28:29]
	s_or_b64 s[0:1], s[0:1], s[48:49]
	s_and_b64 s[0:1], exec, s[0:1]
	v_cmp_eq_f64_e32 vcc, v[24:25], v[28:29]
	s_or_b64 s[40:41], s[0:1], s[40:41]
	s_andn2_b64 s[0:1], s[44:45], exec
	s_and_b64 s[44:45], vcc, exec
	s_or_b64 s[44:45], s[0:1], s[44:45]
	s_andn2_b64 exec, exec, s[40:41]
	s_cbranch_execnz .LBB831_76
; %bb.77:
	s_or_b64 exec, exec, s[40:41]
	s_xor_b64 s[0:1], s[44:45], -1
.LBB831_78:
	s_and_b64 s[40:41], s[0:1], exec
.LBB831_79:
	s_or_b64 exec, exec, s[42:43]
	v_add_u32_e32 v16, 1, v1
	v_cmp_gt_u32_e32 vcc, s50, v16
	s_and_saveexec_b64 s[42:43], vcc
	s_cbranch_execz .LBB831_85
; %bb.80:
	s_and_b64 vcc, exec, s[4:5]
	s_mov_b64 s[0:1], 0
	s_cbranch_vccnz .LBB831_84
; %bb.81:
	v_mul_lo_u32 v19, v11, s26
	v_mul_lo_u32 v22, v10, s27
	v_mad_u64_u32 v[16:17], s[0:1], v10, s26, 0
	v_add3_u32 v17, v17, v22, v19
	v_mul_lo_u32 v19, v13, s26
	v_mul_lo_u32 v24, v12, s27
	v_mad_u64_u32 v[22:23], s[0:1], v12, s26, 0
	v_add3_u32 v23, v23, v24, v19
	s_add_u32 s46, s26, -1
	v_lshl_add_u64 v[16:17], v[16:17], 3, s[28:29]
	v_lshl_add_u64 v[22:23], v[22:23], 3, s[28:29]
	s_addc_u32 s47, s27, -1
	s_mov_b64 s[38:39], 0
                                        ; implicit-def: $sgpr44_sgpr45
.LBB831_82:                             ; =>This Inner Loop Header: Depth=1
	global_load_dwordx2 v[24:25], v[16:17], off
	global_load_dwordx2 v[28:29], v[22:23], off
	s_add_u32 s0, s46, -1
	s_addc_u32 s1, s47, -1
	s_cmp_eq_u64 s[46:47], 0
	s_mov_b64 s[46:47], s[0:1]
	s_cselect_b64 s[48:49], -1, 0
	v_lshl_add_u64 v[16:17], v[16:17], 0, 8
	v_lshl_add_u64 v[22:23], v[22:23], 0, 8
	s_waitcnt vmcnt(0)
	v_cmp_neq_f64_e64 s[0:1], v[24:25], v[28:29]
	s_or_b64 s[0:1], s[0:1], s[48:49]
	s_and_b64 s[0:1], exec, s[0:1]
	v_cmp_eq_f64_e32 vcc, v[24:25], v[28:29]
	s_or_b64 s[38:39], s[0:1], s[38:39]
	s_andn2_b64 s[0:1], s[44:45], exec
	s_and_b64 s[44:45], vcc, exec
	s_or_b64 s[44:45], s[0:1], s[44:45]
	s_andn2_b64 exec, exec, s[38:39]
	s_cbranch_execnz .LBB831_82
; %bb.83:
	s_or_b64 exec, exec, s[38:39]
	s_xor_b64 s[0:1], s[44:45], -1
.LBB831_84:
	s_and_b64 s[38:39], s[0:1], exec
.LBB831_85:
	s_or_b64 exec, exec, s[42:43]
	s_waitcnt lgkmcnt(0)
	s_barrier
	s_and_saveexec_b64 s[0:1], s[2:3]
	s_cbranch_execz .LBB831_87
; %bb.86:
	v_add_u32_e32 v16, -8, v27
	s_waitcnt vmcnt(0)
	ds_read_b64 v[20:21], v16
.LBB831_87:
	s_or_b64 exec, exec, s[0:1]
	v_cndmask_b32_e64 v17, 0, 1, s[14:15]
	v_cndmask_b32_e64 v16, 0, 1, s[40:41]
	;; [unrolled: 1-line block ×3, first 2 shown]
	v_lshlrev_b16_e32 v17, 8, v17
	v_cmp_gt_u32_e32 vcc, s50, v1
	v_lshlrev_b16_e32 v22, 8, v19
	v_or_b32_sdwa v23, v16, v17 dst_sel:WORD_1 dst_unused:UNUSED_PAD src0_sel:DWORD src1_sel:DWORD
	s_mov_b64 s[0:1], 0
	s_and_saveexec_b64 s[14:15], vcc
	s_cbranch_execz .LBB831_93
; %bb.88:
	s_and_b64 vcc, exec, s[4:5]
	s_cbranch_vccnz .LBB831_92
; %bb.89:
	s_waitcnt vmcnt(0) lgkmcnt(0)
	v_mul_lo_u32 v19, v21, s26
	v_mul_lo_u32 v21, v20, s27
	v_mad_u64_u32 v[16:17], s[0:1], v20, s26, 0
	v_add3_u32 v17, v17, v21, v19
	v_mul_lo_u32 v19, v11, s26
	v_mul_lo_u32 v24, v10, s27
	v_mad_u64_u32 v[20:21], s[0:1], v10, s26, 0
	v_add3_u32 v21, v21, v24, v19
	s_add_u32 s40, s26, -1
	v_lshl_add_u64 v[16:17], v[16:17], 3, s[28:29]
	v_lshl_add_u64 v[20:21], v[20:21], 3, s[28:29]
	s_addc_u32 s41, s27, -1
	s_mov_b64 s[4:5], 0
                                        ; implicit-def: $sgpr38_sgpr39
.LBB831_90:                             ; =>This Inner Loop Header: Depth=1
	global_load_dwordx2 v[24:25], v[16:17], off
	global_load_dwordx2 v[28:29], v[20:21], off
	s_add_u32 s0, s40, -1
	s_addc_u32 s1, s41, -1
	s_cmp_eq_u64 s[40:41], 0
	s_mov_b64 s[40:41], s[0:1]
	s_cselect_b64 s[42:43], -1, 0
	v_lshl_add_u64 v[16:17], v[16:17], 0, 8
	v_lshl_add_u64 v[20:21], v[20:21], 0, 8
	s_waitcnt vmcnt(0)
	v_cmp_neq_f64_e64 s[0:1], v[24:25], v[28:29]
	s_or_b64 s[0:1], s[0:1], s[42:43]
	s_and_b64 s[0:1], exec, s[0:1]
	v_cmp_eq_f64_e32 vcc, v[24:25], v[28:29]
	s_or_b64 s[4:5], s[0:1], s[4:5]
	s_andn2_b64 s[0:1], s[38:39], exec
	s_and_b64 s[38:39], vcc, exec
	s_or_b64 s[38:39], s[0:1], s[38:39]
	s_andn2_b64 exec, exec, s[4:5]
	s_cbranch_execnz .LBB831_90
; %bb.91:
	s_or_b64 exec, exec, s[4:5]
	s_xor_b64 s[0:1], s[38:39], -1
.LBB831_92:
	s_and_b64 s[0:1], s[0:1], exec
.LBB831_93:
	s_or_b64 exec, exec, s[14:15]
	v_cndmask_b32_e64 v17, 0, 1, s[12:13]
	v_cndmask_b32_e64 v40, 0, 1, s[10:11]
	;; [unrolled: 1-line block ×3, first 2 shown]
	v_or_b32_e32 v22, v22, v23
.LBB831_94:
	s_mov_b64 s[10:11], -1
	s_cbranch_execnz .LBB831_39
.LBB831_95:
	s_movk_i32 s0, 0xffd0
	v_mad_i32_i24 v26, v0, s0, v26
	s_mov_b64 s[0:1], 0
	v_cmp_gt_i64_e64 s[6:7], s[26:27], 0
	s_and_b64 vcc, exec, s[36:37]
	ds_write_b64 v26, v[14:15]
	s_cbranch_vccz .LBB831_110
; %bb.96:
	v_cndmask_b32_e64 v16, 0, 1, s[6:7]
	v_cmp_ne_u32_e64 s[4:5], 1, v16
	s_andn2_b64 vcc, exec, s[6:7]
	s_cbranch_vccnz .LBB831_111
; %bb.97:
	v_mul_lo_u32 v19, v5, s26
	s_waitcnt vmcnt(0) lgkmcnt(1)
	v_mul_lo_u32 v20, v4, s27
	v_mad_u64_u32 v[16:17], s[0:1], v4, s26, 0
	v_add3_u32 v17, v17, v20, v19
	v_mul_lo_u32 v19, v15, s26
	v_mul_lo_u32 v22, v14, s27
	v_mad_u64_u32 v[20:21], s[0:1], v14, s26, 0
	s_add_u32 s14, s26, -1
	v_lshl_add_u64 v[16:17], v[16:17], 3, s[28:29]
	v_add3_u32 v21, v21, v22, v19
	s_addc_u32 s15, s27, -1
	v_lshl_add_u64 v[20:21], v[20:21], 3, s[28:29]
	s_mov_b64 s[38:39], 0
	s_mov_b64 s[40:41], s[14:15]
	v_mov_b64_e32 v[22:23], v[16:17]
                                        ; implicit-def: $sgpr12_sgpr13
.LBB831_98:                             ; =>This Inner Loop Header: Depth=1
	global_load_dwordx2 v[24:25], v[22:23], off
	global_load_dwordx2 v[28:29], v[20:21], off
	s_add_u32 s0, s40, -1
	s_addc_u32 s1, s41, -1
	s_cmp_eq_u64 s[40:41], 0
	s_mov_b64 s[40:41], s[0:1]
	s_cselect_b64 s[42:43], -1, 0
	v_lshl_add_u64 v[22:23], v[22:23], 0, 8
	v_lshl_add_u64 v[20:21], v[20:21], 0, 8
	s_waitcnt vmcnt(0)
	v_cmp_neq_f64_e64 s[0:1], v[24:25], v[28:29]
	s_or_b64 s[0:1], s[0:1], s[42:43]
	s_and_b64 s[0:1], exec, s[0:1]
	v_cmp_eq_f64_e32 vcc, v[24:25], v[28:29]
	s_or_b64 s[38:39], s[0:1], s[38:39]
	s_andn2_b64 s[0:1], s[12:13], exec
	s_and_b64 s[12:13], vcc, exec
	s_or_b64 s[12:13], s[0:1], s[12:13]
	s_andn2_b64 exec, exec, s[38:39]
	s_cbranch_execnz .LBB831_98
; %bb.99:
	s_or_b64 exec, exec, s[38:39]
	v_mul_lo_u32 v19, v3, s26
	v_mul_lo_u32 v22, v2, s27
	v_mad_u64_u32 v[20:21], s[0:1], v2, s26, 0
	v_add3_u32 v21, v21, v22, v19
	v_lshl_add_u64 v[20:21], v[20:21], 3, s[28:29]
	s_mov_b64 s[40:41], 0
	s_mov_b64 s[42:43], s[14:15]
	v_mov_b64_e32 v[22:23], v[20:21]
                                        ; implicit-def: $sgpr38_sgpr39
.LBB831_100:                            ; =>This Inner Loop Header: Depth=1
	global_load_dwordx2 v[24:25], v[22:23], off
	global_load_dwordx2 v[28:29], v[16:17], off
	s_add_u32 s0, s42, -1
	s_addc_u32 s1, s43, -1
	s_cmp_eq_u64 s[42:43], 0
	s_mov_b64 s[42:43], s[0:1]
	s_cselect_b64 s[44:45], -1, 0
	v_lshl_add_u64 v[22:23], v[22:23], 0, 8
	v_lshl_add_u64 v[16:17], v[16:17], 0, 8
	s_waitcnt vmcnt(0)
	v_cmp_neq_f64_e64 s[0:1], v[24:25], v[28:29]
	s_or_b64 s[0:1], s[0:1], s[44:45]
	s_and_b64 s[0:1], exec, s[0:1]
	v_cmp_eq_f64_e32 vcc, v[24:25], v[28:29]
	s_or_b64 s[40:41], s[0:1], s[40:41]
	s_andn2_b64 s[0:1], s[38:39], exec
	s_and_b64 s[38:39], vcc, exec
	s_or_b64 s[38:39], s[0:1], s[38:39]
	s_andn2_b64 exec, exec, s[40:41]
	s_cbranch_execnz .LBB831_100
; %bb.101:
	s_or_b64 exec, exec, s[40:41]
	v_mul_lo_u32 v19, v9, s26
	v_mul_lo_u32 v22, v8, s27
	v_mad_u64_u32 v[16:17], s[0:1], v8, s26, 0
	v_add3_u32 v17, v17, v22, v19
	v_lshl_add_u64 v[16:17], v[16:17], 3, s[28:29]
	s_mov_b64 s[42:43], 0
	s_mov_b64 s[44:45], s[14:15]
	v_mov_b64_e32 v[22:23], v[16:17]
                                        ; implicit-def: $sgpr40_sgpr41
.LBB831_102:                            ; =>This Inner Loop Header: Depth=1
	global_load_dwordx2 v[24:25], v[22:23], off
	global_load_dwordx2 v[28:29], v[20:21], off
	s_add_u32 s0, s44, -1
	s_addc_u32 s1, s45, -1
	s_cmp_eq_u64 s[44:45], 0
	s_mov_b64 s[44:45], s[0:1]
	s_cselect_b64 s[46:47], -1, 0
	v_lshl_add_u64 v[22:23], v[22:23], 0, 8
	v_lshl_add_u64 v[20:21], v[20:21], 0, 8
	s_waitcnt vmcnt(0)
	v_cmp_neq_f64_e64 s[0:1], v[24:25], v[28:29]
	s_or_b64 s[0:1], s[0:1], s[46:47]
	s_and_b64 s[0:1], exec, s[0:1]
	v_cmp_eq_f64_e32 vcc, v[24:25], v[28:29]
	s_or_b64 s[42:43], s[0:1], s[42:43]
	s_andn2_b64 s[0:1], s[40:41], exec
	s_and_b64 s[40:41], vcc, exec
	s_or_b64 s[40:41], s[0:1], s[40:41]
	s_andn2_b64 exec, exec, s[42:43]
	s_cbranch_execnz .LBB831_102
; %bb.103:
	s_or_b64 exec, exec, s[42:43]
	v_mul_lo_u32 v19, v7, s26
	v_mul_lo_u32 v22, v6, s27
	v_mad_u64_u32 v[20:21], s[0:1], v6, s26, 0
	v_add3_u32 v21, v21, v22, v19
	v_lshl_add_u64 v[20:21], v[20:21], 3, s[28:29]
	s_mov_b64 s[44:45], 0
	s_mov_b64 s[46:47], s[14:15]
	v_mov_b64_e32 v[22:23], v[20:21]
                                        ; implicit-def: $sgpr42_sgpr43
.LBB831_104:                            ; =>This Inner Loop Header: Depth=1
	global_load_dwordx2 v[24:25], v[22:23], off
	global_load_dwordx2 v[28:29], v[16:17], off
	s_add_u32 s0, s46, -1
	s_addc_u32 s1, s47, -1
	s_cmp_eq_u64 s[46:47], 0
	s_mov_b64 s[46:47], s[0:1]
	s_cselect_b64 s[48:49], -1, 0
	v_lshl_add_u64 v[22:23], v[22:23], 0, 8
	v_lshl_add_u64 v[16:17], v[16:17], 0, 8
	s_waitcnt vmcnt(0)
	v_cmp_neq_f64_e64 s[0:1], v[24:25], v[28:29]
	s_or_b64 s[0:1], s[0:1], s[48:49]
	s_and_b64 s[0:1], exec, s[0:1]
	v_cmp_eq_f64_e32 vcc, v[24:25], v[28:29]
	s_or_b64 s[44:45], s[0:1], s[44:45]
	s_andn2_b64 s[0:1], s[42:43], exec
	s_and_b64 s[42:43], vcc, exec
	s_or_b64 s[42:43], s[0:1], s[42:43]
	s_andn2_b64 exec, exec, s[44:45]
	s_cbranch_execnz .LBB831_104
; %bb.105:
	s_or_b64 exec, exec, s[44:45]
	v_mul_lo_u32 v19, v13, s26
	v_mul_lo_u32 v22, v12, s27
	v_mad_u64_u32 v[16:17], s[0:1], v12, s26, 0
	v_add3_u32 v17, v17, v22, v19
	v_lshl_add_u64 v[16:17], v[16:17], 3, s[28:29]
	s_mov_b64 s[46:47], 0
	s_mov_b64 s[48:49], s[14:15]
	v_mov_b64_e32 v[22:23], v[16:17]
                                        ; implicit-def: $sgpr44_sgpr45
.LBB831_106:                            ; =>This Inner Loop Header: Depth=1
	global_load_dwordx2 v[24:25], v[22:23], off
	global_load_dwordx2 v[28:29], v[20:21], off
	s_add_u32 s0, s48, -1
	s_addc_u32 s1, s49, -1
	s_cmp_eq_u64 s[48:49], 0
	s_mov_b64 s[48:49], s[0:1]
	s_cselect_b64 s[52:53], -1, 0
	v_lshl_add_u64 v[22:23], v[22:23], 0, 8
	v_lshl_add_u64 v[20:21], v[20:21], 0, 8
	s_waitcnt vmcnt(0)
	v_cmp_neq_f64_e64 s[0:1], v[24:25], v[28:29]
	s_or_b64 s[0:1], s[0:1], s[52:53]
	s_and_b64 s[0:1], exec, s[0:1]
	v_cmp_eq_f64_e32 vcc, v[24:25], v[28:29]
	s_or_b64 s[46:47], s[0:1], s[46:47]
	s_andn2_b64 s[0:1], s[44:45], exec
	s_and_b64 s[44:45], vcc, exec
	s_or_b64 s[44:45], s[0:1], s[44:45]
	s_andn2_b64 exec, exec, s[46:47]
	s_cbranch_execnz .LBB831_106
; %bb.107:
	s_or_b64 exec, exec, s[46:47]
	v_mul_lo_u32 v19, v11, s26
	v_mul_lo_u32 v22, v10, s27
	v_mad_u64_u32 v[20:21], s[0:1], v10, s26, 0
	v_add3_u32 v21, v21, v22, v19
	v_lshl_add_u64 v[20:21], v[20:21], 3, s[28:29]
	s_mov_b64 s[48:49], 0
                                        ; implicit-def: $sgpr46_sgpr47
.LBB831_108:                            ; =>This Inner Loop Header: Depth=1
	global_load_dwordx2 v[22:23], v[20:21], off
	global_load_dwordx2 v[24:25], v[16:17], off
	s_add_u32 s0, s14, -1
	s_addc_u32 s1, s15, -1
	s_cmp_eq_u64 s[14:15], 0
	s_mov_b64 s[14:15], s[0:1]
	s_cselect_b64 s[52:53], -1, 0
	v_lshl_add_u64 v[20:21], v[20:21], 0, 8
	v_lshl_add_u64 v[16:17], v[16:17], 0, 8
	s_waitcnt vmcnt(0)
	v_cmp_neq_f64_e64 s[0:1], v[22:23], v[24:25]
	s_or_b64 s[0:1], s[0:1], s[52:53]
	s_and_b64 s[0:1], exec, s[0:1]
	v_cmp_eq_f64_e32 vcc, v[22:23], v[24:25]
	s_or_b64 s[48:49], s[0:1], s[48:49]
	s_andn2_b64 s[0:1], s[46:47], exec
	s_and_b64 s[46:47], vcc, exec
	s_or_b64 s[46:47], s[0:1], s[46:47]
	s_andn2_b64 exec, exec, s[48:49]
	s_cbranch_execnz .LBB831_108
; %bb.109:
	s_or_b64 exec, exec, s[48:49]
	s_xor_b64 s[0:1], s[38:39], -1
	v_cndmask_b32_e64 v40, 0, 1, s[0:1]
	s_xor_b64 s[0:1], s[42:43], -1
	v_cndmask_b32_e64 v16, 0, 1, s[0:1]
	v_lshlrev_b16_e32 v16, 8, v16
	s_xor_b64 s[0:1], s[12:13], -1
	v_lshrrev_b32_e32 v16, 8, v16
	v_mov_b32_e32 v20, 1
	s_xor_b64 s[12:13], s[44:45], -1
	v_cndmask_b32_e64 v19, 0, 1, s[0:1]
	s_xor_b64 s[0:1], s[40:41], -1
	v_and_b32_sdwa v16, v16, v20 dst_sel:BYTE_1 dst_unused:UNUSED_PAD src0_sel:DWORD src1_sel:DWORD
	v_cndmask_b32_e64 v20, 0, 1, s[12:13]
	v_cndmask_b32_e64 v17, 0, 1, s[0:1]
	s_xor_b64 s[0:1], s[46:47], -1
	v_or_b32_sdwa v16, v20, v16 dst_sel:WORD_1 dst_unused:UNUSED_PAD src0_sel:DWORD src1_sel:DWORD
	s_branch .LBB831_112
.LBB831_110:
                                        ; implicit-def: $sgpr0_sgpr1
                                        ; implicit-def: $vgpr19
                                        ; implicit-def: $vgpr40
                                        ; implicit-def: $vgpr17
                                        ; implicit-def: $vgpr22
                                        ; implicit-def: $vgpr42
                                        ; implicit-def: $vgpr41
                                        ; implicit-def: $vgpr20
	s_cbranch_execnz .LBB831_119
	s_branch .LBB831_164
.LBB831_111:
	v_mov_b32_e32 v16, 0
	v_mov_b32_e32 v19, 0
	;; [unrolled: 1-line block ×4, first 2 shown]
.LBB831_112:
	v_lshrrev_b32_e32 v41, 16, v16
	s_waitcnt vmcnt(0) lgkmcnt(1)
	v_lshrrev_b32_e32 v20, 24, v16
	v_cndmask_b32_e64 v42, 0, 1, s[0:1]
	v_mov_b32_e32 v16, 1
	s_waitcnt lgkmcnt(0)
	s_barrier
                                        ; implicit-def: $sgpr0_sgpr1
                                        ; implicit-def: $vgpr22
	s_and_saveexec_b64 s[12:13], s[2:3]
	s_xor_b64 s[12:13], exec, s[12:13]
	s_cbranch_execz .LBB831_118
; %bb.113:
	v_lshlrev_b16_e32 v21, 8, v20
	s_movk_i32 s0, 0xff
	v_bitop3_b16 v21, v41, v21, s0 bitop3:0xec
	v_lshlrev_b16_e32 v22, 8, v42
	v_lshlrev_b32_e32 v21, 16, v21
	v_or_b32_e32 v22, 1, v22
	v_or_b32_sdwa v21, v22, v21 dst_sel:DWORD dst_unused:UNUSED_PAD src0_sel:WORD_0 src1_sel:DWORD
	s_mov_b32 s40, 0x3020104
	s_and_b64 vcc, exec, s[4:5]
	s_mov_b64 s[0:1], 0
	s_cbranch_vccnz .LBB831_117
; %bb.114:
	v_add_u32_e32 v22, -8, v26
	ds_read_b64 v[22:23], v22
	v_mul_lo_u32 v27, v11, s26
	v_mul_lo_u32 v28, v10, s27
	s_add_u32 s38, s26, -1
	s_addc_u32 s39, s27, -1
	s_waitcnt lgkmcnt(0)
	v_mul_lo_u32 v24, v23, s26
	v_mul_lo_u32 v25, v22, s27
	v_mad_u64_u32 v[22:23], s[0:1], v22, s26, 0
	v_add3_u32 v23, v23, v25, v24
	v_mad_u64_u32 v[24:25], s[0:1], v10, s26, 0
	v_add3_u32 v25, v25, v28, v27
	v_lshl_add_u64 v[22:23], v[22:23], 3, s[28:29]
	v_lshl_add_u64 v[24:25], v[24:25], 3, s[28:29]
	s_mov_b64 s[4:5], 0
                                        ; implicit-def: $sgpr14_sgpr15
.LBB831_115:                            ; =>This Inner Loop Header: Depth=1
	global_load_dwordx2 v[28:29], v[22:23], off
	global_load_dwordx2 v[30:31], v[24:25], off
	s_add_u32 s0, s38, -1
	s_addc_u32 s1, s39, -1
	s_cmp_eq_u64 s[38:39], 0
	s_mov_b64 s[38:39], s[0:1]
	s_cselect_b64 s[42:43], -1, 0
	v_lshl_add_u64 v[22:23], v[22:23], 0, 8
	v_lshl_add_u64 v[24:25], v[24:25], 0, 8
	s_waitcnt vmcnt(0)
	v_cmp_neq_f64_e64 s[0:1], v[28:29], v[30:31]
	s_or_b64 s[0:1], s[0:1], s[42:43]
	s_and_b64 s[0:1], exec, s[0:1]
	v_cmp_eq_f64_e32 vcc, v[28:29], v[30:31]
	s_or_b64 s[4:5], s[0:1], s[4:5]
	s_andn2_b64 s[0:1], s[14:15], exec
	s_and_b64 s[14:15], vcc, exec
	s_or_b64 s[14:15], s[0:1], s[14:15]
	s_andn2_b64 exec, exec, s[4:5]
	s_cbranch_execnz .LBB831_115
; %bb.116:
	s_or_b64 exec, exec, s[4:5]
	s_xor_b64 s[0:1], s[14:15], -1
.LBB831_117:
	v_perm_b32 v22, v21, v21, s40
	s_or_b64 s[10:11], s[10:11], exec
.LBB831_118:
	s_or_b64 exec, exec, s[12:13]
	s_branch .LBB831_164
.LBB831_119:
	v_add_u32_e32 v16, 6, v1
	v_cmp_gt_u32_e32 vcc, s50, v16
	s_mov_b64 s[12:13], 0
	s_mov_b64 s[4:5], 0
	s_and_saveexec_b64 s[14:15], vcc
	s_cbranch_execz .LBB831_125
; %bb.120:
	s_andn2_b64 vcc, exec, s[6:7]
	s_mov_b64 s[0:1], 0
	s_cbranch_vccnz .LBB831_124
; %bb.121:
	v_mul_lo_u32 v19, v5, s26
	s_waitcnt vmcnt(0) lgkmcnt(1)
	v_mul_lo_u32 v20, v4, s27
	v_mad_u64_u32 v[16:17], s[0:1], v4, s26, 0
	v_add3_u32 v17, v17, v20, v19
	v_mul_lo_u32 v19, v15, s26
	v_mul_lo_u32 v22, v14, s27
	v_mad_u64_u32 v[20:21], s[0:1], v14, s26, 0
	v_add3_u32 v21, v21, v22, v19
	s_add_u32 s40, s26, -1
	v_lshl_add_u64 v[16:17], v[16:17], 3, s[28:29]
	v_lshl_add_u64 v[20:21], v[20:21], 3, s[28:29]
	s_addc_u32 s41, s27, -1
                                        ; implicit-def: $sgpr38_sgpr39
.LBB831_122:                            ; =>This Inner Loop Header: Depth=1
	global_load_dwordx2 v[22:23], v[16:17], off
	global_load_dwordx2 v[24:25], v[20:21], off
	s_add_u32 s0, s40, -1
	s_addc_u32 s1, s41, -1
	s_cmp_eq_u64 s[40:41], 0
	s_mov_b64 s[40:41], s[0:1]
	s_cselect_b64 s[42:43], -1, 0
	v_lshl_add_u64 v[16:17], v[16:17], 0, 8
	v_lshl_add_u64 v[20:21], v[20:21], 0, 8
	s_waitcnt vmcnt(0)
	v_cmp_neq_f64_e64 s[0:1], v[22:23], v[24:25]
	s_or_b64 s[0:1], s[0:1], s[42:43]
	s_and_b64 s[0:1], exec, s[0:1]
	v_cmp_eq_f64_e32 vcc, v[22:23], v[24:25]
	s_or_b64 s[4:5], s[0:1], s[4:5]
	s_andn2_b64 s[0:1], s[38:39], exec
	s_and_b64 s[38:39], vcc, exec
	s_or_b64 s[38:39], s[0:1], s[38:39]
	s_andn2_b64 exec, exec, s[4:5]
	s_cbranch_execnz .LBB831_122
; %bb.123:
	s_or_b64 exec, exec, s[4:5]
	s_xor_b64 s[0:1], s[38:39], -1
.LBB831_124:
	s_and_b64 s[4:5], s[0:1], exec
.LBB831_125:
	s_or_b64 exec, exec, s[14:15]
	v_add_u32_e32 v16, 5, v1
	v_cmp_gt_u32_e32 vcc, s50, v16
	s_and_saveexec_b64 s[14:15], vcc
	s_cbranch_execz .LBB831_131
; %bb.126:
	s_andn2_b64 vcc, exec, s[6:7]
	s_mov_b64 s[0:1], 0
	s_cbranch_vccnz .LBB831_130
; %bb.127:
	v_mul_lo_u32 v19, v3, s26
	s_waitcnt vmcnt(0) lgkmcnt(1)
	v_mul_lo_u32 v20, v2, s27
	v_mad_u64_u32 v[16:17], s[0:1], v2, s26, 0
	v_add3_u32 v17, v17, v20, v19
	v_mul_lo_u32 v19, v5, s26
	v_mul_lo_u32 v22, v4, s27
	v_mad_u64_u32 v[20:21], s[0:1], v4, s26, 0
	v_add3_u32 v21, v21, v22, v19
	s_add_u32 s40, s26, -1
	v_lshl_add_u64 v[16:17], v[16:17], 3, s[28:29]
	v_lshl_add_u64 v[20:21], v[20:21], 3, s[28:29]
	s_addc_u32 s41, s27, -1
	s_mov_b64 s[12:13], 0
                                        ; implicit-def: $sgpr38_sgpr39
.LBB831_128:                            ; =>This Inner Loop Header: Depth=1
	global_load_dwordx2 v[22:23], v[16:17], off
	global_load_dwordx2 v[24:25], v[20:21], off
	s_add_u32 s0, s40, -1
	s_addc_u32 s1, s41, -1
	s_cmp_eq_u64 s[40:41], 0
	s_mov_b64 s[40:41], s[0:1]
	s_cselect_b64 s[42:43], -1, 0
	v_lshl_add_u64 v[16:17], v[16:17], 0, 8
	v_lshl_add_u64 v[20:21], v[20:21], 0, 8
	s_waitcnt vmcnt(0)
	v_cmp_neq_f64_e64 s[0:1], v[22:23], v[24:25]
	s_or_b64 s[0:1], s[0:1], s[42:43]
	s_and_b64 s[0:1], exec, s[0:1]
	v_cmp_eq_f64_e32 vcc, v[22:23], v[24:25]
	s_or_b64 s[12:13], s[0:1], s[12:13]
	s_andn2_b64 s[0:1], s[38:39], exec
	s_and_b64 s[38:39], vcc, exec
	s_or_b64 s[38:39], s[0:1], s[38:39]
	s_andn2_b64 exec, exec, s[12:13]
	s_cbranch_execnz .LBB831_128
; %bb.129:
	s_or_b64 exec, exec, s[12:13]
	s_xor_b64 s[0:1], s[38:39], -1
.LBB831_130:
	s_and_b64 s[12:13], s[0:1], exec
.LBB831_131:
	s_or_b64 exec, exec, s[14:15]
	v_add_u32_e32 v16, 4, v1
	v_cmp_gt_u32_e32 vcc, s50, v16
	s_mov_b64 s[14:15], 0
	s_mov_b64 s[38:39], 0
	s_and_saveexec_b64 s[40:41], vcc
	s_cbranch_execz .LBB831_137
; %bb.132:
	s_andn2_b64 vcc, exec, s[6:7]
	s_mov_b64 s[0:1], 0
	s_cbranch_vccnz .LBB831_136
; %bb.133:
	v_mul_lo_u32 v19, v9, s26
	s_waitcnt vmcnt(0) lgkmcnt(1)
	v_mul_lo_u32 v20, v8, s27
	v_mad_u64_u32 v[16:17], s[0:1], v8, s26, 0
	v_add3_u32 v17, v17, v20, v19
	v_mul_lo_u32 v19, v3, s26
	v_mul_lo_u32 v22, v2, s27
	v_mad_u64_u32 v[20:21], s[0:1], v2, s26, 0
	v_add3_u32 v21, v21, v22, v19
	s_add_u32 s44, s26, -1
	v_lshl_add_u64 v[16:17], v[16:17], 3, s[28:29]
	v_lshl_add_u64 v[20:21], v[20:21], 3, s[28:29]
	s_addc_u32 s45, s27, -1
                                        ; implicit-def: $sgpr42_sgpr43
.LBB831_134:                            ; =>This Inner Loop Header: Depth=1
	global_load_dwordx2 v[22:23], v[16:17], off
	global_load_dwordx2 v[24:25], v[20:21], off
	s_add_u32 s0, s44, -1
	s_addc_u32 s1, s45, -1
	s_cmp_eq_u64 s[44:45], 0
	s_mov_b64 s[44:45], s[0:1]
	s_cselect_b64 s[46:47], -1, 0
	v_lshl_add_u64 v[16:17], v[16:17], 0, 8
	v_lshl_add_u64 v[20:21], v[20:21], 0, 8
	s_waitcnt vmcnt(0)
	v_cmp_neq_f64_e64 s[0:1], v[22:23], v[24:25]
	s_or_b64 s[0:1], s[0:1], s[46:47]
	s_and_b64 s[0:1], exec, s[0:1]
	v_cmp_eq_f64_e32 vcc, v[22:23], v[24:25]
	s_or_b64 s[38:39], s[0:1], s[38:39]
	s_andn2_b64 s[0:1], s[42:43], exec
	s_and_b64 s[42:43], vcc, exec
	s_or_b64 s[42:43], s[0:1], s[42:43]
	s_andn2_b64 exec, exec, s[38:39]
	s_cbranch_execnz .LBB831_134
; %bb.135:
	s_or_b64 exec, exec, s[38:39]
	s_xor_b64 s[0:1], s[42:43], -1
.LBB831_136:
	s_and_b64 s[38:39], s[0:1], exec
.LBB831_137:
	s_or_b64 exec, exec, s[40:41]
	v_add_u32_e32 v16, 3, v1
	v_cmp_gt_u32_e32 vcc, s50, v16
	s_and_saveexec_b64 s[40:41], vcc
	s_cbranch_execz .LBB831_143
; %bb.138:
	s_andn2_b64 vcc, exec, s[6:7]
	s_mov_b64 s[0:1], 0
	s_cbranch_vccnz .LBB831_142
; %bb.139:
	v_mul_lo_u32 v19, v7, s26
	s_waitcnt vmcnt(0) lgkmcnt(1)
	v_mul_lo_u32 v20, v6, s27
	v_mad_u64_u32 v[16:17], s[0:1], v6, s26, 0
	v_add3_u32 v17, v17, v20, v19
	v_mul_lo_u32 v19, v9, s26
	v_mul_lo_u32 v22, v8, s27
	v_mad_u64_u32 v[20:21], s[0:1], v8, s26, 0
	v_add3_u32 v21, v21, v22, v19
	s_add_u32 s44, s26, -1
	v_lshl_add_u64 v[16:17], v[16:17], 3, s[28:29]
	v_lshl_add_u64 v[20:21], v[20:21], 3, s[28:29]
	s_addc_u32 s45, s27, -1
	s_mov_b64 s[14:15], 0
                                        ; implicit-def: $sgpr42_sgpr43
.LBB831_140:                            ; =>This Inner Loop Header: Depth=1
	global_load_dwordx2 v[22:23], v[16:17], off
	global_load_dwordx2 v[24:25], v[20:21], off
	s_add_u32 s0, s44, -1
	s_addc_u32 s1, s45, -1
	s_cmp_eq_u64 s[44:45], 0
	s_mov_b64 s[44:45], s[0:1]
	s_cselect_b64 s[46:47], -1, 0
	v_lshl_add_u64 v[16:17], v[16:17], 0, 8
	v_lshl_add_u64 v[20:21], v[20:21], 0, 8
	s_waitcnt vmcnt(0)
	v_cmp_neq_f64_e64 s[0:1], v[22:23], v[24:25]
	s_or_b64 s[0:1], s[0:1], s[46:47]
	s_and_b64 s[0:1], exec, s[0:1]
	v_cmp_eq_f64_e32 vcc, v[22:23], v[24:25]
	s_or_b64 s[14:15], s[0:1], s[14:15]
	s_andn2_b64 s[0:1], s[42:43], exec
	s_and_b64 s[42:43], vcc, exec
	s_or_b64 s[42:43], s[0:1], s[42:43]
	s_andn2_b64 exec, exec, s[14:15]
	s_cbranch_execnz .LBB831_140
; %bb.141:
	s_or_b64 exec, exec, s[14:15]
	s_xor_b64 s[0:1], s[42:43], -1
.LBB831_142:
	s_and_b64 s[14:15], s[0:1], exec
.LBB831_143:
	s_or_b64 exec, exec, s[40:41]
	v_add_u32_e32 v16, 2, v1
	v_cmp_gt_u32_e32 vcc, s50, v16
	s_mov_b64 s[40:41], 0
	s_mov_b64 s[42:43], 0
	s_and_saveexec_b64 s[44:45], vcc
	s_cbranch_execz .LBB831_149
; %bb.144:
	s_andn2_b64 vcc, exec, s[6:7]
	s_mov_b64 s[0:1], 0
	s_cbranch_vccnz .LBB831_148
; %bb.145:
	v_mul_lo_u32 v19, v13, s26
	s_waitcnt vmcnt(0) lgkmcnt(1)
	v_mul_lo_u32 v20, v12, s27
	v_mad_u64_u32 v[16:17], s[0:1], v12, s26, 0
	v_add3_u32 v17, v17, v20, v19
	v_mul_lo_u32 v19, v7, s26
	v_mul_lo_u32 v22, v6, s27
	v_mad_u64_u32 v[20:21], s[0:1], v6, s26, 0
	v_add3_u32 v21, v21, v22, v19
	s_add_u32 s48, s26, -1
	v_lshl_add_u64 v[16:17], v[16:17], 3, s[28:29]
	v_lshl_add_u64 v[20:21], v[20:21], 3, s[28:29]
	s_addc_u32 s49, s27, -1
                                        ; implicit-def: $sgpr46_sgpr47
.LBB831_146:                            ; =>This Inner Loop Header: Depth=1
	global_load_dwordx2 v[22:23], v[16:17], off
	global_load_dwordx2 v[24:25], v[20:21], off
	s_add_u32 s0, s48, -1
	s_addc_u32 s1, s49, -1
	s_cmp_eq_u64 s[48:49], 0
	s_mov_b64 s[48:49], s[0:1]
	s_cselect_b64 s[52:53], -1, 0
	v_lshl_add_u64 v[16:17], v[16:17], 0, 8
	v_lshl_add_u64 v[20:21], v[20:21], 0, 8
	s_waitcnt vmcnt(0)
	v_cmp_neq_f64_e64 s[0:1], v[22:23], v[24:25]
	s_or_b64 s[0:1], s[0:1], s[52:53]
	s_and_b64 s[0:1], exec, s[0:1]
	v_cmp_eq_f64_e32 vcc, v[22:23], v[24:25]
	s_or_b64 s[42:43], s[0:1], s[42:43]
	s_andn2_b64 s[0:1], s[46:47], exec
	s_and_b64 s[46:47], vcc, exec
	s_or_b64 s[46:47], s[0:1], s[46:47]
	s_andn2_b64 exec, exec, s[42:43]
	s_cbranch_execnz .LBB831_146
; %bb.147:
	s_or_b64 exec, exec, s[42:43]
	s_xor_b64 s[0:1], s[46:47], -1
.LBB831_148:
	s_and_b64 s[42:43], s[0:1], exec
.LBB831_149:
	s_or_b64 exec, exec, s[44:45]
	v_add_u32_e32 v16, 1, v1
	v_cmp_gt_u32_e32 vcc, s50, v16
	s_and_saveexec_b64 s[44:45], vcc
	s_cbranch_execz .LBB831_155
; %bb.150:
	s_andn2_b64 vcc, exec, s[6:7]
	s_mov_b64 s[0:1], 0
	s_cbranch_vccnz .LBB831_154
; %bb.151:
	v_mul_lo_u32 v19, v11, s26
	s_waitcnt vmcnt(0) lgkmcnt(1)
	v_mul_lo_u32 v20, v10, s27
	v_mad_u64_u32 v[16:17], s[0:1], v10, s26, 0
	v_add3_u32 v17, v17, v20, v19
	v_mul_lo_u32 v19, v13, s26
	v_mul_lo_u32 v22, v12, s27
	v_mad_u64_u32 v[20:21], s[0:1], v12, s26, 0
	v_add3_u32 v21, v21, v22, v19
	s_add_u32 s48, s26, -1
	v_lshl_add_u64 v[16:17], v[16:17], 3, s[28:29]
	v_lshl_add_u64 v[20:21], v[20:21], 3, s[28:29]
	s_addc_u32 s49, s27, -1
	s_mov_b64 s[40:41], 0
                                        ; implicit-def: $sgpr46_sgpr47
.LBB831_152:                            ; =>This Inner Loop Header: Depth=1
	global_load_dwordx2 v[22:23], v[16:17], off
	global_load_dwordx2 v[24:25], v[20:21], off
	s_add_u32 s0, s48, -1
	s_addc_u32 s1, s49, -1
	s_cmp_eq_u64 s[48:49], 0
	s_mov_b64 s[48:49], s[0:1]
	s_cselect_b64 s[52:53], -1, 0
	v_lshl_add_u64 v[16:17], v[16:17], 0, 8
	v_lshl_add_u64 v[20:21], v[20:21], 0, 8
	s_waitcnt vmcnt(0)
	v_cmp_neq_f64_e64 s[0:1], v[22:23], v[24:25]
	s_or_b64 s[0:1], s[0:1], s[52:53]
	s_and_b64 s[0:1], exec, s[0:1]
	v_cmp_eq_f64_e32 vcc, v[22:23], v[24:25]
	s_or_b64 s[40:41], s[0:1], s[40:41]
	s_andn2_b64 s[0:1], s[46:47], exec
	s_and_b64 s[46:47], vcc, exec
	s_or_b64 s[46:47], s[0:1], s[46:47]
	s_andn2_b64 exec, exec, s[40:41]
	s_cbranch_execnz .LBB831_152
; %bb.153:
	s_or_b64 exec, exec, s[40:41]
	s_xor_b64 s[0:1], s[46:47], -1
.LBB831_154:
	s_and_b64 s[40:41], s[0:1], exec
.LBB831_155:
	s_or_b64 exec, exec, s[44:45]
	v_cndmask_b32_e64 v17, 0, 1, s[38:39]
	v_cndmask_b32_e64 v40, 0, 1, s[12:13]
	;; [unrolled: 1-line block ×4, first 2 shown]
	s_waitcnt vmcnt(0) lgkmcnt(1)
	v_cndmask_b32_e64 v20, 0, 1, s[14:15]
	v_cndmask_b32_e64 v42, 0, 1, s[40:41]
	v_mov_b32_e32 v16, 1
	s_waitcnt lgkmcnt(0)
	s_barrier
                                        ; implicit-def: $sgpr0_sgpr1
                                        ; implicit-def: $vgpr22
	s_and_saveexec_b64 s[4:5], s[2:3]
	s_cbranch_execz .LBB831_163
; %bb.156:
	v_lshlrev_b16_e32 v21, 8, v42
	v_lshlrev_b16_e32 v22, 8, v20
	v_or_b32_e32 v21, 1, v21
	v_or_b32_sdwa v22, v41, v22 dst_sel:WORD_1 dst_unused:UNUSED_PAD src0_sel:DWORD src1_sel:DWORD
	v_cmp_gt_u32_e32 vcc, s50, v1
	v_or_b32_sdwa v21, v21, v22 dst_sel:DWORD dst_unused:UNUSED_PAD src0_sel:WORD_0 src1_sel:DWORD
	s_mov_b32 s38, 0x3020104
	s_mov_b64 s[0:1], 0
	s_and_saveexec_b64 s[2:3], vcc
	s_cbranch_execz .LBB831_162
; %bb.157:
	s_andn2_b64 vcc, exec, s[6:7]
	s_cbranch_vccnz .LBB831_161
; %bb.158:
	v_add_u32_e32 v22, -8, v26
	ds_read_b64 v[22:23], v22
	v_mul_lo_u32 v26, v11, s26
	v_mul_lo_u32 v27, v10, s27
	s_add_u32 s14, s26, -1
	s_addc_u32 s15, s27, -1
	s_waitcnt lgkmcnt(0)
	v_mul_lo_u32 v24, v23, s26
	v_mul_lo_u32 v25, v22, s27
	v_mad_u64_u32 v[22:23], s[0:1], v22, s26, 0
	v_add3_u32 v23, v23, v25, v24
	v_mad_u64_u32 v[24:25], s[0:1], v10, s26, 0
	v_add3_u32 v25, v25, v27, v26
	v_lshl_add_u64 v[22:23], v[22:23], 3, s[28:29]
	v_lshl_add_u64 v[24:25], v[24:25], 3, s[28:29]
	s_mov_b64 s[6:7], 0
                                        ; implicit-def: $sgpr12_sgpr13
.LBB831_159:                            ; =>This Inner Loop Header: Depth=1
	global_load_dwordx2 v[26:27], v[22:23], off
	global_load_dwordx2 v[28:29], v[24:25], off
	s_add_u32 s0, s14, -1
	s_addc_u32 s1, s15, -1
	s_cmp_eq_u64 s[14:15], 0
	s_mov_b64 s[14:15], s[0:1]
	s_cselect_b64 s[26:27], -1, 0
	v_lshl_add_u64 v[22:23], v[22:23], 0, 8
	v_lshl_add_u64 v[24:25], v[24:25], 0, 8
	s_waitcnt vmcnt(0)
	v_cmp_neq_f64_e64 s[0:1], v[26:27], v[28:29]
	s_or_b64 s[0:1], s[0:1], s[26:27]
	s_and_b64 s[0:1], exec, s[0:1]
	v_cmp_eq_f64_e32 vcc, v[26:27], v[28:29]
	s_or_b64 s[6:7], s[0:1], s[6:7]
	s_andn2_b64 s[0:1], s[12:13], exec
	s_and_b64 s[12:13], vcc, exec
	s_or_b64 s[12:13], s[0:1], s[12:13]
	s_andn2_b64 exec, exec, s[6:7]
	s_cbranch_execnz .LBB831_159
; %bb.160:
	s_or_b64 exec, exec, s[6:7]
	s_xor_b64 s[0:1], s[12:13], -1
.LBB831_161:
	s_and_b64 s[0:1], s[0:1], exec
.LBB831_162:
	s_or_b64 exec, exec, s[2:3]
	v_perm_b32 v22, v21, v21, s38
	s_or_b64 s[10:11], s[10:11], exec
.LBB831_163:
	s_or_b64 exec, exec, s[4:5]
.LBB831_164:
	s_and_saveexec_b64 s[2:3], s[10:11]
	s_cbranch_execz .LBB831_166
; %bb.165:
	s_waitcnt vmcnt(0) lgkmcnt(0)
	v_lshrrev_b32_e32 v20, 24, v22
	v_lshrrev_b32_e32 v41, 16, v22
	;; [unrolled: 1-line block ×3, first 2 shown]
	v_cndmask_b32_e64 v16, 0, 1, s[0:1]
.LBB831_166:
	s_or_b64 exec, exec, s[2:3]
	s_andn2_b64 vcc, exec, s[8:9]
	s_cbranch_vccnz .LBB831_170
; %bb.167:
	s_mov_b32 s0, 0xc0c0004
	s_waitcnt vmcnt(0) lgkmcnt(0)
	v_perm_b32 v20, v41, v20, s0
	v_perm_b32 v16, v16, v42, s0
	v_lshlrev_b32_e32 v20, 16, v20
	v_or_b32_e32 v16, v16, v20
	v_cmp_gt_u32_e32 vcc, s50, v1
	v_add_u32_e32 v22, 1, v1
	v_perm_b32 v17, v17, v40, s0
	v_cndmask_b32_e32 v20, v20, v16, vcc
	v_and_b32_e32 v20, 0xffff00ff, v20
	v_cmp_gt_u32_e32 vcc, s50, v22
	v_add_u32_e32 v22, 2, v1
	s_mov_b32 s0, 0x40c0100
	v_cndmask_b32_e32 v20, v20, v16, vcc
	v_lshrrev_b32_e32 v23, 24, v20
	v_and_b32_e32 v19, 0xff, v19
	v_perm_b32 v20, v23, v20, s0
	v_cmp_gt_u32_e32 vcc, s50, v22
	v_lshlrev_b32_e32 v19, 16, v19
	v_add_u32_e32 v22, 3, v1
	v_cndmask_b32_e32 v20, v20, v16, vcc
	s_mov_b32 s0, 0xffff00
	v_or_b32_e32 v21, v17, v19
	v_and_b32_e32 v20, 0xffffff, v20
	v_cmp_gt_u32_e32 vcc, s50, v22
	v_bitop3_b32 v17, v17, s0, v19 bitop3:0xc8
	v_add_u32_e32 v19, 4, v1
	v_cndmask_b32_e32 v20, v20, v16, vcc
	v_cmp_gt_u32_e32 vcc, s50, v19
	v_add_u32_e32 v19, 5, v1
	v_cmp_gt_u32_e64 s[0:1], s50, v19
	v_cndmask_b32_e32 v17, v17, v21, vcc
	v_and_b32_e32 v17, 0xffff00ff, v17
	s_or_b64 vcc, s[0:1], vcc
	v_cndmask_b32_e64 v17, v17, v21, s[0:1]
	v_cndmask_b32_e32 v16, v20, v16, vcc
	v_add_u32_e32 v1, 6, v1
	v_lshrrev_b32_e32 v41, 16, v16
	v_lshrrev_b32_e32 v42, 8, v16
	v_lshrrev_b64 v[20:21], 24, v[16:17]
	v_lshrrev_b32_e32 v19, 16, v17
	v_lshrrev_b32_e32 v40, 8, v17
	v_cmp_le_u32_e32 vcc, s50, v1
	s_and_saveexec_b64 s[0:1], vcc
; %bb.168:
	v_mov_b32_e32 v19, 0
; %bb.169:
	s_or_b64 exec, exec, s[0:1]
.LBB831_170:
	v_and_b32_e32 v1, 0xff, v16
	s_waitcnt vmcnt(0) lgkmcnt(0)
	v_and_b32_e32 v21, 0xff, v42
	v_and_b32_e32 v33, 0xff, v41
	;; [unrolled: 1-line block ×4, first 2 shown]
	v_add3_u32 v23, v21, v1, v33
	v_and_b32_e32 v39, 0xff, v40
	v_and_b32_e32 v22, 0xff, v19
	v_add3_u32 v23, v23, v35, v37
	v_add3_u32 v45, v23, v39, v22
	v_mbcnt_lo_u32_b32 v22, -1, 0
	v_mbcnt_hi_u32_b32 v43, -1, v22
	v_and_b32_e32 v22, 15, v43
	v_cmp_eq_u32_e64 s[14:15], 0, v22
	v_cmp_lt_u32_e64 s[12:13], 1, v22
	v_cmp_lt_u32_e64 s[10:11], 3, v22
	;; [unrolled: 1-line block ×3, first 2 shown]
	v_and_b32_e32 v22, 16, v43
	v_cmp_eq_u32_e64 s[6:7], 0, v22
	v_or_b32_e32 v22, 63, v0
	v_cmp_lt_u32_e64 s[2:3], 31, v43
	v_lshrrev_b32_e32 v44, 6, v0
	v_cmp_eq_u32_e64 s[4:5], v0, v22
	s_and_b64 vcc, exec, s[16:17]
	s_barrier
	s_cbranch_vccz .LBB831_192
; %bb.171:
	v_mov_b32_dpp v22, v45 row_shr:1 row_mask:0xf bank_mask:0xf
	v_cndmask_b32_e64 v22, v22, 0, s[14:15]
	v_add_u32_e32 v22, v22, v45
	s_nop 1
	v_mov_b32_dpp v23, v22 row_shr:2 row_mask:0xf bank_mask:0xf
	v_cndmask_b32_e64 v23, 0, v23, s[12:13]
	v_add_u32_e32 v22, v22, v23
	s_nop 1
	;; [unrolled: 4-line block ×4, first 2 shown]
	v_mov_b32_dpp v23, v22 row_bcast:15 row_mask:0xf bank_mask:0xf
	v_cndmask_b32_e64 v23, v23, 0, s[6:7]
	v_add_u32_e32 v22, v22, v23
	s_nop 1
	v_mov_b32_dpp v23, v22 row_bcast:31 row_mask:0xf bank_mask:0xf
	v_cndmask_b32_e64 v23, 0, v23, s[2:3]
	v_add_u32_e32 v22, v22, v23
	s_and_saveexec_b64 s[0:1], s[4:5]
; %bb.172:
	v_lshlrev_b32_e32 v23, 2, v44
	ds_write_b32 v23, v22
; %bb.173:
	s_or_b64 exec, exec, s[0:1]
	v_cmp_gt_u32_e32 vcc, 8, v0
	s_waitcnt lgkmcnt(0)
	s_barrier
	s_and_saveexec_b64 s[0:1], vcc
	s_cbranch_execz .LBB831_175
; %bb.174:
	v_lshlrev_b32_e32 v23, 2, v0
	ds_read_b32 v24, v23
	v_and_b32_e32 v25, 7, v43
	v_cmp_ne_u32_e32 vcc, 0, v25
	s_waitcnt lgkmcnt(0)
	v_mov_b32_dpp v26, v24 row_shr:1 row_mask:0xf bank_mask:0xf
	v_cndmask_b32_e32 v26, 0, v26, vcc
	v_add_u32_e32 v24, v26, v24
	v_cmp_lt_u32_e32 vcc, 1, v25
	s_nop 0
	v_mov_b32_dpp v26, v24 row_shr:2 row_mask:0xf bank_mask:0xf
	v_cndmask_b32_e32 v26, 0, v26, vcc
	v_add_u32_e32 v24, v24, v26
	v_cmp_lt_u32_e32 vcc, 3, v25
	s_nop 0
	v_mov_b32_dpp v26, v24 row_shr:4 row_mask:0xf bank_mask:0xf
	v_cndmask_b32_e32 v25, 0, v26, vcc
	v_add_u32_e32 v24, v24, v25
	ds_write_b32 v23, v24
.LBB831_175:
	s_or_b64 exec, exec, s[0:1]
	v_cmp_gt_u32_e32 vcc, 64, v0
	v_cmp_lt_u32_e64 s[0:1], 63, v0
	s_waitcnt lgkmcnt(0)
	s_barrier
                                        ; implicit-def: $vgpr32
	s_and_saveexec_b64 s[16:17], s[0:1]
	s_cbranch_execz .LBB831_177
; %bb.176:
	v_lshl_add_u32 v23, v44, 2, -4
	ds_read_b32 v32, v23
	s_waitcnt lgkmcnt(0)
	v_add_u32_e32 v22, v32, v22
.LBB831_177:
	s_or_b64 exec, exec, s[16:17]
	v_subrev_co_u32_e64 v23, s[16:17], 1, v43
	v_and_b32_e32 v24, 64, v43
	v_cmp_lt_i32_e64 s[0:1], v23, v24
	s_nop 1
	v_cndmask_b32_e64 v23, v23, v43, s[0:1]
	v_lshlrev_b32_e32 v23, 2, v23
	ds_bpermute_b32 v34, v23, v22
	s_and_saveexec_b64 s[0:1], vcc
	s_cbranch_execz .LBB831_197
; %bb.178:
	v_mov_b32_e32 v29, 0
	ds_read_b32 v22, v29 offset:28
	s_and_saveexec_b64 s[26:27], s[16:17]
	s_cbranch_execz .LBB831_180
; %bb.179:
	s_add_i32 s28, s33, 64
	s_mov_b32 s29, 0
	s_lshl_b64 s[28:29], s[28:29], 3
	s_add_u32 s28, s30, s28
	v_mov_b32_e32 v23, 1
	s_addc_u32 s29, s31, s29
	s_waitcnt lgkmcnt(0)
	global_store_dwordx2 v29, v[22:23], s[28:29] sc1
.LBB831_180:
	s_or_b64 exec, exec, s[26:27]
	v_xad_u32 v24, v43, -1, s33
	v_add_u32_e32 v28, 64, v24
	v_lshl_add_u64 v[30:31], v[28:29], 3, s[30:31]
	global_load_dwordx2 v[26:27], v[30:31], off sc1
	s_waitcnt vmcnt(0)
	v_cmp_eq_u16_sdwa s[28:29], v27, v29 src0_sel:BYTE_0 src1_sel:DWORD
	s_and_saveexec_b64 s[26:27], s[28:29]
	s_cbranch_execz .LBB831_184
; %bb.181:
	s_mov_b64 s[28:29], 0
	v_mov_b32_e32 v23, 0
.LBB831_182:                            ; =>This Inner Loop Header: Depth=1
	global_load_dwordx2 v[26:27], v[30:31], off sc1
	s_waitcnt vmcnt(0)
	v_cmp_ne_u16_sdwa s[38:39], v27, v23 src0_sel:BYTE_0 src1_sel:DWORD
	s_or_b64 s[28:29], s[38:39], s[28:29]
	s_andn2_b64 exec, exec, s[28:29]
	s_cbranch_execnz .LBB831_182
; %bb.183:
	s_or_b64 exec, exec, s[28:29]
.LBB831_184:
	s_or_b64 exec, exec, s[26:27]
	v_and_b32_e32 v38, 63, v43
	v_mov_b32_e32 v36, 2
	v_cmp_ne_u32_e32 vcc, 63, v38
	v_cmp_eq_u16_sdwa s[26:27], v27, v36 src0_sel:BYTE_0 src1_sel:DWORD
	v_lshlrev_b64 v[28:29], v43, -1
	v_addc_co_u32_e32 v30, vcc, 0, v43, vcc
	v_and_b32_e32 v23, s27, v29
	v_lshlrev_b32_e32 v46, 2, v30
	v_or_b32_e32 v23, 0x80000000, v23
	ds_bpermute_b32 v30, v46, v26
	v_and_b32_e32 v25, s26, v28
	v_ffbl_b32_e32 v23, v23
	v_add_u32_e32 v23, 32, v23
	v_ffbl_b32_e32 v25, v25
	v_min_u32_e32 v23, v25, v23
	v_cmp_lt_u32_e32 vcc, v38, v23
	v_add_u32_e32 v48, 2, v38
	v_add_u32_e32 v50, 4, v38
	s_waitcnt lgkmcnt(0)
	v_cndmask_b32_e32 v25, 0, v30, vcc
	v_cmp_gt_u32_e32 vcc, 62, v38
	v_add_u32_e32 v25, v25, v26
	v_add_u32_e32 v52, 8, v38
	v_cndmask_b32_e64 v26, 0, 2, vcc
	v_add_lshl_u32 v47, v26, v43, 2
	ds_bpermute_b32 v26, v47, v25
	v_cmp_le_u32_e32 vcc, v48, v23
	v_add_u32_e32 v54, 16, v38
	v_add_u32_e32 v56, 32, v38
	s_waitcnt lgkmcnt(0)
	v_cndmask_b32_e32 v26, 0, v26, vcc
	v_cmp_gt_u32_e32 vcc, 60, v38
	v_add_u32_e32 v25, v25, v26
	s_nop 0
	v_cndmask_b32_e64 v26, 0, 4, vcc
	v_add_lshl_u32 v49, v26, v43, 2
	ds_bpermute_b32 v26, v49, v25
	v_cmp_le_u32_e32 vcc, v50, v23
	s_waitcnt lgkmcnt(0)
	s_nop 0
	v_cndmask_b32_e32 v26, 0, v26, vcc
	v_cmp_gt_u32_e32 vcc, 56, v38
	v_add_u32_e32 v25, v25, v26
	s_nop 0
	v_cndmask_b32_e64 v26, 0, 8, vcc
	v_add_lshl_u32 v51, v26, v43, 2
	ds_bpermute_b32 v26, v51, v25
	v_cmp_le_u32_e32 vcc, v52, v23
	s_waitcnt lgkmcnt(0)
	s_nop 0
	;; [unrolled: 10-line block ×3, first 2 shown]
	v_cndmask_b32_e32 v26, 0, v26, vcc
	v_add_u32_e32 v25, v25, v26
	v_mov_b32_e32 v26, 0x80
	v_lshl_or_b32 v55, v43, 2, v26
	ds_bpermute_b32 v26, v55, v25
	v_cmp_le_u32_e32 vcc, v56, v23
	s_waitcnt lgkmcnt(0)
	s_nop 0
	v_cndmask_b32_e32 v23, 0, v26, vcc
	v_add_u32_e32 v26, v25, v23
	v_mov_b32_e32 v25, 0
	s_branch .LBB831_187
.LBB831_185:                            ;   in Loop: Header=BB831_187 Depth=1
	s_or_b64 exec, exec, s[26:27]
	v_cmp_eq_u16_sdwa s[26:27], v27, v36 src0_sel:BYTE_0 src1_sel:DWORD
	ds_bpermute_b32 v57, v46, v26
	v_subrev_u32_e32 v24, 64, v24
	v_and_b32_e32 v30, s27, v29
	v_or_b32_e32 v30, 0x80000000, v30
	v_and_b32_e32 v31, s26, v28
	v_ffbl_b32_e32 v30, v30
	v_add_u32_e32 v30, 32, v30
	v_ffbl_b32_e32 v31, v31
	v_min_u32_e32 v30, v31, v30
	v_cmp_lt_u32_e32 vcc, v38, v30
	s_mov_b64 s[26:27], 0
	s_waitcnt lgkmcnt(0)
	v_cndmask_b32_e32 v31, 0, v57, vcc
	v_add_u32_e32 v26, v31, v26
	ds_bpermute_b32 v31, v47, v26
	v_cmp_le_u32_e32 vcc, v48, v30
	s_waitcnt lgkmcnt(0)
	s_nop 0
	v_cndmask_b32_e32 v31, 0, v31, vcc
	v_add_u32_e32 v26, v26, v31
	ds_bpermute_b32 v31, v49, v26
	v_cmp_le_u32_e32 vcc, v50, v30
	s_waitcnt lgkmcnt(0)
	s_nop 0
	;; [unrolled: 6-line block ×5, first 2 shown]
	v_cndmask_b32_e32 v30, 0, v31, vcc
	v_add3_u32 v26, v30, v23, v26
.LBB831_186:                            ;   in Loop: Header=BB831_187 Depth=1
	s_and_b64 vcc, exec, s[26:27]
	s_cbranch_vccnz .LBB831_193
.LBB831_187:                            ; =>This Loop Header: Depth=1
                                        ;     Child Loop BB831_190 Depth 2
	v_cmp_ne_u16_sdwa s[26:27], v27, v36 src0_sel:BYTE_0 src1_sel:DWORD
	v_mov_b32_e32 v23, v26
	s_cmp_lg_u64 s[26:27], exec
	s_mov_b64 s[26:27], -1
                                        ; implicit-def: $vgpr26
                                        ; implicit-def: $vgpr27
	s_cbranch_scc1 .LBB831_186
; %bb.188:                              ;   in Loop: Header=BB831_187 Depth=1
	v_lshl_add_u64 v[30:31], v[24:25], 3, s[30:31]
	global_load_dwordx2 v[26:27], v[30:31], off sc1
	s_waitcnt vmcnt(0)
	v_cmp_eq_u16_sdwa s[28:29], v27, v25 src0_sel:BYTE_0 src1_sel:DWORD
	s_and_saveexec_b64 s[26:27], s[28:29]
	s_cbranch_execz .LBB831_185
; %bb.189:                              ;   in Loop: Header=BB831_187 Depth=1
	s_mov_b64 s[28:29], 0
.LBB831_190:                            ;   Parent Loop BB831_187 Depth=1
                                        ; =>  This Inner Loop Header: Depth=2
	global_load_dwordx2 v[26:27], v[30:31], off sc1
	s_waitcnt vmcnt(0)
	v_cmp_ne_u16_sdwa s[38:39], v27, v25 src0_sel:BYTE_0 src1_sel:DWORD
	s_or_b64 s[28:29], s[38:39], s[28:29]
	s_andn2_b64 exec, exec, s[28:29]
	s_cbranch_execnz .LBB831_190
; %bb.191:                              ;   in Loop: Header=BB831_187 Depth=1
	s_or_b64 exec, exec, s[28:29]
	s_branch .LBB831_185
.LBB831_192:
                                        ; implicit-def: $vgpr26
                                        ; implicit-def: $vgpr28
                                        ; implicit-def: $vgpr30
                                        ; implicit-def: $vgpr32
                                        ; implicit-def: $vgpr34
                                        ; implicit-def: $vgpr36
                                        ; implicit-def: $vgpr38
                                        ; implicit-def: $vgpr24
                                        ; implicit-def: $vgpr22
	s_cbranch_execnz .LBB831_198
	s_branch .LBB831_207
.LBB831_193:
	s_and_saveexec_b64 s[26:27], s[16:17]
	s_cbranch_execz .LBB831_195
; %bb.194:
	s_add_i32 s28, s33, 64
	s_mov_b32 s29, 0
	s_lshl_b64 s[28:29], s[28:29], 3
	s_add_u32 s28, s30, s28
	v_add_u32_e32 v24, v23, v22
	v_mov_b32_e32 v25, 2
	s_addc_u32 s29, s31, s29
	v_mov_b32_e32 v26, 0
	global_store_dwordx2 v26, v[24:25], s[28:29] sc1
	ds_write_b64 v26, v[22:23] offset:28672
.LBB831_195:
	s_or_b64 exec, exec, s[26:27]
	s_and_b64 exec, exec, s[18:19]
; %bb.196:
	v_mov_b32_e32 v22, 0
	ds_write_b32 v22, v23 offset:28
.LBB831_197:
	s_or_b64 exec, exec, s[0:1]
	v_mov_b32_e32 v22, 0
	s_waitcnt lgkmcnt(0)
	s_barrier
	ds_read_b32 v23, v22 offset:28
	v_cndmask_b32_e64 v24, v34, v32, s[16:17]
	v_cndmask_b32_e64 v24, v24, 0, s[18:19]
	s_waitcnt lgkmcnt(0)
	s_barrier
	v_add_u32_e32 v38, v23, v24
	v_add_u32_e32 v36, v38, v1
	ds_read_b64 v[22:23], v22 offset:28672
	v_add_u32_e32 v34, v36, v21
	v_add_u32_e32 v32, v34, v33
	;; [unrolled: 1-line block ×5, first 2 shown]
	s_waitcnt lgkmcnt(0)
	v_mov_b32_e32 v24, v23
	s_branch .LBB831_207
.LBB831_198:
	v_mov_b32_dpp v22, v45 row_shr:1 row_mask:0xf bank_mask:0xf
	v_cndmask_b32_e64 v22, v22, 0, s[14:15]
	v_add_u32_e32 v22, v22, v45
	s_nop 1
	v_mov_b32_dpp v23, v22 row_shr:2 row_mask:0xf bank_mask:0xf
	v_cndmask_b32_e64 v23, 0, v23, s[12:13]
	v_add_u32_e32 v22, v22, v23
	s_nop 1
	;; [unrolled: 4-line block ×4, first 2 shown]
	v_mov_b32_dpp v23, v22 row_bcast:15 row_mask:0xf bank_mask:0xf
	v_cndmask_b32_e64 v23, v23, 0, s[6:7]
	v_add_u32_e32 v22, v22, v23
	s_nop 1
	v_mov_b32_dpp v23, v22 row_bcast:31 row_mask:0xf bank_mask:0xf
	v_cndmask_b32_e64 v23, 0, v23, s[2:3]
	v_add_u32_e32 v22, v22, v23
	s_and_saveexec_b64 s[0:1], s[4:5]
; %bb.199:
	v_lshlrev_b32_e32 v23, 2, v44
	ds_write_b32 v23, v22
; %bb.200:
	s_or_b64 exec, exec, s[0:1]
	v_cmp_gt_u32_e32 vcc, 8, v0
	s_waitcnt lgkmcnt(0)
	s_barrier
	s_and_saveexec_b64 s[0:1], vcc
	s_cbranch_execz .LBB831_202
; %bb.201:
	v_lshlrev_b32_e32 v23, 2, v0
	ds_read_b32 v24, v23
	v_and_b32_e32 v25, 7, v43
	v_cmp_ne_u32_e32 vcc, 0, v25
	s_waitcnt lgkmcnt(0)
	v_mov_b32_dpp v26, v24 row_shr:1 row_mask:0xf bank_mask:0xf
	v_cndmask_b32_e32 v26, 0, v26, vcc
	v_add_u32_e32 v24, v26, v24
	v_cmp_lt_u32_e32 vcc, 1, v25
	s_nop 0
	v_mov_b32_dpp v26, v24 row_shr:2 row_mask:0xf bank_mask:0xf
	v_cndmask_b32_e32 v26, 0, v26, vcc
	v_add_u32_e32 v24, v24, v26
	v_cmp_lt_u32_e32 vcc, 3, v25
	s_nop 0
	v_mov_b32_dpp v26, v24 row_shr:4 row_mask:0xf bank_mask:0xf
	v_cndmask_b32_e32 v25, 0, v26, vcc
	v_add_u32_e32 v24, v24, v25
	ds_write_b32 v23, v24
.LBB831_202:
	s_or_b64 exec, exec, s[0:1]
	v_cmp_lt_u32_e32 vcc, 63, v0
	v_mov_b32_e32 v23, 0
	v_mov_b32_e32 v24, 0
	s_waitcnt lgkmcnt(0)
	s_barrier
	s_and_saveexec_b64 s[0:1], vcc
; %bb.203:
	v_lshl_add_u32 v24, v44, 2, -4
	ds_read_b32 v24, v24
; %bb.204:
	s_or_b64 exec, exec, s[0:1]
	v_subrev_co_u32_e32 v25, vcc, 1, v43
	v_and_b32_e32 v26, 64, v43
	v_cmp_lt_i32_e64 s[0:1], v25, v26
	s_waitcnt lgkmcnt(0)
	v_add_u32_e32 v22, v24, v22
	v_cndmask_b32_e64 v25, v25, v43, s[0:1]
	v_lshlrev_b32_e32 v25, 2, v25
	ds_bpermute_b32 v25, v25, v22
	ds_read_b32 v22, v23 offset:28
	s_and_saveexec_b64 s[0:1], s[18:19]
	s_cbranch_execz .LBB831_206
; %bb.205:
	v_mov_b32_e32 v26, 0
	v_mov_b32_e32 v23, 2
	s_waitcnt lgkmcnt(0)
	global_store_dwordx2 v26, v[22:23], s[30:31] offset:512 sc1
.LBB831_206:
	s_or_b64 exec, exec, s[0:1]
	s_waitcnt lgkmcnt(1)
	v_cndmask_b32_e32 v23, v25, v24, vcc
	v_cndmask_b32_e64 v38, v23, 0, s[18:19]
	v_add_u32_e32 v36, v38, v1
	v_add_u32_e32 v34, v36, v21
	;; [unrolled: 1-line block ×6, first 2 shown]
	s_waitcnt lgkmcnt(0)
	s_barrier
	v_mov_b32_e32 v24, 0
.LBB831_207:
	s_movk_i32 s0, 0x201
	v_cmp_gt_u32_e32 vcc, s0, v22
	v_and_b32_e32 v1, 1, v16
	s_mov_b64 s[2:3], -1
	v_cmp_eq_u32_e64 s[0:1], 1, v1
	s_cbranch_vccnz .LBB831_211
; %bb.208:
	s_and_b64 vcc, exec, s[2:3]
	s_cbranch_vccnz .LBB831_226
.LBB831_209:
	s_and_b64 s[0:1], s[18:19], s[24:25]
	s_and_saveexec_b64 s[2:3], s[0:1]
	s_cbranch_execnz .LBB831_243
.LBB831_210:
	s_endpgm
.LBB831_211:
	v_add_u32_e32 v16, v24, v22
	v_cmp_lt_u32_e32 vcc, v38, v16
	s_or_b64 s[2:3], s[36:37], vcc
	s_and_b64 s[2:3], s[2:3], s[0:1]
	s_and_saveexec_b64 s[0:1], s[2:3]
	s_cbranch_execz .LBB831_213
; %bb.212:
	s_lshl_b64 s[2:3], s[22:23], 3
	s_add_u32 s2, s34, s2
	s_addc_u32 s3, s35, s3
	v_mov_b32_e32 v39, 0
	v_lshl_add_u64 v[44:45], v[38:39], 3, s[2:3]
	global_store_dwordx2 v[44:45], v[10:11], off
.LBB831_213:
	s_or_b64 exec, exec, s[0:1]
	v_cmp_lt_u32_e32 vcc, v36, v16
	v_and_b32_e32 v21, 1, v42
	s_or_b64 s[0:1], s[36:37], vcc
	v_cmp_eq_u32_e32 vcc, 1, v21
	s_and_b64 s[2:3], s[0:1], vcc
	s_and_saveexec_b64 s[0:1], s[2:3]
	s_cbranch_execz .LBB831_215
; %bb.214:
	s_lshl_b64 s[2:3], s[22:23], 3
	s_add_u32 s2, s34, s2
	s_addc_u32 s3, s35, s3
	v_mov_b32_e32 v37, 0
	v_lshl_add_u64 v[44:45], v[36:37], 3, s[2:3]
	global_store_dwordx2 v[44:45], v[12:13], off
.LBB831_215:
	s_or_b64 exec, exec, s[0:1]
	v_cmp_lt_u32_e32 vcc, v34, v16
	v_and_b32_e32 v21, 1, v41
	s_or_b64 s[0:1], s[36:37], vcc
	v_cmp_eq_u32_e32 vcc, 1, v21
	s_and_b64 s[2:3], s[0:1], vcc
	;; [unrolled: 16-line block ×6, first 2 shown]
	s_and_saveexec_b64 s[0:1], s[2:3]
	s_cbranch_execz .LBB831_225
; %bb.224:
	s_lshl_b64 s[2:3], s[22:23], 3
	s_add_u32 s2, s34, s2
	s_addc_u32 s3, s35, s3
	v_mov_b32_e32 v27, 0
	v_lshl_add_u64 v[44:45], v[26:27], 3, s[2:3]
	global_store_dwordx2 v[44:45], v[14:15], off
.LBB831_225:
	s_or_b64 exec, exec, s[0:1]
	s_branch .LBB831_209
.LBB831_226:
	v_cmp_eq_u32_e32 vcc, 1, v1
	s_and_saveexec_b64 s[0:1], vcc
; %bb.227:
	v_sub_u32_e32 v1, v38, v24
	v_lshlrev_b32_e32 v1, 3, v1
	ds_write_b64 v1, v[10:11]
; %bb.228:
	s_or_b64 exec, exec, s[0:1]
	v_and_b32_e32 v1, 1, v42
	v_cmp_eq_u32_e32 vcc, 1, v1
	s_and_saveexec_b64 s[0:1], vcc
; %bb.229:
	v_sub_u32_e32 v1, v36, v24
	v_lshlrev_b32_e32 v1, 3, v1
	ds_write_b64 v1, v[12:13]
; %bb.230:
	s_or_b64 exec, exec, s[0:1]
	v_and_b32_e32 v1, 1, v41
	;; [unrolled: 9-line block ×6, first 2 shown]
	v_cmp_eq_u32_e32 vcc, 1, v1
	s_and_saveexec_b64 s[0:1], vcc
; %bb.239:
	v_sub_u32_e32 v1, v26, v24
	v_lshlrev_b32_e32 v1, 3, v1
	ds_write_b64 v1, v[14:15]
; %bb.240:
	s_or_b64 exec, exec, s[0:1]
	v_mov_b32_e32 v25, 0
	s_lshl_b64 s[0:1], s[22:23], 3
	v_lshlrev_b64 v[2:3], 3, v[24:25]
	v_lshl_add_u64 v[2:3], s[0:1], 0, v[2:3]
	v_mov_b32_e32 v19, v25
	v_lshl_add_u64 v[2:3], s[34:35], 0, v[2:3]
	v_lshl_add_u64 v[2:3], v[2:3], 0, v[18:19]
	s_mov_b64 s[0:1], 0
	s_mov_b64 s[2:3], 0x1000
	s_waitcnt lgkmcnt(0)
	s_barrier
.LBB831_241:                            ; =>This Inner Loop Header: Depth=1
	ds_read_b64 v[4:5], v18
	v_add_u32_e32 v0, 0x200, v0
	v_cmp_ge_u32_e32 vcc, v0, v22
	v_add_u32_e32 v18, 0x1000, v18
	s_or_b64 s[0:1], vcc, s[0:1]
	s_waitcnt lgkmcnt(0)
	global_store_dwordx2 v[2:3], v[4:5], off
	v_lshl_add_u64 v[2:3], v[2:3], 0, s[2:3]
	s_andn2_b64 exec, exec, s[0:1]
	s_cbranch_execnz .LBB831_241
; %bb.242:
	s_or_b64 exec, exec, s[0:1]
	s_and_b64 s[0:1], s[18:19], s[24:25]
	s_and_saveexec_b64 s[2:3], s[0:1]
	s_cbranch_execz .LBB831_210
.LBB831_243:
	v_mov_b32_e32 v23, 0
	v_lshl_add_u64 v[0:1], s[22:23], 0, v[22:23]
	v_mov_b32_e32 v25, v23
	v_lshl_add_u64 v[0:1], v[0:1], 0, v[24:25]
	global_store_dwordx2 v23, v[0:1], s[20:21]
	s_endpgm
	.section	.rodata,"a",@progbits
	.p2align	6, 0x0
	.amdhsa_kernel _ZN7rocprim17ROCPRIM_400000_NS6detail17trampoline_kernelINS0_14default_configENS1_25partition_config_selectorILNS1_17partition_subalgoE8ElNS0_10empty_typeEbEEZZNS1_14partition_implILS5_8ELb0ES3_jPlPS6_PKS6_NS0_5tupleIJS9_S6_EEENSD_IJSA_SA_EEENS0_18inequality_wrapperIZN2at6native12_GLOBAL__N_124unique_dim_cuda_templateIdEESt5tupleIJNSH_6TensorESM_SM_EERKSM_lbbbEUlllE0_EEPmJS6_EEE10hipError_tPvRmT3_T4_T5_T6_T7_T9_mT8_P12ihipStream_tbDpT10_ENKUlT_T0_E_clISt17integral_constantIbLb0EES1B_IbLb1EEEEDaS17_S18_EUlS17_E_NS1_11comp_targetILNS1_3genE0ELNS1_11target_archE4294967295ELNS1_3gpuE0ELNS1_3repE0EEENS1_30default_config_static_selectorELNS0_4arch9wavefront6targetE1EEEvT1_
		.amdhsa_group_segment_fixed_size 28680
		.amdhsa_private_segment_fixed_size 0
		.amdhsa_kernarg_size 136
		.amdhsa_user_sgpr_count 2
		.amdhsa_user_sgpr_dispatch_ptr 0
		.amdhsa_user_sgpr_queue_ptr 0
		.amdhsa_user_sgpr_kernarg_segment_ptr 1
		.amdhsa_user_sgpr_dispatch_id 0
		.amdhsa_user_sgpr_kernarg_preload_length 0
		.amdhsa_user_sgpr_kernarg_preload_offset 0
		.amdhsa_user_sgpr_private_segment_size 0
		.amdhsa_uses_dynamic_stack 0
		.amdhsa_enable_private_segment 0
		.amdhsa_system_sgpr_workgroup_id_x 1
		.amdhsa_system_sgpr_workgroup_id_y 0
		.amdhsa_system_sgpr_workgroup_id_z 0
		.amdhsa_system_sgpr_workgroup_info 0
		.amdhsa_system_vgpr_workitem_id 0
		.amdhsa_next_free_vgpr 58
		.amdhsa_next_free_sgpr 54
		.amdhsa_accum_offset 60
		.amdhsa_reserve_vcc 1
		.amdhsa_float_round_mode_32 0
		.amdhsa_float_round_mode_16_64 0
		.amdhsa_float_denorm_mode_32 3
		.amdhsa_float_denorm_mode_16_64 3
		.amdhsa_dx10_clamp 1
		.amdhsa_ieee_mode 1
		.amdhsa_fp16_overflow 0
		.amdhsa_tg_split 0
		.amdhsa_exception_fp_ieee_invalid_op 0
		.amdhsa_exception_fp_denorm_src 0
		.amdhsa_exception_fp_ieee_div_zero 0
		.amdhsa_exception_fp_ieee_overflow 0
		.amdhsa_exception_fp_ieee_underflow 0
		.amdhsa_exception_fp_ieee_inexact 0
		.amdhsa_exception_int_div_zero 0
	.end_amdhsa_kernel
	.section	.text._ZN7rocprim17ROCPRIM_400000_NS6detail17trampoline_kernelINS0_14default_configENS1_25partition_config_selectorILNS1_17partition_subalgoE8ElNS0_10empty_typeEbEEZZNS1_14partition_implILS5_8ELb0ES3_jPlPS6_PKS6_NS0_5tupleIJS9_S6_EEENSD_IJSA_SA_EEENS0_18inequality_wrapperIZN2at6native12_GLOBAL__N_124unique_dim_cuda_templateIdEESt5tupleIJNSH_6TensorESM_SM_EERKSM_lbbbEUlllE0_EEPmJS6_EEE10hipError_tPvRmT3_T4_T5_T6_T7_T9_mT8_P12ihipStream_tbDpT10_ENKUlT_T0_E_clISt17integral_constantIbLb0EES1B_IbLb1EEEEDaS17_S18_EUlS17_E_NS1_11comp_targetILNS1_3genE0ELNS1_11target_archE4294967295ELNS1_3gpuE0ELNS1_3repE0EEENS1_30default_config_static_selectorELNS0_4arch9wavefront6targetE1EEEvT1_,"axG",@progbits,_ZN7rocprim17ROCPRIM_400000_NS6detail17trampoline_kernelINS0_14default_configENS1_25partition_config_selectorILNS1_17partition_subalgoE8ElNS0_10empty_typeEbEEZZNS1_14partition_implILS5_8ELb0ES3_jPlPS6_PKS6_NS0_5tupleIJS9_S6_EEENSD_IJSA_SA_EEENS0_18inequality_wrapperIZN2at6native12_GLOBAL__N_124unique_dim_cuda_templateIdEESt5tupleIJNSH_6TensorESM_SM_EERKSM_lbbbEUlllE0_EEPmJS6_EEE10hipError_tPvRmT3_T4_T5_T6_T7_T9_mT8_P12ihipStream_tbDpT10_ENKUlT_T0_E_clISt17integral_constantIbLb0EES1B_IbLb1EEEEDaS17_S18_EUlS17_E_NS1_11comp_targetILNS1_3genE0ELNS1_11target_archE4294967295ELNS1_3gpuE0ELNS1_3repE0EEENS1_30default_config_static_selectorELNS0_4arch9wavefront6targetE1EEEvT1_,comdat
.Lfunc_end831:
	.size	_ZN7rocprim17ROCPRIM_400000_NS6detail17trampoline_kernelINS0_14default_configENS1_25partition_config_selectorILNS1_17partition_subalgoE8ElNS0_10empty_typeEbEEZZNS1_14partition_implILS5_8ELb0ES3_jPlPS6_PKS6_NS0_5tupleIJS9_S6_EEENSD_IJSA_SA_EEENS0_18inequality_wrapperIZN2at6native12_GLOBAL__N_124unique_dim_cuda_templateIdEESt5tupleIJNSH_6TensorESM_SM_EERKSM_lbbbEUlllE0_EEPmJS6_EEE10hipError_tPvRmT3_T4_T5_T6_T7_T9_mT8_P12ihipStream_tbDpT10_ENKUlT_T0_E_clISt17integral_constantIbLb0EES1B_IbLb1EEEEDaS17_S18_EUlS17_E_NS1_11comp_targetILNS1_3genE0ELNS1_11target_archE4294967295ELNS1_3gpuE0ELNS1_3repE0EEENS1_30default_config_static_selectorELNS0_4arch9wavefront6targetE1EEEvT1_, .Lfunc_end831-_ZN7rocprim17ROCPRIM_400000_NS6detail17trampoline_kernelINS0_14default_configENS1_25partition_config_selectorILNS1_17partition_subalgoE8ElNS0_10empty_typeEbEEZZNS1_14partition_implILS5_8ELb0ES3_jPlPS6_PKS6_NS0_5tupleIJS9_S6_EEENSD_IJSA_SA_EEENS0_18inequality_wrapperIZN2at6native12_GLOBAL__N_124unique_dim_cuda_templateIdEESt5tupleIJNSH_6TensorESM_SM_EERKSM_lbbbEUlllE0_EEPmJS6_EEE10hipError_tPvRmT3_T4_T5_T6_T7_T9_mT8_P12ihipStream_tbDpT10_ENKUlT_T0_E_clISt17integral_constantIbLb0EES1B_IbLb1EEEEDaS17_S18_EUlS17_E_NS1_11comp_targetILNS1_3genE0ELNS1_11target_archE4294967295ELNS1_3gpuE0ELNS1_3repE0EEENS1_30default_config_static_selectorELNS0_4arch9wavefront6targetE1EEEvT1_
                                        ; -- End function
	.set _ZN7rocprim17ROCPRIM_400000_NS6detail17trampoline_kernelINS0_14default_configENS1_25partition_config_selectorILNS1_17partition_subalgoE8ElNS0_10empty_typeEbEEZZNS1_14partition_implILS5_8ELb0ES3_jPlPS6_PKS6_NS0_5tupleIJS9_S6_EEENSD_IJSA_SA_EEENS0_18inequality_wrapperIZN2at6native12_GLOBAL__N_124unique_dim_cuda_templateIdEESt5tupleIJNSH_6TensorESM_SM_EERKSM_lbbbEUlllE0_EEPmJS6_EEE10hipError_tPvRmT3_T4_T5_T6_T7_T9_mT8_P12ihipStream_tbDpT10_ENKUlT_T0_E_clISt17integral_constantIbLb0EES1B_IbLb1EEEEDaS17_S18_EUlS17_E_NS1_11comp_targetILNS1_3genE0ELNS1_11target_archE4294967295ELNS1_3gpuE0ELNS1_3repE0EEENS1_30default_config_static_selectorELNS0_4arch9wavefront6targetE1EEEvT1_.num_vgpr, 58
	.set _ZN7rocprim17ROCPRIM_400000_NS6detail17trampoline_kernelINS0_14default_configENS1_25partition_config_selectorILNS1_17partition_subalgoE8ElNS0_10empty_typeEbEEZZNS1_14partition_implILS5_8ELb0ES3_jPlPS6_PKS6_NS0_5tupleIJS9_S6_EEENSD_IJSA_SA_EEENS0_18inequality_wrapperIZN2at6native12_GLOBAL__N_124unique_dim_cuda_templateIdEESt5tupleIJNSH_6TensorESM_SM_EERKSM_lbbbEUlllE0_EEPmJS6_EEE10hipError_tPvRmT3_T4_T5_T6_T7_T9_mT8_P12ihipStream_tbDpT10_ENKUlT_T0_E_clISt17integral_constantIbLb0EES1B_IbLb1EEEEDaS17_S18_EUlS17_E_NS1_11comp_targetILNS1_3genE0ELNS1_11target_archE4294967295ELNS1_3gpuE0ELNS1_3repE0EEENS1_30default_config_static_selectorELNS0_4arch9wavefront6targetE1EEEvT1_.num_agpr, 0
	.set _ZN7rocprim17ROCPRIM_400000_NS6detail17trampoline_kernelINS0_14default_configENS1_25partition_config_selectorILNS1_17partition_subalgoE8ElNS0_10empty_typeEbEEZZNS1_14partition_implILS5_8ELb0ES3_jPlPS6_PKS6_NS0_5tupleIJS9_S6_EEENSD_IJSA_SA_EEENS0_18inequality_wrapperIZN2at6native12_GLOBAL__N_124unique_dim_cuda_templateIdEESt5tupleIJNSH_6TensorESM_SM_EERKSM_lbbbEUlllE0_EEPmJS6_EEE10hipError_tPvRmT3_T4_T5_T6_T7_T9_mT8_P12ihipStream_tbDpT10_ENKUlT_T0_E_clISt17integral_constantIbLb0EES1B_IbLb1EEEEDaS17_S18_EUlS17_E_NS1_11comp_targetILNS1_3genE0ELNS1_11target_archE4294967295ELNS1_3gpuE0ELNS1_3repE0EEENS1_30default_config_static_selectorELNS0_4arch9wavefront6targetE1EEEvT1_.numbered_sgpr, 54
	.set _ZN7rocprim17ROCPRIM_400000_NS6detail17trampoline_kernelINS0_14default_configENS1_25partition_config_selectorILNS1_17partition_subalgoE8ElNS0_10empty_typeEbEEZZNS1_14partition_implILS5_8ELb0ES3_jPlPS6_PKS6_NS0_5tupleIJS9_S6_EEENSD_IJSA_SA_EEENS0_18inequality_wrapperIZN2at6native12_GLOBAL__N_124unique_dim_cuda_templateIdEESt5tupleIJNSH_6TensorESM_SM_EERKSM_lbbbEUlllE0_EEPmJS6_EEE10hipError_tPvRmT3_T4_T5_T6_T7_T9_mT8_P12ihipStream_tbDpT10_ENKUlT_T0_E_clISt17integral_constantIbLb0EES1B_IbLb1EEEEDaS17_S18_EUlS17_E_NS1_11comp_targetILNS1_3genE0ELNS1_11target_archE4294967295ELNS1_3gpuE0ELNS1_3repE0EEENS1_30default_config_static_selectorELNS0_4arch9wavefront6targetE1EEEvT1_.num_named_barrier, 0
	.set _ZN7rocprim17ROCPRIM_400000_NS6detail17trampoline_kernelINS0_14default_configENS1_25partition_config_selectorILNS1_17partition_subalgoE8ElNS0_10empty_typeEbEEZZNS1_14partition_implILS5_8ELb0ES3_jPlPS6_PKS6_NS0_5tupleIJS9_S6_EEENSD_IJSA_SA_EEENS0_18inequality_wrapperIZN2at6native12_GLOBAL__N_124unique_dim_cuda_templateIdEESt5tupleIJNSH_6TensorESM_SM_EERKSM_lbbbEUlllE0_EEPmJS6_EEE10hipError_tPvRmT3_T4_T5_T6_T7_T9_mT8_P12ihipStream_tbDpT10_ENKUlT_T0_E_clISt17integral_constantIbLb0EES1B_IbLb1EEEEDaS17_S18_EUlS17_E_NS1_11comp_targetILNS1_3genE0ELNS1_11target_archE4294967295ELNS1_3gpuE0ELNS1_3repE0EEENS1_30default_config_static_selectorELNS0_4arch9wavefront6targetE1EEEvT1_.private_seg_size, 0
	.set _ZN7rocprim17ROCPRIM_400000_NS6detail17trampoline_kernelINS0_14default_configENS1_25partition_config_selectorILNS1_17partition_subalgoE8ElNS0_10empty_typeEbEEZZNS1_14partition_implILS5_8ELb0ES3_jPlPS6_PKS6_NS0_5tupleIJS9_S6_EEENSD_IJSA_SA_EEENS0_18inequality_wrapperIZN2at6native12_GLOBAL__N_124unique_dim_cuda_templateIdEESt5tupleIJNSH_6TensorESM_SM_EERKSM_lbbbEUlllE0_EEPmJS6_EEE10hipError_tPvRmT3_T4_T5_T6_T7_T9_mT8_P12ihipStream_tbDpT10_ENKUlT_T0_E_clISt17integral_constantIbLb0EES1B_IbLb1EEEEDaS17_S18_EUlS17_E_NS1_11comp_targetILNS1_3genE0ELNS1_11target_archE4294967295ELNS1_3gpuE0ELNS1_3repE0EEENS1_30default_config_static_selectorELNS0_4arch9wavefront6targetE1EEEvT1_.uses_vcc, 1
	.set _ZN7rocprim17ROCPRIM_400000_NS6detail17trampoline_kernelINS0_14default_configENS1_25partition_config_selectorILNS1_17partition_subalgoE8ElNS0_10empty_typeEbEEZZNS1_14partition_implILS5_8ELb0ES3_jPlPS6_PKS6_NS0_5tupleIJS9_S6_EEENSD_IJSA_SA_EEENS0_18inequality_wrapperIZN2at6native12_GLOBAL__N_124unique_dim_cuda_templateIdEESt5tupleIJNSH_6TensorESM_SM_EERKSM_lbbbEUlllE0_EEPmJS6_EEE10hipError_tPvRmT3_T4_T5_T6_T7_T9_mT8_P12ihipStream_tbDpT10_ENKUlT_T0_E_clISt17integral_constantIbLb0EES1B_IbLb1EEEEDaS17_S18_EUlS17_E_NS1_11comp_targetILNS1_3genE0ELNS1_11target_archE4294967295ELNS1_3gpuE0ELNS1_3repE0EEENS1_30default_config_static_selectorELNS0_4arch9wavefront6targetE1EEEvT1_.uses_flat_scratch, 0
	.set _ZN7rocprim17ROCPRIM_400000_NS6detail17trampoline_kernelINS0_14default_configENS1_25partition_config_selectorILNS1_17partition_subalgoE8ElNS0_10empty_typeEbEEZZNS1_14partition_implILS5_8ELb0ES3_jPlPS6_PKS6_NS0_5tupleIJS9_S6_EEENSD_IJSA_SA_EEENS0_18inequality_wrapperIZN2at6native12_GLOBAL__N_124unique_dim_cuda_templateIdEESt5tupleIJNSH_6TensorESM_SM_EERKSM_lbbbEUlllE0_EEPmJS6_EEE10hipError_tPvRmT3_T4_T5_T6_T7_T9_mT8_P12ihipStream_tbDpT10_ENKUlT_T0_E_clISt17integral_constantIbLb0EES1B_IbLb1EEEEDaS17_S18_EUlS17_E_NS1_11comp_targetILNS1_3genE0ELNS1_11target_archE4294967295ELNS1_3gpuE0ELNS1_3repE0EEENS1_30default_config_static_selectorELNS0_4arch9wavefront6targetE1EEEvT1_.has_dyn_sized_stack, 0
	.set _ZN7rocprim17ROCPRIM_400000_NS6detail17trampoline_kernelINS0_14default_configENS1_25partition_config_selectorILNS1_17partition_subalgoE8ElNS0_10empty_typeEbEEZZNS1_14partition_implILS5_8ELb0ES3_jPlPS6_PKS6_NS0_5tupleIJS9_S6_EEENSD_IJSA_SA_EEENS0_18inequality_wrapperIZN2at6native12_GLOBAL__N_124unique_dim_cuda_templateIdEESt5tupleIJNSH_6TensorESM_SM_EERKSM_lbbbEUlllE0_EEPmJS6_EEE10hipError_tPvRmT3_T4_T5_T6_T7_T9_mT8_P12ihipStream_tbDpT10_ENKUlT_T0_E_clISt17integral_constantIbLb0EES1B_IbLb1EEEEDaS17_S18_EUlS17_E_NS1_11comp_targetILNS1_3genE0ELNS1_11target_archE4294967295ELNS1_3gpuE0ELNS1_3repE0EEENS1_30default_config_static_selectorELNS0_4arch9wavefront6targetE1EEEvT1_.has_recursion, 0
	.set _ZN7rocprim17ROCPRIM_400000_NS6detail17trampoline_kernelINS0_14default_configENS1_25partition_config_selectorILNS1_17partition_subalgoE8ElNS0_10empty_typeEbEEZZNS1_14partition_implILS5_8ELb0ES3_jPlPS6_PKS6_NS0_5tupleIJS9_S6_EEENSD_IJSA_SA_EEENS0_18inequality_wrapperIZN2at6native12_GLOBAL__N_124unique_dim_cuda_templateIdEESt5tupleIJNSH_6TensorESM_SM_EERKSM_lbbbEUlllE0_EEPmJS6_EEE10hipError_tPvRmT3_T4_T5_T6_T7_T9_mT8_P12ihipStream_tbDpT10_ENKUlT_T0_E_clISt17integral_constantIbLb0EES1B_IbLb1EEEEDaS17_S18_EUlS17_E_NS1_11comp_targetILNS1_3genE0ELNS1_11target_archE4294967295ELNS1_3gpuE0ELNS1_3repE0EEENS1_30default_config_static_selectorELNS0_4arch9wavefront6targetE1EEEvT1_.has_indirect_call, 0
	.section	.AMDGPU.csdata,"",@progbits
; Kernel info:
; codeLenInByte = 11008
; TotalNumSgprs: 60
; NumVgprs: 58
; NumAgprs: 0
; TotalNumVgprs: 58
; ScratchSize: 0
; MemoryBound: 0
; FloatMode: 240
; IeeeMode: 1
; LDSByteSize: 28680 bytes/workgroup (compile time only)
; SGPRBlocks: 7
; VGPRBlocks: 7
; NumSGPRsForWavesPerEU: 60
; NumVGPRsForWavesPerEU: 58
; AccumOffset: 60
; Occupancy: 8
; WaveLimiterHint : 1
; COMPUTE_PGM_RSRC2:SCRATCH_EN: 0
; COMPUTE_PGM_RSRC2:USER_SGPR: 2
; COMPUTE_PGM_RSRC2:TRAP_HANDLER: 0
; COMPUTE_PGM_RSRC2:TGID_X_EN: 1
; COMPUTE_PGM_RSRC2:TGID_Y_EN: 0
; COMPUTE_PGM_RSRC2:TGID_Z_EN: 0
; COMPUTE_PGM_RSRC2:TIDIG_COMP_CNT: 0
; COMPUTE_PGM_RSRC3_GFX90A:ACCUM_OFFSET: 14
; COMPUTE_PGM_RSRC3_GFX90A:TG_SPLIT: 0
	.section	.text._ZN7rocprim17ROCPRIM_400000_NS6detail17trampoline_kernelINS0_14default_configENS1_25partition_config_selectorILNS1_17partition_subalgoE8ElNS0_10empty_typeEbEEZZNS1_14partition_implILS5_8ELb0ES3_jPlPS6_PKS6_NS0_5tupleIJS9_S6_EEENSD_IJSA_SA_EEENS0_18inequality_wrapperIZN2at6native12_GLOBAL__N_124unique_dim_cuda_templateIdEESt5tupleIJNSH_6TensorESM_SM_EERKSM_lbbbEUlllE0_EEPmJS6_EEE10hipError_tPvRmT3_T4_T5_T6_T7_T9_mT8_P12ihipStream_tbDpT10_ENKUlT_T0_E_clISt17integral_constantIbLb0EES1B_IbLb1EEEEDaS17_S18_EUlS17_E_NS1_11comp_targetILNS1_3genE5ELNS1_11target_archE942ELNS1_3gpuE9ELNS1_3repE0EEENS1_30default_config_static_selectorELNS0_4arch9wavefront6targetE1EEEvT1_,"axG",@progbits,_ZN7rocprim17ROCPRIM_400000_NS6detail17trampoline_kernelINS0_14default_configENS1_25partition_config_selectorILNS1_17partition_subalgoE8ElNS0_10empty_typeEbEEZZNS1_14partition_implILS5_8ELb0ES3_jPlPS6_PKS6_NS0_5tupleIJS9_S6_EEENSD_IJSA_SA_EEENS0_18inequality_wrapperIZN2at6native12_GLOBAL__N_124unique_dim_cuda_templateIdEESt5tupleIJNSH_6TensorESM_SM_EERKSM_lbbbEUlllE0_EEPmJS6_EEE10hipError_tPvRmT3_T4_T5_T6_T7_T9_mT8_P12ihipStream_tbDpT10_ENKUlT_T0_E_clISt17integral_constantIbLb0EES1B_IbLb1EEEEDaS17_S18_EUlS17_E_NS1_11comp_targetILNS1_3genE5ELNS1_11target_archE942ELNS1_3gpuE9ELNS1_3repE0EEENS1_30default_config_static_selectorELNS0_4arch9wavefront6targetE1EEEvT1_,comdat
	.globl	_ZN7rocprim17ROCPRIM_400000_NS6detail17trampoline_kernelINS0_14default_configENS1_25partition_config_selectorILNS1_17partition_subalgoE8ElNS0_10empty_typeEbEEZZNS1_14partition_implILS5_8ELb0ES3_jPlPS6_PKS6_NS0_5tupleIJS9_S6_EEENSD_IJSA_SA_EEENS0_18inequality_wrapperIZN2at6native12_GLOBAL__N_124unique_dim_cuda_templateIdEESt5tupleIJNSH_6TensorESM_SM_EERKSM_lbbbEUlllE0_EEPmJS6_EEE10hipError_tPvRmT3_T4_T5_T6_T7_T9_mT8_P12ihipStream_tbDpT10_ENKUlT_T0_E_clISt17integral_constantIbLb0EES1B_IbLb1EEEEDaS17_S18_EUlS17_E_NS1_11comp_targetILNS1_3genE5ELNS1_11target_archE942ELNS1_3gpuE9ELNS1_3repE0EEENS1_30default_config_static_selectorELNS0_4arch9wavefront6targetE1EEEvT1_ ; -- Begin function _ZN7rocprim17ROCPRIM_400000_NS6detail17trampoline_kernelINS0_14default_configENS1_25partition_config_selectorILNS1_17partition_subalgoE8ElNS0_10empty_typeEbEEZZNS1_14partition_implILS5_8ELb0ES3_jPlPS6_PKS6_NS0_5tupleIJS9_S6_EEENSD_IJSA_SA_EEENS0_18inequality_wrapperIZN2at6native12_GLOBAL__N_124unique_dim_cuda_templateIdEESt5tupleIJNSH_6TensorESM_SM_EERKSM_lbbbEUlllE0_EEPmJS6_EEE10hipError_tPvRmT3_T4_T5_T6_T7_T9_mT8_P12ihipStream_tbDpT10_ENKUlT_T0_E_clISt17integral_constantIbLb0EES1B_IbLb1EEEEDaS17_S18_EUlS17_E_NS1_11comp_targetILNS1_3genE5ELNS1_11target_archE942ELNS1_3gpuE9ELNS1_3repE0EEENS1_30default_config_static_selectorELNS0_4arch9wavefront6targetE1EEEvT1_
	.p2align	8
	.type	_ZN7rocprim17ROCPRIM_400000_NS6detail17trampoline_kernelINS0_14default_configENS1_25partition_config_selectorILNS1_17partition_subalgoE8ElNS0_10empty_typeEbEEZZNS1_14partition_implILS5_8ELb0ES3_jPlPS6_PKS6_NS0_5tupleIJS9_S6_EEENSD_IJSA_SA_EEENS0_18inequality_wrapperIZN2at6native12_GLOBAL__N_124unique_dim_cuda_templateIdEESt5tupleIJNSH_6TensorESM_SM_EERKSM_lbbbEUlllE0_EEPmJS6_EEE10hipError_tPvRmT3_T4_T5_T6_T7_T9_mT8_P12ihipStream_tbDpT10_ENKUlT_T0_E_clISt17integral_constantIbLb0EES1B_IbLb1EEEEDaS17_S18_EUlS17_E_NS1_11comp_targetILNS1_3genE5ELNS1_11target_archE942ELNS1_3gpuE9ELNS1_3repE0EEENS1_30default_config_static_selectorELNS0_4arch9wavefront6targetE1EEEvT1_,@function
_ZN7rocprim17ROCPRIM_400000_NS6detail17trampoline_kernelINS0_14default_configENS1_25partition_config_selectorILNS1_17partition_subalgoE8ElNS0_10empty_typeEbEEZZNS1_14partition_implILS5_8ELb0ES3_jPlPS6_PKS6_NS0_5tupleIJS9_S6_EEENSD_IJSA_SA_EEENS0_18inequality_wrapperIZN2at6native12_GLOBAL__N_124unique_dim_cuda_templateIdEESt5tupleIJNSH_6TensorESM_SM_EERKSM_lbbbEUlllE0_EEPmJS6_EEE10hipError_tPvRmT3_T4_T5_T6_T7_T9_mT8_P12ihipStream_tbDpT10_ENKUlT_T0_E_clISt17integral_constantIbLb0EES1B_IbLb1EEEEDaS17_S18_EUlS17_E_NS1_11comp_targetILNS1_3genE5ELNS1_11target_archE942ELNS1_3gpuE9ELNS1_3repE0EEENS1_30default_config_static_selectorELNS0_4arch9wavefront6targetE1EEEvT1_: ; @_ZN7rocprim17ROCPRIM_400000_NS6detail17trampoline_kernelINS0_14default_configENS1_25partition_config_selectorILNS1_17partition_subalgoE8ElNS0_10empty_typeEbEEZZNS1_14partition_implILS5_8ELb0ES3_jPlPS6_PKS6_NS0_5tupleIJS9_S6_EEENSD_IJSA_SA_EEENS0_18inequality_wrapperIZN2at6native12_GLOBAL__N_124unique_dim_cuda_templateIdEESt5tupleIJNSH_6TensorESM_SM_EERKSM_lbbbEUlllE0_EEPmJS6_EEE10hipError_tPvRmT3_T4_T5_T6_T7_T9_mT8_P12ihipStream_tbDpT10_ENKUlT_T0_E_clISt17integral_constantIbLb0EES1B_IbLb1EEEEDaS17_S18_EUlS17_E_NS1_11comp_targetILNS1_3genE5ELNS1_11target_archE942ELNS1_3gpuE9ELNS1_3repE0EEENS1_30default_config_static_selectorELNS0_4arch9wavefront6targetE1EEEvT1_
; %bb.0:
	.section	.rodata,"a",@progbits
	.p2align	6, 0x0
	.amdhsa_kernel _ZN7rocprim17ROCPRIM_400000_NS6detail17trampoline_kernelINS0_14default_configENS1_25partition_config_selectorILNS1_17partition_subalgoE8ElNS0_10empty_typeEbEEZZNS1_14partition_implILS5_8ELb0ES3_jPlPS6_PKS6_NS0_5tupleIJS9_S6_EEENSD_IJSA_SA_EEENS0_18inequality_wrapperIZN2at6native12_GLOBAL__N_124unique_dim_cuda_templateIdEESt5tupleIJNSH_6TensorESM_SM_EERKSM_lbbbEUlllE0_EEPmJS6_EEE10hipError_tPvRmT3_T4_T5_T6_T7_T9_mT8_P12ihipStream_tbDpT10_ENKUlT_T0_E_clISt17integral_constantIbLb0EES1B_IbLb1EEEEDaS17_S18_EUlS17_E_NS1_11comp_targetILNS1_3genE5ELNS1_11target_archE942ELNS1_3gpuE9ELNS1_3repE0EEENS1_30default_config_static_selectorELNS0_4arch9wavefront6targetE1EEEvT1_
		.amdhsa_group_segment_fixed_size 0
		.amdhsa_private_segment_fixed_size 0
		.amdhsa_kernarg_size 136
		.amdhsa_user_sgpr_count 2
		.amdhsa_user_sgpr_dispatch_ptr 0
		.amdhsa_user_sgpr_queue_ptr 0
		.amdhsa_user_sgpr_kernarg_segment_ptr 1
		.amdhsa_user_sgpr_dispatch_id 0
		.amdhsa_user_sgpr_kernarg_preload_length 0
		.amdhsa_user_sgpr_kernarg_preload_offset 0
		.amdhsa_user_sgpr_private_segment_size 0
		.amdhsa_uses_dynamic_stack 0
		.amdhsa_enable_private_segment 0
		.amdhsa_system_sgpr_workgroup_id_x 1
		.amdhsa_system_sgpr_workgroup_id_y 0
		.amdhsa_system_sgpr_workgroup_id_z 0
		.amdhsa_system_sgpr_workgroup_info 0
		.amdhsa_system_vgpr_workitem_id 0
		.amdhsa_next_free_vgpr 1
		.amdhsa_next_free_sgpr 0
		.amdhsa_accum_offset 4
		.amdhsa_reserve_vcc 0
		.amdhsa_float_round_mode_32 0
		.amdhsa_float_round_mode_16_64 0
		.amdhsa_float_denorm_mode_32 3
		.amdhsa_float_denorm_mode_16_64 3
		.amdhsa_dx10_clamp 1
		.amdhsa_ieee_mode 1
		.amdhsa_fp16_overflow 0
		.amdhsa_tg_split 0
		.amdhsa_exception_fp_ieee_invalid_op 0
		.amdhsa_exception_fp_denorm_src 0
		.amdhsa_exception_fp_ieee_div_zero 0
		.amdhsa_exception_fp_ieee_overflow 0
		.amdhsa_exception_fp_ieee_underflow 0
		.amdhsa_exception_fp_ieee_inexact 0
		.amdhsa_exception_int_div_zero 0
	.end_amdhsa_kernel
	.section	.text._ZN7rocprim17ROCPRIM_400000_NS6detail17trampoline_kernelINS0_14default_configENS1_25partition_config_selectorILNS1_17partition_subalgoE8ElNS0_10empty_typeEbEEZZNS1_14partition_implILS5_8ELb0ES3_jPlPS6_PKS6_NS0_5tupleIJS9_S6_EEENSD_IJSA_SA_EEENS0_18inequality_wrapperIZN2at6native12_GLOBAL__N_124unique_dim_cuda_templateIdEESt5tupleIJNSH_6TensorESM_SM_EERKSM_lbbbEUlllE0_EEPmJS6_EEE10hipError_tPvRmT3_T4_T5_T6_T7_T9_mT8_P12ihipStream_tbDpT10_ENKUlT_T0_E_clISt17integral_constantIbLb0EES1B_IbLb1EEEEDaS17_S18_EUlS17_E_NS1_11comp_targetILNS1_3genE5ELNS1_11target_archE942ELNS1_3gpuE9ELNS1_3repE0EEENS1_30default_config_static_selectorELNS0_4arch9wavefront6targetE1EEEvT1_,"axG",@progbits,_ZN7rocprim17ROCPRIM_400000_NS6detail17trampoline_kernelINS0_14default_configENS1_25partition_config_selectorILNS1_17partition_subalgoE8ElNS0_10empty_typeEbEEZZNS1_14partition_implILS5_8ELb0ES3_jPlPS6_PKS6_NS0_5tupleIJS9_S6_EEENSD_IJSA_SA_EEENS0_18inequality_wrapperIZN2at6native12_GLOBAL__N_124unique_dim_cuda_templateIdEESt5tupleIJNSH_6TensorESM_SM_EERKSM_lbbbEUlllE0_EEPmJS6_EEE10hipError_tPvRmT3_T4_T5_T6_T7_T9_mT8_P12ihipStream_tbDpT10_ENKUlT_T0_E_clISt17integral_constantIbLb0EES1B_IbLb1EEEEDaS17_S18_EUlS17_E_NS1_11comp_targetILNS1_3genE5ELNS1_11target_archE942ELNS1_3gpuE9ELNS1_3repE0EEENS1_30default_config_static_selectorELNS0_4arch9wavefront6targetE1EEEvT1_,comdat
.Lfunc_end832:
	.size	_ZN7rocprim17ROCPRIM_400000_NS6detail17trampoline_kernelINS0_14default_configENS1_25partition_config_selectorILNS1_17partition_subalgoE8ElNS0_10empty_typeEbEEZZNS1_14partition_implILS5_8ELb0ES3_jPlPS6_PKS6_NS0_5tupleIJS9_S6_EEENSD_IJSA_SA_EEENS0_18inequality_wrapperIZN2at6native12_GLOBAL__N_124unique_dim_cuda_templateIdEESt5tupleIJNSH_6TensorESM_SM_EERKSM_lbbbEUlllE0_EEPmJS6_EEE10hipError_tPvRmT3_T4_T5_T6_T7_T9_mT8_P12ihipStream_tbDpT10_ENKUlT_T0_E_clISt17integral_constantIbLb0EES1B_IbLb1EEEEDaS17_S18_EUlS17_E_NS1_11comp_targetILNS1_3genE5ELNS1_11target_archE942ELNS1_3gpuE9ELNS1_3repE0EEENS1_30default_config_static_selectorELNS0_4arch9wavefront6targetE1EEEvT1_, .Lfunc_end832-_ZN7rocprim17ROCPRIM_400000_NS6detail17trampoline_kernelINS0_14default_configENS1_25partition_config_selectorILNS1_17partition_subalgoE8ElNS0_10empty_typeEbEEZZNS1_14partition_implILS5_8ELb0ES3_jPlPS6_PKS6_NS0_5tupleIJS9_S6_EEENSD_IJSA_SA_EEENS0_18inequality_wrapperIZN2at6native12_GLOBAL__N_124unique_dim_cuda_templateIdEESt5tupleIJNSH_6TensorESM_SM_EERKSM_lbbbEUlllE0_EEPmJS6_EEE10hipError_tPvRmT3_T4_T5_T6_T7_T9_mT8_P12ihipStream_tbDpT10_ENKUlT_T0_E_clISt17integral_constantIbLb0EES1B_IbLb1EEEEDaS17_S18_EUlS17_E_NS1_11comp_targetILNS1_3genE5ELNS1_11target_archE942ELNS1_3gpuE9ELNS1_3repE0EEENS1_30default_config_static_selectorELNS0_4arch9wavefront6targetE1EEEvT1_
                                        ; -- End function
	.set _ZN7rocprim17ROCPRIM_400000_NS6detail17trampoline_kernelINS0_14default_configENS1_25partition_config_selectorILNS1_17partition_subalgoE8ElNS0_10empty_typeEbEEZZNS1_14partition_implILS5_8ELb0ES3_jPlPS6_PKS6_NS0_5tupleIJS9_S6_EEENSD_IJSA_SA_EEENS0_18inequality_wrapperIZN2at6native12_GLOBAL__N_124unique_dim_cuda_templateIdEESt5tupleIJNSH_6TensorESM_SM_EERKSM_lbbbEUlllE0_EEPmJS6_EEE10hipError_tPvRmT3_T4_T5_T6_T7_T9_mT8_P12ihipStream_tbDpT10_ENKUlT_T0_E_clISt17integral_constantIbLb0EES1B_IbLb1EEEEDaS17_S18_EUlS17_E_NS1_11comp_targetILNS1_3genE5ELNS1_11target_archE942ELNS1_3gpuE9ELNS1_3repE0EEENS1_30default_config_static_selectorELNS0_4arch9wavefront6targetE1EEEvT1_.num_vgpr, 0
	.set _ZN7rocprim17ROCPRIM_400000_NS6detail17trampoline_kernelINS0_14default_configENS1_25partition_config_selectorILNS1_17partition_subalgoE8ElNS0_10empty_typeEbEEZZNS1_14partition_implILS5_8ELb0ES3_jPlPS6_PKS6_NS0_5tupleIJS9_S6_EEENSD_IJSA_SA_EEENS0_18inequality_wrapperIZN2at6native12_GLOBAL__N_124unique_dim_cuda_templateIdEESt5tupleIJNSH_6TensorESM_SM_EERKSM_lbbbEUlllE0_EEPmJS6_EEE10hipError_tPvRmT3_T4_T5_T6_T7_T9_mT8_P12ihipStream_tbDpT10_ENKUlT_T0_E_clISt17integral_constantIbLb0EES1B_IbLb1EEEEDaS17_S18_EUlS17_E_NS1_11comp_targetILNS1_3genE5ELNS1_11target_archE942ELNS1_3gpuE9ELNS1_3repE0EEENS1_30default_config_static_selectorELNS0_4arch9wavefront6targetE1EEEvT1_.num_agpr, 0
	.set _ZN7rocprim17ROCPRIM_400000_NS6detail17trampoline_kernelINS0_14default_configENS1_25partition_config_selectorILNS1_17partition_subalgoE8ElNS0_10empty_typeEbEEZZNS1_14partition_implILS5_8ELb0ES3_jPlPS6_PKS6_NS0_5tupleIJS9_S6_EEENSD_IJSA_SA_EEENS0_18inequality_wrapperIZN2at6native12_GLOBAL__N_124unique_dim_cuda_templateIdEESt5tupleIJNSH_6TensorESM_SM_EERKSM_lbbbEUlllE0_EEPmJS6_EEE10hipError_tPvRmT3_T4_T5_T6_T7_T9_mT8_P12ihipStream_tbDpT10_ENKUlT_T0_E_clISt17integral_constantIbLb0EES1B_IbLb1EEEEDaS17_S18_EUlS17_E_NS1_11comp_targetILNS1_3genE5ELNS1_11target_archE942ELNS1_3gpuE9ELNS1_3repE0EEENS1_30default_config_static_selectorELNS0_4arch9wavefront6targetE1EEEvT1_.numbered_sgpr, 0
	.set _ZN7rocprim17ROCPRIM_400000_NS6detail17trampoline_kernelINS0_14default_configENS1_25partition_config_selectorILNS1_17partition_subalgoE8ElNS0_10empty_typeEbEEZZNS1_14partition_implILS5_8ELb0ES3_jPlPS6_PKS6_NS0_5tupleIJS9_S6_EEENSD_IJSA_SA_EEENS0_18inequality_wrapperIZN2at6native12_GLOBAL__N_124unique_dim_cuda_templateIdEESt5tupleIJNSH_6TensorESM_SM_EERKSM_lbbbEUlllE0_EEPmJS6_EEE10hipError_tPvRmT3_T4_T5_T6_T7_T9_mT8_P12ihipStream_tbDpT10_ENKUlT_T0_E_clISt17integral_constantIbLb0EES1B_IbLb1EEEEDaS17_S18_EUlS17_E_NS1_11comp_targetILNS1_3genE5ELNS1_11target_archE942ELNS1_3gpuE9ELNS1_3repE0EEENS1_30default_config_static_selectorELNS0_4arch9wavefront6targetE1EEEvT1_.num_named_barrier, 0
	.set _ZN7rocprim17ROCPRIM_400000_NS6detail17trampoline_kernelINS0_14default_configENS1_25partition_config_selectorILNS1_17partition_subalgoE8ElNS0_10empty_typeEbEEZZNS1_14partition_implILS5_8ELb0ES3_jPlPS6_PKS6_NS0_5tupleIJS9_S6_EEENSD_IJSA_SA_EEENS0_18inequality_wrapperIZN2at6native12_GLOBAL__N_124unique_dim_cuda_templateIdEESt5tupleIJNSH_6TensorESM_SM_EERKSM_lbbbEUlllE0_EEPmJS6_EEE10hipError_tPvRmT3_T4_T5_T6_T7_T9_mT8_P12ihipStream_tbDpT10_ENKUlT_T0_E_clISt17integral_constantIbLb0EES1B_IbLb1EEEEDaS17_S18_EUlS17_E_NS1_11comp_targetILNS1_3genE5ELNS1_11target_archE942ELNS1_3gpuE9ELNS1_3repE0EEENS1_30default_config_static_selectorELNS0_4arch9wavefront6targetE1EEEvT1_.private_seg_size, 0
	.set _ZN7rocprim17ROCPRIM_400000_NS6detail17trampoline_kernelINS0_14default_configENS1_25partition_config_selectorILNS1_17partition_subalgoE8ElNS0_10empty_typeEbEEZZNS1_14partition_implILS5_8ELb0ES3_jPlPS6_PKS6_NS0_5tupleIJS9_S6_EEENSD_IJSA_SA_EEENS0_18inequality_wrapperIZN2at6native12_GLOBAL__N_124unique_dim_cuda_templateIdEESt5tupleIJNSH_6TensorESM_SM_EERKSM_lbbbEUlllE0_EEPmJS6_EEE10hipError_tPvRmT3_T4_T5_T6_T7_T9_mT8_P12ihipStream_tbDpT10_ENKUlT_T0_E_clISt17integral_constantIbLb0EES1B_IbLb1EEEEDaS17_S18_EUlS17_E_NS1_11comp_targetILNS1_3genE5ELNS1_11target_archE942ELNS1_3gpuE9ELNS1_3repE0EEENS1_30default_config_static_selectorELNS0_4arch9wavefront6targetE1EEEvT1_.uses_vcc, 0
	.set _ZN7rocprim17ROCPRIM_400000_NS6detail17trampoline_kernelINS0_14default_configENS1_25partition_config_selectorILNS1_17partition_subalgoE8ElNS0_10empty_typeEbEEZZNS1_14partition_implILS5_8ELb0ES3_jPlPS6_PKS6_NS0_5tupleIJS9_S6_EEENSD_IJSA_SA_EEENS0_18inequality_wrapperIZN2at6native12_GLOBAL__N_124unique_dim_cuda_templateIdEESt5tupleIJNSH_6TensorESM_SM_EERKSM_lbbbEUlllE0_EEPmJS6_EEE10hipError_tPvRmT3_T4_T5_T6_T7_T9_mT8_P12ihipStream_tbDpT10_ENKUlT_T0_E_clISt17integral_constantIbLb0EES1B_IbLb1EEEEDaS17_S18_EUlS17_E_NS1_11comp_targetILNS1_3genE5ELNS1_11target_archE942ELNS1_3gpuE9ELNS1_3repE0EEENS1_30default_config_static_selectorELNS0_4arch9wavefront6targetE1EEEvT1_.uses_flat_scratch, 0
	.set _ZN7rocprim17ROCPRIM_400000_NS6detail17trampoline_kernelINS0_14default_configENS1_25partition_config_selectorILNS1_17partition_subalgoE8ElNS0_10empty_typeEbEEZZNS1_14partition_implILS5_8ELb0ES3_jPlPS6_PKS6_NS0_5tupleIJS9_S6_EEENSD_IJSA_SA_EEENS0_18inequality_wrapperIZN2at6native12_GLOBAL__N_124unique_dim_cuda_templateIdEESt5tupleIJNSH_6TensorESM_SM_EERKSM_lbbbEUlllE0_EEPmJS6_EEE10hipError_tPvRmT3_T4_T5_T6_T7_T9_mT8_P12ihipStream_tbDpT10_ENKUlT_T0_E_clISt17integral_constantIbLb0EES1B_IbLb1EEEEDaS17_S18_EUlS17_E_NS1_11comp_targetILNS1_3genE5ELNS1_11target_archE942ELNS1_3gpuE9ELNS1_3repE0EEENS1_30default_config_static_selectorELNS0_4arch9wavefront6targetE1EEEvT1_.has_dyn_sized_stack, 0
	.set _ZN7rocprim17ROCPRIM_400000_NS6detail17trampoline_kernelINS0_14default_configENS1_25partition_config_selectorILNS1_17partition_subalgoE8ElNS0_10empty_typeEbEEZZNS1_14partition_implILS5_8ELb0ES3_jPlPS6_PKS6_NS0_5tupleIJS9_S6_EEENSD_IJSA_SA_EEENS0_18inequality_wrapperIZN2at6native12_GLOBAL__N_124unique_dim_cuda_templateIdEESt5tupleIJNSH_6TensorESM_SM_EERKSM_lbbbEUlllE0_EEPmJS6_EEE10hipError_tPvRmT3_T4_T5_T6_T7_T9_mT8_P12ihipStream_tbDpT10_ENKUlT_T0_E_clISt17integral_constantIbLb0EES1B_IbLb1EEEEDaS17_S18_EUlS17_E_NS1_11comp_targetILNS1_3genE5ELNS1_11target_archE942ELNS1_3gpuE9ELNS1_3repE0EEENS1_30default_config_static_selectorELNS0_4arch9wavefront6targetE1EEEvT1_.has_recursion, 0
	.set _ZN7rocprim17ROCPRIM_400000_NS6detail17trampoline_kernelINS0_14default_configENS1_25partition_config_selectorILNS1_17partition_subalgoE8ElNS0_10empty_typeEbEEZZNS1_14partition_implILS5_8ELb0ES3_jPlPS6_PKS6_NS0_5tupleIJS9_S6_EEENSD_IJSA_SA_EEENS0_18inequality_wrapperIZN2at6native12_GLOBAL__N_124unique_dim_cuda_templateIdEESt5tupleIJNSH_6TensorESM_SM_EERKSM_lbbbEUlllE0_EEPmJS6_EEE10hipError_tPvRmT3_T4_T5_T6_T7_T9_mT8_P12ihipStream_tbDpT10_ENKUlT_T0_E_clISt17integral_constantIbLb0EES1B_IbLb1EEEEDaS17_S18_EUlS17_E_NS1_11comp_targetILNS1_3genE5ELNS1_11target_archE942ELNS1_3gpuE9ELNS1_3repE0EEENS1_30default_config_static_selectorELNS0_4arch9wavefront6targetE1EEEvT1_.has_indirect_call, 0
	.section	.AMDGPU.csdata,"",@progbits
; Kernel info:
; codeLenInByte = 0
; TotalNumSgprs: 6
; NumVgprs: 0
; NumAgprs: 0
; TotalNumVgprs: 0
; ScratchSize: 0
; MemoryBound: 0
; FloatMode: 240
; IeeeMode: 1
; LDSByteSize: 0 bytes/workgroup (compile time only)
; SGPRBlocks: 0
; VGPRBlocks: 0
; NumSGPRsForWavesPerEU: 6
; NumVGPRsForWavesPerEU: 1
; AccumOffset: 4
; Occupancy: 8
; WaveLimiterHint : 0
; COMPUTE_PGM_RSRC2:SCRATCH_EN: 0
; COMPUTE_PGM_RSRC2:USER_SGPR: 2
; COMPUTE_PGM_RSRC2:TRAP_HANDLER: 0
; COMPUTE_PGM_RSRC2:TGID_X_EN: 1
; COMPUTE_PGM_RSRC2:TGID_Y_EN: 0
; COMPUTE_PGM_RSRC2:TGID_Z_EN: 0
; COMPUTE_PGM_RSRC2:TIDIG_COMP_CNT: 0
; COMPUTE_PGM_RSRC3_GFX90A:ACCUM_OFFSET: 0
; COMPUTE_PGM_RSRC3_GFX90A:TG_SPLIT: 0
	.section	.text._ZN7rocprim17ROCPRIM_400000_NS6detail17trampoline_kernelINS0_14default_configENS1_25partition_config_selectorILNS1_17partition_subalgoE8ElNS0_10empty_typeEbEEZZNS1_14partition_implILS5_8ELb0ES3_jPlPS6_PKS6_NS0_5tupleIJS9_S6_EEENSD_IJSA_SA_EEENS0_18inequality_wrapperIZN2at6native12_GLOBAL__N_124unique_dim_cuda_templateIdEESt5tupleIJNSH_6TensorESM_SM_EERKSM_lbbbEUlllE0_EEPmJS6_EEE10hipError_tPvRmT3_T4_T5_T6_T7_T9_mT8_P12ihipStream_tbDpT10_ENKUlT_T0_E_clISt17integral_constantIbLb0EES1B_IbLb1EEEEDaS17_S18_EUlS17_E_NS1_11comp_targetILNS1_3genE4ELNS1_11target_archE910ELNS1_3gpuE8ELNS1_3repE0EEENS1_30default_config_static_selectorELNS0_4arch9wavefront6targetE1EEEvT1_,"axG",@progbits,_ZN7rocprim17ROCPRIM_400000_NS6detail17trampoline_kernelINS0_14default_configENS1_25partition_config_selectorILNS1_17partition_subalgoE8ElNS0_10empty_typeEbEEZZNS1_14partition_implILS5_8ELb0ES3_jPlPS6_PKS6_NS0_5tupleIJS9_S6_EEENSD_IJSA_SA_EEENS0_18inequality_wrapperIZN2at6native12_GLOBAL__N_124unique_dim_cuda_templateIdEESt5tupleIJNSH_6TensorESM_SM_EERKSM_lbbbEUlllE0_EEPmJS6_EEE10hipError_tPvRmT3_T4_T5_T6_T7_T9_mT8_P12ihipStream_tbDpT10_ENKUlT_T0_E_clISt17integral_constantIbLb0EES1B_IbLb1EEEEDaS17_S18_EUlS17_E_NS1_11comp_targetILNS1_3genE4ELNS1_11target_archE910ELNS1_3gpuE8ELNS1_3repE0EEENS1_30default_config_static_selectorELNS0_4arch9wavefront6targetE1EEEvT1_,comdat
	.globl	_ZN7rocprim17ROCPRIM_400000_NS6detail17trampoline_kernelINS0_14default_configENS1_25partition_config_selectorILNS1_17partition_subalgoE8ElNS0_10empty_typeEbEEZZNS1_14partition_implILS5_8ELb0ES3_jPlPS6_PKS6_NS0_5tupleIJS9_S6_EEENSD_IJSA_SA_EEENS0_18inequality_wrapperIZN2at6native12_GLOBAL__N_124unique_dim_cuda_templateIdEESt5tupleIJNSH_6TensorESM_SM_EERKSM_lbbbEUlllE0_EEPmJS6_EEE10hipError_tPvRmT3_T4_T5_T6_T7_T9_mT8_P12ihipStream_tbDpT10_ENKUlT_T0_E_clISt17integral_constantIbLb0EES1B_IbLb1EEEEDaS17_S18_EUlS17_E_NS1_11comp_targetILNS1_3genE4ELNS1_11target_archE910ELNS1_3gpuE8ELNS1_3repE0EEENS1_30default_config_static_selectorELNS0_4arch9wavefront6targetE1EEEvT1_ ; -- Begin function _ZN7rocprim17ROCPRIM_400000_NS6detail17trampoline_kernelINS0_14default_configENS1_25partition_config_selectorILNS1_17partition_subalgoE8ElNS0_10empty_typeEbEEZZNS1_14partition_implILS5_8ELb0ES3_jPlPS6_PKS6_NS0_5tupleIJS9_S6_EEENSD_IJSA_SA_EEENS0_18inequality_wrapperIZN2at6native12_GLOBAL__N_124unique_dim_cuda_templateIdEESt5tupleIJNSH_6TensorESM_SM_EERKSM_lbbbEUlllE0_EEPmJS6_EEE10hipError_tPvRmT3_T4_T5_T6_T7_T9_mT8_P12ihipStream_tbDpT10_ENKUlT_T0_E_clISt17integral_constantIbLb0EES1B_IbLb1EEEEDaS17_S18_EUlS17_E_NS1_11comp_targetILNS1_3genE4ELNS1_11target_archE910ELNS1_3gpuE8ELNS1_3repE0EEENS1_30default_config_static_selectorELNS0_4arch9wavefront6targetE1EEEvT1_
	.p2align	8
	.type	_ZN7rocprim17ROCPRIM_400000_NS6detail17trampoline_kernelINS0_14default_configENS1_25partition_config_selectorILNS1_17partition_subalgoE8ElNS0_10empty_typeEbEEZZNS1_14partition_implILS5_8ELb0ES3_jPlPS6_PKS6_NS0_5tupleIJS9_S6_EEENSD_IJSA_SA_EEENS0_18inequality_wrapperIZN2at6native12_GLOBAL__N_124unique_dim_cuda_templateIdEESt5tupleIJNSH_6TensorESM_SM_EERKSM_lbbbEUlllE0_EEPmJS6_EEE10hipError_tPvRmT3_T4_T5_T6_T7_T9_mT8_P12ihipStream_tbDpT10_ENKUlT_T0_E_clISt17integral_constantIbLb0EES1B_IbLb1EEEEDaS17_S18_EUlS17_E_NS1_11comp_targetILNS1_3genE4ELNS1_11target_archE910ELNS1_3gpuE8ELNS1_3repE0EEENS1_30default_config_static_selectorELNS0_4arch9wavefront6targetE1EEEvT1_,@function
_ZN7rocprim17ROCPRIM_400000_NS6detail17trampoline_kernelINS0_14default_configENS1_25partition_config_selectorILNS1_17partition_subalgoE8ElNS0_10empty_typeEbEEZZNS1_14partition_implILS5_8ELb0ES3_jPlPS6_PKS6_NS0_5tupleIJS9_S6_EEENSD_IJSA_SA_EEENS0_18inequality_wrapperIZN2at6native12_GLOBAL__N_124unique_dim_cuda_templateIdEESt5tupleIJNSH_6TensorESM_SM_EERKSM_lbbbEUlllE0_EEPmJS6_EEE10hipError_tPvRmT3_T4_T5_T6_T7_T9_mT8_P12ihipStream_tbDpT10_ENKUlT_T0_E_clISt17integral_constantIbLb0EES1B_IbLb1EEEEDaS17_S18_EUlS17_E_NS1_11comp_targetILNS1_3genE4ELNS1_11target_archE910ELNS1_3gpuE8ELNS1_3repE0EEENS1_30default_config_static_selectorELNS0_4arch9wavefront6targetE1EEEvT1_: ; @_ZN7rocprim17ROCPRIM_400000_NS6detail17trampoline_kernelINS0_14default_configENS1_25partition_config_selectorILNS1_17partition_subalgoE8ElNS0_10empty_typeEbEEZZNS1_14partition_implILS5_8ELb0ES3_jPlPS6_PKS6_NS0_5tupleIJS9_S6_EEENSD_IJSA_SA_EEENS0_18inequality_wrapperIZN2at6native12_GLOBAL__N_124unique_dim_cuda_templateIdEESt5tupleIJNSH_6TensorESM_SM_EERKSM_lbbbEUlllE0_EEPmJS6_EEE10hipError_tPvRmT3_T4_T5_T6_T7_T9_mT8_P12ihipStream_tbDpT10_ENKUlT_T0_E_clISt17integral_constantIbLb0EES1B_IbLb1EEEEDaS17_S18_EUlS17_E_NS1_11comp_targetILNS1_3genE4ELNS1_11target_archE910ELNS1_3gpuE8ELNS1_3repE0EEENS1_30default_config_static_selectorELNS0_4arch9wavefront6targetE1EEEvT1_
; %bb.0:
	.section	.rodata,"a",@progbits
	.p2align	6, 0x0
	.amdhsa_kernel _ZN7rocprim17ROCPRIM_400000_NS6detail17trampoline_kernelINS0_14default_configENS1_25partition_config_selectorILNS1_17partition_subalgoE8ElNS0_10empty_typeEbEEZZNS1_14partition_implILS5_8ELb0ES3_jPlPS6_PKS6_NS0_5tupleIJS9_S6_EEENSD_IJSA_SA_EEENS0_18inequality_wrapperIZN2at6native12_GLOBAL__N_124unique_dim_cuda_templateIdEESt5tupleIJNSH_6TensorESM_SM_EERKSM_lbbbEUlllE0_EEPmJS6_EEE10hipError_tPvRmT3_T4_T5_T6_T7_T9_mT8_P12ihipStream_tbDpT10_ENKUlT_T0_E_clISt17integral_constantIbLb0EES1B_IbLb1EEEEDaS17_S18_EUlS17_E_NS1_11comp_targetILNS1_3genE4ELNS1_11target_archE910ELNS1_3gpuE8ELNS1_3repE0EEENS1_30default_config_static_selectorELNS0_4arch9wavefront6targetE1EEEvT1_
		.amdhsa_group_segment_fixed_size 0
		.amdhsa_private_segment_fixed_size 0
		.amdhsa_kernarg_size 136
		.amdhsa_user_sgpr_count 2
		.amdhsa_user_sgpr_dispatch_ptr 0
		.amdhsa_user_sgpr_queue_ptr 0
		.amdhsa_user_sgpr_kernarg_segment_ptr 1
		.amdhsa_user_sgpr_dispatch_id 0
		.amdhsa_user_sgpr_kernarg_preload_length 0
		.amdhsa_user_sgpr_kernarg_preload_offset 0
		.amdhsa_user_sgpr_private_segment_size 0
		.amdhsa_uses_dynamic_stack 0
		.amdhsa_enable_private_segment 0
		.amdhsa_system_sgpr_workgroup_id_x 1
		.amdhsa_system_sgpr_workgroup_id_y 0
		.amdhsa_system_sgpr_workgroup_id_z 0
		.amdhsa_system_sgpr_workgroup_info 0
		.amdhsa_system_vgpr_workitem_id 0
		.amdhsa_next_free_vgpr 1
		.amdhsa_next_free_sgpr 0
		.amdhsa_accum_offset 4
		.amdhsa_reserve_vcc 0
		.amdhsa_float_round_mode_32 0
		.amdhsa_float_round_mode_16_64 0
		.amdhsa_float_denorm_mode_32 3
		.amdhsa_float_denorm_mode_16_64 3
		.amdhsa_dx10_clamp 1
		.amdhsa_ieee_mode 1
		.amdhsa_fp16_overflow 0
		.amdhsa_tg_split 0
		.amdhsa_exception_fp_ieee_invalid_op 0
		.amdhsa_exception_fp_denorm_src 0
		.amdhsa_exception_fp_ieee_div_zero 0
		.amdhsa_exception_fp_ieee_overflow 0
		.amdhsa_exception_fp_ieee_underflow 0
		.amdhsa_exception_fp_ieee_inexact 0
		.amdhsa_exception_int_div_zero 0
	.end_amdhsa_kernel
	.section	.text._ZN7rocprim17ROCPRIM_400000_NS6detail17trampoline_kernelINS0_14default_configENS1_25partition_config_selectorILNS1_17partition_subalgoE8ElNS0_10empty_typeEbEEZZNS1_14partition_implILS5_8ELb0ES3_jPlPS6_PKS6_NS0_5tupleIJS9_S6_EEENSD_IJSA_SA_EEENS0_18inequality_wrapperIZN2at6native12_GLOBAL__N_124unique_dim_cuda_templateIdEESt5tupleIJNSH_6TensorESM_SM_EERKSM_lbbbEUlllE0_EEPmJS6_EEE10hipError_tPvRmT3_T4_T5_T6_T7_T9_mT8_P12ihipStream_tbDpT10_ENKUlT_T0_E_clISt17integral_constantIbLb0EES1B_IbLb1EEEEDaS17_S18_EUlS17_E_NS1_11comp_targetILNS1_3genE4ELNS1_11target_archE910ELNS1_3gpuE8ELNS1_3repE0EEENS1_30default_config_static_selectorELNS0_4arch9wavefront6targetE1EEEvT1_,"axG",@progbits,_ZN7rocprim17ROCPRIM_400000_NS6detail17trampoline_kernelINS0_14default_configENS1_25partition_config_selectorILNS1_17partition_subalgoE8ElNS0_10empty_typeEbEEZZNS1_14partition_implILS5_8ELb0ES3_jPlPS6_PKS6_NS0_5tupleIJS9_S6_EEENSD_IJSA_SA_EEENS0_18inequality_wrapperIZN2at6native12_GLOBAL__N_124unique_dim_cuda_templateIdEESt5tupleIJNSH_6TensorESM_SM_EERKSM_lbbbEUlllE0_EEPmJS6_EEE10hipError_tPvRmT3_T4_T5_T6_T7_T9_mT8_P12ihipStream_tbDpT10_ENKUlT_T0_E_clISt17integral_constantIbLb0EES1B_IbLb1EEEEDaS17_S18_EUlS17_E_NS1_11comp_targetILNS1_3genE4ELNS1_11target_archE910ELNS1_3gpuE8ELNS1_3repE0EEENS1_30default_config_static_selectorELNS0_4arch9wavefront6targetE1EEEvT1_,comdat
.Lfunc_end833:
	.size	_ZN7rocprim17ROCPRIM_400000_NS6detail17trampoline_kernelINS0_14default_configENS1_25partition_config_selectorILNS1_17partition_subalgoE8ElNS0_10empty_typeEbEEZZNS1_14partition_implILS5_8ELb0ES3_jPlPS6_PKS6_NS0_5tupleIJS9_S6_EEENSD_IJSA_SA_EEENS0_18inequality_wrapperIZN2at6native12_GLOBAL__N_124unique_dim_cuda_templateIdEESt5tupleIJNSH_6TensorESM_SM_EERKSM_lbbbEUlllE0_EEPmJS6_EEE10hipError_tPvRmT3_T4_T5_T6_T7_T9_mT8_P12ihipStream_tbDpT10_ENKUlT_T0_E_clISt17integral_constantIbLb0EES1B_IbLb1EEEEDaS17_S18_EUlS17_E_NS1_11comp_targetILNS1_3genE4ELNS1_11target_archE910ELNS1_3gpuE8ELNS1_3repE0EEENS1_30default_config_static_selectorELNS0_4arch9wavefront6targetE1EEEvT1_, .Lfunc_end833-_ZN7rocprim17ROCPRIM_400000_NS6detail17trampoline_kernelINS0_14default_configENS1_25partition_config_selectorILNS1_17partition_subalgoE8ElNS0_10empty_typeEbEEZZNS1_14partition_implILS5_8ELb0ES3_jPlPS6_PKS6_NS0_5tupleIJS9_S6_EEENSD_IJSA_SA_EEENS0_18inequality_wrapperIZN2at6native12_GLOBAL__N_124unique_dim_cuda_templateIdEESt5tupleIJNSH_6TensorESM_SM_EERKSM_lbbbEUlllE0_EEPmJS6_EEE10hipError_tPvRmT3_T4_T5_T6_T7_T9_mT8_P12ihipStream_tbDpT10_ENKUlT_T0_E_clISt17integral_constantIbLb0EES1B_IbLb1EEEEDaS17_S18_EUlS17_E_NS1_11comp_targetILNS1_3genE4ELNS1_11target_archE910ELNS1_3gpuE8ELNS1_3repE0EEENS1_30default_config_static_selectorELNS0_4arch9wavefront6targetE1EEEvT1_
                                        ; -- End function
	.set _ZN7rocprim17ROCPRIM_400000_NS6detail17trampoline_kernelINS0_14default_configENS1_25partition_config_selectorILNS1_17partition_subalgoE8ElNS0_10empty_typeEbEEZZNS1_14partition_implILS5_8ELb0ES3_jPlPS6_PKS6_NS0_5tupleIJS9_S6_EEENSD_IJSA_SA_EEENS0_18inequality_wrapperIZN2at6native12_GLOBAL__N_124unique_dim_cuda_templateIdEESt5tupleIJNSH_6TensorESM_SM_EERKSM_lbbbEUlllE0_EEPmJS6_EEE10hipError_tPvRmT3_T4_T5_T6_T7_T9_mT8_P12ihipStream_tbDpT10_ENKUlT_T0_E_clISt17integral_constantIbLb0EES1B_IbLb1EEEEDaS17_S18_EUlS17_E_NS1_11comp_targetILNS1_3genE4ELNS1_11target_archE910ELNS1_3gpuE8ELNS1_3repE0EEENS1_30default_config_static_selectorELNS0_4arch9wavefront6targetE1EEEvT1_.num_vgpr, 0
	.set _ZN7rocprim17ROCPRIM_400000_NS6detail17trampoline_kernelINS0_14default_configENS1_25partition_config_selectorILNS1_17partition_subalgoE8ElNS0_10empty_typeEbEEZZNS1_14partition_implILS5_8ELb0ES3_jPlPS6_PKS6_NS0_5tupleIJS9_S6_EEENSD_IJSA_SA_EEENS0_18inequality_wrapperIZN2at6native12_GLOBAL__N_124unique_dim_cuda_templateIdEESt5tupleIJNSH_6TensorESM_SM_EERKSM_lbbbEUlllE0_EEPmJS6_EEE10hipError_tPvRmT3_T4_T5_T6_T7_T9_mT8_P12ihipStream_tbDpT10_ENKUlT_T0_E_clISt17integral_constantIbLb0EES1B_IbLb1EEEEDaS17_S18_EUlS17_E_NS1_11comp_targetILNS1_3genE4ELNS1_11target_archE910ELNS1_3gpuE8ELNS1_3repE0EEENS1_30default_config_static_selectorELNS0_4arch9wavefront6targetE1EEEvT1_.num_agpr, 0
	.set _ZN7rocprim17ROCPRIM_400000_NS6detail17trampoline_kernelINS0_14default_configENS1_25partition_config_selectorILNS1_17partition_subalgoE8ElNS0_10empty_typeEbEEZZNS1_14partition_implILS5_8ELb0ES3_jPlPS6_PKS6_NS0_5tupleIJS9_S6_EEENSD_IJSA_SA_EEENS0_18inequality_wrapperIZN2at6native12_GLOBAL__N_124unique_dim_cuda_templateIdEESt5tupleIJNSH_6TensorESM_SM_EERKSM_lbbbEUlllE0_EEPmJS6_EEE10hipError_tPvRmT3_T4_T5_T6_T7_T9_mT8_P12ihipStream_tbDpT10_ENKUlT_T0_E_clISt17integral_constantIbLb0EES1B_IbLb1EEEEDaS17_S18_EUlS17_E_NS1_11comp_targetILNS1_3genE4ELNS1_11target_archE910ELNS1_3gpuE8ELNS1_3repE0EEENS1_30default_config_static_selectorELNS0_4arch9wavefront6targetE1EEEvT1_.numbered_sgpr, 0
	.set _ZN7rocprim17ROCPRIM_400000_NS6detail17trampoline_kernelINS0_14default_configENS1_25partition_config_selectorILNS1_17partition_subalgoE8ElNS0_10empty_typeEbEEZZNS1_14partition_implILS5_8ELb0ES3_jPlPS6_PKS6_NS0_5tupleIJS9_S6_EEENSD_IJSA_SA_EEENS0_18inequality_wrapperIZN2at6native12_GLOBAL__N_124unique_dim_cuda_templateIdEESt5tupleIJNSH_6TensorESM_SM_EERKSM_lbbbEUlllE0_EEPmJS6_EEE10hipError_tPvRmT3_T4_T5_T6_T7_T9_mT8_P12ihipStream_tbDpT10_ENKUlT_T0_E_clISt17integral_constantIbLb0EES1B_IbLb1EEEEDaS17_S18_EUlS17_E_NS1_11comp_targetILNS1_3genE4ELNS1_11target_archE910ELNS1_3gpuE8ELNS1_3repE0EEENS1_30default_config_static_selectorELNS0_4arch9wavefront6targetE1EEEvT1_.num_named_barrier, 0
	.set _ZN7rocprim17ROCPRIM_400000_NS6detail17trampoline_kernelINS0_14default_configENS1_25partition_config_selectorILNS1_17partition_subalgoE8ElNS0_10empty_typeEbEEZZNS1_14partition_implILS5_8ELb0ES3_jPlPS6_PKS6_NS0_5tupleIJS9_S6_EEENSD_IJSA_SA_EEENS0_18inequality_wrapperIZN2at6native12_GLOBAL__N_124unique_dim_cuda_templateIdEESt5tupleIJNSH_6TensorESM_SM_EERKSM_lbbbEUlllE0_EEPmJS6_EEE10hipError_tPvRmT3_T4_T5_T6_T7_T9_mT8_P12ihipStream_tbDpT10_ENKUlT_T0_E_clISt17integral_constantIbLb0EES1B_IbLb1EEEEDaS17_S18_EUlS17_E_NS1_11comp_targetILNS1_3genE4ELNS1_11target_archE910ELNS1_3gpuE8ELNS1_3repE0EEENS1_30default_config_static_selectorELNS0_4arch9wavefront6targetE1EEEvT1_.private_seg_size, 0
	.set _ZN7rocprim17ROCPRIM_400000_NS6detail17trampoline_kernelINS0_14default_configENS1_25partition_config_selectorILNS1_17partition_subalgoE8ElNS0_10empty_typeEbEEZZNS1_14partition_implILS5_8ELb0ES3_jPlPS6_PKS6_NS0_5tupleIJS9_S6_EEENSD_IJSA_SA_EEENS0_18inequality_wrapperIZN2at6native12_GLOBAL__N_124unique_dim_cuda_templateIdEESt5tupleIJNSH_6TensorESM_SM_EERKSM_lbbbEUlllE0_EEPmJS6_EEE10hipError_tPvRmT3_T4_T5_T6_T7_T9_mT8_P12ihipStream_tbDpT10_ENKUlT_T0_E_clISt17integral_constantIbLb0EES1B_IbLb1EEEEDaS17_S18_EUlS17_E_NS1_11comp_targetILNS1_3genE4ELNS1_11target_archE910ELNS1_3gpuE8ELNS1_3repE0EEENS1_30default_config_static_selectorELNS0_4arch9wavefront6targetE1EEEvT1_.uses_vcc, 0
	.set _ZN7rocprim17ROCPRIM_400000_NS6detail17trampoline_kernelINS0_14default_configENS1_25partition_config_selectorILNS1_17partition_subalgoE8ElNS0_10empty_typeEbEEZZNS1_14partition_implILS5_8ELb0ES3_jPlPS6_PKS6_NS0_5tupleIJS9_S6_EEENSD_IJSA_SA_EEENS0_18inequality_wrapperIZN2at6native12_GLOBAL__N_124unique_dim_cuda_templateIdEESt5tupleIJNSH_6TensorESM_SM_EERKSM_lbbbEUlllE0_EEPmJS6_EEE10hipError_tPvRmT3_T4_T5_T6_T7_T9_mT8_P12ihipStream_tbDpT10_ENKUlT_T0_E_clISt17integral_constantIbLb0EES1B_IbLb1EEEEDaS17_S18_EUlS17_E_NS1_11comp_targetILNS1_3genE4ELNS1_11target_archE910ELNS1_3gpuE8ELNS1_3repE0EEENS1_30default_config_static_selectorELNS0_4arch9wavefront6targetE1EEEvT1_.uses_flat_scratch, 0
	.set _ZN7rocprim17ROCPRIM_400000_NS6detail17trampoline_kernelINS0_14default_configENS1_25partition_config_selectorILNS1_17partition_subalgoE8ElNS0_10empty_typeEbEEZZNS1_14partition_implILS5_8ELb0ES3_jPlPS6_PKS6_NS0_5tupleIJS9_S6_EEENSD_IJSA_SA_EEENS0_18inequality_wrapperIZN2at6native12_GLOBAL__N_124unique_dim_cuda_templateIdEESt5tupleIJNSH_6TensorESM_SM_EERKSM_lbbbEUlllE0_EEPmJS6_EEE10hipError_tPvRmT3_T4_T5_T6_T7_T9_mT8_P12ihipStream_tbDpT10_ENKUlT_T0_E_clISt17integral_constantIbLb0EES1B_IbLb1EEEEDaS17_S18_EUlS17_E_NS1_11comp_targetILNS1_3genE4ELNS1_11target_archE910ELNS1_3gpuE8ELNS1_3repE0EEENS1_30default_config_static_selectorELNS0_4arch9wavefront6targetE1EEEvT1_.has_dyn_sized_stack, 0
	.set _ZN7rocprim17ROCPRIM_400000_NS6detail17trampoline_kernelINS0_14default_configENS1_25partition_config_selectorILNS1_17partition_subalgoE8ElNS0_10empty_typeEbEEZZNS1_14partition_implILS5_8ELb0ES3_jPlPS6_PKS6_NS0_5tupleIJS9_S6_EEENSD_IJSA_SA_EEENS0_18inequality_wrapperIZN2at6native12_GLOBAL__N_124unique_dim_cuda_templateIdEESt5tupleIJNSH_6TensorESM_SM_EERKSM_lbbbEUlllE0_EEPmJS6_EEE10hipError_tPvRmT3_T4_T5_T6_T7_T9_mT8_P12ihipStream_tbDpT10_ENKUlT_T0_E_clISt17integral_constantIbLb0EES1B_IbLb1EEEEDaS17_S18_EUlS17_E_NS1_11comp_targetILNS1_3genE4ELNS1_11target_archE910ELNS1_3gpuE8ELNS1_3repE0EEENS1_30default_config_static_selectorELNS0_4arch9wavefront6targetE1EEEvT1_.has_recursion, 0
	.set _ZN7rocprim17ROCPRIM_400000_NS6detail17trampoline_kernelINS0_14default_configENS1_25partition_config_selectorILNS1_17partition_subalgoE8ElNS0_10empty_typeEbEEZZNS1_14partition_implILS5_8ELb0ES3_jPlPS6_PKS6_NS0_5tupleIJS9_S6_EEENSD_IJSA_SA_EEENS0_18inequality_wrapperIZN2at6native12_GLOBAL__N_124unique_dim_cuda_templateIdEESt5tupleIJNSH_6TensorESM_SM_EERKSM_lbbbEUlllE0_EEPmJS6_EEE10hipError_tPvRmT3_T4_T5_T6_T7_T9_mT8_P12ihipStream_tbDpT10_ENKUlT_T0_E_clISt17integral_constantIbLb0EES1B_IbLb1EEEEDaS17_S18_EUlS17_E_NS1_11comp_targetILNS1_3genE4ELNS1_11target_archE910ELNS1_3gpuE8ELNS1_3repE0EEENS1_30default_config_static_selectorELNS0_4arch9wavefront6targetE1EEEvT1_.has_indirect_call, 0
	.section	.AMDGPU.csdata,"",@progbits
; Kernel info:
; codeLenInByte = 0
; TotalNumSgprs: 6
; NumVgprs: 0
; NumAgprs: 0
; TotalNumVgprs: 0
; ScratchSize: 0
; MemoryBound: 0
; FloatMode: 240
; IeeeMode: 1
; LDSByteSize: 0 bytes/workgroup (compile time only)
; SGPRBlocks: 0
; VGPRBlocks: 0
; NumSGPRsForWavesPerEU: 6
; NumVGPRsForWavesPerEU: 1
; AccumOffset: 4
; Occupancy: 8
; WaveLimiterHint : 0
; COMPUTE_PGM_RSRC2:SCRATCH_EN: 0
; COMPUTE_PGM_RSRC2:USER_SGPR: 2
; COMPUTE_PGM_RSRC2:TRAP_HANDLER: 0
; COMPUTE_PGM_RSRC2:TGID_X_EN: 1
; COMPUTE_PGM_RSRC2:TGID_Y_EN: 0
; COMPUTE_PGM_RSRC2:TGID_Z_EN: 0
; COMPUTE_PGM_RSRC2:TIDIG_COMP_CNT: 0
; COMPUTE_PGM_RSRC3_GFX90A:ACCUM_OFFSET: 0
; COMPUTE_PGM_RSRC3_GFX90A:TG_SPLIT: 0
	.section	.text._ZN7rocprim17ROCPRIM_400000_NS6detail17trampoline_kernelINS0_14default_configENS1_25partition_config_selectorILNS1_17partition_subalgoE8ElNS0_10empty_typeEbEEZZNS1_14partition_implILS5_8ELb0ES3_jPlPS6_PKS6_NS0_5tupleIJS9_S6_EEENSD_IJSA_SA_EEENS0_18inequality_wrapperIZN2at6native12_GLOBAL__N_124unique_dim_cuda_templateIdEESt5tupleIJNSH_6TensorESM_SM_EERKSM_lbbbEUlllE0_EEPmJS6_EEE10hipError_tPvRmT3_T4_T5_T6_T7_T9_mT8_P12ihipStream_tbDpT10_ENKUlT_T0_E_clISt17integral_constantIbLb0EES1B_IbLb1EEEEDaS17_S18_EUlS17_E_NS1_11comp_targetILNS1_3genE3ELNS1_11target_archE908ELNS1_3gpuE7ELNS1_3repE0EEENS1_30default_config_static_selectorELNS0_4arch9wavefront6targetE1EEEvT1_,"axG",@progbits,_ZN7rocprim17ROCPRIM_400000_NS6detail17trampoline_kernelINS0_14default_configENS1_25partition_config_selectorILNS1_17partition_subalgoE8ElNS0_10empty_typeEbEEZZNS1_14partition_implILS5_8ELb0ES3_jPlPS6_PKS6_NS0_5tupleIJS9_S6_EEENSD_IJSA_SA_EEENS0_18inequality_wrapperIZN2at6native12_GLOBAL__N_124unique_dim_cuda_templateIdEESt5tupleIJNSH_6TensorESM_SM_EERKSM_lbbbEUlllE0_EEPmJS6_EEE10hipError_tPvRmT3_T4_T5_T6_T7_T9_mT8_P12ihipStream_tbDpT10_ENKUlT_T0_E_clISt17integral_constantIbLb0EES1B_IbLb1EEEEDaS17_S18_EUlS17_E_NS1_11comp_targetILNS1_3genE3ELNS1_11target_archE908ELNS1_3gpuE7ELNS1_3repE0EEENS1_30default_config_static_selectorELNS0_4arch9wavefront6targetE1EEEvT1_,comdat
	.globl	_ZN7rocprim17ROCPRIM_400000_NS6detail17trampoline_kernelINS0_14default_configENS1_25partition_config_selectorILNS1_17partition_subalgoE8ElNS0_10empty_typeEbEEZZNS1_14partition_implILS5_8ELb0ES3_jPlPS6_PKS6_NS0_5tupleIJS9_S6_EEENSD_IJSA_SA_EEENS0_18inequality_wrapperIZN2at6native12_GLOBAL__N_124unique_dim_cuda_templateIdEESt5tupleIJNSH_6TensorESM_SM_EERKSM_lbbbEUlllE0_EEPmJS6_EEE10hipError_tPvRmT3_T4_T5_T6_T7_T9_mT8_P12ihipStream_tbDpT10_ENKUlT_T0_E_clISt17integral_constantIbLb0EES1B_IbLb1EEEEDaS17_S18_EUlS17_E_NS1_11comp_targetILNS1_3genE3ELNS1_11target_archE908ELNS1_3gpuE7ELNS1_3repE0EEENS1_30default_config_static_selectorELNS0_4arch9wavefront6targetE1EEEvT1_ ; -- Begin function _ZN7rocprim17ROCPRIM_400000_NS6detail17trampoline_kernelINS0_14default_configENS1_25partition_config_selectorILNS1_17partition_subalgoE8ElNS0_10empty_typeEbEEZZNS1_14partition_implILS5_8ELb0ES3_jPlPS6_PKS6_NS0_5tupleIJS9_S6_EEENSD_IJSA_SA_EEENS0_18inequality_wrapperIZN2at6native12_GLOBAL__N_124unique_dim_cuda_templateIdEESt5tupleIJNSH_6TensorESM_SM_EERKSM_lbbbEUlllE0_EEPmJS6_EEE10hipError_tPvRmT3_T4_T5_T6_T7_T9_mT8_P12ihipStream_tbDpT10_ENKUlT_T0_E_clISt17integral_constantIbLb0EES1B_IbLb1EEEEDaS17_S18_EUlS17_E_NS1_11comp_targetILNS1_3genE3ELNS1_11target_archE908ELNS1_3gpuE7ELNS1_3repE0EEENS1_30default_config_static_selectorELNS0_4arch9wavefront6targetE1EEEvT1_
	.p2align	8
	.type	_ZN7rocprim17ROCPRIM_400000_NS6detail17trampoline_kernelINS0_14default_configENS1_25partition_config_selectorILNS1_17partition_subalgoE8ElNS0_10empty_typeEbEEZZNS1_14partition_implILS5_8ELb0ES3_jPlPS6_PKS6_NS0_5tupleIJS9_S6_EEENSD_IJSA_SA_EEENS0_18inequality_wrapperIZN2at6native12_GLOBAL__N_124unique_dim_cuda_templateIdEESt5tupleIJNSH_6TensorESM_SM_EERKSM_lbbbEUlllE0_EEPmJS6_EEE10hipError_tPvRmT3_T4_T5_T6_T7_T9_mT8_P12ihipStream_tbDpT10_ENKUlT_T0_E_clISt17integral_constantIbLb0EES1B_IbLb1EEEEDaS17_S18_EUlS17_E_NS1_11comp_targetILNS1_3genE3ELNS1_11target_archE908ELNS1_3gpuE7ELNS1_3repE0EEENS1_30default_config_static_selectorELNS0_4arch9wavefront6targetE1EEEvT1_,@function
_ZN7rocprim17ROCPRIM_400000_NS6detail17trampoline_kernelINS0_14default_configENS1_25partition_config_selectorILNS1_17partition_subalgoE8ElNS0_10empty_typeEbEEZZNS1_14partition_implILS5_8ELb0ES3_jPlPS6_PKS6_NS0_5tupleIJS9_S6_EEENSD_IJSA_SA_EEENS0_18inequality_wrapperIZN2at6native12_GLOBAL__N_124unique_dim_cuda_templateIdEESt5tupleIJNSH_6TensorESM_SM_EERKSM_lbbbEUlllE0_EEPmJS6_EEE10hipError_tPvRmT3_T4_T5_T6_T7_T9_mT8_P12ihipStream_tbDpT10_ENKUlT_T0_E_clISt17integral_constantIbLb0EES1B_IbLb1EEEEDaS17_S18_EUlS17_E_NS1_11comp_targetILNS1_3genE3ELNS1_11target_archE908ELNS1_3gpuE7ELNS1_3repE0EEENS1_30default_config_static_selectorELNS0_4arch9wavefront6targetE1EEEvT1_: ; @_ZN7rocprim17ROCPRIM_400000_NS6detail17trampoline_kernelINS0_14default_configENS1_25partition_config_selectorILNS1_17partition_subalgoE8ElNS0_10empty_typeEbEEZZNS1_14partition_implILS5_8ELb0ES3_jPlPS6_PKS6_NS0_5tupleIJS9_S6_EEENSD_IJSA_SA_EEENS0_18inequality_wrapperIZN2at6native12_GLOBAL__N_124unique_dim_cuda_templateIdEESt5tupleIJNSH_6TensorESM_SM_EERKSM_lbbbEUlllE0_EEPmJS6_EEE10hipError_tPvRmT3_T4_T5_T6_T7_T9_mT8_P12ihipStream_tbDpT10_ENKUlT_T0_E_clISt17integral_constantIbLb0EES1B_IbLb1EEEEDaS17_S18_EUlS17_E_NS1_11comp_targetILNS1_3genE3ELNS1_11target_archE908ELNS1_3gpuE7ELNS1_3repE0EEENS1_30default_config_static_selectorELNS0_4arch9wavefront6targetE1EEEvT1_
; %bb.0:
	.section	.rodata,"a",@progbits
	.p2align	6, 0x0
	.amdhsa_kernel _ZN7rocprim17ROCPRIM_400000_NS6detail17trampoline_kernelINS0_14default_configENS1_25partition_config_selectorILNS1_17partition_subalgoE8ElNS0_10empty_typeEbEEZZNS1_14partition_implILS5_8ELb0ES3_jPlPS6_PKS6_NS0_5tupleIJS9_S6_EEENSD_IJSA_SA_EEENS0_18inequality_wrapperIZN2at6native12_GLOBAL__N_124unique_dim_cuda_templateIdEESt5tupleIJNSH_6TensorESM_SM_EERKSM_lbbbEUlllE0_EEPmJS6_EEE10hipError_tPvRmT3_T4_T5_T6_T7_T9_mT8_P12ihipStream_tbDpT10_ENKUlT_T0_E_clISt17integral_constantIbLb0EES1B_IbLb1EEEEDaS17_S18_EUlS17_E_NS1_11comp_targetILNS1_3genE3ELNS1_11target_archE908ELNS1_3gpuE7ELNS1_3repE0EEENS1_30default_config_static_selectorELNS0_4arch9wavefront6targetE1EEEvT1_
		.amdhsa_group_segment_fixed_size 0
		.amdhsa_private_segment_fixed_size 0
		.amdhsa_kernarg_size 136
		.amdhsa_user_sgpr_count 2
		.amdhsa_user_sgpr_dispatch_ptr 0
		.amdhsa_user_sgpr_queue_ptr 0
		.amdhsa_user_sgpr_kernarg_segment_ptr 1
		.amdhsa_user_sgpr_dispatch_id 0
		.amdhsa_user_sgpr_kernarg_preload_length 0
		.amdhsa_user_sgpr_kernarg_preload_offset 0
		.amdhsa_user_sgpr_private_segment_size 0
		.amdhsa_uses_dynamic_stack 0
		.amdhsa_enable_private_segment 0
		.amdhsa_system_sgpr_workgroup_id_x 1
		.amdhsa_system_sgpr_workgroup_id_y 0
		.amdhsa_system_sgpr_workgroup_id_z 0
		.amdhsa_system_sgpr_workgroup_info 0
		.amdhsa_system_vgpr_workitem_id 0
		.amdhsa_next_free_vgpr 1
		.amdhsa_next_free_sgpr 0
		.amdhsa_accum_offset 4
		.amdhsa_reserve_vcc 0
		.amdhsa_float_round_mode_32 0
		.amdhsa_float_round_mode_16_64 0
		.amdhsa_float_denorm_mode_32 3
		.amdhsa_float_denorm_mode_16_64 3
		.amdhsa_dx10_clamp 1
		.amdhsa_ieee_mode 1
		.amdhsa_fp16_overflow 0
		.amdhsa_tg_split 0
		.amdhsa_exception_fp_ieee_invalid_op 0
		.amdhsa_exception_fp_denorm_src 0
		.amdhsa_exception_fp_ieee_div_zero 0
		.amdhsa_exception_fp_ieee_overflow 0
		.amdhsa_exception_fp_ieee_underflow 0
		.amdhsa_exception_fp_ieee_inexact 0
		.amdhsa_exception_int_div_zero 0
	.end_amdhsa_kernel
	.section	.text._ZN7rocprim17ROCPRIM_400000_NS6detail17trampoline_kernelINS0_14default_configENS1_25partition_config_selectorILNS1_17partition_subalgoE8ElNS0_10empty_typeEbEEZZNS1_14partition_implILS5_8ELb0ES3_jPlPS6_PKS6_NS0_5tupleIJS9_S6_EEENSD_IJSA_SA_EEENS0_18inequality_wrapperIZN2at6native12_GLOBAL__N_124unique_dim_cuda_templateIdEESt5tupleIJNSH_6TensorESM_SM_EERKSM_lbbbEUlllE0_EEPmJS6_EEE10hipError_tPvRmT3_T4_T5_T6_T7_T9_mT8_P12ihipStream_tbDpT10_ENKUlT_T0_E_clISt17integral_constantIbLb0EES1B_IbLb1EEEEDaS17_S18_EUlS17_E_NS1_11comp_targetILNS1_3genE3ELNS1_11target_archE908ELNS1_3gpuE7ELNS1_3repE0EEENS1_30default_config_static_selectorELNS0_4arch9wavefront6targetE1EEEvT1_,"axG",@progbits,_ZN7rocprim17ROCPRIM_400000_NS6detail17trampoline_kernelINS0_14default_configENS1_25partition_config_selectorILNS1_17partition_subalgoE8ElNS0_10empty_typeEbEEZZNS1_14partition_implILS5_8ELb0ES3_jPlPS6_PKS6_NS0_5tupleIJS9_S6_EEENSD_IJSA_SA_EEENS0_18inequality_wrapperIZN2at6native12_GLOBAL__N_124unique_dim_cuda_templateIdEESt5tupleIJNSH_6TensorESM_SM_EERKSM_lbbbEUlllE0_EEPmJS6_EEE10hipError_tPvRmT3_T4_T5_T6_T7_T9_mT8_P12ihipStream_tbDpT10_ENKUlT_T0_E_clISt17integral_constantIbLb0EES1B_IbLb1EEEEDaS17_S18_EUlS17_E_NS1_11comp_targetILNS1_3genE3ELNS1_11target_archE908ELNS1_3gpuE7ELNS1_3repE0EEENS1_30default_config_static_selectorELNS0_4arch9wavefront6targetE1EEEvT1_,comdat
.Lfunc_end834:
	.size	_ZN7rocprim17ROCPRIM_400000_NS6detail17trampoline_kernelINS0_14default_configENS1_25partition_config_selectorILNS1_17partition_subalgoE8ElNS0_10empty_typeEbEEZZNS1_14partition_implILS5_8ELb0ES3_jPlPS6_PKS6_NS0_5tupleIJS9_S6_EEENSD_IJSA_SA_EEENS0_18inequality_wrapperIZN2at6native12_GLOBAL__N_124unique_dim_cuda_templateIdEESt5tupleIJNSH_6TensorESM_SM_EERKSM_lbbbEUlllE0_EEPmJS6_EEE10hipError_tPvRmT3_T4_T5_T6_T7_T9_mT8_P12ihipStream_tbDpT10_ENKUlT_T0_E_clISt17integral_constantIbLb0EES1B_IbLb1EEEEDaS17_S18_EUlS17_E_NS1_11comp_targetILNS1_3genE3ELNS1_11target_archE908ELNS1_3gpuE7ELNS1_3repE0EEENS1_30default_config_static_selectorELNS0_4arch9wavefront6targetE1EEEvT1_, .Lfunc_end834-_ZN7rocprim17ROCPRIM_400000_NS6detail17trampoline_kernelINS0_14default_configENS1_25partition_config_selectorILNS1_17partition_subalgoE8ElNS0_10empty_typeEbEEZZNS1_14partition_implILS5_8ELb0ES3_jPlPS6_PKS6_NS0_5tupleIJS9_S6_EEENSD_IJSA_SA_EEENS0_18inequality_wrapperIZN2at6native12_GLOBAL__N_124unique_dim_cuda_templateIdEESt5tupleIJNSH_6TensorESM_SM_EERKSM_lbbbEUlllE0_EEPmJS6_EEE10hipError_tPvRmT3_T4_T5_T6_T7_T9_mT8_P12ihipStream_tbDpT10_ENKUlT_T0_E_clISt17integral_constantIbLb0EES1B_IbLb1EEEEDaS17_S18_EUlS17_E_NS1_11comp_targetILNS1_3genE3ELNS1_11target_archE908ELNS1_3gpuE7ELNS1_3repE0EEENS1_30default_config_static_selectorELNS0_4arch9wavefront6targetE1EEEvT1_
                                        ; -- End function
	.set _ZN7rocprim17ROCPRIM_400000_NS6detail17trampoline_kernelINS0_14default_configENS1_25partition_config_selectorILNS1_17partition_subalgoE8ElNS0_10empty_typeEbEEZZNS1_14partition_implILS5_8ELb0ES3_jPlPS6_PKS6_NS0_5tupleIJS9_S6_EEENSD_IJSA_SA_EEENS0_18inequality_wrapperIZN2at6native12_GLOBAL__N_124unique_dim_cuda_templateIdEESt5tupleIJNSH_6TensorESM_SM_EERKSM_lbbbEUlllE0_EEPmJS6_EEE10hipError_tPvRmT3_T4_T5_T6_T7_T9_mT8_P12ihipStream_tbDpT10_ENKUlT_T0_E_clISt17integral_constantIbLb0EES1B_IbLb1EEEEDaS17_S18_EUlS17_E_NS1_11comp_targetILNS1_3genE3ELNS1_11target_archE908ELNS1_3gpuE7ELNS1_3repE0EEENS1_30default_config_static_selectorELNS0_4arch9wavefront6targetE1EEEvT1_.num_vgpr, 0
	.set _ZN7rocprim17ROCPRIM_400000_NS6detail17trampoline_kernelINS0_14default_configENS1_25partition_config_selectorILNS1_17partition_subalgoE8ElNS0_10empty_typeEbEEZZNS1_14partition_implILS5_8ELb0ES3_jPlPS6_PKS6_NS0_5tupleIJS9_S6_EEENSD_IJSA_SA_EEENS0_18inequality_wrapperIZN2at6native12_GLOBAL__N_124unique_dim_cuda_templateIdEESt5tupleIJNSH_6TensorESM_SM_EERKSM_lbbbEUlllE0_EEPmJS6_EEE10hipError_tPvRmT3_T4_T5_T6_T7_T9_mT8_P12ihipStream_tbDpT10_ENKUlT_T0_E_clISt17integral_constantIbLb0EES1B_IbLb1EEEEDaS17_S18_EUlS17_E_NS1_11comp_targetILNS1_3genE3ELNS1_11target_archE908ELNS1_3gpuE7ELNS1_3repE0EEENS1_30default_config_static_selectorELNS0_4arch9wavefront6targetE1EEEvT1_.num_agpr, 0
	.set _ZN7rocprim17ROCPRIM_400000_NS6detail17trampoline_kernelINS0_14default_configENS1_25partition_config_selectorILNS1_17partition_subalgoE8ElNS0_10empty_typeEbEEZZNS1_14partition_implILS5_8ELb0ES3_jPlPS6_PKS6_NS0_5tupleIJS9_S6_EEENSD_IJSA_SA_EEENS0_18inequality_wrapperIZN2at6native12_GLOBAL__N_124unique_dim_cuda_templateIdEESt5tupleIJNSH_6TensorESM_SM_EERKSM_lbbbEUlllE0_EEPmJS6_EEE10hipError_tPvRmT3_T4_T5_T6_T7_T9_mT8_P12ihipStream_tbDpT10_ENKUlT_T0_E_clISt17integral_constantIbLb0EES1B_IbLb1EEEEDaS17_S18_EUlS17_E_NS1_11comp_targetILNS1_3genE3ELNS1_11target_archE908ELNS1_3gpuE7ELNS1_3repE0EEENS1_30default_config_static_selectorELNS0_4arch9wavefront6targetE1EEEvT1_.numbered_sgpr, 0
	.set _ZN7rocprim17ROCPRIM_400000_NS6detail17trampoline_kernelINS0_14default_configENS1_25partition_config_selectorILNS1_17partition_subalgoE8ElNS0_10empty_typeEbEEZZNS1_14partition_implILS5_8ELb0ES3_jPlPS6_PKS6_NS0_5tupleIJS9_S6_EEENSD_IJSA_SA_EEENS0_18inequality_wrapperIZN2at6native12_GLOBAL__N_124unique_dim_cuda_templateIdEESt5tupleIJNSH_6TensorESM_SM_EERKSM_lbbbEUlllE0_EEPmJS6_EEE10hipError_tPvRmT3_T4_T5_T6_T7_T9_mT8_P12ihipStream_tbDpT10_ENKUlT_T0_E_clISt17integral_constantIbLb0EES1B_IbLb1EEEEDaS17_S18_EUlS17_E_NS1_11comp_targetILNS1_3genE3ELNS1_11target_archE908ELNS1_3gpuE7ELNS1_3repE0EEENS1_30default_config_static_selectorELNS0_4arch9wavefront6targetE1EEEvT1_.num_named_barrier, 0
	.set _ZN7rocprim17ROCPRIM_400000_NS6detail17trampoline_kernelINS0_14default_configENS1_25partition_config_selectorILNS1_17partition_subalgoE8ElNS0_10empty_typeEbEEZZNS1_14partition_implILS5_8ELb0ES3_jPlPS6_PKS6_NS0_5tupleIJS9_S6_EEENSD_IJSA_SA_EEENS0_18inequality_wrapperIZN2at6native12_GLOBAL__N_124unique_dim_cuda_templateIdEESt5tupleIJNSH_6TensorESM_SM_EERKSM_lbbbEUlllE0_EEPmJS6_EEE10hipError_tPvRmT3_T4_T5_T6_T7_T9_mT8_P12ihipStream_tbDpT10_ENKUlT_T0_E_clISt17integral_constantIbLb0EES1B_IbLb1EEEEDaS17_S18_EUlS17_E_NS1_11comp_targetILNS1_3genE3ELNS1_11target_archE908ELNS1_3gpuE7ELNS1_3repE0EEENS1_30default_config_static_selectorELNS0_4arch9wavefront6targetE1EEEvT1_.private_seg_size, 0
	.set _ZN7rocprim17ROCPRIM_400000_NS6detail17trampoline_kernelINS0_14default_configENS1_25partition_config_selectorILNS1_17partition_subalgoE8ElNS0_10empty_typeEbEEZZNS1_14partition_implILS5_8ELb0ES3_jPlPS6_PKS6_NS0_5tupleIJS9_S6_EEENSD_IJSA_SA_EEENS0_18inequality_wrapperIZN2at6native12_GLOBAL__N_124unique_dim_cuda_templateIdEESt5tupleIJNSH_6TensorESM_SM_EERKSM_lbbbEUlllE0_EEPmJS6_EEE10hipError_tPvRmT3_T4_T5_T6_T7_T9_mT8_P12ihipStream_tbDpT10_ENKUlT_T0_E_clISt17integral_constantIbLb0EES1B_IbLb1EEEEDaS17_S18_EUlS17_E_NS1_11comp_targetILNS1_3genE3ELNS1_11target_archE908ELNS1_3gpuE7ELNS1_3repE0EEENS1_30default_config_static_selectorELNS0_4arch9wavefront6targetE1EEEvT1_.uses_vcc, 0
	.set _ZN7rocprim17ROCPRIM_400000_NS6detail17trampoline_kernelINS0_14default_configENS1_25partition_config_selectorILNS1_17partition_subalgoE8ElNS0_10empty_typeEbEEZZNS1_14partition_implILS5_8ELb0ES3_jPlPS6_PKS6_NS0_5tupleIJS9_S6_EEENSD_IJSA_SA_EEENS0_18inequality_wrapperIZN2at6native12_GLOBAL__N_124unique_dim_cuda_templateIdEESt5tupleIJNSH_6TensorESM_SM_EERKSM_lbbbEUlllE0_EEPmJS6_EEE10hipError_tPvRmT3_T4_T5_T6_T7_T9_mT8_P12ihipStream_tbDpT10_ENKUlT_T0_E_clISt17integral_constantIbLb0EES1B_IbLb1EEEEDaS17_S18_EUlS17_E_NS1_11comp_targetILNS1_3genE3ELNS1_11target_archE908ELNS1_3gpuE7ELNS1_3repE0EEENS1_30default_config_static_selectorELNS0_4arch9wavefront6targetE1EEEvT1_.uses_flat_scratch, 0
	.set _ZN7rocprim17ROCPRIM_400000_NS6detail17trampoline_kernelINS0_14default_configENS1_25partition_config_selectorILNS1_17partition_subalgoE8ElNS0_10empty_typeEbEEZZNS1_14partition_implILS5_8ELb0ES3_jPlPS6_PKS6_NS0_5tupleIJS9_S6_EEENSD_IJSA_SA_EEENS0_18inequality_wrapperIZN2at6native12_GLOBAL__N_124unique_dim_cuda_templateIdEESt5tupleIJNSH_6TensorESM_SM_EERKSM_lbbbEUlllE0_EEPmJS6_EEE10hipError_tPvRmT3_T4_T5_T6_T7_T9_mT8_P12ihipStream_tbDpT10_ENKUlT_T0_E_clISt17integral_constantIbLb0EES1B_IbLb1EEEEDaS17_S18_EUlS17_E_NS1_11comp_targetILNS1_3genE3ELNS1_11target_archE908ELNS1_3gpuE7ELNS1_3repE0EEENS1_30default_config_static_selectorELNS0_4arch9wavefront6targetE1EEEvT1_.has_dyn_sized_stack, 0
	.set _ZN7rocprim17ROCPRIM_400000_NS6detail17trampoline_kernelINS0_14default_configENS1_25partition_config_selectorILNS1_17partition_subalgoE8ElNS0_10empty_typeEbEEZZNS1_14partition_implILS5_8ELb0ES3_jPlPS6_PKS6_NS0_5tupleIJS9_S6_EEENSD_IJSA_SA_EEENS0_18inequality_wrapperIZN2at6native12_GLOBAL__N_124unique_dim_cuda_templateIdEESt5tupleIJNSH_6TensorESM_SM_EERKSM_lbbbEUlllE0_EEPmJS6_EEE10hipError_tPvRmT3_T4_T5_T6_T7_T9_mT8_P12ihipStream_tbDpT10_ENKUlT_T0_E_clISt17integral_constantIbLb0EES1B_IbLb1EEEEDaS17_S18_EUlS17_E_NS1_11comp_targetILNS1_3genE3ELNS1_11target_archE908ELNS1_3gpuE7ELNS1_3repE0EEENS1_30default_config_static_selectorELNS0_4arch9wavefront6targetE1EEEvT1_.has_recursion, 0
	.set _ZN7rocprim17ROCPRIM_400000_NS6detail17trampoline_kernelINS0_14default_configENS1_25partition_config_selectorILNS1_17partition_subalgoE8ElNS0_10empty_typeEbEEZZNS1_14partition_implILS5_8ELb0ES3_jPlPS6_PKS6_NS0_5tupleIJS9_S6_EEENSD_IJSA_SA_EEENS0_18inequality_wrapperIZN2at6native12_GLOBAL__N_124unique_dim_cuda_templateIdEESt5tupleIJNSH_6TensorESM_SM_EERKSM_lbbbEUlllE0_EEPmJS6_EEE10hipError_tPvRmT3_T4_T5_T6_T7_T9_mT8_P12ihipStream_tbDpT10_ENKUlT_T0_E_clISt17integral_constantIbLb0EES1B_IbLb1EEEEDaS17_S18_EUlS17_E_NS1_11comp_targetILNS1_3genE3ELNS1_11target_archE908ELNS1_3gpuE7ELNS1_3repE0EEENS1_30default_config_static_selectorELNS0_4arch9wavefront6targetE1EEEvT1_.has_indirect_call, 0
	.section	.AMDGPU.csdata,"",@progbits
; Kernel info:
; codeLenInByte = 0
; TotalNumSgprs: 6
; NumVgprs: 0
; NumAgprs: 0
; TotalNumVgprs: 0
; ScratchSize: 0
; MemoryBound: 0
; FloatMode: 240
; IeeeMode: 1
; LDSByteSize: 0 bytes/workgroup (compile time only)
; SGPRBlocks: 0
; VGPRBlocks: 0
; NumSGPRsForWavesPerEU: 6
; NumVGPRsForWavesPerEU: 1
; AccumOffset: 4
; Occupancy: 8
; WaveLimiterHint : 0
; COMPUTE_PGM_RSRC2:SCRATCH_EN: 0
; COMPUTE_PGM_RSRC2:USER_SGPR: 2
; COMPUTE_PGM_RSRC2:TRAP_HANDLER: 0
; COMPUTE_PGM_RSRC2:TGID_X_EN: 1
; COMPUTE_PGM_RSRC2:TGID_Y_EN: 0
; COMPUTE_PGM_RSRC2:TGID_Z_EN: 0
; COMPUTE_PGM_RSRC2:TIDIG_COMP_CNT: 0
; COMPUTE_PGM_RSRC3_GFX90A:ACCUM_OFFSET: 0
; COMPUTE_PGM_RSRC3_GFX90A:TG_SPLIT: 0
	.section	.text._ZN7rocprim17ROCPRIM_400000_NS6detail17trampoline_kernelINS0_14default_configENS1_25partition_config_selectorILNS1_17partition_subalgoE8ElNS0_10empty_typeEbEEZZNS1_14partition_implILS5_8ELb0ES3_jPlPS6_PKS6_NS0_5tupleIJS9_S6_EEENSD_IJSA_SA_EEENS0_18inequality_wrapperIZN2at6native12_GLOBAL__N_124unique_dim_cuda_templateIdEESt5tupleIJNSH_6TensorESM_SM_EERKSM_lbbbEUlllE0_EEPmJS6_EEE10hipError_tPvRmT3_T4_T5_T6_T7_T9_mT8_P12ihipStream_tbDpT10_ENKUlT_T0_E_clISt17integral_constantIbLb0EES1B_IbLb1EEEEDaS17_S18_EUlS17_E_NS1_11comp_targetILNS1_3genE2ELNS1_11target_archE906ELNS1_3gpuE6ELNS1_3repE0EEENS1_30default_config_static_selectorELNS0_4arch9wavefront6targetE1EEEvT1_,"axG",@progbits,_ZN7rocprim17ROCPRIM_400000_NS6detail17trampoline_kernelINS0_14default_configENS1_25partition_config_selectorILNS1_17partition_subalgoE8ElNS0_10empty_typeEbEEZZNS1_14partition_implILS5_8ELb0ES3_jPlPS6_PKS6_NS0_5tupleIJS9_S6_EEENSD_IJSA_SA_EEENS0_18inequality_wrapperIZN2at6native12_GLOBAL__N_124unique_dim_cuda_templateIdEESt5tupleIJNSH_6TensorESM_SM_EERKSM_lbbbEUlllE0_EEPmJS6_EEE10hipError_tPvRmT3_T4_T5_T6_T7_T9_mT8_P12ihipStream_tbDpT10_ENKUlT_T0_E_clISt17integral_constantIbLb0EES1B_IbLb1EEEEDaS17_S18_EUlS17_E_NS1_11comp_targetILNS1_3genE2ELNS1_11target_archE906ELNS1_3gpuE6ELNS1_3repE0EEENS1_30default_config_static_selectorELNS0_4arch9wavefront6targetE1EEEvT1_,comdat
	.globl	_ZN7rocprim17ROCPRIM_400000_NS6detail17trampoline_kernelINS0_14default_configENS1_25partition_config_selectorILNS1_17partition_subalgoE8ElNS0_10empty_typeEbEEZZNS1_14partition_implILS5_8ELb0ES3_jPlPS6_PKS6_NS0_5tupleIJS9_S6_EEENSD_IJSA_SA_EEENS0_18inequality_wrapperIZN2at6native12_GLOBAL__N_124unique_dim_cuda_templateIdEESt5tupleIJNSH_6TensorESM_SM_EERKSM_lbbbEUlllE0_EEPmJS6_EEE10hipError_tPvRmT3_T4_T5_T6_T7_T9_mT8_P12ihipStream_tbDpT10_ENKUlT_T0_E_clISt17integral_constantIbLb0EES1B_IbLb1EEEEDaS17_S18_EUlS17_E_NS1_11comp_targetILNS1_3genE2ELNS1_11target_archE906ELNS1_3gpuE6ELNS1_3repE0EEENS1_30default_config_static_selectorELNS0_4arch9wavefront6targetE1EEEvT1_ ; -- Begin function _ZN7rocprim17ROCPRIM_400000_NS6detail17trampoline_kernelINS0_14default_configENS1_25partition_config_selectorILNS1_17partition_subalgoE8ElNS0_10empty_typeEbEEZZNS1_14partition_implILS5_8ELb0ES3_jPlPS6_PKS6_NS0_5tupleIJS9_S6_EEENSD_IJSA_SA_EEENS0_18inequality_wrapperIZN2at6native12_GLOBAL__N_124unique_dim_cuda_templateIdEESt5tupleIJNSH_6TensorESM_SM_EERKSM_lbbbEUlllE0_EEPmJS6_EEE10hipError_tPvRmT3_T4_T5_T6_T7_T9_mT8_P12ihipStream_tbDpT10_ENKUlT_T0_E_clISt17integral_constantIbLb0EES1B_IbLb1EEEEDaS17_S18_EUlS17_E_NS1_11comp_targetILNS1_3genE2ELNS1_11target_archE906ELNS1_3gpuE6ELNS1_3repE0EEENS1_30default_config_static_selectorELNS0_4arch9wavefront6targetE1EEEvT1_
	.p2align	8
	.type	_ZN7rocprim17ROCPRIM_400000_NS6detail17trampoline_kernelINS0_14default_configENS1_25partition_config_selectorILNS1_17partition_subalgoE8ElNS0_10empty_typeEbEEZZNS1_14partition_implILS5_8ELb0ES3_jPlPS6_PKS6_NS0_5tupleIJS9_S6_EEENSD_IJSA_SA_EEENS0_18inequality_wrapperIZN2at6native12_GLOBAL__N_124unique_dim_cuda_templateIdEESt5tupleIJNSH_6TensorESM_SM_EERKSM_lbbbEUlllE0_EEPmJS6_EEE10hipError_tPvRmT3_T4_T5_T6_T7_T9_mT8_P12ihipStream_tbDpT10_ENKUlT_T0_E_clISt17integral_constantIbLb0EES1B_IbLb1EEEEDaS17_S18_EUlS17_E_NS1_11comp_targetILNS1_3genE2ELNS1_11target_archE906ELNS1_3gpuE6ELNS1_3repE0EEENS1_30default_config_static_selectorELNS0_4arch9wavefront6targetE1EEEvT1_,@function
_ZN7rocprim17ROCPRIM_400000_NS6detail17trampoline_kernelINS0_14default_configENS1_25partition_config_selectorILNS1_17partition_subalgoE8ElNS0_10empty_typeEbEEZZNS1_14partition_implILS5_8ELb0ES3_jPlPS6_PKS6_NS0_5tupleIJS9_S6_EEENSD_IJSA_SA_EEENS0_18inequality_wrapperIZN2at6native12_GLOBAL__N_124unique_dim_cuda_templateIdEESt5tupleIJNSH_6TensorESM_SM_EERKSM_lbbbEUlllE0_EEPmJS6_EEE10hipError_tPvRmT3_T4_T5_T6_T7_T9_mT8_P12ihipStream_tbDpT10_ENKUlT_T0_E_clISt17integral_constantIbLb0EES1B_IbLb1EEEEDaS17_S18_EUlS17_E_NS1_11comp_targetILNS1_3genE2ELNS1_11target_archE906ELNS1_3gpuE6ELNS1_3repE0EEENS1_30default_config_static_selectorELNS0_4arch9wavefront6targetE1EEEvT1_: ; @_ZN7rocprim17ROCPRIM_400000_NS6detail17trampoline_kernelINS0_14default_configENS1_25partition_config_selectorILNS1_17partition_subalgoE8ElNS0_10empty_typeEbEEZZNS1_14partition_implILS5_8ELb0ES3_jPlPS6_PKS6_NS0_5tupleIJS9_S6_EEENSD_IJSA_SA_EEENS0_18inequality_wrapperIZN2at6native12_GLOBAL__N_124unique_dim_cuda_templateIdEESt5tupleIJNSH_6TensorESM_SM_EERKSM_lbbbEUlllE0_EEPmJS6_EEE10hipError_tPvRmT3_T4_T5_T6_T7_T9_mT8_P12ihipStream_tbDpT10_ENKUlT_T0_E_clISt17integral_constantIbLb0EES1B_IbLb1EEEEDaS17_S18_EUlS17_E_NS1_11comp_targetILNS1_3genE2ELNS1_11target_archE906ELNS1_3gpuE6ELNS1_3repE0EEENS1_30default_config_static_selectorELNS0_4arch9wavefront6targetE1EEEvT1_
; %bb.0:
	.section	.rodata,"a",@progbits
	.p2align	6, 0x0
	.amdhsa_kernel _ZN7rocprim17ROCPRIM_400000_NS6detail17trampoline_kernelINS0_14default_configENS1_25partition_config_selectorILNS1_17partition_subalgoE8ElNS0_10empty_typeEbEEZZNS1_14partition_implILS5_8ELb0ES3_jPlPS6_PKS6_NS0_5tupleIJS9_S6_EEENSD_IJSA_SA_EEENS0_18inequality_wrapperIZN2at6native12_GLOBAL__N_124unique_dim_cuda_templateIdEESt5tupleIJNSH_6TensorESM_SM_EERKSM_lbbbEUlllE0_EEPmJS6_EEE10hipError_tPvRmT3_T4_T5_T6_T7_T9_mT8_P12ihipStream_tbDpT10_ENKUlT_T0_E_clISt17integral_constantIbLb0EES1B_IbLb1EEEEDaS17_S18_EUlS17_E_NS1_11comp_targetILNS1_3genE2ELNS1_11target_archE906ELNS1_3gpuE6ELNS1_3repE0EEENS1_30default_config_static_selectorELNS0_4arch9wavefront6targetE1EEEvT1_
		.amdhsa_group_segment_fixed_size 0
		.amdhsa_private_segment_fixed_size 0
		.amdhsa_kernarg_size 136
		.amdhsa_user_sgpr_count 2
		.amdhsa_user_sgpr_dispatch_ptr 0
		.amdhsa_user_sgpr_queue_ptr 0
		.amdhsa_user_sgpr_kernarg_segment_ptr 1
		.amdhsa_user_sgpr_dispatch_id 0
		.amdhsa_user_sgpr_kernarg_preload_length 0
		.amdhsa_user_sgpr_kernarg_preload_offset 0
		.amdhsa_user_sgpr_private_segment_size 0
		.amdhsa_uses_dynamic_stack 0
		.amdhsa_enable_private_segment 0
		.amdhsa_system_sgpr_workgroup_id_x 1
		.amdhsa_system_sgpr_workgroup_id_y 0
		.amdhsa_system_sgpr_workgroup_id_z 0
		.amdhsa_system_sgpr_workgroup_info 0
		.amdhsa_system_vgpr_workitem_id 0
		.amdhsa_next_free_vgpr 1
		.amdhsa_next_free_sgpr 0
		.amdhsa_accum_offset 4
		.amdhsa_reserve_vcc 0
		.amdhsa_float_round_mode_32 0
		.amdhsa_float_round_mode_16_64 0
		.amdhsa_float_denorm_mode_32 3
		.amdhsa_float_denorm_mode_16_64 3
		.amdhsa_dx10_clamp 1
		.amdhsa_ieee_mode 1
		.amdhsa_fp16_overflow 0
		.amdhsa_tg_split 0
		.amdhsa_exception_fp_ieee_invalid_op 0
		.amdhsa_exception_fp_denorm_src 0
		.amdhsa_exception_fp_ieee_div_zero 0
		.amdhsa_exception_fp_ieee_overflow 0
		.amdhsa_exception_fp_ieee_underflow 0
		.amdhsa_exception_fp_ieee_inexact 0
		.amdhsa_exception_int_div_zero 0
	.end_amdhsa_kernel
	.section	.text._ZN7rocprim17ROCPRIM_400000_NS6detail17trampoline_kernelINS0_14default_configENS1_25partition_config_selectorILNS1_17partition_subalgoE8ElNS0_10empty_typeEbEEZZNS1_14partition_implILS5_8ELb0ES3_jPlPS6_PKS6_NS0_5tupleIJS9_S6_EEENSD_IJSA_SA_EEENS0_18inequality_wrapperIZN2at6native12_GLOBAL__N_124unique_dim_cuda_templateIdEESt5tupleIJNSH_6TensorESM_SM_EERKSM_lbbbEUlllE0_EEPmJS6_EEE10hipError_tPvRmT3_T4_T5_T6_T7_T9_mT8_P12ihipStream_tbDpT10_ENKUlT_T0_E_clISt17integral_constantIbLb0EES1B_IbLb1EEEEDaS17_S18_EUlS17_E_NS1_11comp_targetILNS1_3genE2ELNS1_11target_archE906ELNS1_3gpuE6ELNS1_3repE0EEENS1_30default_config_static_selectorELNS0_4arch9wavefront6targetE1EEEvT1_,"axG",@progbits,_ZN7rocprim17ROCPRIM_400000_NS6detail17trampoline_kernelINS0_14default_configENS1_25partition_config_selectorILNS1_17partition_subalgoE8ElNS0_10empty_typeEbEEZZNS1_14partition_implILS5_8ELb0ES3_jPlPS6_PKS6_NS0_5tupleIJS9_S6_EEENSD_IJSA_SA_EEENS0_18inequality_wrapperIZN2at6native12_GLOBAL__N_124unique_dim_cuda_templateIdEESt5tupleIJNSH_6TensorESM_SM_EERKSM_lbbbEUlllE0_EEPmJS6_EEE10hipError_tPvRmT3_T4_T5_T6_T7_T9_mT8_P12ihipStream_tbDpT10_ENKUlT_T0_E_clISt17integral_constantIbLb0EES1B_IbLb1EEEEDaS17_S18_EUlS17_E_NS1_11comp_targetILNS1_3genE2ELNS1_11target_archE906ELNS1_3gpuE6ELNS1_3repE0EEENS1_30default_config_static_selectorELNS0_4arch9wavefront6targetE1EEEvT1_,comdat
.Lfunc_end835:
	.size	_ZN7rocprim17ROCPRIM_400000_NS6detail17trampoline_kernelINS0_14default_configENS1_25partition_config_selectorILNS1_17partition_subalgoE8ElNS0_10empty_typeEbEEZZNS1_14partition_implILS5_8ELb0ES3_jPlPS6_PKS6_NS0_5tupleIJS9_S6_EEENSD_IJSA_SA_EEENS0_18inequality_wrapperIZN2at6native12_GLOBAL__N_124unique_dim_cuda_templateIdEESt5tupleIJNSH_6TensorESM_SM_EERKSM_lbbbEUlllE0_EEPmJS6_EEE10hipError_tPvRmT3_T4_T5_T6_T7_T9_mT8_P12ihipStream_tbDpT10_ENKUlT_T0_E_clISt17integral_constantIbLb0EES1B_IbLb1EEEEDaS17_S18_EUlS17_E_NS1_11comp_targetILNS1_3genE2ELNS1_11target_archE906ELNS1_3gpuE6ELNS1_3repE0EEENS1_30default_config_static_selectorELNS0_4arch9wavefront6targetE1EEEvT1_, .Lfunc_end835-_ZN7rocprim17ROCPRIM_400000_NS6detail17trampoline_kernelINS0_14default_configENS1_25partition_config_selectorILNS1_17partition_subalgoE8ElNS0_10empty_typeEbEEZZNS1_14partition_implILS5_8ELb0ES3_jPlPS6_PKS6_NS0_5tupleIJS9_S6_EEENSD_IJSA_SA_EEENS0_18inequality_wrapperIZN2at6native12_GLOBAL__N_124unique_dim_cuda_templateIdEESt5tupleIJNSH_6TensorESM_SM_EERKSM_lbbbEUlllE0_EEPmJS6_EEE10hipError_tPvRmT3_T4_T5_T6_T7_T9_mT8_P12ihipStream_tbDpT10_ENKUlT_T0_E_clISt17integral_constantIbLb0EES1B_IbLb1EEEEDaS17_S18_EUlS17_E_NS1_11comp_targetILNS1_3genE2ELNS1_11target_archE906ELNS1_3gpuE6ELNS1_3repE0EEENS1_30default_config_static_selectorELNS0_4arch9wavefront6targetE1EEEvT1_
                                        ; -- End function
	.set _ZN7rocprim17ROCPRIM_400000_NS6detail17trampoline_kernelINS0_14default_configENS1_25partition_config_selectorILNS1_17partition_subalgoE8ElNS0_10empty_typeEbEEZZNS1_14partition_implILS5_8ELb0ES3_jPlPS6_PKS6_NS0_5tupleIJS9_S6_EEENSD_IJSA_SA_EEENS0_18inequality_wrapperIZN2at6native12_GLOBAL__N_124unique_dim_cuda_templateIdEESt5tupleIJNSH_6TensorESM_SM_EERKSM_lbbbEUlllE0_EEPmJS6_EEE10hipError_tPvRmT3_T4_T5_T6_T7_T9_mT8_P12ihipStream_tbDpT10_ENKUlT_T0_E_clISt17integral_constantIbLb0EES1B_IbLb1EEEEDaS17_S18_EUlS17_E_NS1_11comp_targetILNS1_3genE2ELNS1_11target_archE906ELNS1_3gpuE6ELNS1_3repE0EEENS1_30default_config_static_selectorELNS0_4arch9wavefront6targetE1EEEvT1_.num_vgpr, 0
	.set _ZN7rocprim17ROCPRIM_400000_NS6detail17trampoline_kernelINS0_14default_configENS1_25partition_config_selectorILNS1_17partition_subalgoE8ElNS0_10empty_typeEbEEZZNS1_14partition_implILS5_8ELb0ES3_jPlPS6_PKS6_NS0_5tupleIJS9_S6_EEENSD_IJSA_SA_EEENS0_18inequality_wrapperIZN2at6native12_GLOBAL__N_124unique_dim_cuda_templateIdEESt5tupleIJNSH_6TensorESM_SM_EERKSM_lbbbEUlllE0_EEPmJS6_EEE10hipError_tPvRmT3_T4_T5_T6_T7_T9_mT8_P12ihipStream_tbDpT10_ENKUlT_T0_E_clISt17integral_constantIbLb0EES1B_IbLb1EEEEDaS17_S18_EUlS17_E_NS1_11comp_targetILNS1_3genE2ELNS1_11target_archE906ELNS1_3gpuE6ELNS1_3repE0EEENS1_30default_config_static_selectorELNS0_4arch9wavefront6targetE1EEEvT1_.num_agpr, 0
	.set _ZN7rocprim17ROCPRIM_400000_NS6detail17trampoline_kernelINS0_14default_configENS1_25partition_config_selectorILNS1_17partition_subalgoE8ElNS0_10empty_typeEbEEZZNS1_14partition_implILS5_8ELb0ES3_jPlPS6_PKS6_NS0_5tupleIJS9_S6_EEENSD_IJSA_SA_EEENS0_18inequality_wrapperIZN2at6native12_GLOBAL__N_124unique_dim_cuda_templateIdEESt5tupleIJNSH_6TensorESM_SM_EERKSM_lbbbEUlllE0_EEPmJS6_EEE10hipError_tPvRmT3_T4_T5_T6_T7_T9_mT8_P12ihipStream_tbDpT10_ENKUlT_T0_E_clISt17integral_constantIbLb0EES1B_IbLb1EEEEDaS17_S18_EUlS17_E_NS1_11comp_targetILNS1_3genE2ELNS1_11target_archE906ELNS1_3gpuE6ELNS1_3repE0EEENS1_30default_config_static_selectorELNS0_4arch9wavefront6targetE1EEEvT1_.numbered_sgpr, 0
	.set _ZN7rocprim17ROCPRIM_400000_NS6detail17trampoline_kernelINS0_14default_configENS1_25partition_config_selectorILNS1_17partition_subalgoE8ElNS0_10empty_typeEbEEZZNS1_14partition_implILS5_8ELb0ES3_jPlPS6_PKS6_NS0_5tupleIJS9_S6_EEENSD_IJSA_SA_EEENS0_18inequality_wrapperIZN2at6native12_GLOBAL__N_124unique_dim_cuda_templateIdEESt5tupleIJNSH_6TensorESM_SM_EERKSM_lbbbEUlllE0_EEPmJS6_EEE10hipError_tPvRmT3_T4_T5_T6_T7_T9_mT8_P12ihipStream_tbDpT10_ENKUlT_T0_E_clISt17integral_constantIbLb0EES1B_IbLb1EEEEDaS17_S18_EUlS17_E_NS1_11comp_targetILNS1_3genE2ELNS1_11target_archE906ELNS1_3gpuE6ELNS1_3repE0EEENS1_30default_config_static_selectorELNS0_4arch9wavefront6targetE1EEEvT1_.num_named_barrier, 0
	.set _ZN7rocprim17ROCPRIM_400000_NS6detail17trampoline_kernelINS0_14default_configENS1_25partition_config_selectorILNS1_17partition_subalgoE8ElNS0_10empty_typeEbEEZZNS1_14partition_implILS5_8ELb0ES3_jPlPS6_PKS6_NS0_5tupleIJS9_S6_EEENSD_IJSA_SA_EEENS0_18inequality_wrapperIZN2at6native12_GLOBAL__N_124unique_dim_cuda_templateIdEESt5tupleIJNSH_6TensorESM_SM_EERKSM_lbbbEUlllE0_EEPmJS6_EEE10hipError_tPvRmT3_T4_T5_T6_T7_T9_mT8_P12ihipStream_tbDpT10_ENKUlT_T0_E_clISt17integral_constantIbLb0EES1B_IbLb1EEEEDaS17_S18_EUlS17_E_NS1_11comp_targetILNS1_3genE2ELNS1_11target_archE906ELNS1_3gpuE6ELNS1_3repE0EEENS1_30default_config_static_selectorELNS0_4arch9wavefront6targetE1EEEvT1_.private_seg_size, 0
	.set _ZN7rocprim17ROCPRIM_400000_NS6detail17trampoline_kernelINS0_14default_configENS1_25partition_config_selectorILNS1_17partition_subalgoE8ElNS0_10empty_typeEbEEZZNS1_14partition_implILS5_8ELb0ES3_jPlPS6_PKS6_NS0_5tupleIJS9_S6_EEENSD_IJSA_SA_EEENS0_18inequality_wrapperIZN2at6native12_GLOBAL__N_124unique_dim_cuda_templateIdEESt5tupleIJNSH_6TensorESM_SM_EERKSM_lbbbEUlllE0_EEPmJS6_EEE10hipError_tPvRmT3_T4_T5_T6_T7_T9_mT8_P12ihipStream_tbDpT10_ENKUlT_T0_E_clISt17integral_constantIbLb0EES1B_IbLb1EEEEDaS17_S18_EUlS17_E_NS1_11comp_targetILNS1_3genE2ELNS1_11target_archE906ELNS1_3gpuE6ELNS1_3repE0EEENS1_30default_config_static_selectorELNS0_4arch9wavefront6targetE1EEEvT1_.uses_vcc, 0
	.set _ZN7rocprim17ROCPRIM_400000_NS6detail17trampoline_kernelINS0_14default_configENS1_25partition_config_selectorILNS1_17partition_subalgoE8ElNS0_10empty_typeEbEEZZNS1_14partition_implILS5_8ELb0ES3_jPlPS6_PKS6_NS0_5tupleIJS9_S6_EEENSD_IJSA_SA_EEENS0_18inequality_wrapperIZN2at6native12_GLOBAL__N_124unique_dim_cuda_templateIdEESt5tupleIJNSH_6TensorESM_SM_EERKSM_lbbbEUlllE0_EEPmJS6_EEE10hipError_tPvRmT3_T4_T5_T6_T7_T9_mT8_P12ihipStream_tbDpT10_ENKUlT_T0_E_clISt17integral_constantIbLb0EES1B_IbLb1EEEEDaS17_S18_EUlS17_E_NS1_11comp_targetILNS1_3genE2ELNS1_11target_archE906ELNS1_3gpuE6ELNS1_3repE0EEENS1_30default_config_static_selectorELNS0_4arch9wavefront6targetE1EEEvT1_.uses_flat_scratch, 0
	.set _ZN7rocprim17ROCPRIM_400000_NS6detail17trampoline_kernelINS0_14default_configENS1_25partition_config_selectorILNS1_17partition_subalgoE8ElNS0_10empty_typeEbEEZZNS1_14partition_implILS5_8ELb0ES3_jPlPS6_PKS6_NS0_5tupleIJS9_S6_EEENSD_IJSA_SA_EEENS0_18inequality_wrapperIZN2at6native12_GLOBAL__N_124unique_dim_cuda_templateIdEESt5tupleIJNSH_6TensorESM_SM_EERKSM_lbbbEUlllE0_EEPmJS6_EEE10hipError_tPvRmT3_T4_T5_T6_T7_T9_mT8_P12ihipStream_tbDpT10_ENKUlT_T0_E_clISt17integral_constantIbLb0EES1B_IbLb1EEEEDaS17_S18_EUlS17_E_NS1_11comp_targetILNS1_3genE2ELNS1_11target_archE906ELNS1_3gpuE6ELNS1_3repE0EEENS1_30default_config_static_selectorELNS0_4arch9wavefront6targetE1EEEvT1_.has_dyn_sized_stack, 0
	.set _ZN7rocprim17ROCPRIM_400000_NS6detail17trampoline_kernelINS0_14default_configENS1_25partition_config_selectorILNS1_17partition_subalgoE8ElNS0_10empty_typeEbEEZZNS1_14partition_implILS5_8ELb0ES3_jPlPS6_PKS6_NS0_5tupleIJS9_S6_EEENSD_IJSA_SA_EEENS0_18inequality_wrapperIZN2at6native12_GLOBAL__N_124unique_dim_cuda_templateIdEESt5tupleIJNSH_6TensorESM_SM_EERKSM_lbbbEUlllE0_EEPmJS6_EEE10hipError_tPvRmT3_T4_T5_T6_T7_T9_mT8_P12ihipStream_tbDpT10_ENKUlT_T0_E_clISt17integral_constantIbLb0EES1B_IbLb1EEEEDaS17_S18_EUlS17_E_NS1_11comp_targetILNS1_3genE2ELNS1_11target_archE906ELNS1_3gpuE6ELNS1_3repE0EEENS1_30default_config_static_selectorELNS0_4arch9wavefront6targetE1EEEvT1_.has_recursion, 0
	.set _ZN7rocprim17ROCPRIM_400000_NS6detail17trampoline_kernelINS0_14default_configENS1_25partition_config_selectorILNS1_17partition_subalgoE8ElNS0_10empty_typeEbEEZZNS1_14partition_implILS5_8ELb0ES3_jPlPS6_PKS6_NS0_5tupleIJS9_S6_EEENSD_IJSA_SA_EEENS0_18inequality_wrapperIZN2at6native12_GLOBAL__N_124unique_dim_cuda_templateIdEESt5tupleIJNSH_6TensorESM_SM_EERKSM_lbbbEUlllE0_EEPmJS6_EEE10hipError_tPvRmT3_T4_T5_T6_T7_T9_mT8_P12ihipStream_tbDpT10_ENKUlT_T0_E_clISt17integral_constantIbLb0EES1B_IbLb1EEEEDaS17_S18_EUlS17_E_NS1_11comp_targetILNS1_3genE2ELNS1_11target_archE906ELNS1_3gpuE6ELNS1_3repE0EEENS1_30default_config_static_selectorELNS0_4arch9wavefront6targetE1EEEvT1_.has_indirect_call, 0
	.section	.AMDGPU.csdata,"",@progbits
; Kernel info:
; codeLenInByte = 0
; TotalNumSgprs: 6
; NumVgprs: 0
; NumAgprs: 0
; TotalNumVgprs: 0
; ScratchSize: 0
; MemoryBound: 0
; FloatMode: 240
; IeeeMode: 1
; LDSByteSize: 0 bytes/workgroup (compile time only)
; SGPRBlocks: 0
; VGPRBlocks: 0
; NumSGPRsForWavesPerEU: 6
; NumVGPRsForWavesPerEU: 1
; AccumOffset: 4
; Occupancy: 8
; WaveLimiterHint : 0
; COMPUTE_PGM_RSRC2:SCRATCH_EN: 0
; COMPUTE_PGM_RSRC2:USER_SGPR: 2
; COMPUTE_PGM_RSRC2:TRAP_HANDLER: 0
; COMPUTE_PGM_RSRC2:TGID_X_EN: 1
; COMPUTE_PGM_RSRC2:TGID_Y_EN: 0
; COMPUTE_PGM_RSRC2:TGID_Z_EN: 0
; COMPUTE_PGM_RSRC2:TIDIG_COMP_CNT: 0
; COMPUTE_PGM_RSRC3_GFX90A:ACCUM_OFFSET: 0
; COMPUTE_PGM_RSRC3_GFX90A:TG_SPLIT: 0
	.section	.text._ZN7rocprim17ROCPRIM_400000_NS6detail17trampoline_kernelINS0_14default_configENS1_25partition_config_selectorILNS1_17partition_subalgoE8ElNS0_10empty_typeEbEEZZNS1_14partition_implILS5_8ELb0ES3_jPlPS6_PKS6_NS0_5tupleIJS9_S6_EEENSD_IJSA_SA_EEENS0_18inequality_wrapperIZN2at6native12_GLOBAL__N_124unique_dim_cuda_templateIdEESt5tupleIJNSH_6TensorESM_SM_EERKSM_lbbbEUlllE0_EEPmJS6_EEE10hipError_tPvRmT3_T4_T5_T6_T7_T9_mT8_P12ihipStream_tbDpT10_ENKUlT_T0_E_clISt17integral_constantIbLb0EES1B_IbLb1EEEEDaS17_S18_EUlS17_E_NS1_11comp_targetILNS1_3genE10ELNS1_11target_archE1200ELNS1_3gpuE4ELNS1_3repE0EEENS1_30default_config_static_selectorELNS0_4arch9wavefront6targetE1EEEvT1_,"axG",@progbits,_ZN7rocprim17ROCPRIM_400000_NS6detail17trampoline_kernelINS0_14default_configENS1_25partition_config_selectorILNS1_17partition_subalgoE8ElNS0_10empty_typeEbEEZZNS1_14partition_implILS5_8ELb0ES3_jPlPS6_PKS6_NS0_5tupleIJS9_S6_EEENSD_IJSA_SA_EEENS0_18inequality_wrapperIZN2at6native12_GLOBAL__N_124unique_dim_cuda_templateIdEESt5tupleIJNSH_6TensorESM_SM_EERKSM_lbbbEUlllE0_EEPmJS6_EEE10hipError_tPvRmT3_T4_T5_T6_T7_T9_mT8_P12ihipStream_tbDpT10_ENKUlT_T0_E_clISt17integral_constantIbLb0EES1B_IbLb1EEEEDaS17_S18_EUlS17_E_NS1_11comp_targetILNS1_3genE10ELNS1_11target_archE1200ELNS1_3gpuE4ELNS1_3repE0EEENS1_30default_config_static_selectorELNS0_4arch9wavefront6targetE1EEEvT1_,comdat
	.globl	_ZN7rocprim17ROCPRIM_400000_NS6detail17trampoline_kernelINS0_14default_configENS1_25partition_config_selectorILNS1_17partition_subalgoE8ElNS0_10empty_typeEbEEZZNS1_14partition_implILS5_8ELb0ES3_jPlPS6_PKS6_NS0_5tupleIJS9_S6_EEENSD_IJSA_SA_EEENS0_18inequality_wrapperIZN2at6native12_GLOBAL__N_124unique_dim_cuda_templateIdEESt5tupleIJNSH_6TensorESM_SM_EERKSM_lbbbEUlllE0_EEPmJS6_EEE10hipError_tPvRmT3_T4_T5_T6_T7_T9_mT8_P12ihipStream_tbDpT10_ENKUlT_T0_E_clISt17integral_constantIbLb0EES1B_IbLb1EEEEDaS17_S18_EUlS17_E_NS1_11comp_targetILNS1_3genE10ELNS1_11target_archE1200ELNS1_3gpuE4ELNS1_3repE0EEENS1_30default_config_static_selectorELNS0_4arch9wavefront6targetE1EEEvT1_ ; -- Begin function _ZN7rocprim17ROCPRIM_400000_NS6detail17trampoline_kernelINS0_14default_configENS1_25partition_config_selectorILNS1_17partition_subalgoE8ElNS0_10empty_typeEbEEZZNS1_14partition_implILS5_8ELb0ES3_jPlPS6_PKS6_NS0_5tupleIJS9_S6_EEENSD_IJSA_SA_EEENS0_18inequality_wrapperIZN2at6native12_GLOBAL__N_124unique_dim_cuda_templateIdEESt5tupleIJNSH_6TensorESM_SM_EERKSM_lbbbEUlllE0_EEPmJS6_EEE10hipError_tPvRmT3_T4_T5_T6_T7_T9_mT8_P12ihipStream_tbDpT10_ENKUlT_T0_E_clISt17integral_constantIbLb0EES1B_IbLb1EEEEDaS17_S18_EUlS17_E_NS1_11comp_targetILNS1_3genE10ELNS1_11target_archE1200ELNS1_3gpuE4ELNS1_3repE0EEENS1_30default_config_static_selectorELNS0_4arch9wavefront6targetE1EEEvT1_
	.p2align	8
	.type	_ZN7rocprim17ROCPRIM_400000_NS6detail17trampoline_kernelINS0_14default_configENS1_25partition_config_selectorILNS1_17partition_subalgoE8ElNS0_10empty_typeEbEEZZNS1_14partition_implILS5_8ELb0ES3_jPlPS6_PKS6_NS0_5tupleIJS9_S6_EEENSD_IJSA_SA_EEENS0_18inequality_wrapperIZN2at6native12_GLOBAL__N_124unique_dim_cuda_templateIdEESt5tupleIJNSH_6TensorESM_SM_EERKSM_lbbbEUlllE0_EEPmJS6_EEE10hipError_tPvRmT3_T4_T5_T6_T7_T9_mT8_P12ihipStream_tbDpT10_ENKUlT_T0_E_clISt17integral_constantIbLb0EES1B_IbLb1EEEEDaS17_S18_EUlS17_E_NS1_11comp_targetILNS1_3genE10ELNS1_11target_archE1200ELNS1_3gpuE4ELNS1_3repE0EEENS1_30default_config_static_selectorELNS0_4arch9wavefront6targetE1EEEvT1_,@function
_ZN7rocprim17ROCPRIM_400000_NS6detail17trampoline_kernelINS0_14default_configENS1_25partition_config_selectorILNS1_17partition_subalgoE8ElNS0_10empty_typeEbEEZZNS1_14partition_implILS5_8ELb0ES3_jPlPS6_PKS6_NS0_5tupleIJS9_S6_EEENSD_IJSA_SA_EEENS0_18inequality_wrapperIZN2at6native12_GLOBAL__N_124unique_dim_cuda_templateIdEESt5tupleIJNSH_6TensorESM_SM_EERKSM_lbbbEUlllE0_EEPmJS6_EEE10hipError_tPvRmT3_T4_T5_T6_T7_T9_mT8_P12ihipStream_tbDpT10_ENKUlT_T0_E_clISt17integral_constantIbLb0EES1B_IbLb1EEEEDaS17_S18_EUlS17_E_NS1_11comp_targetILNS1_3genE10ELNS1_11target_archE1200ELNS1_3gpuE4ELNS1_3repE0EEENS1_30default_config_static_selectorELNS0_4arch9wavefront6targetE1EEEvT1_: ; @_ZN7rocprim17ROCPRIM_400000_NS6detail17trampoline_kernelINS0_14default_configENS1_25partition_config_selectorILNS1_17partition_subalgoE8ElNS0_10empty_typeEbEEZZNS1_14partition_implILS5_8ELb0ES3_jPlPS6_PKS6_NS0_5tupleIJS9_S6_EEENSD_IJSA_SA_EEENS0_18inequality_wrapperIZN2at6native12_GLOBAL__N_124unique_dim_cuda_templateIdEESt5tupleIJNSH_6TensorESM_SM_EERKSM_lbbbEUlllE0_EEPmJS6_EEE10hipError_tPvRmT3_T4_T5_T6_T7_T9_mT8_P12ihipStream_tbDpT10_ENKUlT_T0_E_clISt17integral_constantIbLb0EES1B_IbLb1EEEEDaS17_S18_EUlS17_E_NS1_11comp_targetILNS1_3genE10ELNS1_11target_archE1200ELNS1_3gpuE4ELNS1_3repE0EEENS1_30default_config_static_selectorELNS0_4arch9wavefront6targetE1EEEvT1_
; %bb.0:
	.section	.rodata,"a",@progbits
	.p2align	6, 0x0
	.amdhsa_kernel _ZN7rocprim17ROCPRIM_400000_NS6detail17trampoline_kernelINS0_14default_configENS1_25partition_config_selectorILNS1_17partition_subalgoE8ElNS0_10empty_typeEbEEZZNS1_14partition_implILS5_8ELb0ES3_jPlPS6_PKS6_NS0_5tupleIJS9_S6_EEENSD_IJSA_SA_EEENS0_18inequality_wrapperIZN2at6native12_GLOBAL__N_124unique_dim_cuda_templateIdEESt5tupleIJNSH_6TensorESM_SM_EERKSM_lbbbEUlllE0_EEPmJS6_EEE10hipError_tPvRmT3_T4_T5_T6_T7_T9_mT8_P12ihipStream_tbDpT10_ENKUlT_T0_E_clISt17integral_constantIbLb0EES1B_IbLb1EEEEDaS17_S18_EUlS17_E_NS1_11comp_targetILNS1_3genE10ELNS1_11target_archE1200ELNS1_3gpuE4ELNS1_3repE0EEENS1_30default_config_static_selectorELNS0_4arch9wavefront6targetE1EEEvT1_
		.amdhsa_group_segment_fixed_size 0
		.amdhsa_private_segment_fixed_size 0
		.amdhsa_kernarg_size 136
		.amdhsa_user_sgpr_count 2
		.amdhsa_user_sgpr_dispatch_ptr 0
		.amdhsa_user_sgpr_queue_ptr 0
		.amdhsa_user_sgpr_kernarg_segment_ptr 1
		.amdhsa_user_sgpr_dispatch_id 0
		.amdhsa_user_sgpr_kernarg_preload_length 0
		.amdhsa_user_sgpr_kernarg_preload_offset 0
		.amdhsa_user_sgpr_private_segment_size 0
		.amdhsa_uses_dynamic_stack 0
		.amdhsa_enable_private_segment 0
		.amdhsa_system_sgpr_workgroup_id_x 1
		.amdhsa_system_sgpr_workgroup_id_y 0
		.amdhsa_system_sgpr_workgroup_id_z 0
		.amdhsa_system_sgpr_workgroup_info 0
		.amdhsa_system_vgpr_workitem_id 0
		.amdhsa_next_free_vgpr 1
		.amdhsa_next_free_sgpr 0
		.amdhsa_accum_offset 4
		.amdhsa_reserve_vcc 0
		.amdhsa_float_round_mode_32 0
		.amdhsa_float_round_mode_16_64 0
		.amdhsa_float_denorm_mode_32 3
		.amdhsa_float_denorm_mode_16_64 3
		.amdhsa_dx10_clamp 1
		.amdhsa_ieee_mode 1
		.amdhsa_fp16_overflow 0
		.amdhsa_tg_split 0
		.amdhsa_exception_fp_ieee_invalid_op 0
		.amdhsa_exception_fp_denorm_src 0
		.amdhsa_exception_fp_ieee_div_zero 0
		.amdhsa_exception_fp_ieee_overflow 0
		.amdhsa_exception_fp_ieee_underflow 0
		.amdhsa_exception_fp_ieee_inexact 0
		.amdhsa_exception_int_div_zero 0
	.end_amdhsa_kernel
	.section	.text._ZN7rocprim17ROCPRIM_400000_NS6detail17trampoline_kernelINS0_14default_configENS1_25partition_config_selectorILNS1_17partition_subalgoE8ElNS0_10empty_typeEbEEZZNS1_14partition_implILS5_8ELb0ES3_jPlPS6_PKS6_NS0_5tupleIJS9_S6_EEENSD_IJSA_SA_EEENS0_18inequality_wrapperIZN2at6native12_GLOBAL__N_124unique_dim_cuda_templateIdEESt5tupleIJNSH_6TensorESM_SM_EERKSM_lbbbEUlllE0_EEPmJS6_EEE10hipError_tPvRmT3_T4_T5_T6_T7_T9_mT8_P12ihipStream_tbDpT10_ENKUlT_T0_E_clISt17integral_constantIbLb0EES1B_IbLb1EEEEDaS17_S18_EUlS17_E_NS1_11comp_targetILNS1_3genE10ELNS1_11target_archE1200ELNS1_3gpuE4ELNS1_3repE0EEENS1_30default_config_static_selectorELNS0_4arch9wavefront6targetE1EEEvT1_,"axG",@progbits,_ZN7rocprim17ROCPRIM_400000_NS6detail17trampoline_kernelINS0_14default_configENS1_25partition_config_selectorILNS1_17partition_subalgoE8ElNS0_10empty_typeEbEEZZNS1_14partition_implILS5_8ELb0ES3_jPlPS6_PKS6_NS0_5tupleIJS9_S6_EEENSD_IJSA_SA_EEENS0_18inequality_wrapperIZN2at6native12_GLOBAL__N_124unique_dim_cuda_templateIdEESt5tupleIJNSH_6TensorESM_SM_EERKSM_lbbbEUlllE0_EEPmJS6_EEE10hipError_tPvRmT3_T4_T5_T6_T7_T9_mT8_P12ihipStream_tbDpT10_ENKUlT_T0_E_clISt17integral_constantIbLb0EES1B_IbLb1EEEEDaS17_S18_EUlS17_E_NS1_11comp_targetILNS1_3genE10ELNS1_11target_archE1200ELNS1_3gpuE4ELNS1_3repE0EEENS1_30default_config_static_selectorELNS0_4arch9wavefront6targetE1EEEvT1_,comdat
.Lfunc_end836:
	.size	_ZN7rocprim17ROCPRIM_400000_NS6detail17trampoline_kernelINS0_14default_configENS1_25partition_config_selectorILNS1_17partition_subalgoE8ElNS0_10empty_typeEbEEZZNS1_14partition_implILS5_8ELb0ES3_jPlPS6_PKS6_NS0_5tupleIJS9_S6_EEENSD_IJSA_SA_EEENS0_18inequality_wrapperIZN2at6native12_GLOBAL__N_124unique_dim_cuda_templateIdEESt5tupleIJNSH_6TensorESM_SM_EERKSM_lbbbEUlllE0_EEPmJS6_EEE10hipError_tPvRmT3_T4_T5_T6_T7_T9_mT8_P12ihipStream_tbDpT10_ENKUlT_T0_E_clISt17integral_constantIbLb0EES1B_IbLb1EEEEDaS17_S18_EUlS17_E_NS1_11comp_targetILNS1_3genE10ELNS1_11target_archE1200ELNS1_3gpuE4ELNS1_3repE0EEENS1_30default_config_static_selectorELNS0_4arch9wavefront6targetE1EEEvT1_, .Lfunc_end836-_ZN7rocprim17ROCPRIM_400000_NS6detail17trampoline_kernelINS0_14default_configENS1_25partition_config_selectorILNS1_17partition_subalgoE8ElNS0_10empty_typeEbEEZZNS1_14partition_implILS5_8ELb0ES3_jPlPS6_PKS6_NS0_5tupleIJS9_S6_EEENSD_IJSA_SA_EEENS0_18inequality_wrapperIZN2at6native12_GLOBAL__N_124unique_dim_cuda_templateIdEESt5tupleIJNSH_6TensorESM_SM_EERKSM_lbbbEUlllE0_EEPmJS6_EEE10hipError_tPvRmT3_T4_T5_T6_T7_T9_mT8_P12ihipStream_tbDpT10_ENKUlT_T0_E_clISt17integral_constantIbLb0EES1B_IbLb1EEEEDaS17_S18_EUlS17_E_NS1_11comp_targetILNS1_3genE10ELNS1_11target_archE1200ELNS1_3gpuE4ELNS1_3repE0EEENS1_30default_config_static_selectorELNS0_4arch9wavefront6targetE1EEEvT1_
                                        ; -- End function
	.set _ZN7rocprim17ROCPRIM_400000_NS6detail17trampoline_kernelINS0_14default_configENS1_25partition_config_selectorILNS1_17partition_subalgoE8ElNS0_10empty_typeEbEEZZNS1_14partition_implILS5_8ELb0ES3_jPlPS6_PKS6_NS0_5tupleIJS9_S6_EEENSD_IJSA_SA_EEENS0_18inequality_wrapperIZN2at6native12_GLOBAL__N_124unique_dim_cuda_templateIdEESt5tupleIJNSH_6TensorESM_SM_EERKSM_lbbbEUlllE0_EEPmJS6_EEE10hipError_tPvRmT3_T4_T5_T6_T7_T9_mT8_P12ihipStream_tbDpT10_ENKUlT_T0_E_clISt17integral_constantIbLb0EES1B_IbLb1EEEEDaS17_S18_EUlS17_E_NS1_11comp_targetILNS1_3genE10ELNS1_11target_archE1200ELNS1_3gpuE4ELNS1_3repE0EEENS1_30default_config_static_selectorELNS0_4arch9wavefront6targetE1EEEvT1_.num_vgpr, 0
	.set _ZN7rocprim17ROCPRIM_400000_NS6detail17trampoline_kernelINS0_14default_configENS1_25partition_config_selectorILNS1_17partition_subalgoE8ElNS0_10empty_typeEbEEZZNS1_14partition_implILS5_8ELb0ES3_jPlPS6_PKS6_NS0_5tupleIJS9_S6_EEENSD_IJSA_SA_EEENS0_18inequality_wrapperIZN2at6native12_GLOBAL__N_124unique_dim_cuda_templateIdEESt5tupleIJNSH_6TensorESM_SM_EERKSM_lbbbEUlllE0_EEPmJS6_EEE10hipError_tPvRmT3_T4_T5_T6_T7_T9_mT8_P12ihipStream_tbDpT10_ENKUlT_T0_E_clISt17integral_constantIbLb0EES1B_IbLb1EEEEDaS17_S18_EUlS17_E_NS1_11comp_targetILNS1_3genE10ELNS1_11target_archE1200ELNS1_3gpuE4ELNS1_3repE0EEENS1_30default_config_static_selectorELNS0_4arch9wavefront6targetE1EEEvT1_.num_agpr, 0
	.set _ZN7rocprim17ROCPRIM_400000_NS6detail17trampoline_kernelINS0_14default_configENS1_25partition_config_selectorILNS1_17partition_subalgoE8ElNS0_10empty_typeEbEEZZNS1_14partition_implILS5_8ELb0ES3_jPlPS6_PKS6_NS0_5tupleIJS9_S6_EEENSD_IJSA_SA_EEENS0_18inequality_wrapperIZN2at6native12_GLOBAL__N_124unique_dim_cuda_templateIdEESt5tupleIJNSH_6TensorESM_SM_EERKSM_lbbbEUlllE0_EEPmJS6_EEE10hipError_tPvRmT3_T4_T5_T6_T7_T9_mT8_P12ihipStream_tbDpT10_ENKUlT_T0_E_clISt17integral_constantIbLb0EES1B_IbLb1EEEEDaS17_S18_EUlS17_E_NS1_11comp_targetILNS1_3genE10ELNS1_11target_archE1200ELNS1_3gpuE4ELNS1_3repE0EEENS1_30default_config_static_selectorELNS0_4arch9wavefront6targetE1EEEvT1_.numbered_sgpr, 0
	.set _ZN7rocprim17ROCPRIM_400000_NS6detail17trampoline_kernelINS0_14default_configENS1_25partition_config_selectorILNS1_17partition_subalgoE8ElNS0_10empty_typeEbEEZZNS1_14partition_implILS5_8ELb0ES3_jPlPS6_PKS6_NS0_5tupleIJS9_S6_EEENSD_IJSA_SA_EEENS0_18inequality_wrapperIZN2at6native12_GLOBAL__N_124unique_dim_cuda_templateIdEESt5tupleIJNSH_6TensorESM_SM_EERKSM_lbbbEUlllE0_EEPmJS6_EEE10hipError_tPvRmT3_T4_T5_T6_T7_T9_mT8_P12ihipStream_tbDpT10_ENKUlT_T0_E_clISt17integral_constantIbLb0EES1B_IbLb1EEEEDaS17_S18_EUlS17_E_NS1_11comp_targetILNS1_3genE10ELNS1_11target_archE1200ELNS1_3gpuE4ELNS1_3repE0EEENS1_30default_config_static_selectorELNS0_4arch9wavefront6targetE1EEEvT1_.num_named_barrier, 0
	.set _ZN7rocprim17ROCPRIM_400000_NS6detail17trampoline_kernelINS0_14default_configENS1_25partition_config_selectorILNS1_17partition_subalgoE8ElNS0_10empty_typeEbEEZZNS1_14partition_implILS5_8ELb0ES3_jPlPS6_PKS6_NS0_5tupleIJS9_S6_EEENSD_IJSA_SA_EEENS0_18inequality_wrapperIZN2at6native12_GLOBAL__N_124unique_dim_cuda_templateIdEESt5tupleIJNSH_6TensorESM_SM_EERKSM_lbbbEUlllE0_EEPmJS6_EEE10hipError_tPvRmT3_T4_T5_T6_T7_T9_mT8_P12ihipStream_tbDpT10_ENKUlT_T0_E_clISt17integral_constantIbLb0EES1B_IbLb1EEEEDaS17_S18_EUlS17_E_NS1_11comp_targetILNS1_3genE10ELNS1_11target_archE1200ELNS1_3gpuE4ELNS1_3repE0EEENS1_30default_config_static_selectorELNS0_4arch9wavefront6targetE1EEEvT1_.private_seg_size, 0
	.set _ZN7rocprim17ROCPRIM_400000_NS6detail17trampoline_kernelINS0_14default_configENS1_25partition_config_selectorILNS1_17partition_subalgoE8ElNS0_10empty_typeEbEEZZNS1_14partition_implILS5_8ELb0ES3_jPlPS6_PKS6_NS0_5tupleIJS9_S6_EEENSD_IJSA_SA_EEENS0_18inequality_wrapperIZN2at6native12_GLOBAL__N_124unique_dim_cuda_templateIdEESt5tupleIJNSH_6TensorESM_SM_EERKSM_lbbbEUlllE0_EEPmJS6_EEE10hipError_tPvRmT3_T4_T5_T6_T7_T9_mT8_P12ihipStream_tbDpT10_ENKUlT_T0_E_clISt17integral_constantIbLb0EES1B_IbLb1EEEEDaS17_S18_EUlS17_E_NS1_11comp_targetILNS1_3genE10ELNS1_11target_archE1200ELNS1_3gpuE4ELNS1_3repE0EEENS1_30default_config_static_selectorELNS0_4arch9wavefront6targetE1EEEvT1_.uses_vcc, 0
	.set _ZN7rocprim17ROCPRIM_400000_NS6detail17trampoline_kernelINS0_14default_configENS1_25partition_config_selectorILNS1_17partition_subalgoE8ElNS0_10empty_typeEbEEZZNS1_14partition_implILS5_8ELb0ES3_jPlPS6_PKS6_NS0_5tupleIJS9_S6_EEENSD_IJSA_SA_EEENS0_18inequality_wrapperIZN2at6native12_GLOBAL__N_124unique_dim_cuda_templateIdEESt5tupleIJNSH_6TensorESM_SM_EERKSM_lbbbEUlllE0_EEPmJS6_EEE10hipError_tPvRmT3_T4_T5_T6_T7_T9_mT8_P12ihipStream_tbDpT10_ENKUlT_T0_E_clISt17integral_constantIbLb0EES1B_IbLb1EEEEDaS17_S18_EUlS17_E_NS1_11comp_targetILNS1_3genE10ELNS1_11target_archE1200ELNS1_3gpuE4ELNS1_3repE0EEENS1_30default_config_static_selectorELNS0_4arch9wavefront6targetE1EEEvT1_.uses_flat_scratch, 0
	.set _ZN7rocprim17ROCPRIM_400000_NS6detail17trampoline_kernelINS0_14default_configENS1_25partition_config_selectorILNS1_17partition_subalgoE8ElNS0_10empty_typeEbEEZZNS1_14partition_implILS5_8ELb0ES3_jPlPS6_PKS6_NS0_5tupleIJS9_S6_EEENSD_IJSA_SA_EEENS0_18inequality_wrapperIZN2at6native12_GLOBAL__N_124unique_dim_cuda_templateIdEESt5tupleIJNSH_6TensorESM_SM_EERKSM_lbbbEUlllE0_EEPmJS6_EEE10hipError_tPvRmT3_T4_T5_T6_T7_T9_mT8_P12ihipStream_tbDpT10_ENKUlT_T0_E_clISt17integral_constantIbLb0EES1B_IbLb1EEEEDaS17_S18_EUlS17_E_NS1_11comp_targetILNS1_3genE10ELNS1_11target_archE1200ELNS1_3gpuE4ELNS1_3repE0EEENS1_30default_config_static_selectorELNS0_4arch9wavefront6targetE1EEEvT1_.has_dyn_sized_stack, 0
	.set _ZN7rocprim17ROCPRIM_400000_NS6detail17trampoline_kernelINS0_14default_configENS1_25partition_config_selectorILNS1_17partition_subalgoE8ElNS0_10empty_typeEbEEZZNS1_14partition_implILS5_8ELb0ES3_jPlPS6_PKS6_NS0_5tupleIJS9_S6_EEENSD_IJSA_SA_EEENS0_18inequality_wrapperIZN2at6native12_GLOBAL__N_124unique_dim_cuda_templateIdEESt5tupleIJNSH_6TensorESM_SM_EERKSM_lbbbEUlllE0_EEPmJS6_EEE10hipError_tPvRmT3_T4_T5_T6_T7_T9_mT8_P12ihipStream_tbDpT10_ENKUlT_T0_E_clISt17integral_constantIbLb0EES1B_IbLb1EEEEDaS17_S18_EUlS17_E_NS1_11comp_targetILNS1_3genE10ELNS1_11target_archE1200ELNS1_3gpuE4ELNS1_3repE0EEENS1_30default_config_static_selectorELNS0_4arch9wavefront6targetE1EEEvT1_.has_recursion, 0
	.set _ZN7rocprim17ROCPRIM_400000_NS6detail17trampoline_kernelINS0_14default_configENS1_25partition_config_selectorILNS1_17partition_subalgoE8ElNS0_10empty_typeEbEEZZNS1_14partition_implILS5_8ELb0ES3_jPlPS6_PKS6_NS0_5tupleIJS9_S6_EEENSD_IJSA_SA_EEENS0_18inequality_wrapperIZN2at6native12_GLOBAL__N_124unique_dim_cuda_templateIdEESt5tupleIJNSH_6TensorESM_SM_EERKSM_lbbbEUlllE0_EEPmJS6_EEE10hipError_tPvRmT3_T4_T5_T6_T7_T9_mT8_P12ihipStream_tbDpT10_ENKUlT_T0_E_clISt17integral_constantIbLb0EES1B_IbLb1EEEEDaS17_S18_EUlS17_E_NS1_11comp_targetILNS1_3genE10ELNS1_11target_archE1200ELNS1_3gpuE4ELNS1_3repE0EEENS1_30default_config_static_selectorELNS0_4arch9wavefront6targetE1EEEvT1_.has_indirect_call, 0
	.section	.AMDGPU.csdata,"",@progbits
; Kernel info:
; codeLenInByte = 0
; TotalNumSgprs: 6
; NumVgprs: 0
; NumAgprs: 0
; TotalNumVgprs: 0
; ScratchSize: 0
; MemoryBound: 0
; FloatMode: 240
; IeeeMode: 1
; LDSByteSize: 0 bytes/workgroup (compile time only)
; SGPRBlocks: 0
; VGPRBlocks: 0
; NumSGPRsForWavesPerEU: 6
; NumVGPRsForWavesPerEU: 1
; AccumOffset: 4
; Occupancy: 8
; WaveLimiterHint : 0
; COMPUTE_PGM_RSRC2:SCRATCH_EN: 0
; COMPUTE_PGM_RSRC2:USER_SGPR: 2
; COMPUTE_PGM_RSRC2:TRAP_HANDLER: 0
; COMPUTE_PGM_RSRC2:TGID_X_EN: 1
; COMPUTE_PGM_RSRC2:TGID_Y_EN: 0
; COMPUTE_PGM_RSRC2:TGID_Z_EN: 0
; COMPUTE_PGM_RSRC2:TIDIG_COMP_CNT: 0
; COMPUTE_PGM_RSRC3_GFX90A:ACCUM_OFFSET: 0
; COMPUTE_PGM_RSRC3_GFX90A:TG_SPLIT: 0
	.section	.text._ZN7rocprim17ROCPRIM_400000_NS6detail17trampoline_kernelINS0_14default_configENS1_25partition_config_selectorILNS1_17partition_subalgoE8ElNS0_10empty_typeEbEEZZNS1_14partition_implILS5_8ELb0ES3_jPlPS6_PKS6_NS0_5tupleIJS9_S6_EEENSD_IJSA_SA_EEENS0_18inequality_wrapperIZN2at6native12_GLOBAL__N_124unique_dim_cuda_templateIdEESt5tupleIJNSH_6TensorESM_SM_EERKSM_lbbbEUlllE0_EEPmJS6_EEE10hipError_tPvRmT3_T4_T5_T6_T7_T9_mT8_P12ihipStream_tbDpT10_ENKUlT_T0_E_clISt17integral_constantIbLb0EES1B_IbLb1EEEEDaS17_S18_EUlS17_E_NS1_11comp_targetILNS1_3genE9ELNS1_11target_archE1100ELNS1_3gpuE3ELNS1_3repE0EEENS1_30default_config_static_selectorELNS0_4arch9wavefront6targetE1EEEvT1_,"axG",@progbits,_ZN7rocprim17ROCPRIM_400000_NS6detail17trampoline_kernelINS0_14default_configENS1_25partition_config_selectorILNS1_17partition_subalgoE8ElNS0_10empty_typeEbEEZZNS1_14partition_implILS5_8ELb0ES3_jPlPS6_PKS6_NS0_5tupleIJS9_S6_EEENSD_IJSA_SA_EEENS0_18inequality_wrapperIZN2at6native12_GLOBAL__N_124unique_dim_cuda_templateIdEESt5tupleIJNSH_6TensorESM_SM_EERKSM_lbbbEUlllE0_EEPmJS6_EEE10hipError_tPvRmT3_T4_T5_T6_T7_T9_mT8_P12ihipStream_tbDpT10_ENKUlT_T0_E_clISt17integral_constantIbLb0EES1B_IbLb1EEEEDaS17_S18_EUlS17_E_NS1_11comp_targetILNS1_3genE9ELNS1_11target_archE1100ELNS1_3gpuE3ELNS1_3repE0EEENS1_30default_config_static_selectorELNS0_4arch9wavefront6targetE1EEEvT1_,comdat
	.globl	_ZN7rocprim17ROCPRIM_400000_NS6detail17trampoline_kernelINS0_14default_configENS1_25partition_config_selectorILNS1_17partition_subalgoE8ElNS0_10empty_typeEbEEZZNS1_14partition_implILS5_8ELb0ES3_jPlPS6_PKS6_NS0_5tupleIJS9_S6_EEENSD_IJSA_SA_EEENS0_18inequality_wrapperIZN2at6native12_GLOBAL__N_124unique_dim_cuda_templateIdEESt5tupleIJNSH_6TensorESM_SM_EERKSM_lbbbEUlllE0_EEPmJS6_EEE10hipError_tPvRmT3_T4_T5_T6_T7_T9_mT8_P12ihipStream_tbDpT10_ENKUlT_T0_E_clISt17integral_constantIbLb0EES1B_IbLb1EEEEDaS17_S18_EUlS17_E_NS1_11comp_targetILNS1_3genE9ELNS1_11target_archE1100ELNS1_3gpuE3ELNS1_3repE0EEENS1_30default_config_static_selectorELNS0_4arch9wavefront6targetE1EEEvT1_ ; -- Begin function _ZN7rocprim17ROCPRIM_400000_NS6detail17trampoline_kernelINS0_14default_configENS1_25partition_config_selectorILNS1_17partition_subalgoE8ElNS0_10empty_typeEbEEZZNS1_14partition_implILS5_8ELb0ES3_jPlPS6_PKS6_NS0_5tupleIJS9_S6_EEENSD_IJSA_SA_EEENS0_18inequality_wrapperIZN2at6native12_GLOBAL__N_124unique_dim_cuda_templateIdEESt5tupleIJNSH_6TensorESM_SM_EERKSM_lbbbEUlllE0_EEPmJS6_EEE10hipError_tPvRmT3_T4_T5_T6_T7_T9_mT8_P12ihipStream_tbDpT10_ENKUlT_T0_E_clISt17integral_constantIbLb0EES1B_IbLb1EEEEDaS17_S18_EUlS17_E_NS1_11comp_targetILNS1_3genE9ELNS1_11target_archE1100ELNS1_3gpuE3ELNS1_3repE0EEENS1_30default_config_static_selectorELNS0_4arch9wavefront6targetE1EEEvT1_
	.p2align	8
	.type	_ZN7rocprim17ROCPRIM_400000_NS6detail17trampoline_kernelINS0_14default_configENS1_25partition_config_selectorILNS1_17partition_subalgoE8ElNS0_10empty_typeEbEEZZNS1_14partition_implILS5_8ELb0ES3_jPlPS6_PKS6_NS0_5tupleIJS9_S6_EEENSD_IJSA_SA_EEENS0_18inequality_wrapperIZN2at6native12_GLOBAL__N_124unique_dim_cuda_templateIdEESt5tupleIJNSH_6TensorESM_SM_EERKSM_lbbbEUlllE0_EEPmJS6_EEE10hipError_tPvRmT3_T4_T5_T6_T7_T9_mT8_P12ihipStream_tbDpT10_ENKUlT_T0_E_clISt17integral_constantIbLb0EES1B_IbLb1EEEEDaS17_S18_EUlS17_E_NS1_11comp_targetILNS1_3genE9ELNS1_11target_archE1100ELNS1_3gpuE3ELNS1_3repE0EEENS1_30default_config_static_selectorELNS0_4arch9wavefront6targetE1EEEvT1_,@function
_ZN7rocprim17ROCPRIM_400000_NS6detail17trampoline_kernelINS0_14default_configENS1_25partition_config_selectorILNS1_17partition_subalgoE8ElNS0_10empty_typeEbEEZZNS1_14partition_implILS5_8ELb0ES3_jPlPS6_PKS6_NS0_5tupleIJS9_S6_EEENSD_IJSA_SA_EEENS0_18inequality_wrapperIZN2at6native12_GLOBAL__N_124unique_dim_cuda_templateIdEESt5tupleIJNSH_6TensorESM_SM_EERKSM_lbbbEUlllE0_EEPmJS6_EEE10hipError_tPvRmT3_T4_T5_T6_T7_T9_mT8_P12ihipStream_tbDpT10_ENKUlT_T0_E_clISt17integral_constantIbLb0EES1B_IbLb1EEEEDaS17_S18_EUlS17_E_NS1_11comp_targetILNS1_3genE9ELNS1_11target_archE1100ELNS1_3gpuE3ELNS1_3repE0EEENS1_30default_config_static_selectorELNS0_4arch9wavefront6targetE1EEEvT1_: ; @_ZN7rocprim17ROCPRIM_400000_NS6detail17trampoline_kernelINS0_14default_configENS1_25partition_config_selectorILNS1_17partition_subalgoE8ElNS0_10empty_typeEbEEZZNS1_14partition_implILS5_8ELb0ES3_jPlPS6_PKS6_NS0_5tupleIJS9_S6_EEENSD_IJSA_SA_EEENS0_18inequality_wrapperIZN2at6native12_GLOBAL__N_124unique_dim_cuda_templateIdEESt5tupleIJNSH_6TensorESM_SM_EERKSM_lbbbEUlllE0_EEPmJS6_EEE10hipError_tPvRmT3_T4_T5_T6_T7_T9_mT8_P12ihipStream_tbDpT10_ENKUlT_T0_E_clISt17integral_constantIbLb0EES1B_IbLb1EEEEDaS17_S18_EUlS17_E_NS1_11comp_targetILNS1_3genE9ELNS1_11target_archE1100ELNS1_3gpuE3ELNS1_3repE0EEENS1_30default_config_static_selectorELNS0_4arch9wavefront6targetE1EEEvT1_
; %bb.0:
	.section	.rodata,"a",@progbits
	.p2align	6, 0x0
	.amdhsa_kernel _ZN7rocprim17ROCPRIM_400000_NS6detail17trampoline_kernelINS0_14default_configENS1_25partition_config_selectorILNS1_17partition_subalgoE8ElNS0_10empty_typeEbEEZZNS1_14partition_implILS5_8ELb0ES3_jPlPS6_PKS6_NS0_5tupleIJS9_S6_EEENSD_IJSA_SA_EEENS0_18inequality_wrapperIZN2at6native12_GLOBAL__N_124unique_dim_cuda_templateIdEESt5tupleIJNSH_6TensorESM_SM_EERKSM_lbbbEUlllE0_EEPmJS6_EEE10hipError_tPvRmT3_T4_T5_T6_T7_T9_mT8_P12ihipStream_tbDpT10_ENKUlT_T0_E_clISt17integral_constantIbLb0EES1B_IbLb1EEEEDaS17_S18_EUlS17_E_NS1_11comp_targetILNS1_3genE9ELNS1_11target_archE1100ELNS1_3gpuE3ELNS1_3repE0EEENS1_30default_config_static_selectorELNS0_4arch9wavefront6targetE1EEEvT1_
		.amdhsa_group_segment_fixed_size 0
		.amdhsa_private_segment_fixed_size 0
		.amdhsa_kernarg_size 136
		.amdhsa_user_sgpr_count 2
		.amdhsa_user_sgpr_dispatch_ptr 0
		.amdhsa_user_sgpr_queue_ptr 0
		.amdhsa_user_sgpr_kernarg_segment_ptr 1
		.amdhsa_user_sgpr_dispatch_id 0
		.amdhsa_user_sgpr_kernarg_preload_length 0
		.amdhsa_user_sgpr_kernarg_preload_offset 0
		.amdhsa_user_sgpr_private_segment_size 0
		.amdhsa_uses_dynamic_stack 0
		.amdhsa_enable_private_segment 0
		.amdhsa_system_sgpr_workgroup_id_x 1
		.amdhsa_system_sgpr_workgroup_id_y 0
		.amdhsa_system_sgpr_workgroup_id_z 0
		.amdhsa_system_sgpr_workgroup_info 0
		.amdhsa_system_vgpr_workitem_id 0
		.amdhsa_next_free_vgpr 1
		.amdhsa_next_free_sgpr 0
		.amdhsa_accum_offset 4
		.amdhsa_reserve_vcc 0
		.amdhsa_float_round_mode_32 0
		.amdhsa_float_round_mode_16_64 0
		.amdhsa_float_denorm_mode_32 3
		.amdhsa_float_denorm_mode_16_64 3
		.amdhsa_dx10_clamp 1
		.amdhsa_ieee_mode 1
		.amdhsa_fp16_overflow 0
		.amdhsa_tg_split 0
		.amdhsa_exception_fp_ieee_invalid_op 0
		.amdhsa_exception_fp_denorm_src 0
		.amdhsa_exception_fp_ieee_div_zero 0
		.amdhsa_exception_fp_ieee_overflow 0
		.amdhsa_exception_fp_ieee_underflow 0
		.amdhsa_exception_fp_ieee_inexact 0
		.amdhsa_exception_int_div_zero 0
	.end_amdhsa_kernel
	.section	.text._ZN7rocprim17ROCPRIM_400000_NS6detail17trampoline_kernelINS0_14default_configENS1_25partition_config_selectorILNS1_17partition_subalgoE8ElNS0_10empty_typeEbEEZZNS1_14partition_implILS5_8ELb0ES3_jPlPS6_PKS6_NS0_5tupleIJS9_S6_EEENSD_IJSA_SA_EEENS0_18inequality_wrapperIZN2at6native12_GLOBAL__N_124unique_dim_cuda_templateIdEESt5tupleIJNSH_6TensorESM_SM_EERKSM_lbbbEUlllE0_EEPmJS6_EEE10hipError_tPvRmT3_T4_T5_T6_T7_T9_mT8_P12ihipStream_tbDpT10_ENKUlT_T0_E_clISt17integral_constantIbLb0EES1B_IbLb1EEEEDaS17_S18_EUlS17_E_NS1_11comp_targetILNS1_3genE9ELNS1_11target_archE1100ELNS1_3gpuE3ELNS1_3repE0EEENS1_30default_config_static_selectorELNS0_4arch9wavefront6targetE1EEEvT1_,"axG",@progbits,_ZN7rocprim17ROCPRIM_400000_NS6detail17trampoline_kernelINS0_14default_configENS1_25partition_config_selectorILNS1_17partition_subalgoE8ElNS0_10empty_typeEbEEZZNS1_14partition_implILS5_8ELb0ES3_jPlPS6_PKS6_NS0_5tupleIJS9_S6_EEENSD_IJSA_SA_EEENS0_18inequality_wrapperIZN2at6native12_GLOBAL__N_124unique_dim_cuda_templateIdEESt5tupleIJNSH_6TensorESM_SM_EERKSM_lbbbEUlllE0_EEPmJS6_EEE10hipError_tPvRmT3_T4_T5_T6_T7_T9_mT8_P12ihipStream_tbDpT10_ENKUlT_T0_E_clISt17integral_constantIbLb0EES1B_IbLb1EEEEDaS17_S18_EUlS17_E_NS1_11comp_targetILNS1_3genE9ELNS1_11target_archE1100ELNS1_3gpuE3ELNS1_3repE0EEENS1_30default_config_static_selectorELNS0_4arch9wavefront6targetE1EEEvT1_,comdat
.Lfunc_end837:
	.size	_ZN7rocprim17ROCPRIM_400000_NS6detail17trampoline_kernelINS0_14default_configENS1_25partition_config_selectorILNS1_17partition_subalgoE8ElNS0_10empty_typeEbEEZZNS1_14partition_implILS5_8ELb0ES3_jPlPS6_PKS6_NS0_5tupleIJS9_S6_EEENSD_IJSA_SA_EEENS0_18inequality_wrapperIZN2at6native12_GLOBAL__N_124unique_dim_cuda_templateIdEESt5tupleIJNSH_6TensorESM_SM_EERKSM_lbbbEUlllE0_EEPmJS6_EEE10hipError_tPvRmT3_T4_T5_T6_T7_T9_mT8_P12ihipStream_tbDpT10_ENKUlT_T0_E_clISt17integral_constantIbLb0EES1B_IbLb1EEEEDaS17_S18_EUlS17_E_NS1_11comp_targetILNS1_3genE9ELNS1_11target_archE1100ELNS1_3gpuE3ELNS1_3repE0EEENS1_30default_config_static_selectorELNS0_4arch9wavefront6targetE1EEEvT1_, .Lfunc_end837-_ZN7rocprim17ROCPRIM_400000_NS6detail17trampoline_kernelINS0_14default_configENS1_25partition_config_selectorILNS1_17partition_subalgoE8ElNS0_10empty_typeEbEEZZNS1_14partition_implILS5_8ELb0ES3_jPlPS6_PKS6_NS0_5tupleIJS9_S6_EEENSD_IJSA_SA_EEENS0_18inequality_wrapperIZN2at6native12_GLOBAL__N_124unique_dim_cuda_templateIdEESt5tupleIJNSH_6TensorESM_SM_EERKSM_lbbbEUlllE0_EEPmJS6_EEE10hipError_tPvRmT3_T4_T5_T6_T7_T9_mT8_P12ihipStream_tbDpT10_ENKUlT_T0_E_clISt17integral_constantIbLb0EES1B_IbLb1EEEEDaS17_S18_EUlS17_E_NS1_11comp_targetILNS1_3genE9ELNS1_11target_archE1100ELNS1_3gpuE3ELNS1_3repE0EEENS1_30default_config_static_selectorELNS0_4arch9wavefront6targetE1EEEvT1_
                                        ; -- End function
	.set _ZN7rocprim17ROCPRIM_400000_NS6detail17trampoline_kernelINS0_14default_configENS1_25partition_config_selectorILNS1_17partition_subalgoE8ElNS0_10empty_typeEbEEZZNS1_14partition_implILS5_8ELb0ES3_jPlPS6_PKS6_NS0_5tupleIJS9_S6_EEENSD_IJSA_SA_EEENS0_18inequality_wrapperIZN2at6native12_GLOBAL__N_124unique_dim_cuda_templateIdEESt5tupleIJNSH_6TensorESM_SM_EERKSM_lbbbEUlllE0_EEPmJS6_EEE10hipError_tPvRmT3_T4_T5_T6_T7_T9_mT8_P12ihipStream_tbDpT10_ENKUlT_T0_E_clISt17integral_constantIbLb0EES1B_IbLb1EEEEDaS17_S18_EUlS17_E_NS1_11comp_targetILNS1_3genE9ELNS1_11target_archE1100ELNS1_3gpuE3ELNS1_3repE0EEENS1_30default_config_static_selectorELNS0_4arch9wavefront6targetE1EEEvT1_.num_vgpr, 0
	.set _ZN7rocprim17ROCPRIM_400000_NS6detail17trampoline_kernelINS0_14default_configENS1_25partition_config_selectorILNS1_17partition_subalgoE8ElNS0_10empty_typeEbEEZZNS1_14partition_implILS5_8ELb0ES3_jPlPS6_PKS6_NS0_5tupleIJS9_S6_EEENSD_IJSA_SA_EEENS0_18inequality_wrapperIZN2at6native12_GLOBAL__N_124unique_dim_cuda_templateIdEESt5tupleIJNSH_6TensorESM_SM_EERKSM_lbbbEUlllE0_EEPmJS6_EEE10hipError_tPvRmT3_T4_T5_T6_T7_T9_mT8_P12ihipStream_tbDpT10_ENKUlT_T0_E_clISt17integral_constantIbLb0EES1B_IbLb1EEEEDaS17_S18_EUlS17_E_NS1_11comp_targetILNS1_3genE9ELNS1_11target_archE1100ELNS1_3gpuE3ELNS1_3repE0EEENS1_30default_config_static_selectorELNS0_4arch9wavefront6targetE1EEEvT1_.num_agpr, 0
	.set _ZN7rocprim17ROCPRIM_400000_NS6detail17trampoline_kernelINS0_14default_configENS1_25partition_config_selectorILNS1_17partition_subalgoE8ElNS0_10empty_typeEbEEZZNS1_14partition_implILS5_8ELb0ES3_jPlPS6_PKS6_NS0_5tupleIJS9_S6_EEENSD_IJSA_SA_EEENS0_18inequality_wrapperIZN2at6native12_GLOBAL__N_124unique_dim_cuda_templateIdEESt5tupleIJNSH_6TensorESM_SM_EERKSM_lbbbEUlllE0_EEPmJS6_EEE10hipError_tPvRmT3_T4_T5_T6_T7_T9_mT8_P12ihipStream_tbDpT10_ENKUlT_T0_E_clISt17integral_constantIbLb0EES1B_IbLb1EEEEDaS17_S18_EUlS17_E_NS1_11comp_targetILNS1_3genE9ELNS1_11target_archE1100ELNS1_3gpuE3ELNS1_3repE0EEENS1_30default_config_static_selectorELNS0_4arch9wavefront6targetE1EEEvT1_.numbered_sgpr, 0
	.set _ZN7rocprim17ROCPRIM_400000_NS6detail17trampoline_kernelINS0_14default_configENS1_25partition_config_selectorILNS1_17partition_subalgoE8ElNS0_10empty_typeEbEEZZNS1_14partition_implILS5_8ELb0ES3_jPlPS6_PKS6_NS0_5tupleIJS9_S6_EEENSD_IJSA_SA_EEENS0_18inequality_wrapperIZN2at6native12_GLOBAL__N_124unique_dim_cuda_templateIdEESt5tupleIJNSH_6TensorESM_SM_EERKSM_lbbbEUlllE0_EEPmJS6_EEE10hipError_tPvRmT3_T4_T5_T6_T7_T9_mT8_P12ihipStream_tbDpT10_ENKUlT_T0_E_clISt17integral_constantIbLb0EES1B_IbLb1EEEEDaS17_S18_EUlS17_E_NS1_11comp_targetILNS1_3genE9ELNS1_11target_archE1100ELNS1_3gpuE3ELNS1_3repE0EEENS1_30default_config_static_selectorELNS0_4arch9wavefront6targetE1EEEvT1_.num_named_barrier, 0
	.set _ZN7rocprim17ROCPRIM_400000_NS6detail17trampoline_kernelINS0_14default_configENS1_25partition_config_selectorILNS1_17partition_subalgoE8ElNS0_10empty_typeEbEEZZNS1_14partition_implILS5_8ELb0ES3_jPlPS6_PKS6_NS0_5tupleIJS9_S6_EEENSD_IJSA_SA_EEENS0_18inequality_wrapperIZN2at6native12_GLOBAL__N_124unique_dim_cuda_templateIdEESt5tupleIJNSH_6TensorESM_SM_EERKSM_lbbbEUlllE0_EEPmJS6_EEE10hipError_tPvRmT3_T4_T5_T6_T7_T9_mT8_P12ihipStream_tbDpT10_ENKUlT_T0_E_clISt17integral_constantIbLb0EES1B_IbLb1EEEEDaS17_S18_EUlS17_E_NS1_11comp_targetILNS1_3genE9ELNS1_11target_archE1100ELNS1_3gpuE3ELNS1_3repE0EEENS1_30default_config_static_selectorELNS0_4arch9wavefront6targetE1EEEvT1_.private_seg_size, 0
	.set _ZN7rocprim17ROCPRIM_400000_NS6detail17trampoline_kernelINS0_14default_configENS1_25partition_config_selectorILNS1_17partition_subalgoE8ElNS0_10empty_typeEbEEZZNS1_14partition_implILS5_8ELb0ES3_jPlPS6_PKS6_NS0_5tupleIJS9_S6_EEENSD_IJSA_SA_EEENS0_18inequality_wrapperIZN2at6native12_GLOBAL__N_124unique_dim_cuda_templateIdEESt5tupleIJNSH_6TensorESM_SM_EERKSM_lbbbEUlllE0_EEPmJS6_EEE10hipError_tPvRmT3_T4_T5_T6_T7_T9_mT8_P12ihipStream_tbDpT10_ENKUlT_T0_E_clISt17integral_constantIbLb0EES1B_IbLb1EEEEDaS17_S18_EUlS17_E_NS1_11comp_targetILNS1_3genE9ELNS1_11target_archE1100ELNS1_3gpuE3ELNS1_3repE0EEENS1_30default_config_static_selectorELNS0_4arch9wavefront6targetE1EEEvT1_.uses_vcc, 0
	.set _ZN7rocprim17ROCPRIM_400000_NS6detail17trampoline_kernelINS0_14default_configENS1_25partition_config_selectorILNS1_17partition_subalgoE8ElNS0_10empty_typeEbEEZZNS1_14partition_implILS5_8ELb0ES3_jPlPS6_PKS6_NS0_5tupleIJS9_S6_EEENSD_IJSA_SA_EEENS0_18inequality_wrapperIZN2at6native12_GLOBAL__N_124unique_dim_cuda_templateIdEESt5tupleIJNSH_6TensorESM_SM_EERKSM_lbbbEUlllE0_EEPmJS6_EEE10hipError_tPvRmT3_T4_T5_T6_T7_T9_mT8_P12ihipStream_tbDpT10_ENKUlT_T0_E_clISt17integral_constantIbLb0EES1B_IbLb1EEEEDaS17_S18_EUlS17_E_NS1_11comp_targetILNS1_3genE9ELNS1_11target_archE1100ELNS1_3gpuE3ELNS1_3repE0EEENS1_30default_config_static_selectorELNS0_4arch9wavefront6targetE1EEEvT1_.uses_flat_scratch, 0
	.set _ZN7rocprim17ROCPRIM_400000_NS6detail17trampoline_kernelINS0_14default_configENS1_25partition_config_selectorILNS1_17partition_subalgoE8ElNS0_10empty_typeEbEEZZNS1_14partition_implILS5_8ELb0ES3_jPlPS6_PKS6_NS0_5tupleIJS9_S6_EEENSD_IJSA_SA_EEENS0_18inequality_wrapperIZN2at6native12_GLOBAL__N_124unique_dim_cuda_templateIdEESt5tupleIJNSH_6TensorESM_SM_EERKSM_lbbbEUlllE0_EEPmJS6_EEE10hipError_tPvRmT3_T4_T5_T6_T7_T9_mT8_P12ihipStream_tbDpT10_ENKUlT_T0_E_clISt17integral_constantIbLb0EES1B_IbLb1EEEEDaS17_S18_EUlS17_E_NS1_11comp_targetILNS1_3genE9ELNS1_11target_archE1100ELNS1_3gpuE3ELNS1_3repE0EEENS1_30default_config_static_selectorELNS0_4arch9wavefront6targetE1EEEvT1_.has_dyn_sized_stack, 0
	.set _ZN7rocprim17ROCPRIM_400000_NS6detail17trampoline_kernelINS0_14default_configENS1_25partition_config_selectorILNS1_17partition_subalgoE8ElNS0_10empty_typeEbEEZZNS1_14partition_implILS5_8ELb0ES3_jPlPS6_PKS6_NS0_5tupleIJS9_S6_EEENSD_IJSA_SA_EEENS0_18inequality_wrapperIZN2at6native12_GLOBAL__N_124unique_dim_cuda_templateIdEESt5tupleIJNSH_6TensorESM_SM_EERKSM_lbbbEUlllE0_EEPmJS6_EEE10hipError_tPvRmT3_T4_T5_T6_T7_T9_mT8_P12ihipStream_tbDpT10_ENKUlT_T0_E_clISt17integral_constantIbLb0EES1B_IbLb1EEEEDaS17_S18_EUlS17_E_NS1_11comp_targetILNS1_3genE9ELNS1_11target_archE1100ELNS1_3gpuE3ELNS1_3repE0EEENS1_30default_config_static_selectorELNS0_4arch9wavefront6targetE1EEEvT1_.has_recursion, 0
	.set _ZN7rocprim17ROCPRIM_400000_NS6detail17trampoline_kernelINS0_14default_configENS1_25partition_config_selectorILNS1_17partition_subalgoE8ElNS0_10empty_typeEbEEZZNS1_14partition_implILS5_8ELb0ES3_jPlPS6_PKS6_NS0_5tupleIJS9_S6_EEENSD_IJSA_SA_EEENS0_18inequality_wrapperIZN2at6native12_GLOBAL__N_124unique_dim_cuda_templateIdEESt5tupleIJNSH_6TensorESM_SM_EERKSM_lbbbEUlllE0_EEPmJS6_EEE10hipError_tPvRmT3_T4_T5_T6_T7_T9_mT8_P12ihipStream_tbDpT10_ENKUlT_T0_E_clISt17integral_constantIbLb0EES1B_IbLb1EEEEDaS17_S18_EUlS17_E_NS1_11comp_targetILNS1_3genE9ELNS1_11target_archE1100ELNS1_3gpuE3ELNS1_3repE0EEENS1_30default_config_static_selectorELNS0_4arch9wavefront6targetE1EEEvT1_.has_indirect_call, 0
	.section	.AMDGPU.csdata,"",@progbits
; Kernel info:
; codeLenInByte = 0
; TotalNumSgprs: 6
; NumVgprs: 0
; NumAgprs: 0
; TotalNumVgprs: 0
; ScratchSize: 0
; MemoryBound: 0
; FloatMode: 240
; IeeeMode: 1
; LDSByteSize: 0 bytes/workgroup (compile time only)
; SGPRBlocks: 0
; VGPRBlocks: 0
; NumSGPRsForWavesPerEU: 6
; NumVGPRsForWavesPerEU: 1
; AccumOffset: 4
; Occupancy: 8
; WaveLimiterHint : 0
; COMPUTE_PGM_RSRC2:SCRATCH_EN: 0
; COMPUTE_PGM_RSRC2:USER_SGPR: 2
; COMPUTE_PGM_RSRC2:TRAP_HANDLER: 0
; COMPUTE_PGM_RSRC2:TGID_X_EN: 1
; COMPUTE_PGM_RSRC2:TGID_Y_EN: 0
; COMPUTE_PGM_RSRC2:TGID_Z_EN: 0
; COMPUTE_PGM_RSRC2:TIDIG_COMP_CNT: 0
; COMPUTE_PGM_RSRC3_GFX90A:ACCUM_OFFSET: 0
; COMPUTE_PGM_RSRC3_GFX90A:TG_SPLIT: 0
	.section	.text._ZN7rocprim17ROCPRIM_400000_NS6detail17trampoline_kernelINS0_14default_configENS1_25partition_config_selectorILNS1_17partition_subalgoE8ElNS0_10empty_typeEbEEZZNS1_14partition_implILS5_8ELb0ES3_jPlPS6_PKS6_NS0_5tupleIJS9_S6_EEENSD_IJSA_SA_EEENS0_18inequality_wrapperIZN2at6native12_GLOBAL__N_124unique_dim_cuda_templateIdEESt5tupleIJNSH_6TensorESM_SM_EERKSM_lbbbEUlllE0_EEPmJS6_EEE10hipError_tPvRmT3_T4_T5_T6_T7_T9_mT8_P12ihipStream_tbDpT10_ENKUlT_T0_E_clISt17integral_constantIbLb0EES1B_IbLb1EEEEDaS17_S18_EUlS17_E_NS1_11comp_targetILNS1_3genE8ELNS1_11target_archE1030ELNS1_3gpuE2ELNS1_3repE0EEENS1_30default_config_static_selectorELNS0_4arch9wavefront6targetE1EEEvT1_,"axG",@progbits,_ZN7rocprim17ROCPRIM_400000_NS6detail17trampoline_kernelINS0_14default_configENS1_25partition_config_selectorILNS1_17partition_subalgoE8ElNS0_10empty_typeEbEEZZNS1_14partition_implILS5_8ELb0ES3_jPlPS6_PKS6_NS0_5tupleIJS9_S6_EEENSD_IJSA_SA_EEENS0_18inequality_wrapperIZN2at6native12_GLOBAL__N_124unique_dim_cuda_templateIdEESt5tupleIJNSH_6TensorESM_SM_EERKSM_lbbbEUlllE0_EEPmJS6_EEE10hipError_tPvRmT3_T4_T5_T6_T7_T9_mT8_P12ihipStream_tbDpT10_ENKUlT_T0_E_clISt17integral_constantIbLb0EES1B_IbLb1EEEEDaS17_S18_EUlS17_E_NS1_11comp_targetILNS1_3genE8ELNS1_11target_archE1030ELNS1_3gpuE2ELNS1_3repE0EEENS1_30default_config_static_selectorELNS0_4arch9wavefront6targetE1EEEvT1_,comdat
	.globl	_ZN7rocprim17ROCPRIM_400000_NS6detail17trampoline_kernelINS0_14default_configENS1_25partition_config_selectorILNS1_17partition_subalgoE8ElNS0_10empty_typeEbEEZZNS1_14partition_implILS5_8ELb0ES3_jPlPS6_PKS6_NS0_5tupleIJS9_S6_EEENSD_IJSA_SA_EEENS0_18inequality_wrapperIZN2at6native12_GLOBAL__N_124unique_dim_cuda_templateIdEESt5tupleIJNSH_6TensorESM_SM_EERKSM_lbbbEUlllE0_EEPmJS6_EEE10hipError_tPvRmT3_T4_T5_T6_T7_T9_mT8_P12ihipStream_tbDpT10_ENKUlT_T0_E_clISt17integral_constantIbLb0EES1B_IbLb1EEEEDaS17_S18_EUlS17_E_NS1_11comp_targetILNS1_3genE8ELNS1_11target_archE1030ELNS1_3gpuE2ELNS1_3repE0EEENS1_30default_config_static_selectorELNS0_4arch9wavefront6targetE1EEEvT1_ ; -- Begin function _ZN7rocprim17ROCPRIM_400000_NS6detail17trampoline_kernelINS0_14default_configENS1_25partition_config_selectorILNS1_17partition_subalgoE8ElNS0_10empty_typeEbEEZZNS1_14partition_implILS5_8ELb0ES3_jPlPS6_PKS6_NS0_5tupleIJS9_S6_EEENSD_IJSA_SA_EEENS0_18inequality_wrapperIZN2at6native12_GLOBAL__N_124unique_dim_cuda_templateIdEESt5tupleIJNSH_6TensorESM_SM_EERKSM_lbbbEUlllE0_EEPmJS6_EEE10hipError_tPvRmT3_T4_T5_T6_T7_T9_mT8_P12ihipStream_tbDpT10_ENKUlT_T0_E_clISt17integral_constantIbLb0EES1B_IbLb1EEEEDaS17_S18_EUlS17_E_NS1_11comp_targetILNS1_3genE8ELNS1_11target_archE1030ELNS1_3gpuE2ELNS1_3repE0EEENS1_30default_config_static_selectorELNS0_4arch9wavefront6targetE1EEEvT1_
	.p2align	8
	.type	_ZN7rocprim17ROCPRIM_400000_NS6detail17trampoline_kernelINS0_14default_configENS1_25partition_config_selectorILNS1_17partition_subalgoE8ElNS0_10empty_typeEbEEZZNS1_14partition_implILS5_8ELb0ES3_jPlPS6_PKS6_NS0_5tupleIJS9_S6_EEENSD_IJSA_SA_EEENS0_18inequality_wrapperIZN2at6native12_GLOBAL__N_124unique_dim_cuda_templateIdEESt5tupleIJNSH_6TensorESM_SM_EERKSM_lbbbEUlllE0_EEPmJS6_EEE10hipError_tPvRmT3_T4_T5_T6_T7_T9_mT8_P12ihipStream_tbDpT10_ENKUlT_T0_E_clISt17integral_constantIbLb0EES1B_IbLb1EEEEDaS17_S18_EUlS17_E_NS1_11comp_targetILNS1_3genE8ELNS1_11target_archE1030ELNS1_3gpuE2ELNS1_3repE0EEENS1_30default_config_static_selectorELNS0_4arch9wavefront6targetE1EEEvT1_,@function
_ZN7rocprim17ROCPRIM_400000_NS6detail17trampoline_kernelINS0_14default_configENS1_25partition_config_selectorILNS1_17partition_subalgoE8ElNS0_10empty_typeEbEEZZNS1_14partition_implILS5_8ELb0ES3_jPlPS6_PKS6_NS0_5tupleIJS9_S6_EEENSD_IJSA_SA_EEENS0_18inequality_wrapperIZN2at6native12_GLOBAL__N_124unique_dim_cuda_templateIdEESt5tupleIJNSH_6TensorESM_SM_EERKSM_lbbbEUlllE0_EEPmJS6_EEE10hipError_tPvRmT3_T4_T5_T6_T7_T9_mT8_P12ihipStream_tbDpT10_ENKUlT_T0_E_clISt17integral_constantIbLb0EES1B_IbLb1EEEEDaS17_S18_EUlS17_E_NS1_11comp_targetILNS1_3genE8ELNS1_11target_archE1030ELNS1_3gpuE2ELNS1_3repE0EEENS1_30default_config_static_selectorELNS0_4arch9wavefront6targetE1EEEvT1_: ; @_ZN7rocprim17ROCPRIM_400000_NS6detail17trampoline_kernelINS0_14default_configENS1_25partition_config_selectorILNS1_17partition_subalgoE8ElNS0_10empty_typeEbEEZZNS1_14partition_implILS5_8ELb0ES3_jPlPS6_PKS6_NS0_5tupleIJS9_S6_EEENSD_IJSA_SA_EEENS0_18inequality_wrapperIZN2at6native12_GLOBAL__N_124unique_dim_cuda_templateIdEESt5tupleIJNSH_6TensorESM_SM_EERKSM_lbbbEUlllE0_EEPmJS6_EEE10hipError_tPvRmT3_T4_T5_T6_T7_T9_mT8_P12ihipStream_tbDpT10_ENKUlT_T0_E_clISt17integral_constantIbLb0EES1B_IbLb1EEEEDaS17_S18_EUlS17_E_NS1_11comp_targetILNS1_3genE8ELNS1_11target_archE1030ELNS1_3gpuE2ELNS1_3repE0EEENS1_30default_config_static_selectorELNS0_4arch9wavefront6targetE1EEEvT1_
; %bb.0:
	.section	.rodata,"a",@progbits
	.p2align	6, 0x0
	.amdhsa_kernel _ZN7rocprim17ROCPRIM_400000_NS6detail17trampoline_kernelINS0_14default_configENS1_25partition_config_selectorILNS1_17partition_subalgoE8ElNS0_10empty_typeEbEEZZNS1_14partition_implILS5_8ELb0ES3_jPlPS6_PKS6_NS0_5tupleIJS9_S6_EEENSD_IJSA_SA_EEENS0_18inequality_wrapperIZN2at6native12_GLOBAL__N_124unique_dim_cuda_templateIdEESt5tupleIJNSH_6TensorESM_SM_EERKSM_lbbbEUlllE0_EEPmJS6_EEE10hipError_tPvRmT3_T4_T5_T6_T7_T9_mT8_P12ihipStream_tbDpT10_ENKUlT_T0_E_clISt17integral_constantIbLb0EES1B_IbLb1EEEEDaS17_S18_EUlS17_E_NS1_11comp_targetILNS1_3genE8ELNS1_11target_archE1030ELNS1_3gpuE2ELNS1_3repE0EEENS1_30default_config_static_selectorELNS0_4arch9wavefront6targetE1EEEvT1_
		.amdhsa_group_segment_fixed_size 0
		.amdhsa_private_segment_fixed_size 0
		.amdhsa_kernarg_size 136
		.amdhsa_user_sgpr_count 2
		.amdhsa_user_sgpr_dispatch_ptr 0
		.amdhsa_user_sgpr_queue_ptr 0
		.amdhsa_user_sgpr_kernarg_segment_ptr 1
		.amdhsa_user_sgpr_dispatch_id 0
		.amdhsa_user_sgpr_kernarg_preload_length 0
		.amdhsa_user_sgpr_kernarg_preload_offset 0
		.amdhsa_user_sgpr_private_segment_size 0
		.amdhsa_uses_dynamic_stack 0
		.amdhsa_enable_private_segment 0
		.amdhsa_system_sgpr_workgroup_id_x 1
		.amdhsa_system_sgpr_workgroup_id_y 0
		.amdhsa_system_sgpr_workgroup_id_z 0
		.amdhsa_system_sgpr_workgroup_info 0
		.amdhsa_system_vgpr_workitem_id 0
		.amdhsa_next_free_vgpr 1
		.amdhsa_next_free_sgpr 0
		.amdhsa_accum_offset 4
		.amdhsa_reserve_vcc 0
		.amdhsa_float_round_mode_32 0
		.amdhsa_float_round_mode_16_64 0
		.amdhsa_float_denorm_mode_32 3
		.amdhsa_float_denorm_mode_16_64 3
		.amdhsa_dx10_clamp 1
		.amdhsa_ieee_mode 1
		.amdhsa_fp16_overflow 0
		.amdhsa_tg_split 0
		.amdhsa_exception_fp_ieee_invalid_op 0
		.amdhsa_exception_fp_denorm_src 0
		.amdhsa_exception_fp_ieee_div_zero 0
		.amdhsa_exception_fp_ieee_overflow 0
		.amdhsa_exception_fp_ieee_underflow 0
		.amdhsa_exception_fp_ieee_inexact 0
		.amdhsa_exception_int_div_zero 0
	.end_amdhsa_kernel
	.section	.text._ZN7rocprim17ROCPRIM_400000_NS6detail17trampoline_kernelINS0_14default_configENS1_25partition_config_selectorILNS1_17partition_subalgoE8ElNS0_10empty_typeEbEEZZNS1_14partition_implILS5_8ELb0ES3_jPlPS6_PKS6_NS0_5tupleIJS9_S6_EEENSD_IJSA_SA_EEENS0_18inequality_wrapperIZN2at6native12_GLOBAL__N_124unique_dim_cuda_templateIdEESt5tupleIJNSH_6TensorESM_SM_EERKSM_lbbbEUlllE0_EEPmJS6_EEE10hipError_tPvRmT3_T4_T5_T6_T7_T9_mT8_P12ihipStream_tbDpT10_ENKUlT_T0_E_clISt17integral_constantIbLb0EES1B_IbLb1EEEEDaS17_S18_EUlS17_E_NS1_11comp_targetILNS1_3genE8ELNS1_11target_archE1030ELNS1_3gpuE2ELNS1_3repE0EEENS1_30default_config_static_selectorELNS0_4arch9wavefront6targetE1EEEvT1_,"axG",@progbits,_ZN7rocprim17ROCPRIM_400000_NS6detail17trampoline_kernelINS0_14default_configENS1_25partition_config_selectorILNS1_17partition_subalgoE8ElNS0_10empty_typeEbEEZZNS1_14partition_implILS5_8ELb0ES3_jPlPS6_PKS6_NS0_5tupleIJS9_S6_EEENSD_IJSA_SA_EEENS0_18inequality_wrapperIZN2at6native12_GLOBAL__N_124unique_dim_cuda_templateIdEESt5tupleIJNSH_6TensorESM_SM_EERKSM_lbbbEUlllE0_EEPmJS6_EEE10hipError_tPvRmT3_T4_T5_T6_T7_T9_mT8_P12ihipStream_tbDpT10_ENKUlT_T0_E_clISt17integral_constantIbLb0EES1B_IbLb1EEEEDaS17_S18_EUlS17_E_NS1_11comp_targetILNS1_3genE8ELNS1_11target_archE1030ELNS1_3gpuE2ELNS1_3repE0EEENS1_30default_config_static_selectorELNS0_4arch9wavefront6targetE1EEEvT1_,comdat
.Lfunc_end838:
	.size	_ZN7rocprim17ROCPRIM_400000_NS6detail17trampoline_kernelINS0_14default_configENS1_25partition_config_selectorILNS1_17partition_subalgoE8ElNS0_10empty_typeEbEEZZNS1_14partition_implILS5_8ELb0ES3_jPlPS6_PKS6_NS0_5tupleIJS9_S6_EEENSD_IJSA_SA_EEENS0_18inequality_wrapperIZN2at6native12_GLOBAL__N_124unique_dim_cuda_templateIdEESt5tupleIJNSH_6TensorESM_SM_EERKSM_lbbbEUlllE0_EEPmJS6_EEE10hipError_tPvRmT3_T4_T5_T6_T7_T9_mT8_P12ihipStream_tbDpT10_ENKUlT_T0_E_clISt17integral_constantIbLb0EES1B_IbLb1EEEEDaS17_S18_EUlS17_E_NS1_11comp_targetILNS1_3genE8ELNS1_11target_archE1030ELNS1_3gpuE2ELNS1_3repE0EEENS1_30default_config_static_selectorELNS0_4arch9wavefront6targetE1EEEvT1_, .Lfunc_end838-_ZN7rocprim17ROCPRIM_400000_NS6detail17trampoline_kernelINS0_14default_configENS1_25partition_config_selectorILNS1_17partition_subalgoE8ElNS0_10empty_typeEbEEZZNS1_14partition_implILS5_8ELb0ES3_jPlPS6_PKS6_NS0_5tupleIJS9_S6_EEENSD_IJSA_SA_EEENS0_18inequality_wrapperIZN2at6native12_GLOBAL__N_124unique_dim_cuda_templateIdEESt5tupleIJNSH_6TensorESM_SM_EERKSM_lbbbEUlllE0_EEPmJS6_EEE10hipError_tPvRmT3_T4_T5_T6_T7_T9_mT8_P12ihipStream_tbDpT10_ENKUlT_T0_E_clISt17integral_constantIbLb0EES1B_IbLb1EEEEDaS17_S18_EUlS17_E_NS1_11comp_targetILNS1_3genE8ELNS1_11target_archE1030ELNS1_3gpuE2ELNS1_3repE0EEENS1_30default_config_static_selectorELNS0_4arch9wavefront6targetE1EEEvT1_
                                        ; -- End function
	.set _ZN7rocprim17ROCPRIM_400000_NS6detail17trampoline_kernelINS0_14default_configENS1_25partition_config_selectorILNS1_17partition_subalgoE8ElNS0_10empty_typeEbEEZZNS1_14partition_implILS5_8ELb0ES3_jPlPS6_PKS6_NS0_5tupleIJS9_S6_EEENSD_IJSA_SA_EEENS0_18inequality_wrapperIZN2at6native12_GLOBAL__N_124unique_dim_cuda_templateIdEESt5tupleIJNSH_6TensorESM_SM_EERKSM_lbbbEUlllE0_EEPmJS6_EEE10hipError_tPvRmT3_T4_T5_T6_T7_T9_mT8_P12ihipStream_tbDpT10_ENKUlT_T0_E_clISt17integral_constantIbLb0EES1B_IbLb1EEEEDaS17_S18_EUlS17_E_NS1_11comp_targetILNS1_3genE8ELNS1_11target_archE1030ELNS1_3gpuE2ELNS1_3repE0EEENS1_30default_config_static_selectorELNS0_4arch9wavefront6targetE1EEEvT1_.num_vgpr, 0
	.set _ZN7rocprim17ROCPRIM_400000_NS6detail17trampoline_kernelINS0_14default_configENS1_25partition_config_selectorILNS1_17partition_subalgoE8ElNS0_10empty_typeEbEEZZNS1_14partition_implILS5_8ELb0ES3_jPlPS6_PKS6_NS0_5tupleIJS9_S6_EEENSD_IJSA_SA_EEENS0_18inequality_wrapperIZN2at6native12_GLOBAL__N_124unique_dim_cuda_templateIdEESt5tupleIJNSH_6TensorESM_SM_EERKSM_lbbbEUlllE0_EEPmJS6_EEE10hipError_tPvRmT3_T4_T5_T6_T7_T9_mT8_P12ihipStream_tbDpT10_ENKUlT_T0_E_clISt17integral_constantIbLb0EES1B_IbLb1EEEEDaS17_S18_EUlS17_E_NS1_11comp_targetILNS1_3genE8ELNS1_11target_archE1030ELNS1_3gpuE2ELNS1_3repE0EEENS1_30default_config_static_selectorELNS0_4arch9wavefront6targetE1EEEvT1_.num_agpr, 0
	.set _ZN7rocprim17ROCPRIM_400000_NS6detail17trampoline_kernelINS0_14default_configENS1_25partition_config_selectorILNS1_17partition_subalgoE8ElNS0_10empty_typeEbEEZZNS1_14partition_implILS5_8ELb0ES3_jPlPS6_PKS6_NS0_5tupleIJS9_S6_EEENSD_IJSA_SA_EEENS0_18inequality_wrapperIZN2at6native12_GLOBAL__N_124unique_dim_cuda_templateIdEESt5tupleIJNSH_6TensorESM_SM_EERKSM_lbbbEUlllE0_EEPmJS6_EEE10hipError_tPvRmT3_T4_T5_T6_T7_T9_mT8_P12ihipStream_tbDpT10_ENKUlT_T0_E_clISt17integral_constantIbLb0EES1B_IbLb1EEEEDaS17_S18_EUlS17_E_NS1_11comp_targetILNS1_3genE8ELNS1_11target_archE1030ELNS1_3gpuE2ELNS1_3repE0EEENS1_30default_config_static_selectorELNS0_4arch9wavefront6targetE1EEEvT1_.numbered_sgpr, 0
	.set _ZN7rocprim17ROCPRIM_400000_NS6detail17trampoline_kernelINS0_14default_configENS1_25partition_config_selectorILNS1_17partition_subalgoE8ElNS0_10empty_typeEbEEZZNS1_14partition_implILS5_8ELb0ES3_jPlPS6_PKS6_NS0_5tupleIJS9_S6_EEENSD_IJSA_SA_EEENS0_18inequality_wrapperIZN2at6native12_GLOBAL__N_124unique_dim_cuda_templateIdEESt5tupleIJNSH_6TensorESM_SM_EERKSM_lbbbEUlllE0_EEPmJS6_EEE10hipError_tPvRmT3_T4_T5_T6_T7_T9_mT8_P12ihipStream_tbDpT10_ENKUlT_T0_E_clISt17integral_constantIbLb0EES1B_IbLb1EEEEDaS17_S18_EUlS17_E_NS1_11comp_targetILNS1_3genE8ELNS1_11target_archE1030ELNS1_3gpuE2ELNS1_3repE0EEENS1_30default_config_static_selectorELNS0_4arch9wavefront6targetE1EEEvT1_.num_named_barrier, 0
	.set _ZN7rocprim17ROCPRIM_400000_NS6detail17trampoline_kernelINS0_14default_configENS1_25partition_config_selectorILNS1_17partition_subalgoE8ElNS0_10empty_typeEbEEZZNS1_14partition_implILS5_8ELb0ES3_jPlPS6_PKS6_NS0_5tupleIJS9_S6_EEENSD_IJSA_SA_EEENS0_18inequality_wrapperIZN2at6native12_GLOBAL__N_124unique_dim_cuda_templateIdEESt5tupleIJNSH_6TensorESM_SM_EERKSM_lbbbEUlllE0_EEPmJS6_EEE10hipError_tPvRmT3_T4_T5_T6_T7_T9_mT8_P12ihipStream_tbDpT10_ENKUlT_T0_E_clISt17integral_constantIbLb0EES1B_IbLb1EEEEDaS17_S18_EUlS17_E_NS1_11comp_targetILNS1_3genE8ELNS1_11target_archE1030ELNS1_3gpuE2ELNS1_3repE0EEENS1_30default_config_static_selectorELNS0_4arch9wavefront6targetE1EEEvT1_.private_seg_size, 0
	.set _ZN7rocprim17ROCPRIM_400000_NS6detail17trampoline_kernelINS0_14default_configENS1_25partition_config_selectorILNS1_17partition_subalgoE8ElNS0_10empty_typeEbEEZZNS1_14partition_implILS5_8ELb0ES3_jPlPS6_PKS6_NS0_5tupleIJS9_S6_EEENSD_IJSA_SA_EEENS0_18inequality_wrapperIZN2at6native12_GLOBAL__N_124unique_dim_cuda_templateIdEESt5tupleIJNSH_6TensorESM_SM_EERKSM_lbbbEUlllE0_EEPmJS6_EEE10hipError_tPvRmT3_T4_T5_T6_T7_T9_mT8_P12ihipStream_tbDpT10_ENKUlT_T0_E_clISt17integral_constantIbLb0EES1B_IbLb1EEEEDaS17_S18_EUlS17_E_NS1_11comp_targetILNS1_3genE8ELNS1_11target_archE1030ELNS1_3gpuE2ELNS1_3repE0EEENS1_30default_config_static_selectorELNS0_4arch9wavefront6targetE1EEEvT1_.uses_vcc, 0
	.set _ZN7rocprim17ROCPRIM_400000_NS6detail17trampoline_kernelINS0_14default_configENS1_25partition_config_selectorILNS1_17partition_subalgoE8ElNS0_10empty_typeEbEEZZNS1_14partition_implILS5_8ELb0ES3_jPlPS6_PKS6_NS0_5tupleIJS9_S6_EEENSD_IJSA_SA_EEENS0_18inequality_wrapperIZN2at6native12_GLOBAL__N_124unique_dim_cuda_templateIdEESt5tupleIJNSH_6TensorESM_SM_EERKSM_lbbbEUlllE0_EEPmJS6_EEE10hipError_tPvRmT3_T4_T5_T6_T7_T9_mT8_P12ihipStream_tbDpT10_ENKUlT_T0_E_clISt17integral_constantIbLb0EES1B_IbLb1EEEEDaS17_S18_EUlS17_E_NS1_11comp_targetILNS1_3genE8ELNS1_11target_archE1030ELNS1_3gpuE2ELNS1_3repE0EEENS1_30default_config_static_selectorELNS0_4arch9wavefront6targetE1EEEvT1_.uses_flat_scratch, 0
	.set _ZN7rocprim17ROCPRIM_400000_NS6detail17trampoline_kernelINS0_14default_configENS1_25partition_config_selectorILNS1_17partition_subalgoE8ElNS0_10empty_typeEbEEZZNS1_14partition_implILS5_8ELb0ES3_jPlPS6_PKS6_NS0_5tupleIJS9_S6_EEENSD_IJSA_SA_EEENS0_18inequality_wrapperIZN2at6native12_GLOBAL__N_124unique_dim_cuda_templateIdEESt5tupleIJNSH_6TensorESM_SM_EERKSM_lbbbEUlllE0_EEPmJS6_EEE10hipError_tPvRmT3_T4_T5_T6_T7_T9_mT8_P12ihipStream_tbDpT10_ENKUlT_T0_E_clISt17integral_constantIbLb0EES1B_IbLb1EEEEDaS17_S18_EUlS17_E_NS1_11comp_targetILNS1_3genE8ELNS1_11target_archE1030ELNS1_3gpuE2ELNS1_3repE0EEENS1_30default_config_static_selectorELNS0_4arch9wavefront6targetE1EEEvT1_.has_dyn_sized_stack, 0
	.set _ZN7rocprim17ROCPRIM_400000_NS6detail17trampoline_kernelINS0_14default_configENS1_25partition_config_selectorILNS1_17partition_subalgoE8ElNS0_10empty_typeEbEEZZNS1_14partition_implILS5_8ELb0ES3_jPlPS6_PKS6_NS0_5tupleIJS9_S6_EEENSD_IJSA_SA_EEENS0_18inequality_wrapperIZN2at6native12_GLOBAL__N_124unique_dim_cuda_templateIdEESt5tupleIJNSH_6TensorESM_SM_EERKSM_lbbbEUlllE0_EEPmJS6_EEE10hipError_tPvRmT3_T4_T5_T6_T7_T9_mT8_P12ihipStream_tbDpT10_ENKUlT_T0_E_clISt17integral_constantIbLb0EES1B_IbLb1EEEEDaS17_S18_EUlS17_E_NS1_11comp_targetILNS1_3genE8ELNS1_11target_archE1030ELNS1_3gpuE2ELNS1_3repE0EEENS1_30default_config_static_selectorELNS0_4arch9wavefront6targetE1EEEvT1_.has_recursion, 0
	.set _ZN7rocprim17ROCPRIM_400000_NS6detail17trampoline_kernelINS0_14default_configENS1_25partition_config_selectorILNS1_17partition_subalgoE8ElNS0_10empty_typeEbEEZZNS1_14partition_implILS5_8ELb0ES3_jPlPS6_PKS6_NS0_5tupleIJS9_S6_EEENSD_IJSA_SA_EEENS0_18inequality_wrapperIZN2at6native12_GLOBAL__N_124unique_dim_cuda_templateIdEESt5tupleIJNSH_6TensorESM_SM_EERKSM_lbbbEUlllE0_EEPmJS6_EEE10hipError_tPvRmT3_T4_T5_T6_T7_T9_mT8_P12ihipStream_tbDpT10_ENKUlT_T0_E_clISt17integral_constantIbLb0EES1B_IbLb1EEEEDaS17_S18_EUlS17_E_NS1_11comp_targetILNS1_3genE8ELNS1_11target_archE1030ELNS1_3gpuE2ELNS1_3repE0EEENS1_30default_config_static_selectorELNS0_4arch9wavefront6targetE1EEEvT1_.has_indirect_call, 0
	.section	.AMDGPU.csdata,"",@progbits
; Kernel info:
; codeLenInByte = 0
; TotalNumSgprs: 6
; NumVgprs: 0
; NumAgprs: 0
; TotalNumVgprs: 0
; ScratchSize: 0
; MemoryBound: 0
; FloatMode: 240
; IeeeMode: 1
; LDSByteSize: 0 bytes/workgroup (compile time only)
; SGPRBlocks: 0
; VGPRBlocks: 0
; NumSGPRsForWavesPerEU: 6
; NumVGPRsForWavesPerEU: 1
; AccumOffset: 4
; Occupancy: 8
; WaveLimiterHint : 0
; COMPUTE_PGM_RSRC2:SCRATCH_EN: 0
; COMPUTE_PGM_RSRC2:USER_SGPR: 2
; COMPUTE_PGM_RSRC2:TRAP_HANDLER: 0
; COMPUTE_PGM_RSRC2:TGID_X_EN: 1
; COMPUTE_PGM_RSRC2:TGID_Y_EN: 0
; COMPUTE_PGM_RSRC2:TGID_Z_EN: 0
; COMPUTE_PGM_RSRC2:TIDIG_COMP_CNT: 0
; COMPUTE_PGM_RSRC3_GFX90A:ACCUM_OFFSET: 0
; COMPUTE_PGM_RSRC3_GFX90A:TG_SPLIT: 0
	.section	.text._ZN7rocprim17ROCPRIM_400000_NS6detail17trampoline_kernelINS0_14default_configENS1_25partition_config_selectorILNS1_17partition_subalgoE9EllbEEZZNS1_14partition_implILS5_9ELb0ES3_jPlS8_PNS0_10empty_typeENS0_5tupleIJS8_S9_EEENSB_IJS8_SA_EEENS0_18inequality_wrapperIZN2at6native12_GLOBAL__N_124unique_dim_cuda_templateIdEESt5tupleIJNSF_6TensorESK_SK_EERKSK_lbbbEUlllE0_EEPmJS9_EEE10hipError_tPvRmT3_T4_T5_T6_T7_T9_mT8_P12ihipStream_tbDpT10_ENKUlT_T0_E_clISt17integral_constantIbLb0EES1A_EEDaS15_S16_EUlS15_E_NS1_11comp_targetILNS1_3genE0ELNS1_11target_archE4294967295ELNS1_3gpuE0ELNS1_3repE0EEENS1_30default_config_static_selectorELNS0_4arch9wavefront6targetE1EEEvT1_,"axG",@progbits,_ZN7rocprim17ROCPRIM_400000_NS6detail17trampoline_kernelINS0_14default_configENS1_25partition_config_selectorILNS1_17partition_subalgoE9EllbEEZZNS1_14partition_implILS5_9ELb0ES3_jPlS8_PNS0_10empty_typeENS0_5tupleIJS8_S9_EEENSB_IJS8_SA_EEENS0_18inequality_wrapperIZN2at6native12_GLOBAL__N_124unique_dim_cuda_templateIdEESt5tupleIJNSF_6TensorESK_SK_EERKSK_lbbbEUlllE0_EEPmJS9_EEE10hipError_tPvRmT3_T4_T5_T6_T7_T9_mT8_P12ihipStream_tbDpT10_ENKUlT_T0_E_clISt17integral_constantIbLb0EES1A_EEDaS15_S16_EUlS15_E_NS1_11comp_targetILNS1_3genE0ELNS1_11target_archE4294967295ELNS1_3gpuE0ELNS1_3repE0EEENS1_30default_config_static_selectorELNS0_4arch9wavefront6targetE1EEEvT1_,comdat
	.globl	_ZN7rocprim17ROCPRIM_400000_NS6detail17trampoline_kernelINS0_14default_configENS1_25partition_config_selectorILNS1_17partition_subalgoE9EllbEEZZNS1_14partition_implILS5_9ELb0ES3_jPlS8_PNS0_10empty_typeENS0_5tupleIJS8_S9_EEENSB_IJS8_SA_EEENS0_18inequality_wrapperIZN2at6native12_GLOBAL__N_124unique_dim_cuda_templateIdEESt5tupleIJNSF_6TensorESK_SK_EERKSK_lbbbEUlllE0_EEPmJS9_EEE10hipError_tPvRmT3_T4_T5_T6_T7_T9_mT8_P12ihipStream_tbDpT10_ENKUlT_T0_E_clISt17integral_constantIbLb0EES1A_EEDaS15_S16_EUlS15_E_NS1_11comp_targetILNS1_3genE0ELNS1_11target_archE4294967295ELNS1_3gpuE0ELNS1_3repE0EEENS1_30default_config_static_selectorELNS0_4arch9wavefront6targetE1EEEvT1_ ; -- Begin function _ZN7rocprim17ROCPRIM_400000_NS6detail17trampoline_kernelINS0_14default_configENS1_25partition_config_selectorILNS1_17partition_subalgoE9EllbEEZZNS1_14partition_implILS5_9ELb0ES3_jPlS8_PNS0_10empty_typeENS0_5tupleIJS8_S9_EEENSB_IJS8_SA_EEENS0_18inequality_wrapperIZN2at6native12_GLOBAL__N_124unique_dim_cuda_templateIdEESt5tupleIJNSF_6TensorESK_SK_EERKSK_lbbbEUlllE0_EEPmJS9_EEE10hipError_tPvRmT3_T4_T5_T6_T7_T9_mT8_P12ihipStream_tbDpT10_ENKUlT_T0_E_clISt17integral_constantIbLb0EES1A_EEDaS15_S16_EUlS15_E_NS1_11comp_targetILNS1_3genE0ELNS1_11target_archE4294967295ELNS1_3gpuE0ELNS1_3repE0EEENS1_30default_config_static_selectorELNS0_4arch9wavefront6targetE1EEEvT1_
	.p2align	8
	.type	_ZN7rocprim17ROCPRIM_400000_NS6detail17trampoline_kernelINS0_14default_configENS1_25partition_config_selectorILNS1_17partition_subalgoE9EllbEEZZNS1_14partition_implILS5_9ELb0ES3_jPlS8_PNS0_10empty_typeENS0_5tupleIJS8_S9_EEENSB_IJS8_SA_EEENS0_18inequality_wrapperIZN2at6native12_GLOBAL__N_124unique_dim_cuda_templateIdEESt5tupleIJNSF_6TensorESK_SK_EERKSK_lbbbEUlllE0_EEPmJS9_EEE10hipError_tPvRmT3_T4_T5_T6_T7_T9_mT8_P12ihipStream_tbDpT10_ENKUlT_T0_E_clISt17integral_constantIbLb0EES1A_EEDaS15_S16_EUlS15_E_NS1_11comp_targetILNS1_3genE0ELNS1_11target_archE4294967295ELNS1_3gpuE0ELNS1_3repE0EEENS1_30default_config_static_selectorELNS0_4arch9wavefront6targetE1EEEvT1_,@function
_ZN7rocprim17ROCPRIM_400000_NS6detail17trampoline_kernelINS0_14default_configENS1_25partition_config_selectorILNS1_17partition_subalgoE9EllbEEZZNS1_14partition_implILS5_9ELb0ES3_jPlS8_PNS0_10empty_typeENS0_5tupleIJS8_S9_EEENSB_IJS8_SA_EEENS0_18inequality_wrapperIZN2at6native12_GLOBAL__N_124unique_dim_cuda_templateIdEESt5tupleIJNSF_6TensorESK_SK_EERKSK_lbbbEUlllE0_EEPmJS9_EEE10hipError_tPvRmT3_T4_T5_T6_T7_T9_mT8_P12ihipStream_tbDpT10_ENKUlT_T0_E_clISt17integral_constantIbLb0EES1A_EEDaS15_S16_EUlS15_E_NS1_11comp_targetILNS1_3genE0ELNS1_11target_archE4294967295ELNS1_3gpuE0ELNS1_3repE0EEENS1_30default_config_static_selectorELNS0_4arch9wavefront6targetE1EEEvT1_: ; @_ZN7rocprim17ROCPRIM_400000_NS6detail17trampoline_kernelINS0_14default_configENS1_25partition_config_selectorILNS1_17partition_subalgoE9EllbEEZZNS1_14partition_implILS5_9ELb0ES3_jPlS8_PNS0_10empty_typeENS0_5tupleIJS8_S9_EEENSB_IJS8_SA_EEENS0_18inequality_wrapperIZN2at6native12_GLOBAL__N_124unique_dim_cuda_templateIdEESt5tupleIJNSF_6TensorESK_SK_EERKSK_lbbbEUlllE0_EEPmJS9_EEE10hipError_tPvRmT3_T4_T5_T6_T7_T9_mT8_P12ihipStream_tbDpT10_ENKUlT_T0_E_clISt17integral_constantIbLb0EES1A_EEDaS15_S16_EUlS15_E_NS1_11comp_targetILNS1_3genE0ELNS1_11target_archE4294967295ELNS1_3gpuE0ELNS1_3repE0EEENS1_30default_config_static_selectorELNS0_4arch9wavefront6targetE1EEEvT1_
; %bb.0:
	s_load_dwordx4 s[4:7], s[0:1], 0x8
	s_load_dwordx2 s[10:11], s[0:1], 0x18
	s_load_dwordx8 s[24:31], s[0:1], 0x40
	s_load_dword s3, s[0:1], 0x70
	s_mul_i32 s12, s2, 0x280
	s_waitcnt lgkmcnt(0)
	s_lshl_b64 s[14:15], s[6:7], 3
	s_add_u32 s18, s4, s14
	s_addc_u32 s19, s5, s15
	s_mul_i32 s4, s3, 0x280
	s_add_i32 s8, s3, -1
	s_add_i32 s3, s4, s6
	s_sub_i32 s3, s28, s3
	s_addk_i32 s3, 0x280
	s_add_u32 s4, s6, s4
	s_addc_u32 s5, s7, 0
	v_mov_b64_e32 v[2:3], s[4:5]
	s_cmp_eq_u32 s2, s8
	s_load_dwordx2 s[26:27], s[26:27], 0x0
	v_cmp_le_u64_e32 vcc, s[28:29], v[2:3]
	s_cselect_b64 s[28:29], -1, 0
	s_mov_b32 s13, 0
	s_and_b64 s[8:9], s[28:29], vcc
	s_xor_b64 s[34:35], s[8:9], -1
	s_lshl_b64 s[16:17], s[12:13], 3
	s_add_u32 s12, s18, s16
	s_mov_b64 s[4:5], -1
	s_addc_u32 s13, s19, s17
	s_and_b64 vcc, exec, s[34:35]
	v_lshlrev_b32_e32 v1, 3, v0
	s_cbranch_vccz .LBB839_2
; %bb.1:
	v_lshlrev_b32_e32 v2, 3, v0
	v_mov_b32_e32 v3, 0
	v_lshl_add_u64 v[4:5], s[12:13], 0, v[2:3]
	v_add_co_u32_e32 v4, vcc, 0x1000, v4
	global_load_dwordx2 v[6:7], v2, s[12:13] offset:3072
	s_nop 0
	v_addc_co_u32_e32 v5, vcc, 0, v5, vcc
	global_load_dwordx2 v[8:9], v2, s[12:13]
	global_load_dwordx2 v[10:11], v2, s[12:13] offset:1024
	global_load_dwordx2 v[12:13], v2, s[12:13] offset:2048
	global_load_dwordx2 v[14:15], v[4:5], off
	s_mov_b64 s[4:5], 0
	s_waitcnt vmcnt(2)
	ds_write2st64_b64 v2, v[8:9], v[10:11] offset1:2
	s_waitcnt vmcnt(1)
	ds_write2st64_b64 v2, v[12:13], v[6:7] offset0:4 offset1:6
	s_waitcnt vmcnt(0)
	ds_write_b64 v2, v[14:15] offset:4096
	s_waitcnt lgkmcnt(0)
	s_barrier
.LBB839_2:
	s_load_dwordx4 s[20:23], s[0:1], 0x60
	s_andn2_b64 vcc, exec, s[4:5]
	v_cmp_gt_u32_e64 s[4:5], s3, v0
	s_cbranch_vccnz .LBB839_14
; %bb.3:
	v_mov_b32_e32 v2, 0
	v_mov_b32_e32 v3, v2
	;; [unrolled: 1-line block ×10, first 2 shown]
	s_and_saveexec_b64 s[18:19], s[4:5]
	s_cbranch_execz .LBB839_5
; %bb.4:
	v_lshlrev_b32_e32 v3, 3, v0
	global_load_dwordx2 v[4:5], v3, s[12:13]
	v_mov_b32_e32 v6, v2
	v_mov_b32_e32 v7, v2
	;; [unrolled: 1-line block ×8, first 2 shown]
	s_waitcnt vmcnt(0)
	v_mov_b64_e32 v[2:3], v[4:5]
	v_mov_b64_e32 v[4:5], v[6:7]
	;; [unrolled: 1-line block ×8, first 2 shown]
.LBB839_5:
	s_or_b64 exec, exec, s[18:19]
	v_or_b32_e32 v12, 0x80, v0
	v_cmp_gt_u32_e32 vcc, s3, v12
	s_and_saveexec_b64 s[4:5], vcc
	s_cbranch_execz .LBB839_7
; %bb.6:
	v_lshlrev_b32_e32 v4, 3, v0
	global_load_dwordx2 v[4:5], v4, s[12:13] offset:1024
.LBB839_7:
	s_or_b64 exec, exec, s[4:5]
	v_or_b32_e32 v12, 0x100, v0
	v_cmp_gt_u32_e32 vcc, s3, v12
	s_and_saveexec_b64 s[4:5], vcc
	s_cbranch_execz .LBB839_9
; %bb.8:
	v_lshlrev_b32_e32 v6, 3, v0
	global_load_dwordx2 v[6:7], v6, s[12:13] offset:2048
.LBB839_9:
	;; [unrolled: 9-line block ×3, first 2 shown]
	s_or_b64 exec, exec, s[4:5]
	v_or_b32_e32 v12, 0x200, v0
	v_cmp_gt_u32_e32 vcc, s3, v12
	s_and_saveexec_b64 s[4:5], vcc
	s_cbranch_execz .LBB839_13
; %bb.12:
	v_lshlrev_b32_e32 v10, 3, v12
	global_load_dwordx2 v[10:11], v10, s[12:13]
.LBB839_13:
	s_or_b64 exec, exec, s[4:5]
	v_lshlrev_b32_e32 v12, 3, v0
	s_waitcnt vmcnt(0)
	ds_write2st64_b64 v12, v[2:3], v[4:5] offset1:2
	ds_write2st64_b64 v12, v[6:7], v[8:9] offset0:4 offset1:6
	ds_write_b64 v12, v[10:11] offset:4096
	s_waitcnt lgkmcnt(0)
	s_barrier
.LBB839_14:
	v_mul_u32_u24_e32 v22, 5, v0
	v_lshlrev_b32_e32 v20, 3, v22
	s_waitcnt lgkmcnt(0)
	ds_read2_b64 v[6:9], v20 offset1:1
	ds_read2_b64 v[2:5], v20 offset0:2 offset1:3
	ds_read_b64 v[12:13], v20 offset:32
	s_add_u32 s4, s10, s14
	s_addc_u32 s5, s11, s15
	s_add_u32 s4, s4, s16
	s_addc_u32 s5, s5, s17
	s_mov_b64 s[10:11], -1
	s_and_b64 vcc, exec, s[34:35]
	s_waitcnt lgkmcnt(0)
	s_barrier
	s_cbranch_vccz .LBB839_16
; %bb.15:
	v_lshlrev_b32_e32 v10, 3, v0
	v_mov_b32_e32 v11, 0
	v_lshl_add_u64 v[14:15], s[4:5], 0, v[10:11]
	v_add_co_u32_e32 v14, vcc, 0x1000, v14
	global_load_dwordx2 v[16:17], v10, s[4:5] offset:3072
	s_nop 0
	v_addc_co_u32_e32 v15, vcc, 0, v15, vcc
	global_load_dwordx2 v[18:19], v10, s[4:5]
	global_load_dwordx2 v[24:25], v10, s[4:5] offset:1024
	global_load_dwordx2 v[26:27], v10, s[4:5] offset:2048
	global_load_dwordx2 v[28:29], v[14:15], off
	s_mov_b64 s[10:11], 0
	s_waitcnt vmcnt(2)
	ds_write2st64_b64 v10, v[18:19], v[24:25] offset1:2
	s_waitcnt vmcnt(1)
	ds_write2st64_b64 v10, v[26:27], v[16:17] offset0:4 offset1:6
	s_waitcnt vmcnt(0)
	ds_write_b64 v10, v[28:29] offset:4096
	s_waitcnt lgkmcnt(0)
	s_barrier
.LBB839_16:
	s_andn2_b64 vcc, exec, s[10:11]
	s_cbranch_vccnz .LBB839_28
; %bb.17:
	v_cmp_gt_u32_e32 vcc, s3, v0
                                        ; implicit-def: $vgpr10_vgpr11
	s_and_saveexec_b64 s[10:11], vcc
	s_cbranch_execz .LBB839_19
; %bb.18:
	v_lshlrev_b32_e32 v10, 3, v0
	global_load_dwordx2 v[10:11], v10, s[4:5]
.LBB839_19:
	s_or_b64 exec, exec, s[10:11]
	v_or_b32_e32 v14, 0x80, v0
	v_cmp_gt_u32_e32 vcc, s3, v14
                                        ; implicit-def: $vgpr14_vgpr15
	s_and_saveexec_b64 s[10:11], vcc
	s_cbranch_execz .LBB839_21
; %bb.20:
	v_lshlrev_b32_e32 v14, 3, v0
	global_load_dwordx2 v[14:15], v14, s[4:5] offset:1024
.LBB839_21:
	s_or_b64 exec, exec, s[10:11]
	v_or_b32_e32 v16, 0x100, v0
	v_cmp_gt_u32_e32 vcc, s3, v16
                                        ; implicit-def: $vgpr16_vgpr17
	s_and_saveexec_b64 s[10:11], vcc
	s_cbranch_execz .LBB839_23
; %bb.22:
	v_lshlrev_b32_e32 v16, 3, v0
	global_load_dwordx2 v[16:17], v16, s[4:5] offset:2048
.LBB839_23:
	s_or_b64 exec, exec, s[10:11]
	v_or_b32_e32 v18, 0x180, v0
	v_cmp_gt_u32_e32 vcc, s3, v18
                                        ; implicit-def: $vgpr18_vgpr19
	s_and_saveexec_b64 s[10:11], vcc
	s_cbranch_execz .LBB839_25
; %bb.24:
	v_lshlrev_b32_e32 v18, 3, v0
	global_load_dwordx2 v[18:19], v18, s[4:5] offset:3072
.LBB839_25:
	s_or_b64 exec, exec, s[10:11]
	v_or_b32_e32 v21, 0x200, v0
	v_cmp_gt_u32_e32 vcc, s3, v21
                                        ; implicit-def: $vgpr24_vgpr25
	s_and_saveexec_b64 s[10:11], vcc
	s_cbranch_execz .LBB839_27
; %bb.26:
	v_lshlrev_b32_e32 v21, 3, v21
	global_load_dwordx2 v[24:25], v21, s[4:5]
.LBB839_27:
	s_or_b64 exec, exec, s[10:11]
	v_lshlrev_b32_e32 v21, 5, v0
	v_sub_u32_e32 v21, v20, v21
	s_waitcnt vmcnt(0)
	ds_write2st64_b64 v21, v[10:11], v[14:15] offset1:2
	ds_write2st64_b64 v21, v[16:17], v[18:19] offset0:4 offset1:6
	ds_write_b64 v21, v[24:25] offset:4096
	s_waitcnt lgkmcnt(0)
	s_barrier
.LBB839_28:
	ds_read_b64 v[10:11], v20 offset:32
	ds_read2_b64 v[52:55], v20 offset0:2 offset1:3
	ds_read2_b64 v[56:59], v20 offset1:1
	s_cmp_lg_u32 s2, 0
	s_cselect_b64 s[16:17], -1, 0
	s_cmp_lg_u64 s[6:7], 0
	s_cselect_b64 s[4:5], -1, 0
	s_or_b64 s[4:5], s[16:17], s[4:5]
	s_mov_b64 s[10:11], 0
	s_and_b64 vcc, exec, s[4:5]
	v_cmp_gt_i64_e64 s[4:5], s[30:31], 0
	s_waitcnt lgkmcnt(0)
	s_barrier
	s_cbranch_vccz .LBB839_40
; %bb.29:
	s_add_u32 s6, s12, -8
	s_addc_u32 s7, s13, -1
	s_load_dwordx2 s[10:11], s[6:7], 0x0
	v_cndmask_b32_e64 v14, 0, 1, s[4:5]
	v_lshlrev_b32_e32 v21, 3, v0
	s_mov_b64 s[6:7], 0
	s_and_b64 vcc, exec, s[34:35]
	v_cmp_ne_u32_e64 s[4:5], 1, v14
	ds_write_b64 v21, v[12:13]
	s_cbranch_vccz .LBB839_42
; %bb.30:
	s_and_b64 vcc, exec, s[4:5]
	s_cbranch_vccnz .LBB839_43
; %bb.31:
	v_mul_lo_u32 v16, v5, s30
	v_mul_lo_u32 v17, v4, s31
	v_mad_u64_u32 v[14:15], s[6:7], v4, s30, 0
	v_add3_u32 v15, v15, v17, v16
	v_mul_lo_u32 v18, v13, s30
	v_mul_lo_u32 v19, v12, s31
	v_mad_u64_u32 v[16:17], s[6:7], v12, s30, 0
	s_add_u32 s14, s30, -1
	v_lshl_add_u64 v[14:15], v[14:15], 3, s[20:21]
	v_add3_u32 v17, v17, v19, v18
	s_addc_u32 s15, s31, -1
	v_lshl_add_u64 v[16:17], v[16:17], 3, s[20:21]
	s_mov_b64 s[18:19], 0
	s_mov_b64 s[36:37], s[14:15]
	v_mov_b64_e32 v[18:19], v[14:15]
                                        ; implicit-def: $sgpr12_sgpr13
.LBB839_32:                             ; =>This Inner Loop Header: Depth=1
	global_load_dwordx2 v[24:25], v[18:19], off
	global_load_dwordx2 v[26:27], v[16:17], off
	s_add_u32 s6, s36, -1
	s_addc_u32 s7, s37, -1
	s_cmp_eq_u64 s[36:37], 0
	s_mov_b64 s[36:37], s[6:7]
	s_cselect_b64 s[38:39], -1, 0
	v_lshl_add_u64 v[18:19], v[18:19], 0, 8
	v_lshl_add_u64 v[16:17], v[16:17], 0, 8
	s_waitcnt vmcnt(0)
	v_cmp_neq_f64_e64 s[6:7], v[24:25], v[26:27]
	s_or_b64 s[6:7], s[6:7], s[38:39]
	s_and_b64 s[6:7], exec, s[6:7]
	v_cmp_eq_f64_e32 vcc, v[24:25], v[26:27]
	s_or_b64 s[18:19], s[6:7], s[18:19]
	s_andn2_b64 s[6:7], s[12:13], exec
	s_and_b64 s[12:13], vcc, exec
	s_or_b64 s[12:13], s[6:7], s[12:13]
	s_andn2_b64 exec, exec, s[18:19]
	s_cbranch_execnz .LBB839_32
; %bb.33:
	s_or_b64 exec, exec, s[18:19]
	v_mul_lo_u32 v18, v3, s30
	v_mul_lo_u32 v19, v2, s31
	v_mad_u64_u32 v[16:17], s[6:7], v2, s30, 0
	v_add3_u32 v17, v17, v19, v18
	v_lshl_add_u64 v[16:17], v[16:17], 3, s[20:21]
	s_mov_b64 s[36:37], 0
	s_mov_b64 s[38:39], s[14:15]
	v_mov_b64_e32 v[18:19], v[16:17]
                                        ; implicit-def: $sgpr18_sgpr19
.LBB839_34:                             ; =>This Inner Loop Header: Depth=1
	global_load_dwordx2 v[24:25], v[18:19], off
	global_load_dwordx2 v[26:27], v[14:15], off
	s_add_u32 s6, s38, -1
	s_addc_u32 s7, s39, -1
	s_cmp_eq_u64 s[38:39], 0
	s_mov_b64 s[38:39], s[6:7]
	s_cselect_b64 s[40:41], -1, 0
	v_lshl_add_u64 v[18:19], v[18:19], 0, 8
	v_lshl_add_u64 v[14:15], v[14:15], 0, 8
	s_waitcnt vmcnt(0)
	v_cmp_neq_f64_e64 s[6:7], v[24:25], v[26:27]
	s_or_b64 s[6:7], s[6:7], s[40:41]
	s_and_b64 s[6:7], exec, s[6:7]
	v_cmp_eq_f64_e32 vcc, v[24:25], v[26:27]
	s_or_b64 s[36:37], s[6:7], s[36:37]
	s_andn2_b64 s[6:7], s[18:19], exec
	s_and_b64 s[18:19], vcc, exec
	s_or_b64 s[18:19], s[6:7], s[18:19]
	s_andn2_b64 exec, exec, s[36:37]
	s_cbranch_execnz .LBB839_34
; %bb.35:
	s_or_b64 exec, exec, s[36:37]
	v_mul_lo_u32 v18, v9, s30
	v_mul_lo_u32 v19, v8, s31
	v_mad_u64_u32 v[14:15], s[6:7], v8, s30, 0
	v_add3_u32 v15, v15, v19, v18
	v_lshl_add_u64 v[14:15], v[14:15], 3, s[20:21]
	s_mov_b64 s[38:39], 0
	s_mov_b64 s[40:41], s[14:15]
	v_mov_b64_e32 v[18:19], v[14:15]
                                        ; implicit-def: $sgpr36_sgpr37
.LBB839_36:                             ; =>This Inner Loop Header: Depth=1
	global_load_dwordx2 v[24:25], v[18:19], off
	global_load_dwordx2 v[26:27], v[16:17], off
	s_add_u32 s6, s40, -1
	s_addc_u32 s7, s41, -1
	s_cmp_eq_u64 s[40:41], 0
	s_mov_b64 s[40:41], s[6:7]
	s_cselect_b64 s[42:43], -1, 0
	v_lshl_add_u64 v[18:19], v[18:19], 0, 8
	v_lshl_add_u64 v[16:17], v[16:17], 0, 8
	s_waitcnt vmcnt(0)
	v_cmp_neq_f64_e64 s[6:7], v[24:25], v[26:27]
	s_or_b64 s[6:7], s[6:7], s[42:43]
	s_and_b64 s[6:7], exec, s[6:7]
	v_cmp_eq_f64_e32 vcc, v[24:25], v[26:27]
	s_or_b64 s[38:39], s[6:7], s[38:39]
	s_andn2_b64 s[6:7], s[36:37], exec
	s_and_b64 s[36:37], vcc, exec
	s_or_b64 s[36:37], s[6:7], s[36:37]
	s_andn2_b64 exec, exec, s[38:39]
	s_cbranch_execnz .LBB839_36
; %bb.37:
	s_or_b64 exec, exec, s[38:39]
	v_mul_lo_u32 v18, v7, s30
	v_mul_lo_u32 v19, v6, s31
	v_mad_u64_u32 v[16:17], s[6:7], v6, s30, 0
	v_add3_u32 v17, v17, v19, v18
	v_lshl_add_u64 v[16:17], v[16:17], 3, s[20:21]
	s_mov_b64 s[40:41], 0
                                        ; implicit-def: $sgpr38_sgpr39
.LBB839_38:                             ; =>This Inner Loop Header: Depth=1
	global_load_dwordx2 v[18:19], v[16:17], off
	global_load_dwordx2 v[24:25], v[14:15], off
	s_add_u32 s6, s14, -1
	s_addc_u32 s7, s15, -1
	s_cmp_eq_u64 s[14:15], 0
	s_mov_b64 s[14:15], s[6:7]
	s_cselect_b64 s[42:43], -1, 0
	v_lshl_add_u64 v[16:17], v[16:17], 0, 8
	v_lshl_add_u64 v[14:15], v[14:15], 0, 8
	s_waitcnt vmcnt(0)
	v_cmp_neq_f64_e64 s[6:7], v[18:19], v[24:25]
	s_or_b64 s[6:7], s[6:7], s[42:43]
	s_and_b64 s[6:7], exec, s[6:7]
	v_cmp_eq_f64_e32 vcc, v[18:19], v[24:25]
	s_or_b64 s[40:41], s[6:7], s[40:41]
	s_andn2_b64 s[6:7], s[38:39], exec
	s_and_b64 s[38:39], vcc, exec
	s_or_b64 s[38:39], s[6:7], s[38:39]
	s_andn2_b64 exec, exec, s[40:41]
	s_cbranch_execnz .LBB839_38
; %bb.39:
	s_or_b64 exec, exec, s[40:41]
	s_xor_b64 s[6:7], s[12:13], -1
	v_cndmask_b32_e64 v32, 0, 1, s[6:7]
	s_xor_b64 s[6:7], s[18:19], -1
	v_cndmask_b32_e64 v14, 0, 1, s[6:7]
	v_lshlrev_b16_e32 v14, 8, v14
	v_mov_b32_e32 v15, 8
	s_xor_b64 s[12:13], s[36:37], -1
	v_lshrrev_b32_sdwa v14, v15, v14 dst_sel:BYTE_1 dst_unused:UNUSED_PAD src0_sel:DWORD src1_sel:DWORD
	v_cndmask_b32_e64 v15, 0, 1, s[12:13]
	s_xor_b64 s[6:7], s[38:39], -1
	v_or_b32_sdwa v16, v15, v14 dst_sel:WORD_1 dst_unused:UNUSED_PAD src0_sel:DWORD src1_sel:DWORD
	s_branch .LBB839_44
.LBB839_40:
                                        ; implicit-def: $sgpr6_sgpr7
                                        ; implicit-def: $vgpr32
                                        ; implicit-def: $vgpr15
	s_branch .LBB839_85
.LBB839_41:
                                        ; implicit-def: $vgpr16
                                        ; implicit-def: $vgpr34
                                        ; implicit-def: $vgpr33
                                        ; implicit-def: $vgpr14
	s_branch .LBB839_138
.LBB839_42:
                                        ; implicit-def: $sgpr6_sgpr7
                                        ; implicit-def: $vgpr32
                                        ; implicit-def: $vgpr15
	s_cbranch_execnz .LBB839_51
	s_branch .LBB839_84
.LBB839_43:
	v_mov_b32_e32 v16, 0
	v_mov_b32_e32 v32, 0
.LBB839_44:
	v_cmp_ne_u32_e32 vcc, 0, v0
	s_waitcnt lgkmcnt(0)
	v_mov_b64_e32 v[14:15], s[10:11]
	s_barrier
	s_and_saveexec_b64 s[12:13], vcc
; %bb.45:
	v_add_u32_e32 v14, -8, v21
	ds_read_b64 v[14:15], v14
; %bb.46:
	s_or_b64 exec, exec, s[12:13]
	v_cndmask_b32_e64 v17, 0, 1, s[6:7]
	v_lshrrev_b32_e32 v18, 16, v16
	s_mov_b32 s6, 0xc0c0304
	v_perm_b32 v18, v18, v16, s6
	v_lshlrev_b16_e32 v17, 8, v17
	s_movk_i32 s6, 0xff
	v_bitop3_b16 v16, v16, v17, s6 bitop3:0xec
	v_and_b32_e32 v19, 0xffff, v16
	s_mov_b64 s[12:13], 0
	s_and_b64 vcc, exec, s[4:5]
	s_mov_b64 s[6:7], 0
	s_cbranch_vccnz .LBB839_50
; %bb.47:
	s_waitcnt lgkmcnt(0)
	v_mul_lo_u32 v16, v15, s30
	v_mul_lo_u32 v17, v14, s31
	v_mad_u64_u32 v[14:15], s[6:7], v14, s30, 0
	v_add3_u32 v15, v15, v17, v16
	v_mul_lo_u32 v23, v7, s30
	v_mul_lo_u32 v24, v6, s31
	v_mad_u64_u32 v[16:17], s[6:7], v6, s30, 0
	v_add3_u32 v17, v17, v24, v23
	s_add_u32 s36, s30, -1
	v_lshl_add_u64 v[14:15], v[14:15], 3, s[20:21]
	v_lshl_add_u64 v[16:17], v[16:17], 3, s[20:21]
	s_addc_u32 s37, s31, -1
	s_mov_b64 s[14:15], 0
                                        ; implicit-def: $sgpr18_sgpr19
.LBB839_48:                             ; =>This Inner Loop Header: Depth=1
	global_load_dwordx2 v[24:25], v[14:15], off
	global_load_dwordx2 v[26:27], v[16:17], off
	s_add_u32 s6, s36, -1
	s_addc_u32 s7, s37, -1
	s_cmp_eq_u64 s[36:37], 0
	s_mov_b64 s[36:37], s[6:7]
	s_cselect_b64 s[38:39], -1, 0
	v_lshl_add_u64 v[14:15], v[14:15], 0, 8
	v_lshl_add_u64 v[16:17], v[16:17], 0, 8
	s_waitcnt vmcnt(0)
	v_cmp_neq_f64_e64 s[6:7], v[24:25], v[26:27]
	s_or_b64 s[6:7], s[6:7], s[38:39]
	s_and_b64 s[6:7], exec, s[6:7]
	v_cmp_eq_f64_e32 vcc, v[24:25], v[26:27]
	s_or_b64 s[14:15], s[6:7], s[14:15]
	s_andn2_b64 s[6:7], s[18:19], exec
	s_and_b64 s[18:19], vcc, exec
	s_or_b64 s[18:19], s[6:7], s[18:19]
	s_andn2_b64 exec, exec, s[14:15]
	s_cbranch_execnz .LBB839_48
; %bb.49:
	s_or_b64 exec, exec, s[14:15]
	s_xor_b64 s[6:7], s[18:19], -1
.LBB839_50:
	s_waitcnt lgkmcnt(0)
	v_lshl_or_b32 v15, v18, 16, v19
	s_and_b64 vcc, exec, s[12:13]
	s_cbranch_vccz .LBB839_84
.LBB839_51:
	v_add_u32_e32 v14, 4, v22
	v_cmp_gt_u32_e32 vcc, s3, v14
	s_mov_b64 s[14:15], 0
	s_mov_b64 s[12:13], 0
	s_and_saveexec_b64 s[18:19], vcc
	s_cbranch_execz .LBB839_57
; %bb.52:
	s_and_b64 vcc, exec, s[4:5]
	s_mov_b64 s[6:7], 0
	s_cbranch_vccnz .LBB839_56
; %bb.53:
	v_mul_lo_u32 v16, v5, s30
	v_mul_lo_u32 v17, v4, s31
	v_mad_u64_u32 v[14:15], s[6:7], v4, s30, 0
	v_add3_u32 v15, v15, v17, v16
	v_mul_lo_u32 v18, v13, s30
	v_mul_lo_u32 v19, v12, s31
	v_mad_u64_u32 v[16:17], s[6:7], v12, s30, 0
	v_add3_u32 v17, v17, v19, v18
	s_add_u32 s38, s30, -1
	v_lshl_add_u64 v[14:15], v[14:15], 3, s[20:21]
	v_lshl_add_u64 v[16:17], v[16:17], 3, s[20:21]
	s_addc_u32 s39, s31, -1
                                        ; implicit-def: $sgpr36_sgpr37
.LBB839_54:                             ; =>This Inner Loop Header: Depth=1
	global_load_dwordx2 v[18:19], v[14:15], off
	global_load_dwordx2 v[24:25], v[16:17], off
	s_add_u32 s6, s38, -1
	s_addc_u32 s7, s39, -1
	s_cmp_eq_u64 s[38:39], 0
	s_mov_b64 s[38:39], s[6:7]
	s_cselect_b64 s[40:41], -1, 0
	v_lshl_add_u64 v[14:15], v[14:15], 0, 8
	v_lshl_add_u64 v[16:17], v[16:17], 0, 8
	s_waitcnt vmcnt(0)
	v_cmp_neq_f64_e64 s[6:7], v[18:19], v[24:25]
	s_or_b64 s[6:7], s[6:7], s[40:41]
	s_and_b64 s[6:7], exec, s[6:7]
	v_cmp_eq_f64_e32 vcc, v[18:19], v[24:25]
	s_or_b64 s[12:13], s[6:7], s[12:13]
	s_andn2_b64 s[6:7], s[36:37], exec
	s_and_b64 s[36:37], vcc, exec
	s_or_b64 s[36:37], s[6:7], s[36:37]
	s_andn2_b64 exec, exec, s[12:13]
	s_cbranch_execnz .LBB839_54
; %bb.55:
	s_or_b64 exec, exec, s[12:13]
	s_xor_b64 s[6:7], s[36:37], -1
.LBB839_56:
	s_and_b64 s[12:13], s[6:7], exec
.LBB839_57:
	s_or_b64 exec, exec, s[18:19]
	v_add_u32_e32 v14, 3, v22
	v_cmp_gt_u32_e32 vcc, s3, v14
	s_and_saveexec_b64 s[18:19], vcc
	s_cbranch_execz .LBB839_63
; %bb.58:
	s_and_b64 vcc, exec, s[4:5]
	s_mov_b64 s[6:7], 0
	s_cbranch_vccnz .LBB839_62
; %bb.59:
	v_mul_lo_u32 v16, v3, s30
	v_mul_lo_u32 v17, v2, s31
	v_mad_u64_u32 v[14:15], s[6:7], v2, s30, 0
	v_add3_u32 v15, v15, v17, v16
	v_mul_lo_u32 v18, v5, s30
	v_mul_lo_u32 v19, v4, s31
	v_mad_u64_u32 v[16:17], s[6:7], v4, s30, 0
	v_add3_u32 v17, v17, v19, v18
	s_add_u32 s38, s30, -1
	v_lshl_add_u64 v[14:15], v[14:15], 3, s[20:21]
	v_lshl_add_u64 v[16:17], v[16:17], 3, s[20:21]
	s_addc_u32 s39, s31, -1
	s_mov_b64 s[14:15], 0
                                        ; implicit-def: $sgpr36_sgpr37
.LBB839_60:                             ; =>This Inner Loop Header: Depth=1
	global_load_dwordx2 v[18:19], v[14:15], off
	global_load_dwordx2 v[24:25], v[16:17], off
	s_add_u32 s6, s38, -1
	s_addc_u32 s7, s39, -1
	s_cmp_eq_u64 s[38:39], 0
	s_mov_b64 s[38:39], s[6:7]
	s_cselect_b64 s[40:41], -1, 0
	v_lshl_add_u64 v[14:15], v[14:15], 0, 8
	v_lshl_add_u64 v[16:17], v[16:17], 0, 8
	s_waitcnt vmcnt(0)
	v_cmp_neq_f64_e64 s[6:7], v[18:19], v[24:25]
	s_or_b64 s[6:7], s[6:7], s[40:41]
	s_and_b64 s[6:7], exec, s[6:7]
	v_cmp_eq_f64_e32 vcc, v[18:19], v[24:25]
	s_or_b64 s[14:15], s[6:7], s[14:15]
	s_andn2_b64 s[6:7], s[36:37], exec
	s_and_b64 s[36:37], vcc, exec
	s_or_b64 s[36:37], s[6:7], s[36:37]
	s_andn2_b64 exec, exec, s[14:15]
	s_cbranch_execnz .LBB839_60
; %bb.61:
	s_or_b64 exec, exec, s[14:15]
	s_xor_b64 s[6:7], s[36:37], -1
.LBB839_62:
	s_and_b64 s[14:15], s[6:7], exec
.LBB839_63:
	s_or_b64 exec, exec, s[18:19]
	v_add_u32_e32 v14, 2, v22
	v_cmp_gt_u32_e32 vcc, s3, v14
	s_mov_b64 s[18:19], 0
	s_mov_b64 s[36:37], 0
	s_and_saveexec_b64 s[38:39], vcc
	s_cbranch_execz .LBB839_69
; %bb.64:
	s_and_b64 vcc, exec, s[4:5]
	s_mov_b64 s[6:7], 0
	s_cbranch_vccnz .LBB839_68
; %bb.65:
	v_mul_lo_u32 v16, v9, s30
	v_mul_lo_u32 v17, v8, s31
	v_mad_u64_u32 v[14:15], s[6:7], v8, s30, 0
	v_add3_u32 v15, v15, v17, v16
	v_mul_lo_u32 v18, v3, s30
	v_mul_lo_u32 v19, v2, s31
	v_mad_u64_u32 v[16:17], s[6:7], v2, s30, 0
	v_add3_u32 v17, v17, v19, v18
	s_add_u32 s42, s30, -1
	v_lshl_add_u64 v[14:15], v[14:15], 3, s[20:21]
	v_lshl_add_u64 v[16:17], v[16:17], 3, s[20:21]
	s_addc_u32 s43, s31, -1
                                        ; implicit-def: $sgpr40_sgpr41
.LBB839_66:                             ; =>This Inner Loop Header: Depth=1
	global_load_dwordx2 v[18:19], v[14:15], off
	global_load_dwordx2 v[24:25], v[16:17], off
	s_add_u32 s6, s42, -1
	s_addc_u32 s7, s43, -1
	s_cmp_eq_u64 s[42:43], 0
	s_mov_b64 s[42:43], s[6:7]
	s_cselect_b64 s[44:45], -1, 0
	v_lshl_add_u64 v[14:15], v[14:15], 0, 8
	v_lshl_add_u64 v[16:17], v[16:17], 0, 8
	s_waitcnt vmcnt(0)
	v_cmp_neq_f64_e64 s[6:7], v[18:19], v[24:25]
	s_or_b64 s[6:7], s[6:7], s[44:45]
	s_and_b64 s[6:7], exec, s[6:7]
	v_cmp_eq_f64_e32 vcc, v[18:19], v[24:25]
	s_or_b64 s[36:37], s[6:7], s[36:37]
	s_andn2_b64 s[6:7], s[40:41], exec
	s_and_b64 s[40:41], vcc, exec
	s_or_b64 s[40:41], s[6:7], s[40:41]
	s_andn2_b64 exec, exec, s[36:37]
	s_cbranch_execnz .LBB839_66
; %bb.67:
	s_or_b64 exec, exec, s[36:37]
	s_xor_b64 s[6:7], s[40:41], -1
.LBB839_68:
	s_and_b64 s[36:37], s[6:7], exec
.LBB839_69:
	s_or_b64 exec, exec, s[38:39]
	v_add_u32_e32 v14, 1, v22
	v_cmp_gt_u32_e32 vcc, s3, v14
	s_and_saveexec_b64 s[38:39], vcc
	s_cbranch_execz .LBB839_75
; %bb.70:
	s_and_b64 vcc, exec, s[4:5]
	s_mov_b64 s[6:7], 0
	s_cbranch_vccnz .LBB839_74
; %bb.71:
	v_mul_lo_u32 v16, v7, s30
	v_mul_lo_u32 v17, v6, s31
	v_mad_u64_u32 v[14:15], s[6:7], v6, s30, 0
	v_add3_u32 v15, v15, v17, v16
	v_mul_lo_u32 v18, v9, s30
	v_mul_lo_u32 v19, v8, s31
	v_mad_u64_u32 v[16:17], s[6:7], v8, s30, 0
	v_add3_u32 v17, v17, v19, v18
	s_add_u32 s42, s30, -1
	v_lshl_add_u64 v[14:15], v[14:15], 3, s[20:21]
	v_lshl_add_u64 v[16:17], v[16:17], 3, s[20:21]
	s_addc_u32 s43, s31, -1
	s_mov_b64 s[18:19], 0
                                        ; implicit-def: $sgpr40_sgpr41
.LBB839_72:                             ; =>This Inner Loop Header: Depth=1
	global_load_dwordx2 v[18:19], v[14:15], off
	global_load_dwordx2 v[24:25], v[16:17], off
	s_add_u32 s6, s42, -1
	s_addc_u32 s7, s43, -1
	s_cmp_eq_u64 s[42:43], 0
	s_mov_b64 s[42:43], s[6:7]
	s_cselect_b64 s[44:45], -1, 0
	v_lshl_add_u64 v[14:15], v[14:15], 0, 8
	v_lshl_add_u64 v[16:17], v[16:17], 0, 8
	s_waitcnt vmcnt(0)
	v_cmp_neq_f64_e64 s[6:7], v[18:19], v[24:25]
	s_or_b64 s[6:7], s[6:7], s[44:45]
	s_and_b64 s[6:7], exec, s[6:7]
	v_cmp_eq_f64_e32 vcc, v[18:19], v[24:25]
	s_or_b64 s[18:19], s[6:7], s[18:19]
	s_andn2_b64 s[6:7], s[40:41], exec
	s_and_b64 s[40:41], vcc, exec
	s_or_b64 s[40:41], s[6:7], s[40:41]
	s_andn2_b64 exec, exec, s[18:19]
	s_cbranch_execnz .LBB839_72
; %bb.73:
	s_or_b64 exec, exec, s[18:19]
	s_xor_b64 s[6:7], s[40:41], -1
.LBB839_74:
	s_and_b64 s[18:19], s[6:7], exec
.LBB839_75:
	s_or_b64 exec, exec, s[38:39]
	v_cmp_ne_u32_e32 vcc, 0, v0
	s_waitcnt lgkmcnt(0)
	v_mov_b64_e32 v[14:15], s[10:11]
	s_barrier
	s_and_saveexec_b64 s[6:7], vcc
; %bb.76:
	v_add_u32_e32 v14, -8, v21
	ds_read_b64 v[14:15], v14
; %bb.77:
	s_or_b64 exec, exec, s[6:7]
	v_cndmask_b32_e64 v17, 0, 1, s[14:15]
	v_cndmask_b32_e64 v16, 0, 1, s[36:37]
	;; [unrolled: 1-line block ×3, first 2 shown]
	v_lshlrev_b16_e32 v17, 8, v17
	v_cmp_gt_u32_e32 vcc, s3, v22
	v_lshlrev_b16_e32 v18, 8, v18
	v_or_b32_sdwa v19, v16, v17 dst_sel:WORD_1 dst_unused:UNUSED_PAD src0_sel:DWORD src1_sel:DWORD
	s_mov_b64 s[6:7], 0
	s_and_saveexec_b64 s[10:11], vcc
	s_cbranch_execz .LBB839_83
; %bb.78:
	s_and_b64 vcc, exec, s[4:5]
	s_mov_b64 s[4:5], 0
	s_cbranch_vccnz .LBB839_82
; %bb.79:
	s_waitcnt lgkmcnt(0)
	v_mul_lo_u32 v16, v15, s30
	v_mul_lo_u32 v17, v14, s31
	v_mad_u64_u32 v[14:15], s[4:5], v14, s30, 0
	v_add3_u32 v15, v15, v17, v16
	v_mul_lo_u32 v21, v7, s30
	v_mul_lo_u32 v23, v6, s31
	v_mad_u64_u32 v[16:17], s[4:5], v6, s30, 0
	v_add3_u32 v17, v17, v23, v21
	s_add_u32 s18, s30, -1
	v_lshl_add_u64 v[14:15], v[14:15], 3, s[20:21]
	v_lshl_add_u64 v[16:17], v[16:17], 3, s[20:21]
	s_addc_u32 s19, s31, -1
                                        ; implicit-def: $sgpr14_sgpr15
.LBB839_80:                             ; =>This Inner Loop Header: Depth=1
	global_load_dwordx2 v[24:25], v[14:15], off
	global_load_dwordx2 v[26:27], v[16:17], off
	s_add_u32 s4, s18, -1
	s_addc_u32 s5, s19, -1
	s_cmp_eq_u64 s[18:19], 0
	s_mov_b64 s[18:19], s[4:5]
	s_cselect_b64 s[36:37], -1, 0
	v_lshl_add_u64 v[14:15], v[14:15], 0, 8
	v_lshl_add_u64 v[16:17], v[16:17], 0, 8
	s_waitcnt vmcnt(0)
	v_cmp_neq_f64_e64 s[4:5], v[24:25], v[26:27]
	s_or_b64 s[4:5], s[4:5], s[36:37]
	s_and_b64 s[4:5], exec, s[4:5]
	v_cmp_eq_f64_e32 vcc, v[24:25], v[26:27]
	s_or_b64 s[6:7], s[4:5], s[6:7]
	s_andn2_b64 s[4:5], s[14:15], exec
	s_and_b64 s[14:15], vcc, exec
	s_or_b64 s[14:15], s[4:5], s[14:15]
	s_andn2_b64 exec, exec, s[6:7]
	s_cbranch_execnz .LBB839_80
; %bb.81:
	s_or_b64 exec, exec, s[6:7]
	s_xor_b64 s[4:5], s[14:15], -1
.LBB839_82:
	s_and_b64 s[6:7], s[4:5], exec
.LBB839_83:
	s_or_b64 exec, exec, s[10:11]
	v_cndmask_b32_e64 v32, 0, 1, s[12:13]
	s_waitcnt lgkmcnt(0)
	v_or_b32_e32 v15, v18, v19
.LBB839_84:
	s_waitcnt lgkmcnt(0)
	s_mov_b64 s[10:11], -1
	s_cbranch_execnz .LBB839_41
.LBB839_85:
	v_lshlrev_b32_e32 v14, 5, v0
	v_sub_u32_e32 v23, v20, v14
	s_mov_b64 s[6:7], 0
	v_cmp_gt_i64_e64 s[12:13], s[30:31], 0
	s_and_b64 vcc, exec, s[34:35]
	ds_write_b64 v23, v[12:13]
	s_cbranch_vccz .LBB839_96
; %bb.86:
	v_cndmask_b32_e64 v14, 0, 1, s[12:13]
	v_cmp_ne_u32_e64 s[4:5], 1, v14
	s_andn2_b64 vcc, exec, s[12:13]
	s_cbranch_vccnz .LBB839_97
; %bb.87:
	v_mul_lo_u32 v16, v5, s30
	v_mul_lo_u32 v17, v4, s31
	v_mad_u64_u32 v[14:15], s[6:7], v4, s30, 0
	v_add3_u32 v15, v15, v17, v16
	v_mul_lo_u32 v18, v13, s30
	v_mul_lo_u32 v19, v12, s31
	v_mad_u64_u32 v[16:17], s[6:7], v12, s30, 0
	s_add_u32 s18, s30, -1
	v_lshl_add_u64 v[14:15], v[14:15], 3, s[20:21]
	v_add3_u32 v17, v17, v19, v18
	s_addc_u32 s19, s31, -1
	v_lshl_add_u64 v[16:17], v[16:17], 3, s[20:21]
	s_mov_b64 s[36:37], 0
	s_mov_b64 s[38:39], s[18:19]
	v_mov_b64_e32 v[18:19], v[14:15]
                                        ; implicit-def: $sgpr14_sgpr15
.LBB839_88:                             ; =>This Inner Loop Header: Depth=1
	global_load_dwordx2 v[20:21], v[18:19], off
	global_load_dwordx2 v[24:25], v[16:17], off
	s_add_u32 s6, s38, -1
	s_addc_u32 s7, s39, -1
	s_cmp_eq_u64 s[38:39], 0
	s_mov_b64 s[38:39], s[6:7]
	s_cselect_b64 s[40:41], -1, 0
	v_lshl_add_u64 v[18:19], v[18:19], 0, 8
	v_lshl_add_u64 v[16:17], v[16:17], 0, 8
	s_waitcnt vmcnt(0)
	v_cmp_neq_f64_e64 s[6:7], v[20:21], v[24:25]
	s_or_b64 s[6:7], s[6:7], s[40:41]
	s_and_b64 s[6:7], exec, s[6:7]
	v_cmp_eq_f64_e32 vcc, v[20:21], v[24:25]
	s_or_b64 s[36:37], s[6:7], s[36:37]
	s_andn2_b64 s[6:7], s[14:15], exec
	s_and_b64 s[14:15], vcc, exec
	s_or_b64 s[14:15], s[6:7], s[14:15]
	s_andn2_b64 exec, exec, s[36:37]
	s_cbranch_execnz .LBB839_88
; %bb.89:
	s_or_b64 exec, exec, s[36:37]
	v_mul_lo_u32 v18, v3, s30
	v_mul_lo_u32 v19, v2, s31
	v_mad_u64_u32 v[16:17], s[6:7], v2, s30, 0
	v_add3_u32 v17, v17, v19, v18
	v_lshl_add_u64 v[16:17], v[16:17], 3, s[20:21]
	s_mov_b64 s[38:39], 0
	s_mov_b64 s[40:41], s[18:19]
	v_mov_b64_e32 v[18:19], v[16:17]
                                        ; implicit-def: $sgpr36_sgpr37
.LBB839_90:                             ; =>This Inner Loop Header: Depth=1
	global_load_dwordx2 v[20:21], v[18:19], off
	global_load_dwordx2 v[24:25], v[14:15], off
	s_add_u32 s6, s40, -1
	s_addc_u32 s7, s41, -1
	s_cmp_eq_u64 s[40:41], 0
	s_mov_b64 s[40:41], s[6:7]
	s_cselect_b64 s[42:43], -1, 0
	v_lshl_add_u64 v[18:19], v[18:19], 0, 8
	v_lshl_add_u64 v[14:15], v[14:15], 0, 8
	s_waitcnt vmcnt(0)
	v_cmp_neq_f64_e64 s[6:7], v[20:21], v[24:25]
	s_or_b64 s[6:7], s[6:7], s[42:43]
	s_and_b64 s[6:7], exec, s[6:7]
	v_cmp_eq_f64_e32 vcc, v[20:21], v[24:25]
	s_or_b64 s[38:39], s[6:7], s[38:39]
	s_andn2_b64 s[6:7], s[36:37], exec
	s_and_b64 s[36:37], vcc, exec
	s_or_b64 s[36:37], s[6:7], s[36:37]
	s_andn2_b64 exec, exec, s[38:39]
	s_cbranch_execnz .LBB839_90
; %bb.91:
	s_or_b64 exec, exec, s[38:39]
	v_mul_lo_u32 v18, v9, s30
	v_mul_lo_u32 v19, v8, s31
	v_mad_u64_u32 v[14:15], s[6:7], v8, s30, 0
	v_add3_u32 v15, v15, v19, v18
	v_lshl_add_u64 v[14:15], v[14:15], 3, s[20:21]
	s_mov_b64 s[40:41], 0
	s_mov_b64 s[42:43], s[18:19]
	v_mov_b64_e32 v[18:19], v[14:15]
                                        ; implicit-def: $sgpr38_sgpr39
.LBB839_92:                             ; =>This Inner Loop Header: Depth=1
	global_load_dwordx2 v[20:21], v[18:19], off
	global_load_dwordx2 v[24:25], v[16:17], off
	s_add_u32 s6, s42, -1
	s_addc_u32 s7, s43, -1
	s_cmp_eq_u64 s[42:43], 0
	s_mov_b64 s[42:43], s[6:7]
	s_cselect_b64 s[44:45], -1, 0
	v_lshl_add_u64 v[18:19], v[18:19], 0, 8
	v_lshl_add_u64 v[16:17], v[16:17], 0, 8
	s_waitcnt vmcnt(0)
	v_cmp_neq_f64_e64 s[6:7], v[20:21], v[24:25]
	s_or_b64 s[6:7], s[6:7], s[44:45]
	s_and_b64 s[6:7], exec, s[6:7]
	v_cmp_eq_f64_e32 vcc, v[20:21], v[24:25]
	s_or_b64 s[40:41], s[6:7], s[40:41]
	s_andn2_b64 s[6:7], s[38:39], exec
	s_and_b64 s[38:39], vcc, exec
	s_or_b64 s[38:39], s[6:7], s[38:39]
	s_andn2_b64 exec, exec, s[40:41]
	s_cbranch_execnz .LBB839_92
; %bb.93:
	s_or_b64 exec, exec, s[40:41]
	v_mul_lo_u32 v18, v7, s30
	v_mul_lo_u32 v19, v6, s31
	v_mad_u64_u32 v[16:17], s[6:7], v6, s30, 0
	v_add3_u32 v17, v17, v19, v18
	v_lshl_add_u64 v[16:17], v[16:17], 3, s[20:21]
	s_mov_b64 s[42:43], 0
                                        ; implicit-def: $sgpr40_sgpr41
.LBB839_94:                             ; =>This Inner Loop Header: Depth=1
	global_load_dwordx2 v[18:19], v[16:17], off
	global_load_dwordx2 v[20:21], v[14:15], off
	s_add_u32 s6, s18, -1
	s_addc_u32 s7, s19, -1
	s_cmp_eq_u64 s[18:19], 0
	s_mov_b64 s[18:19], s[6:7]
	s_cselect_b64 s[44:45], -1, 0
	v_lshl_add_u64 v[16:17], v[16:17], 0, 8
	v_lshl_add_u64 v[14:15], v[14:15], 0, 8
	s_waitcnt vmcnt(0)
	v_cmp_neq_f64_e64 s[6:7], v[18:19], v[20:21]
	s_or_b64 s[6:7], s[6:7], s[44:45]
	s_and_b64 s[6:7], exec, s[6:7]
	v_cmp_eq_f64_e32 vcc, v[18:19], v[20:21]
	s_or_b64 s[42:43], s[6:7], s[42:43]
	s_andn2_b64 s[6:7], s[40:41], exec
	s_and_b64 s[40:41], vcc, exec
	s_or_b64 s[40:41], s[6:7], s[40:41]
	s_andn2_b64 exec, exec, s[42:43]
	s_cbranch_execnz .LBB839_94
; %bb.95:
	s_or_b64 exec, exec, s[42:43]
	s_xor_b64 s[6:7], s[14:15], -1
	v_cndmask_b32_e64 v32, 0, 1, s[6:7]
	s_xor_b64 s[6:7], s[36:37], -1
	v_cndmask_b32_e64 v14, 0, 1, s[6:7]
	v_lshlrev_b16_e32 v14, 8, v14
	v_mov_b32_e32 v15, 8
	s_xor_b64 s[14:15], s[38:39], -1
	v_lshrrev_b32_sdwa v14, v15, v14 dst_sel:BYTE_1 dst_unused:UNUSED_PAD src0_sel:DWORD src1_sel:DWORD
	v_cndmask_b32_e64 v15, 0, 1, s[14:15]
	s_xor_b64 s[6:7], s[40:41], -1
	v_or_b32_sdwa v14, v15, v14 dst_sel:WORD_1 dst_unused:UNUSED_PAD src0_sel:DWORD src1_sel:DWORD
	s_branch .LBB839_98
.LBB839_96:
                                        ; implicit-def: $sgpr6_sgpr7
                                        ; implicit-def: $vgpr32
                                        ; implicit-def: $vgpr15
                                        ; implicit-def: $vgpr16
                                        ; implicit-def: $vgpr34
                                        ; implicit-def: $vgpr33
                                        ; implicit-def: $vgpr14
	s_cbranch_execnz .LBB839_105
	s_branch .LBB839_138
.LBB839_97:
	v_mov_b32_e32 v14, 0
	v_mov_b32_e32 v32, 0
.LBB839_98:
	v_lshrrev_b32_e32 v33, 16, v14
	v_lshrrev_b32_e32 v14, 24, v14
	v_cndmask_b32_e64 v34, 0, 1, s[6:7]
	v_mov_b32_e32 v16, 1
	v_cmp_ne_u32_e32 vcc, 0, v0
	s_waitcnt lgkmcnt(0)
	s_barrier
                                        ; implicit-def: $sgpr6_sgpr7
                                        ; implicit-def: $vgpr15
	s_and_saveexec_b64 s[14:15], vcc
	s_xor_b64 s[14:15], exec, s[14:15]
	s_cbranch_execz .LBB839_104
; %bb.99:
	v_lshlrev_b16_e32 v15, 8, v14
	s_movk_i32 s6, 0xff
	v_bitop3_b16 v15, v33, v15, s6 bitop3:0xec
	v_lshlrev_b16_e32 v17, 8, v34
	v_lshlrev_b32_e32 v15, 16, v15
	v_or_b32_e32 v17, 1, v17
	v_or_b32_sdwa v15, v17, v15 dst_sel:DWORD dst_unused:UNUSED_PAD src0_sel:WORD_0 src1_sel:DWORD
	s_mov_b32 s33, 0x3020104
	s_and_b64 vcc, exec, s[4:5]
	s_mov_b64 s[6:7], 0
	s_cbranch_vccnz .LBB839_103
; %bb.100:
	v_add_u32_e32 v17, -8, v23
	ds_read_b64 v[18:19], v17
	v_mul_lo_u32 v17, v7, s30
	v_mul_lo_u32 v24, v6, s31
	s_add_u32 s36, s30, -1
	s_addc_u32 s37, s31, -1
	s_waitcnt lgkmcnt(0)
	v_mul_lo_u32 v20, v19, s30
	v_mul_lo_u32 v21, v18, s31
	v_mad_u64_u32 v[18:19], s[4:5], v18, s30, 0
	v_add3_u32 v19, v19, v21, v20
	v_mad_u64_u32 v[20:21], s[4:5], v6, s30, 0
	v_add3_u32 v21, v21, v24, v17
	v_lshl_add_u64 v[18:19], v[18:19], 3, s[20:21]
	v_lshl_add_u64 v[20:21], v[20:21], 3, s[20:21]
                                        ; implicit-def: $sgpr18_sgpr19
.LBB839_101:                            ; =>This Inner Loop Header: Depth=1
	global_load_dwordx2 v[24:25], v[18:19], off
	global_load_dwordx2 v[26:27], v[20:21], off
	s_add_u32 s4, s36, -1
	s_addc_u32 s5, s37, -1
	s_cmp_eq_u64 s[36:37], 0
	s_mov_b64 s[36:37], s[4:5]
	s_cselect_b64 s[38:39], -1, 0
	v_lshl_add_u64 v[18:19], v[18:19], 0, 8
	v_lshl_add_u64 v[20:21], v[20:21], 0, 8
	s_waitcnt vmcnt(0)
	v_cmp_neq_f64_e64 s[4:5], v[24:25], v[26:27]
	s_or_b64 s[4:5], s[4:5], s[38:39]
	s_and_b64 s[4:5], exec, s[4:5]
	v_cmp_eq_f64_e32 vcc, v[24:25], v[26:27]
	s_or_b64 s[6:7], s[4:5], s[6:7]
	s_andn2_b64 s[4:5], s[18:19], exec
	s_and_b64 s[18:19], vcc, exec
	s_or_b64 s[18:19], s[4:5], s[18:19]
	s_andn2_b64 exec, exec, s[6:7]
	s_cbranch_execnz .LBB839_101
; %bb.102:
	s_or_b64 exec, exec, s[6:7]
	s_xor_b64 s[6:7], s[18:19], -1
.LBB839_103:
	v_perm_b32 v15, v15, v15, s33
	s_or_b64 s[10:11], s[10:11], exec
.LBB839_104:
	s_or_b64 exec, exec, s[14:15]
	s_branch .LBB839_138
.LBB839_105:
	v_add_u32_e32 v14, 4, v22
	v_cmp_gt_u32_e32 vcc, s3, v14
	s_mov_b64 s[6:7], 0
	s_mov_b64 s[14:15], 0
	s_and_saveexec_b64 s[18:19], vcc
	s_cbranch_execz .LBB839_111
; %bb.106:
	s_andn2_b64 vcc, exec, s[12:13]
	s_mov_b64 s[4:5], 0
	s_cbranch_vccnz .LBB839_110
; %bb.107:
	v_mul_lo_u32 v16, v5, s30
	v_mul_lo_u32 v17, v4, s31
	v_mad_u64_u32 v[14:15], s[4:5], v4, s30, 0
	v_add3_u32 v15, v15, v17, v16
	v_mul_lo_u32 v18, v13, s30
	v_mul_lo_u32 v19, v12, s31
	v_mad_u64_u32 v[16:17], s[4:5], v12, s30, 0
	v_add3_u32 v17, v17, v19, v18
	s_add_u32 s38, s30, -1
	v_lshl_add_u64 v[14:15], v[14:15], 3, s[20:21]
	v_lshl_add_u64 v[16:17], v[16:17], 3, s[20:21]
	s_addc_u32 s39, s31, -1
                                        ; implicit-def: $sgpr36_sgpr37
.LBB839_108:                            ; =>This Inner Loop Header: Depth=1
	global_load_dwordx2 v[18:19], v[14:15], off
	global_load_dwordx2 v[20:21], v[16:17], off
	s_add_u32 s4, s38, -1
	s_addc_u32 s5, s39, -1
	s_cmp_eq_u64 s[38:39], 0
	s_mov_b64 s[38:39], s[4:5]
	s_cselect_b64 s[40:41], -1, 0
	v_lshl_add_u64 v[14:15], v[14:15], 0, 8
	v_lshl_add_u64 v[16:17], v[16:17], 0, 8
	s_waitcnt vmcnt(0)
	v_cmp_neq_f64_e64 s[4:5], v[18:19], v[20:21]
	s_or_b64 s[4:5], s[4:5], s[40:41]
	s_and_b64 s[4:5], exec, s[4:5]
	v_cmp_eq_f64_e32 vcc, v[18:19], v[20:21]
	s_or_b64 s[14:15], s[4:5], s[14:15]
	s_andn2_b64 s[4:5], s[36:37], exec
	s_and_b64 s[36:37], vcc, exec
	s_or_b64 s[36:37], s[4:5], s[36:37]
	s_andn2_b64 exec, exec, s[14:15]
	s_cbranch_execnz .LBB839_108
; %bb.109:
	s_or_b64 exec, exec, s[14:15]
	s_xor_b64 s[4:5], s[36:37], -1
.LBB839_110:
	s_and_b64 s[14:15], s[4:5], exec
.LBB839_111:
	s_or_b64 exec, exec, s[18:19]
	v_add_u32_e32 v14, 3, v22
	v_cmp_gt_u32_e32 vcc, s3, v14
	s_and_saveexec_b64 s[18:19], vcc
	s_cbranch_execz .LBB839_117
; %bb.112:
	s_andn2_b64 vcc, exec, s[12:13]
	s_mov_b64 s[4:5], 0
	s_cbranch_vccnz .LBB839_116
; %bb.113:
	v_mul_lo_u32 v16, v3, s30
	v_mul_lo_u32 v17, v2, s31
	v_mad_u64_u32 v[14:15], s[4:5], v2, s30, 0
	v_add3_u32 v15, v15, v17, v16
	v_mul_lo_u32 v18, v5, s30
	v_mul_lo_u32 v19, v4, s31
	v_mad_u64_u32 v[16:17], s[4:5], v4, s30, 0
	v_add3_u32 v17, v17, v19, v18
	s_add_u32 s38, s30, -1
	v_lshl_add_u64 v[14:15], v[14:15], 3, s[20:21]
	v_lshl_add_u64 v[16:17], v[16:17], 3, s[20:21]
	s_addc_u32 s39, s31, -1
	s_mov_b64 s[6:7], 0
                                        ; implicit-def: $sgpr36_sgpr37
.LBB839_114:                            ; =>This Inner Loop Header: Depth=1
	global_load_dwordx2 v[18:19], v[14:15], off
	global_load_dwordx2 v[20:21], v[16:17], off
	s_add_u32 s4, s38, -1
	s_addc_u32 s5, s39, -1
	s_cmp_eq_u64 s[38:39], 0
	s_mov_b64 s[38:39], s[4:5]
	s_cselect_b64 s[40:41], -1, 0
	v_lshl_add_u64 v[14:15], v[14:15], 0, 8
	v_lshl_add_u64 v[16:17], v[16:17], 0, 8
	s_waitcnt vmcnt(0)
	v_cmp_neq_f64_e64 s[4:5], v[18:19], v[20:21]
	s_or_b64 s[4:5], s[4:5], s[40:41]
	s_and_b64 s[4:5], exec, s[4:5]
	v_cmp_eq_f64_e32 vcc, v[18:19], v[20:21]
	s_or_b64 s[6:7], s[4:5], s[6:7]
	s_andn2_b64 s[4:5], s[36:37], exec
	s_and_b64 s[36:37], vcc, exec
	s_or_b64 s[36:37], s[4:5], s[36:37]
	s_andn2_b64 exec, exec, s[6:7]
	s_cbranch_execnz .LBB839_114
; %bb.115:
	s_or_b64 exec, exec, s[6:7]
	s_xor_b64 s[4:5], s[36:37], -1
.LBB839_116:
	s_and_b64 s[6:7], s[4:5], exec
.LBB839_117:
	s_or_b64 exec, exec, s[18:19]
	v_add_u32_e32 v14, 2, v22
	v_cmp_gt_u32_e32 vcc, s3, v14
	s_mov_b64 s[18:19], 0
	s_mov_b64 s[36:37], 0
	s_and_saveexec_b64 s[38:39], vcc
	s_cbranch_execz .LBB839_123
; %bb.118:
	s_andn2_b64 vcc, exec, s[12:13]
	s_mov_b64 s[4:5], 0
	s_cbranch_vccnz .LBB839_122
; %bb.119:
	v_mul_lo_u32 v16, v9, s30
	v_mul_lo_u32 v17, v8, s31
	v_mad_u64_u32 v[14:15], s[4:5], v8, s30, 0
	v_add3_u32 v15, v15, v17, v16
	v_mul_lo_u32 v18, v3, s30
	v_mul_lo_u32 v19, v2, s31
	v_mad_u64_u32 v[16:17], s[4:5], v2, s30, 0
	v_add3_u32 v17, v17, v19, v18
	s_add_u32 s42, s30, -1
	v_lshl_add_u64 v[14:15], v[14:15], 3, s[20:21]
	v_lshl_add_u64 v[16:17], v[16:17], 3, s[20:21]
	s_addc_u32 s43, s31, -1
                                        ; implicit-def: $sgpr40_sgpr41
.LBB839_120:                            ; =>This Inner Loop Header: Depth=1
	global_load_dwordx2 v[18:19], v[14:15], off
	global_load_dwordx2 v[20:21], v[16:17], off
	s_add_u32 s4, s42, -1
	s_addc_u32 s5, s43, -1
	s_cmp_eq_u64 s[42:43], 0
	s_mov_b64 s[42:43], s[4:5]
	s_cselect_b64 s[44:45], -1, 0
	v_lshl_add_u64 v[14:15], v[14:15], 0, 8
	v_lshl_add_u64 v[16:17], v[16:17], 0, 8
	s_waitcnt vmcnt(0)
	v_cmp_neq_f64_e64 s[4:5], v[18:19], v[20:21]
	s_or_b64 s[4:5], s[4:5], s[44:45]
	s_and_b64 s[4:5], exec, s[4:5]
	v_cmp_eq_f64_e32 vcc, v[18:19], v[20:21]
	s_or_b64 s[36:37], s[4:5], s[36:37]
	s_andn2_b64 s[4:5], s[40:41], exec
	s_and_b64 s[40:41], vcc, exec
	s_or_b64 s[40:41], s[4:5], s[40:41]
	s_andn2_b64 exec, exec, s[36:37]
	s_cbranch_execnz .LBB839_120
; %bb.121:
	s_or_b64 exec, exec, s[36:37]
	s_xor_b64 s[4:5], s[40:41], -1
.LBB839_122:
	s_and_b64 s[36:37], s[4:5], exec
.LBB839_123:
	s_or_b64 exec, exec, s[38:39]
	v_add_u32_e32 v14, 1, v22
	v_cmp_gt_u32_e32 vcc, s3, v14
	s_and_saveexec_b64 s[38:39], vcc
	s_cbranch_execz .LBB839_129
; %bb.124:
	s_andn2_b64 vcc, exec, s[12:13]
	s_mov_b64 s[4:5], 0
	s_cbranch_vccnz .LBB839_128
; %bb.125:
	v_mul_lo_u32 v16, v7, s30
	v_mul_lo_u32 v17, v6, s31
	v_mad_u64_u32 v[14:15], s[4:5], v6, s30, 0
	v_add3_u32 v15, v15, v17, v16
	v_mul_lo_u32 v18, v9, s30
	v_mul_lo_u32 v19, v8, s31
	v_mad_u64_u32 v[16:17], s[4:5], v8, s30, 0
	v_add3_u32 v17, v17, v19, v18
	s_add_u32 s42, s30, -1
	v_lshl_add_u64 v[14:15], v[14:15], 3, s[20:21]
	v_lshl_add_u64 v[16:17], v[16:17], 3, s[20:21]
	s_addc_u32 s43, s31, -1
	s_mov_b64 s[18:19], 0
                                        ; implicit-def: $sgpr40_sgpr41
.LBB839_126:                            ; =>This Inner Loop Header: Depth=1
	global_load_dwordx2 v[18:19], v[14:15], off
	global_load_dwordx2 v[20:21], v[16:17], off
	s_add_u32 s4, s42, -1
	s_addc_u32 s5, s43, -1
	s_cmp_eq_u64 s[42:43], 0
	s_mov_b64 s[42:43], s[4:5]
	s_cselect_b64 s[44:45], -1, 0
	v_lshl_add_u64 v[14:15], v[14:15], 0, 8
	v_lshl_add_u64 v[16:17], v[16:17], 0, 8
	s_waitcnt vmcnt(0)
	v_cmp_neq_f64_e64 s[4:5], v[18:19], v[20:21]
	s_or_b64 s[4:5], s[4:5], s[44:45]
	s_and_b64 s[4:5], exec, s[4:5]
	v_cmp_eq_f64_e32 vcc, v[18:19], v[20:21]
	s_or_b64 s[18:19], s[4:5], s[18:19]
	s_andn2_b64 s[4:5], s[40:41], exec
	s_and_b64 s[40:41], vcc, exec
	s_or_b64 s[40:41], s[4:5], s[40:41]
	s_andn2_b64 exec, exec, s[18:19]
	s_cbranch_execnz .LBB839_126
; %bb.127:
	s_or_b64 exec, exec, s[18:19]
	s_xor_b64 s[4:5], s[40:41], -1
.LBB839_128:
	s_and_b64 s[18:19], s[4:5], exec
.LBB839_129:
	s_or_b64 exec, exec, s[38:39]
	v_cndmask_b32_e64 v32, 0, 1, s[14:15]
	v_cndmask_b32_e64 v33, 0, 1, s[36:37]
	;; [unrolled: 1-line block ×4, first 2 shown]
	v_mov_b32_e32 v16, 1
	v_cmp_ne_u32_e32 vcc, 0, v0
	s_waitcnt lgkmcnt(0)
	s_barrier
                                        ; implicit-def: $sgpr6_sgpr7
                                        ; implicit-def: $vgpr15
	s_and_saveexec_b64 s[14:15], vcc
	s_cbranch_execz .LBB839_137
; %bb.130:
	v_lshlrev_b16_e32 v15, 8, v34
	v_lshlrev_b16_e32 v17, 8, v14
	v_or_b32_e32 v15, 1, v15
	v_or_b32_sdwa v17, v33, v17 dst_sel:WORD_1 dst_unused:UNUSED_PAD src0_sel:DWORD src1_sel:DWORD
	v_cmp_gt_u32_e32 vcc, s3, v22
	v_or_b32_sdwa v15, v15, v17 dst_sel:DWORD dst_unused:UNUSED_PAD src0_sel:WORD_0 src1_sel:DWORD
	s_mov_b32 s33, 0x3020104
	s_mov_b64 s[6:7], 0
	s_and_saveexec_b64 s[18:19], vcc
	s_cbranch_execz .LBB839_136
; %bb.131:
	s_andn2_b64 vcc, exec, s[12:13]
	s_mov_b64 s[4:5], 0
	s_cbranch_vccnz .LBB839_135
; %bb.132:
	v_add_u32_e32 v17, -8, v23
	ds_read_b64 v[18:19], v17
	v_mul_lo_u32 v17, v7, s30
	v_mul_lo_u32 v23, v6, s31
                                        ; implicit-def: $sgpr12_sgpr13
	s_waitcnt lgkmcnt(0)
	v_mul_lo_u32 v20, v19, s30
	v_mul_lo_u32 v21, v18, s31
	v_mad_u64_u32 v[18:19], s[4:5], v18, s30, 0
	v_add3_u32 v19, v19, v21, v20
	v_mad_u64_u32 v[20:21], s[4:5], v6, s30, 0
	v_add3_u32 v21, v21, v23, v17
	v_lshl_add_u64 v[18:19], v[18:19], 3, s[20:21]
	v_lshl_add_u64 v[20:21], v[20:21], 3, s[20:21]
	s_add_u32 s20, s30, -1
	s_addc_u32 s21, s31, -1
.LBB839_133:                            ; =>This Inner Loop Header: Depth=1
	global_load_dwordx2 v[24:25], v[18:19], off
	global_load_dwordx2 v[26:27], v[20:21], off
	s_add_u32 s4, s20, -1
	s_addc_u32 s5, s21, -1
	s_cmp_eq_u64 s[20:21], 0
	s_mov_b64 s[20:21], s[4:5]
	s_cselect_b64 s[30:31], -1, 0
	v_lshl_add_u64 v[18:19], v[18:19], 0, 8
	v_lshl_add_u64 v[20:21], v[20:21], 0, 8
	s_waitcnt vmcnt(0)
	v_cmp_neq_f64_e64 s[4:5], v[24:25], v[26:27]
	s_or_b64 s[4:5], s[4:5], s[30:31]
	s_and_b64 s[4:5], exec, s[4:5]
	v_cmp_eq_f64_e32 vcc, v[24:25], v[26:27]
	s_or_b64 s[6:7], s[4:5], s[6:7]
	s_andn2_b64 s[4:5], s[12:13], exec
	s_and_b64 s[12:13], vcc, exec
	s_or_b64 s[12:13], s[4:5], s[12:13]
	s_andn2_b64 exec, exec, s[6:7]
	s_cbranch_execnz .LBB839_133
; %bb.134:
	s_or_b64 exec, exec, s[6:7]
	s_xor_b64 s[4:5], s[12:13], -1
.LBB839_135:
	s_and_b64 s[6:7], s[4:5], exec
.LBB839_136:
	s_or_b64 exec, exec, s[18:19]
	v_perm_b32 v15, v15, v15, s33
	s_or_b64 s[10:11], s[10:11], exec
.LBB839_137:
	s_or_b64 exec, exec, s[14:15]
.LBB839_138:
	s_and_saveexec_b64 s[4:5], s[10:11]
; %bb.139:
	v_lshrrev_b32_e32 v14, 24, v15
	v_lshrrev_b32_e32 v33, 16, v15
	;; [unrolled: 1-line block ×3, first 2 shown]
	v_cndmask_b32_e64 v16, 0, 1, s[6:7]
; %bb.140:
	s_or_b64 exec, exec, s[4:5]
	s_andn2_b64 vcc, exec, s[8:9]
	s_cbranch_vccnz .LBB839_144
; %bb.141:
	s_mov_b32 s4, 0xc0c0004
	v_perm_b32 v14, v33, v14, s4
	v_perm_b32 v15, v16, v34, s4
	v_lshlrev_b32_e32 v14, 16, v14
	v_or_b32_e32 v15, v15, v14
	v_cmp_gt_u32_e32 vcc, s3, v22
	v_add_u32_e32 v16, 1, v22
	s_mov_b32 s4, 0x40c0100
	v_cndmask_b32_e32 v14, v14, v15, vcc
	v_and_b32_e32 v14, 0xffff00ff, v14
	v_cmp_gt_u32_e32 vcc, s3, v16
	v_add_u32_e32 v16, 2, v22
	v_and_b32_e32 v32, 0xff, v32
	v_cndmask_b32_e32 v14, v14, v15, vcc
	v_lshrrev_b32_e32 v18, 24, v14
	v_perm_b32 v14, v18, v14, s4
	v_cmp_gt_u32_e32 vcc, s3, v16
	v_add_u32_e32 v16, 3, v22
	v_and_b32_e32 v17, 0xffff, v32
	v_cndmask_b32_e32 v14, v14, v15, vcc
	v_and_b32_e32 v14, 0xffffff, v14
	v_cmp_gt_u32_e32 vcc, s3, v16
	s_nop 1
	v_cndmask_b32_e32 v16, v14, v15, vcc
	v_lshrrev_b64 v[14:15], 24, v[16:17]
	v_add_u32_e32 v15, 4, v22
	v_lshrrev_b32_e32 v33, 16, v16
	v_lshrrev_b32_e32 v34, 8, v16
	v_cmp_le_u32_e32 vcc, s3, v15
	s_and_saveexec_b64 s[4:5], vcc
; %bb.142:
	v_mov_b32_e32 v32, 0
; %bb.143:
	s_or_b64 exec, exec, s[4:5]
.LBB839_144:
	v_and_b32_e32 v15, 0xff, v16
	v_and_b32_e32 v17, 0xff, v34
	;; [unrolled: 1-line block ×5, first 2 shown]
	v_add3_u32 v19, v17, v15, v29
	v_add3_u32 v37, v19, v31, v18
	v_mbcnt_lo_u32_b32 v18, -1, 0
	v_mbcnt_hi_u32_b32 v35, -1, v18
	v_and_b32_e32 v18, 15, v35
	v_cmp_eq_u32_e64 s[14:15], 0, v18
	v_cmp_lt_u32_e64 s[12:13], 1, v18
	v_cmp_lt_u32_e64 s[10:11], 3, v18
	;; [unrolled: 1-line block ×3, first 2 shown]
	v_and_b32_e32 v18, 16, v35
	v_cmp_eq_u32_e64 s[6:7], 0, v18
	v_or_b32_e32 v18, 63, v0
	v_cmp_lt_u32_e64 s[18:19], 31, v35
	v_lshrrev_b32_e32 v36, 6, v0
	v_cmp_eq_u32_e64 s[4:5], v0, v18
	s_and_b64 vcc, exec, s[16:17]
	s_waitcnt lgkmcnt(0)
	s_barrier
	s_cbranch_vccz .LBB839_166
; %bb.145:
	v_mov_b32_dpp v18, v37 row_shr:1 row_mask:0xf bank_mask:0xf
	v_cndmask_b32_e64 v18, v18, 0, s[14:15]
	v_add_u32_e32 v18, v18, v37
	s_nop 1
	v_mov_b32_dpp v19, v18 row_shr:2 row_mask:0xf bank_mask:0xf
	v_cndmask_b32_e64 v19, 0, v19, s[12:13]
	v_add_u32_e32 v18, v18, v19
	s_nop 1
	;; [unrolled: 4-line block ×4, first 2 shown]
	v_mov_b32_dpp v19, v18 row_bcast:15 row_mask:0xf bank_mask:0xf
	v_cndmask_b32_e64 v19, v19, 0, s[6:7]
	v_add_u32_e32 v18, v18, v19
	s_nop 1
	v_mov_b32_dpp v19, v18 row_bcast:31 row_mask:0xf bank_mask:0xf
	v_cndmask_b32_e64 v19, 0, v19, s[18:19]
	v_add_u32_e32 v18, v18, v19
	s_and_saveexec_b64 s[16:17], s[4:5]
; %bb.146:
	v_lshlrev_b32_e32 v19, 2, v36
	ds_write_b32 v19, v18
; %bb.147:
	s_or_b64 exec, exec, s[16:17]
	v_cmp_gt_u32_e32 vcc, 2, v0
	s_waitcnt lgkmcnt(0)
	s_barrier
	s_and_saveexec_b64 s[16:17], vcc
	s_cbranch_execz .LBB839_149
; %bb.148:
	v_lshlrev_b32_e32 v19, 2, v0
	ds_read_b32 v20, v19
	v_bfe_i32 v21, v35, 0, 1
	s_waitcnt lgkmcnt(0)
	v_mov_b32_dpp v22, v20 row_shr:1 row_mask:0xf bank_mask:0xf
	v_and_b32_e32 v21, v21, v22
	v_add_u32_e32 v20, v21, v20
	ds_write_b32 v19, v20
.LBB839_149:
	s_or_b64 exec, exec, s[16:17]
	v_cmp_gt_u32_e32 vcc, 64, v0
	v_cmp_lt_u32_e64 s[16:17], 63, v0
	s_waitcnt lgkmcnt(0)
	s_barrier
                                        ; implicit-def: $vgpr28
	s_and_saveexec_b64 s[20:21], s[16:17]
	s_cbranch_execz .LBB839_151
; %bb.150:
	v_lshl_add_u32 v19, v36, 2, -4
	ds_read_b32 v28, v19
	s_waitcnt lgkmcnt(0)
	v_add_u32_e32 v18, v28, v18
.LBB839_151:
	s_or_b64 exec, exec, s[20:21]
	v_subrev_co_u32_e64 v19, s[16:17], 1, v35
	v_and_b32_e32 v20, 64, v35
	v_cmp_lt_i32_e64 s[20:21], v19, v20
	s_nop 1
	v_cndmask_b32_e64 v19, v19, v35, s[20:21]
	v_lshlrev_b32_e32 v19, 2, v19
	ds_bpermute_b32 v30, v19, v18
	s_and_saveexec_b64 s[20:21], vcc
	s_cbranch_execz .LBB839_171
; %bb.152:
	v_mov_b32_e32 v25, 0
	ds_read_b32 v18, v25 offset:4
	s_and_saveexec_b64 s[30:31], s[16:17]
	s_cbranch_execz .LBB839_154
; %bb.153:
	s_add_i32 s36, s2, 64
	s_mov_b32 s37, 0
	s_lshl_b64 s[36:37], s[36:37], 3
	s_add_u32 s36, s22, s36
	v_mov_b32_e32 v19, 1
	s_addc_u32 s37, s23, s37
	s_waitcnt lgkmcnt(0)
	global_store_dwordx2 v25, v[18:19], s[36:37] sc1
.LBB839_154:
	s_or_b64 exec, exec, s[30:31]
	v_xad_u32 v20, v35, -1, s2
	v_add_u32_e32 v24, 64, v20
	v_lshl_add_u64 v[26:27], v[24:25], 3, s[22:23]
	global_load_dwordx2 v[22:23], v[26:27], off sc1
	s_waitcnt vmcnt(0)
	v_cmp_eq_u16_sdwa s[36:37], v23, v25 src0_sel:BYTE_0 src1_sel:DWORD
	s_and_saveexec_b64 s[30:31], s[36:37]
	s_cbranch_execz .LBB839_158
; %bb.155:
	s_mov_b64 s[36:37], 0
	v_mov_b32_e32 v19, 0
.LBB839_156:                            ; =>This Inner Loop Header: Depth=1
	global_load_dwordx2 v[22:23], v[26:27], off sc1
	s_waitcnt vmcnt(0)
	v_cmp_ne_u16_sdwa s[38:39], v23, v19 src0_sel:BYTE_0 src1_sel:DWORD
	s_or_b64 s[36:37], s[38:39], s[36:37]
	s_andn2_b64 exec, exec, s[36:37]
	s_cbranch_execnz .LBB839_156
; %bb.157:
	s_or_b64 exec, exec, s[36:37]
.LBB839_158:
	s_or_b64 exec, exec, s[30:31]
	v_and_b32_e32 v39, 63, v35
	v_mov_b32_e32 v38, 2
	v_cmp_ne_u32_e32 vcc, 63, v39
	v_cmp_eq_u16_sdwa s[30:31], v23, v38 src0_sel:BYTE_0 src1_sel:DWORD
	v_lshlrev_b64 v[24:25], v35, -1
	v_addc_co_u32_e32 v26, vcc, 0, v35, vcc
	v_and_b32_e32 v19, s31, v25
	v_lshlrev_b32_e32 v40, 2, v26
	v_or_b32_e32 v19, 0x80000000, v19
	ds_bpermute_b32 v26, v40, v22
	v_and_b32_e32 v21, s30, v24
	v_ffbl_b32_e32 v19, v19
	v_add_u32_e32 v19, 32, v19
	v_ffbl_b32_e32 v21, v21
	v_min_u32_e32 v19, v21, v19
	v_cmp_lt_u32_e32 vcc, v39, v19
	v_add_u32_e32 v42, 2, v39
	v_add_u32_e32 v44, 4, v39
	s_waitcnt lgkmcnt(0)
	v_cndmask_b32_e32 v21, 0, v26, vcc
	v_cmp_gt_u32_e32 vcc, 62, v39
	v_add_u32_e32 v21, v21, v22
	v_add_u32_e32 v46, 8, v39
	v_cndmask_b32_e64 v22, 0, 2, vcc
	v_add_lshl_u32 v41, v22, v35, 2
	ds_bpermute_b32 v22, v41, v21
	v_cmp_le_u32_e32 vcc, v42, v19
	v_add_u32_e32 v48, 16, v39
	v_add_u32_e32 v50, 32, v39
	s_waitcnt lgkmcnt(0)
	v_cndmask_b32_e32 v22, 0, v22, vcc
	v_cmp_gt_u32_e32 vcc, 60, v39
	v_add_u32_e32 v21, v21, v22
	s_nop 0
	v_cndmask_b32_e64 v22, 0, 4, vcc
	v_add_lshl_u32 v43, v22, v35, 2
	ds_bpermute_b32 v22, v43, v21
	v_cmp_le_u32_e32 vcc, v44, v19
	s_waitcnt lgkmcnt(0)
	s_nop 0
	v_cndmask_b32_e32 v22, 0, v22, vcc
	v_cmp_gt_u32_e32 vcc, 56, v39
	v_add_u32_e32 v21, v21, v22
	s_nop 0
	v_cndmask_b32_e64 v22, 0, 8, vcc
	v_add_lshl_u32 v45, v22, v35, 2
	ds_bpermute_b32 v22, v45, v21
	v_cmp_le_u32_e32 vcc, v46, v19
	s_waitcnt lgkmcnt(0)
	s_nop 0
	;; [unrolled: 10-line block ×3, first 2 shown]
	v_cndmask_b32_e32 v22, 0, v22, vcc
	v_add_u32_e32 v21, v21, v22
	v_mov_b32_e32 v22, 0x80
	v_lshl_or_b32 v49, v35, 2, v22
	ds_bpermute_b32 v22, v49, v21
	v_cmp_le_u32_e32 vcc, v50, v19
	s_waitcnt lgkmcnt(0)
	s_nop 0
	v_cndmask_b32_e32 v19, 0, v22, vcc
	v_add_u32_e32 v22, v21, v19
	v_mov_b32_e32 v21, 0
	s_branch .LBB839_161
.LBB839_159:                            ;   in Loop: Header=BB839_161 Depth=1
	s_or_b64 exec, exec, s[30:31]
	v_cmp_eq_u16_sdwa s[30:31], v23, v38 src0_sel:BYTE_0 src1_sel:DWORD
	ds_bpermute_b32 v51, v40, v22
	v_subrev_u32_e32 v20, 64, v20
	v_and_b32_e32 v26, s31, v25
	v_or_b32_e32 v26, 0x80000000, v26
	v_and_b32_e32 v27, s30, v24
	v_ffbl_b32_e32 v26, v26
	v_add_u32_e32 v26, 32, v26
	v_ffbl_b32_e32 v27, v27
	v_min_u32_e32 v26, v27, v26
	v_cmp_lt_u32_e32 vcc, v39, v26
	s_mov_b64 s[30:31], 0
	s_waitcnt lgkmcnt(0)
	v_cndmask_b32_e32 v27, 0, v51, vcc
	v_add_u32_e32 v22, v27, v22
	ds_bpermute_b32 v27, v41, v22
	v_cmp_le_u32_e32 vcc, v42, v26
	s_waitcnt lgkmcnt(0)
	s_nop 0
	v_cndmask_b32_e32 v27, 0, v27, vcc
	v_add_u32_e32 v22, v22, v27
	ds_bpermute_b32 v27, v43, v22
	v_cmp_le_u32_e32 vcc, v44, v26
	s_waitcnt lgkmcnt(0)
	s_nop 0
	;; [unrolled: 6-line block ×5, first 2 shown]
	v_cndmask_b32_e32 v26, 0, v27, vcc
	v_add3_u32 v22, v26, v19, v22
.LBB839_160:                            ;   in Loop: Header=BB839_161 Depth=1
	s_and_b64 vcc, exec, s[30:31]
	s_cbranch_vccnz .LBB839_167
.LBB839_161:                            ; =>This Loop Header: Depth=1
                                        ;     Child Loop BB839_164 Depth 2
	v_cmp_ne_u16_sdwa s[30:31], v23, v38 src0_sel:BYTE_0 src1_sel:DWORD
	v_mov_b32_e32 v19, v22
	s_cmp_lg_u64 s[30:31], exec
	s_mov_b64 s[30:31], -1
                                        ; implicit-def: $vgpr22
                                        ; implicit-def: $vgpr23
	s_cbranch_scc1 .LBB839_160
; %bb.162:                              ;   in Loop: Header=BB839_161 Depth=1
	v_lshl_add_u64 v[26:27], v[20:21], 3, s[22:23]
	global_load_dwordx2 v[22:23], v[26:27], off sc1
	s_waitcnt vmcnt(0)
	v_cmp_eq_u16_sdwa s[36:37], v23, v21 src0_sel:BYTE_0 src1_sel:DWORD
	s_and_saveexec_b64 s[30:31], s[36:37]
	s_cbranch_execz .LBB839_159
; %bb.163:                              ;   in Loop: Header=BB839_161 Depth=1
	s_mov_b64 s[36:37], 0
.LBB839_164:                            ;   Parent Loop BB839_161 Depth=1
                                        ; =>  This Inner Loop Header: Depth=2
	global_load_dwordx2 v[22:23], v[26:27], off sc1
	s_waitcnt vmcnt(0)
	v_cmp_ne_u16_sdwa s[38:39], v23, v21 src0_sel:BYTE_0 src1_sel:DWORD
	s_or_b64 s[36:37], s[38:39], s[36:37]
	s_andn2_b64 exec, exec, s[36:37]
	s_cbranch_execnz .LBB839_164
; %bb.165:                              ;   in Loop: Header=BB839_161 Depth=1
	s_or_b64 exec, exec, s[36:37]
	s_branch .LBB839_159
.LBB839_166:
                                        ; implicit-def: $vgpr22
                                        ; implicit-def: $vgpr24
                                        ; implicit-def: $vgpr26
                                        ; implicit-def: $vgpr28
                                        ; implicit-def: $vgpr30
                                        ; implicit-def: $vgpr20
                                        ; implicit-def: $vgpr18
	s_cbranch_execnz .LBB839_172
	s_branch .LBB839_181
.LBB839_167:
	s_and_saveexec_b64 s[30:31], s[16:17]
	s_cbranch_execz .LBB839_169
; %bb.168:
	s_add_i32 s2, s2, 64
	s_mov_b32 s3, 0
	s_lshl_b64 s[2:3], s[2:3], 3
	s_add_u32 s2, s22, s2
	v_add_u32_e32 v20, v19, v18
	v_mov_b32_e32 v21, 2
	s_addc_u32 s3, s23, s3
	v_mov_b32_e32 v22, 0
	global_store_dwordx2 v22, v[20:21], s[2:3] sc1
	ds_write_b64 v22, v[18:19] offset:5120
.LBB839_169:
	s_or_b64 exec, exec, s[30:31]
	v_cmp_eq_u32_e32 vcc, 0, v0
	s_and_b64 exec, exec, vcc
; %bb.170:
	v_mov_b32_e32 v18, 0
	ds_write_b32 v18, v19 offset:4
.LBB839_171:
	s_or_b64 exec, exec, s[20:21]
	v_mov_b32_e32 v18, 0
	s_waitcnt lgkmcnt(0)
	s_barrier
	ds_read_b32 v19, v18 offset:4
	v_cndmask_b32_e64 v20, v30, v28, s[16:17]
	v_cmp_ne_u32_e32 vcc, 0, v0
	s_waitcnt lgkmcnt(0)
	s_barrier
	v_cndmask_b32_e32 v20, 0, v20, vcc
	v_add_u32_e32 v30, v19, v20
	ds_read_b64 v[18:19], v18 offset:5120
	v_add_u32_e32 v28, v30, v15
	v_add_u32_e32 v26, v28, v17
	;; [unrolled: 1-line block ×4, first 2 shown]
	s_waitcnt lgkmcnt(0)
	v_mov_b32_e32 v20, v19
	s_branch .LBB839_181
.LBB839_172:
	v_mov_b32_dpp v18, v37 row_shr:1 row_mask:0xf bank_mask:0xf
	v_cndmask_b32_e64 v18, v18, 0, s[14:15]
	v_add_u32_e32 v18, v18, v37
	s_nop 1
	v_mov_b32_dpp v19, v18 row_shr:2 row_mask:0xf bank_mask:0xf
	v_cndmask_b32_e64 v19, 0, v19, s[12:13]
	v_add_u32_e32 v18, v18, v19
	s_nop 1
	;; [unrolled: 4-line block ×4, first 2 shown]
	v_mov_b32_dpp v19, v18 row_bcast:15 row_mask:0xf bank_mask:0xf
	v_cndmask_b32_e64 v19, v19, 0, s[6:7]
	v_add_u32_e32 v18, v18, v19
	s_nop 1
	v_mov_b32_dpp v19, v18 row_bcast:31 row_mask:0xf bank_mask:0xf
	v_cndmask_b32_e64 v19, 0, v19, s[18:19]
	v_add_u32_e32 v18, v18, v19
	s_and_saveexec_b64 s[2:3], s[4:5]
; %bb.173:
	v_lshlrev_b32_e32 v19, 2, v36
	ds_write_b32 v19, v18
; %bb.174:
	s_or_b64 exec, exec, s[2:3]
	v_cmp_gt_u32_e32 vcc, 2, v0
	s_waitcnt lgkmcnt(0)
	s_barrier
	s_and_saveexec_b64 s[2:3], vcc
	s_cbranch_execz .LBB839_176
; %bb.175:
	v_lshlrev_b32_e32 v19, 2, v0
	ds_read_b32 v20, v19
	v_bfe_i32 v21, v35, 0, 1
	s_waitcnt lgkmcnt(0)
	v_mov_b32_dpp v22, v20 row_shr:1 row_mask:0xf bank_mask:0xf
	v_and_b32_e32 v21, v21, v22
	v_add_u32_e32 v20, v21, v20
	ds_write_b32 v19, v20
.LBB839_176:
	s_or_b64 exec, exec, s[2:3]
	v_cmp_lt_u32_e32 vcc, 63, v0
	v_mov_b32_e32 v19, 0
	v_mov_b32_e32 v20, 0
	s_waitcnt lgkmcnt(0)
	s_barrier
	s_and_saveexec_b64 s[2:3], vcc
; %bb.177:
	v_lshl_add_u32 v20, v36, 2, -4
	ds_read_b32 v20, v20
; %bb.178:
	s_or_b64 exec, exec, s[2:3]
	v_subrev_co_u32_e32 v21, vcc, 1, v35
	v_and_b32_e32 v22, 64, v35
	v_cmp_lt_i32_e64 s[2:3], v21, v22
	s_waitcnt lgkmcnt(0)
	v_add_u32_e32 v18, v20, v18
	v_cndmask_b32_e64 v21, v21, v35, s[2:3]
	v_lshlrev_b32_e32 v21, 2, v21
	ds_bpermute_b32 v21, v21, v18
	ds_read_b32 v18, v19 offset:4
	v_cmp_eq_u32_e64 s[2:3], 0, v0
	s_and_saveexec_b64 s[4:5], s[2:3]
	s_cbranch_execz .LBB839_180
; %bb.179:
	v_mov_b32_e32 v22, 0
	v_mov_b32_e32 v19, 2
	s_waitcnt lgkmcnt(0)
	global_store_dwordx2 v22, v[18:19], s[22:23] offset:512 sc1
.LBB839_180:
	s_or_b64 exec, exec, s[4:5]
	s_waitcnt lgkmcnt(1)
	v_cndmask_b32_e32 v19, v21, v20, vcc
	v_cndmask_b32_e64 v30, v19, 0, s[2:3]
	v_add_u32_e32 v28, v30, v15
	v_add_u32_e32 v26, v28, v17
	;; [unrolled: 1-line block ×4, first 2 shown]
	s_waitcnt lgkmcnt(0)
	s_barrier
	v_mov_b32_e32 v20, 0
.LBB839_181:
	s_load_dwordx4 s[8:11], s[0:1], 0x28
	s_movk_i32 s0, 0x81
	v_cmp_gt_u32_e64 s[0:1], s0, v18
	v_add_u32_e32 v17, v20, v18
	v_and_b32_e32 v15, 1, v16
	s_mov_b64 s[6:7], -1
	s_and_b64 vcc, exec, s[0:1]
	v_cmp_lt_u32_e64 s[2:3], v30, v17
	v_cmp_eq_u32_e64 s[4:5], 1, v15
	s_cbranch_vccz .LBB839_193
; %bb.182:
	s_or_b64 s[2:3], s[34:35], s[2:3]
	s_and_b64 s[4:5], s[2:3], s[4:5]
	s_and_saveexec_b64 s[2:3], s[4:5]
	s_cbranch_execz .LBB839_184
; %bb.183:
	s_lshl_b64 s[4:5], s[26:27], 3
	s_waitcnt lgkmcnt(0)
	s_add_u32 s4, s8, s4
	s_addc_u32 s5, s9, s5
	v_mov_b32_e32 v31, 0
	v_lshl_add_u64 v[36:37], v[30:31], 3, s[4:5]
	global_store_dwordx2 v[36:37], v[6:7], off
.LBB839_184:
	s_or_b64 exec, exec, s[2:3]
	v_cmp_lt_u32_e32 vcc, v28, v17
	v_and_b32_e32 v16, 1, v34
	s_or_b64 s[2:3], s[34:35], vcc
	v_cmp_eq_u32_e32 vcc, 1, v16
	s_and_b64 s[4:5], s[2:3], vcc
	s_and_saveexec_b64 s[2:3], s[4:5]
	s_cbranch_execz .LBB839_186
; %bb.185:
	s_lshl_b64 s[4:5], s[26:27], 3
	s_waitcnt lgkmcnt(0)
	s_add_u32 s4, s8, s4
	s_addc_u32 s5, s9, s5
	v_mov_b32_e32 v29, 0
	v_lshl_add_u64 v[36:37], v[28:29], 3, s[4:5]
	global_store_dwordx2 v[36:37], v[8:9], off
.LBB839_186:
	s_or_b64 exec, exec, s[2:3]
	v_cmp_lt_u32_e32 vcc, v26, v17
	v_and_b32_e32 v16, 1, v33
	s_or_b64 s[2:3], s[34:35], vcc
	v_cmp_eq_u32_e32 vcc, 1, v16
	s_and_b64 s[4:5], s[2:3], vcc
	;; [unrolled: 17-line block ×4, first 2 shown]
	s_and_saveexec_b64 s[2:3], s[4:5]
	s_cbranch_execz .LBB839_192
; %bb.191:
	s_lshl_b64 s[4:5], s[26:27], 3
	s_waitcnt lgkmcnt(0)
	s_add_u32 s4, s8, s4
	s_addc_u32 s5, s9, s5
	v_mov_b32_e32 v23, 0
	v_lshl_add_u64 v[36:37], v[22:23], 3, s[4:5]
	global_store_dwordx2 v[36:37], v[12:13], off
.LBB839_192:
	s_or_b64 exec, exec, s[2:3]
	s_mov_b64 s[6:7], 0
.LBB839_193:
	s_and_b64 vcc, exec, s[6:7]
	s_cbranch_vccz .LBB839_207
; %bb.194:
	v_cmp_eq_u32_e32 vcc, 1, v15
	s_and_saveexec_b64 s[2:3], vcc
; %bb.195:
	v_sub_u32_e32 v16, v30, v20
	v_lshlrev_b32_e32 v16, 3, v16
	ds_write_b64 v16, v[6:7]
; %bb.196:
	s_or_b64 exec, exec, s[2:3]
	v_and_b32_e32 v6, 1, v34
	v_cmp_eq_u32_e32 vcc, 1, v6
	s_and_saveexec_b64 s[2:3], vcc
; %bb.197:
	v_sub_u32_e32 v6, v28, v20
	v_lshlrev_b32_e32 v6, 3, v6
	ds_write_b64 v6, v[8:9]
; %bb.198:
	s_or_b64 exec, exec, s[2:3]
	v_and_b32_e32 v6, 1, v33
	;; [unrolled: 9-line block ×4, first 2 shown]
	v_cmp_eq_u32_e32 vcc, 1, v2
	s_and_saveexec_b64 s[2:3], vcc
; %bb.203:
	v_sub_u32_e32 v2, v22, v20
	v_lshlrev_b32_e32 v2, 3, v2
	ds_write_b64 v2, v[12:13]
; %bb.204:
	s_or_b64 exec, exec, s[2:3]
	v_mov_b32_e32 v3, 0
	v_mov_b32_e32 v21, v3
	v_lshlrev_b64 v[4:5], 3, v[20:21]
	s_waitcnt lgkmcnt(0)
	v_lshl_add_u64 v[4:5], s[8:9], 0, v[4:5]
	s_lshl_b64 s[2:3], s[26:27], 3
	v_lshl_add_u64 v[4:5], v[4:5], 0, s[2:3]
	v_lshlrev_b32_e32 v6, 3, v0
	s_mov_b64 s[2:3], 0
	v_mov_b32_e32 v2, v0
	s_barrier
.LBB839_205:                            ; =>This Inner Loop Header: Depth=1
	ds_read_b64 v[8:9], v6
	v_lshl_add_u64 v[12:13], v[2:3], 3, v[4:5]
	v_add_u32_e32 v2, 0x80, v2
	v_cmp_ge_u32_e32 vcc, v2, v18
	v_add_u32_e32 v6, 0x400, v6
	s_or_b64 s[2:3], vcc, s[2:3]
	s_waitcnt lgkmcnt(0)
	global_store_dwordx2 v[12:13], v[8:9], off
	s_andn2_b64 exec, exec, s[2:3]
	s_cbranch_execnz .LBB839_205
; %bb.206:
	s_or_b64 exec, exec, s[2:3]
.LBB839_207:
	s_mov_b64 s[2:3], -1
	s_and_b64 vcc, exec, s[0:1]
	s_waitcnt lgkmcnt(0)
	s_barrier
	s_cbranch_vccnz .LBB839_211
; %bb.208:
	s_and_b64 vcc, exec, s[2:3]
	s_cbranch_vccnz .LBB839_222
.LBB839_209:
	v_cmp_eq_u32_e32 vcc, 0, v0
	s_and_b64 s[0:1], vcc, s[28:29]
	s_and_saveexec_b64 s[2:3], s[0:1]
	s_cbranch_execnz .LBB839_235
.LBB839_210:
	s_endpgm
.LBB839_211:
	v_cmp_lt_u32_e32 vcc, v30, v17
	s_or_b64 s[0:1], s[34:35], vcc
	v_cmp_eq_u32_e32 vcc, 1, v15
	s_and_b64 s[2:3], s[0:1], vcc
	s_and_saveexec_b64 s[0:1], s[2:3]
	s_cbranch_execz .LBB839_213
; %bb.212:
	s_lshl_b64 s[2:3], s[26:27], 3
	s_add_u32 s2, s10, s2
	s_addc_u32 s3, s11, s3
	v_mov_b32_e32 v31, 0
	v_lshl_add_u64 v[2:3], v[30:31], 3, s[2:3]
	global_store_dwordx2 v[2:3], v[56:57], off
.LBB839_213:
	s_or_b64 exec, exec, s[0:1]
	v_cmp_lt_u32_e32 vcc, v28, v17
	v_and_b32_e32 v2, 1, v34
	s_or_b64 s[0:1], s[34:35], vcc
	v_cmp_eq_u32_e32 vcc, 1, v2
	s_and_b64 s[2:3], s[0:1], vcc
	s_and_saveexec_b64 s[0:1], s[2:3]
	s_cbranch_execz .LBB839_215
; %bb.214:
	s_lshl_b64 s[2:3], s[26:27], 3
	s_add_u32 s2, s10, s2
	s_addc_u32 s3, s11, s3
	v_mov_b32_e32 v29, 0
	v_lshl_add_u64 v[2:3], v[28:29], 3, s[2:3]
	global_store_dwordx2 v[2:3], v[58:59], off
.LBB839_215:
	s_or_b64 exec, exec, s[0:1]
	v_cmp_lt_u32_e32 vcc, v26, v17
	v_and_b32_e32 v2, 1, v33
	;; [unrolled: 16-line block ×4, first 2 shown]
	s_or_b64 s[0:1], s[34:35], vcc
	v_cmp_eq_u32_e32 vcc, 1, v2
	s_and_b64 s[2:3], s[0:1], vcc
	s_and_saveexec_b64 s[0:1], s[2:3]
	s_cbranch_execz .LBB839_221
; %bb.220:
	s_lshl_b64 s[2:3], s[26:27], 3
	s_add_u32 s2, s10, s2
	s_addc_u32 s3, s11, s3
	v_mov_b32_e32 v23, 0
	v_lshl_add_u64 v[2:3], v[22:23], 3, s[2:3]
	global_store_dwordx2 v[2:3], v[10:11], off
.LBB839_221:
	s_or_b64 exec, exec, s[0:1]
	s_branch .LBB839_209
.LBB839_222:
	v_cmp_eq_u32_e32 vcc, 1, v15
	s_and_saveexec_b64 s[0:1], vcc
; %bb.223:
	v_sub_u32_e32 v2, v30, v20
	v_lshlrev_b32_e32 v2, 3, v2
	ds_write_b64 v2, v[56:57]
; %bb.224:
	s_or_b64 exec, exec, s[0:1]
	v_and_b32_e32 v2, 1, v34
	v_cmp_eq_u32_e32 vcc, 1, v2
	s_and_saveexec_b64 s[0:1], vcc
; %bb.225:
	v_sub_u32_e32 v2, v28, v20
	v_lshlrev_b32_e32 v2, 3, v2
	ds_write_b64 v2, v[58:59]
; %bb.226:
	s_or_b64 exec, exec, s[0:1]
	v_and_b32_e32 v2, 1, v33
	;; [unrolled: 9-line block ×4, first 2 shown]
	v_cmp_eq_u32_e32 vcc, 1, v2
	s_and_saveexec_b64 s[0:1], vcc
; %bb.231:
	v_sub_u32_e32 v2, v22, v20
	v_lshlrev_b32_e32 v2, 3, v2
	ds_write_b64 v2, v[10:11]
; %bb.232:
	s_or_b64 exec, exec, s[0:1]
	v_mov_b32_e32 v3, 0
	v_mov_b32_e32 v21, v3
	v_lshlrev_b64 v[4:5], 3, v[20:21]
	v_lshl_add_u64 v[4:5], s[10:11], 0, v[4:5]
	s_lshl_b64 s[0:1], s[26:27], 3
	v_lshl_add_u64 v[4:5], v[4:5], 0, s[0:1]
	s_mov_b64 s[0:1], 0
	v_mov_b32_e32 v2, v0
	s_waitcnt lgkmcnt(0)
	s_barrier
.LBB839_233:                            ; =>This Inner Loop Header: Depth=1
	ds_read_b64 v[6:7], v1
	v_lshl_add_u64 v[8:9], v[2:3], 3, v[4:5]
	v_add_u32_e32 v2, 0x80, v2
	v_cmp_ge_u32_e32 vcc, v2, v18
	v_add_u32_e32 v1, 0x400, v1
	s_or_b64 s[0:1], vcc, s[0:1]
	s_waitcnt lgkmcnt(0)
	global_store_dwordx2 v[8:9], v[6:7], off
	s_andn2_b64 exec, exec, s[0:1]
	s_cbranch_execnz .LBB839_233
; %bb.234:
	s_or_b64 exec, exec, s[0:1]
	v_cmp_eq_u32_e32 vcc, 0, v0
	s_and_b64 s[0:1], vcc, s[28:29]
	s_and_saveexec_b64 s[2:3], s[0:1]
	s_cbranch_execz .LBB839_210
.LBB839_235:
	v_mov_b32_e32 v19, 0
	v_lshl_add_u64 v[0:1], s[26:27], 0, v[18:19]
	v_mov_b32_e32 v21, v19
	v_lshl_add_u64 v[0:1], v[0:1], 0, v[20:21]
	global_store_dwordx2 v19, v[0:1], s[24:25]
	s_endpgm
	.section	.rodata,"a",@progbits
	.p2align	6, 0x0
	.amdhsa_kernel _ZN7rocprim17ROCPRIM_400000_NS6detail17trampoline_kernelINS0_14default_configENS1_25partition_config_selectorILNS1_17partition_subalgoE9EllbEEZZNS1_14partition_implILS5_9ELb0ES3_jPlS8_PNS0_10empty_typeENS0_5tupleIJS8_S9_EEENSB_IJS8_SA_EEENS0_18inequality_wrapperIZN2at6native12_GLOBAL__N_124unique_dim_cuda_templateIdEESt5tupleIJNSF_6TensorESK_SK_EERKSK_lbbbEUlllE0_EEPmJS9_EEE10hipError_tPvRmT3_T4_T5_T6_T7_T9_mT8_P12ihipStream_tbDpT10_ENKUlT_T0_E_clISt17integral_constantIbLb0EES1A_EEDaS15_S16_EUlS15_E_NS1_11comp_targetILNS1_3genE0ELNS1_11target_archE4294967295ELNS1_3gpuE0ELNS1_3repE0EEENS1_30default_config_static_selectorELNS0_4arch9wavefront6targetE1EEEvT1_
		.amdhsa_group_segment_fixed_size 5128
		.amdhsa_private_segment_fixed_size 0
		.amdhsa_kernarg_size 120
		.amdhsa_user_sgpr_count 2
		.amdhsa_user_sgpr_dispatch_ptr 0
		.amdhsa_user_sgpr_queue_ptr 0
		.amdhsa_user_sgpr_kernarg_segment_ptr 1
		.amdhsa_user_sgpr_dispatch_id 0
		.amdhsa_user_sgpr_kernarg_preload_length 0
		.amdhsa_user_sgpr_kernarg_preload_offset 0
		.amdhsa_user_sgpr_private_segment_size 0
		.amdhsa_uses_dynamic_stack 0
		.amdhsa_enable_private_segment 0
		.amdhsa_system_sgpr_workgroup_id_x 1
		.amdhsa_system_sgpr_workgroup_id_y 0
		.amdhsa_system_sgpr_workgroup_id_z 0
		.amdhsa_system_sgpr_workgroup_info 0
		.amdhsa_system_vgpr_workitem_id 0
		.amdhsa_next_free_vgpr 60
		.amdhsa_next_free_sgpr 46
		.amdhsa_accum_offset 60
		.amdhsa_reserve_vcc 1
		.amdhsa_float_round_mode_32 0
		.amdhsa_float_round_mode_16_64 0
		.amdhsa_float_denorm_mode_32 3
		.amdhsa_float_denorm_mode_16_64 3
		.amdhsa_dx10_clamp 1
		.amdhsa_ieee_mode 1
		.amdhsa_fp16_overflow 0
		.amdhsa_tg_split 0
		.amdhsa_exception_fp_ieee_invalid_op 0
		.amdhsa_exception_fp_denorm_src 0
		.amdhsa_exception_fp_ieee_div_zero 0
		.amdhsa_exception_fp_ieee_overflow 0
		.amdhsa_exception_fp_ieee_underflow 0
		.amdhsa_exception_fp_ieee_inexact 0
		.amdhsa_exception_int_div_zero 0
	.end_amdhsa_kernel
	.section	.text._ZN7rocprim17ROCPRIM_400000_NS6detail17trampoline_kernelINS0_14default_configENS1_25partition_config_selectorILNS1_17partition_subalgoE9EllbEEZZNS1_14partition_implILS5_9ELb0ES3_jPlS8_PNS0_10empty_typeENS0_5tupleIJS8_S9_EEENSB_IJS8_SA_EEENS0_18inequality_wrapperIZN2at6native12_GLOBAL__N_124unique_dim_cuda_templateIdEESt5tupleIJNSF_6TensorESK_SK_EERKSK_lbbbEUlllE0_EEPmJS9_EEE10hipError_tPvRmT3_T4_T5_T6_T7_T9_mT8_P12ihipStream_tbDpT10_ENKUlT_T0_E_clISt17integral_constantIbLb0EES1A_EEDaS15_S16_EUlS15_E_NS1_11comp_targetILNS1_3genE0ELNS1_11target_archE4294967295ELNS1_3gpuE0ELNS1_3repE0EEENS1_30default_config_static_selectorELNS0_4arch9wavefront6targetE1EEEvT1_,"axG",@progbits,_ZN7rocprim17ROCPRIM_400000_NS6detail17trampoline_kernelINS0_14default_configENS1_25partition_config_selectorILNS1_17partition_subalgoE9EllbEEZZNS1_14partition_implILS5_9ELb0ES3_jPlS8_PNS0_10empty_typeENS0_5tupleIJS8_S9_EEENSB_IJS8_SA_EEENS0_18inequality_wrapperIZN2at6native12_GLOBAL__N_124unique_dim_cuda_templateIdEESt5tupleIJNSF_6TensorESK_SK_EERKSK_lbbbEUlllE0_EEPmJS9_EEE10hipError_tPvRmT3_T4_T5_T6_T7_T9_mT8_P12ihipStream_tbDpT10_ENKUlT_T0_E_clISt17integral_constantIbLb0EES1A_EEDaS15_S16_EUlS15_E_NS1_11comp_targetILNS1_3genE0ELNS1_11target_archE4294967295ELNS1_3gpuE0ELNS1_3repE0EEENS1_30default_config_static_selectorELNS0_4arch9wavefront6targetE1EEEvT1_,comdat
.Lfunc_end839:
	.size	_ZN7rocprim17ROCPRIM_400000_NS6detail17trampoline_kernelINS0_14default_configENS1_25partition_config_selectorILNS1_17partition_subalgoE9EllbEEZZNS1_14partition_implILS5_9ELb0ES3_jPlS8_PNS0_10empty_typeENS0_5tupleIJS8_S9_EEENSB_IJS8_SA_EEENS0_18inequality_wrapperIZN2at6native12_GLOBAL__N_124unique_dim_cuda_templateIdEESt5tupleIJNSF_6TensorESK_SK_EERKSK_lbbbEUlllE0_EEPmJS9_EEE10hipError_tPvRmT3_T4_T5_T6_T7_T9_mT8_P12ihipStream_tbDpT10_ENKUlT_T0_E_clISt17integral_constantIbLb0EES1A_EEDaS15_S16_EUlS15_E_NS1_11comp_targetILNS1_3genE0ELNS1_11target_archE4294967295ELNS1_3gpuE0ELNS1_3repE0EEENS1_30default_config_static_selectorELNS0_4arch9wavefront6targetE1EEEvT1_, .Lfunc_end839-_ZN7rocprim17ROCPRIM_400000_NS6detail17trampoline_kernelINS0_14default_configENS1_25partition_config_selectorILNS1_17partition_subalgoE9EllbEEZZNS1_14partition_implILS5_9ELb0ES3_jPlS8_PNS0_10empty_typeENS0_5tupleIJS8_S9_EEENSB_IJS8_SA_EEENS0_18inequality_wrapperIZN2at6native12_GLOBAL__N_124unique_dim_cuda_templateIdEESt5tupleIJNSF_6TensorESK_SK_EERKSK_lbbbEUlllE0_EEPmJS9_EEE10hipError_tPvRmT3_T4_T5_T6_T7_T9_mT8_P12ihipStream_tbDpT10_ENKUlT_T0_E_clISt17integral_constantIbLb0EES1A_EEDaS15_S16_EUlS15_E_NS1_11comp_targetILNS1_3genE0ELNS1_11target_archE4294967295ELNS1_3gpuE0ELNS1_3repE0EEENS1_30default_config_static_selectorELNS0_4arch9wavefront6targetE1EEEvT1_
                                        ; -- End function
	.set _ZN7rocprim17ROCPRIM_400000_NS6detail17trampoline_kernelINS0_14default_configENS1_25partition_config_selectorILNS1_17partition_subalgoE9EllbEEZZNS1_14partition_implILS5_9ELb0ES3_jPlS8_PNS0_10empty_typeENS0_5tupleIJS8_S9_EEENSB_IJS8_SA_EEENS0_18inequality_wrapperIZN2at6native12_GLOBAL__N_124unique_dim_cuda_templateIdEESt5tupleIJNSF_6TensorESK_SK_EERKSK_lbbbEUlllE0_EEPmJS9_EEE10hipError_tPvRmT3_T4_T5_T6_T7_T9_mT8_P12ihipStream_tbDpT10_ENKUlT_T0_E_clISt17integral_constantIbLb0EES1A_EEDaS15_S16_EUlS15_E_NS1_11comp_targetILNS1_3genE0ELNS1_11target_archE4294967295ELNS1_3gpuE0ELNS1_3repE0EEENS1_30default_config_static_selectorELNS0_4arch9wavefront6targetE1EEEvT1_.num_vgpr, 60
	.set _ZN7rocprim17ROCPRIM_400000_NS6detail17trampoline_kernelINS0_14default_configENS1_25partition_config_selectorILNS1_17partition_subalgoE9EllbEEZZNS1_14partition_implILS5_9ELb0ES3_jPlS8_PNS0_10empty_typeENS0_5tupleIJS8_S9_EEENSB_IJS8_SA_EEENS0_18inequality_wrapperIZN2at6native12_GLOBAL__N_124unique_dim_cuda_templateIdEESt5tupleIJNSF_6TensorESK_SK_EERKSK_lbbbEUlllE0_EEPmJS9_EEE10hipError_tPvRmT3_T4_T5_T6_T7_T9_mT8_P12ihipStream_tbDpT10_ENKUlT_T0_E_clISt17integral_constantIbLb0EES1A_EEDaS15_S16_EUlS15_E_NS1_11comp_targetILNS1_3genE0ELNS1_11target_archE4294967295ELNS1_3gpuE0ELNS1_3repE0EEENS1_30default_config_static_selectorELNS0_4arch9wavefront6targetE1EEEvT1_.num_agpr, 0
	.set _ZN7rocprim17ROCPRIM_400000_NS6detail17trampoline_kernelINS0_14default_configENS1_25partition_config_selectorILNS1_17partition_subalgoE9EllbEEZZNS1_14partition_implILS5_9ELb0ES3_jPlS8_PNS0_10empty_typeENS0_5tupleIJS8_S9_EEENSB_IJS8_SA_EEENS0_18inequality_wrapperIZN2at6native12_GLOBAL__N_124unique_dim_cuda_templateIdEESt5tupleIJNSF_6TensorESK_SK_EERKSK_lbbbEUlllE0_EEPmJS9_EEE10hipError_tPvRmT3_T4_T5_T6_T7_T9_mT8_P12ihipStream_tbDpT10_ENKUlT_T0_E_clISt17integral_constantIbLb0EES1A_EEDaS15_S16_EUlS15_E_NS1_11comp_targetILNS1_3genE0ELNS1_11target_archE4294967295ELNS1_3gpuE0ELNS1_3repE0EEENS1_30default_config_static_selectorELNS0_4arch9wavefront6targetE1EEEvT1_.numbered_sgpr, 46
	.set _ZN7rocprim17ROCPRIM_400000_NS6detail17trampoline_kernelINS0_14default_configENS1_25partition_config_selectorILNS1_17partition_subalgoE9EllbEEZZNS1_14partition_implILS5_9ELb0ES3_jPlS8_PNS0_10empty_typeENS0_5tupleIJS8_S9_EEENSB_IJS8_SA_EEENS0_18inequality_wrapperIZN2at6native12_GLOBAL__N_124unique_dim_cuda_templateIdEESt5tupleIJNSF_6TensorESK_SK_EERKSK_lbbbEUlllE0_EEPmJS9_EEE10hipError_tPvRmT3_T4_T5_T6_T7_T9_mT8_P12ihipStream_tbDpT10_ENKUlT_T0_E_clISt17integral_constantIbLb0EES1A_EEDaS15_S16_EUlS15_E_NS1_11comp_targetILNS1_3genE0ELNS1_11target_archE4294967295ELNS1_3gpuE0ELNS1_3repE0EEENS1_30default_config_static_selectorELNS0_4arch9wavefront6targetE1EEEvT1_.num_named_barrier, 0
	.set _ZN7rocprim17ROCPRIM_400000_NS6detail17trampoline_kernelINS0_14default_configENS1_25partition_config_selectorILNS1_17partition_subalgoE9EllbEEZZNS1_14partition_implILS5_9ELb0ES3_jPlS8_PNS0_10empty_typeENS0_5tupleIJS8_S9_EEENSB_IJS8_SA_EEENS0_18inequality_wrapperIZN2at6native12_GLOBAL__N_124unique_dim_cuda_templateIdEESt5tupleIJNSF_6TensorESK_SK_EERKSK_lbbbEUlllE0_EEPmJS9_EEE10hipError_tPvRmT3_T4_T5_T6_T7_T9_mT8_P12ihipStream_tbDpT10_ENKUlT_T0_E_clISt17integral_constantIbLb0EES1A_EEDaS15_S16_EUlS15_E_NS1_11comp_targetILNS1_3genE0ELNS1_11target_archE4294967295ELNS1_3gpuE0ELNS1_3repE0EEENS1_30default_config_static_selectorELNS0_4arch9wavefront6targetE1EEEvT1_.private_seg_size, 0
	.set _ZN7rocprim17ROCPRIM_400000_NS6detail17trampoline_kernelINS0_14default_configENS1_25partition_config_selectorILNS1_17partition_subalgoE9EllbEEZZNS1_14partition_implILS5_9ELb0ES3_jPlS8_PNS0_10empty_typeENS0_5tupleIJS8_S9_EEENSB_IJS8_SA_EEENS0_18inequality_wrapperIZN2at6native12_GLOBAL__N_124unique_dim_cuda_templateIdEESt5tupleIJNSF_6TensorESK_SK_EERKSK_lbbbEUlllE0_EEPmJS9_EEE10hipError_tPvRmT3_T4_T5_T6_T7_T9_mT8_P12ihipStream_tbDpT10_ENKUlT_T0_E_clISt17integral_constantIbLb0EES1A_EEDaS15_S16_EUlS15_E_NS1_11comp_targetILNS1_3genE0ELNS1_11target_archE4294967295ELNS1_3gpuE0ELNS1_3repE0EEENS1_30default_config_static_selectorELNS0_4arch9wavefront6targetE1EEEvT1_.uses_vcc, 1
	.set _ZN7rocprim17ROCPRIM_400000_NS6detail17trampoline_kernelINS0_14default_configENS1_25partition_config_selectorILNS1_17partition_subalgoE9EllbEEZZNS1_14partition_implILS5_9ELb0ES3_jPlS8_PNS0_10empty_typeENS0_5tupleIJS8_S9_EEENSB_IJS8_SA_EEENS0_18inequality_wrapperIZN2at6native12_GLOBAL__N_124unique_dim_cuda_templateIdEESt5tupleIJNSF_6TensorESK_SK_EERKSK_lbbbEUlllE0_EEPmJS9_EEE10hipError_tPvRmT3_T4_T5_T6_T7_T9_mT8_P12ihipStream_tbDpT10_ENKUlT_T0_E_clISt17integral_constantIbLb0EES1A_EEDaS15_S16_EUlS15_E_NS1_11comp_targetILNS1_3genE0ELNS1_11target_archE4294967295ELNS1_3gpuE0ELNS1_3repE0EEENS1_30default_config_static_selectorELNS0_4arch9wavefront6targetE1EEEvT1_.uses_flat_scratch, 0
	.set _ZN7rocprim17ROCPRIM_400000_NS6detail17trampoline_kernelINS0_14default_configENS1_25partition_config_selectorILNS1_17partition_subalgoE9EllbEEZZNS1_14partition_implILS5_9ELb0ES3_jPlS8_PNS0_10empty_typeENS0_5tupleIJS8_S9_EEENSB_IJS8_SA_EEENS0_18inequality_wrapperIZN2at6native12_GLOBAL__N_124unique_dim_cuda_templateIdEESt5tupleIJNSF_6TensorESK_SK_EERKSK_lbbbEUlllE0_EEPmJS9_EEE10hipError_tPvRmT3_T4_T5_T6_T7_T9_mT8_P12ihipStream_tbDpT10_ENKUlT_T0_E_clISt17integral_constantIbLb0EES1A_EEDaS15_S16_EUlS15_E_NS1_11comp_targetILNS1_3genE0ELNS1_11target_archE4294967295ELNS1_3gpuE0ELNS1_3repE0EEENS1_30default_config_static_selectorELNS0_4arch9wavefront6targetE1EEEvT1_.has_dyn_sized_stack, 0
	.set _ZN7rocprim17ROCPRIM_400000_NS6detail17trampoline_kernelINS0_14default_configENS1_25partition_config_selectorILNS1_17partition_subalgoE9EllbEEZZNS1_14partition_implILS5_9ELb0ES3_jPlS8_PNS0_10empty_typeENS0_5tupleIJS8_S9_EEENSB_IJS8_SA_EEENS0_18inequality_wrapperIZN2at6native12_GLOBAL__N_124unique_dim_cuda_templateIdEESt5tupleIJNSF_6TensorESK_SK_EERKSK_lbbbEUlllE0_EEPmJS9_EEE10hipError_tPvRmT3_T4_T5_T6_T7_T9_mT8_P12ihipStream_tbDpT10_ENKUlT_T0_E_clISt17integral_constantIbLb0EES1A_EEDaS15_S16_EUlS15_E_NS1_11comp_targetILNS1_3genE0ELNS1_11target_archE4294967295ELNS1_3gpuE0ELNS1_3repE0EEENS1_30default_config_static_selectorELNS0_4arch9wavefront6targetE1EEEvT1_.has_recursion, 0
	.set _ZN7rocprim17ROCPRIM_400000_NS6detail17trampoline_kernelINS0_14default_configENS1_25partition_config_selectorILNS1_17partition_subalgoE9EllbEEZZNS1_14partition_implILS5_9ELb0ES3_jPlS8_PNS0_10empty_typeENS0_5tupleIJS8_S9_EEENSB_IJS8_SA_EEENS0_18inequality_wrapperIZN2at6native12_GLOBAL__N_124unique_dim_cuda_templateIdEESt5tupleIJNSF_6TensorESK_SK_EERKSK_lbbbEUlllE0_EEPmJS9_EEE10hipError_tPvRmT3_T4_T5_T6_T7_T9_mT8_P12ihipStream_tbDpT10_ENKUlT_T0_E_clISt17integral_constantIbLb0EES1A_EEDaS15_S16_EUlS15_E_NS1_11comp_targetILNS1_3genE0ELNS1_11target_archE4294967295ELNS1_3gpuE0ELNS1_3repE0EEENS1_30default_config_static_selectorELNS0_4arch9wavefront6targetE1EEEvT1_.has_indirect_call, 0
	.section	.AMDGPU.csdata,"",@progbits
; Kernel info:
; codeLenInByte = 9496
; TotalNumSgprs: 52
; NumVgprs: 60
; NumAgprs: 0
; TotalNumVgprs: 60
; ScratchSize: 0
; MemoryBound: 0
; FloatMode: 240
; IeeeMode: 1
; LDSByteSize: 5128 bytes/workgroup (compile time only)
; SGPRBlocks: 6
; VGPRBlocks: 7
; NumSGPRsForWavesPerEU: 52
; NumVGPRsForWavesPerEU: 60
; AccumOffset: 60
; Occupancy: 8
; WaveLimiterHint : 1
; COMPUTE_PGM_RSRC2:SCRATCH_EN: 0
; COMPUTE_PGM_RSRC2:USER_SGPR: 2
; COMPUTE_PGM_RSRC2:TRAP_HANDLER: 0
; COMPUTE_PGM_RSRC2:TGID_X_EN: 1
; COMPUTE_PGM_RSRC2:TGID_Y_EN: 0
; COMPUTE_PGM_RSRC2:TGID_Z_EN: 0
; COMPUTE_PGM_RSRC2:TIDIG_COMP_CNT: 0
; COMPUTE_PGM_RSRC3_GFX90A:ACCUM_OFFSET: 14
; COMPUTE_PGM_RSRC3_GFX90A:TG_SPLIT: 0
	.section	.text._ZN7rocprim17ROCPRIM_400000_NS6detail17trampoline_kernelINS0_14default_configENS1_25partition_config_selectorILNS1_17partition_subalgoE9EllbEEZZNS1_14partition_implILS5_9ELb0ES3_jPlS8_PNS0_10empty_typeENS0_5tupleIJS8_S9_EEENSB_IJS8_SA_EEENS0_18inequality_wrapperIZN2at6native12_GLOBAL__N_124unique_dim_cuda_templateIdEESt5tupleIJNSF_6TensorESK_SK_EERKSK_lbbbEUlllE0_EEPmJS9_EEE10hipError_tPvRmT3_T4_T5_T6_T7_T9_mT8_P12ihipStream_tbDpT10_ENKUlT_T0_E_clISt17integral_constantIbLb0EES1A_EEDaS15_S16_EUlS15_E_NS1_11comp_targetILNS1_3genE5ELNS1_11target_archE942ELNS1_3gpuE9ELNS1_3repE0EEENS1_30default_config_static_selectorELNS0_4arch9wavefront6targetE1EEEvT1_,"axG",@progbits,_ZN7rocprim17ROCPRIM_400000_NS6detail17trampoline_kernelINS0_14default_configENS1_25partition_config_selectorILNS1_17partition_subalgoE9EllbEEZZNS1_14partition_implILS5_9ELb0ES3_jPlS8_PNS0_10empty_typeENS0_5tupleIJS8_S9_EEENSB_IJS8_SA_EEENS0_18inequality_wrapperIZN2at6native12_GLOBAL__N_124unique_dim_cuda_templateIdEESt5tupleIJNSF_6TensorESK_SK_EERKSK_lbbbEUlllE0_EEPmJS9_EEE10hipError_tPvRmT3_T4_T5_T6_T7_T9_mT8_P12ihipStream_tbDpT10_ENKUlT_T0_E_clISt17integral_constantIbLb0EES1A_EEDaS15_S16_EUlS15_E_NS1_11comp_targetILNS1_3genE5ELNS1_11target_archE942ELNS1_3gpuE9ELNS1_3repE0EEENS1_30default_config_static_selectorELNS0_4arch9wavefront6targetE1EEEvT1_,comdat
	.globl	_ZN7rocprim17ROCPRIM_400000_NS6detail17trampoline_kernelINS0_14default_configENS1_25partition_config_selectorILNS1_17partition_subalgoE9EllbEEZZNS1_14partition_implILS5_9ELb0ES3_jPlS8_PNS0_10empty_typeENS0_5tupleIJS8_S9_EEENSB_IJS8_SA_EEENS0_18inequality_wrapperIZN2at6native12_GLOBAL__N_124unique_dim_cuda_templateIdEESt5tupleIJNSF_6TensorESK_SK_EERKSK_lbbbEUlllE0_EEPmJS9_EEE10hipError_tPvRmT3_T4_T5_T6_T7_T9_mT8_P12ihipStream_tbDpT10_ENKUlT_T0_E_clISt17integral_constantIbLb0EES1A_EEDaS15_S16_EUlS15_E_NS1_11comp_targetILNS1_3genE5ELNS1_11target_archE942ELNS1_3gpuE9ELNS1_3repE0EEENS1_30default_config_static_selectorELNS0_4arch9wavefront6targetE1EEEvT1_ ; -- Begin function _ZN7rocprim17ROCPRIM_400000_NS6detail17trampoline_kernelINS0_14default_configENS1_25partition_config_selectorILNS1_17partition_subalgoE9EllbEEZZNS1_14partition_implILS5_9ELb0ES3_jPlS8_PNS0_10empty_typeENS0_5tupleIJS8_S9_EEENSB_IJS8_SA_EEENS0_18inequality_wrapperIZN2at6native12_GLOBAL__N_124unique_dim_cuda_templateIdEESt5tupleIJNSF_6TensorESK_SK_EERKSK_lbbbEUlllE0_EEPmJS9_EEE10hipError_tPvRmT3_T4_T5_T6_T7_T9_mT8_P12ihipStream_tbDpT10_ENKUlT_T0_E_clISt17integral_constantIbLb0EES1A_EEDaS15_S16_EUlS15_E_NS1_11comp_targetILNS1_3genE5ELNS1_11target_archE942ELNS1_3gpuE9ELNS1_3repE0EEENS1_30default_config_static_selectorELNS0_4arch9wavefront6targetE1EEEvT1_
	.p2align	8
	.type	_ZN7rocprim17ROCPRIM_400000_NS6detail17trampoline_kernelINS0_14default_configENS1_25partition_config_selectorILNS1_17partition_subalgoE9EllbEEZZNS1_14partition_implILS5_9ELb0ES3_jPlS8_PNS0_10empty_typeENS0_5tupleIJS8_S9_EEENSB_IJS8_SA_EEENS0_18inequality_wrapperIZN2at6native12_GLOBAL__N_124unique_dim_cuda_templateIdEESt5tupleIJNSF_6TensorESK_SK_EERKSK_lbbbEUlllE0_EEPmJS9_EEE10hipError_tPvRmT3_T4_T5_T6_T7_T9_mT8_P12ihipStream_tbDpT10_ENKUlT_T0_E_clISt17integral_constantIbLb0EES1A_EEDaS15_S16_EUlS15_E_NS1_11comp_targetILNS1_3genE5ELNS1_11target_archE942ELNS1_3gpuE9ELNS1_3repE0EEENS1_30default_config_static_selectorELNS0_4arch9wavefront6targetE1EEEvT1_,@function
_ZN7rocprim17ROCPRIM_400000_NS6detail17trampoline_kernelINS0_14default_configENS1_25partition_config_selectorILNS1_17partition_subalgoE9EllbEEZZNS1_14partition_implILS5_9ELb0ES3_jPlS8_PNS0_10empty_typeENS0_5tupleIJS8_S9_EEENSB_IJS8_SA_EEENS0_18inequality_wrapperIZN2at6native12_GLOBAL__N_124unique_dim_cuda_templateIdEESt5tupleIJNSF_6TensorESK_SK_EERKSK_lbbbEUlllE0_EEPmJS9_EEE10hipError_tPvRmT3_T4_T5_T6_T7_T9_mT8_P12ihipStream_tbDpT10_ENKUlT_T0_E_clISt17integral_constantIbLb0EES1A_EEDaS15_S16_EUlS15_E_NS1_11comp_targetILNS1_3genE5ELNS1_11target_archE942ELNS1_3gpuE9ELNS1_3repE0EEENS1_30default_config_static_selectorELNS0_4arch9wavefront6targetE1EEEvT1_: ; @_ZN7rocprim17ROCPRIM_400000_NS6detail17trampoline_kernelINS0_14default_configENS1_25partition_config_selectorILNS1_17partition_subalgoE9EllbEEZZNS1_14partition_implILS5_9ELb0ES3_jPlS8_PNS0_10empty_typeENS0_5tupleIJS8_S9_EEENSB_IJS8_SA_EEENS0_18inequality_wrapperIZN2at6native12_GLOBAL__N_124unique_dim_cuda_templateIdEESt5tupleIJNSF_6TensorESK_SK_EERKSK_lbbbEUlllE0_EEPmJS9_EEE10hipError_tPvRmT3_T4_T5_T6_T7_T9_mT8_P12ihipStream_tbDpT10_ENKUlT_T0_E_clISt17integral_constantIbLb0EES1A_EEDaS15_S16_EUlS15_E_NS1_11comp_targetILNS1_3genE5ELNS1_11target_archE942ELNS1_3gpuE9ELNS1_3repE0EEENS1_30default_config_static_selectorELNS0_4arch9wavefront6targetE1EEEvT1_
; %bb.0:
	.section	.rodata,"a",@progbits
	.p2align	6, 0x0
	.amdhsa_kernel _ZN7rocprim17ROCPRIM_400000_NS6detail17trampoline_kernelINS0_14default_configENS1_25partition_config_selectorILNS1_17partition_subalgoE9EllbEEZZNS1_14partition_implILS5_9ELb0ES3_jPlS8_PNS0_10empty_typeENS0_5tupleIJS8_S9_EEENSB_IJS8_SA_EEENS0_18inequality_wrapperIZN2at6native12_GLOBAL__N_124unique_dim_cuda_templateIdEESt5tupleIJNSF_6TensorESK_SK_EERKSK_lbbbEUlllE0_EEPmJS9_EEE10hipError_tPvRmT3_T4_T5_T6_T7_T9_mT8_P12ihipStream_tbDpT10_ENKUlT_T0_E_clISt17integral_constantIbLb0EES1A_EEDaS15_S16_EUlS15_E_NS1_11comp_targetILNS1_3genE5ELNS1_11target_archE942ELNS1_3gpuE9ELNS1_3repE0EEENS1_30default_config_static_selectorELNS0_4arch9wavefront6targetE1EEEvT1_
		.amdhsa_group_segment_fixed_size 0
		.amdhsa_private_segment_fixed_size 0
		.amdhsa_kernarg_size 120
		.amdhsa_user_sgpr_count 2
		.amdhsa_user_sgpr_dispatch_ptr 0
		.amdhsa_user_sgpr_queue_ptr 0
		.amdhsa_user_sgpr_kernarg_segment_ptr 1
		.amdhsa_user_sgpr_dispatch_id 0
		.amdhsa_user_sgpr_kernarg_preload_length 0
		.amdhsa_user_sgpr_kernarg_preload_offset 0
		.amdhsa_user_sgpr_private_segment_size 0
		.amdhsa_uses_dynamic_stack 0
		.amdhsa_enable_private_segment 0
		.amdhsa_system_sgpr_workgroup_id_x 1
		.amdhsa_system_sgpr_workgroup_id_y 0
		.amdhsa_system_sgpr_workgroup_id_z 0
		.amdhsa_system_sgpr_workgroup_info 0
		.amdhsa_system_vgpr_workitem_id 0
		.amdhsa_next_free_vgpr 1
		.amdhsa_next_free_sgpr 0
		.amdhsa_accum_offset 4
		.amdhsa_reserve_vcc 0
		.amdhsa_float_round_mode_32 0
		.amdhsa_float_round_mode_16_64 0
		.amdhsa_float_denorm_mode_32 3
		.amdhsa_float_denorm_mode_16_64 3
		.amdhsa_dx10_clamp 1
		.amdhsa_ieee_mode 1
		.amdhsa_fp16_overflow 0
		.amdhsa_tg_split 0
		.amdhsa_exception_fp_ieee_invalid_op 0
		.amdhsa_exception_fp_denorm_src 0
		.amdhsa_exception_fp_ieee_div_zero 0
		.amdhsa_exception_fp_ieee_overflow 0
		.amdhsa_exception_fp_ieee_underflow 0
		.amdhsa_exception_fp_ieee_inexact 0
		.amdhsa_exception_int_div_zero 0
	.end_amdhsa_kernel
	.section	.text._ZN7rocprim17ROCPRIM_400000_NS6detail17trampoline_kernelINS0_14default_configENS1_25partition_config_selectorILNS1_17partition_subalgoE9EllbEEZZNS1_14partition_implILS5_9ELb0ES3_jPlS8_PNS0_10empty_typeENS0_5tupleIJS8_S9_EEENSB_IJS8_SA_EEENS0_18inequality_wrapperIZN2at6native12_GLOBAL__N_124unique_dim_cuda_templateIdEESt5tupleIJNSF_6TensorESK_SK_EERKSK_lbbbEUlllE0_EEPmJS9_EEE10hipError_tPvRmT3_T4_T5_T6_T7_T9_mT8_P12ihipStream_tbDpT10_ENKUlT_T0_E_clISt17integral_constantIbLb0EES1A_EEDaS15_S16_EUlS15_E_NS1_11comp_targetILNS1_3genE5ELNS1_11target_archE942ELNS1_3gpuE9ELNS1_3repE0EEENS1_30default_config_static_selectorELNS0_4arch9wavefront6targetE1EEEvT1_,"axG",@progbits,_ZN7rocprim17ROCPRIM_400000_NS6detail17trampoline_kernelINS0_14default_configENS1_25partition_config_selectorILNS1_17partition_subalgoE9EllbEEZZNS1_14partition_implILS5_9ELb0ES3_jPlS8_PNS0_10empty_typeENS0_5tupleIJS8_S9_EEENSB_IJS8_SA_EEENS0_18inequality_wrapperIZN2at6native12_GLOBAL__N_124unique_dim_cuda_templateIdEESt5tupleIJNSF_6TensorESK_SK_EERKSK_lbbbEUlllE0_EEPmJS9_EEE10hipError_tPvRmT3_T4_T5_T6_T7_T9_mT8_P12ihipStream_tbDpT10_ENKUlT_T0_E_clISt17integral_constantIbLb0EES1A_EEDaS15_S16_EUlS15_E_NS1_11comp_targetILNS1_3genE5ELNS1_11target_archE942ELNS1_3gpuE9ELNS1_3repE0EEENS1_30default_config_static_selectorELNS0_4arch9wavefront6targetE1EEEvT1_,comdat
.Lfunc_end840:
	.size	_ZN7rocprim17ROCPRIM_400000_NS6detail17trampoline_kernelINS0_14default_configENS1_25partition_config_selectorILNS1_17partition_subalgoE9EllbEEZZNS1_14partition_implILS5_9ELb0ES3_jPlS8_PNS0_10empty_typeENS0_5tupleIJS8_S9_EEENSB_IJS8_SA_EEENS0_18inequality_wrapperIZN2at6native12_GLOBAL__N_124unique_dim_cuda_templateIdEESt5tupleIJNSF_6TensorESK_SK_EERKSK_lbbbEUlllE0_EEPmJS9_EEE10hipError_tPvRmT3_T4_T5_T6_T7_T9_mT8_P12ihipStream_tbDpT10_ENKUlT_T0_E_clISt17integral_constantIbLb0EES1A_EEDaS15_S16_EUlS15_E_NS1_11comp_targetILNS1_3genE5ELNS1_11target_archE942ELNS1_3gpuE9ELNS1_3repE0EEENS1_30default_config_static_selectorELNS0_4arch9wavefront6targetE1EEEvT1_, .Lfunc_end840-_ZN7rocprim17ROCPRIM_400000_NS6detail17trampoline_kernelINS0_14default_configENS1_25partition_config_selectorILNS1_17partition_subalgoE9EllbEEZZNS1_14partition_implILS5_9ELb0ES3_jPlS8_PNS0_10empty_typeENS0_5tupleIJS8_S9_EEENSB_IJS8_SA_EEENS0_18inequality_wrapperIZN2at6native12_GLOBAL__N_124unique_dim_cuda_templateIdEESt5tupleIJNSF_6TensorESK_SK_EERKSK_lbbbEUlllE0_EEPmJS9_EEE10hipError_tPvRmT3_T4_T5_T6_T7_T9_mT8_P12ihipStream_tbDpT10_ENKUlT_T0_E_clISt17integral_constantIbLb0EES1A_EEDaS15_S16_EUlS15_E_NS1_11comp_targetILNS1_3genE5ELNS1_11target_archE942ELNS1_3gpuE9ELNS1_3repE0EEENS1_30default_config_static_selectorELNS0_4arch9wavefront6targetE1EEEvT1_
                                        ; -- End function
	.set _ZN7rocprim17ROCPRIM_400000_NS6detail17trampoline_kernelINS0_14default_configENS1_25partition_config_selectorILNS1_17partition_subalgoE9EllbEEZZNS1_14partition_implILS5_9ELb0ES3_jPlS8_PNS0_10empty_typeENS0_5tupleIJS8_S9_EEENSB_IJS8_SA_EEENS0_18inequality_wrapperIZN2at6native12_GLOBAL__N_124unique_dim_cuda_templateIdEESt5tupleIJNSF_6TensorESK_SK_EERKSK_lbbbEUlllE0_EEPmJS9_EEE10hipError_tPvRmT3_T4_T5_T6_T7_T9_mT8_P12ihipStream_tbDpT10_ENKUlT_T0_E_clISt17integral_constantIbLb0EES1A_EEDaS15_S16_EUlS15_E_NS1_11comp_targetILNS1_3genE5ELNS1_11target_archE942ELNS1_3gpuE9ELNS1_3repE0EEENS1_30default_config_static_selectorELNS0_4arch9wavefront6targetE1EEEvT1_.num_vgpr, 0
	.set _ZN7rocprim17ROCPRIM_400000_NS6detail17trampoline_kernelINS0_14default_configENS1_25partition_config_selectorILNS1_17partition_subalgoE9EllbEEZZNS1_14partition_implILS5_9ELb0ES3_jPlS8_PNS0_10empty_typeENS0_5tupleIJS8_S9_EEENSB_IJS8_SA_EEENS0_18inequality_wrapperIZN2at6native12_GLOBAL__N_124unique_dim_cuda_templateIdEESt5tupleIJNSF_6TensorESK_SK_EERKSK_lbbbEUlllE0_EEPmJS9_EEE10hipError_tPvRmT3_T4_T5_T6_T7_T9_mT8_P12ihipStream_tbDpT10_ENKUlT_T0_E_clISt17integral_constantIbLb0EES1A_EEDaS15_S16_EUlS15_E_NS1_11comp_targetILNS1_3genE5ELNS1_11target_archE942ELNS1_3gpuE9ELNS1_3repE0EEENS1_30default_config_static_selectorELNS0_4arch9wavefront6targetE1EEEvT1_.num_agpr, 0
	.set _ZN7rocprim17ROCPRIM_400000_NS6detail17trampoline_kernelINS0_14default_configENS1_25partition_config_selectorILNS1_17partition_subalgoE9EllbEEZZNS1_14partition_implILS5_9ELb0ES3_jPlS8_PNS0_10empty_typeENS0_5tupleIJS8_S9_EEENSB_IJS8_SA_EEENS0_18inequality_wrapperIZN2at6native12_GLOBAL__N_124unique_dim_cuda_templateIdEESt5tupleIJNSF_6TensorESK_SK_EERKSK_lbbbEUlllE0_EEPmJS9_EEE10hipError_tPvRmT3_T4_T5_T6_T7_T9_mT8_P12ihipStream_tbDpT10_ENKUlT_T0_E_clISt17integral_constantIbLb0EES1A_EEDaS15_S16_EUlS15_E_NS1_11comp_targetILNS1_3genE5ELNS1_11target_archE942ELNS1_3gpuE9ELNS1_3repE0EEENS1_30default_config_static_selectorELNS0_4arch9wavefront6targetE1EEEvT1_.numbered_sgpr, 0
	.set _ZN7rocprim17ROCPRIM_400000_NS6detail17trampoline_kernelINS0_14default_configENS1_25partition_config_selectorILNS1_17partition_subalgoE9EllbEEZZNS1_14partition_implILS5_9ELb0ES3_jPlS8_PNS0_10empty_typeENS0_5tupleIJS8_S9_EEENSB_IJS8_SA_EEENS0_18inequality_wrapperIZN2at6native12_GLOBAL__N_124unique_dim_cuda_templateIdEESt5tupleIJNSF_6TensorESK_SK_EERKSK_lbbbEUlllE0_EEPmJS9_EEE10hipError_tPvRmT3_T4_T5_T6_T7_T9_mT8_P12ihipStream_tbDpT10_ENKUlT_T0_E_clISt17integral_constantIbLb0EES1A_EEDaS15_S16_EUlS15_E_NS1_11comp_targetILNS1_3genE5ELNS1_11target_archE942ELNS1_3gpuE9ELNS1_3repE0EEENS1_30default_config_static_selectorELNS0_4arch9wavefront6targetE1EEEvT1_.num_named_barrier, 0
	.set _ZN7rocprim17ROCPRIM_400000_NS6detail17trampoline_kernelINS0_14default_configENS1_25partition_config_selectorILNS1_17partition_subalgoE9EllbEEZZNS1_14partition_implILS5_9ELb0ES3_jPlS8_PNS0_10empty_typeENS0_5tupleIJS8_S9_EEENSB_IJS8_SA_EEENS0_18inequality_wrapperIZN2at6native12_GLOBAL__N_124unique_dim_cuda_templateIdEESt5tupleIJNSF_6TensorESK_SK_EERKSK_lbbbEUlllE0_EEPmJS9_EEE10hipError_tPvRmT3_T4_T5_T6_T7_T9_mT8_P12ihipStream_tbDpT10_ENKUlT_T0_E_clISt17integral_constantIbLb0EES1A_EEDaS15_S16_EUlS15_E_NS1_11comp_targetILNS1_3genE5ELNS1_11target_archE942ELNS1_3gpuE9ELNS1_3repE0EEENS1_30default_config_static_selectorELNS0_4arch9wavefront6targetE1EEEvT1_.private_seg_size, 0
	.set _ZN7rocprim17ROCPRIM_400000_NS6detail17trampoline_kernelINS0_14default_configENS1_25partition_config_selectorILNS1_17partition_subalgoE9EllbEEZZNS1_14partition_implILS5_9ELb0ES3_jPlS8_PNS0_10empty_typeENS0_5tupleIJS8_S9_EEENSB_IJS8_SA_EEENS0_18inequality_wrapperIZN2at6native12_GLOBAL__N_124unique_dim_cuda_templateIdEESt5tupleIJNSF_6TensorESK_SK_EERKSK_lbbbEUlllE0_EEPmJS9_EEE10hipError_tPvRmT3_T4_T5_T6_T7_T9_mT8_P12ihipStream_tbDpT10_ENKUlT_T0_E_clISt17integral_constantIbLb0EES1A_EEDaS15_S16_EUlS15_E_NS1_11comp_targetILNS1_3genE5ELNS1_11target_archE942ELNS1_3gpuE9ELNS1_3repE0EEENS1_30default_config_static_selectorELNS0_4arch9wavefront6targetE1EEEvT1_.uses_vcc, 0
	.set _ZN7rocprim17ROCPRIM_400000_NS6detail17trampoline_kernelINS0_14default_configENS1_25partition_config_selectorILNS1_17partition_subalgoE9EllbEEZZNS1_14partition_implILS5_9ELb0ES3_jPlS8_PNS0_10empty_typeENS0_5tupleIJS8_S9_EEENSB_IJS8_SA_EEENS0_18inequality_wrapperIZN2at6native12_GLOBAL__N_124unique_dim_cuda_templateIdEESt5tupleIJNSF_6TensorESK_SK_EERKSK_lbbbEUlllE0_EEPmJS9_EEE10hipError_tPvRmT3_T4_T5_T6_T7_T9_mT8_P12ihipStream_tbDpT10_ENKUlT_T0_E_clISt17integral_constantIbLb0EES1A_EEDaS15_S16_EUlS15_E_NS1_11comp_targetILNS1_3genE5ELNS1_11target_archE942ELNS1_3gpuE9ELNS1_3repE0EEENS1_30default_config_static_selectorELNS0_4arch9wavefront6targetE1EEEvT1_.uses_flat_scratch, 0
	.set _ZN7rocprim17ROCPRIM_400000_NS6detail17trampoline_kernelINS0_14default_configENS1_25partition_config_selectorILNS1_17partition_subalgoE9EllbEEZZNS1_14partition_implILS5_9ELb0ES3_jPlS8_PNS0_10empty_typeENS0_5tupleIJS8_S9_EEENSB_IJS8_SA_EEENS0_18inequality_wrapperIZN2at6native12_GLOBAL__N_124unique_dim_cuda_templateIdEESt5tupleIJNSF_6TensorESK_SK_EERKSK_lbbbEUlllE0_EEPmJS9_EEE10hipError_tPvRmT3_T4_T5_T6_T7_T9_mT8_P12ihipStream_tbDpT10_ENKUlT_T0_E_clISt17integral_constantIbLb0EES1A_EEDaS15_S16_EUlS15_E_NS1_11comp_targetILNS1_3genE5ELNS1_11target_archE942ELNS1_3gpuE9ELNS1_3repE0EEENS1_30default_config_static_selectorELNS0_4arch9wavefront6targetE1EEEvT1_.has_dyn_sized_stack, 0
	.set _ZN7rocprim17ROCPRIM_400000_NS6detail17trampoline_kernelINS0_14default_configENS1_25partition_config_selectorILNS1_17partition_subalgoE9EllbEEZZNS1_14partition_implILS5_9ELb0ES3_jPlS8_PNS0_10empty_typeENS0_5tupleIJS8_S9_EEENSB_IJS8_SA_EEENS0_18inequality_wrapperIZN2at6native12_GLOBAL__N_124unique_dim_cuda_templateIdEESt5tupleIJNSF_6TensorESK_SK_EERKSK_lbbbEUlllE0_EEPmJS9_EEE10hipError_tPvRmT3_T4_T5_T6_T7_T9_mT8_P12ihipStream_tbDpT10_ENKUlT_T0_E_clISt17integral_constantIbLb0EES1A_EEDaS15_S16_EUlS15_E_NS1_11comp_targetILNS1_3genE5ELNS1_11target_archE942ELNS1_3gpuE9ELNS1_3repE0EEENS1_30default_config_static_selectorELNS0_4arch9wavefront6targetE1EEEvT1_.has_recursion, 0
	.set _ZN7rocprim17ROCPRIM_400000_NS6detail17trampoline_kernelINS0_14default_configENS1_25partition_config_selectorILNS1_17partition_subalgoE9EllbEEZZNS1_14partition_implILS5_9ELb0ES3_jPlS8_PNS0_10empty_typeENS0_5tupleIJS8_S9_EEENSB_IJS8_SA_EEENS0_18inequality_wrapperIZN2at6native12_GLOBAL__N_124unique_dim_cuda_templateIdEESt5tupleIJNSF_6TensorESK_SK_EERKSK_lbbbEUlllE0_EEPmJS9_EEE10hipError_tPvRmT3_T4_T5_T6_T7_T9_mT8_P12ihipStream_tbDpT10_ENKUlT_T0_E_clISt17integral_constantIbLb0EES1A_EEDaS15_S16_EUlS15_E_NS1_11comp_targetILNS1_3genE5ELNS1_11target_archE942ELNS1_3gpuE9ELNS1_3repE0EEENS1_30default_config_static_selectorELNS0_4arch9wavefront6targetE1EEEvT1_.has_indirect_call, 0
	.section	.AMDGPU.csdata,"",@progbits
; Kernel info:
; codeLenInByte = 0
; TotalNumSgprs: 6
; NumVgprs: 0
; NumAgprs: 0
; TotalNumVgprs: 0
; ScratchSize: 0
; MemoryBound: 0
; FloatMode: 240
; IeeeMode: 1
; LDSByteSize: 0 bytes/workgroup (compile time only)
; SGPRBlocks: 0
; VGPRBlocks: 0
; NumSGPRsForWavesPerEU: 6
; NumVGPRsForWavesPerEU: 1
; AccumOffset: 4
; Occupancy: 8
; WaveLimiterHint : 0
; COMPUTE_PGM_RSRC2:SCRATCH_EN: 0
; COMPUTE_PGM_RSRC2:USER_SGPR: 2
; COMPUTE_PGM_RSRC2:TRAP_HANDLER: 0
; COMPUTE_PGM_RSRC2:TGID_X_EN: 1
; COMPUTE_PGM_RSRC2:TGID_Y_EN: 0
; COMPUTE_PGM_RSRC2:TGID_Z_EN: 0
; COMPUTE_PGM_RSRC2:TIDIG_COMP_CNT: 0
; COMPUTE_PGM_RSRC3_GFX90A:ACCUM_OFFSET: 0
; COMPUTE_PGM_RSRC3_GFX90A:TG_SPLIT: 0
	.section	.text._ZN7rocprim17ROCPRIM_400000_NS6detail17trampoline_kernelINS0_14default_configENS1_25partition_config_selectorILNS1_17partition_subalgoE9EllbEEZZNS1_14partition_implILS5_9ELb0ES3_jPlS8_PNS0_10empty_typeENS0_5tupleIJS8_S9_EEENSB_IJS8_SA_EEENS0_18inequality_wrapperIZN2at6native12_GLOBAL__N_124unique_dim_cuda_templateIdEESt5tupleIJNSF_6TensorESK_SK_EERKSK_lbbbEUlllE0_EEPmJS9_EEE10hipError_tPvRmT3_T4_T5_T6_T7_T9_mT8_P12ihipStream_tbDpT10_ENKUlT_T0_E_clISt17integral_constantIbLb0EES1A_EEDaS15_S16_EUlS15_E_NS1_11comp_targetILNS1_3genE4ELNS1_11target_archE910ELNS1_3gpuE8ELNS1_3repE0EEENS1_30default_config_static_selectorELNS0_4arch9wavefront6targetE1EEEvT1_,"axG",@progbits,_ZN7rocprim17ROCPRIM_400000_NS6detail17trampoline_kernelINS0_14default_configENS1_25partition_config_selectorILNS1_17partition_subalgoE9EllbEEZZNS1_14partition_implILS5_9ELb0ES3_jPlS8_PNS0_10empty_typeENS0_5tupleIJS8_S9_EEENSB_IJS8_SA_EEENS0_18inequality_wrapperIZN2at6native12_GLOBAL__N_124unique_dim_cuda_templateIdEESt5tupleIJNSF_6TensorESK_SK_EERKSK_lbbbEUlllE0_EEPmJS9_EEE10hipError_tPvRmT3_T4_T5_T6_T7_T9_mT8_P12ihipStream_tbDpT10_ENKUlT_T0_E_clISt17integral_constantIbLb0EES1A_EEDaS15_S16_EUlS15_E_NS1_11comp_targetILNS1_3genE4ELNS1_11target_archE910ELNS1_3gpuE8ELNS1_3repE0EEENS1_30default_config_static_selectorELNS0_4arch9wavefront6targetE1EEEvT1_,comdat
	.globl	_ZN7rocprim17ROCPRIM_400000_NS6detail17trampoline_kernelINS0_14default_configENS1_25partition_config_selectorILNS1_17partition_subalgoE9EllbEEZZNS1_14partition_implILS5_9ELb0ES3_jPlS8_PNS0_10empty_typeENS0_5tupleIJS8_S9_EEENSB_IJS8_SA_EEENS0_18inequality_wrapperIZN2at6native12_GLOBAL__N_124unique_dim_cuda_templateIdEESt5tupleIJNSF_6TensorESK_SK_EERKSK_lbbbEUlllE0_EEPmJS9_EEE10hipError_tPvRmT3_T4_T5_T6_T7_T9_mT8_P12ihipStream_tbDpT10_ENKUlT_T0_E_clISt17integral_constantIbLb0EES1A_EEDaS15_S16_EUlS15_E_NS1_11comp_targetILNS1_3genE4ELNS1_11target_archE910ELNS1_3gpuE8ELNS1_3repE0EEENS1_30default_config_static_selectorELNS0_4arch9wavefront6targetE1EEEvT1_ ; -- Begin function _ZN7rocprim17ROCPRIM_400000_NS6detail17trampoline_kernelINS0_14default_configENS1_25partition_config_selectorILNS1_17partition_subalgoE9EllbEEZZNS1_14partition_implILS5_9ELb0ES3_jPlS8_PNS0_10empty_typeENS0_5tupleIJS8_S9_EEENSB_IJS8_SA_EEENS0_18inequality_wrapperIZN2at6native12_GLOBAL__N_124unique_dim_cuda_templateIdEESt5tupleIJNSF_6TensorESK_SK_EERKSK_lbbbEUlllE0_EEPmJS9_EEE10hipError_tPvRmT3_T4_T5_T6_T7_T9_mT8_P12ihipStream_tbDpT10_ENKUlT_T0_E_clISt17integral_constantIbLb0EES1A_EEDaS15_S16_EUlS15_E_NS1_11comp_targetILNS1_3genE4ELNS1_11target_archE910ELNS1_3gpuE8ELNS1_3repE0EEENS1_30default_config_static_selectorELNS0_4arch9wavefront6targetE1EEEvT1_
	.p2align	8
	.type	_ZN7rocprim17ROCPRIM_400000_NS6detail17trampoline_kernelINS0_14default_configENS1_25partition_config_selectorILNS1_17partition_subalgoE9EllbEEZZNS1_14partition_implILS5_9ELb0ES3_jPlS8_PNS0_10empty_typeENS0_5tupleIJS8_S9_EEENSB_IJS8_SA_EEENS0_18inequality_wrapperIZN2at6native12_GLOBAL__N_124unique_dim_cuda_templateIdEESt5tupleIJNSF_6TensorESK_SK_EERKSK_lbbbEUlllE0_EEPmJS9_EEE10hipError_tPvRmT3_T4_T5_T6_T7_T9_mT8_P12ihipStream_tbDpT10_ENKUlT_T0_E_clISt17integral_constantIbLb0EES1A_EEDaS15_S16_EUlS15_E_NS1_11comp_targetILNS1_3genE4ELNS1_11target_archE910ELNS1_3gpuE8ELNS1_3repE0EEENS1_30default_config_static_selectorELNS0_4arch9wavefront6targetE1EEEvT1_,@function
_ZN7rocprim17ROCPRIM_400000_NS6detail17trampoline_kernelINS0_14default_configENS1_25partition_config_selectorILNS1_17partition_subalgoE9EllbEEZZNS1_14partition_implILS5_9ELb0ES3_jPlS8_PNS0_10empty_typeENS0_5tupleIJS8_S9_EEENSB_IJS8_SA_EEENS0_18inequality_wrapperIZN2at6native12_GLOBAL__N_124unique_dim_cuda_templateIdEESt5tupleIJNSF_6TensorESK_SK_EERKSK_lbbbEUlllE0_EEPmJS9_EEE10hipError_tPvRmT3_T4_T5_T6_T7_T9_mT8_P12ihipStream_tbDpT10_ENKUlT_T0_E_clISt17integral_constantIbLb0EES1A_EEDaS15_S16_EUlS15_E_NS1_11comp_targetILNS1_3genE4ELNS1_11target_archE910ELNS1_3gpuE8ELNS1_3repE0EEENS1_30default_config_static_selectorELNS0_4arch9wavefront6targetE1EEEvT1_: ; @_ZN7rocprim17ROCPRIM_400000_NS6detail17trampoline_kernelINS0_14default_configENS1_25partition_config_selectorILNS1_17partition_subalgoE9EllbEEZZNS1_14partition_implILS5_9ELb0ES3_jPlS8_PNS0_10empty_typeENS0_5tupleIJS8_S9_EEENSB_IJS8_SA_EEENS0_18inequality_wrapperIZN2at6native12_GLOBAL__N_124unique_dim_cuda_templateIdEESt5tupleIJNSF_6TensorESK_SK_EERKSK_lbbbEUlllE0_EEPmJS9_EEE10hipError_tPvRmT3_T4_T5_T6_T7_T9_mT8_P12ihipStream_tbDpT10_ENKUlT_T0_E_clISt17integral_constantIbLb0EES1A_EEDaS15_S16_EUlS15_E_NS1_11comp_targetILNS1_3genE4ELNS1_11target_archE910ELNS1_3gpuE8ELNS1_3repE0EEENS1_30default_config_static_selectorELNS0_4arch9wavefront6targetE1EEEvT1_
; %bb.0:
	.section	.rodata,"a",@progbits
	.p2align	6, 0x0
	.amdhsa_kernel _ZN7rocprim17ROCPRIM_400000_NS6detail17trampoline_kernelINS0_14default_configENS1_25partition_config_selectorILNS1_17partition_subalgoE9EllbEEZZNS1_14partition_implILS5_9ELb0ES3_jPlS8_PNS0_10empty_typeENS0_5tupleIJS8_S9_EEENSB_IJS8_SA_EEENS0_18inequality_wrapperIZN2at6native12_GLOBAL__N_124unique_dim_cuda_templateIdEESt5tupleIJNSF_6TensorESK_SK_EERKSK_lbbbEUlllE0_EEPmJS9_EEE10hipError_tPvRmT3_T4_T5_T6_T7_T9_mT8_P12ihipStream_tbDpT10_ENKUlT_T0_E_clISt17integral_constantIbLb0EES1A_EEDaS15_S16_EUlS15_E_NS1_11comp_targetILNS1_3genE4ELNS1_11target_archE910ELNS1_3gpuE8ELNS1_3repE0EEENS1_30default_config_static_selectorELNS0_4arch9wavefront6targetE1EEEvT1_
		.amdhsa_group_segment_fixed_size 0
		.amdhsa_private_segment_fixed_size 0
		.amdhsa_kernarg_size 120
		.amdhsa_user_sgpr_count 2
		.amdhsa_user_sgpr_dispatch_ptr 0
		.amdhsa_user_sgpr_queue_ptr 0
		.amdhsa_user_sgpr_kernarg_segment_ptr 1
		.amdhsa_user_sgpr_dispatch_id 0
		.amdhsa_user_sgpr_kernarg_preload_length 0
		.amdhsa_user_sgpr_kernarg_preload_offset 0
		.amdhsa_user_sgpr_private_segment_size 0
		.amdhsa_uses_dynamic_stack 0
		.amdhsa_enable_private_segment 0
		.amdhsa_system_sgpr_workgroup_id_x 1
		.amdhsa_system_sgpr_workgroup_id_y 0
		.amdhsa_system_sgpr_workgroup_id_z 0
		.amdhsa_system_sgpr_workgroup_info 0
		.amdhsa_system_vgpr_workitem_id 0
		.amdhsa_next_free_vgpr 1
		.amdhsa_next_free_sgpr 0
		.amdhsa_accum_offset 4
		.amdhsa_reserve_vcc 0
		.amdhsa_float_round_mode_32 0
		.amdhsa_float_round_mode_16_64 0
		.amdhsa_float_denorm_mode_32 3
		.amdhsa_float_denorm_mode_16_64 3
		.amdhsa_dx10_clamp 1
		.amdhsa_ieee_mode 1
		.amdhsa_fp16_overflow 0
		.amdhsa_tg_split 0
		.amdhsa_exception_fp_ieee_invalid_op 0
		.amdhsa_exception_fp_denorm_src 0
		.amdhsa_exception_fp_ieee_div_zero 0
		.amdhsa_exception_fp_ieee_overflow 0
		.amdhsa_exception_fp_ieee_underflow 0
		.amdhsa_exception_fp_ieee_inexact 0
		.amdhsa_exception_int_div_zero 0
	.end_amdhsa_kernel
	.section	.text._ZN7rocprim17ROCPRIM_400000_NS6detail17trampoline_kernelINS0_14default_configENS1_25partition_config_selectorILNS1_17partition_subalgoE9EllbEEZZNS1_14partition_implILS5_9ELb0ES3_jPlS8_PNS0_10empty_typeENS0_5tupleIJS8_S9_EEENSB_IJS8_SA_EEENS0_18inequality_wrapperIZN2at6native12_GLOBAL__N_124unique_dim_cuda_templateIdEESt5tupleIJNSF_6TensorESK_SK_EERKSK_lbbbEUlllE0_EEPmJS9_EEE10hipError_tPvRmT3_T4_T5_T6_T7_T9_mT8_P12ihipStream_tbDpT10_ENKUlT_T0_E_clISt17integral_constantIbLb0EES1A_EEDaS15_S16_EUlS15_E_NS1_11comp_targetILNS1_3genE4ELNS1_11target_archE910ELNS1_3gpuE8ELNS1_3repE0EEENS1_30default_config_static_selectorELNS0_4arch9wavefront6targetE1EEEvT1_,"axG",@progbits,_ZN7rocprim17ROCPRIM_400000_NS6detail17trampoline_kernelINS0_14default_configENS1_25partition_config_selectorILNS1_17partition_subalgoE9EllbEEZZNS1_14partition_implILS5_9ELb0ES3_jPlS8_PNS0_10empty_typeENS0_5tupleIJS8_S9_EEENSB_IJS8_SA_EEENS0_18inequality_wrapperIZN2at6native12_GLOBAL__N_124unique_dim_cuda_templateIdEESt5tupleIJNSF_6TensorESK_SK_EERKSK_lbbbEUlllE0_EEPmJS9_EEE10hipError_tPvRmT3_T4_T5_T6_T7_T9_mT8_P12ihipStream_tbDpT10_ENKUlT_T0_E_clISt17integral_constantIbLb0EES1A_EEDaS15_S16_EUlS15_E_NS1_11comp_targetILNS1_3genE4ELNS1_11target_archE910ELNS1_3gpuE8ELNS1_3repE0EEENS1_30default_config_static_selectorELNS0_4arch9wavefront6targetE1EEEvT1_,comdat
.Lfunc_end841:
	.size	_ZN7rocprim17ROCPRIM_400000_NS6detail17trampoline_kernelINS0_14default_configENS1_25partition_config_selectorILNS1_17partition_subalgoE9EllbEEZZNS1_14partition_implILS5_9ELb0ES3_jPlS8_PNS0_10empty_typeENS0_5tupleIJS8_S9_EEENSB_IJS8_SA_EEENS0_18inequality_wrapperIZN2at6native12_GLOBAL__N_124unique_dim_cuda_templateIdEESt5tupleIJNSF_6TensorESK_SK_EERKSK_lbbbEUlllE0_EEPmJS9_EEE10hipError_tPvRmT3_T4_T5_T6_T7_T9_mT8_P12ihipStream_tbDpT10_ENKUlT_T0_E_clISt17integral_constantIbLb0EES1A_EEDaS15_S16_EUlS15_E_NS1_11comp_targetILNS1_3genE4ELNS1_11target_archE910ELNS1_3gpuE8ELNS1_3repE0EEENS1_30default_config_static_selectorELNS0_4arch9wavefront6targetE1EEEvT1_, .Lfunc_end841-_ZN7rocprim17ROCPRIM_400000_NS6detail17trampoline_kernelINS0_14default_configENS1_25partition_config_selectorILNS1_17partition_subalgoE9EllbEEZZNS1_14partition_implILS5_9ELb0ES3_jPlS8_PNS0_10empty_typeENS0_5tupleIJS8_S9_EEENSB_IJS8_SA_EEENS0_18inequality_wrapperIZN2at6native12_GLOBAL__N_124unique_dim_cuda_templateIdEESt5tupleIJNSF_6TensorESK_SK_EERKSK_lbbbEUlllE0_EEPmJS9_EEE10hipError_tPvRmT3_T4_T5_T6_T7_T9_mT8_P12ihipStream_tbDpT10_ENKUlT_T0_E_clISt17integral_constantIbLb0EES1A_EEDaS15_S16_EUlS15_E_NS1_11comp_targetILNS1_3genE4ELNS1_11target_archE910ELNS1_3gpuE8ELNS1_3repE0EEENS1_30default_config_static_selectorELNS0_4arch9wavefront6targetE1EEEvT1_
                                        ; -- End function
	.set _ZN7rocprim17ROCPRIM_400000_NS6detail17trampoline_kernelINS0_14default_configENS1_25partition_config_selectorILNS1_17partition_subalgoE9EllbEEZZNS1_14partition_implILS5_9ELb0ES3_jPlS8_PNS0_10empty_typeENS0_5tupleIJS8_S9_EEENSB_IJS8_SA_EEENS0_18inequality_wrapperIZN2at6native12_GLOBAL__N_124unique_dim_cuda_templateIdEESt5tupleIJNSF_6TensorESK_SK_EERKSK_lbbbEUlllE0_EEPmJS9_EEE10hipError_tPvRmT3_T4_T5_T6_T7_T9_mT8_P12ihipStream_tbDpT10_ENKUlT_T0_E_clISt17integral_constantIbLb0EES1A_EEDaS15_S16_EUlS15_E_NS1_11comp_targetILNS1_3genE4ELNS1_11target_archE910ELNS1_3gpuE8ELNS1_3repE0EEENS1_30default_config_static_selectorELNS0_4arch9wavefront6targetE1EEEvT1_.num_vgpr, 0
	.set _ZN7rocprim17ROCPRIM_400000_NS6detail17trampoline_kernelINS0_14default_configENS1_25partition_config_selectorILNS1_17partition_subalgoE9EllbEEZZNS1_14partition_implILS5_9ELb0ES3_jPlS8_PNS0_10empty_typeENS0_5tupleIJS8_S9_EEENSB_IJS8_SA_EEENS0_18inequality_wrapperIZN2at6native12_GLOBAL__N_124unique_dim_cuda_templateIdEESt5tupleIJNSF_6TensorESK_SK_EERKSK_lbbbEUlllE0_EEPmJS9_EEE10hipError_tPvRmT3_T4_T5_T6_T7_T9_mT8_P12ihipStream_tbDpT10_ENKUlT_T0_E_clISt17integral_constantIbLb0EES1A_EEDaS15_S16_EUlS15_E_NS1_11comp_targetILNS1_3genE4ELNS1_11target_archE910ELNS1_3gpuE8ELNS1_3repE0EEENS1_30default_config_static_selectorELNS0_4arch9wavefront6targetE1EEEvT1_.num_agpr, 0
	.set _ZN7rocprim17ROCPRIM_400000_NS6detail17trampoline_kernelINS0_14default_configENS1_25partition_config_selectorILNS1_17partition_subalgoE9EllbEEZZNS1_14partition_implILS5_9ELb0ES3_jPlS8_PNS0_10empty_typeENS0_5tupleIJS8_S9_EEENSB_IJS8_SA_EEENS0_18inequality_wrapperIZN2at6native12_GLOBAL__N_124unique_dim_cuda_templateIdEESt5tupleIJNSF_6TensorESK_SK_EERKSK_lbbbEUlllE0_EEPmJS9_EEE10hipError_tPvRmT3_T4_T5_T6_T7_T9_mT8_P12ihipStream_tbDpT10_ENKUlT_T0_E_clISt17integral_constantIbLb0EES1A_EEDaS15_S16_EUlS15_E_NS1_11comp_targetILNS1_3genE4ELNS1_11target_archE910ELNS1_3gpuE8ELNS1_3repE0EEENS1_30default_config_static_selectorELNS0_4arch9wavefront6targetE1EEEvT1_.numbered_sgpr, 0
	.set _ZN7rocprim17ROCPRIM_400000_NS6detail17trampoline_kernelINS0_14default_configENS1_25partition_config_selectorILNS1_17partition_subalgoE9EllbEEZZNS1_14partition_implILS5_9ELb0ES3_jPlS8_PNS0_10empty_typeENS0_5tupleIJS8_S9_EEENSB_IJS8_SA_EEENS0_18inequality_wrapperIZN2at6native12_GLOBAL__N_124unique_dim_cuda_templateIdEESt5tupleIJNSF_6TensorESK_SK_EERKSK_lbbbEUlllE0_EEPmJS9_EEE10hipError_tPvRmT3_T4_T5_T6_T7_T9_mT8_P12ihipStream_tbDpT10_ENKUlT_T0_E_clISt17integral_constantIbLb0EES1A_EEDaS15_S16_EUlS15_E_NS1_11comp_targetILNS1_3genE4ELNS1_11target_archE910ELNS1_3gpuE8ELNS1_3repE0EEENS1_30default_config_static_selectorELNS0_4arch9wavefront6targetE1EEEvT1_.num_named_barrier, 0
	.set _ZN7rocprim17ROCPRIM_400000_NS6detail17trampoline_kernelINS0_14default_configENS1_25partition_config_selectorILNS1_17partition_subalgoE9EllbEEZZNS1_14partition_implILS5_9ELb0ES3_jPlS8_PNS0_10empty_typeENS0_5tupleIJS8_S9_EEENSB_IJS8_SA_EEENS0_18inequality_wrapperIZN2at6native12_GLOBAL__N_124unique_dim_cuda_templateIdEESt5tupleIJNSF_6TensorESK_SK_EERKSK_lbbbEUlllE0_EEPmJS9_EEE10hipError_tPvRmT3_T4_T5_T6_T7_T9_mT8_P12ihipStream_tbDpT10_ENKUlT_T0_E_clISt17integral_constantIbLb0EES1A_EEDaS15_S16_EUlS15_E_NS1_11comp_targetILNS1_3genE4ELNS1_11target_archE910ELNS1_3gpuE8ELNS1_3repE0EEENS1_30default_config_static_selectorELNS0_4arch9wavefront6targetE1EEEvT1_.private_seg_size, 0
	.set _ZN7rocprim17ROCPRIM_400000_NS6detail17trampoline_kernelINS0_14default_configENS1_25partition_config_selectorILNS1_17partition_subalgoE9EllbEEZZNS1_14partition_implILS5_9ELb0ES3_jPlS8_PNS0_10empty_typeENS0_5tupleIJS8_S9_EEENSB_IJS8_SA_EEENS0_18inequality_wrapperIZN2at6native12_GLOBAL__N_124unique_dim_cuda_templateIdEESt5tupleIJNSF_6TensorESK_SK_EERKSK_lbbbEUlllE0_EEPmJS9_EEE10hipError_tPvRmT3_T4_T5_T6_T7_T9_mT8_P12ihipStream_tbDpT10_ENKUlT_T0_E_clISt17integral_constantIbLb0EES1A_EEDaS15_S16_EUlS15_E_NS1_11comp_targetILNS1_3genE4ELNS1_11target_archE910ELNS1_3gpuE8ELNS1_3repE0EEENS1_30default_config_static_selectorELNS0_4arch9wavefront6targetE1EEEvT1_.uses_vcc, 0
	.set _ZN7rocprim17ROCPRIM_400000_NS6detail17trampoline_kernelINS0_14default_configENS1_25partition_config_selectorILNS1_17partition_subalgoE9EllbEEZZNS1_14partition_implILS5_9ELb0ES3_jPlS8_PNS0_10empty_typeENS0_5tupleIJS8_S9_EEENSB_IJS8_SA_EEENS0_18inequality_wrapperIZN2at6native12_GLOBAL__N_124unique_dim_cuda_templateIdEESt5tupleIJNSF_6TensorESK_SK_EERKSK_lbbbEUlllE0_EEPmJS9_EEE10hipError_tPvRmT3_T4_T5_T6_T7_T9_mT8_P12ihipStream_tbDpT10_ENKUlT_T0_E_clISt17integral_constantIbLb0EES1A_EEDaS15_S16_EUlS15_E_NS1_11comp_targetILNS1_3genE4ELNS1_11target_archE910ELNS1_3gpuE8ELNS1_3repE0EEENS1_30default_config_static_selectorELNS0_4arch9wavefront6targetE1EEEvT1_.uses_flat_scratch, 0
	.set _ZN7rocprim17ROCPRIM_400000_NS6detail17trampoline_kernelINS0_14default_configENS1_25partition_config_selectorILNS1_17partition_subalgoE9EllbEEZZNS1_14partition_implILS5_9ELb0ES3_jPlS8_PNS0_10empty_typeENS0_5tupleIJS8_S9_EEENSB_IJS8_SA_EEENS0_18inequality_wrapperIZN2at6native12_GLOBAL__N_124unique_dim_cuda_templateIdEESt5tupleIJNSF_6TensorESK_SK_EERKSK_lbbbEUlllE0_EEPmJS9_EEE10hipError_tPvRmT3_T4_T5_T6_T7_T9_mT8_P12ihipStream_tbDpT10_ENKUlT_T0_E_clISt17integral_constantIbLb0EES1A_EEDaS15_S16_EUlS15_E_NS1_11comp_targetILNS1_3genE4ELNS1_11target_archE910ELNS1_3gpuE8ELNS1_3repE0EEENS1_30default_config_static_selectorELNS0_4arch9wavefront6targetE1EEEvT1_.has_dyn_sized_stack, 0
	.set _ZN7rocprim17ROCPRIM_400000_NS6detail17trampoline_kernelINS0_14default_configENS1_25partition_config_selectorILNS1_17partition_subalgoE9EllbEEZZNS1_14partition_implILS5_9ELb0ES3_jPlS8_PNS0_10empty_typeENS0_5tupleIJS8_S9_EEENSB_IJS8_SA_EEENS0_18inequality_wrapperIZN2at6native12_GLOBAL__N_124unique_dim_cuda_templateIdEESt5tupleIJNSF_6TensorESK_SK_EERKSK_lbbbEUlllE0_EEPmJS9_EEE10hipError_tPvRmT3_T4_T5_T6_T7_T9_mT8_P12ihipStream_tbDpT10_ENKUlT_T0_E_clISt17integral_constantIbLb0EES1A_EEDaS15_S16_EUlS15_E_NS1_11comp_targetILNS1_3genE4ELNS1_11target_archE910ELNS1_3gpuE8ELNS1_3repE0EEENS1_30default_config_static_selectorELNS0_4arch9wavefront6targetE1EEEvT1_.has_recursion, 0
	.set _ZN7rocprim17ROCPRIM_400000_NS6detail17trampoline_kernelINS0_14default_configENS1_25partition_config_selectorILNS1_17partition_subalgoE9EllbEEZZNS1_14partition_implILS5_9ELb0ES3_jPlS8_PNS0_10empty_typeENS0_5tupleIJS8_S9_EEENSB_IJS8_SA_EEENS0_18inequality_wrapperIZN2at6native12_GLOBAL__N_124unique_dim_cuda_templateIdEESt5tupleIJNSF_6TensorESK_SK_EERKSK_lbbbEUlllE0_EEPmJS9_EEE10hipError_tPvRmT3_T4_T5_T6_T7_T9_mT8_P12ihipStream_tbDpT10_ENKUlT_T0_E_clISt17integral_constantIbLb0EES1A_EEDaS15_S16_EUlS15_E_NS1_11comp_targetILNS1_3genE4ELNS1_11target_archE910ELNS1_3gpuE8ELNS1_3repE0EEENS1_30default_config_static_selectorELNS0_4arch9wavefront6targetE1EEEvT1_.has_indirect_call, 0
	.section	.AMDGPU.csdata,"",@progbits
; Kernel info:
; codeLenInByte = 0
; TotalNumSgprs: 6
; NumVgprs: 0
; NumAgprs: 0
; TotalNumVgprs: 0
; ScratchSize: 0
; MemoryBound: 0
; FloatMode: 240
; IeeeMode: 1
; LDSByteSize: 0 bytes/workgroup (compile time only)
; SGPRBlocks: 0
; VGPRBlocks: 0
; NumSGPRsForWavesPerEU: 6
; NumVGPRsForWavesPerEU: 1
; AccumOffset: 4
; Occupancy: 8
; WaveLimiterHint : 0
; COMPUTE_PGM_RSRC2:SCRATCH_EN: 0
; COMPUTE_PGM_RSRC2:USER_SGPR: 2
; COMPUTE_PGM_RSRC2:TRAP_HANDLER: 0
; COMPUTE_PGM_RSRC2:TGID_X_EN: 1
; COMPUTE_PGM_RSRC2:TGID_Y_EN: 0
; COMPUTE_PGM_RSRC2:TGID_Z_EN: 0
; COMPUTE_PGM_RSRC2:TIDIG_COMP_CNT: 0
; COMPUTE_PGM_RSRC3_GFX90A:ACCUM_OFFSET: 0
; COMPUTE_PGM_RSRC3_GFX90A:TG_SPLIT: 0
	.section	.text._ZN7rocprim17ROCPRIM_400000_NS6detail17trampoline_kernelINS0_14default_configENS1_25partition_config_selectorILNS1_17partition_subalgoE9EllbEEZZNS1_14partition_implILS5_9ELb0ES3_jPlS8_PNS0_10empty_typeENS0_5tupleIJS8_S9_EEENSB_IJS8_SA_EEENS0_18inequality_wrapperIZN2at6native12_GLOBAL__N_124unique_dim_cuda_templateIdEESt5tupleIJNSF_6TensorESK_SK_EERKSK_lbbbEUlllE0_EEPmJS9_EEE10hipError_tPvRmT3_T4_T5_T6_T7_T9_mT8_P12ihipStream_tbDpT10_ENKUlT_T0_E_clISt17integral_constantIbLb0EES1A_EEDaS15_S16_EUlS15_E_NS1_11comp_targetILNS1_3genE3ELNS1_11target_archE908ELNS1_3gpuE7ELNS1_3repE0EEENS1_30default_config_static_selectorELNS0_4arch9wavefront6targetE1EEEvT1_,"axG",@progbits,_ZN7rocprim17ROCPRIM_400000_NS6detail17trampoline_kernelINS0_14default_configENS1_25partition_config_selectorILNS1_17partition_subalgoE9EllbEEZZNS1_14partition_implILS5_9ELb0ES3_jPlS8_PNS0_10empty_typeENS0_5tupleIJS8_S9_EEENSB_IJS8_SA_EEENS0_18inequality_wrapperIZN2at6native12_GLOBAL__N_124unique_dim_cuda_templateIdEESt5tupleIJNSF_6TensorESK_SK_EERKSK_lbbbEUlllE0_EEPmJS9_EEE10hipError_tPvRmT3_T4_T5_T6_T7_T9_mT8_P12ihipStream_tbDpT10_ENKUlT_T0_E_clISt17integral_constantIbLb0EES1A_EEDaS15_S16_EUlS15_E_NS1_11comp_targetILNS1_3genE3ELNS1_11target_archE908ELNS1_3gpuE7ELNS1_3repE0EEENS1_30default_config_static_selectorELNS0_4arch9wavefront6targetE1EEEvT1_,comdat
	.globl	_ZN7rocprim17ROCPRIM_400000_NS6detail17trampoline_kernelINS0_14default_configENS1_25partition_config_selectorILNS1_17partition_subalgoE9EllbEEZZNS1_14partition_implILS5_9ELb0ES3_jPlS8_PNS0_10empty_typeENS0_5tupleIJS8_S9_EEENSB_IJS8_SA_EEENS0_18inequality_wrapperIZN2at6native12_GLOBAL__N_124unique_dim_cuda_templateIdEESt5tupleIJNSF_6TensorESK_SK_EERKSK_lbbbEUlllE0_EEPmJS9_EEE10hipError_tPvRmT3_T4_T5_T6_T7_T9_mT8_P12ihipStream_tbDpT10_ENKUlT_T0_E_clISt17integral_constantIbLb0EES1A_EEDaS15_S16_EUlS15_E_NS1_11comp_targetILNS1_3genE3ELNS1_11target_archE908ELNS1_3gpuE7ELNS1_3repE0EEENS1_30default_config_static_selectorELNS0_4arch9wavefront6targetE1EEEvT1_ ; -- Begin function _ZN7rocprim17ROCPRIM_400000_NS6detail17trampoline_kernelINS0_14default_configENS1_25partition_config_selectorILNS1_17partition_subalgoE9EllbEEZZNS1_14partition_implILS5_9ELb0ES3_jPlS8_PNS0_10empty_typeENS0_5tupleIJS8_S9_EEENSB_IJS8_SA_EEENS0_18inequality_wrapperIZN2at6native12_GLOBAL__N_124unique_dim_cuda_templateIdEESt5tupleIJNSF_6TensorESK_SK_EERKSK_lbbbEUlllE0_EEPmJS9_EEE10hipError_tPvRmT3_T4_T5_T6_T7_T9_mT8_P12ihipStream_tbDpT10_ENKUlT_T0_E_clISt17integral_constantIbLb0EES1A_EEDaS15_S16_EUlS15_E_NS1_11comp_targetILNS1_3genE3ELNS1_11target_archE908ELNS1_3gpuE7ELNS1_3repE0EEENS1_30default_config_static_selectorELNS0_4arch9wavefront6targetE1EEEvT1_
	.p2align	8
	.type	_ZN7rocprim17ROCPRIM_400000_NS6detail17trampoline_kernelINS0_14default_configENS1_25partition_config_selectorILNS1_17partition_subalgoE9EllbEEZZNS1_14partition_implILS5_9ELb0ES3_jPlS8_PNS0_10empty_typeENS0_5tupleIJS8_S9_EEENSB_IJS8_SA_EEENS0_18inequality_wrapperIZN2at6native12_GLOBAL__N_124unique_dim_cuda_templateIdEESt5tupleIJNSF_6TensorESK_SK_EERKSK_lbbbEUlllE0_EEPmJS9_EEE10hipError_tPvRmT3_T4_T5_T6_T7_T9_mT8_P12ihipStream_tbDpT10_ENKUlT_T0_E_clISt17integral_constantIbLb0EES1A_EEDaS15_S16_EUlS15_E_NS1_11comp_targetILNS1_3genE3ELNS1_11target_archE908ELNS1_3gpuE7ELNS1_3repE0EEENS1_30default_config_static_selectorELNS0_4arch9wavefront6targetE1EEEvT1_,@function
_ZN7rocprim17ROCPRIM_400000_NS6detail17trampoline_kernelINS0_14default_configENS1_25partition_config_selectorILNS1_17partition_subalgoE9EllbEEZZNS1_14partition_implILS5_9ELb0ES3_jPlS8_PNS0_10empty_typeENS0_5tupleIJS8_S9_EEENSB_IJS8_SA_EEENS0_18inequality_wrapperIZN2at6native12_GLOBAL__N_124unique_dim_cuda_templateIdEESt5tupleIJNSF_6TensorESK_SK_EERKSK_lbbbEUlllE0_EEPmJS9_EEE10hipError_tPvRmT3_T4_T5_T6_T7_T9_mT8_P12ihipStream_tbDpT10_ENKUlT_T0_E_clISt17integral_constantIbLb0EES1A_EEDaS15_S16_EUlS15_E_NS1_11comp_targetILNS1_3genE3ELNS1_11target_archE908ELNS1_3gpuE7ELNS1_3repE0EEENS1_30default_config_static_selectorELNS0_4arch9wavefront6targetE1EEEvT1_: ; @_ZN7rocprim17ROCPRIM_400000_NS6detail17trampoline_kernelINS0_14default_configENS1_25partition_config_selectorILNS1_17partition_subalgoE9EllbEEZZNS1_14partition_implILS5_9ELb0ES3_jPlS8_PNS0_10empty_typeENS0_5tupleIJS8_S9_EEENSB_IJS8_SA_EEENS0_18inequality_wrapperIZN2at6native12_GLOBAL__N_124unique_dim_cuda_templateIdEESt5tupleIJNSF_6TensorESK_SK_EERKSK_lbbbEUlllE0_EEPmJS9_EEE10hipError_tPvRmT3_T4_T5_T6_T7_T9_mT8_P12ihipStream_tbDpT10_ENKUlT_T0_E_clISt17integral_constantIbLb0EES1A_EEDaS15_S16_EUlS15_E_NS1_11comp_targetILNS1_3genE3ELNS1_11target_archE908ELNS1_3gpuE7ELNS1_3repE0EEENS1_30default_config_static_selectorELNS0_4arch9wavefront6targetE1EEEvT1_
; %bb.0:
	.section	.rodata,"a",@progbits
	.p2align	6, 0x0
	.amdhsa_kernel _ZN7rocprim17ROCPRIM_400000_NS6detail17trampoline_kernelINS0_14default_configENS1_25partition_config_selectorILNS1_17partition_subalgoE9EllbEEZZNS1_14partition_implILS5_9ELb0ES3_jPlS8_PNS0_10empty_typeENS0_5tupleIJS8_S9_EEENSB_IJS8_SA_EEENS0_18inequality_wrapperIZN2at6native12_GLOBAL__N_124unique_dim_cuda_templateIdEESt5tupleIJNSF_6TensorESK_SK_EERKSK_lbbbEUlllE0_EEPmJS9_EEE10hipError_tPvRmT3_T4_T5_T6_T7_T9_mT8_P12ihipStream_tbDpT10_ENKUlT_T0_E_clISt17integral_constantIbLb0EES1A_EEDaS15_S16_EUlS15_E_NS1_11comp_targetILNS1_3genE3ELNS1_11target_archE908ELNS1_3gpuE7ELNS1_3repE0EEENS1_30default_config_static_selectorELNS0_4arch9wavefront6targetE1EEEvT1_
		.amdhsa_group_segment_fixed_size 0
		.amdhsa_private_segment_fixed_size 0
		.amdhsa_kernarg_size 120
		.amdhsa_user_sgpr_count 2
		.amdhsa_user_sgpr_dispatch_ptr 0
		.amdhsa_user_sgpr_queue_ptr 0
		.amdhsa_user_sgpr_kernarg_segment_ptr 1
		.amdhsa_user_sgpr_dispatch_id 0
		.amdhsa_user_sgpr_kernarg_preload_length 0
		.amdhsa_user_sgpr_kernarg_preload_offset 0
		.amdhsa_user_sgpr_private_segment_size 0
		.amdhsa_uses_dynamic_stack 0
		.amdhsa_enable_private_segment 0
		.amdhsa_system_sgpr_workgroup_id_x 1
		.amdhsa_system_sgpr_workgroup_id_y 0
		.amdhsa_system_sgpr_workgroup_id_z 0
		.amdhsa_system_sgpr_workgroup_info 0
		.amdhsa_system_vgpr_workitem_id 0
		.amdhsa_next_free_vgpr 1
		.amdhsa_next_free_sgpr 0
		.amdhsa_accum_offset 4
		.amdhsa_reserve_vcc 0
		.amdhsa_float_round_mode_32 0
		.amdhsa_float_round_mode_16_64 0
		.amdhsa_float_denorm_mode_32 3
		.amdhsa_float_denorm_mode_16_64 3
		.amdhsa_dx10_clamp 1
		.amdhsa_ieee_mode 1
		.amdhsa_fp16_overflow 0
		.amdhsa_tg_split 0
		.amdhsa_exception_fp_ieee_invalid_op 0
		.amdhsa_exception_fp_denorm_src 0
		.amdhsa_exception_fp_ieee_div_zero 0
		.amdhsa_exception_fp_ieee_overflow 0
		.amdhsa_exception_fp_ieee_underflow 0
		.amdhsa_exception_fp_ieee_inexact 0
		.amdhsa_exception_int_div_zero 0
	.end_amdhsa_kernel
	.section	.text._ZN7rocprim17ROCPRIM_400000_NS6detail17trampoline_kernelINS0_14default_configENS1_25partition_config_selectorILNS1_17partition_subalgoE9EllbEEZZNS1_14partition_implILS5_9ELb0ES3_jPlS8_PNS0_10empty_typeENS0_5tupleIJS8_S9_EEENSB_IJS8_SA_EEENS0_18inequality_wrapperIZN2at6native12_GLOBAL__N_124unique_dim_cuda_templateIdEESt5tupleIJNSF_6TensorESK_SK_EERKSK_lbbbEUlllE0_EEPmJS9_EEE10hipError_tPvRmT3_T4_T5_T6_T7_T9_mT8_P12ihipStream_tbDpT10_ENKUlT_T0_E_clISt17integral_constantIbLb0EES1A_EEDaS15_S16_EUlS15_E_NS1_11comp_targetILNS1_3genE3ELNS1_11target_archE908ELNS1_3gpuE7ELNS1_3repE0EEENS1_30default_config_static_selectorELNS0_4arch9wavefront6targetE1EEEvT1_,"axG",@progbits,_ZN7rocprim17ROCPRIM_400000_NS6detail17trampoline_kernelINS0_14default_configENS1_25partition_config_selectorILNS1_17partition_subalgoE9EllbEEZZNS1_14partition_implILS5_9ELb0ES3_jPlS8_PNS0_10empty_typeENS0_5tupleIJS8_S9_EEENSB_IJS8_SA_EEENS0_18inequality_wrapperIZN2at6native12_GLOBAL__N_124unique_dim_cuda_templateIdEESt5tupleIJNSF_6TensorESK_SK_EERKSK_lbbbEUlllE0_EEPmJS9_EEE10hipError_tPvRmT3_T4_T5_T6_T7_T9_mT8_P12ihipStream_tbDpT10_ENKUlT_T0_E_clISt17integral_constantIbLb0EES1A_EEDaS15_S16_EUlS15_E_NS1_11comp_targetILNS1_3genE3ELNS1_11target_archE908ELNS1_3gpuE7ELNS1_3repE0EEENS1_30default_config_static_selectorELNS0_4arch9wavefront6targetE1EEEvT1_,comdat
.Lfunc_end842:
	.size	_ZN7rocprim17ROCPRIM_400000_NS6detail17trampoline_kernelINS0_14default_configENS1_25partition_config_selectorILNS1_17partition_subalgoE9EllbEEZZNS1_14partition_implILS5_9ELb0ES3_jPlS8_PNS0_10empty_typeENS0_5tupleIJS8_S9_EEENSB_IJS8_SA_EEENS0_18inequality_wrapperIZN2at6native12_GLOBAL__N_124unique_dim_cuda_templateIdEESt5tupleIJNSF_6TensorESK_SK_EERKSK_lbbbEUlllE0_EEPmJS9_EEE10hipError_tPvRmT3_T4_T5_T6_T7_T9_mT8_P12ihipStream_tbDpT10_ENKUlT_T0_E_clISt17integral_constantIbLb0EES1A_EEDaS15_S16_EUlS15_E_NS1_11comp_targetILNS1_3genE3ELNS1_11target_archE908ELNS1_3gpuE7ELNS1_3repE0EEENS1_30default_config_static_selectorELNS0_4arch9wavefront6targetE1EEEvT1_, .Lfunc_end842-_ZN7rocprim17ROCPRIM_400000_NS6detail17trampoline_kernelINS0_14default_configENS1_25partition_config_selectorILNS1_17partition_subalgoE9EllbEEZZNS1_14partition_implILS5_9ELb0ES3_jPlS8_PNS0_10empty_typeENS0_5tupleIJS8_S9_EEENSB_IJS8_SA_EEENS0_18inequality_wrapperIZN2at6native12_GLOBAL__N_124unique_dim_cuda_templateIdEESt5tupleIJNSF_6TensorESK_SK_EERKSK_lbbbEUlllE0_EEPmJS9_EEE10hipError_tPvRmT3_T4_T5_T6_T7_T9_mT8_P12ihipStream_tbDpT10_ENKUlT_T0_E_clISt17integral_constantIbLb0EES1A_EEDaS15_S16_EUlS15_E_NS1_11comp_targetILNS1_3genE3ELNS1_11target_archE908ELNS1_3gpuE7ELNS1_3repE0EEENS1_30default_config_static_selectorELNS0_4arch9wavefront6targetE1EEEvT1_
                                        ; -- End function
	.set _ZN7rocprim17ROCPRIM_400000_NS6detail17trampoline_kernelINS0_14default_configENS1_25partition_config_selectorILNS1_17partition_subalgoE9EllbEEZZNS1_14partition_implILS5_9ELb0ES3_jPlS8_PNS0_10empty_typeENS0_5tupleIJS8_S9_EEENSB_IJS8_SA_EEENS0_18inequality_wrapperIZN2at6native12_GLOBAL__N_124unique_dim_cuda_templateIdEESt5tupleIJNSF_6TensorESK_SK_EERKSK_lbbbEUlllE0_EEPmJS9_EEE10hipError_tPvRmT3_T4_T5_T6_T7_T9_mT8_P12ihipStream_tbDpT10_ENKUlT_T0_E_clISt17integral_constantIbLb0EES1A_EEDaS15_S16_EUlS15_E_NS1_11comp_targetILNS1_3genE3ELNS1_11target_archE908ELNS1_3gpuE7ELNS1_3repE0EEENS1_30default_config_static_selectorELNS0_4arch9wavefront6targetE1EEEvT1_.num_vgpr, 0
	.set _ZN7rocprim17ROCPRIM_400000_NS6detail17trampoline_kernelINS0_14default_configENS1_25partition_config_selectorILNS1_17partition_subalgoE9EllbEEZZNS1_14partition_implILS5_9ELb0ES3_jPlS8_PNS0_10empty_typeENS0_5tupleIJS8_S9_EEENSB_IJS8_SA_EEENS0_18inequality_wrapperIZN2at6native12_GLOBAL__N_124unique_dim_cuda_templateIdEESt5tupleIJNSF_6TensorESK_SK_EERKSK_lbbbEUlllE0_EEPmJS9_EEE10hipError_tPvRmT3_T4_T5_T6_T7_T9_mT8_P12ihipStream_tbDpT10_ENKUlT_T0_E_clISt17integral_constantIbLb0EES1A_EEDaS15_S16_EUlS15_E_NS1_11comp_targetILNS1_3genE3ELNS1_11target_archE908ELNS1_3gpuE7ELNS1_3repE0EEENS1_30default_config_static_selectorELNS0_4arch9wavefront6targetE1EEEvT1_.num_agpr, 0
	.set _ZN7rocprim17ROCPRIM_400000_NS6detail17trampoline_kernelINS0_14default_configENS1_25partition_config_selectorILNS1_17partition_subalgoE9EllbEEZZNS1_14partition_implILS5_9ELb0ES3_jPlS8_PNS0_10empty_typeENS0_5tupleIJS8_S9_EEENSB_IJS8_SA_EEENS0_18inequality_wrapperIZN2at6native12_GLOBAL__N_124unique_dim_cuda_templateIdEESt5tupleIJNSF_6TensorESK_SK_EERKSK_lbbbEUlllE0_EEPmJS9_EEE10hipError_tPvRmT3_T4_T5_T6_T7_T9_mT8_P12ihipStream_tbDpT10_ENKUlT_T0_E_clISt17integral_constantIbLb0EES1A_EEDaS15_S16_EUlS15_E_NS1_11comp_targetILNS1_3genE3ELNS1_11target_archE908ELNS1_3gpuE7ELNS1_3repE0EEENS1_30default_config_static_selectorELNS0_4arch9wavefront6targetE1EEEvT1_.numbered_sgpr, 0
	.set _ZN7rocprim17ROCPRIM_400000_NS6detail17trampoline_kernelINS0_14default_configENS1_25partition_config_selectorILNS1_17partition_subalgoE9EllbEEZZNS1_14partition_implILS5_9ELb0ES3_jPlS8_PNS0_10empty_typeENS0_5tupleIJS8_S9_EEENSB_IJS8_SA_EEENS0_18inequality_wrapperIZN2at6native12_GLOBAL__N_124unique_dim_cuda_templateIdEESt5tupleIJNSF_6TensorESK_SK_EERKSK_lbbbEUlllE0_EEPmJS9_EEE10hipError_tPvRmT3_T4_T5_T6_T7_T9_mT8_P12ihipStream_tbDpT10_ENKUlT_T0_E_clISt17integral_constantIbLb0EES1A_EEDaS15_S16_EUlS15_E_NS1_11comp_targetILNS1_3genE3ELNS1_11target_archE908ELNS1_3gpuE7ELNS1_3repE0EEENS1_30default_config_static_selectorELNS0_4arch9wavefront6targetE1EEEvT1_.num_named_barrier, 0
	.set _ZN7rocprim17ROCPRIM_400000_NS6detail17trampoline_kernelINS0_14default_configENS1_25partition_config_selectorILNS1_17partition_subalgoE9EllbEEZZNS1_14partition_implILS5_9ELb0ES3_jPlS8_PNS0_10empty_typeENS0_5tupleIJS8_S9_EEENSB_IJS8_SA_EEENS0_18inequality_wrapperIZN2at6native12_GLOBAL__N_124unique_dim_cuda_templateIdEESt5tupleIJNSF_6TensorESK_SK_EERKSK_lbbbEUlllE0_EEPmJS9_EEE10hipError_tPvRmT3_T4_T5_T6_T7_T9_mT8_P12ihipStream_tbDpT10_ENKUlT_T0_E_clISt17integral_constantIbLb0EES1A_EEDaS15_S16_EUlS15_E_NS1_11comp_targetILNS1_3genE3ELNS1_11target_archE908ELNS1_3gpuE7ELNS1_3repE0EEENS1_30default_config_static_selectorELNS0_4arch9wavefront6targetE1EEEvT1_.private_seg_size, 0
	.set _ZN7rocprim17ROCPRIM_400000_NS6detail17trampoline_kernelINS0_14default_configENS1_25partition_config_selectorILNS1_17partition_subalgoE9EllbEEZZNS1_14partition_implILS5_9ELb0ES3_jPlS8_PNS0_10empty_typeENS0_5tupleIJS8_S9_EEENSB_IJS8_SA_EEENS0_18inequality_wrapperIZN2at6native12_GLOBAL__N_124unique_dim_cuda_templateIdEESt5tupleIJNSF_6TensorESK_SK_EERKSK_lbbbEUlllE0_EEPmJS9_EEE10hipError_tPvRmT3_T4_T5_T6_T7_T9_mT8_P12ihipStream_tbDpT10_ENKUlT_T0_E_clISt17integral_constantIbLb0EES1A_EEDaS15_S16_EUlS15_E_NS1_11comp_targetILNS1_3genE3ELNS1_11target_archE908ELNS1_3gpuE7ELNS1_3repE0EEENS1_30default_config_static_selectorELNS0_4arch9wavefront6targetE1EEEvT1_.uses_vcc, 0
	.set _ZN7rocprim17ROCPRIM_400000_NS6detail17trampoline_kernelINS0_14default_configENS1_25partition_config_selectorILNS1_17partition_subalgoE9EllbEEZZNS1_14partition_implILS5_9ELb0ES3_jPlS8_PNS0_10empty_typeENS0_5tupleIJS8_S9_EEENSB_IJS8_SA_EEENS0_18inequality_wrapperIZN2at6native12_GLOBAL__N_124unique_dim_cuda_templateIdEESt5tupleIJNSF_6TensorESK_SK_EERKSK_lbbbEUlllE0_EEPmJS9_EEE10hipError_tPvRmT3_T4_T5_T6_T7_T9_mT8_P12ihipStream_tbDpT10_ENKUlT_T0_E_clISt17integral_constantIbLb0EES1A_EEDaS15_S16_EUlS15_E_NS1_11comp_targetILNS1_3genE3ELNS1_11target_archE908ELNS1_3gpuE7ELNS1_3repE0EEENS1_30default_config_static_selectorELNS0_4arch9wavefront6targetE1EEEvT1_.uses_flat_scratch, 0
	.set _ZN7rocprim17ROCPRIM_400000_NS6detail17trampoline_kernelINS0_14default_configENS1_25partition_config_selectorILNS1_17partition_subalgoE9EllbEEZZNS1_14partition_implILS5_9ELb0ES3_jPlS8_PNS0_10empty_typeENS0_5tupleIJS8_S9_EEENSB_IJS8_SA_EEENS0_18inequality_wrapperIZN2at6native12_GLOBAL__N_124unique_dim_cuda_templateIdEESt5tupleIJNSF_6TensorESK_SK_EERKSK_lbbbEUlllE0_EEPmJS9_EEE10hipError_tPvRmT3_T4_T5_T6_T7_T9_mT8_P12ihipStream_tbDpT10_ENKUlT_T0_E_clISt17integral_constantIbLb0EES1A_EEDaS15_S16_EUlS15_E_NS1_11comp_targetILNS1_3genE3ELNS1_11target_archE908ELNS1_3gpuE7ELNS1_3repE0EEENS1_30default_config_static_selectorELNS0_4arch9wavefront6targetE1EEEvT1_.has_dyn_sized_stack, 0
	.set _ZN7rocprim17ROCPRIM_400000_NS6detail17trampoline_kernelINS0_14default_configENS1_25partition_config_selectorILNS1_17partition_subalgoE9EllbEEZZNS1_14partition_implILS5_9ELb0ES3_jPlS8_PNS0_10empty_typeENS0_5tupleIJS8_S9_EEENSB_IJS8_SA_EEENS0_18inequality_wrapperIZN2at6native12_GLOBAL__N_124unique_dim_cuda_templateIdEESt5tupleIJNSF_6TensorESK_SK_EERKSK_lbbbEUlllE0_EEPmJS9_EEE10hipError_tPvRmT3_T4_T5_T6_T7_T9_mT8_P12ihipStream_tbDpT10_ENKUlT_T0_E_clISt17integral_constantIbLb0EES1A_EEDaS15_S16_EUlS15_E_NS1_11comp_targetILNS1_3genE3ELNS1_11target_archE908ELNS1_3gpuE7ELNS1_3repE0EEENS1_30default_config_static_selectorELNS0_4arch9wavefront6targetE1EEEvT1_.has_recursion, 0
	.set _ZN7rocprim17ROCPRIM_400000_NS6detail17trampoline_kernelINS0_14default_configENS1_25partition_config_selectorILNS1_17partition_subalgoE9EllbEEZZNS1_14partition_implILS5_9ELb0ES3_jPlS8_PNS0_10empty_typeENS0_5tupleIJS8_S9_EEENSB_IJS8_SA_EEENS0_18inequality_wrapperIZN2at6native12_GLOBAL__N_124unique_dim_cuda_templateIdEESt5tupleIJNSF_6TensorESK_SK_EERKSK_lbbbEUlllE0_EEPmJS9_EEE10hipError_tPvRmT3_T4_T5_T6_T7_T9_mT8_P12ihipStream_tbDpT10_ENKUlT_T0_E_clISt17integral_constantIbLb0EES1A_EEDaS15_S16_EUlS15_E_NS1_11comp_targetILNS1_3genE3ELNS1_11target_archE908ELNS1_3gpuE7ELNS1_3repE0EEENS1_30default_config_static_selectorELNS0_4arch9wavefront6targetE1EEEvT1_.has_indirect_call, 0
	.section	.AMDGPU.csdata,"",@progbits
; Kernel info:
; codeLenInByte = 0
; TotalNumSgprs: 6
; NumVgprs: 0
; NumAgprs: 0
; TotalNumVgprs: 0
; ScratchSize: 0
; MemoryBound: 0
; FloatMode: 240
; IeeeMode: 1
; LDSByteSize: 0 bytes/workgroup (compile time only)
; SGPRBlocks: 0
; VGPRBlocks: 0
; NumSGPRsForWavesPerEU: 6
; NumVGPRsForWavesPerEU: 1
; AccumOffset: 4
; Occupancy: 8
; WaveLimiterHint : 0
; COMPUTE_PGM_RSRC2:SCRATCH_EN: 0
; COMPUTE_PGM_RSRC2:USER_SGPR: 2
; COMPUTE_PGM_RSRC2:TRAP_HANDLER: 0
; COMPUTE_PGM_RSRC2:TGID_X_EN: 1
; COMPUTE_PGM_RSRC2:TGID_Y_EN: 0
; COMPUTE_PGM_RSRC2:TGID_Z_EN: 0
; COMPUTE_PGM_RSRC2:TIDIG_COMP_CNT: 0
; COMPUTE_PGM_RSRC3_GFX90A:ACCUM_OFFSET: 0
; COMPUTE_PGM_RSRC3_GFX90A:TG_SPLIT: 0
	.section	.text._ZN7rocprim17ROCPRIM_400000_NS6detail17trampoline_kernelINS0_14default_configENS1_25partition_config_selectorILNS1_17partition_subalgoE9EllbEEZZNS1_14partition_implILS5_9ELb0ES3_jPlS8_PNS0_10empty_typeENS0_5tupleIJS8_S9_EEENSB_IJS8_SA_EEENS0_18inequality_wrapperIZN2at6native12_GLOBAL__N_124unique_dim_cuda_templateIdEESt5tupleIJNSF_6TensorESK_SK_EERKSK_lbbbEUlllE0_EEPmJS9_EEE10hipError_tPvRmT3_T4_T5_T6_T7_T9_mT8_P12ihipStream_tbDpT10_ENKUlT_T0_E_clISt17integral_constantIbLb0EES1A_EEDaS15_S16_EUlS15_E_NS1_11comp_targetILNS1_3genE2ELNS1_11target_archE906ELNS1_3gpuE6ELNS1_3repE0EEENS1_30default_config_static_selectorELNS0_4arch9wavefront6targetE1EEEvT1_,"axG",@progbits,_ZN7rocprim17ROCPRIM_400000_NS6detail17trampoline_kernelINS0_14default_configENS1_25partition_config_selectorILNS1_17partition_subalgoE9EllbEEZZNS1_14partition_implILS5_9ELb0ES3_jPlS8_PNS0_10empty_typeENS0_5tupleIJS8_S9_EEENSB_IJS8_SA_EEENS0_18inequality_wrapperIZN2at6native12_GLOBAL__N_124unique_dim_cuda_templateIdEESt5tupleIJNSF_6TensorESK_SK_EERKSK_lbbbEUlllE0_EEPmJS9_EEE10hipError_tPvRmT3_T4_T5_T6_T7_T9_mT8_P12ihipStream_tbDpT10_ENKUlT_T0_E_clISt17integral_constantIbLb0EES1A_EEDaS15_S16_EUlS15_E_NS1_11comp_targetILNS1_3genE2ELNS1_11target_archE906ELNS1_3gpuE6ELNS1_3repE0EEENS1_30default_config_static_selectorELNS0_4arch9wavefront6targetE1EEEvT1_,comdat
	.globl	_ZN7rocprim17ROCPRIM_400000_NS6detail17trampoline_kernelINS0_14default_configENS1_25partition_config_selectorILNS1_17partition_subalgoE9EllbEEZZNS1_14partition_implILS5_9ELb0ES3_jPlS8_PNS0_10empty_typeENS0_5tupleIJS8_S9_EEENSB_IJS8_SA_EEENS0_18inequality_wrapperIZN2at6native12_GLOBAL__N_124unique_dim_cuda_templateIdEESt5tupleIJNSF_6TensorESK_SK_EERKSK_lbbbEUlllE0_EEPmJS9_EEE10hipError_tPvRmT3_T4_T5_T6_T7_T9_mT8_P12ihipStream_tbDpT10_ENKUlT_T0_E_clISt17integral_constantIbLb0EES1A_EEDaS15_S16_EUlS15_E_NS1_11comp_targetILNS1_3genE2ELNS1_11target_archE906ELNS1_3gpuE6ELNS1_3repE0EEENS1_30default_config_static_selectorELNS0_4arch9wavefront6targetE1EEEvT1_ ; -- Begin function _ZN7rocprim17ROCPRIM_400000_NS6detail17trampoline_kernelINS0_14default_configENS1_25partition_config_selectorILNS1_17partition_subalgoE9EllbEEZZNS1_14partition_implILS5_9ELb0ES3_jPlS8_PNS0_10empty_typeENS0_5tupleIJS8_S9_EEENSB_IJS8_SA_EEENS0_18inequality_wrapperIZN2at6native12_GLOBAL__N_124unique_dim_cuda_templateIdEESt5tupleIJNSF_6TensorESK_SK_EERKSK_lbbbEUlllE0_EEPmJS9_EEE10hipError_tPvRmT3_T4_T5_T6_T7_T9_mT8_P12ihipStream_tbDpT10_ENKUlT_T0_E_clISt17integral_constantIbLb0EES1A_EEDaS15_S16_EUlS15_E_NS1_11comp_targetILNS1_3genE2ELNS1_11target_archE906ELNS1_3gpuE6ELNS1_3repE0EEENS1_30default_config_static_selectorELNS0_4arch9wavefront6targetE1EEEvT1_
	.p2align	8
	.type	_ZN7rocprim17ROCPRIM_400000_NS6detail17trampoline_kernelINS0_14default_configENS1_25partition_config_selectorILNS1_17partition_subalgoE9EllbEEZZNS1_14partition_implILS5_9ELb0ES3_jPlS8_PNS0_10empty_typeENS0_5tupleIJS8_S9_EEENSB_IJS8_SA_EEENS0_18inequality_wrapperIZN2at6native12_GLOBAL__N_124unique_dim_cuda_templateIdEESt5tupleIJNSF_6TensorESK_SK_EERKSK_lbbbEUlllE0_EEPmJS9_EEE10hipError_tPvRmT3_T4_T5_T6_T7_T9_mT8_P12ihipStream_tbDpT10_ENKUlT_T0_E_clISt17integral_constantIbLb0EES1A_EEDaS15_S16_EUlS15_E_NS1_11comp_targetILNS1_3genE2ELNS1_11target_archE906ELNS1_3gpuE6ELNS1_3repE0EEENS1_30default_config_static_selectorELNS0_4arch9wavefront6targetE1EEEvT1_,@function
_ZN7rocprim17ROCPRIM_400000_NS6detail17trampoline_kernelINS0_14default_configENS1_25partition_config_selectorILNS1_17partition_subalgoE9EllbEEZZNS1_14partition_implILS5_9ELb0ES3_jPlS8_PNS0_10empty_typeENS0_5tupleIJS8_S9_EEENSB_IJS8_SA_EEENS0_18inequality_wrapperIZN2at6native12_GLOBAL__N_124unique_dim_cuda_templateIdEESt5tupleIJNSF_6TensorESK_SK_EERKSK_lbbbEUlllE0_EEPmJS9_EEE10hipError_tPvRmT3_T4_T5_T6_T7_T9_mT8_P12ihipStream_tbDpT10_ENKUlT_T0_E_clISt17integral_constantIbLb0EES1A_EEDaS15_S16_EUlS15_E_NS1_11comp_targetILNS1_3genE2ELNS1_11target_archE906ELNS1_3gpuE6ELNS1_3repE0EEENS1_30default_config_static_selectorELNS0_4arch9wavefront6targetE1EEEvT1_: ; @_ZN7rocprim17ROCPRIM_400000_NS6detail17trampoline_kernelINS0_14default_configENS1_25partition_config_selectorILNS1_17partition_subalgoE9EllbEEZZNS1_14partition_implILS5_9ELb0ES3_jPlS8_PNS0_10empty_typeENS0_5tupleIJS8_S9_EEENSB_IJS8_SA_EEENS0_18inequality_wrapperIZN2at6native12_GLOBAL__N_124unique_dim_cuda_templateIdEESt5tupleIJNSF_6TensorESK_SK_EERKSK_lbbbEUlllE0_EEPmJS9_EEE10hipError_tPvRmT3_T4_T5_T6_T7_T9_mT8_P12ihipStream_tbDpT10_ENKUlT_T0_E_clISt17integral_constantIbLb0EES1A_EEDaS15_S16_EUlS15_E_NS1_11comp_targetILNS1_3genE2ELNS1_11target_archE906ELNS1_3gpuE6ELNS1_3repE0EEENS1_30default_config_static_selectorELNS0_4arch9wavefront6targetE1EEEvT1_
; %bb.0:
	.section	.rodata,"a",@progbits
	.p2align	6, 0x0
	.amdhsa_kernel _ZN7rocprim17ROCPRIM_400000_NS6detail17trampoline_kernelINS0_14default_configENS1_25partition_config_selectorILNS1_17partition_subalgoE9EllbEEZZNS1_14partition_implILS5_9ELb0ES3_jPlS8_PNS0_10empty_typeENS0_5tupleIJS8_S9_EEENSB_IJS8_SA_EEENS0_18inequality_wrapperIZN2at6native12_GLOBAL__N_124unique_dim_cuda_templateIdEESt5tupleIJNSF_6TensorESK_SK_EERKSK_lbbbEUlllE0_EEPmJS9_EEE10hipError_tPvRmT3_T4_T5_T6_T7_T9_mT8_P12ihipStream_tbDpT10_ENKUlT_T0_E_clISt17integral_constantIbLb0EES1A_EEDaS15_S16_EUlS15_E_NS1_11comp_targetILNS1_3genE2ELNS1_11target_archE906ELNS1_3gpuE6ELNS1_3repE0EEENS1_30default_config_static_selectorELNS0_4arch9wavefront6targetE1EEEvT1_
		.amdhsa_group_segment_fixed_size 0
		.amdhsa_private_segment_fixed_size 0
		.amdhsa_kernarg_size 120
		.amdhsa_user_sgpr_count 2
		.amdhsa_user_sgpr_dispatch_ptr 0
		.amdhsa_user_sgpr_queue_ptr 0
		.amdhsa_user_sgpr_kernarg_segment_ptr 1
		.amdhsa_user_sgpr_dispatch_id 0
		.amdhsa_user_sgpr_kernarg_preload_length 0
		.amdhsa_user_sgpr_kernarg_preload_offset 0
		.amdhsa_user_sgpr_private_segment_size 0
		.amdhsa_uses_dynamic_stack 0
		.amdhsa_enable_private_segment 0
		.amdhsa_system_sgpr_workgroup_id_x 1
		.amdhsa_system_sgpr_workgroup_id_y 0
		.amdhsa_system_sgpr_workgroup_id_z 0
		.amdhsa_system_sgpr_workgroup_info 0
		.amdhsa_system_vgpr_workitem_id 0
		.amdhsa_next_free_vgpr 1
		.amdhsa_next_free_sgpr 0
		.amdhsa_accum_offset 4
		.amdhsa_reserve_vcc 0
		.amdhsa_float_round_mode_32 0
		.amdhsa_float_round_mode_16_64 0
		.amdhsa_float_denorm_mode_32 3
		.amdhsa_float_denorm_mode_16_64 3
		.amdhsa_dx10_clamp 1
		.amdhsa_ieee_mode 1
		.amdhsa_fp16_overflow 0
		.amdhsa_tg_split 0
		.amdhsa_exception_fp_ieee_invalid_op 0
		.amdhsa_exception_fp_denorm_src 0
		.amdhsa_exception_fp_ieee_div_zero 0
		.amdhsa_exception_fp_ieee_overflow 0
		.amdhsa_exception_fp_ieee_underflow 0
		.amdhsa_exception_fp_ieee_inexact 0
		.amdhsa_exception_int_div_zero 0
	.end_amdhsa_kernel
	.section	.text._ZN7rocprim17ROCPRIM_400000_NS6detail17trampoline_kernelINS0_14default_configENS1_25partition_config_selectorILNS1_17partition_subalgoE9EllbEEZZNS1_14partition_implILS5_9ELb0ES3_jPlS8_PNS0_10empty_typeENS0_5tupleIJS8_S9_EEENSB_IJS8_SA_EEENS0_18inequality_wrapperIZN2at6native12_GLOBAL__N_124unique_dim_cuda_templateIdEESt5tupleIJNSF_6TensorESK_SK_EERKSK_lbbbEUlllE0_EEPmJS9_EEE10hipError_tPvRmT3_T4_T5_T6_T7_T9_mT8_P12ihipStream_tbDpT10_ENKUlT_T0_E_clISt17integral_constantIbLb0EES1A_EEDaS15_S16_EUlS15_E_NS1_11comp_targetILNS1_3genE2ELNS1_11target_archE906ELNS1_3gpuE6ELNS1_3repE0EEENS1_30default_config_static_selectorELNS0_4arch9wavefront6targetE1EEEvT1_,"axG",@progbits,_ZN7rocprim17ROCPRIM_400000_NS6detail17trampoline_kernelINS0_14default_configENS1_25partition_config_selectorILNS1_17partition_subalgoE9EllbEEZZNS1_14partition_implILS5_9ELb0ES3_jPlS8_PNS0_10empty_typeENS0_5tupleIJS8_S9_EEENSB_IJS8_SA_EEENS0_18inequality_wrapperIZN2at6native12_GLOBAL__N_124unique_dim_cuda_templateIdEESt5tupleIJNSF_6TensorESK_SK_EERKSK_lbbbEUlllE0_EEPmJS9_EEE10hipError_tPvRmT3_T4_T5_T6_T7_T9_mT8_P12ihipStream_tbDpT10_ENKUlT_T0_E_clISt17integral_constantIbLb0EES1A_EEDaS15_S16_EUlS15_E_NS1_11comp_targetILNS1_3genE2ELNS1_11target_archE906ELNS1_3gpuE6ELNS1_3repE0EEENS1_30default_config_static_selectorELNS0_4arch9wavefront6targetE1EEEvT1_,comdat
.Lfunc_end843:
	.size	_ZN7rocprim17ROCPRIM_400000_NS6detail17trampoline_kernelINS0_14default_configENS1_25partition_config_selectorILNS1_17partition_subalgoE9EllbEEZZNS1_14partition_implILS5_9ELb0ES3_jPlS8_PNS0_10empty_typeENS0_5tupleIJS8_S9_EEENSB_IJS8_SA_EEENS0_18inequality_wrapperIZN2at6native12_GLOBAL__N_124unique_dim_cuda_templateIdEESt5tupleIJNSF_6TensorESK_SK_EERKSK_lbbbEUlllE0_EEPmJS9_EEE10hipError_tPvRmT3_T4_T5_T6_T7_T9_mT8_P12ihipStream_tbDpT10_ENKUlT_T0_E_clISt17integral_constantIbLb0EES1A_EEDaS15_S16_EUlS15_E_NS1_11comp_targetILNS1_3genE2ELNS1_11target_archE906ELNS1_3gpuE6ELNS1_3repE0EEENS1_30default_config_static_selectorELNS0_4arch9wavefront6targetE1EEEvT1_, .Lfunc_end843-_ZN7rocprim17ROCPRIM_400000_NS6detail17trampoline_kernelINS0_14default_configENS1_25partition_config_selectorILNS1_17partition_subalgoE9EllbEEZZNS1_14partition_implILS5_9ELb0ES3_jPlS8_PNS0_10empty_typeENS0_5tupleIJS8_S9_EEENSB_IJS8_SA_EEENS0_18inequality_wrapperIZN2at6native12_GLOBAL__N_124unique_dim_cuda_templateIdEESt5tupleIJNSF_6TensorESK_SK_EERKSK_lbbbEUlllE0_EEPmJS9_EEE10hipError_tPvRmT3_T4_T5_T6_T7_T9_mT8_P12ihipStream_tbDpT10_ENKUlT_T0_E_clISt17integral_constantIbLb0EES1A_EEDaS15_S16_EUlS15_E_NS1_11comp_targetILNS1_3genE2ELNS1_11target_archE906ELNS1_3gpuE6ELNS1_3repE0EEENS1_30default_config_static_selectorELNS0_4arch9wavefront6targetE1EEEvT1_
                                        ; -- End function
	.set _ZN7rocprim17ROCPRIM_400000_NS6detail17trampoline_kernelINS0_14default_configENS1_25partition_config_selectorILNS1_17partition_subalgoE9EllbEEZZNS1_14partition_implILS5_9ELb0ES3_jPlS8_PNS0_10empty_typeENS0_5tupleIJS8_S9_EEENSB_IJS8_SA_EEENS0_18inequality_wrapperIZN2at6native12_GLOBAL__N_124unique_dim_cuda_templateIdEESt5tupleIJNSF_6TensorESK_SK_EERKSK_lbbbEUlllE0_EEPmJS9_EEE10hipError_tPvRmT3_T4_T5_T6_T7_T9_mT8_P12ihipStream_tbDpT10_ENKUlT_T0_E_clISt17integral_constantIbLb0EES1A_EEDaS15_S16_EUlS15_E_NS1_11comp_targetILNS1_3genE2ELNS1_11target_archE906ELNS1_3gpuE6ELNS1_3repE0EEENS1_30default_config_static_selectorELNS0_4arch9wavefront6targetE1EEEvT1_.num_vgpr, 0
	.set _ZN7rocprim17ROCPRIM_400000_NS6detail17trampoline_kernelINS0_14default_configENS1_25partition_config_selectorILNS1_17partition_subalgoE9EllbEEZZNS1_14partition_implILS5_9ELb0ES3_jPlS8_PNS0_10empty_typeENS0_5tupleIJS8_S9_EEENSB_IJS8_SA_EEENS0_18inequality_wrapperIZN2at6native12_GLOBAL__N_124unique_dim_cuda_templateIdEESt5tupleIJNSF_6TensorESK_SK_EERKSK_lbbbEUlllE0_EEPmJS9_EEE10hipError_tPvRmT3_T4_T5_T6_T7_T9_mT8_P12ihipStream_tbDpT10_ENKUlT_T0_E_clISt17integral_constantIbLb0EES1A_EEDaS15_S16_EUlS15_E_NS1_11comp_targetILNS1_3genE2ELNS1_11target_archE906ELNS1_3gpuE6ELNS1_3repE0EEENS1_30default_config_static_selectorELNS0_4arch9wavefront6targetE1EEEvT1_.num_agpr, 0
	.set _ZN7rocprim17ROCPRIM_400000_NS6detail17trampoline_kernelINS0_14default_configENS1_25partition_config_selectorILNS1_17partition_subalgoE9EllbEEZZNS1_14partition_implILS5_9ELb0ES3_jPlS8_PNS0_10empty_typeENS0_5tupleIJS8_S9_EEENSB_IJS8_SA_EEENS0_18inequality_wrapperIZN2at6native12_GLOBAL__N_124unique_dim_cuda_templateIdEESt5tupleIJNSF_6TensorESK_SK_EERKSK_lbbbEUlllE0_EEPmJS9_EEE10hipError_tPvRmT3_T4_T5_T6_T7_T9_mT8_P12ihipStream_tbDpT10_ENKUlT_T0_E_clISt17integral_constantIbLb0EES1A_EEDaS15_S16_EUlS15_E_NS1_11comp_targetILNS1_3genE2ELNS1_11target_archE906ELNS1_3gpuE6ELNS1_3repE0EEENS1_30default_config_static_selectorELNS0_4arch9wavefront6targetE1EEEvT1_.numbered_sgpr, 0
	.set _ZN7rocprim17ROCPRIM_400000_NS6detail17trampoline_kernelINS0_14default_configENS1_25partition_config_selectorILNS1_17partition_subalgoE9EllbEEZZNS1_14partition_implILS5_9ELb0ES3_jPlS8_PNS0_10empty_typeENS0_5tupleIJS8_S9_EEENSB_IJS8_SA_EEENS0_18inequality_wrapperIZN2at6native12_GLOBAL__N_124unique_dim_cuda_templateIdEESt5tupleIJNSF_6TensorESK_SK_EERKSK_lbbbEUlllE0_EEPmJS9_EEE10hipError_tPvRmT3_T4_T5_T6_T7_T9_mT8_P12ihipStream_tbDpT10_ENKUlT_T0_E_clISt17integral_constantIbLb0EES1A_EEDaS15_S16_EUlS15_E_NS1_11comp_targetILNS1_3genE2ELNS1_11target_archE906ELNS1_3gpuE6ELNS1_3repE0EEENS1_30default_config_static_selectorELNS0_4arch9wavefront6targetE1EEEvT1_.num_named_barrier, 0
	.set _ZN7rocprim17ROCPRIM_400000_NS6detail17trampoline_kernelINS0_14default_configENS1_25partition_config_selectorILNS1_17partition_subalgoE9EllbEEZZNS1_14partition_implILS5_9ELb0ES3_jPlS8_PNS0_10empty_typeENS0_5tupleIJS8_S9_EEENSB_IJS8_SA_EEENS0_18inequality_wrapperIZN2at6native12_GLOBAL__N_124unique_dim_cuda_templateIdEESt5tupleIJNSF_6TensorESK_SK_EERKSK_lbbbEUlllE0_EEPmJS9_EEE10hipError_tPvRmT3_T4_T5_T6_T7_T9_mT8_P12ihipStream_tbDpT10_ENKUlT_T0_E_clISt17integral_constantIbLb0EES1A_EEDaS15_S16_EUlS15_E_NS1_11comp_targetILNS1_3genE2ELNS1_11target_archE906ELNS1_3gpuE6ELNS1_3repE0EEENS1_30default_config_static_selectorELNS0_4arch9wavefront6targetE1EEEvT1_.private_seg_size, 0
	.set _ZN7rocprim17ROCPRIM_400000_NS6detail17trampoline_kernelINS0_14default_configENS1_25partition_config_selectorILNS1_17partition_subalgoE9EllbEEZZNS1_14partition_implILS5_9ELb0ES3_jPlS8_PNS0_10empty_typeENS0_5tupleIJS8_S9_EEENSB_IJS8_SA_EEENS0_18inequality_wrapperIZN2at6native12_GLOBAL__N_124unique_dim_cuda_templateIdEESt5tupleIJNSF_6TensorESK_SK_EERKSK_lbbbEUlllE0_EEPmJS9_EEE10hipError_tPvRmT3_T4_T5_T6_T7_T9_mT8_P12ihipStream_tbDpT10_ENKUlT_T0_E_clISt17integral_constantIbLb0EES1A_EEDaS15_S16_EUlS15_E_NS1_11comp_targetILNS1_3genE2ELNS1_11target_archE906ELNS1_3gpuE6ELNS1_3repE0EEENS1_30default_config_static_selectorELNS0_4arch9wavefront6targetE1EEEvT1_.uses_vcc, 0
	.set _ZN7rocprim17ROCPRIM_400000_NS6detail17trampoline_kernelINS0_14default_configENS1_25partition_config_selectorILNS1_17partition_subalgoE9EllbEEZZNS1_14partition_implILS5_9ELb0ES3_jPlS8_PNS0_10empty_typeENS0_5tupleIJS8_S9_EEENSB_IJS8_SA_EEENS0_18inequality_wrapperIZN2at6native12_GLOBAL__N_124unique_dim_cuda_templateIdEESt5tupleIJNSF_6TensorESK_SK_EERKSK_lbbbEUlllE0_EEPmJS9_EEE10hipError_tPvRmT3_T4_T5_T6_T7_T9_mT8_P12ihipStream_tbDpT10_ENKUlT_T0_E_clISt17integral_constantIbLb0EES1A_EEDaS15_S16_EUlS15_E_NS1_11comp_targetILNS1_3genE2ELNS1_11target_archE906ELNS1_3gpuE6ELNS1_3repE0EEENS1_30default_config_static_selectorELNS0_4arch9wavefront6targetE1EEEvT1_.uses_flat_scratch, 0
	.set _ZN7rocprim17ROCPRIM_400000_NS6detail17trampoline_kernelINS0_14default_configENS1_25partition_config_selectorILNS1_17partition_subalgoE9EllbEEZZNS1_14partition_implILS5_9ELb0ES3_jPlS8_PNS0_10empty_typeENS0_5tupleIJS8_S9_EEENSB_IJS8_SA_EEENS0_18inequality_wrapperIZN2at6native12_GLOBAL__N_124unique_dim_cuda_templateIdEESt5tupleIJNSF_6TensorESK_SK_EERKSK_lbbbEUlllE0_EEPmJS9_EEE10hipError_tPvRmT3_T4_T5_T6_T7_T9_mT8_P12ihipStream_tbDpT10_ENKUlT_T0_E_clISt17integral_constantIbLb0EES1A_EEDaS15_S16_EUlS15_E_NS1_11comp_targetILNS1_3genE2ELNS1_11target_archE906ELNS1_3gpuE6ELNS1_3repE0EEENS1_30default_config_static_selectorELNS0_4arch9wavefront6targetE1EEEvT1_.has_dyn_sized_stack, 0
	.set _ZN7rocprim17ROCPRIM_400000_NS6detail17trampoline_kernelINS0_14default_configENS1_25partition_config_selectorILNS1_17partition_subalgoE9EllbEEZZNS1_14partition_implILS5_9ELb0ES3_jPlS8_PNS0_10empty_typeENS0_5tupleIJS8_S9_EEENSB_IJS8_SA_EEENS0_18inequality_wrapperIZN2at6native12_GLOBAL__N_124unique_dim_cuda_templateIdEESt5tupleIJNSF_6TensorESK_SK_EERKSK_lbbbEUlllE0_EEPmJS9_EEE10hipError_tPvRmT3_T4_T5_T6_T7_T9_mT8_P12ihipStream_tbDpT10_ENKUlT_T0_E_clISt17integral_constantIbLb0EES1A_EEDaS15_S16_EUlS15_E_NS1_11comp_targetILNS1_3genE2ELNS1_11target_archE906ELNS1_3gpuE6ELNS1_3repE0EEENS1_30default_config_static_selectorELNS0_4arch9wavefront6targetE1EEEvT1_.has_recursion, 0
	.set _ZN7rocprim17ROCPRIM_400000_NS6detail17trampoline_kernelINS0_14default_configENS1_25partition_config_selectorILNS1_17partition_subalgoE9EllbEEZZNS1_14partition_implILS5_9ELb0ES3_jPlS8_PNS0_10empty_typeENS0_5tupleIJS8_S9_EEENSB_IJS8_SA_EEENS0_18inequality_wrapperIZN2at6native12_GLOBAL__N_124unique_dim_cuda_templateIdEESt5tupleIJNSF_6TensorESK_SK_EERKSK_lbbbEUlllE0_EEPmJS9_EEE10hipError_tPvRmT3_T4_T5_T6_T7_T9_mT8_P12ihipStream_tbDpT10_ENKUlT_T0_E_clISt17integral_constantIbLb0EES1A_EEDaS15_S16_EUlS15_E_NS1_11comp_targetILNS1_3genE2ELNS1_11target_archE906ELNS1_3gpuE6ELNS1_3repE0EEENS1_30default_config_static_selectorELNS0_4arch9wavefront6targetE1EEEvT1_.has_indirect_call, 0
	.section	.AMDGPU.csdata,"",@progbits
; Kernel info:
; codeLenInByte = 0
; TotalNumSgprs: 6
; NumVgprs: 0
; NumAgprs: 0
; TotalNumVgprs: 0
; ScratchSize: 0
; MemoryBound: 0
; FloatMode: 240
; IeeeMode: 1
; LDSByteSize: 0 bytes/workgroup (compile time only)
; SGPRBlocks: 0
; VGPRBlocks: 0
; NumSGPRsForWavesPerEU: 6
; NumVGPRsForWavesPerEU: 1
; AccumOffset: 4
; Occupancy: 8
; WaveLimiterHint : 0
; COMPUTE_PGM_RSRC2:SCRATCH_EN: 0
; COMPUTE_PGM_RSRC2:USER_SGPR: 2
; COMPUTE_PGM_RSRC2:TRAP_HANDLER: 0
; COMPUTE_PGM_RSRC2:TGID_X_EN: 1
; COMPUTE_PGM_RSRC2:TGID_Y_EN: 0
; COMPUTE_PGM_RSRC2:TGID_Z_EN: 0
; COMPUTE_PGM_RSRC2:TIDIG_COMP_CNT: 0
; COMPUTE_PGM_RSRC3_GFX90A:ACCUM_OFFSET: 0
; COMPUTE_PGM_RSRC3_GFX90A:TG_SPLIT: 0
	.section	.text._ZN7rocprim17ROCPRIM_400000_NS6detail17trampoline_kernelINS0_14default_configENS1_25partition_config_selectorILNS1_17partition_subalgoE9EllbEEZZNS1_14partition_implILS5_9ELb0ES3_jPlS8_PNS0_10empty_typeENS0_5tupleIJS8_S9_EEENSB_IJS8_SA_EEENS0_18inequality_wrapperIZN2at6native12_GLOBAL__N_124unique_dim_cuda_templateIdEESt5tupleIJNSF_6TensorESK_SK_EERKSK_lbbbEUlllE0_EEPmJS9_EEE10hipError_tPvRmT3_T4_T5_T6_T7_T9_mT8_P12ihipStream_tbDpT10_ENKUlT_T0_E_clISt17integral_constantIbLb0EES1A_EEDaS15_S16_EUlS15_E_NS1_11comp_targetILNS1_3genE10ELNS1_11target_archE1200ELNS1_3gpuE4ELNS1_3repE0EEENS1_30default_config_static_selectorELNS0_4arch9wavefront6targetE1EEEvT1_,"axG",@progbits,_ZN7rocprim17ROCPRIM_400000_NS6detail17trampoline_kernelINS0_14default_configENS1_25partition_config_selectorILNS1_17partition_subalgoE9EllbEEZZNS1_14partition_implILS5_9ELb0ES3_jPlS8_PNS0_10empty_typeENS0_5tupleIJS8_S9_EEENSB_IJS8_SA_EEENS0_18inequality_wrapperIZN2at6native12_GLOBAL__N_124unique_dim_cuda_templateIdEESt5tupleIJNSF_6TensorESK_SK_EERKSK_lbbbEUlllE0_EEPmJS9_EEE10hipError_tPvRmT3_T4_T5_T6_T7_T9_mT8_P12ihipStream_tbDpT10_ENKUlT_T0_E_clISt17integral_constantIbLb0EES1A_EEDaS15_S16_EUlS15_E_NS1_11comp_targetILNS1_3genE10ELNS1_11target_archE1200ELNS1_3gpuE4ELNS1_3repE0EEENS1_30default_config_static_selectorELNS0_4arch9wavefront6targetE1EEEvT1_,comdat
	.globl	_ZN7rocprim17ROCPRIM_400000_NS6detail17trampoline_kernelINS0_14default_configENS1_25partition_config_selectorILNS1_17partition_subalgoE9EllbEEZZNS1_14partition_implILS5_9ELb0ES3_jPlS8_PNS0_10empty_typeENS0_5tupleIJS8_S9_EEENSB_IJS8_SA_EEENS0_18inequality_wrapperIZN2at6native12_GLOBAL__N_124unique_dim_cuda_templateIdEESt5tupleIJNSF_6TensorESK_SK_EERKSK_lbbbEUlllE0_EEPmJS9_EEE10hipError_tPvRmT3_T4_T5_T6_T7_T9_mT8_P12ihipStream_tbDpT10_ENKUlT_T0_E_clISt17integral_constantIbLb0EES1A_EEDaS15_S16_EUlS15_E_NS1_11comp_targetILNS1_3genE10ELNS1_11target_archE1200ELNS1_3gpuE4ELNS1_3repE0EEENS1_30default_config_static_selectorELNS0_4arch9wavefront6targetE1EEEvT1_ ; -- Begin function _ZN7rocprim17ROCPRIM_400000_NS6detail17trampoline_kernelINS0_14default_configENS1_25partition_config_selectorILNS1_17partition_subalgoE9EllbEEZZNS1_14partition_implILS5_9ELb0ES3_jPlS8_PNS0_10empty_typeENS0_5tupleIJS8_S9_EEENSB_IJS8_SA_EEENS0_18inequality_wrapperIZN2at6native12_GLOBAL__N_124unique_dim_cuda_templateIdEESt5tupleIJNSF_6TensorESK_SK_EERKSK_lbbbEUlllE0_EEPmJS9_EEE10hipError_tPvRmT3_T4_T5_T6_T7_T9_mT8_P12ihipStream_tbDpT10_ENKUlT_T0_E_clISt17integral_constantIbLb0EES1A_EEDaS15_S16_EUlS15_E_NS1_11comp_targetILNS1_3genE10ELNS1_11target_archE1200ELNS1_3gpuE4ELNS1_3repE0EEENS1_30default_config_static_selectorELNS0_4arch9wavefront6targetE1EEEvT1_
	.p2align	8
	.type	_ZN7rocprim17ROCPRIM_400000_NS6detail17trampoline_kernelINS0_14default_configENS1_25partition_config_selectorILNS1_17partition_subalgoE9EllbEEZZNS1_14partition_implILS5_9ELb0ES3_jPlS8_PNS0_10empty_typeENS0_5tupleIJS8_S9_EEENSB_IJS8_SA_EEENS0_18inequality_wrapperIZN2at6native12_GLOBAL__N_124unique_dim_cuda_templateIdEESt5tupleIJNSF_6TensorESK_SK_EERKSK_lbbbEUlllE0_EEPmJS9_EEE10hipError_tPvRmT3_T4_T5_T6_T7_T9_mT8_P12ihipStream_tbDpT10_ENKUlT_T0_E_clISt17integral_constantIbLb0EES1A_EEDaS15_S16_EUlS15_E_NS1_11comp_targetILNS1_3genE10ELNS1_11target_archE1200ELNS1_3gpuE4ELNS1_3repE0EEENS1_30default_config_static_selectorELNS0_4arch9wavefront6targetE1EEEvT1_,@function
_ZN7rocprim17ROCPRIM_400000_NS6detail17trampoline_kernelINS0_14default_configENS1_25partition_config_selectorILNS1_17partition_subalgoE9EllbEEZZNS1_14partition_implILS5_9ELb0ES3_jPlS8_PNS0_10empty_typeENS0_5tupleIJS8_S9_EEENSB_IJS8_SA_EEENS0_18inequality_wrapperIZN2at6native12_GLOBAL__N_124unique_dim_cuda_templateIdEESt5tupleIJNSF_6TensorESK_SK_EERKSK_lbbbEUlllE0_EEPmJS9_EEE10hipError_tPvRmT3_T4_T5_T6_T7_T9_mT8_P12ihipStream_tbDpT10_ENKUlT_T0_E_clISt17integral_constantIbLb0EES1A_EEDaS15_S16_EUlS15_E_NS1_11comp_targetILNS1_3genE10ELNS1_11target_archE1200ELNS1_3gpuE4ELNS1_3repE0EEENS1_30default_config_static_selectorELNS0_4arch9wavefront6targetE1EEEvT1_: ; @_ZN7rocprim17ROCPRIM_400000_NS6detail17trampoline_kernelINS0_14default_configENS1_25partition_config_selectorILNS1_17partition_subalgoE9EllbEEZZNS1_14partition_implILS5_9ELb0ES3_jPlS8_PNS0_10empty_typeENS0_5tupleIJS8_S9_EEENSB_IJS8_SA_EEENS0_18inequality_wrapperIZN2at6native12_GLOBAL__N_124unique_dim_cuda_templateIdEESt5tupleIJNSF_6TensorESK_SK_EERKSK_lbbbEUlllE0_EEPmJS9_EEE10hipError_tPvRmT3_T4_T5_T6_T7_T9_mT8_P12ihipStream_tbDpT10_ENKUlT_T0_E_clISt17integral_constantIbLb0EES1A_EEDaS15_S16_EUlS15_E_NS1_11comp_targetILNS1_3genE10ELNS1_11target_archE1200ELNS1_3gpuE4ELNS1_3repE0EEENS1_30default_config_static_selectorELNS0_4arch9wavefront6targetE1EEEvT1_
; %bb.0:
	.section	.rodata,"a",@progbits
	.p2align	6, 0x0
	.amdhsa_kernel _ZN7rocprim17ROCPRIM_400000_NS6detail17trampoline_kernelINS0_14default_configENS1_25partition_config_selectorILNS1_17partition_subalgoE9EllbEEZZNS1_14partition_implILS5_9ELb0ES3_jPlS8_PNS0_10empty_typeENS0_5tupleIJS8_S9_EEENSB_IJS8_SA_EEENS0_18inequality_wrapperIZN2at6native12_GLOBAL__N_124unique_dim_cuda_templateIdEESt5tupleIJNSF_6TensorESK_SK_EERKSK_lbbbEUlllE0_EEPmJS9_EEE10hipError_tPvRmT3_T4_T5_T6_T7_T9_mT8_P12ihipStream_tbDpT10_ENKUlT_T0_E_clISt17integral_constantIbLb0EES1A_EEDaS15_S16_EUlS15_E_NS1_11comp_targetILNS1_3genE10ELNS1_11target_archE1200ELNS1_3gpuE4ELNS1_3repE0EEENS1_30default_config_static_selectorELNS0_4arch9wavefront6targetE1EEEvT1_
		.amdhsa_group_segment_fixed_size 0
		.amdhsa_private_segment_fixed_size 0
		.amdhsa_kernarg_size 120
		.amdhsa_user_sgpr_count 2
		.amdhsa_user_sgpr_dispatch_ptr 0
		.amdhsa_user_sgpr_queue_ptr 0
		.amdhsa_user_sgpr_kernarg_segment_ptr 1
		.amdhsa_user_sgpr_dispatch_id 0
		.amdhsa_user_sgpr_kernarg_preload_length 0
		.amdhsa_user_sgpr_kernarg_preload_offset 0
		.amdhsa_user_sgpr_private_segment_size 0
		.amdhsa_uses_dynamic_stack 0
		.amdhsa_enable_private_segment 0
		.amdhsa_system_sgpr_workgroup_id_x 1
		.amdhsa_system_sgpr_workgroup_id_y 0
		.amdhsa_system_sgpr_workgroup_id_z 0
		.amdhsa_system_sgpr_workgroup_info 0
		.amdhsa_system_vgpr_workitem_id 0
		.amdhsa_next_free_vgpr 1
		.amdhsa_next_free_sgpr 0
		.amdhsa_accum_offset 4
		.amdhsa_reserve_vcc 0
		.amdhsa_float_round_mode_32 0
		.amdhsa_float_round_mode_16_64 0
		.amdhsa_float_denorm_mode_32 3
		.amdhsa_float_denorm_mode_16_64 3
		.amdhsa_dx10_clamp 1
		.amdhsa_ieee_mode 1
		.amdhsa_fp16_overflow 0
		.amdhsa_tg_split 0
		.amdhsa_exception_fp_ieee_invalid_op 0
		.amdhsa_exception_fp_denorm_src 0
		.amdhsa_exception_fp_ieee_div_zero 0
		.amdhsa_exception_fp_ieee_overflow 0
		.amdhsa_exception_fp_ieee_underflow 0
		.amdhsa_exception_fp_ieee_inexact 0
		.amdhsa_exception_int_div_zero 0
	.end_amdhsa_kernel
	.section	.text._ZN7rocprim17ROCPRIM_400000_NS6detail17trampoline_kernelINS0_14default_configENS1_25partition_config_selectorILNS1_17partition_subalgoE9EllbEEZZNS1_14partition_implILS5_9ELb0ES3_jPlS8_PNS0_10empty_typeENS0_5tupleIJS8_S9_EEENSB_IJS8_SA_EEENS0_18inequality_wrapperIZN2at6native12_GLOBAL__N_124unique_dim_cuda_templateIdEESt5tupleIJNSF_6TensorESK_SK_EERKSK_lbbbEUlllE0_EEPmJS9_EEE10hipError_tPvRmT3_T4_T5_T6_T7_T9_mT8_P12ihipStream_tbDpT10_ENKUlT_T0_E_clISt17integral_constantIbLb0EES1A_EEDaS15_S16_EUlS15_E_NS1_11comp_targetILNS1_3genE10ELNS1_11target_archE1200ELNS1_3gpuE4ELNS1_3repE0EEENS1_30default_config_static_selectorELNS0_4arch9wavefront6targetE1EEEvT1_,"axG",@progbits,_ZN7rocprim17ROCPRIM_400000_NS6detail17trampoline_kernelINS0_14default_configENS1_25partition_config_selectorILNS1_17partition_subalgoE9EllbEEZZNS1_14partition_implILS5_9ELb0ES3_jPlS8_PNS0_10empty_typeENS0_5tupleIJS8_S9_EEENSB_IJS8_SA_EEENS0_18inequality_wrapperIZN2at6native12_GLOBAL__N_124unique_dim_cuda_templateIdEESt5tupleIJNSF_6TensorESK_SK_EERKSK_lbbbEUlllE0_EEPmJS9_EEE10hipError_tPvRmT3_T4_T5_T6_T7_T9_mT8_P12ihipStream_tbDpT10_ENKUlT_T0_E_clISt17integral_constantIbLb0EES1A_EEDaS15_S16_EUlS15_E_NS1_11comp_targetILNS1_3genE10ELNS1_11target_archE1200ELNS1_3gpuE4ELNS1_3repE0EEENS1_30default_config_static_selectorELNS0_4arch9wavefront6targetE1EEEvT1_,comdat
.Lfunc_end844:
	.size	_ZN7rocprim17ROCPRIM_400000_NS6detail17trampoline_kernelINS0_14default_configENS1_25partition_config_selectorILNS1_17partition_subalgoE9EllbEEZZNS1_14partition_implILS5_9ELb0ES3_jPlS8_PNS0_10empty_typeENS0_5tupleIJS8_S9_EEENSB_IJS8_SA_EEENS0_18inequality_wrapperIZN2at6native12_GLOBAL__N_124unique_dim_cuda_templateIdEESt5tupleIJNSF_6TensorESK_SK_EERKSK_lbbbEUlllE0_EEPmJS9_EEE10hipError_tPvRmT3_T4_T5_T6_T7_T9_mT8_P12ihipStream_tbDpT10_ENKUlT_T0_E_clISt17integral_constantIbLb0EES1A_EEDaS15_S16_EUlS15_E_NS1_11comp_targetILNS1_3genE10ELNS1_11target_archE1200ELNS1_3gpuE4ELNS1_3repE0EEENS1_30default_config_static_selectorELNS0_4arch9wavefront6targetE1EEEvT1_, .Lfunc_end844-_ZN7rocprim17ROCPRIM_400000_NS6detail17trampoline_kernelINS0_14default_configENS1_25partition_config_selectorILNS1_17partition_subalgoE9EllbEEZZNS1_14partition_implILS5_9ELb0ES3_jPlS8_PNS0_10empty_typeENS0_5tupleIJS8_S9_EEENSB_IJS8_SA_EEENS0_18inequality_wrapperIZN2at6native12_GLOBAL__N_124unique_dim_cuda_templateIdEESt5tupleIJNSF_6TensorESK_SK_EERKSK_lbbbEUlllE0_EEPmJS9_EEE10hipError_tPvRmT3_T4_T5_T6_T7_T9_mT8_P12ihipStream_tbDpT10_ENKUlT_T0_E_clISt17integral_constantIbLb0EES1A_EEDaS15_S16_EUlS15_E_NS1_11comp_targetILNS1_3genE10ELNS1_11target_archE1200ELNS1_3gpuE4ELNS1_3repE0EEENS1_30default_config_static_selectorELNS0_4arch9wavefront6targetE1EEEvT1_
                                        ; -- End function
	.set _ZN7rocprim17ROCPRIM_400000_NS6detail17trampoline_kernelINS0_14default_configENS1_25partition_config_selectorILNS1_17partition_subalgoE9EllbEEZZNS1_14partition_implILS5_9ELb0ES3_jPlS8_PNS0_10empty_typeENS0_5tupleIJS8_S9_EEENSB_IJS8_SA_EEENS0_18inequality_wrapperIZN2at6native12_GLOBAL__N_124unique_dim_cuda_templateIdEESt5tupleIJNSF_6TensorESK_SK_EERKSK_lbbbEUlllE0_EEPmJS9_EEE10hipError_tPvRmT3_T4_T5_T6_T7_T9_mT8_P12ihipStream_tbDpT10_ENKUlT_T0_E_clISt17integral_constantIbLb0EES1A_EEDaS15_S16_EUlS15_E_NS1_11comp_targetILNS1_3genE10ELNS1_11target_archE1200ELNS1_3gpuE4ELNS1_3repE0EEENS1_30default_config_static_selectorELNS0_4arch9wavefront6targetE1EEEvT1_.num_vgpr, 0
	.set _ZN7rocprim17ROCPRIM_400000_NS6detail17trampoline_kernelINS0_14default_configENS1_25partition_config_selectorILNS1_17partition_subalgoE9EllbEEZZNS1_14partition_implILS5_9ELb0ES3_jPlS8_PNS0_10empty_typeENS0_5tupleIJS8_S9_EEENSB_IJS8_SA_EEENS0_18inequality_wrapperIZN2at6native12_GLOBAL__N_124unique_dim_cuda_templateIdEESt5tupleIJNSF_6TensorESK_SK_EERKSK_lbbbEUlllE0_EEPmJS9_EEE10hipError_tPvRmT3_T4_T5_T6_T7_T9_mT8_P12ihipStream_tbDpT10_ENKUlT_T0_E_clISt17integral_constantIbLb0EES1A_EEDaS15_S16_EUlS15_E_NS1_11comp_targetILNS1_3genE10ELNS1_11target_archE1200ELNS1_3gpuE4ELNS1_3repE0EEENS1_30default_config_static_selectorELNS0_4arch9wavefront6targetE1EEEvT1_.num_agpr, 0
	.set _ZN7rocprim17ROCPRIM_400000_NS6detail17trampoline_kernelINS0_14default_configENS1_25partition_config_selectorILNS1_17partition_subalgoE9EllbEEZZNS1_14partition_implILS5_9ELb0ES3_jPlS8_PNS0_10empty_typeENS0_5tupleIJS8_S9_EEENSB_IJS8_SA_EEENS0_18inequality_wrapperIZN2at6native12_GLOBAL__N_124unique_dim_cuda_templateIdEESt5tupleIJNSF_6TensorESK_SK_EERKSK_lbbbEUlllE0_EEPmJS9_EEE10hipError_tPvRmT3_T4_T5_T6_T7_T9_mT8_P12ihipStream_tbDpT10_ENKUlT_T0_E_clISt17integral_constantIbLb0EES1A_EEDaS15_S16_EUlS15_E_NS1_11comp_targetILNS1_3genE10ELNS1_11target_archE1200ELNS1_3gpuE4ELNS1_3repE0EEENS1_30default_config_static_selectorELNS0_4arch9wavefront6targetE1EEEvT1_.numbered_sgpr, 0
	.set _ZN7rocprim17ROCPRIM_400000_NS6detail17trampoline_kernelINS0_14default_configENS1_25partition_config_selectorILNS1_17partition_subalgoE9EllbEEZZNS1_14partition_implILS5_9ELb0ES3_jPlS8_PNS0_10empty_typeENS0_5tupleIJS8_S9_EEENSB_IJS8_SA_EEENS0_18inequality_wrapperIZN2at6native12_GLOBAL__N_124unique_dim_cuda_templateIdEESt5tupleIJNSF_6TensorESK_SK_EERKSK_lbbbEUlllE0_EEPmJS9_EEE10hipError_tPvRmT3_T4_T5_T6_T7_T9_mT8_P12ihipStream_tbDpT10_ENKUlT_T0_E_clISt17integral_constantIbLb0EES1A_EEDaS15_S16_EUlS15_E_NS1_11comp_targetILNS1_3genE10ELNS1_11target_archE1200ELNS1_3gpuE4ELNS1_3repE0EEENS1_30default_config_static_selectorELNS0_4arch9wavefront6targetE1EEEvT1_.num_named_barrier, 0
	.set _ZN7rocprim17ROCPRIM_400000_NS6detail17trampoline_kernelINS0_14default_configENS1_25partition_config_selectorILNS1_17partition_subalgoE9EllbEEZZNS1_14partition_implILS5_9ELb0ES3_jPlS8_PNS0_10empty_typeENS0_5tupleIJS8_S9_EEENSB_IJS8_SA_EEENS0_18inequality_wrapperIZN2at6native12_GLOBAL__N_124unique_dim_cuda_templateIdEESt5tupleIJNSF_6TensorESK_SK_EERKSK_lbbbEUlllE0_EEPmJS9_EEE10hipError_tPvRmT3_T4_T5_T6_T7_T9_mT8_P12ihipStream_tbDpT10_ENKUlT_T0_E_clISt17integral_constantIbLb0EES1A_EEDaS15_S16_EUlS15_E_NS1_11comp_targetILNS1_3genE10ELNS1_11target_archE1200ELNS1_3gpuE4ELNS1_3repE0EEENS1_30default_config_static_selectorELNS0_4arch9wavefront6targetE1EEEvT1_.private_seg_size, 0
	.set _ZN7rocprim17ROCPRIM_400000_NS6detail17trampoline_kernelINS0_14default_configENS1_25partition_config_selectorILNS1_17partition_subalgoE9EllbEEZZNS1_14partition_implILS5_9ELb0ES3_jPlS8_PNS0_10empty_typeENS0_5tupleIJS8_S9_EEENSB_IJS8_SA_EEENS0_18inequality_wrapperIZN2at6native12_GLOBAL__N_124unique_dim_cuda_templateIdEESt5tupleIJNSF_6TensorESK_SK_EERKSK_lbbbEUlllE0_EEPmJS9_EEE10hipError_tPvRmT3_T4_T5_T6_T7_T9_mT8_P12ihipStream_tbDpT10_ENKUlT_T0_E_clISt17integral_constantIbLb0EES1A_EEDaS15_S16_EUlS15_E_NS1_11comp_targetILNS1_3genE10ELNS1_11target_archE1200ELNS1_3gpuE4ELNS1_3repE0EEENS1_30default_config_static_selectorELNS0_4arch9wavefront6targetE1EEEvT1_.uses_vcc, 0
	.set _ZN7rocprim17ROCPRIM_400000_NS6detail17trampoline_kernelINS0_14default_configENS1_25partition_config_selectorILNS1_17partition_subalgoE9EllbEEZZNS1_14partition_implILS5_9ELb0ES3_jPlS8_PNS0_10empty_typeENS0_5tupleIJS8_S9_EEENSB_IJS8_SA_EEENS0_18inequality_wrapperIZN2at6native12_GLOBAL__N_124unique_dim_cuda_templateIdEESt5tupleIJNSF_6TensorESK_SK_EERKSK_lbbbEUlllE0_EEPmJS9_EEE10hipError_tPvRmT3_T4_T5_T6_T7_T9_mT8_P12ihipStream_tbDpT10_ENKUlT_T0_E_clISt17integral_constantIbLb0EES1A_EEDaS15_S16_EUlS15_E_NS1_11comp_targetILNS1_3genE10ELNS1_11target_archE1200ELNS1_3gpuE4ELNS1_3repE0EEENS1_30default_config_static_selectorELNS0_4arch9wavefront6targetE1EEEvT1_.uses_flat_scratch, 0
	.set _ZN7rocprim17ROCPRIM_400000_NS6detail17trampoline_kernelINS0_14default_configENS1_25partition_config_selectorILNS1_17partition_subalgoE9EllbEEZZNS1_14partition_implILS5_9ELb0ES3_jPlS8_PNS0_10empty_typeENS0_5tupleIJS8_S9_EEENSB_IJS8_SA_EEENS0_18inequality_wrapperIZN2at6native12_GLOBAL__N_124unique_dim_cuda_templateIdEESt5tupleIJNSF_6TensorESK_SK_EERKSK_lbbbEUlllE0_EEPmJS9_EEE10hipError_tPvRmT3_T4_T5_T6_T7_T9_mT8_P12ihipStream_tbDpT10_ENKUlT_T0_E_clISt17integral_constantIbLb0EES1A_EEDaS15_S16_EUlS15_E_NS1_11comp_targetILNS1_3genE10ELNS1_11target_archE1200ELNS1_3gpuE4ELNS1_3repE0EEENS1_30default_config_static_selectorELNS0_4arch9wavefront6targetE1EEEvT1_.has_dyn_sized_stack, 0
	.set _ZN7rocprim17ROCPRIM_400000_NS6detail17trampoline_kernelINS0_14default_configENS1_25partition_config_selectorILNS1_17partition_subalgoE9EllbEEZZNS1_14partition_implILS5_9ELb0ES3_jPlS8_PNS0_10empty_typeENS0_5tupleIJS8_S9_EEENSB_IJS8_SA_EEENS0_18inequality_wrapperIZN2at6native12_GLOBAL__N_124unique_dim_cuda_templateIdEESt5tupleIJNSF_6TensorESK_SK_EERKSK_lbbbEUlllE0_EEPmJS9_EEE10hipError_tPvRmT3_T4_T5_T6_T7_T9_mT8_P12ihipStream_tbDpT10_ENKUlT_T0_E_clISt17integral_constantIbLb0EES1A_EEDaS15_S16_EUlS15_E_NS1_11comp_targetILNS1_3genE10ELNS1_11target_archE1200ELNS1_3gpuE4ELNS1_3repE0EEENS1_30default_config_static_selectorELNS0_4arch9wavefront6targetE1EEEvT1_.has_recursion, 0
	.set _ZN7rocprim17ROCPRIM_400000_NS6detail17trampoline_kernelINS0_14default_configENS1_25partition_config_selectorILNS1_17partition_subalgoE9EllbEEZZNS1_14partition_implILS5_9ELb0ES3_jPlS8_PNS0_10empty_typeENS0_5tupleIJS8_S9_EEENSB_IJS8_SA_EEENS0_18inequality_wrapperIZN2at6native12_GLOBAL__N_124unique_dim_cuda_templateIdEESt5tupleIJNSF_6TensorESK_SK_EERKSK_lbbbEUlllE0_EEPmJS9_EEE10hipError_tPvRmT3_T4_T5_T6_T7_T9_mT8_P12ihipStream_tbDpT10_ENKUlT_T0_E_clISt17integral_constantIbLb0EES1A_EEDaS15_S16_EUlS15_E_NS1_11comp_targetILNS1_3genE10ELNS1_11target_archE1200ELNS1_3gpuE4ELNS1_3repE0EEENS1_30default_config_static_selectorELNS0_4arch9wavefront6targetE1EEEvT1_.has_indirect_call, 0
	.section	.AMDGPU.csdata,"",@progbits
; Kernel info:
; codeLenInByte = 0
; TotalNumSgprs: 6
; NumVgprs: 0
; NumAgprs: 0
; TotalNumVgprs: 0
; ScratchSize: 0
; MemoryBound: 0
; FloatMode: 240
; IeeeMode: 1
; LDSByteSize: 0 bytes/workgroup (compile time only)
; SGPRBlocks: 0
; VGPRBlocks: 0
; NumSGPRsForWavesPerEU: 6
; NumVGPRsForWavesPerEU: 1
; AccumOffset: 4
; Occupancy: 8
; WaveLimiterHint : 0
; COMPUTE_PGM_RSRC2:SCRATCH_EN: 0
; COMPUTE_PGM_RSRC2:USER_SGPR: 2
; COMPUTE_PGM_RSRC2:TRAP_HANDLER: 0
; COMPUTE_PGM_RSRC2:TGID_X_EN: 1
; COMPUTE_PGM_RSRC2:TGID_Y_EN: 0
; COMPUTE_PGM_RSRC2:TGID_Z_EN: 0
; COMPUTE_PGM_RSRC2:TIDIG_COMP_CNT: 0
; COMPUTE_PGM_RSRC3_GFX90A:ACCUM_OFFSET: 0
; COMPUTE_PGM_RSRC3_GFX90A:TG_SPLIT: 0
	.section	.text._ZN7rocprim17ROCPRIM_400000_NS6detail17trampoline_kernelINS0_14default_configENS1_25partition_config_selectorILNS1_17partition_subalgoE9EllbEEZZNS1_14partition_implILS5_9ELb0ES3_jPlS8_PNS0_10empty_typeENS0_5tupleIJS8_S9_EEENSB_IJS8_SA_EEENS0_18inequality_wrapperIZN2at6native12_GLOBAL__N_124unique_dim_cuda_templateIdEESt5tupleIJNSF_6TensorESK_SK_EERKSK_lbbbEUlllE0_EEPmJS9_EEE10hipError_tPvRmT3_T4_T5_T6_T7_T9_mT8_P12ihipStream_tbDpT10_ENKUlT_T0_E_clISt17integral_constantIbLb0EES1A_EEDaS15_S16_EUlS15_E_NS1_11comp_targetILNS1_3genE9ELNS1_11target_archE1100ELNS1_3gpuE3ELNS1_3repE0EEENS1_30default_config_static_selectorELNS0_4arch9wavefront6targetE1EEEvT1_,"axG",@progbits,_ZN7rocprim17ROCPRIM_400000_NS6detail17trampoline_kernelINS0_14default_configENS1_25partition_config_selectorILNS1_17partition_subalgoE9EllbEEZZNS1_14partition_implILS5_9ELb0ES3_jPlS8_PNS0_10empty_typeENS0_5tupleIJS8_S9_EEENSB_IJS8_SA_EEENS0_18inequality_wrapperIZN2at6native12_GLOBAL__N_124unique_dim_cuda_templateIdEESt5tupleIJNSF_6TensorESK_SK_EERKSK_lbbbEUlllE0_EEPmJS9_EEE10hipError_tPvRmT3_T4_T5_T6_T7_T9_mT8_P12ihipStream_tbDpT10_ENKUlT_T0_E_clISt17integral_constantIbLb0EES1A_EEDaS15_S16_EUlS15_E_NS1_11comp_targetILNS1_3genE9ELNS1_11target_archE1100ELNS1_3gpuE3ELNS1_3repE0EEENS1_30default_config_static_selectorELNS0_4arch9wavefront6targetE1EEEvT1_,comdat
	.globl	_ZN7rocprim17ROCPRIM_400000_NS6detail17trampoline_kernelINS0_14default_configENS1_25partition_config_selectorILNS1_17partition_subalgoE9EllbEEZZNS1_14partition_implILS5_9ELb0ES3_jPlS8_PNS0_10empty_typeENS0_5tupleIJS8_S9_EEENSB_IJS8_SA_EEENS0_18inequality_wrapperIZN2at6native12_GLOBAL__N_124unique_dim_cuda_templateIdEESt5tupleIJNSF_6TensorESK_SK_EERKSK_lbbbEUlllE0_EEPmJS9_EEE10hipError_tPvRmT3_T4_T5_T6_T7_T9_mT8_P12ihipStream_tbDpT10_ENKUlT_T0_E_clISt17integral_constantIbLb0EES1A_EEDaS15_S16_EUlS15_E_NS1_11comp_targetILNS1_3genE9ELNS1_11target_archE1100ELNS1_3gpuE3ELNS1_3repE0EEENS1_30default_config_static_selectorELNS0_4arch9wavefront6targetE1EEEvT1_ ; -- Begin function _ZN7rocprim17ROCPRIM_400000_NS6detail17trampoline_kernelINS0_14default_configENS1_25partition_config_selectorILNS1_17partition_subalgoE9EllbEEZZNS1_14partition_implILS5_9ELb0ES3_jPlS8_PNS0_10empty_typeENS0_5tupleIJS8_S9_EEENSB_IJS8_SA_EEENS0_18inequality_wrapperIZN2at6native12_GLOBAL__N_124unique_dim_cuda_templateIdEESt5tupleIJNSF_6TensorESK_SK_EERKSK_lbbbEUlllE0_EEPmJS9_EEE10hipError_tPvRmT3_T4_T5_T6_T7_T9_mT8_P12ihipStream_tbDpT10_ENKUlT_T0_E_clISt17integral_constantIbLb0EES1A_EEDaS15_S16_EUlS15_E_NS1_11comp_targetILNS1_3genE9ELNS1_11target_archE1100ELNS1_3gpuE3ELNS1_3repE0EEENS1_30default_config_static_selectorELNS0_4arch9wavefront6targetE1EEEvT1_
	.p2align	8
	.type	_ZN7rocprim17ROCPRIM_400000_NS6detail17trampoline_kernelINS0_14default_configENS1_25partition_config_selectorILNS1_17partition_subalgoE9EllbEEZZNS1_14partition_implILS5_9ELb0ES3_jPlS8_PNS0_10empty_typeENS0_5tupleIJS8_S9_EEENSB_IJS8_SA_EEENS0_18inequality_wrapperIZN2at6native12_GLOBAL__N_124unique_dim_cuda_templateIdEESt5tupleIJNSF_6TensorESK_SK_EERKSK_lbbbEUlllE0_EEPmJS9_EEE10hipError_tPvRmT3_T4_T5_T6_T7_T9_mT8_P12ihipStream_tbDpT10_ENKUlT_T0_E_clISt17integral_constantIbLb0EES1A_EEDaS15_S16_EUlS15_E_NS1_11comp_targetILNS1_3genE9ELNS1_11target_archE1100ELNS1_3gpuE3ELNS1_3repE0EEENS1_30default_config_static_selectorELNS0_4arch9wavefront6targetE1EEEvT1_,@function
_ZN7rocprim17ROCPRIM_400000_NS6detail17trampoline_kernelINS0_14default_configENS1_25partition_config_selectorILNS1_17partition_subalgoE9EllbEEZZNS1_14partition_implILS5_9ELb0ES3_jPlS8_PNS0_10empty_typeENS0_5tupleIJS8_S9_EEENSB_IJS8_SA_EEENS0_18inequality_wrapperIZN2at6native12_GLOBAL__N_124unique_dim_cuda_templateIdEESt5tupleIJNSF_6TensorESK_SK_EERKSK_lbbbEUlllE0_EEPmJS9_EEE10hipError_tPvRmT3_T4_T5_T6_T7_T9_mT8_P12ihipStream_tbDpT10_ENKUlT_T0_E_clISt17integral_constantIbLb0EES1A_EEDaS15_S16_EUlS15_E_NS1_11comp_targetILNS1_3genE9ELNS1_11target_archE1100ELNS1_3gpuE3ELNS1_3repE0EEENS1_30default_config_static_selectorELNS0_4arch9wavefront6targetE1EEEvT1_: ; @_ZN7rocprim17ROCPRIM_400000_NS6detail17trampoline_kernelINS0_14default_configENS1_25partition_config_selectorILNS1_17partition_subalgoE9EllbEEZZNS1_14partition_implILS5_9ELb0ES3_jPlS8_PNS0_10empty_typeENS0_5tupleIJS8_S9_EEENSB_IJS8_SA_EEENS0_18inequality_wrapperIZN2at6native12_GLOBAL__N_124unique_dim_cuda_templateIdEESt5tupleIJNSF_6TensorESK_SK_EERKSK_lbbbEUlllE0_EEPmJS9_EEE10hipError_tPvRmT3_T4_T5_T6_T7_T9_mT8_P12ihipStream_tbDpT10_ENKUlT_T0_E_clISt17integral_constantIbLb0EES1A_EEDaS15_S16_EUlS15_E_NS1_11comp_targetILNS1_3genE9ELNS1_11target_archE1100ELNS1_3gpuE3ELNS1_3repE0EEENS1_30default_config_static_selectorELNS0_4arch9wavefront6targetE1EEEvT1_
; %bb.0:
	.section	.rodata,"a",@progbits
	.p2align	6, 0x0
	.amdhsa_kernel _ZN7rocprim17ROCPRIM_400000_NS6detail17trampoline_kernelINS0_14default_configENS1_25partition_config_selectorILNS1_17partition_subalgoE9EllbEEZZNS1_14partition_implILS5_9ELb0ES3_jPlS8_PNS0_10empty_typeENS0_5tupleIJS8_S9_EEENSB_IJS8_SA_EEENS0_18inequality_wrapperIZN2at6native12_GLOBAL__N_124unique_dim_cuda_templateIdEESt5tupleIJNSF_6TensorESK_SK_EERKSK_lbbbEUlllE0_EEPmJS9_EEE10hipError_tPvRmT3_T4_T5_T6_T7_T9_mT8_P12ihipStream_tbDpT10_ENKUlT_T0_E_clISt17integral_constantIbLb0EES1A_EEDaS15_S16_EUlS15_E_NS1_11comp_targetILNS1_3genE9ELNS1_11target_archE1100ELNS1_3gpuE3ELNS1_3repE0EEENS1_30default_config_static_selectorELNS0_4arch9wavefront6targetE1EEEvT1_
		.amdhsa_group_segment_fixed_size 0
		.amdhsa_private_segment_fixed_size 0
		.amdhsa_kernarg_size 120
		.amdhsa_user_sgpr_count 2
		.amdhsa_user_sgpr_dispatch_ptr 0
		.amdhsa_user_sgpr_queue_ptr 0
		.amdhsa_user_sgpr_kernarg_segment_ptr 1
		.amdhsa_user_sgpr_dispatch_id 0
		.amdhsa_user_sgpr_kernarg_preload_length 0
		.amdhsa_user_sgpr_kernarg_preload_offset 0
		.amdhsa_user_sgpr_private_segment_size 0
		.amdhsa_uses_dynamic_stack 0
		.amdhsa_enable_private_segment 0
		.amdhsa_system_sgpr_workgroup_id_x 1
		.amdhsa_system_sgpr_workgroup_id_y 0
		.amdhsa_system_sgpr_workgroup_id_z 0
		.amdhsa_system_sgpr_workgroup_info 0
		.amdhsa_system_vgpr_workitem_id 0
		.amdhsa_next_free_vgpr 1
		.amdhsa_next_free_sgpr 0
		.amdhsa_accum_offset 4
		.amdhsa_reserve_vcc 0
		.amdhsa_float_round_mode_32 0
		.amdhsa_float_round_mode_16_64 0
		.amdhsa_float_denorm_mode_32 3
		.amdhsa_float_denorm_mode_16_64 3
		.amdhsa_dx10_clamp 1
		.amdhsa_ieee_mode 1
		.amdhsa_fp16_overflow 0
		.amdhsa_tg_split 0
		.amdhsa_exception_fp_ieee_invalid_op 0
		.amdhsa_exception_fp_denorm_src 0
		.amdhsa_exception_fp_ieee_div_zero 0
		.amdhsa_exception_fp_ieee_overflow 0
		.amdhsa_exception_fp_ieee_underflow 0
		.amdhsa_exception_fp_ieee_inexact 0
		.amdhsa_exception_int_div_zero 0
	.end_amdhsa_kernel
	.section	.text._ZN7rocprim17ROCPRIM_400000_NS6detail17trampoline_kernelINS0_14default_configENS1_25partition_config_selectorILNS1_17partition_subalgoE9EllbEEZZNS1_14partition_implILS5_9ELb0ES3_jPlS8_PNS0_10empty_typeENS0_5tupleIJS8_S9_EEENSB_IJS8_SA_EEENS0_18inequality_wrapperIZN2at6native12_GLOBAL__N_124unique_dim_cuda_templateIdEESt5tupleIJNSF_6TensorESK_SK_EERKSK_lbbbEUlllE0_EEPmJS9_EEE10hipError_tPvRmT3_T4_T5_T6_T7_T9_mT8_P12ihipStream_tbDpT10_ENKUlT_T0_E_clISt17integral_constantIbLb0EES1A_EEDaS15_S16_EUlS15_E_NS1_11comp_targetILNS1_3genE9ELNS1_11target_archE1100ELNS1_3gpuE3ELNS1_3repE0EEENS1_30default_config_static_selectorELNS0_4arch9wavefront6targetE1EEEvT1_,"axG",@progbits,_ZN7rocprim17ROCPRIM_400000_NS6detail17trampoline_kernelINS0_14default_configENS1_25partition_config_selectorILNS1_17partition_subalgoE9EllbEEZZNS1_14partition_implILS5_9ELb0ES3_jPlS8_PNS0_10empty_typeENS0_5tupleIJS8_S9_EEENSB_IJS8_SA_EEENS0_18inequality_wrapperIZN2at6native12_GLOBAL__N_124unique_dim_cuda_templateIdEESt5tupleIJNSF_6TensorESK_SK_EERKSK_lbbbEUlllE0_EEPmJS9_EEE10hipError_tPvRmT3_T4_T5_T6_T7_T9_mT8_P12ihipStream_tbDpT10_ENKUlT_T0_E_clISt17integral_constantIbLb0EES1A_EEDaS15_S16_EUlS15_E_NS1_11comp_targetILNS1_3genE9ELNS1_11target_archE1100ELNS1_3gpuE3ELNS1_3repE0EEENS1_30default_config_static_selectorELNS0_4arch9wavefront6targetE1EEEvT1_,comdat
.Lfunc_end845:
	.size	_ZN7rocprim17ROCPRIM_400000_NS6detail17trampoline_kernelINS0_14default_configENS1_25partition_config_selectorILNS1_17partition_subalgoE9EllbEEZZNS1_14partition_implILS5_9ELb0ES3_jPlS8_PNS0_10empty_typeENS0_5tupleIJS8_S9_EEENSB_IJS8_SA_EEENS0_18inequality_wrapperIZN2at6native12_GLOBAL__N_124unique_dim_cuda_templateIdEESt5tupleIJNSF_6TensorESK_SK_EERKSK_lbbbEUlllE0_EEPmJS9_EEE10hipError_tPvRmT3_T4_T5_T6_T7_T9_mT8_P12ihipStream_tbDpT10_ENKUlT_T0_E_clISt17integral_constantIbLb0EES1A_EEDaS15_S16_EUlS15_E_NS1_11comp_targetILNS1_3genE9ELNS1_11target_archE1100ELNS1_3gpuE3ELNS1_3repE0EEENS1_30default_config_static_selectorELNS0_4arch9wavefront6targetE1EEEvT1_, .Lfunc_end845-_ZN7rocprim17ROCPRIM_400000_NS6detail17trampoline_kernelINS0_14default_configENS1_25partition_config_selectorILNS1_17partition_subalgoE9EllbEEZZNS1_14partition_implILS5_9ELb0ES3_jPlS8_PNS0_10empty_typeENS0_5tupleIJS8_S9_EEENSB_IJS8_SA_EEENS0_18inequality_wrapperIZN2at6native12_GLOBAL__N_124unique_dim_cuda_templateIdEESt5tupleIJNSF_6TensorESK_SK_EERKSK_lbbbEUlllE0_EEPmJS9_EEE10hipError_tPvRmT3_T4_T5_T6_T7_T9_mT8_P12ihipStream_tbDpT10_ENKUlT_T0_E_clISt17integral_constantIbLb0EES1A_EEDaS15_S16_EUlS15_E_NS1_11comp_targetILNS1_3genE9ELNS1_11target_archE1100ELNS1_3gpuE3ELNS1_3repE0EEENS1_30default_config_static_selectorELNS0_4arch9wavefront6targetE1EEEvT1_
                                        ; -- End function
	.set _ZN7rocprim17ROCPRIM_400000_NS6detail17trampoline_kernelINS0_14default_configENS1_25partition_config_selectorILNS1_17partition_subalgoE9EllbEEZZNS1_14partition_implILS5_9ELb0ES3_jPlS8_PNS0_10empty_typeENS0_5tupleIJS8_S9_EEENSB_IJS8_SA_EEENS0_18inequality_wrapperIZN2at6native12_GLOBAL__N_124unique_dim_cuda_templateIdEESt5tupleIJNSF_6TensorESK_SK_EERKSK_lbbbEUlllE0_EEPmJS9_EEE10hipError_tPvRmT3_T4_T5_T6_T7_T9_mT8_P12ihipStream_tbDpT10_ENKUlT_T0_E_clISt17integral_constantIbLb0EES1A_EEDaS15_S16_EUlS15_E_NS1_11comp_targetILNS1_3genE9ELNS1_11target_archE1100ELNS1_3gpuE3ELNS1_3repE0EEENS1_30default_config_static_selectorELNS0_4arch9wavefront6targetE1EEEvT1_.num_vgpr, 0
	.set _ZN7rocprim17ROCPRIM_400000_NS6detail17trampoline_kernelINS0_14default_configENS1_25partition_config_selectorILNS1_17partition_subalgoE9EllbEEZZNS1_14partition_implILS5_9ELb0ES3_jPlS8_PNS0_10empty_typeENS0_5tupleIJS8_S9_EEENSB_IJS8_SA_EEENS0_18inequality_wrapperIZN2at6native12_GLOBAL__N_124unique_dim_cuda_templateIdEESt5tupleIJNSF_6TensorESK_SK_EERKSK_lbbbEUlllE0_EEPmJS9_EEE10hipError_tPvRmT3_T4_T5_T6_T7_T9_mT8_P12ihipStream_tbDpT10_ENKUlT_T0_E_clISt17integral_constantIbLb0EES1A_EEDaS15_S16_EUlS15_E_NS1_11comp_targetILNS1_3genE9ELNS1_11target_archE1100ELNS1_3gpuE3ELNS1_3repE0EEENS1_30default_config_static_selectorELNS0_4arch9wavefront6targetE1EEEvT1_.num_agpr, 0
	.set _ZN7rocprim17ROCPRIM_400000_NS6detail17trampoline_kernelINS0_14default_configENS1_25partition_config_selectorILNS1_17partition_subalgoE9EllbEEZZNS1_14partition_implILS5_9ELb0ES3_jPlS8_PNS0_10empty_typeENS0_5tupleIJS8_S9_EEENSB_IJS8_SA_EEENS0_18inequality_wrapperIZN2at6native12_GLOBAL__N_124unique_dim_cuda_templateIdEESt5tupleIJNSF_6TensorESK_SK_EERKSK_lbbbEUlllE0_EEPmJS9_EEE10hipError_tPvRmT3_T4_T5_T6_T7_T9_mT8_P12ihipStream_tbDpT10_ENKUlT_T0_E_clISt17integral_constantIbLb0EES1A_EEDaS15_S16_EUlS15_E_NS1_11comp_targetILNS1_3genE9ELNS1_11target_archE1100ELNS1_3gpuE3ELNS1_3repE0EEENS1_30default_config_static_selectorELNS0_4arch9wavefront6targetE1EEEvT1_.numbered_sgpr, 0
	.set _ZN7rocprim17ROCPRIM_400000_NS6detail17trampoline_kernelINS0_14default_configENS1_25partition_config_selectorILNS1_17partition_subalgoE9EllbEEZZNS1_14partition_implILS5_9ELb0ES3_jPlS8_PNS0_10empty_typeENS0_5tupleIJS8_S9_EEENSB_IJS8_SA_EEENS0_18inequality_wrapperIZN2at6native12_GLOBAL__N_124unique_dim_cuda_templateIdEESt5tupleIJNSF_6TensorESK_SK_EERKSK_lbbbEUlllE0_EEPmJS9_EEE10hipError_tPvRmT3_T4_T5_T6_T7_T9_mT8_P12ihipStream_tbDpT10_ENKUlT_T0_E_clISt17integral_constantIbLb0EES1A_EEDaS15_S16_EUlS15_E_NS1_11comp_targetILNS1_3genE9ELNS1_11target_archE1100ELNS1_3gpuE3ELNS1_3repE0EEENS1_30default_config_static_selectorELNS0_4arch9wavefront6targetE1EEEvT1_.num_named_barrier, 0
	.set _ZN7rocprim17ROCPRIM_400000_NS6detail17trampoline_kernelINS0_14default_configENS1_25partition_config_selectorILNS1_17partition_subalgoE9EllbEEZZNS1_14partition_implILS5_9ELb0ES3_jPlS8_PNS0_10empty_typeENS0_5tupleIJS8_S9_EEENSB_IJS8_SA_EEENS0_18inequality_wrapperIZN2at6native12_GLOBAL__N_124unique_dim_cuda_templateIdEESt5tupleIJNSF_6TensorESK_SK_EERKSK_lbbbEUlllE0_EEPmJS9_EEE10hipError_tPvRmT3_T4_T5_T6_T7_T9_mT8_P12ihipStream_tbDpT10_ENKUlT_T0_E_clISt17integral_constantIbLb0EES1A_EEDaS15_S16_EUlS15_E_NS1_11comp_targetILNS1_3genE9ELNS1_11target_archE1100ELNS1_3gpuE3ELNS1_3repE0EEENS1_30default_config_static_selectorELNS0_4arch9wavefront6targetE1EEEvT1_.private_seg_size, 0
	.set _ZN7rocprim17ROCPRIM_400000_NS6detail17trampoline_kernelINS0_14default_configENS1_25partition_config_selectorILNS1_17partition_subalgoE9EllbEEZZNS1_14partition_implILS5_9ELb0ES3_jPlS8_PNS0_10empty_typeENS0_5tupleIJS8_S9_EEENSB_IJS8_SA_EEENS0_18inequality_wrapperIZN2at6native12_GLOBAL__N_124unique_dim_cuda_templateIdEESt5tupleIJNSF_6TensorESK_SK_EERKSK_lbbbEUlllE0_EEPmJS9_EEE10hipError_tPvRmT3_T4_T5_T6_T7_T9_mT8_P12ihipStream_tbDpT10_ENKUlT_T0_E_clISt17integral_constantIbLb0EES1A_EEDaS15_S16_EUlS15_E_NS1_11comp_targetILNS1_3genE9ELNS1_11target_archE1100ELNS1_3gpuE3ELNS1_3repE0EEENS1_30default_config_static_selectorELNS0_4arch9wavefront6targetE1EEEvT1_.uses_vcc, 0
	.set _ZN7rocprim17ROCPRIM_400000_NS6detail17trampoline_kernelINS0_14default_configENS1_25partition_config_selectorILNS1_17partition_subalgoE9EllbEEZZNS1_14partition_implILS5_9ELb0ES3_jPlS8_PNS0_10empty_typeENS0_5tupleIJS8_S9_EEENSB_IJS8_SA_EEENS0_18inequality_wrapperIZN2at6native12_GLOBAL__N_124unique_dim_cuda_templateIdEESt5tupleIJNSF_6TensorESK_SK_EERKSK_lbbbEUlllE0_EEPmJS9_EEE10hipError_tPvRmT3_T4_T5_T6_T7_T9_mT8_P12ihipStream_tbDpT10_ENKUlT_T0_E_clISt17integral_constantIbLb0EES1A_EEDaS15_S16_EUlS15_E_NS1_11comp_targetILNS1_3genE9ELNS1_11target_archE1100ELNS1_3gpuE3ELNS1_3repE0EEENS1_30default_config_static_selectorELNS0_4arch9wavefront6targetE1EEEvT1_.uses_flat_scratch, 0
	.set _ZN7rocprim17ROCPRIM_400000_NS6detail17trampoline_kernelINS0_14default_configENS1_25partition_config_selectorILNS1_17partition_subalgoE9EllbEEZZNS1_14partition_implILS5_9ELb0ES3_jPlS8_PNS0_10empty_typeENS0_5tupleIJS8_S9_EEENSB_IJS8_SA_EEENS0_18inequality_wrapperIZN2at6native12_GLOBAL__N_124unique_dim_cuda_templateIdEESt5tupleIJNSF_6TensorESK_SK_EERKSK_lbbbEUlllE0_EEPmJS9_EEE10hipError_tPvRmT3_T4_T5_T6_T7_T9_mT8_P12ihipStream_tbDpT10_ENKUlT_T0_E_clISt17integral_constantIbLb0EES1A_EEDaS15_S16_EUlS15_E_NS1_11comp_targetILNS1_3genE9ELNS1_11target_archE1100ELNS1_3gpuE3ELNS1_3repE0EEENS1_30default_config_static_selectorELNS0_4arch9wavefront6targetE1EEEvT1_.has_dyn_sized_stack, 0
	.set _ZN7rocprim17ROCPRIM_400000_NS6detail17trampoline_kernelINS0_14default_configENS1_25partition_config_selectorILNS1_17partition_subalgoE9EllbEEZZNS1_14partition_implILS5_9ELb0ES3_jPlS8_PNS0_10empty_typeENS0_5tupleIJS8_S9_EEENSB_IJS8_SA_EEENS0_18inequality_wrapperIZN2at6native12_GLOBAL__N_124unique_dim_cuda_templateIdEESt5tupleIJNSF_6TensorESK_SK_EERKSK_lbbbEUlllE0_EEPmJS9_EEE10hipError_tPvRmT3_T4_T5_T6_T7_T9_mT8_P12ihipStream_tbDpT10_ENKUlT_T0_E_clISt17integral_constantIbLb0EES1A_EEDaS15_S16_EUlS15_E_NS1_11comp_targetILNS1_3genE9ELNS1_11target_archE1100ELNS1_3gpuE3ELNS1_3repE0EEENS1_30default_config_static_selectorELNS0_4arch9wavefront6targetE1EEEvT1_.has_recursion, 0
	.set _ZN7rocprim17ROCPRIM_400000_NS6detail17trampoline_kernelINS0_14default_configENS1_25partition_config_selectorILNS1_17partition_subalgoE9EllbEEZZNS1_14partition_implILS5_9ELb0ES3_jPlS8_PNS0_10empty_typeENS0_5tupleIJS8_S9_EEENSB_IJS8_SA_EEENS0_18inequality_wrapperIZN2at6native12_GLOBAL__N_124unique_dim_cuda_templateIdEESt5tupleIJNSF_6TensorESK_SK_EERKSK_lbbbEUlllE0_EEPmJS9_EEE10hipError_tPvRmT3_T4_T5_T6_T7_T9_mT8_P12ihipStream_tbDpT10_ENKUlT_T0_E_clISt17integral_constantIbLb0EES1A_EEDaS15_S16_EUlS15_E_NS1_11comp_targetILNS1_3genE9ELNS1_11target_archE1100ELNS1_3gpuE3ELNS1_3repE0EEENS1_30default_config_static_selectorELNS0_4arch9wavefront6targetE1EEEvT1_.has_indirect_call, 0
	.section	.AMDGPU.csdata,"",@progbits
; Kernel info:
; codeLenInByte = 0
; TotalNumSgprs: 6
; NumVgprs: 0
; NumAgprs: 0
; TotalNumVgprs: 0
; ScratchSize: 0
; MemoryBound: 0
; FloatMode: 240
; IeeeMode: 1
; LDSByteSize: 0 bytes/workgroup (compile time only)
; SGPRBlocks: 0
; VGPRBlocks: 0
; NumSGPRsForWavesPerEU: 6
; NumVGPRsForWavesPerEU: 1
; AccumOffset: 4
; Occupancy: 8
; WaveLimiterHint : 0
; COMPUTE_PGM_RSRC2:SCRATCH_EN: 0
; COMPUTE_PGM_RSRC2:USER_SGPR: 2
; COMPUTE_PGM_RSRC2:TRAP_HANDLER: 0
; COMPUTE_PGM_RSRC2:TGID_X_EN: 1
; COMPUTE_PGM_RSRC2:TGID_Y_EN: 0
; COMPUTE_PGM_RSRC2:TGID_Z_EN: 0
; COMPUTE_PGM_RSRC2:TIDIG_COMP_CNT: 0
; COMPUTE_PGM_RSRC3_GFX90A:ACCUM_OFFSET: 0
; COMPUTE_PGM_RSRC3_GFX90A:TG_SPLIT: 0
	.section	.text._ZN7rocprim17ROCPRIM_400000_NS6detail17trampoline_kernelINS0_14default_configENS1_25partition_config_selectorILNS1_17partition_subalgoE9EllbEEZZNS1_14partition_implILS5_9ELb0ES3_jPlS8_PNS0_10empty_typeENS0_5tupleIJS8_S9_EEENSB_IJS8_SA_EEENS0_18inequality_wrapperIZN2at6native12_GLOBAL__N_124unique_dim_cuda_templateIdEESt5tupleIJNSF_6TensorESK_SK_EERKSK_lbbbEUlllE0_EEPmJS9_EEE10hipError_tPvRmT3_T4_T5_T6_T7_T9_mT8_P12ihipStream_tbDpT10_ENKUlT_T0_E_clISt17integral_constantIbLb0EES1A_EEDaS15_S16_EUlS15_E_NS1_11comp_targetILNS1_3genE8ELNS1_11target_archE1030ELNS1_3gpuE2ELNS1_3repE0EEENS1_30default_config_static_selectorELNS0_4arch9wavefront6targetE1EEEvT1_,"axG",@progbits,_ZN7rocprim17ROCPRIM_400000_NS6detail17trampoline_kernelINS0_14default_configENS1_25partition_config_selectorILNS1_17partition_subalgoE9EllbEEZZNS1_14partition_implILS5_9ELb0ES3_jPlS8_PNS0_10empty_typeENS0_5tupleIJS8_S9_EEENSB_IJS8_SA_EEENS0_18inequality_wrapperIZN2at6native12_GLOBAL__N_124unique_dim_cuda_templateIdEESt5tupleIJNSF_6TensorESK_SK_EERKSK_lbbbEUlllE0_EEPmJS9_EEE10hipError_tPvRmT3_T4_T5_T6_T7_T9_mT8_P12ihipStream_tbDpT10_ENKUlT_T0_E_clISt17integral_constantIbLb0EES1A_EEDaS15_S16_EUlS15_E_NS1_11comp_targetILNS1_3genE8ELNS1_11target_archE1030ELNS1_3gpuE2ELNS1_3repE0EEENS1_30default_config_static_selectorELNS0_4arch9wavefront6targetE1EEEvT1_,comdat
	.globl	_ZN7rocprim17ROCPRIM_400000_NS6detail17trampoline_kernelINS0_14default_configENS1_25partition_config_selectorILNS1_17partition_subalgoE9EllbEEZZNS1_14partition_implILS5_9ELb0ES3_jPlS8_PNS0_10empty_typeENS0_5tupleIJS8_S9_EEENSB_IJS8_SA_EEENS0_18inequality_wrapperIZN2at6native12_GLOBAL__N_124unique_dim_cuda_templateIdEESt5tupleIJNSF_6TensorESK_SK_EERKSK_lbbbEUlllE0_EEPmJS9_EEE10hipError_tPvRmT3_T4_T5_T6_T7_T9_mT8_P12ihipStream_tbDpT10_ENKUlT_T0_E_clISt17integral_constantIbLb0EES1A_EEDaS15_S16_EUlS15_E_NS1_11comp_targetILNS1_3genE8ELNS1_11target_archE1030ELNS1_3gpuE2ELNS1_3repE0EEENS1_30default_config_static_selectorELNS0_4arch9wavefront6targetE1EEEvT1_ ; -- Begin function _ZN7rocprim17ROCPRIM_400000_NS6detail17trampoline_kernelINS0_14default_configENS1_25partition_config_selectorILNS1_17partition_subalgoE9EllbEEZZNS1_14partition_implILS5_9ELb0ES3_jPlS8_PNS0_10empty_typeENS0_5tupleIJS8_S9_EEENSB_IJS8_SA_EEENS0_18inequality_wrapperIZN2at6native12_GLOBAL__N_124unique_dim_cuda_templateIdEESt5tupleIJNSF_6TensorESK_SK_EERKSK_lbbbEUlllE0_EEPmJS9_EEE10hipError_tPvRmT3_T4_T5_T6_T7_T9_mT8_P12ihipStream_tbDpT10_ENKUlT_T0_E_clISt17integral_constantIbLb0EES1A_EEDaS15_S16_EUlS15_E_NS1_11comp_targetILNS1_3genE8ELNS1_11target_archE1030ELNS1_3gpuE2ELNS1_3repE0EEENS1_30default_config_static_selectorELNS0_4arch9wavefront6targetE1EEEvT1_
	.p2align	8
	.type	_ZN7rocprim17ROCPRIM_400000_NS6detail17trampoline_kernelINS0_14default_configENS1_25partition_config_selectorILNS1_17partition_subalgoE9EllbEEZZNS1_14partition_implILS5_9ELb0ES3_jPlS8_PNS0_10empty_typeENS0_5tupleIJS8_S9_EEENSB_IJS8_SA_EEENS0_18inequality_wrapperIZN2at6native12_GLOBAL__N_124unique_dim_cuda_templateIdEESt5tupleIJNSF_6TensorESK_SK_EERKSK_lbbbEUlllE0_EEPmJS9_EEE10hipError_tPvRmT3_T4_T5_T6_T7_T9_mT8_P12ihipStream_tbDpT10_ENKUlT_T0_E_clISt17integral_constantIbLb0EES1A_EEDaS15_S16_EUlS15_E_NS1_11comp_targetILNS1_3genE8ELNS1_11target_archE1030ELNS1_3gpuE2ELNS1_3repE0EEENS1_30default_config_static_selectorELNS0_4arch9wavefront6targetE1EEEvT1_,@function
_ZN7rocprim17ROCPRIM_400000_NS6detail17trampoline_kernelINS0_14default_configENS1_25partition_config_selectorILNS1_17partition_subalgoE9EllbEEZZNS1_14partition_implILS5_9ELb0ES3_jPlS8_PNS0_10empty_typeENS0_5tupleIJS8_S9_EEENSB_IJS8_SA_EEENS0_18inequality_wrapperIZN2at6native12_GLOBAL__N_124unique_dim_cuda_templateIdEESt5tupleIJNSF_6TensorESK_SK_EERKSK_lbbbEUlllE0_EEPmJS9_EEE10hipError_tPvRmT3_T4_T5_T6_T7_T9_mT8_P12ihipStream_tbDpT10_ENKUlT_T0_E_clISt17integral_constantIbLb0EES1A_EEDaS15_S16_EUlS15_E_NS1_11comp_targetILNS1_3genE8ELNS1_11target_archE1030ELNS1_3gpuE2ELNS1_3repE0EEENS1_30default_config_static_selectorELNS0_4arch9wavefront6targetE1EEEvT1_: ; @_ZN7rocprim17ROCPRIM_400000_NS6detail17trampoline_kernelINS0_14default_configENS1_25partition_config_selectorILNS1_17partition_subalgoE9EllbEEZZNS1_14partition_implILS5_9ELb0ES3_jPlS8_PNS0_10empty_typeENS0_5tupleIJS8_S9_EEENSB_IJS8_SA_EEENS0_18inequality_wrapperIZN2at6native12_GLOBAL__N_124unique_dim_cuda_templateIdEESt5tupleIJNSF_6TensorESK_SK_EERKSK_lbbbEUlllE0_EEPmJS9_EEE10hipError_tPvRmT3_T4_T5_T6_T7_T9_mT8_P12ihipStream_tbDpT10_ENKUlT_T0_E_clISt17integral_constantIbLb0EES1A_EEDaS15_S16_EUlS15_E_NS1_11comp_targetILNS1_3genE8ELNS1_11target_archE1030ELNS1_3gpuE2ELNS1_3repE0EEENS1_30default_config_static_selectorELNS0_4arch9wavefront6targetE1EEEvT1_
; %bb.0:
	.section	.rodata,"a",@progbits
	.p2align	6, 0x0
	.amdhsa_kernel _ZN7rocprim17ROCPRIM_400000_NS6detail17trampoline_kernelINS0_14default_configENS1_25partition_config_selectorILNS1_17partition_subalgoE9EllbEEZZNS1_14partition_implILS5_9ELb0ES3_jPlS8_PNS0_10empty_typeENS0_5tupleIJS8_S9_EEENSB_IJS8_SA_EEENS0_18inequality_wrapperIZN2at6native12_GLOBAL__N_124unique_dim_cuda_templateIdEESt5tupleIJNSF_6TensorESK_SK_EERKSK_lbbbEUlllE0_EEPmJS9_EEE10hipError_tPvRmT3_T4_T5_T6_T7_T9_mT8_P12ihipStream_tbDpT10_ENKUlT_T0_E_clISt17integral_constantIbLb0EES1A_EEDaS15_S16_EUlS15_E_NS1_11comp_targetILNS1_3genE8ELNS1_11target_archE1030ELNS1_3gpuE2ELNS1_3repE0EEENS1_30default_config_static_selectorELNS0_4arch9wavefront6targetE1EEEvT1_
		.amdhsa_group_segment_fixed_size 0
		.amdhsa_private_segment_fixed_size 0
		.amdhsa_kernarg_size 120
		.amdhsa_user_sgpr_count 2
		.amdhsa_user_sgpr_dispatch_ptr 0
		.amdhsa_user_sgpr_queue_ptr 0
		.amdhsa_user_sgpr_kernarg_segment_ptr 1
		.amdhsa_user_sgpr_dispatch_id 0
		.amdhsa_user_sgpr_kernarg_preload_length 0
		.amdhsa_user_sgpr_kernarg_preload_offset 0
		.amdhsa_user_sgpr_private_segment_size 0
		.amdhsa_uses_dynamic_stack 0
		.amdhsa_enable_private_segment 0
		.amdhsa_system_sgpr_workgroup_id_x 1
		.amdhsa_system_sgpr_workgroup_id_y 0
		.amdhsa_system_sgpr_workgroup_id_z 0
		.amdhsa_system_sgpr_workgroup_info 0
		.amdhsa_system_vgpr_workitem_id 0
		.amdhsa_next_free_vgpr 1
		.amdhsa_next_free_sgpr 0
		.amdhsa_accum_offset 4
		.amdhsa_reserve_vcc 0
		.amdhsa_float_round_mode_32 0
		.amdhsa_float_round_mode_16_64 0
		.amdhsa_float_denorm_mode_32 3
		.amdhsa_float_denorm_mode_16_64 3
		.amdhsa_dx10_clamp 1
		.amdhsa_ieee_mode 1
		.amdhsa_fp16_overflow 0
		.amdhsa_tg_split 0
		.amdhsa_exception_fp_ieee_invalid_op 0
		.amdhsa_exception_fp_denorm_src 0
		.amdhsa_exception_fp_ieee_div_zero 0
		.amdhsa_exception_fp_ieee_overflow 0
		.amdhsa_exception_fp_ieee_underflow 0
		.amdhsa_exception_fp_ieee_inexact 0
		.amdhsa_exception_int_div_zero 0
	.end_amdhsa_kernel
	.section	.text._ZN7rocprim17ROCPRIM_400000_NS6detail17trampoline_kernelINS0_14default_configENS1_25partition_config_selectorILNS1_17partition_subalgoE9EllbEEZZNS1_14partition_implILS5_9ELb0ES3_jPlS8_PNS0_10empty_typeENS0_5tupleIJS8_S9_EEENSB_IJS8_SA_EEENS0_18inequality_wrapperIZN2at6native12_GLOBAL__N_124unique_dim_cuda_templateIdEESt5tupleIJNSF_6TensorESK_SK_EERKSK_lbbbEUlllE0_EEPmJS9_EEE10hipError_tPvRmT3_T4_T5_T6_T7_T9_mT8_P12ihipStream_tbDpT10_ENKUlT_T0_E_clISt17integral_constantIbLb0EES1A_EEDaS15_S16_EUlS15_E_NS1_11comp_targetILNS1_3genE8ELNS1_11target_archE1030ELNS1_3gpuE2ELNS1_3repE0EEENS1_30default_config_static_selectorELNS0_4arch9wavefront6targetE1EEEvT1_,"axG",@progbits,_ZN7rocprim17ROCPRIM_400000_NS6detail17trampoline_kernelINS0_14default_configENS1_25partition_config_selectorILNS1_17partition_subalgoE9EllbEEZZNS1_14partition_implILS5_9ELb0ES3_jPlS8_PNS0_10empty_typeENS0_5tupleIJS8_S9_EEENSB_IJS8_SA_EEENS0_18inequality_wrapperIZN2at6native12_GLOBAL__N_124unique_dim_cuda_templateIdEESt5tupleIJNSF_6TensorESK_SK_EERKSK_lbbbEUlllE0_EEPmJS9_EEE10hipError_tPvRmT3_T4_T5_T6_T7_T9_mT8_P12ihipStream_tbDpT10_ENKUlT_T0_E_clISt17integral_constantIbLb0EES1A_EEDaS15_S16_EUlS15_E_NS1_11comp_targetILNS1_3genE8ELNS1_11target_archE1030ELNS1_3gpuE2ELNS1_3repE0EEENS1_30default_config_static_selectorELNS0_4arch9wavefront6targetE1EEEvT1_,comdat
.Lfunc_end846:
	.size	_ZN7rocprim17ROCPRIM_400000_NS6detail17trampoline_kernelINS0_14default_configENS1_25partition_config_selectorILNS1_17partition_subalgoE9EllbEEZZNS1_14partition_implILS5_9ELb0ES3_jPlS8_PNS0_10empty_typeENS0_5tupleIJS8_S9_EEENSB_IJS8_SA_EEENS0_18inequality_wrapperIZN2at6native12_GLOBAL__N_124unique_dim_cuda_templateIdEESt5tupleIJNSF_6TensorESK_SK_EERKSK_lbbbEUlllE0_EEPmJS9_EEE10hipError_tPvRmT3_T4_T5_T6_T7_T9_mT8_P12ihipStream_tbDpT10_ENKUlT_T0_E_clISt17integral_constantIbLb0EES1A_EEDaS15_S16_EUlS15_E_NS1_11comp_targetILNS1_3genE8ELNS1_11target_archE1030ELNS1_3gpuE2ELNS1_3repE0EEENS1_30default_config_static_selectorELNS0_4arch9wavefront6targetE1EEEvT1_, .Lfunc_end846-_ZN7rocprim17ROCPRIM_400000_NS6detail17trampoline_kernelINS0_14default_configENS1_25partition_config_selectorILNS1_17partition_subalgoE9EllbEEZZNS1_14partition_implILS5_9ELb0ES3_jPlS8_PNS0_10empty_typeENS0_5tupleIJS8_S9_EEENSB_IJS8_SA_EEENS0_18inequality_wrapperIZN2at6native12_GLOBAL__N_124unique_dim_cuda_templateIdEESt5tupleIJNSF_6TensorESK_SK_EERKSK_lbbbEUlllE0_EEPmJS9_EEE10hipError_tPvRmT3_T4_T5_T6_T7_T9_mT8_P12ihipStream_tbDpT10_ENKUlT_T0_E_clISt17integral_constantIbLb0EES1A_EEDaS15_S16_EUlS15_E_NS1_11comp_targetILNS1_3genE8ELNS1_11target_archE1030ELNS1_3gpuE2ELNS1_3repE0EEENS1_30default_config_static_selectorELNS0_4arch9wavefront6targetE1EEEvT1_
                                        ; -- End function
	.set _ZN7rocprim17ROCPRIM_400000_NS6detail17trampoline_kernelINS0_14default_configENS1_25partition_config_selectorILNS1_17partition_subalgoE9EllbEEZZNS1_14partition_implILS5_9ELb0ES3_jPlS8_PNS0_10empty_typeENS0_5tupleIJS8_S9_EEENSB_IJS8_SA_EEENS0_18inequality_wrapperIZN2at6native12_GLOBAL__N_124unique_dim_cuda_templateIdEESt5tupleIJNSF_6TensorESK_SK_EERKSK_lbbbEUlllE0_EEPmJS9_EEE10hipError_tPvRmT3_T4_T5_T6_T7_T9_mT8_P12ihipStream_tbDpT10_ENKUlT_T0_E_clISt17integral_constantIbLb0EES1A_EEDaS15_S16_EUlS15_E_NS1_11comp_targetILNS1_3genE8ELNS1_11target_archE1030ELNS1_3gpuE2ELNS1_3repE0EEENS1_30default_config_static_selectorELNS0_4arch9wavefront6targetE1EEEvT1_.num_vgpr, 0
	.set _ZN7rocprim17ROCPRIM_400000_NS6detail17trampoline_kernelINS0_14default_configENS1_25partition_config_selectorILNS1_17partition_subalgoE9EllbEEZZNS1_14partition_implILS5_9ELb0ES3_jPlS8_PNS0_10empty_typeENS0_5tupleIJS8_S9_EEENSB_IJS8_SA_EEENS0_18inequality_wrapperIZN2at6native12_GLOBAL__N_124unique_dim_cuda_templateIdEESt5tupleIJNSF_6TensorESK_SK_EERKSK_lbbbEUlllE0_EEPmJS9_EEE10hipError_tPvRmT3_T4_T5_T6_T7_T9_mT8_P12ihipStream_tbDpT10_ENKUlT_T0_E_clISt17integral_constantIbLb0EES1A_EEDaS15_S16_EUlS15_E_NS1_11comp_targetILNS1_3genE8ELNS1_11target_archE1030ELNS1_3gpuE2ELNS1_3repE0EEENS1_30default_config_static_selectorELNS0_4arch9wavefront6targetE1EEEvT1_.num_agpr, 0
	.set _ZN7rocprim17ROCPRIM_400000_NS6detail17trampoline_kernelINS0_14default_configENS1_25partition_config_selectorILNS1_17partition_subalgoE9EllbEEZZNS1_14partition_implILS5_9ELb0ES3_jPlS8_PNS0_10empty_typeENS0_5tupleIJS8_S9_EEENSB_IJS8_SA_EEENS0_18inequality_wrapperIZN2at6native12_GLOBAL__N_124unique_dim_cuda_templateIdEESt5tupleIJNSF_6TensorESK_SK_EERKSK_lbbbEUlllE0_EEPmJS9_EEE10hipError_tPvRmT3_T4_T5_T6_T7_T9_mT8_P12ihipStream_tbDpT10_ENKUlT_T0_E_clISt17integral_constantIbLb0EES1A_EEDaS15_S16_EUlS15_E_NS1_11comp_targetILNS1_3genE8ELNS1_11target_archE1030ELNS1_3gpuE2ELNS1_3repE0EEENS1_30default_config_static_selectorELNS0_4arch9wavefront6targetE1EEEvT1_.numbered_sgpr, 0
	.set _ZN7rocprim17ROCPRIM_400000_NS6detail17trampoline_kernelINS0_14default_configENS1_25partition_config_selectorILNS1_17partition_subalgoE9EllbEEZZNS1_14partition_implILS5_9ELb0ES3_jPlS8_PNS0_10empty_typeENS0_5tupleIJS8_S9_EEENSB_IJS8_SA_EEENS0_18inequality_wrapperIZN2at6native12_GLOBAL__N_124unique_dim_cuda_templateIdEESt5tupleIJNSF_6TensorESK_SK_EERKSK_lbbbEUlllE0_EEPmJS9_EEE10hipError_tPvRmT3_T4_T5_T6_T7_T9_mT8_P12ihipStream_tbDpT10_ENKUlT_T0_E_clISt17integral_constantIbLb0EES1A_EEDaS15_S16_EUlS15_E_NS1_11comp_targetILNS1_3genE8ELNS1_11target_archE1030ELNS1_3gpuE2ELNS1_3repE0EEENS1_30default_config_static_selectorELNS0_4arch9wavefront6targetE1EEEvT1_.num_named_barrier, 0
	.set _ZN7rocprim17ROCPRIM_400000_NS6detail17trampoline_kernelINS0_14default_configENS1_25partition_config_selectorILNS1_17partition_subalgoE9EllbEEZZNS1_14partition_implILS5_9ELb0ES3_jPlS8_PNS0_10empty_typeENS0_5tupleIJS8_S9_EEENSB_IJS8_SA_EEENS0_18inequality_wrapperIZN2at6native12_GLOBAL__N_124unique_dim_cuda_templateIdEESt5tupleIJNSF_6TensorESK_SK_EERKSK_lbbbEUlllE0_EEPmJS9_EEE10hipError_tPvRmT3_T4_T5_T6_T7_T9_mT8_P12ihipStream_tbDpT10_ENKUlT_T0_E_clISt17integral_constantIbLb0EES1A_EEDaS15_S16_EUlS15_E_NS1_11comp_targetILNS1_3genE8ELNS1_11target_archE1030ELNS1_3gpuE2ELNS1_3repE0EEENS1_30default_config_static_selectorELNS0_4arch9wavefront6targetE1EEEvT1_.private_seg_size, 0
	.set _ZN7rocprim17ROCPRIM_400000_NS6detail17trampoline_kernelINS0_14default_configENS1_25partition_config_selectorILNS1_17partition_subalgoE9EllbEEZZNS1_14partition_implILS5_9ELb0ES3_jPlS8_PNS0_10empty_typeENS0_5tupleIJS8_S9_EEENSB_IJS8_SA_EEENS0_18inequality_wrapperIZN2at6native12_GLOBAL__N_124unique_dim_cuda_templateIdEESt5tupleIJNSF_6TensorESK_SK_EERKSK_lbbbEUlllE0_EEPmJS9_EEE10hipError_tPvRmT3_T4_T5_T6_T7_T9_mT8_P12ihipStream_tbDpT10_ENKUlT_T0_E_clISt17integral_constantIbLb0EES1A_EEDaS15_S16_EUlS15_E_NS1_11comp_targetILNS1_3genE8ELNS1_11target_archE1030ELNS1_3gpuE2ELNS1_3repE0EEENS1_30default_config_static_selectorELNS0_4arch9wavefront6targetE1EEEvT1_.uses_vcc, 0
	.set _ZN7rocprim17ROCPRIM_400000_NS6detail17trampoline_kernelINS0_14default_configENS1_25partition_config_selectorILNS1_17partition_subalgoE9EllbEEZZNS1_14partition_implILS5_9ELb0ES3_jPlS8_PNS0_10empty_typeENS0_5tupleIJS8_S9_EEENSB_IJS8_SA_EEENS0_18inequality_wrapperIZN2at6native12_GLOBAL__N_124unique_dim_cuda_templateIdEESt5tupleIJNSF_6TensorESK_SK_EERKSK_lbbbEUlllE0_EEPmJS9_EEE10hipError_tPvRmT3_T4_T5_T6_T7_T9_mT8_P12ihipStream_tbDpT10_ENKUlT_T0_E_clISt17integral_constantIbLb0EES1A_EEDaS15_S16_EUlS15_E_NS1_11comp_targetILNS1_3genE8ELNS1_11target_archE1030ELNS1_3gpuE2ELNS1_3repE0EEENS1_30default_config_static_selectorELNS0_4arch9wavefront6targetE1EEEvT1_.uses_flat_scratch, 0
	.set _ZN7rocprim17ROCPRIM_400000_NS6detail17trampoline_kernelINS0_14default_configENS1_25partition_config_selectorILNS1_17partition_subalgoE9EllbEEZZNS1_14partition_implILS5_9ELb0ES3_jPlS8_PNS0_10empty_typeENS0_5tupleIJS8_S9_EEENSB_IJS8_SA_EEENS0_18inequality_wrapperIZN2at6native12_GLOBAL__N_124unique_dim_cuda_templateIdEESt5tupleIJNSF_6TensorESK_SK_EERKSK_lbbbEUlllE0_EEPmJS9_EEE10hipError_tPvRmT3_T4_T5_T6_T7_T9_mT8_P12ihipStream_tbDpT10_ENKUlT_T0_E_clISt17integral_constantIbLb0EES1A_EEDaS15_S16_EUlS15_E_NS1_11comp_targetILNS1_3genE8ELNS1_11target_archE1030ELNS1_3gpuE2ELNS1_3repE0EEENS1_30default_config_static_selectorELNS0_4arch9wavefront6targetE1EEEvT1_.has_dyn_sized_stack, 0
	.set _ZN7rocprim17ROCPRIM_400000_NS6detail17trampoline_kernelINS0_14default_configENS1_25partition_config_selectorILNS1_17partition_subalgoE9EllbEEZZNS1_14partition_implILS5_9ELb0ES3_jPlS8_PNS0_10empty_typeENS0_5tupleIJS8_S9_EEENSB_IJS8_SA_EEENS0_18inequality_wrapperIZN2at6native12_GLOBAL__N_124unique_dim_cuda_templateIdEESt5tupleIJNSF_6TensorESK_SK_EERKSK_lbbbEUlllE0_EEPmJS9_EEE10hipError_tPvRmT3_T4_T5_T6_T7_T9_mT8_P12ihipStream_tbDpT10_ENKUlT_T0_E_clISt17integral_constantIbLb0EES1A_EEDaS15_S16_EUlS15_E_NS1_11comp_targetILNS1_3genE8ELNS1_11target_archE1030ELNS1_3gpuE2ELNS1_3repE0EEENS1_30default_config_static_selectorELNS0_4arch9wavefront6targetE1EEEvT1_.has_recursion, 0
	.set _ZN7rocprim17ROCPRIM_400000_NS6detail17trampoline_kernelINS0_14default_configENS1_25partition_config_selectorILNS1_17partition_subalgoE9EllbEEZZNS1_14partition_implILS5_9ELb0ES3_jPlS8_PNS0_10empty_typeENS0_5tupleIJS8_S9_EEENSB_IJS8_SA_EEENS0_18inequality_wrapperIZN2at6native12_GLOBAL__N_124unique_dim_cuda_templateIdEESt5tupleIJNSF_6TensorESK_SK_EERKSK_lbbbEUlllE0_EEPmJS9_EEE10hipError_tPvRmT3_T4_T5_T6_T7_T9_mT8_P12ihipStream_tbDpT10_ENKUlT_T0_E_clISt17integral_constantIbLb0EES1A_EEDaS15_S16_EUlS15_E_NS1_11comp_targetILNS1_3genE8ELNS1_11target_archE1030ELNS1_3gpuE2ELNS1_3repE0EEENS1_30default_config_static_selectorELNS0_4arch9wavefront6targetE1EEEvT1_.has_indirect_call, 0
	.section	.AMDGPU.csdata,"",@progbits
; Kernel info:
; codeLenInByte = 0
; TotalNumSgprs: 6
; NumVgprs: 0
; NumAgprs: 0
; TotalNumVgprs: 0
; ScratchSize: 0
; MemoryBound: 0
; FloatMode: 240
; IeeeMode: 1
; LDSByteSize: 0 bytes/workgroup (compile time only)
; SGPRBlocks: 0
; VGPRBlocks: 0
; NumSGPRsForWavesPerEU: 6
; NumVGPRsForWavesPerEU: 1
; AccumOffset: 4
; Occupancy: 8
; WaveLimiterHint : 0
; COMPUTE_PGM_RSRC2:SCRATCH_EN: 0
; COMPUTE_PGM_RSRC2:USER_SGPR: 2
; COMPUTE_PGM_RSRC2:TRAP_HANDLER: 0
; COMPUTE_PGM_RSRC2:TGID_X_EN: 1
; COMPUTE_PGM_RSRC2:TGID_Y_EN: 0
; COMPUTE_PGM_RSRC2:TGID_Z_EN: 0
; COMPUTE_PGM_RSRC2:TIDIG_COMP_CNT: 0
; COMPUTE_PGM_RSRC3_GFX90A:ACCUM_OFFSET: 0
; COMPUTE_PGM_RSRC3_GFX90A:TG_SPLIT: 0
	.section	.text._ZN7rocprim17ROCPRIM_400000_NS6detail17trampoline_kernelINS0_14default_configENS1_25partition_config_selectorILNS1_17partition_subalgoE9EllbEEZZNS1_14partition_implILS5_9ELb0ES3_jPlS8_PNS0_10empty_typeENS0_5tupleIJS8_S9_EEENSB_IJS8_SA_EEENS0_18inequality_wrapperIZN2at6native12_GLOBAL__N_124unique_dim_cuda_templateIdEESt5tupleIJNSF_6TensorESK_SK_EERKSK_lbbbEUlllE0_EEPmJS9_EEE10hipError_tPvRmT3_T4_T5_T6_T7_T9_mT8_P12ihipStream_tbDpT10_ENKUlT_T0_E_clISt17integral_constantIbLb1EES1A_EEDaS15_S16_EUlS15_E_NS1_11comp_targetILNS1_3genE0ELNS1_11target_archE4294967295ELNS1_3gpuE0ELNS1_3repE0EEENS1_30default_config_static_selectorELNS0_4arch9wavefront6targetE1EEEvT1_,"axG",@progbits,_ZN7rocprim17ROCPRIM_400000_NS6detail17trampoline_kernelINS0_14default_configENS1_25partition_config_selectorILNS1_17partition_subalgoE9EllbEEZZNS1_14partition_implILS5_9ELb0ES3_jPlS8_PNS0_10empty_typeENS0_5tupleIJS8_S9_EEENSB_IJS8_SA_EEENS0_18inequality_wrapperIZN2at6native12_GLOBAL__N_124unique_dim_cuda_templateIdEESt5tupleIJNSF_6TensorESK_SK_EERKSK_lbbbEUlllE0_EEPmJS9_EEE10hipError_tPvRmT3_T4_T5_T6_T7_T9_mT8_P12ihipStream_tbDpT10_ENKUlT_T0_E_clISt17integral_constantIbLb1EES1A_EEDaS15_S16_EUlS15_E_NS1_11comp_targetILNS1_3genE0ELNS1_11target_archE4294967295ELNS1_3gpuE0ELNS1_3repE0EEENS1_30default_config_static_selectorELNS0_4arch9wavefront6targetE1EEEvT1_,comdat
	.globl	_ZN7rocprim17ROCPRIM_400000_NS6detail17trampoline_kernelINS0_14default_configENS1_25partition_config_selectorILNS1_17partition_subalgoE9EllbEEZZNS1_14partition_implILS5_9ELb0ES3_jPlS8_PNS0_10empty_typeENS0_5tupleIJS8_S9_EEENSB_IJS8_SA_EEENS0_18inequality_wrapperIZN2at6native12_GLOBAL__N_124unique_dim_cuda_templateIdEESt5tupleIJNSF_6TensorESK_SK_EERKSK_lbbbEUlllE0_EEPmJS9_EEE10hipError_tPvRmT3_T4_T5_T6_T7_T9_mT8_P12ihipStream_tbDpT10_ENKUlT_T0_E_clISt17integral_constantIbLb1EES1A_EEDaS15_S16_EUlS15_E_NS1_11comp_targetILNS1_3genE0ELNS1_11target_archE4294967295ELNS1_3gpuE0ELNS1_3repE0EEENS1_30default_config_static_selectorELNS0_4arch9wavefront6targetE1EEEvT1_ ; -- Begin function _ZN7rocprim17ROCPRIM_400000_NS6detail17trampoline_kernelINS0_14default_configENS1_25partition_config_selectorILNS1_17partition_subalgoE9EllbEEZZNS1_14partition_implILS5_9ELb0ES3_jPlS8_PNS0_10empty_typeENS0_5tupleIJS8_S9_EEENSB_IJS8_SA_EEENS0_18inequality_wrapperIZN2at6native12_GLOBAL__N_124unique_dim_cuda_templateIdEESt5tupleIJNSF_6TensorESK_SK_EERKSK_lbbbEUlllE0_EEPmJS9_EEE10hipError_tPvRmT3_T4_T5_T6_T7_T9_mT8_P12ihipStream_tbDpT10_ENKUlT_T0_E_clISt17integral_constantIbLb1EES1A_EEDaS15_S16_EUlS15_E_NS1_11comp_targetILNS1_3genE0ELNS1_11target_archE4294967295ELNS1_3gpuE0ELNS1_3repE0EEENS1_30default_config_static_selectorELNS0_4arch9wavefront6targetE1EEEvT1_
	.p2align	8
	.type	_ZN7rocprim17ROCPRIM_400000_NS6detail17trampoline_kernelINS0_14default_configENS1_25partition_config_selectorILNS1_17partition_subalgoE9EllbEEZZNS1_14partition_implILS5_9ELb0ES3_jPlS8_PNS0_10empty_typeENS0_5tupleIJS8_S9_EEENSB_IJS8_SA_EEENS0_18inequality_wrapperIZN2at6native12_GLOBAL__N_124unique_dim_cuda_templateIdEESt5tupleIJNSF_6TensorESK_SK_EERKSK_lbbbEUlllE0_EEPmJS9_EEE10hipError_tPvRmT3_T4_T5_T6_T7_T9_mT8_P12ihipStream_tbDpT10_ENKUlT_T0_E_clISt17integral_constantIbLb1EES1A_EEDaS15_S16_EUlS15_E_NS1_11comp_targetILNS1_3genE0ELNS1_11target_archE4294967295ELNS1_3gpuE0ELNS1_3repE0EEENS1_30default_config_static_selectorELNS0_4arch9wavefront6targetE1EEEvT1_,@function
_ZN7rocprim17ROCPRIM_400000_NS6detail17trampoline_kernelINS0_14default_configENS1_25partition_config_selectorILNS1_17partition_subalgoE9EllbEEZZNS1_14partition_implILS5_9ELb0ES3_jPlS8_PNS0_10empty_typeENS0_5tupleIJS8_S9_EEENSB_IJS8_SA_EEENS0_18inequality_wrapperIZN2at6native12_GLOBAL__N_124unique_dim_cuda_templateIdEESt5tupleIJNSF_6TensorESK_SK_EERKSK_lbbbEUlllE0_EEPmJS9_EEE10hipError_tPvRmT3_T4_T5_T6_T7_T9_mT8_P12ihipStream_tbDpT10_ENKUlT_T0_E_clISt17integral_constantIbLb1EES1A_EEDaS15_S16_EUlS15_E_NS1_11comp_targetILNS1_3genE0ELNS1_11target_archE4294967295ELNS1_3gpuE0ELNS1_3repE0EEENS1_30default_config_static_selectorELNS0_4arch9wavefront6targetE1EEEvT1_: ; @_ZN7rocprim17ROCPRIM_400000_NS6detail17trampoline_kernelINS0_14default_configENS1_25partition_config_selectorILNS1_17partition_subalgoE9EllbEEZZNS1_14partition_implILS5_9ELb0ES3_jPlS8_PNS0_10empty_typeENS0_5tupleIJS8_S9_EEENSB_IJS8_SA_EEENS0_18inequality_wrapperIZN2at6native12_GLOBAL__N_124unique_dim_cuda_templateIdEESt5tupleIJNSF_6TensorESK_SK_EERKSK_lbbbEUlllE0_EEPmJS9_EEE10hipError_tPvRmT3_T4_T5_T6_T7_T9_mT8_P12ihipStream_tbDpT10_ENKUlT_T0_E_clISt17integral_constantIbLb1EES1A_EEDaS15_S16_EUlS15_E_NS1_11comp_targetILNS1_3genE0ELNS1_11target_archE4294967295ELNS1_3gpuE0ELNS1_3repE0EEENS1_30default_config_static_selectorELNS0_4arch9wavefront6targetE1EEEvT1_
; %bb.0:
	s_endpgm
	.section	.rodata,"a",@progbits
	.p2align	6, 0x0
	.amdhsa_kernel _ZN7rocprim17ROCPRIM_400000_NS6detail17trampoline_kernelINS0_14default_configENS1_25partition_config_selectorILNS1_17partition_subalgoE9EllbEEZZNS1_14partition_implILS5_9ELb0ES3_jPlS8_PNS0_10empty_typeENS0_5tupleIJS8_S9_EEENSB_IJS8_SA_EEENS0_18inequality_wrapperIZN2at6native12_GLOBAL__N_124unique_dim_cuda_templateIdEESt5tupleIJNSF_6TensorESK_SK_EERKSK_lbbbEUlllE0_EEPmJS9_EEE10hipError_tPvRmT3_T4_T5_T6_T7_T9_mT8_P12ihipStream_tbDpT10_ENKUlT_T0_E_clISt17integral_constantIbLb1EES1A_EEDaS15_S16_EUlS15_E_NS1_11comp_targetILNS1_3genE0ELNS1_11target_archE4294967295ELNS1_3gpuE0ELNS1_3repE0EEENS1_30default_config_static_selectorELNS0_4arch9wavefront6targetE1EEEvT1_
		.amdhsa_group_segment_fixed_size 0
		.amdhsa_private_segment_fixed_size 0
		.amdhsa_kernarg_size 136
		.amdhsa_user_sgpr_count 2
		.amdhsa_user_sgpr_dispatch_ptr 0
		.amdhsa_user_sgpr_queue_ptr 0
		.amdhsa_user_sgpr_kernarg_segment_ptr 1
		.amdhsa_user_sgpr_dispatch_id 0
		.amdhsa_user_sgpr_kernarg_preload_length 0
		.amdhsa_user_sgpr_kernarg_preload_offset 0
		.amdhsa_user_sgpr_private_segment_size 0
		.amdhsa_uses_dynamic_stack 0
		.amdhsa_enable_private_segment 0
		.amdhsa_system_sgpr_workgroup_id_x 1
		.amdhsa_system_sgpr_workgroup_id_y 0
		.amdhsa_system_sgpr_workgroup_id_z 0
		.amdhsa_system_sgpr_workgroup_info 0
		.amdhsa_system_vgpr_workitem_id 0
		.amdhsa_next_free_vgpr 1
		.amdhsa_next_free_sgpr 0
		.amdhsa_accum_offset 4
		.amdhsa_reserve_vcc 0
		.amdhsa_float_round_mode_32 0
		.amdhsa_float_round_mode_16_64 0
		.amdhsa_float_denorm_mode_32 3
		.amdhsa_float_denorm_mode_16_64 3
		.amdhsa_dx10_clamp 1
		.amdhsa_ieee_mode 1
		.amdhsa_fp16_overflow 0
		.amdhsa_tg_split 0
		.amdhsa_exception_fp_ieee_invalid_op 0
		.amdhsa_exception_fp_denorm_src 0
		.amdhsa_exception_fp_ieee_div_zero 0
		.amdhsa_exception_fp_ieee_overflow 0
		.amdhsa_exception_fp_ieee_underflow 0
		.amdhsa_exception_fp_ieee_inexact 0
		.amdhsa_exception_int_div_zero 0
	.end_amdhsa_kernel
	.section	.text._ZN7rocprim17ROCPRIM_400000_NS6detail17trampoline_kernelINS0_14default_configENS1_25partition_config_selectorILNS1_17partition_subalgoE9EllbEEZZNS1_14partition_implILS5_9ELb0ES3_jPlS8_PNS0_10empty_typeENS0_5tupleIJS8_S9_EEENSB_IJS8_SA_EEENS0_18inequality_wrapperIZN2at6native12_GLOBAL__N_124unique_dim_cuda_templateIdEESt5tupleIJNSF_6TensorESK_SK_EERKSK_lbbbEUlllE0_EEPmJS9_EEE10hipError_tPvRmT3_T4_T5_T6_T7_T9_mT8_P12ihipStream_tbDpT10_ENKUlT_T0_E_clISt17integral_constantIbLb1EES1A_EEDaS15_S16_EUlS15_E_NS1_11comp_targetILNS1_3genE0ELNS1_11target_archE4294967295ELNS1_3gpuE0ELNS1_3repE0EEENS1_30default_config_static_selectorELNS0_4arch9wavefront6targetE1EEEvT1_,"axG",@progbits,_ZN7rocprim17ROCPRIM_400000_NS6detail17trampoline_kernelINS0_14default_configENS1_25partition_config_selectorILNS1_17partition_subalgoE9EllbEEZZNS1_14partition_implILS5_9ELb0ES3_jPlS8_PNS0_10empty_typeENS0_5tupleIJS8_S9_EEENSB_IJS8_SA_EEENS0_18inequality_wrapperIZN2at6native12_GLOBAL__N_124unique_dim_cuda_templateIdEESt5tupleIJNSF_6TensorESK_SK_EERKSK_lbbbEUlllE0_EEPmJS9_EEE10hipError_tPvRmT3_T4_T5_T6_T7_T9_mT8_P12ihipStream_tbDpT10_ENKUlT_T0_E_clISt17integral_constantIbLb1EES1A_EEDaS15_S16_EUlS15_E_NS1_11comp_targetILNS1_3genE0ELNS1_11target_archE4294967295ELNS1_3gpuE0ELNS1_3repE0EEENS1_30default_config_static_selectorELNS0_4arch9wavefront6targetE1EEEvT1_,comdat
.Lfunc_end847:
	.size	_ZN7rocprim17ROCPRIM_400000_NS6detail17trampoline_kernelINS0_14default_configENS1_25partition_config_selectorILNS1_17partition_subalgoE9EllbEEZZNS1_14partition_implILS5_9ELb0ES3_jPlS8_PNS0_10empty_typeENS0_5tupleIJS8_S9_EEENSB_IJS8_SA_EEENS0_18inequality_wrapperIZN2at6native12_GLOBAL__N_124unique_dim_cuda_templateIdEESt5tupleIJNSF_6TensorESK_SK_EERKSK_lbbbEUlllE0_EEPmJS9_EEE10hipError_tPvRmT3_T4_T5_T6_T7_T9_mT8_P12ihipStream_tbDpT10_ENKUlT_T0_E_clISt17integral_constantIbLb1EES1A_EEDaS15_S16_EUlS15_E_NS1_11comp_targetILNS1_3genE0ELNS1_11target_archE4294967295ELNS1_3gpuE0ELNS1_3repE0EEENS1_30default_config_static_selectorELNS0_4arch9wavefront6targetE1EEEvT1_, .Lfunc_end847-_ZN7rocprim17ROCPRIM_400000_NS6detail17trampoline_kernelINS0_14default_configENS1_25partition_config_selectorILNS1_17partition_subalgoE9EllbEEZZNS1_14partition_implILS5_9ELb0ES3_jPlS8_PNS0_10empty_typeENS0_5tupleIJS8_S9_EEENSB_IJS8_SA_EEENS0_18inequality_wrapperIZN2at6native12_GLOBAL__N_124unique_dim_cuda_templateIdEESt5tupleIJNSF_6TensorESK_SK_EERKSK_lbbbEUlllE0_EEPmJS9_EEE10hipError_tPvRmT3_T4_T5_T6_T7_T9_mT8_P12ihipStream_tbDpT10_ENKUlT_T0_E_clISt17integral_constantIbLb1EES1A_EEDaS15_S16_EUlS15_E_NS1_11comp_targetILNS1_3genE0ELNS1_11target_archE4294967295ELNS1_3gpuE0ELNS1_3repE0EEENS1_30default_config_static_selectorELNS0_4arch9wavefront6targetE1EEEvT1_
                                        ; -- End function
	.set _ZN7rocprim17ROCPRIM_400000_NS6detail17trampoline_kernelINS0_14default_configENS1_25partition_config_selectorILNS1_17partition_subalgoE9EllbEEZZNS1_14partition_implILS5_9ELb0ES3_jPlS8_PNS0_10empty_typeENS0_5tupleIJS8_S9_EEENSB_IJS8_SA_EEENS0_18inequality_wrapperIZN2at6native12_GLOBAL__N_124unique_dim_cuda_templateIdEESt5tupleIJNSF_6TensorESK_SK_EERKSK_lbbbEUlllE0_EEPmJS9_EEE10hipError_tPvRmT3_T4_T5_T6_T7_T9_mT8_P12ihipStream_tbDpT10_ENKUlT_T0_E_clISt17integral_constantIbLb1EES1A_EEDaS15_S16_EUlS15_E_NS1_11comp_targetILNS1_3genE0ELNS1_11target_archE4294967295ELNS1_3gpuE0ELNS1_3repE0EEENS1_30default_config_static_selectorELNS0_4arch9wavefront6targetE1EEEvT1_.num_vgpr, 0
	.set _ZN7rocprim17ROCPRIM_400000_NS6detail17trampoline_kernelINS0_14default_configENS1_25partition_config_selectorILNS1_17partition_subalgoE9EllbEEZZNS1_14partition_implILS5_9ELb0ES3_jPlS8_PNS0_10empty_typeENS0_5tupleIJS8_S9_EEENSB_IJS8_SA_EEENS0_18inequality_wrapperIZN2at6native12_GLOBAL__N_124unique_dim_cuda_templateIdEESt5tupleIJNSF_6TensorESK_SK_EERKSK_lbbbEUlllE0_EEPmJS9_EEE10hipError_tPvRmT3_T4_T5_T6_T7_T9_mT8_P12ihipStream_tbDpT10_ENKUlT_T0_E_clISt17integral_constantIbLb1EES1A_EEDaS15_S16_EUlS15_E_NS1_11comp_targetILNS1_3genE0ELNS1_11target_archE4294967295ELNS1_3gpuE0ELNS1_3repE0EEENS1_30default_config_static_selectorELNS0_4arch9wavefront6targetE1EEEvT1_.num_agpr, 0
	.set _ZN7rocprim17ROCPRIM_400000_NS6detail17trampoline_kernelINS0_14default_configENS1_25partition_config_selectorILNS1_17partition_subalgoE9EllbEEZZNS1_14partition_implILS5_9ELb0ES3_jPlS8_PNS0_10empty_typeENS0_5tupleIJS8_S9_EEENSB_IJS8_SA_EEENS0_18inequality_wrapperIZN2at6native12_GLOBAL__N_124unique_dim_cuda_templateIdEESt5tupleIJNSF_6TensorESK_SK_EERKSK_lbbbEUlllE0_EEPmJS9_EEE10hipError_tPvRmT3_T4_T5_T6_T7_T9_mT8_P12ihipStream_tbDpT10_ENKUlT_T0_E_clISt17integral_constantIbLb1EES1A_EEDaS15_S16_EUlS15_E_NS1_11comp_targetILNS1_3genE0ELNS1_11target_archE4294967295ELNS1_3gpuE0ELNS1_3repE0EEENS1_30default_config_static_selectorELNS0_4arch9wavefront6targetE1EEEvT1_.numbered_sgpr, 0
	.set _ZN7rocprim17ROCPRIM_400000_NS6detail17trampoline_kernelINS0_14default_configENS1_25partition_config_selectorILNS1_17partition_subalgoE9EllbEEZZNS1_14partition_implILS5_9ELb0ES3_jPlS8_PNS0_10empty_typeENS0_5tupleIJS8_S9_EEENSB_IJS8_SA_EEENS0_18inequality_wrapperIZN2at6native12_GLOBAL__N_124unique_dim_cuda_templateIdEESt5tupleIJNSF_6TensorESK_SK_EERKSK_lbbbEUlllE0_EEPmJS9_EEE10hipError_tPvRmT3_T4_T5_T6_T7_T9_mT8_P12ihipStream_tbDpT10_ENKUlT_T0_E_clISt17integral_constantIbLb1EES1A_EEDaS15_S16_EUlS15_E_NS1_11comp_targetILNS1_3genE0ELNS1_11target_archE4294967295ELNS1_3gpuE0ELNS1_3repE0EEENS1_30default_config_static_selectorELNS0_4arch9wavefront6targetE1EEEvT1_.num_named_barrier, 0
	.set _ZN7rocprim17ROCPRIM_400000_NS6detail17trampoline_kernelINS0_14default_configENS1_25partition_config_selectorILNS1_17partition_subalgoE9EllbEEZZNS1_14partition_implILS5_9ELb0ES3_jPlS8_PNS0_10empty_typeENS0_5tupleIJS8_S9_EEENSB_IJS8_SA_EEENS0_18inequality_wrapperIZN2at6native12_GLOBAL__N_124unique_dim_cuda_templateIdEESt5tupleIJNSF_6TensorESK_SK_EERKSK_lbbbEUlllE0_EEPmJS9_EEE10hipError_tPvRmT3_T4_T5_T6_T7_T9_mT8_P12ihipStream_tbDpT10_ENKUlT_T0_E_clISt17integral_constantIbLb1EES1A_EEDaS15_S16_EUlS15_E_NS1_11comp_targetILNS1_3genE0ELNS1_11target_archE4294967295ELNS1_3gpuE0ELNS1_3repE0EEENS1_30default_config_static_selectorELNS0_4arch9wavefront6targetE1EEEvT1_.private_seg_size, 0
	.set _ZN7rocprim17ROCPRIM_400000_NS6detail17trampoline_kernelINS0_14default_configENS1_25partition_config_selectorILNS1_17partition_subalgoE9EllbEEZZNS1_14partition_implILS5_9ELb0ES3_jPlS8_PNS0_10empty_typeENS0_5tupleIJS8_S9_EEENSB_IJS8_SA_EEENS0_18inequality_wrapperIZN2at6native12_GLOBAL__N_124unique_dim_cuda_templateIdEESt5tupleIJNSF_6TensorESK_SK_EERKSK_lbbbEUlllE0_EEPmJS9_EEE10hipError_tPvRmT3_T4_T5_T6_T7_T9_mT8_P12ihipStream_tbDpT10_ENKUlT_T0_E_clISt17integral_constantIbLb1EES1A_EEDaS15_S16_EUlS15_E_NS1_11comp_targetILNS1_3genE0ELNS1_11target_archE4294967295ELNS1_3gpuE0ELNS1_3repE0EEENS1_30default_config_static_selectorELNS0_4arch9wavefront6targetE1EEEvT1_.uses_vcc, 0
	.set _ZN7rocprim17ROCPRIM_400000_NS6detail17trampoline_kernelINS0_14default_configENS1_25partition_config_selectorILNS1_17partition_subalgoE9EllbEEZZNS1_14partition_implILS5_9ELb0ES3_jPlS8_PNS0_10empty_typeENS0_5tupleIJS8_S9_EEENSB_IJS8_SA_EEENS0_18inequality_wrapperIZN2at6native12_GLOBAL__N_124unique_dim_cuda_templateIdEESt5tupleIJNSF_6TensorESK_SK_EERKSK_lbbbEUlllE0_EEPmJS9_EEE10hipError_tPvRmT3_T4_T5_T6_T7_T9_mT8_P12ihipStream_tbDpT10_ENKUlT_T0_E_clISt17integral_constantIbLb1EES1A_EEDaS15_S16_EUlS15_E_NS1_11comp_targetILNS1_3genE0ELNS1_11target_archE4294967295ELNS1_3gpuE0ELNS1_3repE0EEENS1_30default_config_static_selectorELNS0_4arch9wavefront6targetE1EEEvT1_.uses_flat_scratch, 0
	.set _ZN7rocprim17ROCPRIM_400000_NS6detail17trampoline_kernelINS0_14default_configENS1_25partition_config_selectorILNS1_17partition_subalgoE9EllbEEZZNS1_14partition_implILS5_9ELb0ES3_jPlS8_PNS0_10empty_typeENS0_5tupleIJS8_S9_EEENSB_IJS8_SA_EEENS0_18inequality_wrapperIZN2at6native12_GLOBAL__N_124unique_dim_cuda_templateIdEESt5tupleIJNSF_6TensorESK_SK_EERKSK_lbbbEUlllE0_EEPmJS9_EEE10hipError_tPvRmT3_T4_T5_T6_T7_T9_mT8_P12ihipStream_tbDpT10_ENKUlT_T0_E_clISt17integral_constantIbLb1EES1A_EEDaS15_S16_EUlS15_E_NS1_11comp_targetILNS1_3genE0ELNS1_11target_archE4294967295ELNS1_3gpuE0ELNS1_3repE0EEENS1_30default_config_static_selectorELNS0_4arch9wavefront6targetE1EEEvT1_.has_dyn_sized_stack, 0
	.set _ZN7rocprim17ROCPRIM_400000_NS6detail17trampoline_kernelINS0_14default_configENS1_25partition_config_selectorILNS1_17partition_subalgoE9EllbEEZZNS1_14partition_implILS5_9ELb0ES3_jPlS8_PNS0_10empty_typeENS0_5tupleIJS8_S9_EEENSB_IJS8_SA_EEENS0_18inequality_wrapperIZN2at6native12_GLOBAL__N_124unique_dim_cuda_templateIdEESt5tupleIJNSF_6TensorESK_SK_EERKSK_lbbbEUlllE0_EEPmJS9_EEE10hipError_tPvRmT3_T4_T5_T6_T7_T9_mT8_P12ihipStream_tbDpT10_ENKUlT_T0_E_clISt17integral_constantIbLb1EES1A_EEDaS15_S16_EUlS15_E_NS1_11comp_targetILNS1_3genE0ELNS1_11target_archE4294967295ELNS1_3gpuE0ELNS1_3repE0EEENS1_30default_config_static_selectorELNS0_4arch9wavefront6targetE1EEEvT1_.has_recursion, 0
	.set _ZN7rocprim17ROCPRIM_400000_NS6detail17trampoline_kernelINS0_14default_configENS1_25partition_config_selectorILNS1_17partition_subalgoE9EllbEEZZNS1_14partition_implILS5_9ELb0ES3_jPlS8_PNS0_10empty_typeENS0_5tupleIJS8_S9_EEENSB_IJS8_SA_EEENS0_18inequality_wrapperIZN2at6native12_GLOBAL__N_124unique_dim_cuda_templateIdEESt5tupleIJNSF_6TensorESK_SK_EERKSK_lbbbEUlllE0_EEPmJS9_EEE10hipError_tPvRmT3_T4_T5_T6_T7_T9_mT8_P12ihipStream_tbDpT10_ENKUlT_T0_E_clISt17integral_constantIbLb1EES1A_EEDaS15_S16_EUlS15_E_NS1_11comp_targetILNS1_3genE0ELNS1_11target_archE4294967295ELNS1_3gpuE0ELNS1_3repE0EEENS1_30default_config_static_selectorELNS0_4arch9wavefront6targetE1EEEvT1_.has_indirect_call, 0
	.section	.AMDGPU.csdata,"",@progbits
; Kernel info:
; codeLenInByte = 4
; TotalNumSgprs: 6
; NumVgprs: 0
; NumAgprs: 0
; TotalNumVgprs: 0
; ScratchSize: 0
; MemoryBound: 0
; FloatMode: 240
; IeeeMode: 1
; LDSByteSize: 0 bytes/workgroup (compile time only)
; SGPRBlocks: 0
; VGPRBlocks: 0
; NumSGPRsForWavesPerEU: 6
; NumVGPRsForWavesPerEU: 1
; AccumOffset: 4
; Occupancy: 8
; WaveLimiterHint : 0
; COMPUTE_PGM_RSRC2:SCRATCH_EN: 0
; COMPUTE_PGM_RSRC2:USER_SGPR: 2
; COMPUTE_PGM_RSRC2:TRAP_HANDLER: 0
; COMPUTE_PGM_RSRC2:TGID_X_EN: 1
; COMPUTE_PGM_RSRC2:TGID_Y_EN: 0
; COMPUTE_PGM_RSRC2:TGID_Z_EN: 0
; COMPUTE_PGM_RSRC2:TIDIG_COMP_CNT: 0
; COMPUTE_PGM_RSRC3_GFX90A:ACCUM_OFFSET: 0
; COMPUTE_PGM_RSRC3_GFX90A:TG_SPLIT: 0
	.section	.text._ZN7rocprim17ROCPRIM_400000_NS6detail17trampoline_kernelINS0_14default_configENS1_25partition_config_selectorILNS1_17partition_subalgoE9EllbEEZZNS1_14partition_implILS5_9ELb0ES3_jPlS8_PNS0_10empty_typeENS0_5tupleIJS8_S9_EEENSB_IJS8_SA_EEENS0_18inequality_wrapperIZN2at6native12_GLOBAL__N_124unique_dim_cuda_templateIdEESt5tupleIJNSF_6TensorESK_SK_EERKSK_lbbbEUlllE0_EEPmJS9_EEE10hipError_tPvRmT3_T4_T5_T6_T7_T9_mT8_P12ihipStream_tbDpT10_ENKUlT_T0_E_clISt17integral_constantIbLb1EES1A_EEDaS15_S16_EUlS15_E_NS1_11comp_targetILNS1_3genE5ELNS1_11target_archE942ELNS1_3gpuE9ELNS1_3repE0EEENS1_30default_config_static_selectorELNS0_4arch9wavefront6targetE1EEEvT1_,"axG",@progbits,_ZN7rocprim17ROCPRIM_400000_NS6detail17trampoline_kernelINS0_14default_configENS1_25partition_config_selectorILNS1_17partition_subalgoE9EllbEEZZNS1_14partition_implILS5_9ELb0ES3_jPlS8_PNS0_10empty_typeENS0_5tupleIJS8_S9_EEENSB_IJS8_SA_EEENS0_18inequality_wrapperIZN2at6native12_GLOBAL__N_124unique_dim_cuda_templateIdEESt5tupleIJNSF_6TensorESK_SK_EERKSK_lbbbEUlllE0_EEPmJS9_EEE10hipError_tPvRmT3_T4_T5_T6_T7_T9_mT8_P12ihipStream_tbDpT10_ENKUlT_T0_E_clISt17integral_constantIbLb1EES1A_EEDaS15_S16_EUlS15_E_NS1_11comp_targetILNS1_3genE5ELNS1_11target_archE942ELNS1_3gpuE9ELNS1_3repE0EEENS1_30default_config_static_selectorELNS0_4arch9wavefront6targetE1EEEvT1_,comdat
	.globl	_ZN7rocprim17ROCPRIM_400000_NS6detail17trampoline_kernelINS0_14default_configENS1_25partition_config_selectorILNS1_17partition_subalgoE9EllbEEZZNS1_14partition_implILS5_9ELb0ES3_jPlS8_PNS0_10empty_typeENS0_5tupleIJS8_S9_EEENSB_IJS8_SA_EEENS0_18inequality_wrapperIZN2at6native12_GLOBAL__N_124unique_dim_cuda_templateIdEESt5tupleIJNSF_6TensorESK_SK_EERKSK_lbbbEUlllE0_EEPmJS9_EEE10hipError_tPvRmT3_T4_T5_T6_T7_T9_mT8_P12ihipStream_tbDpT10_ENKUlT_T0_E_clISt17integral_constantIbLb1EES1A_EEDaS15_S16_EUlS15_E_NS1_11comp_targetILNS1_3genE5ELNS1_11target_archE942ELNS1_3gpuE9ELNS1_3repE0EEENS1_30default_config_static_selectorELNS0_4arch9wavefront6targetE1EEEvT1_ ; -- Begin function _ZN7rocprim17ROCPRIM_400000_NS6detail17trampoline_kernelINS0_14default_configENS1_25partition_config_selectorILNS1_17partition_subalgoE9EllbEEZZNS1_14partition_implILS5_9ELb0ES3_jPlS8_PNS0_10empty_typeENS0_5tupleIJS8_S9_EEENSB_IJS8_SA_EEENS0_18inequality_wrapperIZN2at6native12_GLOBAL__N_124unique_dim_cuda_templateIdEESt5tupleIJNSF_6TensorESK_SK_EERKSK_lbbbEUlllE0_EEPmJS9_EEE10hipError_tPvRmT3_T4_T5_T6_T7_T9_mT8_P12ihipStream_tbDpT10_ENKUlT_T0_E_clISt17integral_constantIbLb1EES1A_EEDaS15_S16_EUlS15_E_NS1_11comp_targetILNS1_3genE5ELNS1_11target_archE942ELNS1_3gpuE9ELNS1_3repE0EEENS1_30default_config_static_selectorELNS0_4arch9wavefront6targetE1EEEvT1_
	.p2align	8
	.type	_ZN7rocprim17ROCPRIM_400000_NS6detail17trampoline_kernelINS0_14default_configENS1_25partition_config_selectorILNS1_17partition_subalgoE9EllbEEZZNS1_14partition_implILS5_9ELb0ES3_jPlS8_PNS0_10empty_typeENS0_5tupleIJS8_S9_EEENSB_IJS8_SA_EEENS0_18inequality_wrapperIZN2at6native12_GLOBAL__N_124unique_dim_cuda_templateIdEESt5tupleIJNSF_6TensorESK_SK_EERKSK_lbbbEUlllE0_EEPmJS9_EEE10hipError_tPvRmT3_T4_T5_T6_T7_T9_mT8_P12ihipStream_tbDpT10_ENKUlT_T0_E_clISt17integral_constantIbLb1EES1A_EEDaS15_S16_EUlS15_E_NS1_11comp_targetILNS1_3genE5ELNS1_11target_archE942ELNS1_3gpuE9ELNS1_3repE0EEENS1_30default_config_static_selectorELNS0_4arch9wavefront6targetE1EEEvT1_,@function
_ZN7rocprim17ROCPRIM_400000_NS6detail17trampoline_kernelINS0_14default_configENS1_25partition_config_selectorILNS1_17partition_subalgoE9EllbEEZZNS1_14partition_implILS5_9ELb0ES3_jPlS8_PNS0_10empty_typeENS0_5tupleIJS8_S9_EEENSB_IJS8_SA_EEENS0_18inequality_wrapperIZN2at6native12_GLOBAL__N_124unique_dim_cuda_templateIdEESt5tupleIJNSF_6TensorESK_SK_EERKSK_lbbbEUlllE0_EEPmJS9_EEE10hipError_tPvRmT3_T4_T5_T6_T7_T9_mT8_P12ihipStream_tbDpT10_ENKUlT_T0_E_clISt17integral_constantIbLb1EES1A_EEDaS15_S16_EUlS15_E_NS1_11comp_targetILNS1_3genE5ELNS1_11target_archE942ELNS1_3gpuE9ELNS1_3repE0EEENS1_30default_config_static_selectorELNS0_4arch9wavefront6targetE1EEEvT1_: ; @_ZN7rocprim17ROCPRIM_400000_NS6detail17trampoline_kernelINS0_14default_configENS1_25partition_config_selectorILNS1_17partition_subalgoE9EllbEEZZNS1_14partition_implILS5_9ELb0ES3_jPlS8_PNS0_10empty_typeENS0_5tupleIJS8_S9_EEENSB_IJS8_SA_EEENS0_18inequality_wrapperIZN2at6native12_GLOBAL__N_124unique_dim_cuda_templateIdEESt5tupleIJNSF_6TensorESK_SK_EERKSK_lbbbEUlllE0_EEPmJS9_EEE10hipError_tPvRmT3_T4_T5_T6_T7_T9_mT8_P12ihipStream_tbDpT10_ENKUlT_T0_E_clISt17integral_constantIbLb1EES1A_EEDaS15_S16_EUlS15_E_NS1_11comp_targetILNS1_3genE5ELNS1_11target_archE942ELNS1_3gpuE9ELNS1_3repE0EEENS1_30default_config_static_selectorELNS0_4arch9wavefront6targetE1EEEvT1_
; %bb.0:
	.section	.rodata,"a",@progbits
	.p2align	6, 0x0
	.amdhsa_kernel _ZN7rocprim17ROCPRIM_400000_NS6detail17trampoline_kernelINS0_14default_configENS1_25partition_config_selectorILNS1_17partition_subalgoE9EllbEEZZNS1_14partition_implILS5_9ELb0ES3_jPlS8_PNS0_10empty_typeENS0_5tupleIJS8_S9_EEENSB_IJS8_SA_EEENS0_18inequality_wrapperIZN2at6native12_GLOBAL__N_124unique_dim_cuda_templateIdEESt5tupleIJNSF_6TensorESK_SK_EERKSK_lbbbEUlllE0_EEPmJS9_EEE10hipError_tPvRmT3_T4_T5_T6_T7_T9_mT8_P12ihipStream_tbDpT10_ENKUlT_T0_E_clISt17integral_constantIbLb1EES1A_EEDaS15_S16_EUlS15_E_NS1_11comp_targetILNS1_3genE5ELNS1_11target_archE942ELNS1_3gpuE9ELNS1_3repE0EEENS1_30default_config_static_selectorELNS0_4arch9wavefront6targetE1EEEvT1_
		.amdhsa_group_segment_fixed_size 0
		.amdhsa_private_segment_fixed_size 0
		.amdhsa_kernarg_size 136
		.amdhsa_user_sgpr_count 2
		.amdhsa_user_sgpr_dispatch_ptr 0
		.amdhsa_user_sgpr_queue_ptr 0
		.amdhsa_user_sgpr_kernarg_segment_ptr 1
		.amdhsa_user_sgpr_dispatch_id 0
		.amdhsa_user_sgpr_kernarg_preload_length 0
		.amdhsa_user_sgpr_kernarg_preload_offset 0
		.amdhsa_user_sgpr_private_segment_size 0
		.amdhsa_uses_dynamic_stack 0
		.amdhsa_enable_private_segment 0
		.amdhsa_system_sgpr_workgroup_id_x 1
		.amdhsa_system_sgpr_workgroup_id_y 0
		.amdhsa_system_sgpr_workgroup_id_z 0
		.amdhsa_system_sgpr_workgroup_info 0
		.amdhsa_system_vgpr_workitem_id 0
		.amdhsa_next_free_vgpr 1
		.amdhsa_next_free_sgpr 0
		.amdhsa_accum_offset 4
		.amdhsa_reserve_vcc 0
		.amdhsa_float_round_mode_32 0
		.amdhsa_float_round_mode_16_64 0
		.amdhsa_float_denorm_mode_32 3
		.amdhsa_float_denorm_mode_16_64 3
		.amdhsa_dx10_clamp 1
		.amdhsa_ieee_mode 1
		.amdhsa_fp16_overflow 0
		.amdhsa_tg_split 0
		.amdhsa_exception_fp_ieee_invalid_op 0
		.amdhsa_exception_fp_denorm_src 0
		.amdhsa_exception_fp_ieee_div_zero 0
		.amdhsa_exception_fp_ieee_overflow 0
		.amdhsa_exception_fp_ieee_underflow 0
		.amdhsa_exception_fp_ieee_inexact 0
		.amdhsa_exception_int_div_zero 0
	.end_amdhsa_kernel
	.section	.text._ZN7rocprim17ROCPRIM_400000_NS6detail17trampoline_kernelINS0_14default_configENS1_25partition_config_selectorILNS1_17partition_subalgoE9EllbEEZZNS1_14partition_implILS5_9ELb0ES3_jPlS8_PNS0_10empty_typeENS0_5tupleIJS8_S9_EEENSB_IJS8_SA_EEENS0_18inequality_wrapperIZN2at6native12_GLOBAL__N_124unique_dim_cuda_templateIdEESt5tupleIJNSF_6TensorESK_SK_EERKSK_lbbbEUlllE0_EEPmJS9_EEE10hipError_tPvRmT3_T4_T5_T6_T7_T9_mT8_P12ihipStream_tbDpT10_ENKUlT_T0_E_clISt17integral_constantIbLb1EES1A_EEDaS15_S16_EUlS15_E_NS1_11comp_targetILNS1_3genE5ELNS1_11target_archE942ELNS1_3gpuE9ELNS1_3repE0EEENS1_30default_config_static_selectorELNS0_4arch9wavefront6targetE1EEEvT1_,"axG",@progbits,_ZN7rocprim17ROCPRIM_400000_NS6detail17trampoline_kernelINS0_14default_configENS1_25partition_config_selectorILNS1_17partition_subalgoE9EllbEEZZNS1_14partition_implILS5_9ELb0ES3_jPlS8_PNS0_10empty_typeENS0_5tupleIJS8_S9_EEENSB_IJS8_SA_EEENS0_18inequality_wrapperIZN2at6native12_GLOBAL__N_124unique_dim_cuda_templateIdEESt5tupleIJNSF_6TensorESK_SK_EERKSK_lbbbEUlllE0_EEPmJS9_EEE10hipError_tPvRmT3_T4_T5_T6_T7_T9_mT8_P12ihipStream_tbDpT10_ENKUlT_T0_E_clISt17integral_constantIbLb1EES1A_EEDaS15_S16_EUlS15_E_NS1_11comp_targetILNS1_3genE5ELNS1_11target_archE942ELNS1_3gpuE9ELNS1_3repE0EEENS1_30default_config_static_selectorELNS0_4arch9wavefront6targetE1EEEvT1_,comdat
.Lfunc_end848:
	.size	_ZN7rocprim17ROCPRIM_400000_NS6detail17trampoline_kernelINS0_14default_configENS1_25partition_config_selectorILNS1_17partition_subalgoE9EllbEEZZNS1_14partition_implILS5_9ELb0ES3_jPlS8_PNS0_10empty_typeENS0_5tupleIJS8_S9_EEENSB_IJS8_SA_EEENS0_18inequality_wrapperIZN2at6native12_GLOBAL__N_124unique_dim_cuda_templateIdEESt5tupleIJNSF_6TensorESK_SK_EERKSK_lbbbEUlllE0_EEPmJS9_EEE10hipError_tPvRmT3_T4_T5_T6_T7_T9_mT8_P12ihipStream_tbDpT10_ENKUlT_T0_E_clISt17integral_constantIbLb1EES1A_EEDaS15_S16_EUlS15_E_NS1_11comp_targetILNS1_3genE5ELNS1_11target_archE942ELNS1_3gpuE9ELNS1_3repE0EEENS1_30default_config_static_selectorELNS0_4arch9wavefront6targetE1EEEvT1_, .Lfunc_end848-_ZN7rocprim17ROCPRIM_400000_NS6detail17trampoline_kernelINS0_14default_configENS1_25partition_config_selectorILNS1_17partition_subalgoE9EllbEEZZNS1_14partition_implILS5_9ELb0ES3_jPlS8_PNS0_10empty_typeENS0_5tupleIJS8_S9_EEENSB_IJS8_SA_EEENS0_18inequality_wrapperIZN2at6native12_GLOBAL__N_124unique_dim_cuda_templateIdEESt5tupleIJNSF_6TensorESK_SK_EERKSK_lbbbEUlllE0_EEPmJS9_EEE10hipError_tPvRmT3_T4_T5_T6_T7_T9_mT8_P12ihipStream_tbDpT10_ENKUlT_T0_E_clISt17integral_constantIbLb1EES1A_EEDaS15_S16_EUlS15_E_NS1_11comp_targetILNS1_3genE5ELNS1_11target_archE942ELNS1_3gpuE9ELNS1_3repE0EEENS1_30default_config_static_selectorELNS0_4arch9wavefront6targetE1EEEvT1_
                                        ; -- End function
	.set _ZN7rocprim17ROCPRIM_400000_NS6detail17trampoline_kernelINS0_14default_configENS1_25partition_config_selectorILNS1_17partition_subalgoE9EllbEEZZNS1_14partition_implILS5_9ELb0ES3_jPlS8_PNS0_10empty_typeENS0_5tupleIJS8_S9_EEENSB_IJS8_SA_EEENS0_18inequality_wrapperIZN2at6native12_GLOBAL__N_124unique_dim_cuda_templateIdEESt5tupleIJNSF_6TensorESK_SK_EERKSK_lbbbEUlllE0_EEPmJS9_EEE10hipError_tPvRmT3_T4_T5_T6_T7_T9_mT8_P12ihipStream_tbDpT10_ENKUlT_T0_E_clISt17integral_constantIbLb1EES1A_EEDaS15_S16_EUlS15_E_NS1_11comp_targetILNS1_3genE5ELNS1_11target_archE942ELNS1_3gpuE9ELNS1_3repE0EEENS1_30default_config_static_selectorELNS0_4arch9wavefront6targetE1EEEvT1_.num_vgpr, 0
	.set _ZN7rocprim17ROCPRIM_400000_NS6detail17trampoline_kernelINS0_14default_configENS1_25partition_config_selectorILNS1_17partition_subalgoE9EllbEEZZNS1_14partition_implILS5_9ELb0ES3_jPlS8_PNS0_10empty_typeENS0_5tupleIJS8_S9_EEENSB_IJS8_SA_EEENS0_18inequality_wrapperIZN2at6native12_GLOBAL__N_124unique_dim_cuda_templateIdEESt5tupleIJNSF_6TensorESK_SK_EERKSK_lbbbEUlllE0_EEPmJS9_EEE10hipError_tPvRmT3_T4_T5_T6_T7_T9_mT8_P12ihipStream_tbDpT10_ENKUlT_T0_E_clISt17integral_constantIbLb1EES1A_EEDaS15_S16_EUlS15_E_NS1_11comp_targetILNS1_3genE5ELNS1_11target_archE942ELNS1_3gpuE9ELNS1_3repE0EEENS1_30default_config_static_selectorELNS0_4arch9wavefront6targetE1EEEvT1_.num_agpr, 0
	.set _ZN7rocprim17ROCPRIM_400000_NS6detail17trampoline_kernelINS0_14default_configENS1_25partition_config_selectorILNS1_17partition_subalgoE9EllbEEZZNS1_14partition_implILS5_9ELb0ES3_jPlS8_PNS0_10empty_typeENS0_5tupleIJS8_S9_EEENSB_IJS8_SA_EEENS0_18inequality_wrapperIZN2at6native12_GLOBAL__N_124unique_dim_cuda_templateIdEESt5tupleIJNSF_6TensorESK_SK_EERKSK_lbbbEUlllE0_EEPmJS9_EEE10hipError_tPvRmT3_T4_T5_T6_T7_T9_mT8_P12ihipStream_tbDpT10_ENKUlT_T0_E_clISt17integral_constantIbLb1EES1A_EEDaS15_S16_EUlS15_E_NS1_11comp_targetILNS1_3genE5ELNS1_11target_archE942ELNS1_3gpuE9ELNS1_3repE0EEENS1_30default_config_static_selectorELNS0_4arch9wavefront6targetE1EEEvT1_.numbered_sgpr, 0
	.set _ZN7rocprim17ROCPRIM_400000_NS6detail17trampoline_kernelINS0_14default_configENS1_25partition_config_selectorILNS1_17partition_subalgoE9EllbEEZZNS1_14partition_implILS5_9ELb0ES3_jPlS8_PNS0_10empty_typeENS0_5tupleIJS8_S9_EEENSB_IJS8_SA_EEENS0_18inequality_wrapperIZN2at6native12_GLOBAL__N_124unique_dim_cuda_templateIdEESt5tupleIJNSF_6TensorESK_SK_EERKSK_lbbbEUlllE0_EEPmJS9_EEE10hipError_tPvRmT3_T4_T5_T6_T7_T9_mT8_P12ihipStream_tbDpT10_ENKUlT_T0_E_clISt17integral_constantIbLb1EES1A_EEDaS15_S16_EUlS15_E_NS1_11comp_targetILNS1_3genE5ELNS1_11target_archE942ELNS1_3gpuE9ELNS1_3repE0EEENS1_30default_config_static_selectorELNS0_4arch9wavefront6targetE1EEEvT1_.num_named_barrier, 0
	.set _ZN7rocprim17ROCPRIM_400000_NS6detail17trampoline_kernelINS0_14default_configENS1_25partition_config_selectorILNS1_17partition_subalgoE9EllbEEZZNS1_14partition_implILS5_9ELb0ES3_jPlS8_PNS0_10empty_typeENS0_5tupleIJS8_S9_EEENSB_IJS8_SA_EEENS0_18inequality_wrapperIZN2at6native12_GLOBAL__N_124unique_dim_cuda_templateIdEESt5tupleIJNSF_6TensorESK_SK_EERKSK_lbbbEUlllE0_EEPmJS9_EEE10hipError_tPvRmT3_T4_T5_T6_T7_T9_mT8_P12ihipStream_tbDpT10_ENKUlT_T0_E_clISt17integral_constantIbLb1EES1A_EEDaS15_S16_EUlS15_E_NS1_11comp_targetILNS1_3genE5ELNS1_11target_archE942ELNS1_3gpuE9ELNS1_3repE0EEENS1_30default_config_static_selectorELNS0_4arch9wavefront6targetE1EEEvT1_.private_seg_size, 0
	.set _ZN7rocprim17ROCPRIM_400000_NS6detail17trampoline_kernelINS0_14default_configENS1_25partition_config_selectorILNS1_17partition_subalgoE9EllbEEZZNS1_14partition_implILS5_9ELb0ES3_jPlS8_PNS0_10empty_typeENS0_5tupleIJS8_S9_EEENSB_IJS8_SA_EEENS0_18inequality_wrapperIZN2at6native12_GLOBAL__N_124unique_dim_cuda_templateIdEESt5tupleIJNSF_6TensorESK_SK_EERKSK_lbbbEUlllE0_EEPmJS9_EEE10hipError_tPvRmT3_T4_T5_T6_T7_T9_mT8_P12ihipStream_tbDpT10_ENKUlT_T0_E_clISt17integral_constantIbLb1EES1A_EEDaS15_S16_EUlS15_E_NS1_11comp_targetILNS1_3genE5ELNS1_11target_archE942ELNS1_3gpuE9ELNS1_3repE0EEENS1_30default_config_static_selectorELNS0_4arch9wavefront6targetE1EEEvT1_.uses_vcc, 0
	.set _ZN7rocprim17ROCPRIM_400000_NS6detail17trampoline_kernelINS0_14default_configENS1_25partition_config_selectorILNS1_17partition_subalgoE9EllbEEZZNS1_14partition_implILS5_9ELb0ES3_jPlS8_PNS0_10empty_typeENS0_5tupleIJS8_S9_EEENSB_IJS8_SA_EEENS0_18inequality_wrapperIZN2at6native12_GLOBAL__N_124unique_dim_cuda_templateIdEESt5tupleIJNSF_6TensorESK_SK_EERKSK_lbbbEUlllE0_EEPmJS9_EEE10hipError_tPvRmT3_T4_T5_T6_T7_T9_mT8_P12ihipStream_tbDpT10_ENKUlT_T0_E_clISt17integral_constantIbLb1EES1A_EEDaS15_S16_EUlS15_E_NS1_11comp_targetILNS1_3genE5ELNS1_11target_archE942ELNS1_3gpuE9ELNS1_3repE0EEENS1_30default_config_static_selectorELNS0_4arch9wavefront6targetE1EEEvT1_.uses_flat_scratch, 0
	.set _ZN7rocprim17ROCPRIM_400000_NS6detail17trampoline_kernelINS0_14default_configENS1_25partition_config_selectorILNS1_17partition_subalgoE9EllbEEZZNS1_14partition_implILS5_9ELb0ES3_jPlS8_PNS0_10empty_typeENS0_5tupleIJS8_S9_EEENSB_IJS8_SA_EEENS0_18inequality_wrapperIZN2at6native12_GLOBAL__N_124unique_dim_cuda_templateIdEESt5tupleIJNSF_6TensorESK_SK_EERKSK_lbbbEUlllE0_EEPmJS9_EEE10hipError_tPvRmT3_T4_T5_T6_T7_T9_mT8_P12ihipStream_tbDpT10_ENKUlT_T0_E_clISt17integral_constantIbLb1EES1A_EEDaS15_S16_EUlS15_E_NS1_11comp_targetILNS1_3genE5ELNS1_11target_archE942ELNS1_3gpuE9ELNS1_3repE0EEENS1_30default_config_static_selectorELNS0_4arch9wavefront6targetE1EEEvT1_.has_dyn_sized_stack, 0
	.set _ZN7rocprim17ROCPRIM_400000_NS6detail17trampoline_kernelINS0_14default_configENS1_25partition_config_selectorILNS1_17partition_subalgoE9EllbEEZZNS1_14partition_implILS5_9ELb0ES3_jPlS8_PNS0_10empty_typeENS0_5tupleIJS8_S9_EEENSB_IJS8_SA_EEENS0_18inequality_wrapperIZN2at6native12_GLOBAL__N_124unique_dim_cuda_templateIdEESt5tupleIJNSF_6TensorESK_SK_EERKSK_lbbbEUlllE0_EEPmJS9_EEE10hipError_tPvRmT3_T4_T5_T6_T7_T9_mT8_P12ihipStream_tbDpT10_ENKUlT_T0_E_clISt17integral_constantIbLb1EES1A_EEDaS15_S16_EUlS15_E_NS1_11comp_targetILNS1_3genE5ELNS1_11target_archE942ELNS1_3gpuE9ELNS1_3repE0EEENS1_30default_config_static_selectorELNS0_4arch9wavefront6targetE1EEEvT1_.has_recursion, 0
	.set _ZN7rocprim17ROCPRIM_400000_NS6detail17trampoline_kernelINS0_14default_configENS1_25partition_config_selectorILNS1_17partition_subalgoE9EllbEEZZNS1_14partition_implILS5_9ELb0ES3_jPlS8_PNS0_10empty_typeENS0_5tupleIJS8_S9_EEENSB_IJS8_SA_EEENS0_18inequality_wrapperIZN2at6native12_GLOBAL__N_124unique_dim_cuda_templateIdEESt5tupleIJNSF_6TensorESK_SK_EERKSK_lbbbEUlllE0_EEPmJS9_EEE10hipError_tPvRmT3_T4_T5_T6_T7_T9_mT8_P12ihipStream_tbDpT10_ENKUlT_T0_E_clISt17integral_constantIbLb1EES1A_EEDaS15_S16_EUlS15_E_NS1_11comp_targetILNS1_3genE5ELNS1_11target_archE942ELNS1_3gpuE9ELNS1_3repE0EEENS1_30default_config_static_selectorELNS0_4arch9wavefront6targetE1EEEvT1_.has_indirect_call, 0
	.section	.AMDGPU.csdata,"",@progbits
; Kernel info:
; codeLenInByte = 0
; TotalNumSgprs: 6
; NumVgprs: 0
; NumAgprs: 0
; TotalNumVgprs: 0
; ScratchSize: 0
; MemoryBound: 0
; FloatMode: 240
; IeeeMode: 1
; LDSByteSize: 0 bytes/workgroup (compile time only)
; SGPRBlocks: 0
; VGPRBlocks: 0
; NumSGPRsForWavesPerEU: 6
; NumVGPRsForWavesPerEU: 1
; AccumOffset: 4
; Occupancy: 8
; WaveLimiterHint : 0
; COMPUTE_PGM_RSRC2:SCRATCH_EN: 0
; COMPUTE_PGM_RSRC2:USER_SGPR: 2
; COMPUTE_PGM_RSRC2:TRAP_HANDLER: 0
; COMPUTE_PGM_RSRC2:TGID_X_EN: 1
; COMPUTE_PGM_RSRC2:TGID_Y_EN: 0
; COMPUTE_PGM_RSRC2:TGID_Z_EN: 0
; COMPUTE_PGM_RSRC2:TIDIG_COMP_CNT: 0
; COMPUTE_PGM_RSRC3_GFX90A:ACCUM_OFFSET: 0
; COMPUTE_PGM_RSRC3_GFX90A:TG_SPLIT: 0
	.section	.text._ZN7rocprim17ROCPRIM_400000_NS6detail17trampoline_kernelINS0_14default_configENS1_25partition_config_selectorILNS1_17partition_subalgoE9EllbEEZZNS1_14partition_implILS5_9ELb0ES3_jPlS8_PNS0_10empty_typeENS0_5tupleIJS8_S9_EEENSB_IJS8_SA_EEENS0_18inequality_wrapperIZN2at6native12_GLOBAL__N_124unique_dim_cuda_templateIdEESt5tupleIJNSF_6TensorESK_SK_EERKSK_lbbbEUlllE0_EEPmJS9_EEE10hipError_tPvRmT3_T4_T5_T6_T7_T9_mT8_P12ihipStream_tbDpT10_ENKUlT_T0_E_clISt17integral_constantIbLb1EES1A_EEDaS15_S16_EUlS15_E_NS1_11comp_targetILNS1_3genE4ELNS1_11target_archE910ELNS1_3gpuE8ELNS1_3repE0EEENS1_30default_config_static_selectorELNS0_4arch9wavefront6targetE1EEEvT1_,"axG",@progbits,_ZN7rocprim17ROCPRIM_400000_NS6detail17trampoline_kernelINS0_14default_configENS1_25partition_config_selectorILNS1_17partition_subalgoE9EllbEEZZNS1_14partition_implILS5_9ELb0ES3_jPlS8_PNS0_10empty_typeENS0_5tupleIJS8_S9_EEENSB_IJS8_SA_EEENS0_18inequality_wrapperIZN2at6native12_GLOBAL__N_124unique_dim_cuda_templateIdEESt5tupleIJNSF_6TensorESK_SK_EERKSK_lbbbEUlllE0_EEPmJS9_EEE10hipError_tPvRmT3_T4_T5_T6_T7_T9_mT8_P12ihipStream_tbDpT10_ENKUlT_T0_E_clISt17integral_constantIbLb1EES1A_EEDaS15_S16_EUlS15_E_NS1_11comp_targetILNS1_3genE4ELNS1_11target_archE910ELNS1_3gpuE8ELNS1_3repE0EEENS1_30default_config_static_selectorELNS0_4arch9wavefront6targetE1EEEvT1_,comdat
	.globl	_ZN7rocprim17ROCPRIM_400000_NS6detail17trampoline_kernelINS0_14default_configENS1_25partition_config_selectorILNS1_17partition_subalgoE9EllbEEZZNS1_14partition_implILS5_9ELb0ES3_jPlS8_PNS0_10empty_typeENS0_5tupleIJS8_S9_EEENSB_IJS8_SA_EEENS0_18inequality_wrapperIZN2at6native12_GLOBAL__N_124unique_dim_cuda_templateIdEESt5tupleIJNSF_6TensorESK_SK_EERKSK_lbbbEUlllE0_EEPmJS9_EEE10hipError_tPvRmT3_T4_T5_T6_T7_T9_mT8_P12ihipStream_tbDpT10_ENKUlT_T0_E_clISt17integral_constantIbLb1EES1A_EEDaS15_S16_EUlS15_E_NS1_11comp_targetILNS1_3genE4ELNS1_11target_archE910ELNS1_3gpuE8ELNS1_3repE0EEENS1_30default_config_static_selectorELNS0_4arch9wavefront6targetE1EEEvT1_ ; -- Begin function _ZN7rocprim17ROCPRIM_400000_NS6detail17trampoline_kernelINS0_14default_configENS1_25partition_config_selectorILNS1_17partition_subalgoE9EllbEEZZNS1_14partition_implILS5_9ELb0ES3_jPlS8_PNS0_10empty_typeENS0_5tupleIJS8_S9_EEENSB_IJS8_SA_EEENS0_18inequality_wrapperIZN2at6native12_GLOBAL__N_124unique_dim_cuda_templateIdEESt5tupleIJNSF_6TensorESK_SK_EERKSK_lbbbEUlllE0_EEPmJS9_EEE10hipError_tPvRmT3_T4_T5_T6_T7_T9_mT8_P12ihipStream_tbDpT10_ENKUlT_T0_E_clISt17integral_constantIbLb1EES1A_EEDaS15_S16_EUlS15_E_NS1_11comp_targetILNS1_3genE4ELNS1_11target_archE910ELNS1_3gpuE8ELNS1_3repE0EEENS1_30default_config_static_selectorELNS0_4arch9wavefront6targetE1EEEvT1_
	.p2align	8
	.type	_ZN7rocprim17ROCPRIM_400000_NS6detail17trampoline_kernelINS0_14default_configENS1_25partition_config_selectorILNS1_17partition_subalgoE9EllbEEZZNS1_14partition_implILS5_9ELb0ES3_jPlS8_PNS0_10empty_typeENS0_5tupleIJS8_S9_EEENSB_IJS8_SA_EEENS0_18inequality_wrapperIZN2at6native12_GLOBAL__N_124unique_dim_cuda_templateIdEESt5tupleIJNSF_6TensorESK_SK_EERKSK_lbbbEUlllE0_EEPmJS9_EEE10hipError_tPvRmT3_T4_T5_T6_T7_T9_mT8_P12ihipStream_tbDpT10_ENKUlT_T0_E_clISt17integral_constantIbLb1EES1A_EEDaS15_S16_EUlS15_E_NS1_11comp_targetILNS1_3genE4ELNS1_11target_archE910ELNS1_3gpuE8ELNS1_3repE0EEENS1_30default_config_static_selectorELNS0_4arch9wavefront6targetE1EEEvT1_,@function
_ZN7rocprim17ROCPRIM_400000_NS6detail17trampoline_kernelINS0_14default_configENS1_25partition_config_selectorILNS1_17partition_subalgoE9EllbEEZZNS1_14partition_implILS5_9ELb0ES3_jPlS8_PNS0_10empty_typeENS0_5tupleIJS8_S9_EEENSB_IJS8_SA_EEENS0_18inequality_wrapperIZN2at6native12_GLOBAL__N_124unique_dim_cuda_templateIdEESt5tupleIJNSF_6TensorESK_SK_EERKSK_lbbbEUlllE0_EEPmJS9_EEE10hipError_tPvRmT3_T4_T5_T6_T7_T9_mT8_P12ihipStream_tbDpT10_ENKUlT_T0_E_clISt17integral_constantIbLb1EES1A_EEDaS15_S16_EUlS15_E_NS1_11comp_targetILNS1_3genE4ELNS1_11target_archE910ELNS1_3gpuE8ELNS1_3repE0EEENS1_30default_config_static_selectorELNS0_4arch9wavefront6targetE1EEEvT1_: ; @_ZN7rocprim17ROCPRIM_400000_NS6detail17trampoline_kernelINS0_14default_configENS1_25partition_config_selectorILNS1_17partition_subalgoE9EllbEEZZNS1_14partition_implILS5_9ELb0ES3_jPlS8_PNS0_10empty_typeENS0_5tupleIJS8_S9_EEENSB_IJS8_SA_EEENS0_18inequality_wrapperIZN2at6native12_GLOBAL__N_124unique_dim_cuda_templateIdEESt5tupleIJNSF_6TensorESK_SK_EERKSK_lbbbEUlllE0_EEPmJS9_EEE10hipError_tPvRmT3_T4_T5_T6_T7_T9_mT8_P12ihipStream_tbDpT10_ENKUlT_T0_E_clISt17integral_constantIbLb1EES1A_EEDaS15_S16_EUlS15_E_NS1_11comp_targetILNS1_3genE4ELNS1_11target_archE910ELNS1_3gpuE8ELNS1_3repE0EEENS1_30default_config_static_selectorELNS0_4arch9wavefront6targetE1EEEvT1_
; %bb.0:
	.section	.rodata,"a",@progbits
	.p2align	6, 0x0
	.amdhsa_kernel _ZN7rocprim17ROCPRIM_400000_NS6detail17trampoline_kernelINS0_14default_configENS1_25partition_config_selectorILNS1_17partition_subalgoE9EllbEEZZNS1_14partition_implILS5_9ELb0ES3_jPlS8_PNS0_10empty_typeENS0_5tupleIJS8_S9_EEENSB_IJS8_SA_EEENS0_18inequality_wrapperIZN2at6native12_GLOBAL__N_124unique_dim_cuda_templateIdEESt5tupleIJNSF_6TensorESK_SK_EERKSK_lbbbEUlllE0_EEPmJS9_EEE10hipError_tPvRmT3_T4_T5_T6_T7_T9_mT8_P12ihipStream_tbDpT10_ENKUlT_T0_E_clISt17integral_constantIbLb1EES1A_EEDaS15_S16_EUlS15_E_NS1_11comp_targetILNS1_3genE4ELNS1_11target_archE910ELNS1_3gpuE8ELNS1_3repE0EEENS1_30default_config_static_selectorELNS0_4arch9wavefront6targetE1EEEvT1_
		.amdhsa_group_segment_fixed_size 0
		.amdhsa_private_segment_fixed_size 0
		.amdhsa_kernarg_size 136
		.amdhsa_user_sgpr_count 2
		.amdhsa_user_sgpr_dispatch_ptr 0
		.amdhsa_user_sgpr_queue_ptr 0
		.amdhsa_user_sgpr_kernarg_segment_ptr 1
		.amdhsa_user_sgpr_dispatch_id 0
		.amdhsa_user_sgpr_kernarg_preload_length 0
		.amdhsa_user_sgpr_kernarg_preload_offset 0
		.amdhsa_user_sgpr_private_segment_size 0
		.amdhsa_uses_dynamic_stack 0
		.amdhsa_enable_private_segment 0
		.amdhsa_system_sgpr_workgroup_id_x 1
		.amdhsa_system_sgpr_workgroup_id_y 0
		.amdhsa_system_sgpr_workgroup_id_z 0
		.amdhsa_system_sgpr_workgroup_info 0
		.amdhsa_system_vgpr_workitem_id 0
		.amdhsa_next_free_vgpr 1
		.amdhsa_next_free_sgpr 0
		.amdhsa_accum_offset 4
		.amdhsa_reserve_vcc 0
		.amdhsa_float_round_mode_32 0
		.amdhsa_float_round_mode_16_64 0
		.amdhsa_float_denorm_mode_32 3
		.amdhsa_float_denorm_mode_16_64 3
		.amdhsa_dx10_clamp 1
		.amdhsa_ieee_mode 1
		.amdhsa_fp16_overflow 0
		.amdhsa_tg_split 0
		.amdhsa_exception_fp_ieee_invalid_op 0
		.amdhsa_exception_fp_denorm_src 0
		.amdhsa_exception_fp_ieee_div_zero 0
		.amdhsa_exception_fp_ieee_overflow 0
		.amdhsa_exception_fp_ieee_underflow 0
		.amdhsa_exception_fp_ieee_inexact 0
		.amdhsa_exception_int_div_zero 0
	.end_amdhsa_kernel
	.section	.text._ZN7rocprim17ROCPRIM_400000_NS6detail17trampoline_kernelINS0_14default_configENS1_25partition_config_selectorILNS1_17partition_subalgoE9EllbEEZZNS1_14partition_implILS5_9ELb0ES3_jPlS8_PNS0_10empty_typeENS0_5tupleIJS8_S9_EEENSB_IJS8_SA_EEENS0_18inequality_wrapperIZN2at6native12_GLOBAL__N_124unique_dim_cuda_templateIdEESt5tupleIJNSF_6TensorESK_SK_EERKSK_lbbbEUlllE0_EEPmJS9_EEE10hipError_tPvRmT3_T4_T5_T6_T7_T9_mT8_P12ihipStream_tbDpT10_ENKUlT_T0_E_clISt17integral_constantIbLb1EES1A_EEDaS15_S16_EUlS15_E_NS1_11comp_targetILNS1_3genE4ELNS1_11target_archE910ELNS1_3gpuE8ELNS1_3repE0EEENS1_30default_config_static_selectorELNS0_4arch9wavefront6targetE1EEEvT1_,"axG",@progbits,_ZN7rocprim17ROCPRIM_400000_NS6detail17trampoline_kernelINS0_14default_configENS1_25partition_config_selectorILNS1_17partition_subalgoE9EllbEEZZNS1_14partition_implILS5_9ELb0ES3_jPlS8_PNS0_10empty_typeENS0_5tupleIJS8_S9_EEENSB_IJS8_SA_EEENS0_18inequality_wrapperIZN2at6native12_GLOBAL__N_124unique_dim_cuda_templateIdEESt5tupleIJNSF_6TensorESK_SK_EERKSK_lbbbEUlllE0_EEPmJS9_EEE10hipError_tPvRmT3_T4_T5_T6_T7_T9_mT8_P12ihipStream_tbDpT10_ENKUlT_T0_E_clISt17integral_constantIbLb1EES1A_EEDaS15_S16_EUlS15_E_NS1_11comp_targetILNS1_3genE4ELNS1_11target_archE910ELNS1_3gpuE8ELNS1_3repE0EEENS1_30default_config_static_selectorELNS0_4arch9wavefront6targetE1EEEvT1_,comdat
.Lfunc_end849:
	.size	_ZN7rocprim17ROCPRIM_400000_NS6detail17trampoline_kernelINS0_14default_configENS1_25partition_config_selectorILNS1_17partition_subalgoE9EllbEEZZNS1_14partition_implILS5_9ELb0ES3_jPlS8_PNS0_10empty_typeENS0_5tupleIJS8_S9_EEENSB_IJS8_SA_EEENS0_18inequality_wrapperIZN2at6native12_GLOBAL__N_124unique_dim_cuda_templateIdEESt5tupleIJNSF_6TensorESK_SK_EERKSK_lbbbEUlllE0_EEPmJS9_EEE10hipError_tPvRmT3_T4_T5_T6_T7_T9_mT8_P12ihipStream_tbDpT10_ENKUlT_T0_E_clISt17integral_constantIbLb1EES1A_EEDaS15_S16_EUlS15_E_NS1_11comp_targetILNS1_3genE4ELNS1_11target_archE910ELNS1_3gpuE8ELNS1_3repE0EEENS1_30default_config_static_selectorELNS0_4arch9wavefront6targetE1EEEvT1_, .Lfunc_end849-_ZN7rocprim17ROCPRIM_400000_NS6detail17trampoline_kernelINS0_14default_configENS1_25partition_config_selectorILNS1_17partition_subalgoE9EllbEEZZNS1_14partition_implILS5_9ELb0ES3_jPlS8_PNS0_10empty_typeENS0_5tupleIJS8_S9_EEENSB_IJS8_SA_EEENS0_18inequality_wrapperIZN2at6native12_GLOBAL__N_124unique_dim_cuda_templateIdEESt5tupleIJNSF_6TensorESK_SK_EERKSK_lbbbEUlllE0_EEPmJS9_EEE10hipError_tPvRmT3_T4_T5_T6_T7_T9_mT8_P12ihipStream_tbDpT10_ENKUlT_T0_E_clISt17integral_constantIbLb1EES1A_EEDaS15_S16_EUlS15_E_NS1_11comp_targetILNS1_3genE4ELNS1_11target_archE910ELNS1_3gpuE8ELNS1_3repE0EEENS1_30default_config_static_selectorELNS0_4arch9wavefront6targetE1EEEvT1_
                                        ; -- End function
	.set _ZN7rocprim17ROCPRIM_400000_NS6detail17trampoline_kernelINS0_14default_configENS1_25partition_config_selectorILNS1_17partition_subalgoE9EllbEEZZNS1_14partition_implILS5_9ELb0ES3_jPlS8_PNS0_10empty_typeENS0_5tupleIJS8_S9_EEENSB_IJS8_SA_EEENS0_18inequality_wrapperIZN2at6native12_GLOBAL__N_124unique_dim_cuda_templateIdEESt5tupleIJNSF_6TensorESK_SK_EERKSK_lbbbEUlllE0_EEPmJS9_EEE10hipError_tPvRmT3_T4_T5_T6_T7_T9_mT8_P12ihipStream_tbDpT10_ENKUlT_T0_E_clISt17integral_constantIbLb1EES1A_EEDaS15_S16_EUlS15_E_NS1_11comp_targetILNS1_3genE4ELNS1_11target_archE910ELNS1_3gpuE8ELNS1_3repE0EEENS1_30default_config_static_selectorELNS0_4arch9wavefront6targetE1EEEvT1_.num_vgpr, 0
	.set _ZN7rocprim17ROCPRIM_400000_NS6detail17trampoline_kernelINS0_14default_configENS1_25partition_config_selectorILNS1_17partition_subalgoE9EllbEEZZNS1_14partition_implILS5_9ELb0ES3_jPlS8_PNS0_10empty_typeENS0_5tupleIJS8_S9_EEENSB_IJS8_SA_EEENS0_18inequality_wrapperIZN2at6native12_GLOBAL__N_124unique_dim_cuda_templateIdEESt5tupleIJNSF_6TensorESK_SK_EERKSK_lbbbEUlllE0_EEPmJS9_EEE10hipError_tPvRmT3_T4_T5_T6_T7_T9_mT8_P12ihipStream_tbDpT10_ENKUlT_T0_E_clISt17integral_constantIbLb1EES1A_EEDaS15_S16_EUlS15_E_NS1_11comp_targetILNS1_3genE4ELNS1_11target_archE910ELNS1_3gpuE8ELNS1_3repE0EEENS1_30default_config_static_selectorELNS0_4arch9wavefront6targetE1EEEvT1_.num_agpr, 0
	.set _ZN7rocprim17ROCPRIM_400000_NS6detail17trampoline_kernelINS0_14default_configENS1_25partition_config_selectorILNS1_17partition_subalgoE9EllbEEZZNS1_14partition_implILS5_9ELb0ES3_jPlS8_PNS0_10empty_typeENS0_5tupleIJS8_S9_EEENSB_IJS8_SA_EEENS0_18inequality_wrapperIZN2at6native12_GLOBAL__N_124unique_dim_cuda_templateIdEESt5tupleIJNSF_6TensorESK_SK_EERKSK_lbbbEUlllE0_EEPmJS9_EEE10hipError_tPvRmT3_T4_T5_T6_T7_T9_mT8_P12ihipStream_tbDpT10_ENKUlT_T0_E_clISt17integral_constantIbLb1EES1A_EEDaS15_S16_EUlS15_E_NS1_11comp_targetILNS1_3genE4ELNS1_11target_archE910ELNS1_3gpuE8ELNS1_3repE0EEENS1_30default_config_static_selectorELNS0_4arch9wavefront6targetE1EEEvT1_.numbered_sgpr, 0
	.set _ZN7rocprim17ROCPRIM_400000_NS6detail17trampoline_kernelINS0_14default_configENS1_25partition_config_selectorILNS1_17partition_subalgoE9EllbEEZZNS1_14partition_implILS5_9ELb0ES3_jPlS8_PNS0_10empty_typeENS0_5tupleIJS8_S9_EEENSB_IJS8_SA_EEENS0_18inequality_wrapperIZN2at6native12_GLOBAL__N_124unique_dim_cuda_templateIdEESt5tupleIJNSF_6TensorESK_SK_EERKSK_lbbbEUlllE0_EEPmJS9_EEE10hipError_tPvRmT3_T4_T5_T6_T7_T9_mT8_P12ihipStream_tbDpT10_ENKUlT_T0_E_clISt17integral_constantIbLb1EES1A_EEDaS15_S16_EUlS15_E_NS1_11comp_targetILNS1_3genE4ELNS1_11target_archE910ELNS1_3gpuE8ELNS1_3repE0EEENS1_30default_config_static_selectorELNS0_4arch9wavefront6targetE1EEEvT1_.num_named_barrier, 0
	.set _ZN7rocprim17ROCPRIM_400000_NS6detail17trampoline_kernelINS0_14default_configENS1_25partition_config_selectorILNS1_17partition_subalgoE9EllbEEZZNS1_14partition_implILS5_9ELb0ES3_jPlS8_PNS0_10empty_typeENS0_5tupleIJS8_S9_EEENSB_IJS8_SA_EEENS0_18inequality_wrapperIZN2at6native12_GLOBAL__N_124unique_dim_cuda_templateIdEESt5tupleIJNSF_6TensorESK_SK_EERKSK_lbbbEUlllE0_EEPmJS9_EEE10hipError_tPvRmT3_T4_T5_T6_T7_T9_mT8_P12ihipStream_tbDpT10_ENKUlT_T0_E_clISt17integral_constantIbLb1EES1A_EEDaS15_S16_EUlS15_E_NS1_11comp_targetILNS1_3genE4ELNS1_11target_archE910ELNS1_3gpuE8ELNS1_3repE0EEENS1_30default_config_static_selectorELNS0_4arch9wavefront6targetE1EEEvT1_.private_seg_size, 0
	.set _ZN7rocprim17ROCPRIM_400000_NS6detail17trampoline_kernelINS0_14default_configENS1_25partition_config_selectorILNS1_17partition_subalgoE9EllbEEZZNS1_14partition_implILS5_9ELb0ES3_jPlS8_PNS0_10empty_typeENS0_5tupleIJS8_S9_EEENSB_IJS8_SA_EEENS0_18inequality_wrapperIZN2at6native12_GLOBAL__N_124unique_dim_cuda_templateIdEESt5tupleIJNSF_6TensorESK_SK_EERKSK_lbbbEUlllE0_EEPmJS9_EEE10hipError_tPvRmT3_T4_T5_T6_T7_T9_mT8_P12ihipStream_tbDpT10_ENKUlT_T0_E_clISt17integral_constantIbLb1EES1A_EEDaS15_S16_EUlS15_E_NS1_11comp_targetILNS1_3genE4ELNS1_11target_archE910ELNS1_3gpuE8ELNS1_3repE0EEENS1_30default_config_static_selectorELNS0_4arch9wavefront6targetE1EEEvT1_.uses_vcc, 0
	.set _ZN7rocprim17ROCPRIM_400000_NS6detail17trampoline_kernelINS0_14default_configENS1_25partition_config_selectorILNS1_17partition_subalgoE9EllbEEZZNS1_14partition_implILS5_9ELb0ES3_jPlS8_PNS0_10empty_typeENS0_5tupleIJS8_S9_EEENSB_IJS8_SA_EEENS0_18inequality_wrapperIZN2at6native12_GLOBAL__N_124unique_dim_cuda_templateIdEESt5tupleIJNSF_6TensorESK_SK_EERKSK_lbbbEUlllE0_EEPmJS9_EEE10hipError_tPvRmT3_T4_T5_T6_T7_T9_mT8_P12ihipStream_tbDpT10_ENKUlT_T0_E_clISt17integral_constantIbLb1EES1A_EEDaS15_S16_EUlS15_E_NS1_11comp_targetILNS1_3genE4ELNS1_11target_archE910ELNS1_3gpuE8ELNS1_3repE0EEENS1_30default_config_static_selectorELNS0_4arch9wavefront6targetE1EEEvT1_.uses_flat_scratch, 0
	.set _ZN7rocprim17ROCPRIM_400000_NS6detail17trampoline_kernelINS0_14default_configENS1_25partition_config_selectorILNS1_17partition_subalgoE9EllbEEZZNS1_14partition_implILS5_9ELb0ES3_jPlS8_PNS0_10empty_typeENS0_5tupleIJS8_S9_EEENSB_IJS8_SA_EEENS0_18inequality_wrapperIZN2at6native12_GLOBAL__N_124unique_dim_cuda_templateIdEESt5tupleIJNSF_6TensorESK_SK_EERKSK_lbbbEUlllE0_EEPmJS9_EEE10hipError_tPvRmT3_T4_T5_T6_T7_T9_mT8_P12ihipStream_tbDpT10_ENKUlT_T0_E_clISt17integral_constantIbLb1EES1A_EEDaS15_S16_EUlS15_E_NS1_11comp_targetILNS1_3genE4ELNS1_11target_archE910ELNS1_3gpuE8ELNS1_3repE0EEENS1_30default_config_static_selectorELNS0_4arch9wavefront6targetE1EEEvT1_.has_dyn_sized_stack, 0
	.set _ZN7rocprim17ROCPRIM_400000_NS6detail17trampoline_kernelINS0_14default_configENS1_25partition_config_selectorILNS1_17partition_subalgoE9EllbEEZZNS1_14partition_implILS5_9ELb0ES3_jPlS8_PNS0_10empty_typeENS0_5tupleIJS8_S9_EEENSB_IJS8_SA_EEENS0_18inequality_wrapperIZN2at6native12_GLOBAL__N_124unique_dim_cuda_templateIdEESt5tupleIJNSF_6TensorESK_SK_EERKSK_lbbbEUlllE0_EEPmJS9_EEE10hipError_tPvRmT3_T4_T5_T6_T7_T9_mT8_P12ihipStream_tbDpT10_ENKUlT_T0_E_clISt17integral_constantIbLb1EES1A_EEDaS15_S16_EUlS15_E_NS1_11comp_targetILNS1_3genE4ELNS1_11target_archE910ELNS1_3gpuE8ELNS1_3repE0EEENS1_30default_config_static_selectorELNS0_4arch9wavefront6targetE1EEEvT1_.has_recursion, 0
	.set _ZN7rocprim17ROCPRIM_400000_NS6detail17trampoline_kernelINS0_14default_configENS1_25partition_config_selectorILNS1_17partition_subalgoE9EllbEEZZNS1_14partition_implILS5_9ELb0ES3_jPlS8_PNS0_10empty_typeENS0_5tupleIJS8_S9_EEENSB_IJS8_SA_EEENS0_18inequality_wrapperIZN2at6native12_GLOBAL__N_124unique_dim_cuda_templateIdEESt5tupleIJNSF_6TensorESK_SK_EERKSK_lbbbEUlllE0_EEPmJS9_EEE10hipError_tPvRmT3_T4_T5_T6_T7_T9_mT8_P12ihipStream_tbDpT10_ENKUlT_T0_E_clISt17integral_constantIbLb1EES1A_EEDaS15_S16_EUlS15_E_NS1_11comp_targetILNS1_3genE4ELNS1_11target_archE910ELNS1_3gpuE8ELNS1_3repE0EEENS1_30default_config_static_selectorELNS0_4arch9wavefront6targetE1EEEvT1_.has_indirect_call, 0
	.section	.AMDGPU.csdata,"",@progbits
; Kernel info:
; codeLenInByte = 0
; TotalNumSgprs: 6
; NumVgprs: 0
; NumAgprs: 0
; TotalNumVgprs: 0
; ScratchSize: 0
; MemoryBound: 0
; FloatMode: 240
; IeeeMode: 1
; LDSByteSize: 0 bytes/workgroup (compile time only)
; SGPRBlocks: 0
; VGPRBlocks: 0
; NumSGPRsForWavesPerEU: 6
; NumVGPRsForWavesPerEU: 1
; AccumOffset: 4
; Occupancy: 8
; WaveLimiterHint : 0
; COMPUTE_PGM_RSRC2:SCRATCH_EN: 0
; COMPUTE_PGM_RSRC2:USER_SGPR: 2
; COMPUTE_PGM_RSRC2:TRAP_HANDLER: 0
; COMPUTE_PGM_RSRC2:TGID_X_EN: 1
; COMPUTE_PGM_RSRC2:TGID_Y_EN: 0
; COMPUTE_PGM_RSRC2:TGID_Z_EN: 0
; COMPUTE_PGM_RSRC2:TIDIG_COMP_CNT: 0
; COMPUTE_PGM_RSRC3_GFX90A:ACCUM_OFFSET: 0
; COMPUTE_PGM_RSRC3_GFX90A:TG_SPLIT: 0
	.section	.text._ZN7rocprim17ROCPRIM_400000_NS6detail17trampoline_kernelINS0_14default_configENS1_25partition_config_selectorILNS1_17partition_subalgoE9EllbEEZZNS1_14partition_implILS5_9ELb0ES3_jPlS8_PNS0_10empty_typeENS0_5tupleIJS8_S9_EEENSB_IJS8_SA_EEENS0_18inequality_wrapperIZN2at6native12_GLOBAL__N_124unique_dim_cuda_templateIdEESt5tupleIJNSF_6TensorESK_SK_EERKSK_lbbbEUlllE0_EEPmJS9_EEE10hipError_tPvRmT3_T4_T5_T6_T7_T9_mT8_P12ihipStream_tbDpT10_ENKUlT_T0_E_clISt17integral_constantIbLb1EES1A_EEDaS15_S16_EUlS15_E_NS1_11comp_targetILNS1_3genE3ELNS1_11target_archE908ELNS1_3gpuE7ELNS1_3repE0EEENS1_30default_config_static_selectorELNS0_4arch9wavefront6targetE1EEEvT1_,"axG",@progbits,_ZN7rocprim17ROCPRIM_400000_NS6detail17trampoline_kernelINS0_14default_configENS1_25partition_config_selectorILNS1_17partition_subalgoE9EllbEEZZNS1_14partition_implILS5_9ELb0ES3_jPlS8_PNS0_10empty_typeENS0_5tupleIJS8_S9_EEENSB_IJS8_SA_EEENS0_18inequality_wrapperIZN2at6native12_GLOBAL__N_124unique_dim_cuda_templateIdEESt5tupleIJNSF_6TensorESK_SK_EERKSK_lbbbEUlllE0_EEPmJS9_EEE10hipError_tPvRmT3_T4_T5_T6_T7_T9_mT8_P12ihipStream_tbDpT10_ENKUlT_T0_E_clISt17integral_constantIbLb1EES1A_EEDaS15_S16_EUlS15_E_NS1_11comp_targetILNS1_3genE3ELNS1_11target_archE908ELNS1_3gpuE7ELNS1_3repE0EEENS1_30default_config_static_selectorELNS0_4arch9wavefront6targetE1EEEvT1_,comdat
	.globl	_ZN7rocprim17ROCPRIM_400000_NS6detail17trampoline_kernelINS0_14default_configENS1_25partition_config_selectorILNS1_17partition_subalgoE9EllbEEZZNS1_14partition_implILS5_9ELb0ES3_jPlS8_PNS0_10empty_typeENS0_5tupleIJS8_S9_EEENSB_IJS8_SA_EEENS0_18inequality_wrapperIZN2at6native12_GLOBAL__N_124unique_dim_cuda_templateIdEESt5tupleIJNSF_6TensorESK_SK_EERKSK_lbbbEUlllE0_EEPmJS9_EEE10hipError_tPvRmT3_T4_T5_T6_T7_T9_mT8_P12ihipStream_tbDpT10_ENKUlT_T0_E_clISt17integral_constantIbLb1EES1A_EEDaS15_S16_EUlS15_E_NS1_11comp_targetILNS1_3genE3ELNS1_11target_archE908ELNS1_3gpuE7ELNS1_3repE0EEENS1_30default_config_static_selectorELNS0_4arch9wavefront6targetE1EEEvT1_ ; -- Begin function _ZN7rocprim17ROCPRIM_400000_NS6detail17trampoline_kernelINS0_14default_configENS1_25partition_config_selectorILNS1_17partition_subalgoE9EllbEEZZNS1_14partition_implILS5_9ELb0ES3_jPlS8_PNS0_10empty_typeENS0_5tupleIJS8_S9_EEENSB_IJS8_SA_EEENS0_18inequality_wrapperIZN2at6native12_GLOBAL__N_124unique_dim_cuda_templateIdEESt5tupleIJNSF_6TensorESK_SK_EERKSK_lbbbEUlllE0_EEPmJS9_EEE10hipError_tPvRmT3_T4_T5_T6_T7_T9_mT8_P12ihipStream_tbDpT10_ENKUlT_T0_E_clISt17integral_constantIbLb1EES1A_EEDaS15_S16_EUlS15_E_NS1_11comp_targetILNS1_3genE3ELNS1_11target_archE908ELNS1_3gpuE7ELNS1_3repE0EEENS1_30default_config_static_selectorELNS0_4arch9wavefront6targetE1EEEvT1_
	.p2align	8
	.type	_ZN7rocprim17ROCPRIM_400000_NS6detail17trampoline_kernelINS0_14default_configENS1_25partition_config_selectorILNS1_17partition_subalgoE9EllbEEZZNS1_14partition_implILS5_9ELb0ES3_jPlS8_PNS0_10empty_typeENS0_5tupleIJS8_S9_EEENSB_IJS8_SA_EEENS0_18inequality_wrapperIZN2at6native12_GLOBAL__N_124unique_dim_cuda_templateIdEESt5tupleIJNSF_6TensorESK_SK_EERKSK_lbbbEUlllE0_EEPmJS9_EEE10hipError_tPvRmT3_T4_T5_T6_T7_T9_mT8_P12ihipStream_tbDpT10_ENKUlT_T0_E_clISt17integral_constantIbLb1EES1A_EEDaS15_S16_EUlS15_E_NS1_11comp_targetILNS1_3genE3ELNS1_11target_archE908ELNS1_3gpuE7ELNS1_3repE0EEENS1_30default_config_static_selectorELNS0_4arch9wavefront6targetE1EEEvT1_,@function
_ZN7rocprim17ROCPRIM_400000_NS6detail17trampoline_kernelINS0_14default_configENS1_25partition_config_selectorILNS1_17partition_subalgoE9EllbEEZZNS1_14partition_implILS5_9ELb0ES3_jPlS8_PNS0_10empty_typeENS0_5tupleIJS8_S9_EEENSB_IJS8_SA_EEENS0_18inequality_wrapperIZN2at6native12_GLOBAL__N_124unique_dim_cuda_templateIdEESt5tupleIJNSF_6TensorESK_SK_EERKSK_lbbbEUlllE0_EEPmJS9_EEE10hipError_tPvRmT3_T4_T5_T6_T7_T9_mT8_P12ihipStream_tbDpT10_ENKUlT_T0_E_clISt17integral_constantIbLb1EES1A_EEDaS15_S16_EUlS15_E_NS1_11comp_targetILNS1_3genE3ELNS1_11target_archE908ELNS1_3gpuE7ELNS1_3repE0EEENS1_30default_config_static_selectorELNS0_4arch9wavefront6targetE1EEEvT1_: ; @_ZN7rocprim17ROCPRIM_400000_NS6detail17trampoline_kernelINS0_14default_configENS1_25partition_config_selectorILNS1_17partition_subalgoE9EllbEEZZNS1_14partition_implILS5_9ELb0ES3_jPlS8_PNS0_10empty_typeENS0_5tupleIJS8_S9_EEENSB_IJS8_SA_EEENS0_18inequality_wrapperIZN2at6native12_GLOBAL__N_124unique_dim_cuda_templateIdEESt5tupleIJNSF_6TensorESK_SK_EERKSK_lbbbEUlllE0_EEPmJS9_EEE10hipError_tPvRmT3_T4_T5_T6_T7_T9_mT8_P12ihipStream_tbDpT10_ENKUlT_T0_E_clISt17integral_constantIbLb1EES1A_EEDaS15_S16_EUlS15_E_NS1_11comp_targetILNS1_3genE3ELNS1_11target_archE908ELNS1_3gpuE7ELNS1_3repE0EEENS1_30default_config_static_selectorELNS0_4arch9wavefront6targetE1EEEvT1_
; %bb.0:
	.section	.rodata,"a",@progbits
	.p2align	6, 0x0
	.amdhsa_kernel _ZN7rocprim17ROCPRIM_400000_NS6detail17trampoline_kernelINS0_14default_configENS1_25partition_config_selectorILNS1_17partition_subalgoE9EllbEEZZNS1_14partition_implILS5_9ELb0ES3_jPlS8_PNS0_10empty_typeENS0_5tupleIJS8_S9_EEENSB_IJS8_SA_EEENS0_18inequality_wrapperIZN2at6native12_GLOBAL__N_124unique_dim_cuda_templateIdEESt5tupleIJNSF_6TensorESK_SK_EERKSK_lbbbEUlllE0_EEPmJS9_EEE10hipError_tPvRmT3_T4_T5_T6_T7_T9_mT8_P12ihipStream_tbDpT10_ENKUlT_T0_E_clISt17integral_constantIbLb1EES1A_EEDaS15_S16_EUlS15_E_NS1_11comp_targetILNS1_3genE3ELNS1_11target_archE908ELNS1_3gpuE7ELNS1_3repE0EEENS1_30default_config_static_selectorELNS0_4arch9wavefront6targetE1EEEvT1_
		.amdhsa_group_segment_fixed_size 0
		.amdhsa_private_segment_fixed_size 0
		.amdhsa_kernarg_size 136
		.amdhsa_user_sgpr_count 2
		.amdhsa_user_sgpr_dispatch_ptr 0
		.amdhsa_user_sgpr_queue_ptr 0
		.amdhsa_user_sgpr_kernarg_segment_ptr 1
		.amdhsa_user_sgpr_dispatch_id 0
		.amdhsa_user_sgpr_kernarg_preload_length 0
		.amdhsa_user_sgpr_kernarg_preload_offset 0
		.amdhsa_user_sgpr_private_segment_size 0
		.amdhsa_uses_dynamic_stack 0
		.amdhsa_enable_private_segment 0
		.amdhsa_system_sgpr_workgroup_id_x 1
		.amdhsa_system_sgpr_workgroup_id_y 0
		.amdhsa_system_sgpr_workgroup_id_z 0
		.amdhsa_system_sgpr_workgroup_info 0
		.amdhsa_system_vgpr_workitem_id 0
		.amdhsa_next_free_vgpr 1
		.amdhsa_next_free_sgpr 0
		.amdhsa_accum_offset 4
		.amdhsa_reserve_vcc 0
		.amdhsa_float_round_mode_32 0
		.amdhsa_float_round_mode_16_64 0
		.amdhsa_float_denorm_mode_32 3
		.amdhsa_float_denorm_mode_16_64 3
		.amdhsa_dx10_clamp 1
		.amdhsa_ieee_mode 1
		.amdhsa_fp16_overflow 0
		.amdhsa_tg_split 0
		.amdhsa_exception_fp_ieee_invalid_op 0
		.amdhsa_exception_fp_denorm_src 0
		.amdhsa_exception_fp_ieee_div_zero 0
		.amdhsa_exception_fp_ieee_overflow 0
		.amdhsa_exception_fp_ieee_underflow 0
		.amdhsa_exception_fp_ieee_inexact 0
		.amdhsa_exception_int_div_zero 0
	.end_amdhsa_kernel
	.section	.text._ZN7rocprim17ROCPRIM_400000_NS6detail17trampoline_kernelINS0_14default_configENS1_25partition_config_selectorILNS1_17partition_subalgoE9EllbEEZZNS1_14partition_implILS5_9ELb0ES3_jPlS8_PNS0_10empty_typeENS0_5tupleIJS8_S9_EEENSB_IJS8_SA_EEENS0_18inequality_wrapperIZN2at6native12_GLOBAL__N_124unique_dim_cuda_templateIdEESt5tupleIJNSF_6TensorESK_SK_EERKSK_lbbbEUlllE0_EEPmJS9_EEE10hipError_tPvRmT3_T4_T5_T6_T7_T9_mT8_P12ihipStream_tbDpT10_ENKUlT_T0_E_clISt17integral_constantIbLb1EES1A_EEDaS15_S16_EUlS15_E_NS1_11comp_targetILNS1_3genE3ELNS1_11target_archE908ELNS1_3gpuE7ELNS1_3repE0EEENS1_30default_config_static_selectorELNS0_4arch9wavefront6targetE1EEEvT1_,"axG",@progbits,_ZN7rocprim17ROCPRIM_400000_NS6detail17trampoline_kernelINS0_14default_configENS1_25partition_config_selectorILNS1_17partition_subalgoE9EllbEEZZNS1_14partition_implILS5_9ELb0ES3_jPlS8_PNS0_10empty_typeENS0_5tupleIJS8_S9_EEENSB_IJS8_SA_EEENS0_18inequality_wrapperIZN2at6native12_GLOBAL__N_124unique_dim_cuda_templateIdEESt5tupleIJNSF_6TensorESK_SK_EERKSK_lbbbEUlllE0_EEPmJS9_EEE10hipError_tPvRmT3_T4_T5_T6_T7_T9_mT8_P12ihipStream_tbDpT10_ENKUlT_T0_E_clISt17integral_constantIbLb1EES1A_EEDaS15_S16_EUlS15_E_NS1_11comp_targetILNS1_3genE3ELNS1_11target_archE908ELNS1_3gpuE7ELNS1_3repE0EEENS1_30default_config_static_selectorELNS0_4arch9wavefront6targetE1EEEvT1_,comdat
.Lfunc_end850:
	.size	_ZN7rocprim17ROCPRIM_400000_NS6detail17trampoline_kernelINS0_14default_configENS1_25partition_config_selectorILNS1_17partition_subalgoE9EllbEEZZNS1_14partition_implILS5_9ELb0ES3_jPlS8_PNS0_10empty_typeENS0_5tupleIJS8_S9_EEENSB_IJS8_SA_EEENS0_18inequality_wrapperIZN2at6native12_GLOBAL__N_124unique_dim_cuda_templateIdEESt5tupleIJNSF_6TensorESK_SK_EERKSK_lbbbEUlllE0_EEPmJS9_EEE10hipError_tPvRmT3_T4_T5_T6_T7_T9_mT8_P12ihipStream_tbDpT10_ENKUlT_T0_E_clISt17integral_constantIbLb1EES1A_EEDaS15_S16_EUlS15_E_NS1_11comp_targetILNS1_3genE3ELNS1_11target_archE908ELNS1_3gpuE7ELNS1_3repE0EEENS1_30default_config_static_selectorELNS0_4arch9wavefront6targetE1EEEvT1_, .Lfunc_end850-_ZN7rocprim17ROCPRIM_400000_NS6detail17trampoline_kernelINS0_14default_configENS1_25partition_config_selectorILNS1_17partition_subalgoE9EllbEEZZNS1_14partition_implILS5_9ELb0ES3_jPlS8_PNS0_10empty_typeENS0_5tupleIJS8_S9_EEENSB_IJS8_SA_EEENS0_18inequality_wrapperIZN2at6native12_GLOBAL__N_124unique_dim_cuda_templateIdEESt5tupleIJNSF_6TensorESK_SK_EERKSK_lbbbEUlllE0_EEPmJS9_EEE10hipError_tPvRmT3_T4_T5_T6_T7_T9_mT8_P12ihipStream_tbDpT10_ENKUlT_T0_E_clISt17integral_constantIbLb1EES1A_EEDaS15_S16_EUlS15_E_NS1_11comp_targetILNS1_3genE3ELNS1_11target_archE908ELNS1_3gpuE7ELNS1_3repE0EEENS1_30default_config_static_selectorELNS0_4arch9wavefront6targetE1EEEvT1_
                                        ; -- End function
	.set _ZN7rocprim17ROCPRIM_400000_NS6detail17trampoline_kernelINS0_14default_configENS1_25partition_config_selectorILNS1_17partition_subalgoE9EllbEEZZNS1_14partition_implILS5_9ELb0ES3_jPlS8_PNS0_10empty_typeENS0_5tupleIJS8_S9_EEENSB_IJS8_SA_EEENS0_18inequality_wrapperIZN2at6native12_GLOBAL__N_124unique_dim_cuda_templateIdEESt5tupleIJNSF_6TensorESK_SK_EERKSK_lbbbEUlllE0_EEPmJS9_EEE10hipError_tPvRmT3_T4_T5_T6_T7_T9_mT8_P12ihipStream_tbDpT10_ENKUlT_T0_E_clISt17integral_constantIbLb1EES1A_EEDaS15_S16_EUlS15_E_NS1_11comp_targetILNS1_3genE3ELNS1_11target_archE908ELNS1_3gpuE7ELNS1_3repE0EEENS1_30default_config_static_selectorELNS0_4arch9wavefront6targetE1EEEvT1_.num_vgpr, 0
	.set _ZN7rocprim17ROCPRIM_400000_NS6detail17trampoline_kernelINS0_14default_configENS1_25partition_config_selectorILNS1_17partition_subalgoE9EllbEEZZNS1_14partition_implILS5_9ELb0ES3_jPlS8_PNS0_10empty_typeENS0_5tupleIJS8_S9_EEENSB_IJS8_SA_EEENS0_18inequality_wrapperIZN2at6native12_GLOBAL__N_124unique_dim_cuda_templateIdEESt5tupleIJNSF_6TensorESK_SK_EERKSK_lbbbEUlllE0_EEPmJS9_EEE10hipError_tPvRmT3_T4_T5_T6_T7_T9_mT8_P12ihipStream_tbDpT10_ENKUlT_T0_E_clISt17integral_constantIbLb1EES1A_EEDaS15_S16_EUlS15_E_NS1_11comp_targetILNS1_3genE3ELNS1_11target_archE908ELNS1_3gpuE7ELNS1_3repE0EEENS1_30default_config_static_selectorELNS0_4arch9wavefront6targetE1EEEvT1_.num_agpr, 0
	.set _ZN7rocprim17ROCPRIM_400000_NS6detail17trampoline_kernelINS0_14default_configENS1_25partition_config_selectorILNS1_17partition_subalgoE9EllbEEZZNS1_14partition_implILS5_9ELb0ES3_jPlS8_PNS0_10empty_typeENS0_5tupleIJS8_S9_EEENSB_IJS8_SA_EEENS0_18inequality_wrapperIZN2at6native12_GLOBAL__N_124unique_dim_cuda_templateIdEESt5tupleIJNSF_6TensorESK_SK_EERKSK_lbbbEUlllE0_EEPmJS9_EEE10hipError_tPvRmT3_T4_T5_T6_T7_T9_mT8_P12ihipStream_tbDpT10_ENKUlT_T0_E_clISt17integral_constantIbLb1EES1A_EEDaS15_S16_EUlS15_E_NS1_11comp_targetILNS1_3genE3ELNS1_11target_archE908ELNS1_3gpuE7ELNS1_3repE0EEENS1_30default_config_static_selectorELNS0_4arch9wavefront6targetE1EEEvT1_.numbered_sgpr, 0
	.set _ZN7rocprim17ROCPRIM_400000_NS6detail17trampoline_kernelINS0_14default_configENS1_25partition_config_selectorILNS1_17partition_subalgoE9EllbEEZZNS1_14partition_implILS5_9ELb0ES3_jPlS8_PNS0_10empty_typeENS0_5tupleIJS8_S9_EEENSB_IJS8_SA_EEENS0_18inequality_wrapperIZN2at6native12_GLOBAL__N_124unique_dim_cuda_templateIdEESt5tupleIJNSF_6TensorESK_SK_EERKSK_lbbbEUlllE0_EEPmJS9_EEE10hipError_tPvRmT3_T4_T5_T6_T7_T9_mT8_P12ihipStream_tbDpT10_ENKUlT_T0_E_clISt17integral_constantIbLb1EES1A_EEDaS15_S16_EUlS15_E_NS1_11comp_targetILNS1_3genE3ELNS1_11target_archE908ELNS1_3gpuE7ELNS1_3repE0EEENS1_30default_config_static_selectorELNS0_4arch9wavefront6targetE1EEEvT1_.num_named_barrier, 0
	.set _ZN7rocprim17ROCPRIM_400000_NS6detail17trampoline_kernelINS0_14default_configENS1_25partition_config_selectorILNS1_17partition_subalgoE9EllbEEZZNS1_14partition_implILS5_9ELb0ES3_jPlS8_PNS0_10empty_typeENS0_5tupleIJS8_S9_EEENSB_IJS8_SA_EEENS0_18inequality_wrapperIZN2at6native12_GLOBAL__N_124unique_dim_cuda_templateIdEESt5tupleIJNSF_6TensorESK_SK_EERKSK_lbbbEUlllE0_EEPmJS9_EEE10hipError_tPvRmT3_T4_T5_T6_T7_T9_mT8_P12ihipStream_tbDpT10_ENKUlT_T0_E_clISt17integral_constantIbLb1EES1A_EEDaS15_S16_EUlS15_E_NS1_11comp_targetILNS1_3genE3ELNS1_11target_archE908ELNS1_3gpuE7ELNS1_3repE0EEENS1_30default_config_static_selectorELNS0_4arch9wavefront6targetE1EEEvT1_.private_seg_size, 0
	.set _ZN7rocprim17ROCPRIM_400000_NS6detail17trampoline_kernelINS0_14default_configENS1_25partition_config_selectorILNS1_17partition_subalgoE9EllbEEZZNS1_14partition_implILS5_9ELb0ES3_jPlS8_PNS0_10empty_typeENS0_5tupleIJS8_S9_EEENSB_IJS8_SA_EEENS0_18inequality_wrapperIZN2at6native12_GLOBAL__N_124unique_dim_cuda_templateIdEESt5tupleIJNSF_6TensorESK_SK_EERKSK_lbbbEUlllE0_EEPmJS9_EEE10hipError_tPvRmT3_T4_T5_T6_T7_T9_mT8_P12ihipStream_tbDpT10_ENKUlT_T0_E_clISt17integral_constantIbLb1EES1A_EEDaS15_S16_EUlS15_E_NS1_11comp_targetILNS1_3genE3ELNS1_11target_archE908ELNS1_3gpuE7ELNS1_3repE0EEENS1_30default_config_static_selectorELNS0_4arch9wavefront6targetE1EEEvT1_.uses_vcc, 0
	.set _ZN7rocprim17ROCPRIM_400000_NS6detail17trampoline_kernelINS0_14default_configENS1_25partition_config_selectorILNS1_17partition_subalgoE9EllbEEZZNS1_14partition_implILS5_9ELb0ES3_jPlS8_PNS0_10empty_typeENS0_5tupleIJS8_S9_EEENSB_IJS8_SA_EEENS0_18inequality_wrapperIZN2at6native12_GLOBAL__N_124unique_dim_cuda_templateIdEESt5tupleIJNSF_6TensorESK_SK_EERKSK_lbbbEUlllE0_EEPmJS9_EEE10hipError_tPvRmT3_T4_T5_T6_T7_T9_mT8_P12ihipStream_tbDpT10_ENKUlT_T0_E_clISt17integral_constantIbLb1EES1A_EEDaS15_S16_EUlS15_E_NS1_11comp_targetILNS1_3genE3ELNS1_11target_archE908ELNS1_3gpuE7ELNS1_3repE0EEENS1_30default_config_static_selectorELNS0_4arch9wavefront6targetE1EEEvT1_.uses_flat_scratch, 0
	.set _ZN7rocprim17ROCPRIM_400000_NS6detail17trampoline_kernelINS0_14default_configENS1_25partition_config_selectorILNS1_17partition_subalgoE9EllbEEZZNS1_14partition_implILS5_9ELb0ES3_jPlS8_PNS0_10empty_typeENS0_5tupleIJS8_S9_EEENSB_IJS8_SA_EEENS0_18inequality_wrapperIZN2at6native12_GLOBAL__N_124unique_dim_cuda_templateIdEESt5tupleIJNSF_6TensorESK_SK_EERKSK_lbbbEUlllE0_EEPmJS9_EEE10hipError_tPvRmT3_T4_T5_T6_T7_T9_mT8_P12ihipStream_tbDpT10_ENKUlT_T0_E_clISt17integral_constantIbLb1EES1A_EEDaS15_S16_EUlS15_E_NS1_11comp_targetILNS1_3genE3ELNS1_11target_archE908ELNS1_3gpuE7ELNS1_3repE0EEENS1_30default_config_static_selectorELNS0_4arch9wavefront6targetE1EEEvT1_.has_dyn_sized_stack, 0
	.set _ZN7rocprim17ROCPRIM_400000_NS6detail17trampoline_kernelINS0_14default_configENS1_25partition_config_selectorILNS1_17partition_subalgoE9EllbEEZZNS1_14partition_implILS5_9ELb0ES3_jPlS8_PNS0_10empty_typeENS0_5tupleIJS8_S9_EEENSB_IJS8_SA_EEENS0_18inequality_wrapperIZN2at6native12_GLOBAL__N_124unique_dim_cuda_templateIdEESt5tupleIJNSF_6TensorESK_SK_EERKSK_lbbbEUlllE0_EEPmJS9_EEE10hipError_tPvRmT3_T4_T5_T6_T7_T9_mT8_P12ihipStream_tbDpT10_ENKUlT_T0_E_clISt17integral_constantIbLb1EES1A_EEDaS15_S16_EUlS15_E_NS1_11comp_targetILNS1_3genE3ELNS1_11target_archE908ELNS1_3gpuE7ELNS1_3repE0EEENS1_30default_config_static_selectorELNS0_4arch9wavefront6targetE1EEEvT1_.has_recursion, 0
	.set _ZN7rocprim17ROCPRIM_400000_NS6detail17trampoline_kernelINS0_14default_configENS1_25partition_config_selectorILNS1_17partition_subalgoE9EllbEEZZNS1_14partition_implILS5_9ELb0ES3_jPlS8_PNS0_10empty_typeENS0_5tupleIJS8_S9_EEENSB_IJS8_SA_EEENS0_18inequality_wrapperIZN2at6native12_GLOBAL__N_124unique_dim_cuda_templateIdEESt5tupleIJNSF_6TensorESK_SK_EERKSK_lbbbEUlllE0_EEPmJS9_EEE10hipError_tPvRmT3_T4_T5_T6_T7_T9_mT8_P12ihipStream_tbDpT10_ENKUlT_T0_E_clISt17integral_constantIbLb1EES1A_EEDaS15_S16_EUlS15_E_NS1_11comp_targetILNS1_3genE3ELNS1_11target_archE908ELNS1_3gpuE7ELNS1_3repE0EEENS1_30default_config_static_selectorELNS0_4arch9wavefront6targetE1EEEvT1_.has_indirect_call, 0
	.section	.AMDGPU.csdata,"",@progbits
; Kernel info:
; codeLenInByte = 0
; TotalNumSgprs: 6
; NumVgprs: 0
; NumAgprs: 0
; TotalNumVgprs: 0
; ScratchSize: 0
; MemoryBound: 0
; FloatMode: 240
; IeeeMode: 1
; LDSByteSize: 0 bytes/workgroup (compile time only)
; SGPRBlocks: 0
; VGPRBlocks: 0
; NumSGPRsForWavesPerEU: 6
; NumVGPRsForWavesPerEU: 1
; AccumOffset: 4
; Occupancy: 8
; WaveLimiterHint : 0
; COMPUTE_PGM_RSRC2:SCRATCH_EN: 0
; COMPUTE_PGM_RSRC2:USER_SGPR: 2
; COMPUTE_PGM_RSRC2:TRAP_HANDLER: 0
; COMPUTE_PGM_RSRC2:TGID_X_EN: 1
; COMPUTE_PGM_RSRC2:TGID_Y_EN: 0
; COMPUTE_PGM_RSRC2:TGID_Z_EN: 0
; COMPUTE_PGM_RSRC2:TIDIG_COMP_CNT: 0
; COMPUTE_PGM_RSRC3_GFX90A:ACCUM_OFFSET: 0
; COMPUTE_PGM_RSRC3_GFX90A:TG_SPLIT: 0
	.section	.text._ZN7rocprim17ROCPRIM_400000_NS6detail17trampoline_kernelINS0_14default_configENS1_25partition_config_selectorILNS1_17partition_subalgoE9EllbEEZZNS1_14partition_implILS5_9ELb0ES3_jPlS8_PNS0_10empty_typeENS0_5tupleIJS8_S9_EEENSB_IJS8_SA_EEENS0_18inequality_wrapperIZN2at6native12_GLOBAL__N_124unique_dim_cuda_templateIdEESt5tupleIJNSF_6TensorESK_SK_EERKSK_lbbbEUlllE0_EEPmJS9_EEE10hipError_tPvRmT3_T4_T5_T6_T7_T9_mT8_P12ihipStream_tbDpT10_ENKUlT_T0_E_clISt17integral_constantIbLb1EES1A_EEDaS15_S16_EUlS15_E_NS1_11comp_targetILNS1_3genE2ELNS1_11target_archE906ELNS1_3gpuE6ELNS1_3repE0EEENS1_30default_config_static_selectorELNS0_4arch9wavefront6targetE1EEEvT1_,"axG",@progbits,_ZN7rocprim17ROCPRIM_400000_NS6detail17trampoline_kernelINS0_14default_configENS1_25partition_config_selectorILNS1_17partition_subalgoE9EllbEEZZNS1_14partition_implILS5_9ELb0ES3_jPlS8_PNS0_10empty_typeENS0_5tupleIJS8_S9_EEENSB_IJS8_SA_EEENS0_18inequality_wrapperIZN2at6native12_GLOBAL__N_124unique_dim_cuda_templateIdEESt5tupleIJNSF_6TensorESK_SK_EERKSK_lbbbEUlllE0_EEPmJS9_EEE10hipError_tPvRmT3_T4_T5_T6_T7_T9_mT8_P12ihipStream_tbDpT10_ENKUlT_T0_E_clISt17integral_constantIbLb1EES1A_EEDaS15_S16_EUlS15_E_NS1_11comp_targetILNS1_3genE2ELNS1_11target_archE906ELNS1_3gpuE6ELNS1_3repE0EEENS1_30default_config_static_selectorELNS0_4arch9wavefront6targetE1EEEvT1_,comdat
	.globl	_ZN7rocprim17ROCPRIM_400000_NS6detail17trampoline_kernelINS0_14default_configENS1_25partition_config_selectorILNS1_17partition_subalgoE9EllbEEZZNS1_14partition_implILS5_9ELb0ES3_jPlS8_PNS0_10empty_typeENS0_5tupleIJS8_S9_EEENSB_IJS8_SA_EEENS0_18inequality_wrapperIZN2at6native12_GLOBAL__N_124unique_dim_cuda_templateIdEESt5tupleIJNSF_6TensorESK_SK_EERKSK_lbbbEUlllE0_EEPmJS9_EEE10hipError_tPvRmT3_T4_T5_T6_T7_T9_mT8_P12ihipStream_tbDpT10_ENKUlT_T0_E_clISt17integral_constantIbLb1EES1A_EEDaS15_S16_EUlS15_E_NS1_11comp_targetILNS1_3genE2ELNS1_11target_archE906ELNS1_3gpuE6ELNS1_3repE0EEENS1_30default_config_static_selectorELNS0_4arch9wavefront6targetE1EEEvT1_ ; -- Begin function _ZN7rocprim17ROCPRIM_400000_NS6detail17trampoline_kernelINS0_14default_configENS1_25partition_config_selectorILNS1_17partition_subalgoE9EllbEEZZNS1_14partition_implILS5_9ELb0ES3_jPlS8_PNS0_10empty_typeENS0_5tupleIJS8_S9_EEENSB_IJS8_SA_EEENS0_18inequality_wrapperIZN2at6native12_GLOBAL__N_124unique_dim_cuda_templateIdEESt5tupleIJNSF_6TensorESK_SK_EERKSK_lbbbEUlllE0_EEPmJS9_EEE10hipError_tPvRmT3_T4_T5_T6_T7_T9_mT8_P12ihipStream_tbDpT10_ENKUlT_T0_E_clISt17integral_constantIbLb1EES1A_EEDaS15_S16_EUlS15_E_NS1_11comp_targetILNS1_3genE2ELNS1_11target_archE906ELNS1_3gpuE6ELNS1_3repE0EEENS1_30default_config_static_selectorELNS0_4arch9wavefront6targetE1EEEvT1_
	.p2align	8
	.type	_ZN7rocprim17ROCPRIM_400000_NS6detail17trampoline_kernelINS0_14default_configENS1_25partition_config_selectorILNS1_17partition_subalgoE9EllbEEZZNS1_14partition_implILS5_9ELb0ES3_jPlS8_PNS0_10empty_typeENS0_5tupleIJS8_S9_EEENSB_IJS8_SA_EEENS0_18inequality_wrapperIZN2at6native12_GLOBAL__N_124unique_dim_cuda_templateIdEESt5tupleIJNSF_6TensorESK_SK_EERKSK_lbbbEUlllE0_EEPmJS9_EEE10hipError_tPvRmT3_T4_T5_T6_T7_T9_mT8_P12ihipStream_tbDpT10_ENKUlT_T0_E_clISt17integral_constantIbLb1EES1A_EEDaS15_S16_EUlS15_E_NS1_11comp_targetILNS1_3genE2ELNS1_11target_archE906ELNS1_3gpuE6ELNS1_3repE0EEENS1_30default_config_static_selectorELNS0_4arch9wavefront6targetE1EEEvT1_,@function
_ZN7rocprim17ROCPRIM_400000_NS6detail17trampoline_kernelINS0_14default_configENS1_25partition_config_selectorILNS1_17partition_subalgoE9EllbEEZZNS1_14partition_implILS5_9ELb0ES3_jPlS8_PNS0_10empty_typeENS0_5tupleIJS8_S9_EEENSB_IJS8_SA_EEENS0_18inequality_wrapperIZN2at6native12_GLOBAL__N_124unique_dim_cuda_templateIdEESt5tupleIJNSF_6TensorESK_SK_EERKSK_lbbbEUlllE0_EEPmJS9_EEE10hipError_tPvRmT3_T4_T5_T6_T7_T9_mT8_P12ihipStream_tbDpT10_ENKUlT_T0_E_clISt17integral_constantIbLb1EES1A_EEDaS15_S16_EUlS15_E_NS1_11comp_targetILNS1_3genE2ELNS1_11target_archE906ELNS1_3gpuE6ELNS1_3repE0EEENS1_30default_config_static_selectorELNS0_4arch9wavefront6targetE1EEEvT1_: ; @_ZN7rocprim17ROCPRIM_400000_NS6detail17trampoline_kernelINS0_14default_configENS1_25partition_config_selectorILNS1_17partition_subalgoE9EllbEEZZNS1_14partition_implILS5_9ELb0ES3_jPlS8_PNS0_10empty_typeENS0_5tupleIJS8_S9_EEENSB_IJS8_SA_EEENS0_18inequality_wrapperIZN2at6native12_GLOBAL__N_124unique_dim_cuda_templateIdEESt5tupleIJNSF_6TensorESK_SK_EERKSK_lbbbEUlllE0_EEPmJS9_EEE10hipError_tPvRmT3_T4_T5_T6_T7_T9_mT8_P12ihipStream_tbDpT10_ENKUlT_T0_E_clISt17integral_constantIbLb1EES1A_EEDaS15_S16_EUlS15_E_NS1_11comp_targetILNS1_3genE2ELNS1_11target_archE906ELNS1_3gpuE6ELNS1_3repE0EEENS1_30default_config_static_selectorELNS0_4arch9wavefront6targetE1EEEvT1_
; %bb.0:
	.section	.rodata,"a",@progbits
	.p2align	6, 0x0
	.amdhsa_kernel _ZN7rocprim17ROCPRIM_400000_NS6detail17trampoline_kernelINS0_14default_configENS1_25partition_config_selectorILNS1_17partition_subalgoE9EllbEEZZNS1_14partition_implILS5_9ELb0ES3_jPlS8_PNS0_10empty_typeENS0_5tupleIJS8_S9_EEENSB_IJS8_SA_EEENS0_18inequality_wrapperIZN2at6native12_GLOBAL__N_124unique_dim_cuda_templateIdEESt5tupleIJNSF_6TensorESK_SK_EERKSK_lbbbEUlllE0_EEPmJS9_EEE10hipError_tPvRmT3_T4_T5_T6_T7_T9_mT8_P12ihipStream_tbDpT10_ENKUlT_T0_E_clISt17integral_constantIbLb1EES1A_EEDaS15_S16_EUlS15_E_NS1_11comp_targetILNS1_3genE2ELNS1_11target_archE906ELNS1_3gpuE6ELNS1_3repE0EEENS1_30default_config_static_selectorELNS0_4arch9wavefront6targetE1EEEvT1_
		.amdhsa_group_segment_fixed_size 0
		.amdhsa_private_segment_fixed_size 0
		.amdhsa_kernarg_size 136
		.amdhsa_user_sgpr_count 2
		.amdhsa_user_sgpr_dispatch_ptr 0
		.amdhsa_user_sgpr_queue_ptr 0
		.amdhsa_user_sgpr_kernarg_segment_ptr 1
		.amdhsa_user_sgpr_dispatch_id 0
		.amdhsa_user_sgpr_kernarg_preload_length 0
		.amdhsa_user_sgpr_kernarg_preload_offset 0
		.amdhsa_user_sgpr_private_segment_size 0
		.amdhsa_uses_dynamic_stack 0
		.amdhsa_enable_private_segment 0
		.amdhsa_system_sgpr_workgroup_id_x 1
		.amdhsa_system_sgpr_workgroup_id_y 0
		.amdhsa_system_sgpr_workgroup_id_z 0
		.amdhsa_system_sgpr_workgroup_info 0
		.amdhsa_system_vgpr_workitem_id 0
		.amdhsa_next_free_vgpr 1
		.amdhsa_next_free_sgpr 0
		.amdhsa_accum_offset 4
		.amdhsa_reserve_vcc 0
		.amdhsa_float_round_mode_32 0
		.amdhsa_float_round_mode_16_64 0
		.amdhsa_float_denorm_mode_32 3
		.amdhsa_float_denorm_mode_16_64 3
		.amdhsa_dx10_clamp 1
		.amdhsa_ieee_mode 1
		.amdhsa_fp16_overflow 0
		.amdhsa_tg_split 0
		.amdhsa_exception_fp_ieee_invalid_op 0
		.amdhsa_exception_fp_denorm_src 0
		.amdhsa_exception_fp_ieee_div_zero 0
		.amdhsa_exception_fp_ieee_overflow 0
		.amdhsa_exception_fp_ieee_underflow 0
		.amdhsa_exception_fp_ieee_inexact 0
		.amdhsa_exception_int_div_zero 0
	.end_amdhsa_kernel
	.section	.text._ZN7rocprim17ROCPRIM_400000_NS6detail17trampoline_kernelINS0_14default_configENS1_25partition_config_selectorILNS1_17partition_subalgoE9EllbEEZZNS1_14partition_implILS5_9ELb0ES3_jPlS8_PNS0_10empty_typeENS0_5tupleIJS8_S9_EEENSB_IJS8_SA_EEENS0_18inequality_wrapperIZN2at6native12_GLOBAL__N_124unique_dim_cuda_templateIdEESt5tupleIJNSF_6TensorESK_SK_EERKSK_lbbbEUlllE0_EEPmJS9_EEE10hipError_tPvRmT3_T4_T5_T6_T7_T9_mT8_P12ihipStream_tbDpT10_ENKUlT_T0_E_clISt17integral_constantIbLb1EES1A_EEDaS15_S16_EUlS15_E_NS1_11comp_targetILNS1_3genE2ELNS1_11target_archE906ELNS1_3gpuE6ELNS1_3repE0EEENS1_30default_config_static_selectorELNS0_4arch9wavefront6targetE1EEEvT1_,"axG",@progbits,_ZN7rocprim17ROCPRIM_400000_NS6detail17trampoline_kernelINS0_14default_configENS1_25partition_config_selectorILNS1_17partition_subalgoE9EllbEEZZNS1_14partition_implILS5_9ELb0ES3_jPlS8_PNS0_10empty_typeENS0_5tupleIJS8_S9_EEENSB_IJS8_SA_EEENS0_18inequality_wrapperIZN2at6native12_GLOBAL__N_124unique_dim_cuda_templateIdEESt5tupleIJNSF_6TensorESK_SK_EERKSK_lbbbEUlllE0_EEPmJS9_EEE10hipError_tPvRmT3_T4_T5_T6_T7_T9_mT8_P12ihipStream_tbDpT10_ENKUlT_T0_E_clISt17integral_constantIbLb1EES1A_EEDaS15_S16_EUlS15_E_NS1_11comp_targetILNS1_3genE2ELNS1_11target_archE906ELNS1_3gpuE6ELNS1_3repE0EEENS1_30default_config_static_selectorELNS0_4arch9wavefront6targetE1EEEvT1_,comdat
.Lfunc_end851:
	.size	_ZN7rocprim17ROCPRIM_400000_NS6detail17trampoline_kernelINS0_14default_configENS1_25partition_config_selectorILNS1_17partition_subalgoE9EllbEEZZNS1_14partition_implILS5_9ELb0ES3_jPlS8_PNS0_10empty_typeENS0_5tupleIJS8_S9_EEENSB_IJS8_SA_EEENS0_18inequality_wrapperIZN2at6native12_GLOBAL__N_124unique_dim_cuda_templateIdEESt5tupleIJNSF_6TensorESK_SK_EERKSK_lbbbEUlllE0_EEPmJS9_EEE10hipError_tPvRmT3_T4_T5_T6_T7_T9_mT8_P12ihipStream_tbDpT10_ENKUlT_T0_E_clISt17integral_constantIbLb1EES1A_EEDaS15_S16_EUlS15_E_NS1_11comp_targetILNS1_3genE2ELNS1_11target_archE906ELNS1_3gpuE6ELNS1_3repE0EEENS1_30default_config_static_selectorELNS0_4arch9wavefront6targetE1EEEvT1_, .Lfunc_end851-_ZN7rocprim17ROCPRIM_400000_NS6detail17trampoline_kernelINS0_14default_configENS1_25partition_config_selectorILNS1_17partition_subalgoE9EllbEEZZNS1_14partition_implILS5_9ELb0ES3_jPlS8_PNS0_10empty_typeENS0_5tupleIJS8_S9_EEENSB_IJS8_SA_EEENS0_18inequality_wrapperIZN2at6native12_GLOBAL__N_124unique_dim_cuda_templateIdEESt5tupleIJNSF_6TensorESK_SK_EERKSK_lbbbEUlllE0_EEPmJS9_EEE10hipError_tPvRmT3_T4_T5_T6_T7_T9_mT8_P12ihipStream_tbDpT10_ENKUlT_T0_E_clISt17integral_constantIbLb1EES1A_EEDaS15_S16_EUlS15_E_NS1_11comp_targetILNS1_3genE2ELNS1_11target_archE906ELNS1_3gpuE6ELNS1_3repE0EEENS1_30default_config_static_selectorELNS0_4arch9wavefront6targetE1EEEvT1_
                                        ; -- End function
	.set _ZN7rocprim17ROCPRIM_400000_NS6detail17trampoline_kernelINS0_14default_configENS1_25partition_config_selectorILNS1_17partition_subalgoE9EllbEEZZNS1_14partition_implILS5_9ELb0ES3_jPlS8_PNS0_10empty_typeENS0_5tupleIJS8_S9_EEENSB_IJS8_SA_EEENS0_18inequality_wrapperIZN2at6native12_GLOBAL__N_124unique_dim_cuda_templateIdEESt5tupleIJNSF_6TensorESK_SK_EERKSK_lbbbEUlllE0_EEPmJS9_EEE10hipError_tPvRmT3_T4_T5_T6_T7_T9_mT8_P12ihipStream_tbDpT10_ENKUlT_T0_E_clISt17integral_constantIbLb1EES1A_EEDaS15_S16_EUlS15_E_NS1_11comp_targetILNS1_3genE2ELNS1_11target_archE906ELNS1_3gpuE6ELNS1_3repE0EEENS1_30default_config_static_selectorELNS0_4arch9wavefront6targetE1EEEvT1_.num_vgpr, 0
	.set _ZN7rocprim17ROCPRIM_400000_NS6detail17trampoline_kernelINS0_14default_configENS1_25partition_config_selectorILNS1_17partition_subalgoE9EllbEEZZNS1_14partition_implILS5_9ELb0ES3_jPlS8_PNS0_10empty_typeENS0_5tupleIJS8_S9_EEENSB_IJS8_SA_EEENS0_18inequality_wrapperIZN2at6native12_GLOBAL__N_124unique_dim_cuda_templateIdEESt5tupleIJNSF_6TensorESK_SK_EERKSK_lbbbEUlllE0_EEPmJS9_EEE10hipError_tPvRmT3_T4_T5_T6_T7_T9_mT8_P12ihipStream_tbDpT10_ENKUlT_T0_E_clISt17integral_constantIbLb1EES1A_EEDaS15_S16_EUlS15_E_NS1_11comp_targetILNS1_3genE2ELNS1_11target_archE906ELNS1_3gpuE6ELNS1_3repE0EEENS1_30default_config_static_selectorELNS0_4arch9wavefront6targetE1EEEvT1_.num_agpr, 0
	.set _ZN7rocprim17ROCPRIM_400000_NS6detail17trampoline_kernelINS0_14default_configENS1_25partition_config_selectorILNS1_17partition_subalgoE9EllbEEZZNS1_14partition_implILS5_9ELb0ES3_jPlS8_PNS0_10empty_typeENS0_5tupleIJS8_S9_EEENSB_IJS8_SA_EEENS0_18inequality_wrapperIZN2at6native12_GLOBAL__N_124unique_dim_cuda_templateIdEESt5tupleIJNSF_6TensorESK_SK_EERKSK_lbbbEUlllE0_EEPmJS9_EEE10hipError_tPvRmT3_T4_T5_T6_T7_T9_mT8_P12ihipStream_tbDpT10_ENKUlT_T0_E_clISt17integral_constantIbLb1EES1A_EEDaS15_S16_EUlS15_E_NS1_11comp_targetILNS1_3genE2ELNS1_11target_archE906ELNS1_3gpuE6ELNS1_3repE0EEENS1_30default_config_static_selectorELNS0_4arch9wavefront6targetE1EEEvT1_.numbered_sgpr, 0
	.set _ZN7rocprim17ROCPRIM_400000_NS6detail17trampoline_kernelINS0_14default_configENS1_25partition_config_selectorILNS1_17partition_subalgoE9EllbEEZZNS1_14partition_implILS5_9ELb0ES3_jPlS8_PNS0_10empty_typeENS0_5tupleIJS8_S9_EEENSB_IJS8_SA_EEENS0_18inequality_wrapperIZN2at6native12_GLOBAL__N_124unique_dim_cuda_templateIdEESt5tupleIJNSF_6TensorESK_SK_EERKSK_lbbbEUlllE0_EEPmJS9_EEE10hipError_tPvRmT3_T4_T5_T6_T7_T9_mT8_P12ihipStream_tbDpT10_ENKUlT_T0_E_clISt17integral_constantIbLb1EES1A_EEDaS15_S16_EUlS15_E_NS1_11comp_targetILNS1_3genE2ELNS1_11target_archE906ELNS1_3gpuE6ELNS1_3repE0EEENS1_30default_config_static_selectorELNS0_4arch9wavefront6targetE1EEEvT1_.num_named_barrier, 0
	.set _ZN7rocprim17ROCPRIM_400000_NS6detail17trampoline_kernelINS0_14default_configENS1_25partition_config_selectorILNS1_17partition_subalgoE9EllbEEZZNS1_14partition_implILS5_9ELb0ES3_jPlS8_PNS0_10empty_typeENS0_5tupleIJS8_S9_EEENSB_IJS8_SA_EEENS0_18inequality_wrapperIZN2at6native12_GLOBAL__N_124unique_dim_cuda_templateIdEESt5tupleIJNSF_6TensorESK_SK_EERKSK_lbbbEUlllE0_EEPmJS9_EEE10hipError_tPvRmT3_T4_T5_T6_T7_T9_mT8_P12ihipStream_tbDpT10_ENKUlT_T0_E_clISt17integral_constantIbLb1EES1A_EEDaS15_S16_EUlS15_E_NS1_11comp_targetILNS1_3genE2ELNS1_11target_archE906ELNS1_3gpuE6ELNS1_3repE0EEENS1_30default_config_static_selectorELNS0_4arch9wavefront6targetE1EEEvT1_.private_seg_size, 0
	.set _ZN7rocprim17ROCPRIM_400000_NS6detail17trampoline_kernelINS0_14default_configENS1_25partition_config_selectorILNS1_17partition_subalgoE9EllbEEZZNS1_14partition_implILS5_9ELb0ES3_jPlS8_PNS0_10empty_typeENS0_5tupleIJS8_S9_EEENSB_IJS8_SA_EEENS0_18inequality_wrapperIZN2at6native12_GLOBAL__N_124unique_dim_cuda_templateIdEESt5tupleIJNSF_6TensorESK_SK_EERKSK_lbbbEUlllE0_EEPmJS9_EEE10hipError_tPvRmT3_T4_T5_T6_T7_T9_mT8_P12ihipStream_tbDpT10_ENKUlT_T0_E_clISt17integral_constantIbLb1EES1A_EEDaS15_S16_EUlS15_E_NS1_11comp_targetILNS1_3genE2ELNS1_11target_archE906ELNS1_3gpuE6ELNS1_3repE0EEENS1_30default_config_static_selectorELNS0_4arch9wavefront6targetE1EEEvT1_.uses_vcc, 0
	.set _ZN7rocprim17ROCPRIM_400000_NS6detail17trampoline_kernelINS0_14default_configENS1_25partition_config_selectorILNS1_17partition_subalgoE9EllbEEZZNS1_14partition_implILS5_9ELb0ES3_jPlS8_PNS0_10empty_typeENS0_5tupleIJS8_S9_EEENSB_IJS8_SA_EEENS0_18inequality_wrapperIZN2at6native12_GLOBAL__N_124unique_dim_cuda_templateIdEESt5tupleIJNSF_6TensorESK_SK_EERKSK_lbbbEUlllE0_EEPmJS9_EEE10hipError_tPvRmT3_T4_T5_T6_T7_T9_mT8_P12ihipStream_tbDpT10_ENKUlT_T0_E_clISt17integral_constantIbLb1EES1A_EEDaS15_S16_EUlS15_E_NS1_11comp_targetILNS1_3genE2ELNS1_11target_archE906ELNS1_3gpuE6ELNS1_3repE0EEENS1_30default_config_static_selectorELNS0_4arch9wavefront6targetE1EEEvT1_.uses_flat_scratch, 0
	.set _ZN7rocprim17ROCPRIM_400000_NS6detail17trampoline_kernelINS0_14default_configENS1_25partition_config_selectorILNS1_17partition_subalgoE9EllbEEZZNS1_14partition_implILS5_9ELb0ES3_jPlS8_PNS0_10empty_typeENS0_5tupleIJS8_S9_EEENSB_IJS8_SA_EEENS0_18inequality_wrapperIZN2at6native12_GLOBAL__N_124unique_dim_cuda_templateIdEESt5tupleIJNSF_6TensorESK_SK_EERKSK_lbbbEUlllE0_EEPmJS9_EEE10hipError_tPvRmT3_T4_T5_T6_T7_T9_mT8_P12ihipStream_tbDpT10_ENKUlT_T0_E_clISt17integral_constantIbLb1EES1A_EEDaS15_S16_EUlS15_E_NS1_11comp_targetILNS1_3genE2ELNS1_11target_archE906ELNS1_3gpuE6ELNS1_3repE0EEENS1_30default_config_static_selectorELNS0_4arch9wavefront6targetE1EEEvT1_.has_dyn_sized_stack, 0
	.set _ZN7rocprim17ROCPRIM_400000_NS6detail17trampoline_kernelINS0_14default_configENS1_25partition_config_selectorILNS1_17partition_subalgoE9EllbEEZZNS1_14partition_implILS5_9ELb0ES3_jPlS8_PNS0_10empty_typeENS0_5tupleIJS8_S9_EEENSB_IJS8_SA_EEENS0_18inequality_wrapperIZN2at6native12_GLOBAL__N_124unique_dim_cuda_templateIdEESt5tupleIJNSF_6TensorESK_SK_EERKSK_lbbbEUlllE0_EEPmJS9_EEE10hipError_tPvRmT3_T4_T5_T6_T7_T9_mT8_P12ihipStream_tbDpT10_ENKUlT_T0_E_clISt17integral_constantIbLb1EES1A_EEDaS15_S16_EUlS15_E_NS1_11comp_targetILNS1_3genE2ELNS1_11target_archE906ELNS1_3gpuE6ELNS1_3repE0EEENS1_30default_config_static_selectorELNS0_4arch9wavefront6targetE1EEEvT1_.has_recursion, 0
	.set _ZN7rocprim17ROCPRIM_400000_NS6detail17trampoline_kernelINS0_14default_configENS1_25partition_config_selectorILNS1_17partition_subalgoE9EllbEEZZNS1_14partition_implILS5_9ELb0ES3_jPlS8_PNS0_10empty_typeENS0_5tupleIJS8_S9_EEENSB_IJS8_SA_EEENS0_18inequality_wrapperIZN2at6native12_GLOBAL__N_124unique_dim_cuda_templateIdEESt5tupleIJNSF_6TensorESK_SK_EERKSK_lbbbEUlllE0_EEPmJS9_EEE10hipError_tPvRmT3_T4_T5_T6_T7_T9_mT8_P12ihipStream_tbDpT10_ENKUlT_T0_E_clISt17integral_constantIbLb1EES1A_EEDaS15_S16_EUlS15_E_NS1_11comp_targetILNS1_3genE2ELNS1_11target_archE906ELNS1_3gpuE6ELNS1_3repE0EEENS1_30default_config_static_selectorELNS0_4arch9wavefront6targetE1EEEvT1_.has_indirect_call, 0
	.section	.AMDGPU.csdata,"",@progbits
; Kernel info:
; codeLenInByte = 0
; TotalNumSgprs: 6
; NumVgprs: 0
; NumAgprs: 0
; TotalNumVgprs: 0
; ScratchSize: 0
; MemoryBound: 0
; FloatMode: 240
; IeeeMode: 1
; LDSByteSize: 0 bytes/workgroup (compile time only)
; SGPRBlocks: 0
; VGPRBlocks: 0
; NumSGPRsForWavesPerEU: 6
; NumVGPRsForWavesPerEU: 1
; AccumOffset: 4
; Occupancy: 8
; WaveLimiterHint : 0
; COMPUTE_PGM_RSRC2:SCRATCH_EN: 0
; COMPUTE_PGM_RSRC2:USER_SGPR: 2
; COMPUTE_PGM_RSRC2:TRAP_HANDLER: 0
; COMPUTE_PGM_RSRC2:TGID_X_EN: 1
; COMPUTE_PGM_RSRC2:TGID_Y_EN: 0
; COMPUTE_PGM_RSRC2:TGID_Z_EN: 0
; COMPUTE_PGM_RSRC2:TIDIG_COMP_CNT: 0
; COMPUTE_PGM_RSRC3_GFX90A:ACCUM_OFFSET: 0
; COMPUTE_PGM_RSRC3_GFX90A:TG_SPLIT: 0
	.section	.text._ZN7rocprim17ROCPRIM_400000_NS6detail17trampoline_kernelINS0_14default_configENS1_25partition_config_selectorILNS1_17partition_subalgoE9EllbEEZZNS1_14partition_implILS5_9ELb0ES3_jPlS8_PNS0_10empty_typeENS0_5tupleIJS8_S9_EEENSB_IJS8_SA_EEENS0_18inequality_wrapperIZN2at6native12_GLOBAL__N_124unique_dim_cuda_templateIdEESt5tupleIJNSF_6TensorESK_SK_EERKSK_lbbbEUlllE0_EEPmJS9_EEE10hipError_tPvRmT3_T4_T5_T6_T7_T9_mT8_P12ihipStream_tbDpT10_ENKUlT_T0_E_clISt17integral_constantIbLb1EES1A_EEDaS15_S16_EUlS15_E_NS1_11comp_targetILNS1_3genE10ELNS1_11target_archE1200ELNS1_3gpuE4ELNS1_3repE0EEENS1_30default_config_static_selectorELNS0_4arch9wavefront6targetE1EEEvT1_,"axG",@progbits,_ZN7rocprim17ROCPRIM_400000_NS6detail17trampoline_kernelINS0_14default_configENS1_25partition_config_selectorILNS1_17partition_subalgoE9EllbEEZZNS1_14partition_implILS5_9ELb0ES3_jPlS8_PNS0_10empty_typeENS0_5tupleIJS8_S9_EEENSB_IJS8_SA_EEENS0_18inequality_wrapperIZN2at6native12_GLOBAL__N_124unique_dim_cuda_templateIdEESt5tupleIJNSF_6TensorESK_SK_EERKSK_lbbbEUlllE0_EEPmJS9_EEE10hipError_tPvRmT3_T4_T5_T6_T7_T9_mT8_P12ihipStream_tbDpT10_ENKUlT_T0_E_clISt17integral_constantIbLb1EES1A_EEDaS15_S16_EUlS15_E_NS1_11comp_targetILNS1_3genE10ELNS1_11target_archE1200ELNS1_3gpuE4ELNS1_3repE0EEENS1_30default_config_static_selectorELNS0_4arch9wavefront6targetE1EEEvT1_,comdat
	.globl	_ZN7rocprim17ROCPRIM_400000_NS6detail17trampoline_kernelINS0_14default_configENS1_25partition_config_selectorILNS1_17partition_subalgoE9EllbEEZZNS1_14partition_implILS5_9ELb0ES3_jPlS8_PNS0_10empty_typeENS0_5tupleIJS8_S9_EEENSB_IJS8_SA_EEENS0_18inequality_wrapperIZN2at6native12_GLOBAL__N_124unique_dim_cuda_templateIdEESt5tupleIJNSF_6TensorESK_SK_EERKSK_lbbbEUlllE0_EEPmJS9_EEE10hipError_tPvRmT3_T4_T5_T6_T7_T9_mT8_P12ihipStream_tbDpT10_ENKUlT_T0_E_clISt17integral_constantIbLb1EES1A_EEDaS15_S16_EUlS15_E_NS1_11comp_targetILNS1_3genE10ELNS1_11target_archE1200ELNS1_3gpuE4ELNS1_3repE0EEENS1_30default_config_static_selectorELNS0_4arch9wavefront6targetE1EEEvT1_ ; -- Begin function _ZN7rocprim17ROCPRIM_400000_NS6detail17trampoline_kernelINS0_14default_configENS1_25partition_config_selectorILNS1_17partition_subalgoE9EllbEEZZNS1_14partition_implILS5_9ELb0ES3_jPlS8_PNS0_10empty_typeENS0_5tupleIJS8_S9_EEENSB_IJS8_SA_EEENS0_18inequality_wrapperIZN2at6native12_GLOBAL__N_124unique_dim_cuda_templateIdEESt5tupleIJNSF_6TensorESK_SK_EERKSK_lbbbEUlllE0_EEPmJS9_EEE10hipError_tPvRmT3_T4_T5_T6_T7_T9_mT8_P12ihipStream_tbDpT10_ENKUlT_T0_E_clISt17integral_constantIbLb1EES1A_EEDaS15_S16_EUlS15_E_NS1_11comp_targetILNS1_3genE10ELNS1_11target_archE1200ELNS1_3gpuE4ELNS1_3repE0EEENS1_30default_config_static_selectorELNS0_4arch9wavefront6targetE1EEEvT1_
	.p2align	8
	.type	_ZN7rocprim17ROCPRIM_400000_NS6detail17trampoline_kernelINS0_14default_configENS1_25partition_config_selectorILNS1_17partition_subalgoE9EllbEEZZNS1_14partition_implILS5_9ELb0ES3_jPlS8_PNS0_10empty_typeENS0_5tupleIJS8_S9_EEENSB_IJS8_SA_EEENS0_18inequality_wrapperIZN2at6native12_GLOBAL__N_124unique_dim_cuda_templateIdEESt5tupleIJNSF_6TensorESK_SK_EERKSK_lbbbEUlllE0_EEPmJS9_EEE10hipError_tPvRmT3_T4_T5_T6_T7_T9_mT8_P12ihipStream_tbDpT10_ENKUlT_T0_E_clISt17integral_constantIbLb1EES1A_EEDaS15_S16_EUlS15_E_NS1_11comp_targetILNS1_3genE10ELNS1_11target_archE1200ELNS1_3gpuE4ELNS1_3repE0EEENS1_30default_config_static_selectorELNS0_4arch9wavefront6targetE1EEEvT1_,@function
_ZN7rocprim17ROCPRIM_400000_NS6detail17trampoline_kernelINS0_14default_configENS1_25partition_config_selectorILNS1_17partition_subalgoE9EllbEEZZNS1_14partition_implILS5_9ELb0ES3_jPlS8_PNS0_10empty_typeENS0_5tupleIJS8_S9_EEENSB_IJS8_SA_EEENS0_18inequality_wrapperIZN2at6native12_GLOBAL__N_124unique_dim_cuda_templateIdEESt5tupleIJNSF_6TensorESK_SK_EERKSK_lbbbEUlllE0_EEPmJS9_EEE10hipError_tPvRmT3_T4_T5_T6_T7_T9_mT8_P12ihipStream_tbDpT10_ENKUlT_T0_E_clISt17integral_constantIbLb1EES1A_EEDaS15_S16_EUlS15_E_NS1_11comp_targetILNS1_3genE10ELNS1_11target_archE1200ELNS1_3gpuE4ELNS1_3repE0EEENS1_30default_config_static_selectorELNS0_4arch9wavefront6targetE1EEEvT1_: ; @_ZN7rocprim17ROCPRIM_400000_NS6detail17trampoline_kernelINS0_14default_configENS1_25partition_config_selectorILNS1_17partition_subalgoE9EllbEEZZNS1_14partition_implILS5_9ELb0ES3_jPlS8_PNS0_10empty_typeENS0_5tupleIJS8_S9_EEENSB_IJS8_SA_EEENS0_18inequality_wrapperIZN2at6native12_GLOBAL__N_124unique_dim_cuda_templateIdEESt5tupleIJNSF_6TensorESK_SK_EERKSK_lbbbEUlllE0_EEPmJS9_EEE10hipError_tPvRmT3_T4_T5_T6_T7_T9_mT8_P12ihipStream_tbDpT10_ENKUlT_T0_E_clISt17integral_constantIbLb1EES1A_EEDaS15_S16_EUlS15_E_NS1_11comp_targetILNS1_3genE10ELNS1_11target_archE1200ELNS1_3gpuE4ELNS1_3repE0EEENS1_30default_config_static_selectorELNS0_4arch9wavefront6targetE1EEEvT1_
; %bb.0:
	.section	.rodata,"a",@progbits
	.p2align	6, 0x0
	.amdhsa_kernel _ZN7rocprim17ROCPRIM_400000_NS6detail17trampoline_kernelINS0_14default_configENS1_25partition_config_selectorILNS1_17partition_subalgoE9EllbEEZZNS1_14partition_implILS5_9ELb0ES3_jPlS8_PNS0_10empty_typeENS0_5tupleIJS8_S9_EEENSB_IJS8_SA_EEENS0_18inequality_wrapperIZN2at6native12_GLOBAL__N_124unique_dim_cuda_templateIdEESt5tupleIJNSF_6TensorESK_SK_EERKSK_lbbbEUlllE0_EEPmJS9_EEE10hipError_tPvRmT3_T4_T5_T6_T7_T9_mT8_P12ihipStream_tbDpT10_ENKUlT_T0_E_clISt17integral_constantIbLb1EES1A_EEDaS15_S16_EUlS15_E_NS1_11comp_targetILNS1_3genE10ELNS1_11target_archE1200ELNS1_3gpuE4ELNS1_3repE0EEENS1_30default_config_static_selectorELNS0_4arch9wavefront6targetE1EEEvT1_
		.amdhsa_group_segment_fixed_size 0
		.amdhsa_private_segment_fixed_size 0
		.amdhsa_kernarg_size 136
		.amdhsa_user_sgpr_count 2
		.amdhsa_user_sgpr_dispatch_ptr 0
		.amdhsa_user_sgpr_queue_ptr 0
		.amdhsa_user_sgpr_kernarg_segment_ptr 1
		.amdhsa_user_sgpr_dispatch_id 0
		.amdhsa_user_sgpr_kernarg_preload_length 0
		.amdhsa_user_sgpr_kernarg_preload_offset 0
		.amdhsa_user_sgpr_private_segment_size 0
		.amdhsa_uses_dynamic_stack 0
		.amdhsa_enable_private_segment 0
		.amdhsa_system_sgpr_workgroup_id_x 1
		.amdhsa_system_sgpr_workgroup_id_y 0
		.amdhsa_system_sgpr_workgroup_id_z 0
		.amdhsa_system_sgpr_workgroup_info 0
		.amdhsa_system_vgpr_workitem_id 0
		.amdhsa_next_free_vgpr 1
		.amdhsa_next_free_sgpr 0
		.amdhsa_accum_offset 4
		.amdhsa_reserve_vcc 0
		.amdhsa_float_round_mode_32 0
		.amdhsa_float_round_mode_16_64 0
		.amdhsa_float_denorm_mode_32 3
		.amdhsa_float_denorm_mode_16_64 3
		.amdhsa_dx10_clamp 1
		.amdhsa_ieee_mode 1
		.amdhsa_fp16_overflow 0
		.amdhsa_tg_split 0
		.amdhsa_exception_fp_ieee_invalid_op 0
		.amdhsa_exception_fp_denorm_src 0
		.amdhsa_exception_fp_ieee_div_zero 0
		.amdhsa_exception_fp_ieee_overflow 0
		.amdhsa_exception_fp_ieee_underflow 0
		.amdhsa_exception_fp_ieee_inexact 0
		.amdhsa_exception_int_div_zero 0
	.end_amdhsa_kernel
	.section	.text._ZN7rocprim17ROCPRIM_400000_NS6detail17trampoline_kernelINS0_14default_configENS1_25partition_config_selectorILNS1_17partition_subalgoE9EllbEEZZNS1_14partition_implILS5_9ELb0ES3_jPlS8_PNS0_10empty_typeENS0_5tupleIJS8_S9_EEENSB_IJS8_SA_EEENS0_18inequality_wrapperIZN2at6native12_GLOBAL__N_124unique_dim_cuda_templateIdEESt5tupleIJNSF_6TensorESK_SK_EERKSK_lbbbEUlllE0_EEPmJS9_EEE10hipError_tPvRmT3_T4_T5_T6_T7_T9_mT8_P12ihipStream_tbDpT10_ENKUlT_T0_E_clISt17integral_constantIbLb1EES1A_EEDaS15_S16_EUlS15_E_NS1_11comp_targetILNS1_3genE10ELNS1_11target_archE1200ELNS1_3gpuE4ELNS1_3repE0EEENS1_30default_config_static_selectorELNS0_4arch9wavefront6targetE1EEEvT1_,"axG",@progbits,_ZN7rocprim17ROCPRIM_400000_NS6detail17trampoline_kernelINS0_14default_configENS1_25partition_config_selectorILNS1_17partition_subalgoE9EllbEEZZNS1_14partition_implILS5_9ELb0ES3_jPlS8_PNS0_10empty_typeENS0_5tupleIJS8_S9_EEENSB_IJS8_SA_EEENS0_18inequality_wrapperIZN2at6native12_GLOBAL__N_124unique_dim_cuda_templateIdEESt5tupleIJNSF_6TensorESK_SK_EERKSK_lbbbEUlllE0_EEPmJS9_EEE10hipError_tPvRmT3_T4_T5_T6_T7_T9_mT8_P12ihipStream_tbDpT10_ENKUlT_T0_E_clISt17integral_constantIbLb1EES1A_EEDaS15_S16_EUlS15_E_NS1_11comp_targetILNS1_3genE10ELNS1_11target_archE1200ELNS1_3gpuE4ELNS1_3repE0EEENS1_30default_config_static_selectorELNS0_4arch9wavefront6targetE1EEEvT1_,comdat
.Lfunc_end852:
	.size	_ZN7rocprim17ROCPRIM_400000_NS6detail17trampoline_kernelINS0_14default_configENS1_25partition_config_selectorILNS1_17partition_subalgoE9EllbEEZZNS1_14partition_implILS5_9ELb0ES3_jPlS8_PNS0_10empty_typeENS0_5tupleIJS8_S9_EEENSB_IJS8_SA_EEENS0_18inequality_wrapperIZN2at6native12_GLOBAL__N_124unique_dim_cuda_templateIdEESt5tupleIJNSF_6TensorESK_SK_EERKSK_lbbbEUlllE0_EEPmJS9_EEE10hipError_tPvRmT3_T4_T5_T6_T7_T9_mT8_P12ihipStream_tbDpT10_ENKUlT_T0_E_clISt17integral_constantIbLb1EES1A_EEDaS15_S16_EUlS15_E_NS1_11comp_targetILNS1_3genE10ELNS1_11target_archE1200ELNS1_3gpuE4ELNS1_3repE0EEENS1_30default_config_static_selectorELNS0_4arch9wavefront6targetE1EEEvT1_, .Lfunc_end852-_ZN7rocprim17ROCPRIM_400000_NS6detail17trampoline_kernelINS0_14default_configENS1_25partition_config_selectorILNS1_17partition_subalgoE9EllbEEZZNS1_14partition_implILS5_9ELb0ES3_jPlS8_PNS0_10empty_typeENS0_5tupleIJS8_S9_EEENSB_IJS8_SA_EEENS0_18inequality_wrapperIZN2at6native12_GLOBAL__N_124unique_dim_cuda_templateIdEESt5tupleIJNSF_6TensorESK_SK_EERKSK_lbbbEUlllE0_EEPmJS9_EEE10hipError_tPvRmT3_T4_T5_T6_T7_T9_mT8_P12ihipStream_tbDpT10_ENKUlT_T0_E_clISt17integral_constantIbLb1EES1A_EEDaS15_S16_EUlS15_E_NS1_11comp_targetILNS1_3genE10ELNS1_11target_archE1200ELNS1_3gpuE4ELNS1_3repE0EEENS1_30default_config_static_selectorELNS0_4arch9wavefront6targetE1EEEvT1_
                                        ; -- End function
	.set _ZN7rocprim17ROCPRIM_400000_NS6detail17trampoline_kernelINS0_14default_configENS1_25partition_config_selectorILNS1_17partition_subalgoE9EllbEEZZNS1_14partition_implILS5_9ELb0ES3_jPlS8_PNS0_10empty_typeENS0_5tupleIJS8_S9_EEENSB_IJS8_SA_EEENS0_18inequality_wrapperIZN2at6native12_GLOBAL__N_124unique_dim_cuda_templateIdEESt5tupleIJNSF_6TensorESK_SK_EERKSK_lbbbEUlllE0_EEPmJS9_EEE10hipError_tPvRmT3_T4_T5_T6_T7_T9_mT8_P12ihipStream_tbDpT10_ENKUlT_T0_E_clISt17integral_constantIbLb1EES1A_EEDaS15_S16_EUlS15_E_NS1_11comp_targetILNS1_3genE10ELNS1_11target_archE1200ELNS1_3gpuE4ELNS1_3repE0EEENS1_30default_config_static_selectorELNS0_4arch9wavefront6targetE1EEEvT1_.num_vgpr, 0
	.set _ZN7rocprim17ROCPRIM_400000_NS6detail17trampoline_kernelINS0_14default_configENS1_25partition_config_selectorILNS1_17partition_subalgoE9EllbEEZZNS1_14partition_implILS5_9ELb0ES3_jPlS8_PNS0_10empty_typeENS0_5tupleIJS8_S9_EEENSB_IJS8_SA_EEENS0_18inequality_wrapperIZN2at6native12_GLOBAL__N_124unique_dim_cuda_templateIdEESt5tupleIJNSF_6TensorESK_SK_EERKSK_lbbbEUlllE0_EEPmJS9_EEE10hipError_tPvRmT3_T4_T5_T6_T7_T9_mT8_P12ihipStream_tbDpT10_ENKUlT_T0_E_clISt17integral_constantIbLb1EES1A_EEDaS15_S16_EUlS15_E_NS1_11comp_targetILNS1_3genE10ELNS1_11target_archE1200ELNS1_3gpuE4ELNS1_3repE0EEENS1_30default_config_static_selectorELNS0_4arch9wavefront6targetE1EEEvT1_.num_agpr, 0
	.set _ZN7rocprim17ROCPRIM_400000_NS6detail17trampoline_kernelINS0_14default_configENS1_25partition_config_selectorILNS1_17partition_subalgoE9EllbEEZZNS1_14partition_implILS5_9ELb0ES3_jPlS8_PNS0_10empty_typeENS0_5tupleIJS8_S9_EEENSB_IJS8_SA_EEENS0_18inequality_wrapperIZN2at6native12_GLOBAL__N_124unique_dim_cuda_templateIdEESt5tupleIJNSF_6TensorESK_SK_EERKSK_lbbbEUlllE0_EEPmJS9_EEE10hipError_tPvRmT3_T4_T5_T6_T7_T9_mT8_P12ihipStream_tbDpT10_ENKUlT_T0_E_clISt17integral_constantIbLb1EES1A_EEDaS15_S16_EUlS15_E_NS1_11comp_targetILNS1_3genE10ELNS1_11target_archE1200ELNS1_3gpuE4ELNS1_3repE0EEENS1_30default_config_static_selectorELNS0_4arch9wavefront6targetE1EEEvT1_.numbered_sgpr, 0
	.set _ZN7rocprim17ROCPRIM_400000_NS6detail17trampoline_kernelINS0_14default_configENS1_25partition_config_selectorILNS1_17partition_subalgoE9EllbEEZZNS1_14partition_implILS5_9ELb0ES3_jPlS8_PNS0_10empty_typeENS0_5tupleIJS8_S9_EEENSB_IJS8_SA_EEENS0_18inequality_wrapperIZN2at6native12_GLOBAL__N_124unique_dim_cuda_templateIdEESt5tupleIJNSF_6TensorESK_SK_EERKSK_lbbbEUlllE0_EEPmJS9_EEE10hipError_tPvRmT3_T4_T5_T6_T7_T9_mT8_P12ihipStream_tbDpT10_ENKUlT_T0_E_clISt17integral_constantIbLb1EES1A_EEDaS15_S16_EUlS15_E_NS1_11comp_targetILNS1_3genE10ELNS1_11target_archE1200ELNS1_3gpuE4ELNS1_3repE0EEENS1_30default_config_static_selectorELNS0_4arch9wavefront6targetE1EEEvT1_.num_named_barrier, 0
	.set _ZN7rocprim17ROCPRIM_400000_NS6detail17trampoline_kernelINS0_14default_configENS1_25partition_config_selectorILNS1_17partition_subalgoE9EllbEEZZNS1_14partition_implILS5_9ELb0ES3_jPlS8_PNS0_10empty_typeENS0_5tupleIJS8_S9_EEENSB_IJS8_SA_EEENS0_18inequality_wrapperIZN2at6native12_GLOBAL__N_124unique_dim_cuda_templateIdEESt5tupleIJNSF_6TensorESK_SK_EERKSK_lbbbEUlllE0_EEPmJS9_EEE10hipError_tPvRmT3_T4_T5_T6_T7_T9_mT8_P12ihipStream_tbDpT10_ENKUlT_T0_E_clISt17integral_constantIbLb1EES1A_EEDaS15_S16_EUlS15_E_NS1_11comp_targetILNS1_3genE10ELNS1_11target_archE1200ELNS1_3gpuE4ELNS1_3repE0EEENS1_30default_config_static_selectorELNS0_4arch9wavefront6targetE1EEEvT1_.private_seg_size, 0
	.set _ZN7rocprim17ROCPRIM_400000_NS6detail17trampoline_kernelINS0_14default_configENS1_25partition_config_selectorILNS1_17partition_subalgoE9EllbEEZZNS1_14partition_implILS5_9ELb0ES3_jPlS8_PNS0_10empty_typeENS0_5tupleIJS8_S9_EEENSB_IJS8_SA_EEENS0_18inequality_wrapperIZN2at6native12_GLOBAL__N_124unique_dim_cuda_templateIdEESt5tupleIJNSF_6TensorESK_SK_EERKSK_lbbbEUlllE0_EEPmJS9_EEE10hipError_tPvRmT3_T4_T5_T6_T7_T9_mT8_P12ihipStream_tbDpT10_ENKUlT_T0_E_clISt17integral_constantIbLb1EES1A_EEDaS15_S16_EUlS15_E_NS1_11comp_targetILNS1_3genE10ELNS1_11target_archE1200ELNS1_3gpuE4ELNS1_3repE0EEENS1_30default_config_static_selectorELNS0_4arch9wavefront6targetE1EEEvT1_.uses_vcc, 0
	.set _ZN7rocprim17ROCPRIM_400000_NS6detail17trampoline_kernelINS0_14default_configENS1_25partition_config_selectorILNS1_17partition_subalgoE9EllbEEZZNS1_14partition_implILS5_9ELb0ES3_jPlS8_PNS0_10empty_typeENS0_5tupleIJS8_S9_EEENSB_IJS8_SA_EEENS0_18inequality_wrapperIZN2at6native12_GLOBAL__N_124unique_dim_cuda_templateIdEESt5tupleIJNSF_6TensorESK_SK_EERKSK_lbbbEUlllE0_EEPmJS9_EEE10hipError_tPvRmT3_T4_T5_T6_T7_T9_mT8_P12ihipStream_tbDpT10_ENKUlT_T0_E_clISt17integral_constantIbLb1EES1A_EEDaS15_S16_EUlS15_E_NS1_11comp_targetILNS1_3genE10ELNS1_11target_archE1200ELNS1_3gpuE4ELNS1_3repE0EEENS1_30default_config_static_selectorELNS0_4arch9wavefront6targetE1EEEvT1_.uses_flat_scratch, 0
	.set _ZN7rocprim17ROCPRIM_400000_NS6detail17trampoline_kernelINS0_14default_configENS1_25partition_config_selectorILNS1_17partition_subalgoE9EllbEEZZNS1_14partition_implILS5_9ELb0ES3_jPlS8_PNS0_10empty_typeENS0_5tupleIJS8_S9_EEENSB_IJS8_SA_EEENS0_18inequality_wrapperIZN2at6native12_GLOBAL__N_124unique_dim_cuda_templateIdEESt5tupleIJNSF_6TensorESK_SK_EERKSK_lbbbEUlllE0_EEPmJS9_EEE10hipError_tPvRmT3_T4_T5_T6_T7_T9_mT8_P12ihipStream_tbDpT10_ENKUlT_T0_E_clISt17integral_constantIbLb1EES1A_EEDaS15_S16_EUlS15_E_NS1_11comp_targetILNS1_3genE10ELNS1_11target_archE1200ELNS1_3gpuE4ELNS1_3repE0EEENS1_30default_config_static_selectorELNS0_4arch9wavefront6targetE1EEEvT1_.has_dyn_sized_stack, 0
	.set _ZN7rocprim17ROCPRIM_400000_NS6detail17trampoline_kernelINS0_14default_configENS1_25partition_config_selectorILNS1_17partition_subalgoE9EllbEEZZNS1_14partition_implILS5_9ELb0ES3_jPlS8_PNS0_10empty_typeENS0_5tupleIJS8_S9_EEENSB_IJS8_SA_EEENS0_18inequality_wrapperIZN2at6native12_GLOBAL__N_124unique_dim_cuda_templateIdEESt5tupleIJNSF_6TensorESK_SK_EERKSK_lbbbEUlllE0_EEPmJS9_EEE10hipError_tPvRmT3_T4_T5_T6_T7_T9_mT8_P12ihipStream_tbDpT10_ENKUlT_T0_E_clISt17integral_constantIbLb1EES1A_EEDaS15_S16_EUlS15_E_NS1_11comp_targetILNS1_3genE10ELNS1_11target_archE1200ELNS1_3gpuE4ELNS1_3repE0EEENS1_30default_config_static_selectorELNS0_4arch9wavefront6targetE1EEEvT1_.has_recursion, 0
	.set _ZN7rocprim17ROCPRIM_400000_NS6detail17trampoline_kernelINS0_14default_configENS1_25partition_config_selectorILNS1_17partition_subalgoE9EllbEEZZNS1_14partition_implILS5_9ELb0ES3_jPlS8_PNS0_10empty_typeENS0_5tupleIJS8_S9_EEENSB_IJS8_SA_EEENS0_18inequality_wrapperIZN2at6native12_GLOBAL__N_124unique_dim_cuda_templateIdEESt5tupleIJNSF_6TensorESK_SK_EERKSK_lbbbEUlllE0_EEPmJS9_EEE10hipError_tPvRmT3_T4_T5_T6_T7_T9_mT8_P12ihipStream_tbDpT10_ENKUlT_T0_E_clISt17integral_constantIbLb1EES1A_EEDaS15_S16_EUlS15_E_NS1_11comp_targetILNS1_3genE10ELNS1_11target_archE1200ELNS1_3gpuE4ELNS1_3repE0EEENS1_30default_config_static_selectorELNS0_4arch9wavefront6targetE1EEEvT1_.has_indirect_call, 0
	.section	.AMDGPU.csdata,"",@progbits
; Kernel info:
; codeLenInByte = 0
; TotalNumSgprs: 6
; NumVgprs: 0
; NumAgprs: 0
; TotalNumVgprs: 0
; ScratchSize: 0
; MemoryBound: 0
; FloatMode: 240
; IeeeMode: 1
; LDSByteSize: 0 bytes/workgroup (compile time only)
; SGPRBlocks: 0
; VGPRBlocks: 0
; NumSGPRsForWavesPerEU: 6
; NumVGPRsForWavesPerEU: 1
; AccumOffset: 4
; Occupancy: 8
; WaveLimiterHint : 0
; COMPUTE_PGM_RSRC2:SCRATCH_EN: 0
; COMPUTE_PGM_RSRC2:USER_SGPR: 2
; COMPUTE_PGM_RSRC2:TRAP_HANDLER: 0
; COMPUTE_PGM_RSRC2:TGID_X_EN: 1
; COMPUTE_PGM_RSRC2:TGID_Y_EN: 0
; COMPUTE_PGM_RSRC2:TGID_Z_EN: 0
; COMPUTE_PGM_RSRC2:TIDIG_COMP_CNT: 0
; COMPUTE_PGM_RSRC3_GFX90A:ACCUM_OFFSET: 0
; COMPUTE_PGM_RSRC3_GFX90A:TG_SPLIT: 0
	.section	.text._ZN7rocprim17ROCPRIM_400000_NS6detail17trampoline_kernelINS0_14default_configENS1_25partition_config_selectorILNS1_17partition_subalgoE9EllbEEZZNS1_14partition_implILS5_9ELb0ES3_jPlS8_PNS0_10empty_typeENS0_5tupleIJS8_S9_EEENSB_IJS8_SA_EEENS0_18inequality_wrapperIZN2at6native12_GLOBAL__N_124unique_dim_cuda_templateIdEESt5tupleIJNSF_6TensorESK_SK_EERKSK_lbbbEUlllE0_EEPmJS9_EEE10hipError_tPvRmT3_T4_T5_T6_T7_T9_mT8_P12ihipStream_tbDpT10_ENKUlT_T0_E_clISt17integral_constantIbLb1EES1A_EEDaS15_S16_EUlS15_E_NS1_11comp_targetILNS1_3genE9ELNS1_11target_archE1100ELNS1_3gpuE3ELNS1_3repE0EEENS1_30default_config_static_selectorELNS0_4arch9wavefront6targetE1EEEvT1_,"axG",@progbits,_ZN7rocprim17ROCPRIM_400000_NS6detail17trampoline_kernelINS0_14default_configENS1_25partition_config_selectorILNS1_17partition_subalgoE9EllbEEZZNS1_14partition_implILS5_9ELb0ES3_jPlS8_PNS0_10empty_typeENS0_5tupleIJS8_S9_EEENSB_IJS8_SA_EEENS0_18inequality_wrapperIZN2at6native12_GLOBAL__N_124unique_dim_cuda_templateIdEESt5tupleIJNSF_6TensorESK_SK_EERKSK_lbbbEUlllE0_EEPmJS9_EEE10hipError_tPvRmT3_T4_T5_T6_T7_T9_mT8_P12ihipStream_tbDpT10_ENKUlT_T0_E_clISt17integral_constantIbLb1EES1A_EEDaS15_S16_EUlS15_E_NS1_11comp_targetILNS1_3genE9ELNS1_11target_archE1100ELNS1_3gpuE3ELNS1_3repE0EEENS1_30default_config_static_selectorELNS0_4arch9wavefront6targetE1EEEvT1_,comdat
	.globl	_ZN7rocprim17ROCPRIM_400000_NS6detail17trampoline_kernelINS0_14default_configENS1_25partition_config_selectorILNS1_17partition_subalgoE9EllbEEZZNS1_14partition_implILS5_9ELb0ES3_jPlS8_PNS0_10empty_typeENS0_5tupleIJS8_S9_EEENSB_IJS8_SA_EEENS0_18inequality_wrapperIZN2at6native12_GLOBAL__N_124unique_dim_cuda_templateIdEESt5tupleIJNSF_6TensorESK_SK_EERKSK_lbbbEUlllE0_EEPmJS9_EEE10hipError_tPvRmT3_T4_T5_T6_T7_T9_mT8_P12ihipStream_tbDpT10_ENKUlT_T0_E_clISt17integral_constantIbLb1EES1A_EEDaS15_S16_EUlS15_E_NS1_11comp_targetILNS1_3genE9ELNS1_11target_archE1100ELNS1_3gpuE3ELNS1_3repE0EEENS1_30default_config_static_selectorELNS0_4arch9wavefront6targetE1EEEvT1_ ; -- Begin function _ZN7rocprim17ROCPRIM_400000_NS6detail17trampoline_kernelINS0_14default_configENS1_25partition_config_selectorILNS1_17partition_subalgoE9EllbEEZZNS1_14partition_implILS5_9ELb0ES3_jPlS8_PNS0_10empty_typeENS0_5tupleIJS8_S9_EEENSB_IJS8_SA_EEENS0_18inequality_wrapperIZN2at6native12_GLOBAL__N_124unique_dim_cuda_templateIdEESt5tupleIJNSF_6TensorESK_SK_EERKSK_lbbbEUlllE0_EEPmJS9_EEE10hipError_tPvRmT3_T4_T5_T6_T7_T9_mT8_P12ihipStream_tbDpT10_ENKUlT_T0_E_clISt17integral_constantIbLb1EES1A_EEDaS15_S16_EUlS15_E_NS1_11comp_targetILNS1_3genE9ELNS1_11target_archE1100ELNS1_3gpuE3ELNS1_3repE0EEENS1_30default_config_static_selectorELNS0_4arch9wavefront6targetE1EEEvT1_
	.p2align	8
	.type	_ZN7rocprim17ROCPRIM_400000_NS6detail17trampoline_kernelINS0_14default_configENS1_25partition_config_selectorILNS1_17partition_subalgoE9EllbEEZZNS1_14partition_implILS5_9ELb0ES3_jPlS8_PNS0_10empty_typeENS0_5tupleIJS8_S9_EEENSB_IJS8_SA_EEENS0_18inequality_wrapperIZN2at6native12_GLOBAL__N_124unique_dim_cuda_templateIdEESt5tupleIJNSF_6TensorESK_SK_EERKSK_lbbbEUlllE0_EEPmJS9_EEE10hipError_tPvRmT3_T4_T5_T6_T7_T9_mT8_P12ihipStream_tbDpT10_ENKUlT_T0_E_clISt17integral_constantIbLb1EES1A_EEDaS15_S16_EUlS15_E_NS1_11comp_targetILNS1_3genE9ELNS1_11target_archE1100ELNS1_3gpuE3ELNS1_3repE0EEENS1_30default_config_static_selectorELNS0_4arch9wavefront6targetE1EEEvT1_,@function
_ZN7rocprim17ROCPRIM_400000_NS6detail17trampoline_kernelINS0_14default_configENS1_25partition_config_selectorILNS1_17partition_subalgoE9EllbEEZZNS1_14partition_implILS5_9ELb0ES3_jPlS8_PNS0_10empty_typeENS0_5tupleIJS8_S9_EEENSB_IJS8_SA_EEENS0_18inequality_wrapperIZN2at6native12_GLOBAL__N_124unique_dim_cuda_templateIdEESt5tupleIJNSF_6TensorESK_SK_EERKSK_lbbbEUlllE0_EEPmJS9_EEE10hipError_tPvRmT3_T4_T5_T6_T7_T9_mT8_P12ihipStream_tbDpT10_ENKUlT_T0_E_clISt17integral_constantIbLb1EES1A_EEDaS15_S16_EUlS15_E_NS1_11comp_targetILNS1_3genE9ELNS1_11target_archE1100ELNS1_3gpuE3ELNS1_3repE0EEENS1_30default_config_static_selectorELNS0_4arch9wavefront6targetE1EEEvT1_: ; @_ZN7rocprim17ROCPRIM_400000_NS6detail17trampoline_kernelINS0_14default_configENS1_25partition_config_selectorILNS1_17partition_subalgoE9EllbEEZZNS1_14partition_implILS5_9ELb0ES3_jPlS8_PNS0_10empty_typeENS0_5tupleIJS8_S9_EEENSB_IJS8_SA_EEENS0_18inequality_wrapperIZN2at6native12_GLOBAL__N_124unique_dim_cuda_templateIdEESt5tupleIJNSF_6TensorESK_SK_EERKSK_lbbbEUlllE0_EEPmJS9_EEE10hipError_tPvRmT3_T4_T5_T6_T7_T9_mT8_P12ihipStream_tbDpT10_ENKUlT_T0_E_clISt17integral_constantIbLb1EES1A_EEDaS15_S16_EUlS15_E_NS1_11comp_targetILNS1_3genE9ELNS1_11target_archE1100ELNS1_3gpuE3ELNS1_3repE0EEENS1_30default_config_static_selectorELNS0_4arch9wavefront6targetE1EEEvT1_
; %bb.0:
	.section	.rodata,"a",@progbits
	.p2align	6, 0x0
	.amdhsa_kernel _ZN7rocprim17ROCPRIM_400000_NS6detail17trampoline_kernelINS0_14default_configENS1_25partition_config_selectorILNS1_17partition_subalgoE9EllbEEZZNS1_14partition_implILS5_9ELb0ES3_jPlS8_PNS0_10empty_typeENS0_5tupleIJS8_S9_EEENSB_IJS8_SA_EEENS0_18inequality_wrapperIZN2at6native12_GLOBAL__N_124unique_dim_cuda_templateIdEESt5tupleIJNSF_6TensorESK_SK_EERKSK_lbbbEUlllE0_EEPmJS9_EEE10hipError_tPvRmT3_T4_T5_T6_T7_T9_mT8_P12ihipStream_tbDpT10_ENKUlT_T0_E_clISt17integral_constantIbLb1EES1A_EEDaS15_S16_EUlS15_E_NS1_11comp_targetILNS1_3genE9ELNS1_11target_archE1100ELNS1_3gpuE3ELNS1_3repE0EEENS1_30default_config_static_selectorELNS0_4arch9wavefront6targetE1EEEvT1_
		.amdhsa_group_segment_fixed_size 0
		.amdhsa_private_segment_fixed_size 0
		.amdhsa_kernarg_size 136
		.amdhsa_user_sgpr_count 2
		.amdhsa_user_sgpr_dispatch_ptr 0
		.amdhsa_user_sgpr_queue_ptr 0
		.amdhsa_user_sgpr_kernarg_segment_ptr 1
		.amdhsa_user_sgpr_dispatch_id 0
		.amdhsa_user_sgpr_kernarg_preload_length 0
		.amdhsa_user_sgpr_kernarg_preload_offset 0
		.amdhsa_user_sgpr_private_segment_size 0
		.amdhsa_uses_dynamic_stack 0
		.amdhsa_enable_private_segment 0
		.amdhsa_system_sgpr_workgroup_id_x 1
		.amdhsa_system_sgpr_workgroup_id_y 0
		.amdhsa_system_sgpr_workgroup_id_z 0
		.amdhsa_system_sgpr_workgroup_info 0
		.amdhsa_system_vgpr_workitem_id 0
		.amdhsa_next_free_vgpr 1
		.amdhsa_next_free_sgpr 0
		.amdhsa_accum_offset 4
		.amdhsa_reserve_vcc 0
		.amdhsa_float_round_mode_32 0
		.amdhsa_float_round_mode_16_64 0
		.amdhsa_float_denorm_mode_32 3
		.amdhsa_float_denorm_mode_16_64 3
		.amdhsa_dx10_clamp 1
		.amdhsa_ieee_mode 1
		.amdhsa_fp16_overflow 0
		.amdhsa_tg_split 0
		.amdhsa_exception_fp_ieee_invalid_op 0
		.amdhsa_exception_fp_denorm_src 0
		.amdhsa_exception_fp_ieee_div_zero 0
		.amdhsa_exception_fp_ieee_overflow 0
		.amdhsa_exception_fp_ieee_underflow 0
		.amdhsa_exception_fp_ieee_inexact 0
		.amdhsa_exception_int_div_zero 0
	.end_amdhsa_kernel
	.section	.text._ZN7rocprim17ROCPRIM_400000_NS6detail17trampoline_kernelINS0_14default_configENS1_25partition_config_selectorILNS1_17partition_subalgoE9EllbEEZZNS1_14partition_implILS5_9ELb0ES3_jPlS8_PNS0_10empty_typeENS0_5tupleIJS8_S9_EEENSB_IJS8_SA_EEENS0_18inequality_wrapperIZN2at6native12_GLOBAL__N_124unique_dim_cuda_templateIdEESt5tupleIJNSF_6TensorESK_SK_EERKSK_lbbbEUlllE0_EEPmJS9_EEE10hipError_tPvRmT3_T4_T5_T6_T7_T9_mT8_P12ihipStream_tbDpT10_ENKUlT_T0_E_clISt17integral_constantIbLb1EES1A_EEDaS15_S16_EUlS15_E_NS1_11comp_targetILNS1_3genE9ELNS1_11target_archE1100ELNS1_3gpuE3ELNS1_3repE0EEENS1_30default_config_static_selectorELNS0_4arch9wavefront6targetE1EEEvT1_,"axG",@progbits,_ZN7rocprim17ROCPRIM_400000_NS6detail17trampoline_kernelINS0_14default_configENS1_25partition_config_selectorILNS1_17partition_subalgoE9EllbEEZZNS1_14partition_implILS5_9ELb0ES3_jPlS8_PNS0_10empty_typeENS0_5tupleIJS8_S9_EEENSB_IJS8_SA_EEENS0_18inequality_wrapperIZN2at6native12_GLOBAL__N_124unique_dim_cuda_templateIdEESt5tupleIJNSF_6TensorESK_SK_EERKSK_lbbbEUlllE0_EEPmJS9_EEE10hipError_tPvRmT3_T4_T5_T6_T7_T9_mT8_P12ihipStream_tbDpT10_ENKUlT_T0_E_clISt17integral_constantIbLb1EES1A_EEDaS15_S16_EUlS15_E_NS1_11comp_targetILNS1_3genE9ELNS1_11target_archE1100ELNS1_3gpuE3ELNS1_3repE0EEENS1_30default_config_static_selectorELNS0_4arch9wavefront6targetE1EEEvT1_,comdat
.Lfunc_end853:
	.size	_ZN7rocprim17ROCPRIM_400000_NS6detail17trampoline_kernelINS0_14default_configENS1_25partition_config_selectorILNS1_17partition_subalgoE9EllbEEZZNS1_14partition_implILS5_9ELb0ES3_jPlS8_PNS0_10empty_typeENS0_5tupleIJS8_S9_EEENSB_IJS8_SA_EEENS0_18inequality_wrapperIZN2at6native12_GLOBAL__N_124unique_dim_cuda_templateIdEESt5tupleIJNSF_6TensorESK_SK_EERKSK_lbbbEUlllE0_EEPmJS9_EEE10hipError_tPvRmT3_T4_T5_T6_T7_T9_mT8_P12ihipStream_tbDpT10_ENKUlT_T0_E_clISt17integral_constantIbLb1EES1A_EEDaS15_S16_EUlS15_E_NS1_11comp_targetILNS1_3genE9ELNS1_11target_archE1100ELNS1_3gpuE3ELNS1_3repE0EEENS1_30default_config_static_selectorELNS0_4arch9wavefront6targetE1EEEvT1_, .Lfunc_end853-_ZN7rocprim17ROCPRIM_400000_NS6detail17trampoline_kernelINS0_14default_configENS1_25partition_config_selectorILNS1_17partition_subalgoE9EllbEEZZNS1_14partition_implILS5_9ELb0ES3_jPlS8_PNS0_10empty_typeENS0_5tupleIJS8_S9_EEENSB_IJS8_SA_EEENS0_18inequality_wrapperIZN2at6native12_GLOBAL__N_124unique_dim_cuda_templateIdEESt5tupleIJNSF_6TensorESK_SK_EERKSK_lbbbEUlllE0_EEPmJS9_EEE10hipError_tPvRmT3_T4_T5_T6_T7_T9_mT8_P12ihipStream_tbDpT10_ENKUlT_T0_E_clISt17integral_constantIbLb1EES1A_EEDaS15_S16_EUlS15_E_NS1_11comp_targetILNS1_3genE9ELNS1_11target_archE1100ELNS1_3gpuE3ELNS1_3repE0EEENS1_30default_config_static_selectorELNS0_4arch9wavefront6targetE1EEEvT1_
                                        ; -- End function
	.set _ZN7rocprim17ROCPRIM_400000_NS6detail17trampoline_kernelINS0_14default_configENS1_25partition_config_selectorILNS1_17partition_subalgoE9EllbEEZZNS1_14partition_implILS5_9ELb0ES3_jPlS8_PNS0_10empty_typeENS0_5tupleIJS8_S9_EEENSB_IJS8_SA_EEENS0_18inequality_wrapperIZN2at6native12_GLOBAL__N_124unique_dim_cuda_templateIdEESt5tupleIJNSF_6TensorESK_SK_EERKSK_lbbbEUlllE0_EEPmJS9_EEE10hipError_tPvRmT3_T4_T5_T6_T7_T9_mT8_P12ihipStream_tbDpT10_ENKUlT_T0_E_clISt17integral_constantIbLb1EES1A_EEDaS15_S16_EUlS15_E_NS1_11comp_targetILNS1_3genE9ELNS1_11target_archE1100ELNS1_3gpuE3ELNS1_3repE0EEENS1_30default_config_static_selectorELNS0_4arch9wavefront6targetE1EEEvT1_.num_vgpr, 0
	.set _ZN7rocprim17ROCPRIM_400000_NS6detail17trampoline_kernelINS0_14default_configENS1_25partition_config_selectorILNS1_17partition_subalgoE9EllbEEZZNS1_14partition_implILS5_9ELb0ES3_jPlS8_PNS0_10empty_typeENS0_5tupleIJS8_S9_EEENSB_IJS8_SA_EEENS0_18inequality_wrapperIZN2at6native12_GLOBAL__N_124unique_dim_cuda_templateIdEESt5tupleIJNSF_6TensorESK_SK_EERKSK_lbbbEUlllE0_EEPmJS9_EEE10hipError_tPvRmT3_T4_T5_T6_T7_T9_mT8_P12ihipStream_tbDpT10_ENKUlT_T0_E_clISt17integral_constantIbLb1EES1A_EEDaS15_S16_EUlS15_E_NS1_11comp_targetILNS1_3genE9ELNS1_11target_archE1100ELNS1_3gpuE3ELNS1_3repE0EEENS1_30default_config_static_selectorELNS0_4arch9wavefront6targetE1EEEvT1_.num_agpr, 0
	.set _ZN7rocprim17ROCPRIM_400000_NS6detail17trampoline_kernelINS0_14default_configENS1_25partition_config_selectorILNS1_17partition_subalgoE9EllbEEZZNS1_14partition_implILS5_9ELb0ES3_jPlS8_PNS0_10empty_typeENS0_5tupleIJS8_S9_EEENSB_IJS8_SA_EEENS0_18inequality_wrapperIZN2at6native12_GLOBAL__N_124unique_dim_cuda_templateIdEESt5tupleIJNSF_6TensorESK_SK_EERKSK_lbbbEUlllE0_EEPmJS9_EEE10hipError_tPvRmT3_T4_T5_T6_T7_T9_mT8_P12ihipStream_tbDpT10_ENKUlT_T0_E_clISt17integral_constantIbLb1EES1A_EEDaS15_S16_EUlS15_E_NS1_11comp_targetILNS1_3genE9ELNS1_11target_archE1100ELNS1_3gpuE3ELNS1_3repE0EEENS1_30default_config_static_selectorELNS0_4arch9wavefront6targetE1EEEvT1_.numbered_sgpr, 0
	.set _ZN7rocprim17ROCPRIM_400000_NS6detail17trampoline_kernelINS0_14default_configENS1_25partition_config_selectorILNS1_17partition_subalgoE9EllbEEZZNS1_14partition_implILS5_9ELb0ES3_jPlS8_PNS0_10empty_typeENS0_5tupleIJS8_S9_EEENSB_IJS8_SA_EEENS0_18inequality_wrapperIZN2at6native12_GLOBAL__N_124unique_dim_cuda_templateIdEESt5tupleIJNSF_6TensorESK_SK_EERKSK_lbbbEUlllE0_EEPmJS9_EEE10hipError_tPvRmT3_T4_T5_T6_T7_T9_mT8_P12ihipStream_tbDpT10_ENKUlT_T0_E_clISt17integral_constantIbLb1EES1A_EEDaS15_S16_EUlS15_E_NS1_11comp_targetILNS1_3genE9ELNS1_11target_archE1100ELNS1_3gpuE3ELNS1_3repE0EEENS1_30default_config_static_selectorELNS0_4arch9wavefront6targetE1EEEvT1_.num_named_barrier, 0
	.set _ZN7rocprim17ROCPRIM_400000_NS6detail17trampoline_kernelINS0_14default_configENS1_25partition_config_selectorILNS1_17partition_subalgoE9EllbEEZZNS1_14partition_implILS5_9ELb0ES3_jPlS8_PNS0_10empty_typeENS0_5tupleIJS8_S9_EEENSB_IJS8_SA_EEENS0_18inequality_wrapperIZN2at6native12_GLOBAL__N_124unique_dim_cuda_templateIdEESt5tupleIJNSF_6TensorESK_SK_EERKSK_lbbbEUlllE0_EEPmJS9_EEE10hipError_tPvRmT3_T4_T5_T6_T7_T9_mT8_P12ihipStream_tbDpT10_ENKUlT_T0_E_clISt17integral_constantIbLb1EES1A_EEDaS15_S16_EUlS15_E_NS1_11comp_targetILNS1_3genE9ELNS1_11target_archE1100ELNS1_3gpuE3ELNS1_3repE0EEENS1_30default_config_static_selectorELNS0_4arch9wavefront6targetE1EEEvT1_.private_seg_size, 0
	.set _ZN7rocprim17ROCPRIM_400000_NS6detail17trampoline_kernelINS0_14default_configENS1_25partition_config_selectorILNS1_17partition_subalgoE9EllbEEZZNS1_14partition_implILS5_9ELb0ES3_jPlS8_PNS0_10empty_typeENS0_5tupleIJS8_S9_EEENSB_IJS8_SA_EEENS0_18inequality_wrapperIZN2at6native12_GLOBAL__N_124unique_dim_cuda_templateIdEESt5tupleIJNSF_6TensorESK_SK_EERKSK_lbbbEUlllE0_EEPmJS9_EEE10hipError_tPvRmT3_T4_T5_T6_T7_T9_mT8_P12ihipStream_tbDpT10_ENKUlT_T0_E_clISt17integral_constantIbLb1EES1A_EEDaS15_S16_EUlS15_E_NS1_11comp_targetILNS1_3genE9ELNS1_11target_archE1100ELNS1_3gpuE3ELNS1_3repE0EEENS1_30default_config_static_selectorELNS0_4arch9wavefront6targetE1EEEvT1_.uses_vcc, 0
	.set _ZN7rocprim17ROCPRIM_400000_NS6detail17trampoline_kernelINS0_14default_configENS1_25partition_config_selectorILNS1_17partition_subalgoE9EllbEEZZNS1_14partition_implILS5_9ELb0ES3_jPlS8_PNS0_10empty_typeENS0_5tupleIJS8_S9_EEENSB_IJS8_SA_EEENS0_18inequality_wrapperIZN2at6native12_GLOBAL__N_124unique_dim_cuda_templateIdEESt5tupleIJNSF_6TensorESK_SK_EERKSK_lbbbEUlllE0_EEPmJS9_EEE10hipError_tPvRmT3_T4_T5_T6_T7_T9_mT8_P12ihipStream_tbDpT10_ENKUlT_T0_E_clISt17integral_constantIbLb1EES1A_EEDaS15_S16_EUlS15_E_NS1_11comp_targetILNS1_3genE9ELNS1_11target_archE1100ELNS1_3gpuE3ELNS1_3repE0EEENS1_30default_config_static_selectorELNS0_4arch9wavefront6targetE1EEEvT1_.uses_flat_scratch, 0
	.set _ZN7rocprim17ROCPRIM_400000_NS6detail17trampoline_kernelINS0_14default_configENS1_25partition_config_selectorILNS1_17partition_subalgoE9EllbEEZZNS1_14partition_implILS5_9ELb0ES3_jPlS8_PNS0_10empty_typeENS0_5tupleIJS8_S9_EEENSB_IJS8_SA_EEENS0_18inequality_wrapperIZN2at6native12_GLOBAL__N_124unique_dim_cuda_templateIdEESt5tupleIJNSF_6TensorESK_SK_EERKSK_lbbbEUlllE0_EEPmJS9_EEE10hipError_tPvRmT3_T4_T5_T6_T7_T9_mT8_P12ihipStream_tbDpT10_ENKUlT_T0_E_clISt17integral_constantIbLb1EES1A_EEDaS15_S16_EUlS15_E_NS1_11comp_targetILNS1_3genE9ELNS1_11target_archE1100ELNS1_3gpuE3ELNS1_3repE0EEENS1_30default_config_static_selectorELNS0_4arch9wavefront6targetE1EEEvT1_.has_dyn_sized_stack, 0
	.set _ZN7rocprim17ROCPRIM_400000_NS6detail17trampoline_kernelINS0_14default_configENS1_25partition_config_selectorILNS1_17partition_subalgoE9EllbEEZZNS1_14partition_implILS5_9ELb0ES3_jPlS8_PNS0_10empty_typeENS0_5tupleIJS8_S9_EEENSB_IJS8_SA_EEENS0_18inequality_wrapperIZN2at6native12_GLOBAL__N_124unique_dim_cuda_templateIdEESt5tupleIJNSF_6TensorESK_SK_EERKSK_lbbbEUlllE0_EEPmJS9_EEE10hipError_tPvRmT3_T4_T5_T6_T7_T9_mT8_P12ihipStream_tbDpT10_ENKUlT_T0_E_clISt17integral_constantIbLb1EES1A_EEDaS15_S16_EUlS15_E_NS1_11comp_targetILNS1_3genE9ELNS1_11target_archE1100ELNS1_3gpuE3ELNS1_3repE0EEENS1_30default_config_static_selectorELNS0_4arch9wavefront6targetE1EEEvT1_.has_recursion, 0
	.set _ZN7rocprim17ROCPRIM_400000_NS6detail17trampoline_kernelINS0_14default_configENS1_25partition_config_selectorILNS1_17partition_subalgoE9EllbEEZZNS1_14partition_implILS5_9ELb0ES3_jPlS8_PNS0_10empty_typeENS0_5tupleIJS8_S9_EEENSB_IJS8_SA_EEENS0_18inequality_wrapperIZN2at6native12_GLOBAL__N_124unique_dim_cuda_templateIdEESt5tupleIJNSF_6TensorESK_SK_EERKSK_lbbbEUlllE0_EEPmJS9_EEE10hipError_tPvRmT3_T4_T5_T6_T7_T9_mT8_P12ihipStream_tbDpT10_ENKUlT_T0_E_clISt17integral_constantIbLb1EES1A_EEDaS15_S16_EUlS15_E_NS1_11comp_targetILNS1_3genE9ELNS1_11target_archE1100ELNS1_3gpuE3ELNS1_3repE0EEENS1_30default_config_static_selectorELNS0_4arch9wavefront6targetE1EEEvT1_.has_indirect_call, 0
	.section	.AMDGPU.csdata,"",@progbits
; Kernel info:
; codeLenInByte = 0
; TotalNumSgprs: 6
; NumVgprs: 0
; NumAgprs: 0
; TotalNumVgprs: 0
; ScratchSize: 0
; MemoryBound: 0
; FloatMode: 240
; IeeeMode: 1
; LDSByteSize: 0 bytes/workgroup (compile time only)
; SGPRBlocks: 0
; VGPRBlocks: 0
; NumSGPRsForWavesPerEU: 6
; NumVGPRsForWavesPerEU: 1
; AccumOffset: 4
; Occupancy: 8
; WaveLimiterHint : 0
; COMPUTE_PGM_RSRC2:SCRATCH_EN: 0
; COMPUTE_PGM_RSRC2:USER_SGPR: 2
; COMPUTE_PGM_RSRC2:TRAP_HANDLER: 0
; COMPUTE_PGM_RSRC2:TGID_X_EN: 1
; COMPUTE_PGM_RSRC2:TGID_Y_EN: 0
; COMPUTE_PGM_RSRC2:TGID_Z_EN: 0
; COMPUTE_PGM_RSRC2:TIDIG_COMP_CNT: 0
; COMPUTE_PGM_RSRC3_GFX90A:ACCUM_OFFSET: 0
; COMPUTE_PGM_RSRC3_GFX90A:TG_SPLIT: 0
	.section	.text._ZN7rocprim17ROCPRIM_400000_NS6detail17trampoline_kernelINS0_14default_configENS1_25partition_config_selectorILNS1_17partition_subalgoE9EllbEEZZNS1_14partition_implILS5_9ELb0ES3_jPlS8_PNS0_10empty_typeENS0_5tupleIJS8_S9_EEENSB_IJS8_SA_EEENS0_18inequality_wrapperIZN2at6native12_GLOBAL__N_124unique_dim_cuda_templateIdEESt5tupleIJNSF_6TensorESK_SK_EERKSK_lbbbEUlllE0_EEPmJS9_EEE10hipError_tPvRmT3_T4_T5_T6_T7_T9_mT8_P12ihipStream_tbDpT10_ENKUlT_T0_E_clISt17integral_constantIbLb1EES1A_EEDaS15_S16_EUlS15_E_NS1_11comp_targetILNS1_3genE8ELNS1_11target_archE1030ELNS1_3gpuE2ELNS1_3repE0EEENS1_30default_config_static_selectorELNS0_4arch9wavefront6targetE1EEEvT1_,"axG",@progbits,_ZN7rocprim17ROCPRIM_400000_NS6detail17trampoline_kernelINS0_14default_configENS1_25partition_config_selectorILNS1_17partition_subalgoE9EllbEEZZNS1_14partition_implILS5_9ELb0ES3_jPlS8_PNS0_10empty_typeENS0_5tupleIJS8_S9_EEENSB_IJS8_SA_EEENS0_18inequality_wrapperIZN2at6native12_GLOBAL__N_124unique_dim_cuda_templateIdEESt5tupleIJNSF_6TensorESK_SK_EERKSK_lbbbEUlllE0_EEPmJS9_EEE10hipError_tPvRmT3_T4_T5_T6_T7_T9_mT8_P12ihipStream_tbDpT10_ENKUlT_T0_E_clISt17integral_constantIbLb1EES1A_EEDaS15_S16_EUlS15_E_NS1_11comp_targetILNS1_3genE8ELNS1_11target_archE1030ELNS1_3gpuE2ELNS1_3repE0EEENS1_30default_config_static_selectorELNS0_4arch9wavefront6targetE1EEEvT1_,comdat
	.globl	_ZN7rocprim17ROCPRIM_400000_NS6detail17trampoline_kernelINS0_14default_configENS1_25partition_config_selectorILNS1_17partition_subalgoE9EllbEEZZNS1_14partition_implILS5_9ELb0ES3_jPlS8_PNS0_10empty_typeENS0_5tupleIJS8_S9_EEENSB_IJS8_SA_EEENS0_18inequality_wrapperIZN2at6native12_GLOBAL__N_124unique_dim_cuda_templateIdEESt5tupleIJNSF_6TensorESK_SK_EERKSK_lbbbEUlllE0_EEPmJS9_EEE10hipError_tPvRmT3_T4_T5_T6_T7_T9_mT8_P12ihipStream_tbDpT10_ENKUlT_T0_E_clISt17integral_constantIbLb1EES1A_EEDaS15_S16_EUlS15_E_NS1_11comp_targetILNS1_3genE8ELNS1_11target_archE1030ELNS1_3gpuE2ELNS1_3repE0EEENS1_30default_config_static_selectorELNS0_4arch9wavefront6targetE1EEEvT1_ ; -- Begin function _ZN7rocprim17ROCPRIM_400000_NS6detail17trampoline_kernelINS0_14default_configENS1_25partition_config_selectorILNS1_17partition_subalgoE9EllbEEZZNS1_14partition_implILS5_9ELb0ES3_jPlS8_PNS0_10empty_typeENS0_5tupleIJS8_S9_EEENSB_IJS8_SA_EEENS0_18inequality_wrapperIZN2at6native12_GLOBAL__N_124unique_dim_cuda_templateIdEESt5tupleIJNSF_6TensorESK_SK_EERKSK_lbbbEUlllE0_EEPmJS9_EEE10hipError_tPvRmT3_T4_T5_T6_T7_T9_mT8_P12ihipStream_tbDpT10_ENKUlT_T0_E_clISt17integral_constantIbLb1EES1A_EEDaS15_S16_EUlS15_E_NS1_11comp_targetILNS1_3genE8ELNS1_11target_archE1030ELNS1_3gpuE2ELNS1_3repE0EEENS1_30default_config_static_selectorELNS0_4arch9wavefront6targetE1EEEvT1_
	.p2align	8
	.type	_ZN7rocprim17ROCPRIM_400000_NS6detail17trampoline_kernelINS0_14default_configENS1_25partition_config_selectorILNS1_17partition_subalgoE9EllbEEZZNS1_14partition_implILS5_9ELb0ES3_jPlS8_PNS0_10empty_typeENS0_5tupleIJS8_S9_EEENSB_IJS8_SA_EEENS0_18inequality_wrapperIZN2at6native12_GLOBAL__N_124unique_dim_cuda_templateIdEESt5tupleIJNSF_6TensorESK_SK_EERKSK_lbbbEUlllE0_EEPmJS9_EEE10hipError_tPvRmT3_T4_T5_T6_T7_T9_mT8_P12ihipStream_tbDpT10_ENKUlT_T0_E_clISt17integral_constantIbLb1EES1A_EEDaS15_S16_EUlS15_E_NS1_11comp_targetILNS1_3genE8ELNS1_11target_archE1030ELNS1_3gpuE2ELNS1_3repE0EEENS1_30default_config_static_selectorELNS0_4arch9wavefront6targetE1EEEvT1_,@function
_ZN7rocprim17ROCPRIM_400000_NS6detail17trampoline_kernelINS0_14default_configENS1_25partition_config_selectorILNS1_17partition_subalgoE9EllbEEZZNS1_14partition_implILS5_9ELb0ES3_jPlS8_PNS0_10empty_typeENS0_5tupleIJS8_S9_EEENSB_IJS8_SA_EEENS0_18inequality_wrapperIZN2at6native12_GLOBAL__N_124unique_dim_cuda_templateIdEESt5tupleIJNSF_6TensorESK_SK_EERKSK_lbbbEUlllE0_EEPmJS9_EEE10hipError_tPvRmT3_T4_T5_T6_T7_T9_mT8_P12ihipStream_tbDpT10_ENKUlT_T0_E_clISt17integral_constantIbLb1EES1A_EEDaS15_S16_EUlS15_E_NS1_11comp_targetILNS1_3genE8ELNS1_11target_archE1030ELNS1_3gpuE2ELNS1_3repE0EEENS1_30default_config_static_selectorELNS0_4arch9wavefront6targetE1EEEvT1_: ; @_ZN7rocprim17ROCPRIM_400000_NS6detail17trampoline_kernelINS0_14default_configENS1_25partition_config_selectorILNS1_17partition_subalgoE9EllbEEZZNS1_14partition_implILS5_9ELb0ES3_jPlS8_PNS0_10empty_typeENS0_5tupleIJS8_S9_EEENSB_IJS8_SA_EEENS0_18inequality_wrapperIZN2at6native12_GLOBAL__N_124unique_dim_cuda_templateIdEESt5tupleIJNSF_6TensorESK_SK_EERKSK_lbbbEUlllE0_EEPmJS9_EEE10hipError_tPvRmT3_T4_T5_T6_T7_T9_mT8_P12ihipStream_tbDpT10_ENKUlT_T0_E_clISt17integral_constantIbLb1EES1A_EEDaS15_S16_EUlS15_E_NS1_11comp_targetILNS1_3genE8ELNS1_11target_archE1030ELNS1_3gpuE2ELNS1_3repE0EEENS1_30default_config_static_selectorELNS0_4arch9wavefront6targetE1EEEvT1_
; %bb.0:
	.section	.rodata,"a",@progbits
	.p2align	6, 0x0
	.amdhsa_kernel _ZN7rocprim17ROCPRIM_400000_NS6detail17trampoline_kernelINS0_14default_configENS1_25partition_config_selectorILNS1_17partition_subalgoE9EllbEEZZNS1_14partition_implILS5_9ELb0ES3_jPlS8_PNS0_10empty_typeENS0_5tupleIJS8_S9_EEENSB_IJS8_SA_EEENS0_18inequality_wrapperIZN2at6native12_GLOBAL__N_124unique_dim_cuda_templateIdEESt5tupleIJNSF_6TensorESK_SK_EERKSK_lbbbEUlllE0_EEPmJS9_EEE10hipError_tPvRmT3_T4_T5_T6_T7_T9_mT8_P12ihipStream_tbDpT10_ENKUlT_T0_E_clISt17integral_constantIbLb1EES1A_EEDaS15_S16_EUlS15_E_NS1_11comp_targetILNS1_3genE8ELNS1_11target_archE1030ELNS1_3gpuE2ELNS1_3repE0EEENS1_30default_config_static_selectorELNS0_4arch9wavefront6targetE1EEEvT1_
		.amdhsa_group_segment_fixed_size 0
		.amdhsa_private_segment_fixed_size 0
		.amdhsa_kernarg_size 136
		.amdhsa_user_sgpr_count 2
		.amdhsa_user_sgpr_dispatch_ptr 0
		.amdhsa_user_sgpr_queue_ptr 0
		.amdhsa_user_sgpr_kernarg_segment_ptr 1
		.amdhsa_user_sgpr_dispatch_id 0
		.amdhsa_user_sgpr_kernarg_preload_length 0
		.amdhsa_user_sgpr_kernarg_preload_offset 0
		.amdhsa_user_sgpr_private_segment_size 0
		.amdhsa_uses_dynamic_stack 0
		.amdhsa_enable_private_segment 0
		.amdhsa_system_sgpr_workgroup_id_x 1
		.amdhsa_system_sgpr_workgroup_id_y 0
		.amdhsa_system_sgpr_workgroup_id_z 0
		.amdhsa_system_sgpr_workgroup_info 0
		.amdhsa_system_vgpr_workitem_id 0
		.amdhsa_next_free_vgpr 1
		.amdhsa_next_free_sgpr 0
		.amdhsa_accum_offset 4
		.amdhsa_reserve_vcc 0
		.amdhsa_float_round_mode_32 0
		.amdhsa_float_round_mode_16_64 0
		.amdhsa_float_denorm_mode_32 3
		.amdhsa_float_denorm_mode_16_64 3
		.amdhsa_dx10_clamp 1
		.amdhsa_ieee_mode 1
		.amdhsa_fp16_overflow 0
		.amdhsa_tg_split 0
		.amdhsa_exception_fp_ieee_invalid_op 0
		.amdhsa_exception_fp_denorm_src 0
		.amdhsa_exception_fp_ieee_div_zero 0
		.amdhsa_exception_fp_ieee_overflow 0
		.amdhsa_exception_fp_ieee_underflow 0
		.amdhsa_exception_fp_ieee_inexact 0
		.amdhsa_exception_int_div_zero 0
	.end_amdhsa_kernel
	.section	.text._ZN7rocprim17ROCPRIM_400000_NS6detail17trampoline_kernelINS0_14default_configENS1_25partition_config_selectorILNS1_17partition_subalgoE9EllbEEZZNS1_14partition_implILS5_9ELb0ES3_jPlS8_PNS0_10empty_typeENS0_5tupleIJS8_S9_EEENSB_IJS8_SA_EEENS0_18inequality_wrapperIZN2at6native12_GLOBAL__N_124unique_dim_cuda_templateIdEESt5tupleIJNSF_6TensorESK_SK_EERKSK_lbbbEUlllE0_EEPmJS9_EEE10hipError_tPvRmT3_T4_T5_T6_T7_T9_mT8_P12ihipStream_tbDpT10_ENKUlT_T0_E_clISt17integral_constantIbLb1EES1A_EEDaS15_S16_EUlS15_E_NS1_11comp_targetILNS1_3genE8ELNS1_11target_archE1030ELNS1_3gpuE2ELNS1_3repE0EEENS1_30default_config_static_selectorELNS0_4arch9wavefront6targetE1EEEvT1_,"axG",@progbits,_ZN7rocprim17ROCPRIM_400000_NS6detail17trampoline_kernelINS0_14default_configENS1_25partition_config_selectorILNS1_17partition_subalgoE9EllbEEZZNS1_14partition_implILS5_9ELb0ES3_jPlS8_PNS0_10empty_typeENS0_5tupleIJS8_S9_EEENSB_IJS8_SA_EEENS0_18inequality_wrapperIZN2at6native12_GLOBAL__N_124unique_dim_cuda_templateIdEESt5tupleIJNSF_6TensorESK_SK_EERKSK_lbbbEUlllE0_EEPmJS9_EEE10hipError_tPvRmT3_T4_T5_T6_T7_T9_mT8_P12ihipStream_tbDpT10_ENKUlT_T0_E_clISt17integral_constantIbLb1EES1A_EEDaS15_S16_EUlS15_E_NS1_11comp_targetILNS1_3genE8ELNS1_11target_archE1030ELNS1_3gpuE2ELNS1_3repE0EEENS1_30default_config_static_selectorELNS0_4arch9wavefront6targetE1EEEvT1_,comdat
.Lfunc_end854:
	.size	_ZN7rocprim17ROCPRIM_400000_NS6detail17trampoline_kernelINS0_14default_configENS1_25partition_config_selectorILNS1_17partition_subalgoE9EllbEEZZNS1_14partition_implILS5_9ELb0ES3_jPlS8_PNS0_10empty_typeENS0_5tupleIJS8_S9_EEENSB_IJS8_SA_EEENS0_18inequality_wrapperIZN2at6native12_GLOBAL__N_124unique_dim_cuda_templateIdEESt5tupleIJNSF_6TensorESK_SK_EERKSK_lbbbEUlllE0_EEPmJS9_EEE10hipError_tPvRmT3_T4_T5_T6_T7_T9_mT8_P12ihipStream_tbDpT10_ENKUlT_T0_E_clISt17integral_constantIbLb1EES1A_EEDaS15_S16_EUlS15_E_NS1_11comp_targetILNS1_3genE8ELNS1_11target_archE1030ELNS1_3gpuE2ELNS1_3repE0EEENS1_30default_config_static_selectorELNS0_4arch9wavefront6targetE1EEEvT1_, .Lfunc_end854-_ZN7rocprim17ROCPRIM_400000_NS6detail17trampoline_kernelINS0_14default_configENS1_25partition_config_selectorILNS1_17partition_subalgoE9EllbEEZZNS1_14partition_implILS5_9ELb0ES3_jPlS8_PNS0_10empty_typeENS0_5tupleIJS8_S9_EEENSB_IJS8_SA_EEENS0_18inequality_wrapperIZN2at6native12_GLOBAL__N_124unique_dim_cuda_templateIdEESt5tupleIJNSF_6TensorESK_SK_EERKSK_lbbbEUlllE0_EEPmJS9_EEE10hipError_tPvRmT3_T4_T5_T6_T7_T9_mT8_P12ihipStream_tbDpT10_ENKUlT_T0_E_clISt17integral_constantIbLb1EES1A_EEDaS15_S16_EUlS15_E_NS1_11comp_targetILNS1_3genE8ELNS1_11target_archE1030ELNS1_3gpuE2ELNS1_3repE0EEENS1_30default_config_static_selectorELNS0_4arch9wavefront6targetE1EEEvT1_
                                        ; -- End function
	.set _ZN7rocprim17ROCPRIM_400000_NS6detail17trampoline_kernelINS0_14default_configENS1_25partition_config_selectorILNS1_17partition_subalgoE9EllbEEZZNS1_14partition_implILS5_9ELb0ES3_jPlS8_PNS0_10empty_typeENS0_5tupleIJS8_S9_EEENSB_IJS8_SA_EEENS0_18inequality_wrapperIZN2at6native12_GLOBAL__N_124unique_dim_cuda_templateIdEESt5tupleIJNSF_6TensorESK_SK_EERKSK_lbbbEUlllE0_EEPmJS9_EEE10hipError_tPvRmT3_T4_T5_T6_T7_T9_mT8_P12ihipStream_tbDpT10_ENKUlT_T0_E_clISt17integral_constantIbLb1EES1A_EEDaS15_S16_EUlS15_E_NS1_11comp_targetILNS1_3genE8ELNS1_11target_archE1030ELNS1_3gpuE2ELNS1_3repE0EEENS1_30default_config_static_selectorELNS0_4arch9wavefront6targetE1EEEvT1_.num_vgpr, 0
	.set _ZN7rocprim17ROCPRIM_400000_NS6detail17trampoline_kernelINS0_14default_configENS1_25partition_config_selectorILNS1_17partition_subalgoE9EllbEEZZNS1_14partition_implILS5_9ELb0ES3_jPlS8_PNS0_10empty_typeENS0_5tupleIJS8_S9_EEENSB_IJS8_SA_EEENS0_18inequality_wrapperIZN2at6native12_GLOBAL__N_124unique_dim_cuda_templateIdEESt5tupleIJNSF_6TensorESK_SK_EERKSK_lbbbEUlllE0_EEPmJS9_EEE10hipError_tPvRmT3_T4_T5_T6_T7_T9_mT8_P12ihipStream_tbDpT10_ENKUlT_T0_E_clISt17integral_constantIbLb1EES1A_EEDaS15_S16_EUlS15_E_NS1_11comp_targetILNS1_3genE8ELNS1_11target_archE1030ELNS1_3gpuE2ELNS1_3repE0EEENS1_30default_config_static_selectorELNS0_4arch9wavefront6targetE1EEEvT1_.num_agpr, 0
	.set _ZN7rocprim17ROCPRIM_400000_NS6detail17trampoline_kernelINS0_14default_configENS1_25partition_config_selectorILNS1_17partition_subalgoE9EllbEEZZNS1_14partition_implILS5_9ELb0ES3_jPlS8_PNS0_10empty_typeENS0_5tupleIJS8_S9_EEENSB_IJS8_SA_EEENS0_18inequality_wrapperIZN2at6native12_GLOBAL__N_124unique_dim_cuda_templateIdEESt5tupleIJNSF_6TensorESK_SK_EERKSK_lbbbEUlllE0_EEPmJS9_EEE10hipError_tPvRmT3_T4_T5_T6_T7_T9_mT8_P12ihipStream_tbDpT10_ENKUlT_T0_E_clISt17integral_constantIbLb1EES1A_EEDaS15_S16_EUlS15_E_NS1_11comp_targetILNS1_3genE8ELNS1_11target_archE1030ELNS1_3gpuE2ELNS1_3repE0EEENS1_30default_config_static_selectorELNS0_4arch9wavefront6targetE1EEEvT1_.numbered_sgpr, 0
	.set _ZN7rocprim17ROCPRIM_400000_NS6detail17trampoline_kernelINS0_14default_configENS1_25partition_config_selectorILNS1_17partition_subalgoE9EllbEEZZNS1_14partition_implILS5_9ELb0ES3_jPlS8_PNS0_10empty_typeENS0_5tupleIJS8_S9_EEENSB_IJS8_SA_EEENS0_18inequality_wrapperIZN2at6native12_GLOBAL__N_124unique_dim_cuda_templateIdEESt5tupleIJNSF_6TensorESK_SK_EERKSK_lbbbEUlllE0_EEPmJS9_EEE10hipError_tPvRmT3_T4_T5_T6_T7_T9_mT8_P12ihipStream_tbDpT10_ENKUlT_T0_E_clISt17integral_constantIbLb1EES1A_EEDaS15_S16_EUlS15_E_NS1_11comp_targetILNS1_3genE8ELNS1_11target_archE1030ELNS1_3gpuE2ELNS1_3repE0EEENS1_30default_config_static_selectorELNS0_4arch9wavefront6targetE1EEEvT1_.num_named_barrier, 0
	.set _ZN7rocprim17ROCPRIM_400000_NS6detail17trampoline_kernelINS0_14default_configENS1_25partition_config_selectorILNS1_17partition_subalgoE9EllbEEZZNS1_14partition_implILS5_9ELb0ES3_jPlS8_PNS0_10empty_typeENS0_5tupleIJS8_S9_EEENSB_IJS8_SA_EEENS0_18inequality_wrapperIZN2at6native12_GLOBAL__N_124unique_dim_cuda_templateIdEESt5tupleIJNSF_6TensorESK_SK_EERKSK_lbbbEUlllE0_EEPmJS9_EEE10hipError_tPvRmT3_T4_T5_T6_T7_T9_mT8_P12ihipStream_tbDpT10_ENKUlT_T0_E_clISt17integral_constantIbLb1EES1A_EEDaS15_S16_EUlS15_E_NS1_11comp_targetILNS1_3genE8ELNS1_11target_archE1030ELNS1_3gpuE2ELNS1_3repE0EEENS1_30default_config_static_selectorELNS0_4arch9wavefront6targetE1EEEvT1_.private_seg_size, 0
	.set _ZN7rocprim17ROCPRIM_400000_NS6detail17trampoline_kernelINS0_14default_configENS1_25partition_config_selectorILNS1_17partition_subalgoE9EllbEEZZNS1_14partition_implILS5_9ELb0ES3_jPlS8_PNS0_10empty_typeENS0_5tupleIJS8_S9_EEENSB_IJS8_SA_EEENS0_18inequality_wrapperIZN2at6native12_GLOBAL__N_124unique_dim_cuda_templateIdEESt5tupleIJNSF_6TensorESK_SK_EERKSK_lbbbEUlllE0_EEPmJS9_EEE10hipError_tPvRmT3_T4_T5_T6_T7_T9_mT8_P12ihipStream_tbDpT10_ENKUlT_T0_E_clISt17integral_constantIbLb1EES1A_EEDaS15_S16_EUlS15_E_NS1_11comp_targetILNS1_3genE8ELNS1_11target_archE1030ELNS1_3gpuE2ELNS1_3repE0EEENS1_30default_config_static_selectorELNS0_4arch9wavefront6targetE1EEEvT1_.uses_vcc, 0
	.set _ZN7rocprim17ROCPRIM_400000_NS6detail17trampoline_kernelINS0_14default_configENS1_25partition_config_selectorILNS1_17partition_subalgoE9EllbEEZZNS1_14partition_implILS5_9ELb0ES3_jPlS8_PNS0_10empty_typeENS0_5tupleIJS8_S9_EEENSB_IJS8_SA_EEENS0_18inequality_wrapperIZN2at6native12_GLOBAL__N_124unique_dim_cuda_templateIdEESt5tupleIJNSF_6TensorESK_SK_EERKSK_lbbbEUlllE0_EEPmJS9_EEE10hipError_tPvRmT3_T4_T5_T6_T7_T9_mT8_P12ihipStream_tbDpT10_ENKUlT_T0_E_clISt17integral_constantIbLb1EES1A_EEDaS15_S16_EUlS15_E_NS1_11comp_targetILNS1_3genE8ELNS1_11target_archE1030ELNS1_3gpuE2ELNS1_3repE0EEENS1_30default_config_static_selectorELNS0_4arch9wavefront6targetE1EEEvT1_.uses_flat_scratch, 0
	.set _ZN7rocprim17ROCPRIM_400000_NS6detail17trampoline_kernelINS0_14default_configENS1_25partition_config_selectorILNS1_17partition_subalgoE9EllbEEZZNS1_14partition_implILS5_9ELb0ES3_jPlS8_PNS0_10empty_typeENS0_5tupleIJS8_S9_EEENSB_IJS8_SA_EEENS0_18inequality_wrapperIZN2at6native12_GLOBAL__N_124unique_dim_cuda_templateIdEESt5tupleIJNSF_6TensorESK_SK_EERKSK_lbbbEUlllE0_EEPmJS9_EEE10hipError_tPvRmT3_T4_T5_T6_T7_T9_mT8_P12ihipStream_tbDpT10_ENKUlT_T0_E_clISt17integral_constantIbLb1EES1A_EEDaS15_S16_EUlS15_E_NS1_11comp_targetILNS1_3genE8ELNS1_11target_archE1030ELNS1_3gpuE2ELNS1_3repE0EEENS1_30default_config_static_selectorELNS0_4arch9wavefront6targetE1EEEvT1_.has_dyn_sized_stack, 0
	.set _ZN7rocprim17ROCPRIM_400000_NS6detail17trampoline_kernelINS0_14default_configENS1_25partition_config_selectorILNS1_17partition_subalgoE9EllbEEZZNS1_14partition_implILS5_9ELb0ES3_jPlS8_PNS0_10empty_typeENS0_5tupleIJS8_S9_EEENSB_IJS8_SA_EEENS0_18inequality_wrapperIZN2at6native12_GLOBAL__N_124unique_dim_cuda_templateIdEESt5tupleIJNSF_6TensorESK_SK_EERKSK_lbbbEUlllE0_EEPmJS9_EEE10hipError_tPvRmT3_T4_T5_T6_T7_T9_mT8_P12ihipStream_tbDpT10_ENKUlT_T0_E_clISt17integral_constantIbLb1EES1A_EEDaS15_S16_EUlS15_E_NS1_11comp_targetILNS1_3genE8ELNS1_11target_archE1030ELNS1_3gpuE2ELNS1_3repE0EEENS1_30default_config_static_selectorELNS0_4arch9wavefront6targetE1EEEvT1_.has_recursion, 0
	.set _ZN7rocprim17ROCPRIM_400000_NS6detail17trampoline_kernelINS0_14default_configENS1_25partition_config_selectorILNS1_17partition_subalgoE9EllbEEZZNS1_14partition_implILS5_9ELb0ES3_jPlS8_PNS0_10empty_typeENS0_5tupleIJS8_S9_EEENSB_IJS8_SA_EEENS0_18inequality_wrapperIZN2at6native12_GLOBAL__N_124unique_dim_cuda_templateIdEESt5tupleIJNSF_6TensorESK_SK_EERKSK_lbbbEUlllE0_EEPmJS9_EEE10hipError_tPvRmT3_T4_T5_T6_T7_T9_mT8_P12ihipStream_tbDpT10_ENKUlT_T0_E_clISt17integral_constantIbLb1EES1A_EEDaS15_S16_EUlS15_E_NS1_11comp_targetILNS1_3genE8ELNS1_11target_archE1030ELNS1_3gpuE2ELNS1_3repE0EEENS1_30default_config_static_selectorELNS0_4arch9wavefront6targetE1EEEvT1_.has_indirect_call, 0
	.section	.AMDGPU.csdata,"",@progbits
; Kernel info:
; codeLenInByte = 0
; TotalNumSgprs: 6
; NumVgprs: 0
; NumAgprs: 0
; TotalNumVgprs: 0
; ScratchSize: 0
; MemoryBound: 0
; FloatMode: 240
; IeeeMode: 1
; LDSByteSize: 0 bytes/workgroup (compile time only)
; SGPRBlocks: 0
; VGPRBlocks: 0
; NumSGPRsForWavesPerEU: 6
; NumVGPRsForWavesPerEU: 1
; AccumOffset: 4
; Occupancy: 8
; WaveLimiterHint : 0
; COMPUTE_PGM_RSRC2:SCRATCH_EN: 0
; COMPUTE_PGM_RSRC2:USER_SGPR: 2
; COMPUTE_PGM_RSRC2:TRAP_HANDLER: 0
; COMPUTE_PGM_RSRC2:TGID_X_EN: 1
; COMPUTE_PGM_RSRC2:TGID_Y_EN: 0
; COMPUTE_PGM_RSRC2:TGID_Z_EN: 0
; COMPUTE_PGM_RSRC2:TIDIG_COMP_CNT: 0
; COMPUTE_PGM_RSRC3_GFX90A:ACCUM_OFFSET: 0
; COMPUTE_PGM_RSRC3_GFX90A:TG_SPLIT: 0
	.section	.text._ZN7rocprim17ROCPRIM_400000_NS6detail17trampoline_kernelINS0_14default_configENS1_25partition_config_selectorILNS1_17partition_subalgoE9EllbEEZZNS1_14partition_implILS5_9ELb0ES3_jPlS8_PNS0_10empty_typeENS0_5tupleIJS8_S9_EEENSB_IJS8_SA_EEENS0_18inequality_wrapperIZN2at6native12_GLOBAL__N_124unique_dim_cuda_templateIdEESt5tupleIJNSF_6TensorESK_SK_EERKSK_lbbbEUlllE0_EEPmJS9_EEE10hipError_tPvRmT3_T4_T5_T6_T7_T9_mT8_P12ihipStream_tbDpT10_ENKUlT_T0_E_clISt17integral_constantIbLb1EES19_IbLb0EEEEDaS15_S16_EUlS15_E_NS1_11comp_targetILNS1_3genE0ELNS1_11target_archE4294967295ELNS1_3gpuE0ELNS1_3repE0EEENS1_30default_config_static_selectorELNS0_4arch9wavefront6targetE1EEEvT1_,"axG",@progbits,_ZN7rocprim17ROCPRIM_400000_NS6detail17trampoline_kernelINS0_14default_configENS1_25partition_config_selectorILNS1_17partition_subalgoE9EllbEEZZNS1_14partition_implILS5_9ELb0ES3_jPlS8_PNS0_10empty_typeENS0_5tupleIJS8_S9_EEENSB_IJS8_SA_EEENS0_18inequality_wrapperIZN2at6native12_GLOBAL__N_124unique_dim_cuda_templateIdEESt5tupleIJNSF_6TensorESK_SK_EERKSK_lbbbEUlllE0_EEPmJS9_EEE10hipError_tPvRmT3_T4_T5_T6_T7_T9_mT8_P12ihipStream_tbDpT10_ENKUlT_T0_E_clISt17integral_constantIbLb1EES19_IbLb0EEEEDaS15_S16_EUlS15_E_NS1_11comp_targetILNS1_3genE0ELNS1_11target_archE4294967295ELNS1_3gpuE0ELNS1_3repE0EEENS1_30default_config_static_selectorELNS0_4arch9wavefront6targetE1EEEvT1_,comdat
	.globl	_ZN7rocprim17ROCPRIM_400000_NS6detail17trampoline_kernelINS0_14default_configENS1_25partition_config_selectorILNS1_17partition_subalgoE9EllbEEZZNS1_14partition_implILS5_9ELb0ES3_jPlS8_PNS0_10empty_typeENS0_5tupleIJS8_S9_EEENSB_IJS8_SA_EEENS0_18inequality_wrapperIZN2at6native12_GLOBAL__N_124unique_dim_cuda_templateIdEESt5tupleIJNSF_6TensorESK_SK_EERKSK_lbbbEUlllE0_EEPmJS9_EEE10hipError_tPvRmT3_T4_T5_T6_T7_T9_mT8_P12ihipStream_tbDpT10_ENKUlT_T0_E_clISt17integral_constantIbLb1EES19_IbLb0EEEEDaS15_S16_EUlS15_E_NS1_11comp_targetILNS1_3genE0ELNS1_11target_archE4294967295ELNS1_3gpuE0ELNS1_3repE0EEENS1_30default_config_static_selectorELNS0_4arch9wavefront6targetE1EEEvT1_ ; -- Begin function _ZN7rocprim17ROCPRIM_400000_NS6detail17trampoline_kernelINS0_14default_configENS1_25partition_config_selectorILNS1_17partition_subalgoE9EllbEEZZNS1_14partition_implILS5_9ELb0ES3_jPlS8_PNS0_10empty_typeENS0_5tupleIJS8_S9_EEENSB_IJS8_SA_EEENS0_18inequality_wrapperIZN2at6native12_GLOBAL__N_124unique_dim_cuda_templateIdEESt5tupleIJNSF_6TensorESK_SK_EERKSK_lbbbEUlllE0_EEPmJS9_EEE10hipError_tPvRmT3_T4_T5_T6_T7_T9_mT8_P12ihipStream_tbDpT10_ENKUlT_T0_E_clISt17integral_constantIbLb1EES19_IbLb0EEEEDaS15_S16_EUlS15_E_NS1_11comp_targetILNS1_3genE0ELNS1_11target_archE4294967295ELNS1_3gpuE0ELNS1_3repE0EEENS1_30default_config_static_selectorELNS0_4arch9wavefront6targetE1EEEvT1_
	.p2align	8
	.type	_ZN7rocprim17ROCPRIM_400000_NS6detail17trampoline_kernelINS0_14default_configENS1_25partition_config_selectorILNS1_17partition_subalgoE9EllbEEZZNS1_14partition_implILS5_9ELb0ES3_jPlS8_PNS0_10empty_typeENS0_5tupleIJS8_S9_EEENSB_IJS8_SA_EEENS0_18inequality_wrapperIZN2at6native12_GLOBAL__N_124unique_dim_cuda_templateIdEESt5tupleIJNSF_6TensorESK_SK_EERKSK_lbbbEUlllE0_EEPmJS9_EEE10hipError_tPvRmT3_T4_T5_T6_T7_T9_mT8_P12ihipStream_tbDpT10_ENKUlT_T0_E_clISt17integral_constantIbLb1EES19_IbLb0EEEEDaS15_S16_EUlS15_E_NS1_11comp_targetILNS1_3genE0ELNS1_11target_archE4294967295ELNS1_3gpuE0ELNS1_3repE0EEENS1_30default_config_static_selectorELNS0_4arch9wavefront6targetE1EEEvT1_,@function
_ZN7rocprim17ROCPRIM_400000_NS6detail17trampoline_kernelINS0_14default_configENS1_25partition_config_selectorILNS1_17partition_subalgoE9EllbEEZZNS1_14partition_implILS5_9ELb0ES3_jPlS8_PNS0_10empty_typeENS0_5tupleIJS8_S9_EEENSB_IJS8_SA_EEENS0_18inequality_wrapperIZN2at6native12_GLOBAL__N_124unique_dim_cuda_templateIdEESt5tupleIJNSF_6TensorESK_SK_EERKSK_lbbbEUlllE0_EEPmJS9_EEE10hipError_tPvRmT3_T4_T5_T6_T7_T9_mT8_P12ihipStream_tbDpT10_ENKUlT_T0_E_clISt17integral_constantIbLb1EES19_IbLb0EEEEDaS15_S16_EUlS15_E_NS1_11comp_targetILNS1_3genE0ELNS1_11target_archE4294967295ELNS1_3gpuE0ELNS1_3repE0EEENS1_30default_config_static_selectorELNS0_4arch9wavefront6targetE1EEEvT1_: ; @_ZN7rocprim17ROCPRIM_400000_NS6detail17trampoline_kernelINS0_14default_configENS1_25partition_config_selectorILNS1_17partition_subalgoE9EllbEEZZNS1_14partition_implILS5_9ELb0ES3_jPlS8_PNS0_10empty_typeENS0_5tupleIJS8_S9_EEENSB_IJS8_SA_EEENS0_18inequality_wrapperIZN2at6native12_GLOBAL__N_124unique_dim_cuda_templateIdEESt5tupleIJNSF_6TensorESK_SK_EERKSK_lbbbEUlllE0_EEPmJS9_EEE10hipError_tPvRmT3_T4_T5_T6_T7_T9_mT8_P12ihipStream_tbDpT10_ENKUlT_T0_E_clISt17integral_constantIbLb1EES19_IbLb0EEEEDaS15_S16_EUlS15_E_NS1_11comp_targetILNS1_3genE0ELNS1_11target_archE4294967295ELNS1_3gpuE0ELNS1_3repE0EEENS1_30default_config_static_selectorELNS0_4arch9wavefront6targetE1EEEvT1_
; %bb.0:
	s_endpgm
	.section	.rodata,"a",@progbits
	.p2align	6, 0x0
	.amdhsa_kernel _ZN7rocprim17ROCPRIM_400000_NS6detail17trampoline_kernelINS0_14default_configENS1_25partition_config_selectorILNS1_17partition_subalgoE9EllbEEZZNS1_14partition_implILS5_9ELb0ES3_jPlS8_PNS0_10empty_typeENS0_5tupleIJS8_S9_EEENSB_IJS8_SA_EEENS0_18inequality_wrapperIZN2at6native12_GLOBAL__N_124unique_dim_cuda_templateIdEESt5tupleIJNSF_6TensorESK_SK_EERKSK_lbbbEUlllE0_EEPmJS9_EEE10hipError_tPvRmT3_T4_T5_T6_T7_T9_mT8_P12ihipStream_tbDpT10_ENKUlT_T0_E_clISt17integral_constantIbLb1EES19_IbLb0EEEEDaS15_S16_EUlS15_E_NS1_11comp_targetILNS1_3genE0ELNS1_11target_archE4294967295ELNS1_3gpuE0ELNS1_3repE0EEENS1_30default_config_static_selectorELNS0_4arch9wavefront6targetE1EEEvT1_
		.amdhsa_group_segment_fixed_size 0
		.amdhsa_private_segment_fixed_size 0
		.amdhsa_kernarg_size 120
		.amdhsa_user_sgpr_count 2
		.amdhsa_user_sgpr_dispatch_ptr 0
		.amdhsa_user_sgpr_queue_ptr 0
		.amdhsa_user_sgpr_kernarg_segment_ptr 1
		.amdhsa_user_sgpr_dispatch_id 0
		.amdhsa_user_sgpr_kernarg_preload_length 0
		.amdhsa_user_sgpr_kernarg_preload_offset 0
		.amdhsa_user_sgpr_private_segment_size 0
		.amdhsa_uses_dynamic_stack 0
		.amdhsa_enable_private_segment 0
		.amdhsa_system_sgpr_workgroup_id_x 1
		.amdhsa_system_sgpr_workgroup_id_y 0
		.amdhsa_system_sgpr_workgroup_id_z 0
		.amdhsa_system_sgpr_workgroup_info 0
		.amdhsa_system_vgpr_workitem_id 0
		.amdhsa_next_free_vgpr 1
		.amdhsa_next_free_sgpr 0
		.amdhsa_accum_offset 4
		.amdhsa_reserve_vcc 0
		.amdhsa_float_round_mode_32 0
		.amdhsa_float_round_mode_16_64 0
		.amdhsa_float_denorm_mode_32 3
		.amdhsa_float_denorm_mode_16_64 3
		.amdhsa_dx10_clamp 1
		.amdhsa_ieee_mode 1
		.amdhsa_fp16_overflow 0
		.amdhsa_tg_split 0
		.amdhsa_exception_fp_ieee_invalid_op 0
		.amdhsa_exception_fp_denorm_src 0
		.amdhsa_exception_fp_ieee_div_zero 0
		.amdhsa_exception_fp_ieee_overflow 0
		.amdhsa_exception_fp_ieee_underflow 0
		.amdhsa_exception_fp_ieee_inexact 0
		.amdhsa_exception_int_div_zero 0
	.end_amdhsa_kernel
	.section	.text._ZN7rocprim17ROCPRIM_400000_NS6detail17trampoline_kernelINS0_14default_configENS1_25partition_config_selectorILNS1_17partition_subalgoE9EllbEEZZNS1_14partition_implILS5_9ELb0ES3_jPlS8_PNS0_10empty_typeENS0_5tupleIJS8_S9_EEENSB_IJS8_SA_EEENS0_18inequality_wrapperIZN2at6native12_GLOBAL__N_124unique_dim_cuda_templateIdEESt5tupleIJNSF_6TensorESK_SK_EERKSK_lbbbEUlllE0_EEPmJS9_EEE10hipError_tPvRmT3_T4_T5_T6_T7_T9_mT8_P12ihipStream_tbDpT10_ENKUlT_T0_E_clISt17integral_constantIbLb1EES19_IbLb0EEEEDaS15_S16_EUlS15_E_NS1_11comp_targetILNS1_3genE0ELNS1_11target_archE4294967295ELNS1_3gpuE0ELNS1_3repE0EEENS1_30default_config_static_selectorELNS0_4arch9wavefront6targetE1EEEvT1_,"axG",@progbits,_ZN7rocprim17ROCPRIM_400000_NS6detail17trampoline_kernelINS0_14default_configENS1_25partition_config_selectorILNS1_17partition_subalgoE9EllbEEZZNS1_14partition_implILS5_9ELb0ES3_jPlS8_PNS0_10empty_typeENS0_5tupleIJS8_S9_EEENSB_IJS8_SA_EEENS0_18inequality_wrapperIZN2at6native12_GLOBAL__N_124unique_dim_cuda_templateIdEESt5tupleIJNSF_6TensorESK_SK_EERKSK_lbbbEUlllE0_EEPmJS9_EEE10hipError_tPvRmT3_T4_T5_T6_T7_T9_mT8_P12ihipStream_tbDpT10_ENKUlT_T0_E_clISt17integral_constantIbLb1EES19_IbLb0EEEEDaS15_S16_EUlS15_E_NS1_11comp_targetILNS1_3genE0ELNS1_11target_archE4294967295ELNS1_3gpuE0ELNS1_3repE0EEENS1_30default_config_static_selectorELNS0_4arch9wavefront6targetE1EEEvT1_,comdat
.Lfunc_end855:
	.size	_ZN7rocprim17ROCPRIM_400000_NS6detail17trampoline_kernelINS0_14default_configENS1_25partition_config_selectorILNS1_17partition_subalgoE9EllbEEZZNS1_14partition_implILS5_9ELb0ES3_jPlS8_PNS0_10empty_typeENS0_5tupleIJS8_S9_EEENSB_IJS8_SA_EEENS0_18inequality_wrapperIZN2at6native12_GLOBAL__N_124unique_dim_cuda_templateIdEESt5tupleIJNSF_6TensorESK_SK_EERKSK_lbbbEUlllE0_EEPmJS9_EEE10hipError_tPvRmT3_T4_T5_T6_T7_T9_mT8_P12ihipStream_tbDpT10_ENKUlT_T0_E_clISt17integral_constantIbLb1EES19_IbLb0EEEEDaS15_S16_EUlS15_E_NS1_11comp_targetILNS1_3genE0ELNS1_11target_archE4294967295ELNS1_3gpuE0ELNS1_3repE0EEENS1_30default_config_static_selectorELNS0_4arch9wavefront6targetE1EEEvT1_, .Lfunc_end855-_ZN7rocprim17ROCPRIM_400000_NS6detail17trampoline_kernelINS0_14default_configENS1_25partition_config_selectorILNS1_17partition_subalgoE9EllbEEZZNS1_14partition_implILS5_9ELb0ES3_jPlS8_PNS0_10empty_typeENS0_5tupleIJS8_S9_EEENSB_IJS8_SA_EEENS0_18inequality_wrapperIZN2at6native12_GLOBAL__N_124unique_dim_cuda_templateIdEESt5tupleIJNSF_6TensorESK_SK_EERKSK_lbbbEUlllE0_EEPmJS9_EEE10hipError_tPvRmT3_T4_T5_T6_T7_T9_mT8_P12ihipStream_tbDpT10_ENKUlT_T0_E_clISt17integral_constantIbLb1EES19_IbLb0EEEEDaS15_S16_EUlS15_E_NS1_11comp_targetILNS1_3genE0ELNS1_11target_archE4294967295ELNS1_3gpuE0ELNS1_3repE0EEENS1_30default_config_static_selectorELNS0_4arch9wavefront6targetE1EEEvT1_
                                        ; -- End function
	.set _ZN7rocprim17ROCPRIM_400000_NS6detail17trampoline_kernelINS0_14default_configENS1_25partition_config_selectorILNS1_17partition_subalgoE9EllbEEZZNS1_14partition_implILS5_9ELb0ES3_jPlS8_PNS0_10empty_typeENS0_5tupleIJS8_S9_EEENSB_IJS8_SA_EEENS0_18inequality_wrapperIZN2at6native12_GLOBAL__N_124unique_dim_cuda_templateIdEESt5tupleIJNSF_6TensorESK_SK_EERKSK_lbbbEUlllE0_EEPmJS9_EEE10hipError_tPvRmT3_T4_T5_T6_T7_T9_mT8_P12ihipStream_tbDpT10_ENKUlT_T0_E_clISt17integral_constantIbLb1EES19_IbLb0EEEEDaS15_S16_EUlS15_E_NS1_11comp_targetILNS1_3genE0ELNS1_11target_archE4294967295ELNS1_3gpuE0ELNS1_3repE0EEENS1_30default_config_static_selectorELNS0_4arch9wavefront6targetE1EEEvT1_.num_vgpr, 0
	.set _ZN7rocprim17ROCPRIM_400000_NS6detail17trampoline_kernelINS0_14default_configENS1_25partition_config_selectorILNS1_17partition_subalgoE9EllbEEZZNS1_14partition_implILS5_9ELb0ES3_jPlS8_PNS0_10empty_typeENS0_5tupleIJS8_S9_EEENSB_IJS8_SA_EEENS0_18inequality_wrapperIZN2at6native12_GLOBAL__N_124unique_dim_cuda_templateIdEESt5tupleIJNSF_6TensorESK_SK_EERKSK_lbbbEUlllE0_EEPmJS9_EEE10hipError_tPvRmT3_T4_T5_T6_T7_T9_mT8_P12ihipStream_tbDpT10_ENKUlT_T0_E_clISt17integral_constantIbLb1EES19_IbLb0EEEEDaS15_S16_EUlS15_E_NS1_11comp_targetILNS1_3genE0ELNS1_11target_archE4294967295ELNS1_3gpuE0ELNS1_3repE0EEENS1_30default_config_static_selectorELNS0_4arch9wavefront6targetE1EEEvT1_.num_agpr, 0
	.set _ZN7rocprim17ROCPRIM_400000_NS6detail17trampoline_kernelINS0_14default_configENS1_25partition_config_selectorILNS1_17partition_subalgoE9EllbEEZZNS1_14partition_implILS5_9ELb0ES3_jPlS8_PNS0_10empty_typeENS0_5tupleIJS8_S9_EEENSB_IJS8_SA_EEENS0_18inequality_wrapperIZN2at6native12_GLOBAL__N_124unique_dim_cuda_templateIdEESt5tupleIJNSF_6TensorESK_SK_EERKSK_lbbbEUlllE0_EEPmJS9_EEE10hipError_tPvRmT3_T4_T5_T6_T7_T9_mT8_P12ihipStream_tbDpT10_ENKUlT_T0_E_clISt17integral_constantIbLb1EES19_IbLb0EEEEDaS15_S16_EUlS15_E_NS1_11comp_targetILNS1_3genE0ELNS1_11target_archE4294967295ELNS1_3gpuE0ELNS1_3repE0EEENS1_30default_config_static_selectorELNS0_4arch9wavefront6targetE1EEEvT1_.numbered_sgpr, 0
	.set _ZN7rocprim17ROCPRIM_400000_NS6detail17trampoline_kernelINS0_14default_configENS1_25partition_config_selectorILNS1_17partition_subalgoE9EllbEEZZNS1_14partition_implILS5_9ELb0ES3_jPlS8_PNS0_10empty_typeENS0_5tupleIJS8_S9_EEENSB_IJS8_SA_EEENS0_18inequality_wrapperIZN2at6native12_GLOBAL__N_124unique_dim_cuda_templateIdEESt5tupleIJNSF_6TensorESK_SK_EERKSK_lbbbEUlllE0_EEPmJS9_EEE10hipError_tPvRmT3_T4_T5_T6_T7_T9_mT8_P12ihipStream_tbDpT10_ENKUlT_T0_E_clISt17integral_constantIbLb1EES19_IbLb0EEEEDaS15_S16_EUlS15_E_NS1_11comp_targetILNS1_3genE0ELNS1_11target_archE4294967295ELNS1_3gpuE0ELNS1_3repE0EEENS1_30default_config_static_selectorELNS0_4arch9wavefront6targetE1EEEvT1_.num_named_barrier, 0
	.set _ZN7rocprim17ROCPRIM_400000_NS6detail17trampoline_kernelINS0_14default_configENS1_25partition_config_selectorILNS1_17partition_subalgoE9EllbEEZZNS1_14partition_implILS5_9ELb0ES3_jPlS8_PNS0_10empty_typeENS0_5tupleIJS8_S9_EEENSB_IJS8_SA_EEENS0_18inequality_wrapperIZN2at6native12_GLOBAL__N_124unique_dim_cuda_templateIdEESt5tupleIJNSF_6TensorESK_SK_EERKSK_lbbbEUlllE0_EEPmJS9_EEE10hipError_tPvRmT3_T4_T5_T6_T7_T9_mT8_P12ihipStream_tbDpT10_ENKUlT_T0_E_clISt17integral_constantIbLb1EES19_IbLb0EEEEDaS15_S16_EUlS15_E_NS1_11comp_targetILNS1_3genE0ELNS1_11target_archE4294967295ELNS1_3gpuE0ELNS1_3repE0EEENS1_30default_config_static_selectorELNS0_4arch9wavefront6targetE1EEEvT1_.private_seg_size, 0
	.set _ZN7rocprim17ROCPRIM_400000_NS6detail17trampoline_kernelINS0_14default_configENS1_25partition_config_selectorILNS1_17partition_subalgoE9EllbEEZZNS1_14partition_implILS5_9ELb0ES3_jPlS8_PNS0_10empty_typeENS0_5tupleIJS8_S9_EEENSB_IJS8_SA_EEENS0_18inequality_wrapperIZN2at6native12_GLOBAL__N_124unique_dim_cuda_templateIdEESt5tupleIJNSF_6TensorESK_SK_EERKSK_lbbbEUlllE0_EEPmJS9_EEE10hipError_tPvRmT3_T4_T5_T6_T7_T9_mT8_P12ihipStream_tbDpT10_ENKUlT_T0_E_clISt17integral_constantIbLb1EES19_IbLb0EEEEDaS15_S16_EUlS15_E_NS1_11comp_targetILNS1_3genE0ELNS1_11target_archE4294967295ELNS1_3gpuE0ELNS1_3repE0EEENS1_30default_config_static_selectorELNS0_4arch9wavefront6targetE1EEEvT1_.uses_vcc, 0
	.set _ZN7rocprim17ROCPRIM_400000_NS6detail17trampoline_kernelINS0_14default_configENS1_25partition_config_selectorILNS1_17partition_subalgoE9EllbEEZZNS1_14partition_implILS5_9ELb0ES3_jPlS8_PNS0_10empty_typeENS0_5tupleIJS8_S9_EEENSB_IJS8_SA_EEENS0_18inequality_wrapperIZN2at6native12_GLOBAL__N_124unique_dim_cuda_templateIdEESt5tupleIJNSF_6TensorESK_SK_EERKSK_lbbbEUlllE0_EEPmJS9_EEE10hipError_tPvRmT3_T4_T5_T6_T7_T9_mT8_P12ihipStream_tbDpT10_ENKUlT_T0_E_clISt17integral_constantIbLb1EES19_IbLb0EEEEDaS15_S16_EUlS15_E_NS1_11comp_targetILNS1_3genE0ELNS1_11target_archE4294967295ELNS1_3gpuE0ELNS1_3repE0EEENS1_30default_config_static_selectorELNS0_4arch9wavefront6targetE1EEEvT1_.uses_flat_scratch, 0
	.set _ZN7rocprim17ROCPRIM_400000_NS6detail17trampoline_kernelINS0_14default_configENS1_25partition_config_selectorILNS1_17partition_subalgoE9EllbEEZZNS1_14partition_implILS5_9ELb0ES3_jPlS8_PNS0_10empty_typeENS0_5tupleIJS8_S9_EEENSB_IJS8_SA_EEENS0_18inequality_wrapperIZN2at6native12_GLOBAL__N_124unique_dim_cuda_templateIdEESt5tupleIJNSF_6TensorESK_SK_EERKSK_lbbbEUlllE0_EEPmJS9_EEE10hipError_tPvRmT3_T4_T5_T6_T7_T9_mT8_P12ihipStream_tbDpT10_ENKUlT_T0_E_clISt17integral_constantIbLb1EES19_IbLb0EEEEDaS15_S16_EUlS15_E_NS1_11comp_targetILNS1_3genE0ELNS1_11target_archE4294967295ELNS1_3gpuE0ELNS1_3repE0EEENS1_30default_config_static_selectorELNS0_4arch9wavefront6targetE1EEEvT1_.has_dyn_sized_stack, 0
	.set _ZN7rocprim17ROCPRIM_400000_NS6detail17trampoline_kernelINS0_14default_configENS1_25partition_config_selectorILNS1_17partition_subalgoE9EllbEEZZNS1_14partition_implILS5_9ELb0ES3_jPlS8_PNS0_10empty_typeENS0_5tupleIJS8_S9_EEENSB_IJS8_SA_EEENS0_18inequality_wrapperIZN2at6native12_GLOBAL__N_124unique_dim_cuda_templateIdEESt5tupleIJNSF_6TensorESK_SK_EERKSK_lbbbEUlllE0_EEPmJS9_EEE10hipError_tPvRmT3_T4_T5_T6_T7_T9_mT8_P12ihipStream_tbDpT10_ENKUlT_T0_E_clISt17integral_constantIbLb1EES19_IbLb0EEEEDaS15_S16_EUlS15_E_NS1_11comp_targetILNS1_3genE0ELNS1_11target_archE4294967295ELNS1_3gpuE0ELNS1_3repE0EEENS1_30default_config_static_selectorELNS0_4arch9wavefront6targetE1EEEvT1_.has_recursion, 0
	.set _ZN7rocprim17ROCPRIM_400000_NS6detail17trampoline_kernelINS0_14default_configENS1_25partition_config_selectorILNS1_17partition_subalgoE9EllbEEZZNS1_14partition_implILS5_9ELb0ES3_jPlS8_PNS0_10empty_typeENS0_5tupleIJS8_S9_EEENSB_IJS8_SA_EEENS0_18inequality_wrapperIZN2at6native12_GLOBAL__N_124unique_dim_cuda_templateIdEESt5tupleIJNSF_6TensorESK_SK_EERKSK_lbbbEUlllE0_EEPmJS9_EEE10hipError_tPvRmT3_T4_T5_T6_T7_T9_mT8_P12ihipStream_tbDpT10_ENKUlT_T0_E_clISt17integral_constantIbLb1EES19_IbLb0EEEEDaS15_S16_EUlS15_E_NS1_11comp_targetILNS1_3genE0ELNS1_11target_archE4294967295ELNS1_3gpuE0ELNS1_3repE0EEENS1_30default_config_static_selectorELNS0_4arch9wavefront6targetE1EEEvT1_.has_indirect_call, 0
	.section	.AMDGPU.csdata,"",@progbits
; Kernel info:
; codeLenInByte = 4
; TotalNumSgprs: 6
; NumVgprs: 0
; NumAgprs: 0
; TotalNumVgprs: 0
; ScratchSize: 0
; MemoryBound: 0
; FloatMode: 240
; IeeeMode: 1
; LDSByteSize: 0 bytes/workgroup (compile time only)
; SGPRBlocks: 0
; VGPRBlocks: 0
; NumSGPRsForWavesPerEU: 6
; NumVGPRsForWavesPerEU: 1
; AccumOffset: 4
; Occupancy: 8
; WaveLimiterHint : 0
; COMPUTE_PGM_RSRC2:SCRATCH_EN: 0
; COMPUTE_PGM_RSRC2:USER_SGPR: 2
; COMPUTE_PGM_RSRC2:TRAP_HANDLER: 0
; COMPUTE_PGM_RSRC2:TGID_X_EN: 1
; COMPUTE_PGM_RSRC2:TGID_Y_EN: 0
; COMPUTE_PGM_RSRC2:TGID_Z_EN: 0
; COMPUTE_PGM_RSRC2:TIDIG_COMP_CNT: 0
; COMPUTE_PGM_RSRC3_GFX90A:ACCUM_OFFSET: 0
; COMPUTE_PGM_RSRC3_GFX90A:TG_SPLIT: 0
	.section	.text._ZN7rocprim17ROCPRIM_400000_NS6detail17trampoline_kernelINS0_14default_configENS1_25partition_config_selectorILNS1_17partition_subalgoE9EllbEEZZNS1_14partition_implILS5_9ELb0ES3_jPlS8_PNS0_10empty_typeENS0_5tupleIJS8_S9_EEENSB_IJS8_SA_EEENS0_18inequality_wrapperIZN2at6native12_GLOBAL__N_124unique_dim_cuda_templateIdEESt5tupleIJNSF_6TensorESK_SK_EERKSK_lbbbEUlllE0_EEPmJS9_EEE10hipError_tPvRmT3_T4_T5_T6_T7_T9_mT8_P12ihipStream_tbDpT10_ENKUlT_T0_E_clISt17integral_constantIbLb1EES19_IbLb0EEEEDaS15_S16_EUlS15_E_NS1_11comp_targetILNS1_3genE5ELNS1_11target_archE942ELNS1_3gpuE9ELNS1_3repE0EEENS1_30default_config_static_selectorELNS0_4arch9wavefront6targetE1EEEvT1_,"axG",@progbits,_ZN7rocprim17ROCPRIM_400000_NS6detail17trampoline_kernelINS0_14default_configENS1_25partition_config_selectorILNS1_17partition_subalgoE9EllbEEZZNS1_14partition_implILS5_9ELb0ES3_jPlS8_PNS0_10empty_typeENS0_5tupleIJS8_S9_EEENSB_IJS8_SA_EEENS0_18inequality_wrapperIZN2at6native12_GLOBAL__N_124unique_dim_cuda_templateIdEESt5tupleIJNSF_6TensorESK_SK_EERKSK_lbbbEUlllE0_EEPmJS9_EEE10hipError_tPvRmT3_T4_T5_T6_T7_T9_mT8_P12ihipStream_tbDpT10_ENKUlT_T0_E_clISt17integral_constantIbLb1EES19_IbLb0EEEEDaS15_S16_EUlS15_E_NS1_11comp_targetILNS1_3genE5ELNS1_11target_archE942ELNS1_3gpuE9ELNS1_3repE0EEENS1_30default_config_static_selectorELNS0_4arch9wavefront6targetE1EEEvT1_,comdat
	.globl	_ZN7rocprim17ROCPRIM_400000_NS6detail17trampoline_kernelINS0_14default_configENS1_25partition_config_selectorILNS1_17partition_subalgoE9EllbEEZZNS1_14partition_implILS5_9ELb0ES3_jPlS8_PNS0_10empty_typeENS0_5tupleIJS8_S9_EEENSB_IJS8_SA_EEENS0_18inequality_wrapperIZN2at6native12_GLOBAL__N_124unique_dim_cuda_templateIdEESt5tupleIJNSF_6TensorESK_SK_EERKSK_lbbbEUlllE0_EEPmJS9_EEE10hipError_tPvRmT3_T4_T5_T6_T7_T9_mT8_P12ihipStream_tbDpT10_ENKUlT_T0_E_clISt17integral_constantIbLb1EES19_IbLb0EEEEDaS15_S16_EUlS15_E_NS1_11comp_targetILNS1_3genE5ELNS1_11target_archE942ELNS1_3gpuE9ELNS1_3repE0EEENS1_30default_config_static_selectorELNS0_4arch9wavefront6targetE1EEEvT1_ ; -- Begin function _ZN7rocprim17ROCPRIM_400000_NS6detail17trampoline_kernelINS0_14default_configENS1_25partition_config_selectorILNS1_17partition_subalgoE9EllbEEZZNS1_14partition_implILS5_9ELb0ES3_jPlS8_PNS0_10empty_typeENS0_5tupleIJS8_S9_EEENSB_IJS8_SA_EEENS0_18inequality_wrapperIZN2at6native12_GLOBAL__N_124unique_dim_cuda_templateIdEESt5tupleIJNSF_6TensorESK_SK_EERKSK_lbbbEUlllE0_EEPmJS9_EEE10hipError_tPvRmT3_T4_T5_T6_T7_T9_mT8_P12ihipStream_tbDpT10_ENKUlT_T0_E_clISt17integral_constantIbLb1EES19_IbLb0EEEEDaS15_S16_EUlS15_E_NS1_11comp_targetILNS1_3genE5ELNS1_11target_archE942ELNS1_3gpuE9ELNS1_3repE0EEENS1_30default_config_static_selectorELNS0_4arch9wavefront6targetE1EEEvT1_
	.p2align	8
	.type	_ZN7rocprim17ROCPRIM_400000_NS6detail17trampoline_kernelINS0_14default_configENS1_25partition_config_selectorILNS1_17partition_subalgoE9EllbEEZZNS1_14partition_implILS5_9ELb0ES3_jPlS8_PNS0_10empty_typeENS0_5tupleIJS8_S9_EEENSB_IJS8_SA_EEENS0_18inequality_wrapperIZN2at6native12_GLOBAL__N_124unique_dim_cuda_templateIdEESt5tupleIJNSF_6TensorESK_SK_EERKSK_lbbbEUlllE0_EEPmJS9_EEE10hipError_tPvRmT3_T4_T5_T6_T7_T9_mT8_P12ihipStream_tbDpT10_ENKUlT_T0_E_clISt17integral_constantIbLb1EES19_IbLb0EEEEDaS15_S16_EUlS15_E_NS1_11comp_targetILNS1_3genE5ELNS1_11target_archE942ELNS1_3gpuE9ELNS1_3repE0EEENS1_30default_config_static_selectorELNS0_4arch9wavefront6targetE1EEEvT1_,@function
_ZN7rocprim17ROCPRIM_400000_NS6detail17trampoline_kernelINS0_14default_configENS1_25partition_config_selectorILNS1_17partition_subalgoE9EllbEEZZNS1_14partition_implILS5_9ELb0ES3_jPlS8_PNS0_10empty_typeENS0_5tupleIJS8_S9_EEENSB_IJS8_SA_EEENS0_18inequality_wrapperIZN2at6native12_GLOBAL__N_124unique_dim_cuda_templateIdEESt5tupleIJNSF_6TensorESK_SK_EERKSK_lbbbEUlllE0_EEPmJS9_EEE10hipError_tPvRmT3_T4_T5_T6_T7_T9_mT8_P12ihipStream_tbDpT10_ENKUlT_T0_E_clISt17integral_constantIbLb1EES19_IbLb0EEEEDaS15_S16_EUlS15_E_NS1_11comp_targetILNS1_3genE5ELNS1_11target_archE942ELNS1_3gpuE9ELNS1_3repE0EEENS1_30default_config_static_selectorELNS0_4arch9wavefront6targetE1EEEvT1_: ; @_ZN7rocprim17ROCPRIM_400000_NS6detail17trampoline_kernelINS0_14default_configENS1_25partition_config_selectorILNS1_17partition_subalgoE9EllbEEZZNS1_14partition_implILS5_9ELb0ES3_jPlS8_PNS0_10empty_typeENS0_5tupleIJS8_S9_EEENSB_IJS8_SA_EEENS0_18inequality_wrapperIZN2at6native12_GLOBAL__N_124unique_dim_cuda_templateIdEESt5tupleIJNSF_6TensorESK_SK_EERKSK_lbbbEUlllE0_EEPmJS9_EEE10hipError_tPvRmT3_T4_T5_T6_T7_T9_mT8_P12ihipStream_tbDpT10_ENKUlT_T0_E_clISt17integral_constantIbLb1EES19_IbLb0EEEEDaS15_S16_EUlS15_E_NS1_11comp_targetILNS1_3genE5ELNS1_11target_archE942ELNS1_3gpuE9ELNS1_3repE0EEENS1_30default_config_static_selectorELNS0_4arch9wavefront6targetE1EEEvT1_
; %bb.0:
	.section	.rodata,"a",@progbits
	.p2align	6, 0x0
	.amdhsa_kernel _ZN7rocprim17ROCPRIM_400000_NS6detail17trampoline_kernelINS0_14default_configENS1_25partition_config_selectorILNS1_17partition_subalgoE9EllbEEZZNS1_14partition_implILS5_9ELb0ES3_jPlS8_PNS0_10empty_typeENS0_5tupleIJS8_S9_EEENSB_IJS8_SA_EEENS0_18inequality_wrapperIZN2at6native12_GLOBAL__N_124unique_dim_cuda_templateIdEESt5tupleIJNSF_6TensorESK_SK_EERKSK_lbbbEUlllE0_EEPmJS9_EEE10hipError_tPvRmT3_T4_T5_T6_T7_T9_mT8_P12ihipStream_tbDpT10_ENKUlT_T0_E_clISt17integral_constantIbLb1EES19_IbLb0EEEEDaS15_S16_EUlS15_E_NS1_11comp_targetILNS1_3genE5ELNS1_11target_archE942ELNS1_3gpuE9ELNS1_3repE0EEENS1_30default_config_static_selectorELNS0_4arch9wavefront6targetE1EEEvT1_
		.amdhsa_group_segment_fixed_size 0
		.amdhsa_private_segment_fixed_size 0
		.amdhsa_kernarg_size 120
		.amdhsa_user_sgpr_count 2
		.amdhsa_user_sgpr_dispatch_ptr 0
		.amdhsa_user_sgpr_queue_ptr 0
		.amdhsa_user_sgpr_kernarg_segment_ptr 1
		.amdhsa_user_sgpr_dispatch_id 0
		.amdhsa_user_sgpr_kernarg_preload_length 0
		.amdhsa_user_sgpr_kernarg_preload_offset 0
		.amdhsa_user_sgpr_private_segment_size 0
		.amdhsa_uses_dynamic_stack 0
		.amdhsa_enable_private_segment 0
		.amdhsa_system_sgpr_workgroup_id_x 1
		.amdhsa_system_sgpr_workgroup_id_y 0
		.amdhsa_system_sgpr_workgroup_id_z 0
		.amdhsa_system_sgpr_workgroup_info 0
		.amdhsa_system_vgpr_workitem_id 0
		.amdhsa_next_free_vgpr 1
		.amdhsa_next_free_sgpr 0
		.amdhsa_accum_offset 4
		.amdhsa_reserve_vcc 0
		.amdhsa_float_round_mode_32 0
		.amdhsa_float_round_mode_16_64 0
		.amdhsa_float_denorm_mode_32 3
		.amdhsa_float_denorm_mode_16_64 3
		.amdhsa_dx10_clamp 1
		.amdhsa_ieee_mode 1
		.amdhsa_fp16_overflow 0
		.amdhsa_tg_split 0
		.amdhsa_exception_fp_ieee_invalid_op 0
		.amdhsa_exception_fp_denorm_src 0
		.amdhsa_exception_fp_ieee_div_zero 0
		.amdhsa_exception_fp_ieee_overflow 0
		.amdhsa_exception_fp_ieee_underflow 0
		.amdhsa_exception_fp_ieee_inexact 0
		.amdhsa_exception_int_div_zero 0
	.end_amdhsa_kernel
	.section	.text._ZN7rocprim17ROCPRIM_400000_NS6detail17trampoline_kernelINS0_14default_configENS1_25partition_config_selectorILNS1_17partition_subalgoE9EllbEEZZNS1_14partition_implILS5_9ELb0ES3_jPlS8_PNS0_10empty_typeENS0_5tupleIJS8_S9_EEENSB_IJS8_SA_EEENS0_18inequality_wrapperIZN2at6native12_GLOBAL__N_124unique_dim_cuda_templateIdEESt5tupleIJNSF_6TensorESK_SK_EERKSK_lbbbEUlllE0_EEPmJS9_EEE10hipError_tPvRmT3_T4_T5_T6_T7_T9_mT8_P12ihipStream_tbDpT10_ENKUlT_T0_E_clISt17integral_constantIbLb1EES19_IbLb0EEEEDaS15_S16_EUlS15_E_NS1_11comp_targetILNS1_3genE5ELNS1_11target_archE942ELNS1_3gpuE9ELNS1_3repE0EEENS1_30default_config_static_selectorELNS0_4arch9wavefront6targetE1EEEvT1_,"axG",@progbits,_ZN7rocprim17ROCPRIM_400000_NS6detail17trampoline_kernelINS0_14default_configENS1_25partition_config_selectorILNS1_17partition_subalgoE9EllbEEZZNS1_14partition_implILS5_9ELb0ES3_jPlS8_PNS0_10empty_typeENS0_5tupleIJS8_S9_EEENSB_IJS8_SA_EEENS0_18inequality_wrapperIZN2at6native12_GLOBAL__N_124unique_dim_cuda_templateIdEESt5tupleIJNSF_6TensorESK_SK_EERKSK_lbbbEUlllE0_EEPmJS9_EEE10hipError_tPvRmT3_T4_T5_T6_T7_T9_mT8_P12ihipStream_tbDpT10_ENKUlT_T0_E_clISt17integral_constantIbLb1EES19_IbLb0EEEEDaS15_S16_EUlS15_E_NS1_11comp_targetILNS1_3genE5ELNS1_11target_archE942ELNS1_3gpuE9ELNS1_3repE0EEENS1_30default_config_static_selectorELNS0_4arch9wavefront6targetE1EEEvT1_,comdat
.Lfunc_end856:
	.size	_ZN7rocprim17ROCPRIM_400000_NS6detail17trampoline_kernelINS0_14default_configENS1_25partition_config_selectorILNS1_17partition_subalgoE9EllbEEZZNS1_14partition_implILS5_9ELb0ES3_jPlS8_PNS0_10empty_typeENS0_5tupleIJS8_S9_EEENSB_IJS8_SA_EEENS0_18inequality_wrapperIZN2at6native12_GLOBAL__N_124unique_dim_cuda_templateIdEESt5tupleIJNSF_6TensorESK_SK_EERKSK_lbbbEUlllE0_EEPmJS9_EEE10hipError_tPvRmT3_T4_T5_T6_T7_T9_mT8_P12ihipStream_tbDpT10_ENKUlT_T0_E_clISt17integral_constantIbLb1EES19_IbLb0EEEEDaS15_S16_EUlS15_E_NS1_11comp_targetILNS1_3genE5ELNS1_11target_archE942ELNS1_3gpuE9ELNS1_3repE0EEENS1_30default_config_static_selectorELNS0_4arch9wavefront6targetE1EEEvT1_, .Lfunc_end856-_ZN7rocprim17ROCPRIM_400000_NS6detail17trampoline_kernelINS0_14default_configENS1_25partition_config_selectorILNS1_17partition_subalgoE9EllbEEZZNS1_14partition_implILS5_9ELb0ES3_jPlS8_PNS0_10empty_typeENS0_5tupleIJS8_S9_EEENSB_IJS8_SA_EEENS0_18inequality_wrapperIZN2at6native12_GLOBAL__N_124unique_dim_cuda_templateIdEESt5tupleIJNSF_6TensorESK_SK_EERKSK_lbbbEUlllE0_EEPmJS9_EEE10hipError_tPvRmT3_T4_T5_T6_T7_T9_mT8_P12ihipStream_tbDpT10_ENKUlT_T0_E_clISt17integral_constantIbLb1EES19_IbLb0EEEEDaS15_S16_EUlS15_E_NS1_11comp_targetILNS1_3genE5ELNS1_11target_archE942ELNS1_3gpuE9ELNS1_3repE0EEENS1_30default_config_static_selectorELNS0_4arch9wavefront6targetE1EEEvT1_
                                        ; -- End function
	.set _ZN7rocprim17ROCPRIM_400000_NS6detail17trampoline_kernelINS0_14default_configENS1_25partition_config_selectorILNS1_17partition_subalgoE9EllbEEZZNS1_14partition_implILS5_9ELb0ES3_jPlS8_PNS0_10empty_typeENS0_5tupleIJS8_S9_EEENSB_IJS8_SA_EEENS0_18inequality_wrapperIZN2at6native12_GLOBAL__N_124unique_dim_cuda_templateIdEESt5tupleIJNSF_6TensorESK_SK_EERKSK_lbbbEUlllE0_EEPmJS9_EEE10hipError_tPvRmT3_T4_T5_T6_T7_T9_mT8_P12ihipStream_tbDpT10_ENKUlT_T0_E_clISt17integral_constantIbLb1EES19_IbLb0EEEEDaS15_S16_EUlS15_E_NS1_11comp_targetILNS1_3genE5ELNS1_11target_archE942ELNS1_3gpuE9ELNS1_3repE0EEENS1_30default_config_static_selectorELNS0_4arch9wavefront6targetE1EEEvT1_.num_vgpr, 0
	.set _ZN7rocprim17ROCPRIM_400000_NS6detail17trampoline_kernelINS0_14default_configENS1_25partition_config_selectorILNS1_17partition_subalgoE9EllbEEZZNS1_14partition_implILS5_9ELb0ES3_jPlS8_PNS0_10empty_typeENS0_5tupleIJS8_S9_EEENSB_IJS8_SA_EEENS0_18inequality_wrapperIZN2at6native12_GLOBAL__N_124unique_dim_cuda_templateIdEESt5tupleIJNSF_6TensorESK_SK_EERKSK_lbbbEUlllE0_EEPmJS9_EEE10hipError_tPvRmT3_T4_T5_T6_T7_T9_mT8_P12ihipStream_tbDpT10_ENKUlT_T0_E_clISt17integral_constantIbLb1EES19_IbLb0EEEEDaS15_S16_EUlS15_E_NS1_11comp_targetILNS1_3genE5ELNS1_11target_archE942ELNS1_3gpuE9ELNS1_3repE0EEENS1_30default_config_static_selectorELNS0_4arch9wavefront6targetE1EEEvT1_.num_agpr, 0
	.set _ZN7rocprim17ROCPRIM_400000_NS6detail17trampoline_kernelINS0_14default_configENS1_25partition_config_selectorILNS1_17partition_subalgoE9EllbEEZZNS1_14partition_implILS5_9ELb0ES3_jPlS8_PNS0_10empty_typeENS0_5tupleIJS8_S9_EEENSB_IJS8_SA_EEENS0_18inequality_wrapperIZN2at6native12_GLOBAL__N_124unique_dim_cuda_templateIdEESt5tupleIJNSF_6TensorESK_SK_EERKSK_lbbbEUlllE0_EEPmJS9_EEE10hipError_tPvRmT3_T4_T5_T6_T7_T9_mT8_P12ihipStream_tbDpT10_ENKUlT_T0_E_clISt17integral_constantIbLb1EES19_IbLb0EEEEDaS15_S16_EUlS15_E_NS1_11comp_targetILNS1_3genE5ELNS1_11target_archE942ELNS1_3gpuE9ELNS1_3repE0EEENS1_30default_config_static_selectorELNS0_4arch9wavefront6targetE1EEEvT1_.numbered_sgpr, 0
	.set _ZN7rocprim17ROCPRIM_400000_NS6detail17trampoline_kernelINS0_14default_configENS1_25partition_config_selectorILNS1_17partition_subalgoE9EllbEEZZNS1_14partition_implILS5_9ELb0ES3_jPlS8_PNS0_10empty_typeENS0_5tupleIJS8_S9_EEENSB_IJS8_SA_EEENS0_18inequality_wrapperIZN2at6native12_GLOBAL__N_124unique_dim_cuda_templateIdEESt5tupleIJNSF_6TensorESK_SK_EERKSK_lbbbEUlllE0_EEPmJS9_EEE10hipError_tPvRmT3_T4_T5_T6_T7_T9_mT8_P12ihipStream_tbDpT10_ENKUlT_T0_E_clISt17integral_constantIbLb1EES19_IbLb0EEEEDaS15_S16_EUlS15_E_NS1_11comp_targetILNS1_3genE5ELNS1_11target_archE942ELNS1_3gpuE9ELNS1_3repE0EEENS1_30default_config_static_selectorELNS0_4arch9wavefront6targetE1EEEvT1_.num_named_barrier, 0
	.set _ZN7rocprim17ROCPRIM_400000_NS6detail17trampoline_kernelINS0_14default_configENS1_25partition_config_selectorILNS1_17partition_subalgoE9EllbEEZZNS1_14partition_implILS5_9ELb0ES3_jPlS8_PNS0_10empty_typeENS0_5tupleIJS8_S9_EEENSB_IJS8_SA_EEENS0_18inequality_wrapperIZN2at6native12_GLOBAL__N_124unique_dim_cuda_templateIdEESt5tupleIJNSF_6TensorESK_SK_EERKSK_lbbbEUlllE0_EEPmJS9_EEE10hipError_tPvRmT3_T4_T5_T6_T7_T9_mT8_P12ihipStream_tbDpT10_ENKUlT_T0_E_clISt17integral_constantIbLb1EES19_IbLb0EEEEDaS15_S16_EUlS15_E_NS1_11comp_targetILNS1_3genE5ELNS1_11target_archE942ELNS1_3gpuE9ELNS1_3repE0EEENS1_30default_config_static_selectorELNS0_4arch9wavefront6targetE1EEEvT1_.private_seg_size, 0
	.set _ZN7rocprim17ROCPRIM_400000_NS6detail17trampoline_kernelINS0_14default_configENS1_25partition_config_selectorILNS1_17partition_subalgoE9EllbEEZZNS1_14partition_implILS5_9ELb0ES3_jPlS8_PNS0_10empty_typeENS0_5tupleIJS8_S9_EEENSB_IJS8_SA_EEENS0_18inequality_wrapperIZN2at6native12_GLOBAL__N_124unique_dim_cuda_templateIdEESt5tupleIJNSF_6TensorESK_SK_EERKSK_lbbbEUlllE0_EEPmJS9_EEE10hipError_tPvRmT3_T4_T5_T6_T7_T9_mT8_P12ihipStream_tbDpT10_ENKUlT_T0_E_clISt17integral_constantIbLb1EES19_IbLb0EEEEDaS15_S16_EUlS15_E_NS1_11comp_targetILNS1_3genE5ELNS1_11target_archE942ELNS1_3gpuE9ELNS1_3repE0EEENS1_30default_config_static_selectorELNS0_4arch9wavefront6targetE1EEEvT1_.uses_vcc, 0
	.set _ZN7rocprim17ROCPRIM_400000_NS6detail17trampoline_kernelINS0_14default_configENS1_25partition_config_selectorILNS1_17partition_subalgoE9EllbEEZZNS1_14partition_implILS5_9ELb0ES3_jPlS8_PNS0_10empty_typeENS0_5tupleIJS8_S9_EEENSB_IJS8_SA_EEENS0_18inequality_wrapperIZN2at6native12_GLOBAL__N_124unique_dim_cuda_templateIdEESt5tupleIJNSF_6TensorESK_SK_EERKSK_lbbbEUlllE0_EEPmJS9_EEE10hipError_tPvRmT3_T4_T5_T6_T7_T9_mT8_P12ihipStream_tbDpT10_ENKUlT_T0_E_clISt17integral_constantIbLb1EES19_IbLb0EEEEDaS15_S16_EUlS15_E_NS1_11comp_targetILNS1_3genE5ELNS1_11target_archE942ELNS1_3gpuE9ELNS1_3repE0EEENS1_30default_config_static_selectorELNS0_4arch9wavefront6targetE1EEEvT1_.uses_flat_scratch, 0
	.set _ZN7rocprim17ROCPRIM_400000_NS6detail17trampoline_kernelINS0_14default_configENS1_25partition_config_selectorILNS1_17partition_subalgoE9EllbEEZZNS1_14partition_implILS5_9ELb0ES3_jPlS8_PNS0_10empty_typeENS0_5tupleIJS8_S9_EEENSB_IJS8_SA_EEENS0_18inequality_wrapperIZN2at6native12_GLOBAL__N_124unique_dim_cuda_templateIdEESt5tupleIJNSF_6TensorESK_SK_EERKSK_lbbbEUlllE0_EEPmJS9_EEE10hipError_tPvRmT3_T4_T5_T6_T7_T9_mT8_P12ihipStream_tbDpT10_ENKUlT_T0_E_clISt17integral_constantIbLb1EES19_IbLb0EEEEDaS15_S16_EUlS15_E_NS1_11comp_targetILNS1_3genE5ELNS1_11target_archE942ELNS1_3gpuE9ELNS1_3repE0EEENS1_30default_config_static_selectorELNS0_4arch9wavefront6targetE1EEEvT1_.has_dyn_sized_stack, 0
	.set _ZN7rocprim17ROCPRIM_400000_NS6detail17trampoline_kernelINS0_14default_configENS1_25partition_config_selectorILNS1_17partition_subalgoE9EllbEEZZNS1_14partition_implILS5_9ELb0ES3_jPlS8_PNS0_10empty_typeENS0_5tupleIJS8_S9_EEENSB_IJS8_SA_EEENS0_18inequality_wrapperIZN2at6native12_GLOBAL__N_124unique_dim_cuda_templateIdEESt5tupleIJNSF_6TensorESK_SK_EERKSK_lbbbEUlllE0_EEPmJS9_EEE10hipError_tPvRmT3_T4_T5_T6_T7_T9_mT8_P12ihipStream_tbDpT10_ENKUlT_T0_E_clISt17integral_constantIbLb1EES19_IbLb0EEEEDaS15_S16_EUlS15_E_NS1_11comp_targetILNS1_3genE5ELNS1_11target_archE942ELNS1_3gpuE9ELNS1_3repE0EEENS1_30default_config_static_selectorELNS0_4arch9wavefront6targetE1EEEvT1_.has_recursion, 0
	.set _ZN7rocprim17ROCPRIM_400000_NS6detail17trampoline_kernelINS0_14default_configENS1_25partition_config_selectorILNS1_17partition_subalgoE9EllbEEZZNS1_14partition_implILS5_9ELb0ES3_jPlS8_PNS0_10empty_typeENS0_5tupleIJS8_S9_EEENSB_IJS8_SA_EEENS0_18inequality_wrapperIZN2at6native12_GLOBAL__N_124unique_dim_cuda_templateIdEESt5tupleIJNSF_6TensorESK_SK_EERKSK_lbbbEUlllE0_EEPmJS9_EEE10hipError_tPvRmT3_T4_T5_T6_T7_T9_mT8_P12ihipStream_tbDpT10_ENKUlT_T0_E_clISt17integral_constantIbLb1EES19_IbLb0EEEEDaS15_S16_EUlS15_E_NS1_11comp_targetILNS1_3genE5ELNS1_11target_archE942ELNS1_3gpuE9ELNS1_3repE0EEENS1_30default_config_static_selectorELNS0_4arch9wavefront6targetE1EEEvT1_.has_indirect_call, 0
	.section	.AMDGPU.csdata,"",@progbits
; Kernel info:
; codeLenInByte = 0
; TotalNumSgprs: 6
; NumVgprs: 0
; NumAgprs: 0
; TotalNumVgprs: 0
; ScratchSize: 0
; MemoryBound: 0
; FloatMode: 240
; IeeeMode: 1
; LDSByteSize: 0 bytes/workgroup (compile time only)
; SGPRBlocks: 0
; VGPRBlocks: 0
; NumSGPRsForWavesPerEU: 6
; NumVGPRsForWavesPerEU: 1
; AccumOffset: 4
; Occupancy: 8
; WaveLimiterHint : 0
; COMPUTE_PGM_RSRC2:SCRATCH_EN: 0
; COMPUTE_PGM_RSRC2:USER_SGPR: 2
; COMPUTE_PGM_RSRC2:TRAP_HANDLER: 0
; COMPUTE_PGM_RSRC2:TGID_X_EN: 1
; COMPUTE_PGM_RSRC2:TGID_Y_EN: 0
; COMPUTE_PGM_RSRC2:TGID_Z_EN: 0
; COMPUTE_PGM_RSRC2:TIDIG_COMP_CNT: 0
; COMPUTE_PGM_RSRC3_GFX90A:ACCUM_OFFSET: 0
; COMPUTE_PGM_RSRC3_GFX90A:TG_SPLIT: 0
	.section	.text._ZN7rocprim17ROCPRIM_400000_NS6detail17trampoline_kernelINS0_14default_configENS1_25partition_config_selectorILNS1_17partition_subalgoE9EllbEEZZNS1_14partition_implILS5_9ELb0ES3_jPlS8_PNS0_10empty_typeENS0_5tupleIJS8_S9_EEENSB_IJS8_SA_EEENS0_18inequality_wrapperIZN2at6native12_GLOBAL__N_124unique_dim_cuda_templateIdEESt5tupleIJNSF_6TensorESK_SK_EERKSK_lbbbEUlllE0_EEPmJS9_EEE10hipError_tPvRmT3_T4_T5_T6_T7_T9_mT8_P12ihipStream_tbDpT10_ENKUlT_T0_E_clISt17integral_constantIbLb1EES19_IbLb0EEEEDaS15_S16_EUlS15_E_NS1_11comp_targetILNS1_3genE4ELNS1_11target_archE910ELNS1_3gpuE8ELNS1_3repE0EEENS1_30default_config_static_selectorELNS0_4arch9wavefront6targetE1EEEvT1_,"axG",@progbits,_ZN7rocprim17ROCPRIM_400000_NS6detail17trampoline_kernelINS0_14default_configENS1_25partition_config_selectorILNS1_17partition_subalgoE9EllbEEZZNS1_14partition_implILS5_9ELb0ES3_jPlS8_PNS0_10empty_typeENS0_5tupleIJS8_S9_EEENSB_IJS8_SA_EEENS0_18inequality_wrapperIZN2at6native12_GLOBAL__N_124unique_dim_cuda_templateIdEESt5tupleIJNSF_6TensorESK_SK_EERKSK_lbbbEUlllE0_EEPmJS9_EEE10hipError_tPvRmT3_T4_T5_T6_T7_T9_mT8_P12ihipStream_tbDpT10_ENKUlT_T0_E_clISt17integral_constantIbLb1EES19_IbLb0EEEEDaS15_S16_EUlS15_E_NS1_11comp_targetILNS1_3genE4ELNS1_11target_archE910ELNS1_3gpuE8ELNS1_3repE0EEENS1_30default_config_static_selectorELNS0_4arch9wavefront6targetE1EEEvT1_,comdat
	.globl	_ZN7rocprim17ROCPRIM_400000_NS6detail17trampoline_kernelINS0_14default_configENS1_25partition_config_selectorILNS1_17partition_subalgoE9EllbEEZZNS1_14partition_implILS5_9ELb0ES3_jPlS8_PNS0_10empty_typeENS0_5tupleIJS8_S9_EEENSB_IJS8_SA_EEENS0_18inequality_wrapperIZN2at6native12_GLOBAL__N_124unique_dim_cuda_templateIdEESt5tupleIJNSF_6TensorESK_SK_EERKSK_lbbbEUlllE0_EEPmJS9_EEE10hipError_tPvRmT3_T4_T5_T6_T7_T9_mT8_P12ihipStream_tbDpT10_ENKUlT_T0_E_clISt17integral_constantIbLb1EES19_IbLb0EEEEDaS15_S16_EUlS15_E_NS1_11comp_targetILNS1_3genE4ELNS1_11target_archE910ELNS1_3gpuE8ELNS1_3repE0EEENS1_30default_config_static_selectorELNS0_4arch9wavefront6targetE1EEEvT1_ ; -- Begin function _ZN7rocprim17ROCPRIM_400000_NS6detail17trampoline_kernelINS0_14default_configENS1_25partition_config_selectorILNS1_17partition_subalgoE9EllbEEZZNS1_14partition_implILS5_9ELb0ES3_jPlS8_PNS0_10empty_typeENS0_5tupleIJS8_S9_EEENSB_IJS8_SA_EEENS0_18inequality_wrapperIZN2at6native12_GLOBAL__N_124unique_dim_cuda_templateIdEESt5tupleIJNSF_6TensorESK_SK_EERKSK_lbbbEUlllE0_EEPmJS9_EEE10hipError_tPvRmT3_T4_T5_T6_T7_T9_mT8_P12ihipStream_tbDpT10_ENKUlT_T0_E_clISt17integral_constantIbLb1EES19_IbLb0EEEEDaS15_S16_EUlS15_E_NS1_11comp_targetILNS1_3genE4ELNS1_11target_archE910ELNS1_3gpuE8ELNS1_3repE0EEENS1_30default_config_static_selectorELNS0_4arch9wavefront6targetE1EEEvT1_
	.p2align	8
	.type	_ZN7rocprim17ROCPRIM_400000_NS6detail17trampoline_kernelINS0_14default_configENS1_25partition_config_selectorILNS1_17partition_subalgoE9EllbEEZZNS1_14partition_implILS5_9ELb0ES3_jPlS8_PNS0_10empty_typeENS0_5tupleIJS8_S9_EEENSB_IJS8_SA_EEENS0_18inequality_wrapperIZN2at6native12_GLOBAL__N_124unique_dim_cuda_templateIdEESt5tupleIJNSF_6TensorESK_SK_EERKSK_lbbbEUlllE0_EEPmJS9_EEE10hipError_tPvRmT3_T4_T5_T6_T7_T9_mT8_P12ihipStream_tbDpT10_ENKUlT_T0_E_clISt17integral_constantIbLb1EES19_IbLb0EEEEDaS15_S16_EUlS15_E_NS1_11comp_targetILNS1_3genE4ELNS1_11target_archE910ELNS1_3gpuE8ELNS1_3repE0EEENS1_30default_config_static_selectorELNS0_4arch9wavefront6targetE1EEEvT1_,@function
_ZN7rocprim17ROCPRIM_400000_NS6detail17trampoline_kernelINS0_14default_configENS1_25partition_config_selectorILNS1_17partition_subalgoE9EllbEEZZNS1_14partition_implILS5_9ELb0ES3_jPlS8_PNS0_10empty_typeENS0_5tupleIJS8_S9_EEENSB_IJS8_SA_EEENS0_18inequality_wrapperIZN2at6native12_GLOBAL__N_124unique_dim_cuda_templateIdEESt5tupleIJNSF_6TensorESK_SK_EERKSK_lbbbEUlllE0_EEPmJS9_EEE10hipError_tPvRmT3_T4_T5_T6_T7_T9_mT8_P12ihipStream_tbDpT10_ENKUlT_T0_E_clISt17integral_constantIbLb1EES19_IbLb0EEEEDaS15_S16_EUlS15_E_NS1_11comp_targetILNS1_3genE4ELNS1_11target_archE910ELNS1_3gpuE8ELNS1_3repE0EEENS1_30default_config_static_selectorELNS0_4arch9wavefront6targetE1EEEvT1_: ; @_ZN7rocprim17ROCPRIM_400000_NS6detail17trampoline_kernelINS0_14default_configENS1_25partition_config_selectorILNS1_17partition_subalgoE9EllbEEZZNS1_14partition_implILS5_9ELb0ES3_jPlS8_PNS0_10empty_typeENS0_5tupleIJS8_S9_EEENSB_IJS8_SA_EEENS0_18inequality_wrapperIZN2at6native12_GLOBAL__N_124unique_dim_cuda_templateIdEESt5tupleIJNSF_6TensorESK_SK_EERKSK_lbbbEUlllE0_EEPmJS9_EEE10hipError_tPvRmT3_T4_T5_T6_T7_T9_mT8_P12ihipStream_tbDpT10_ENKUlT_T0_E_clISt17integral_constantIbLb1EES19_IbLb0EEEEDaS15_S16_EUlS15_E_NS1_11comp_targetILNS1_3genE4ELNS1_11target_archE910ELNS1_3gpuE8ELNS1_3repE0EEENS1_30default_config_static_selectorELNS0_4arch9wavefront6targetE1EEEvT1_
; %bb.0:
	.section	.rodata,"a",@progbits
	.p2align	6, 0x0
	.amdhsa_kernel _ZN7rocprim17ROCPRIM_400000_NS6detail17trampoline_kernelINS0_14default_configENS1_25partition_config_selectorILNS1_17partition_subalgoE9EllbEEZZNS1_14partition_implILS5_9ELb0ES3_jPlS8_PNS0_10empty_typeENS0_5tupleIJS8_S9_EEENSB_IJS8_SA_EEENS0_18inequality_wrapperIZN2at6native12_GLOBAL__N_124unique_dim_cuda_templateIdEESt5tupleIJNSF_6TensorESK_SK_EERKSK_lbbbEUlllE0_EEPmJS9_EEE10hipError_tPvRmT3_T4_T5_T6_T7_T9_mT8_P12ihipStream_tbDpT10_ENKUlT_T0_E_clISt17integral_constantIbLb1EES19_IbLb0EEEEDaS15_S16_EUlS15_E_NS1_11comp_targetILNS1_3genE4ELNS1_11target_archE910ELNS1_3gpuE8ELNS1_3repE0EEENS1_30default_config_static_selectorELNS0_4arch9wavefront6targetE1EEEvT1_
		.amdhsa_group_segment_fixed_size 0
		.amdhsa_private_segment_fixed_size 0
		.amdhsa_kernarg_size 120
		.amdhsa_user_sgpr_count 2
		.amdhsa_user_sgpr_dispatch_ptr 0
		.amdhsa_user_sgpr_queue_ptr 0
		.amdhsa_user_sgpr_kernarg_segment_ptr 1
		.amdhsa_user_sgpr_dispatch_id 0
		.amdhsa_user_sgpr_kernarg_preload_length 0
		.amdhsa_user_sgpr_kernarg_preload_offset 0
		.amdhsa_user_sgpr_private_segment_size 0
		.amdhsa_uses_dynamic_stack 0
		.amdhsa_enable_private_segment 0
		.amdhsa_system_sgpr_workgroup_id_x 1
		.amdhsa_system_sgpr_workgroup_id_y 0
		.amdhsa_system_sgpr_workgroup_id_z 0
		.amdhsa_system_sgpr_workgroup_info 0
		.amdhsa_system_vgpr_workitem_id 0
		.amdhsa_next_free_vgpr 1
		.amdhsa_next_free_sgpr 0
		.amdhsa_accum_offset 4
		.amdhsa_reserve_vcc 0
		.amdhsa_float_round_mode_32 0
		.amdhsa_float_round_mode_16_64 0
		.amdhsa_float_denorm_mode_32 3
		.amdhsa_float_denorm_mode_16_64 3
		.amdhsa_dx10_clamp 1
		.amdhsa_ieee_mode 1
		.amdhsa_fp16_overflow 0
		.amdhsa_tg_split 0
		.amdhsa_exception_fp_ieee_invalid_op 0
		.amdhsa_exception_fp_denorm_src 0
		.amdhsa_exception_fp_ieee_div_zero 0
		.amdhsa_exception_fp_ieee_overflow 0
		.amdhsa_exception_fp_ieee_underflow 0
		.amdhsa_exception_fp_ieee_inexact 0
		.amdhsa_exception_int_div_zero 0
	.end_amdhsa_kernel
	.section	.text._ZN7rocprim17ROCPRIM_400000_NS6detail17trampoline_kernelINS0_14default_configENS1_25partition_config_selectorILNS1_17partition_subalgoE9EllbEEZZNS1_14partition_implILS5_9ELb0ES3_jPlS8_PNS0_10empty_typeENS0_5tupleIJS8_S9_EEENSB_IJS8_SA_EEENS0_18inequality_wrapperIZN2at6native12_GLOBAL__N_124unique_dim_cuda_templateIdEESt5tupleIJNSF_6TensorESK_SK_EERKSK_lbbbEUlllE0_EEPmJS9_EEE10hipError_tPvRmT3_T4_T5_T6_T7_T9_mT8_P12ihipStream_tbDpT10_ENKUlT_T0_E_clISt17integral_constantIbLb1EES19_IbLb0EEEEDaS15_S16_EUlS15_E_NS1_11comp_targetILNS1_3genE4ELNS1_11target_archE910ELNS1_3gpuE8ELNS1_3repE0EEENS1_30default_config_static_selectorELNS0_4arch9wavefront6targetE1EEEvT1_,"axG",@progbits,_ZN7rocprim17ROCPRIM_400000_NS6detail17trampoline_kernelINS0_14default_configENS1_25partition_config_selectorILNS1_17partition_subalgoE9EllbEEZZNS1_14partition_implILS5_9ELb0ES3_jPlS8_PNS0_10empty_typeENS0_5tupleIJS8_S9_EEENSB_IJS8_SA_EEENS0_18inequality_wrapperIZN2at6native12_GLOBAL__N_124unique_dim_cuda_templateIdEESt5tupleIJNSF_6TensorESK_SK_EERKSK_lbbbEUlllE0_EEPmJS9_EEE10hipError_tPvRmT3_T4_T5_T6_T7_T9_mT8_P12ihipStream_tbDpT10_ENKUlT_T0_E_clISt17integral_constantIbLb1EES19_IbLb0EEEEDaS15_S16_EUlS15_E_NS1_11comp_targetILNS1_3genE4ELNS1_11target_archE910ELNS1_3gpuE8ELNS1_3repE0EEENS1_30default_config_static_selectorELNS0_4arch9wavefront6targetE1EEEvT1_,comdat
.Lfunc_end857:
	.size	_ZN7rocprim17ROCPRIM_400000_NS6detail17trampoline_kernelINS0_14default_configENS1_25partition_config_selectorILNS1_17partition_subalgoE9EllbEEZZNS1_14partition_implILS5_9ELb0ES3_jPlS8_PNS0_10empty_typeENS0_5tupleIJS8_S9_EEENSB_IJS8_SA_EEENS0_18inequality_wrapperIZN2at6native12_GLOBAL__N_124unique_dim_cuda_templateIdEESt5tupleIJNSF_6TensorESK_SK_EERKSK_lbbbEUlllE0_EEPmJS9_EEE10hipError_tPvRmT3_T4_T5_T6_T7_T9_mT8_P12ihipStream_tbDpT10_ENKUlT_T0_E_clISt17integral_constantIbLb1EES19_IbLb0EEEEDaS15_S16_EUlS15_E_NS1_11comp_targetILNS1_3genE4ELNS1_11target_archE910ELNS1_3gpuE8ELNS1_3repE0EEENS1_30default_config_static_selectorELNS0_4arch9wavefront6targetE1EEEvT1_, .Lfunc_end857-_ZN7rocprim17ROCPRIM_400000_NS6detail17trampoline_kernelINS0_14default_configENS1_25partition_config_selectorILNS1_17partition_subalgoE9EllbEEZZNS1_14partition_implILS5_9ELb0ES3_jPlS8_PNS0_10empty_typeENS0_5tupleIJS8_S9_EEENSB_IJS8_SA_EEENS0_18inequality_wrapperIZN2at6native12_GLOBAL__N_124unique_dim_cuda_templateIdEESt5tupleIJNSF_6TensorESK_SK_EERKSK_lbbbEUlllE0_EEPmJS9_EEE10hipError_tPvRmT3_T4_T5_T6_T7_T9_mT8_P12ihipStream_tbDpT10_ENKUlT_T0_E_clISt17integral_constantIbLb1EES19_IbLb0EEEEDaS15_S16_EUlS15_E_NS1_11comp_targetILNS1_3genE4ELNS1_11target_archE910ELNS1_3gpuE8ELNS1_3repE0EEENS1_30default_config_static_selectorELNS0_4arch9wavefront6targetE1EEEvT1_
                                        ; -- End function
	.set _ZN7rocprim17ROCPRIM_400000_NS6detail17trampoline_kernelINS0_14default_configENS1_25partition_config_selectorILNS1_17partition_subalgoE9EllbEEZZNS1_14partition_implILS5_9ELb0ES3_jPlS8_PNS0_10empty_typeENS0_5tupleIJS8_S9_EEENSB_IJS8_SA_EEENS0_18inequality_wrapperIZN2at6native12_GLOBAL__N_124unique_dim_cuda_templateIdEESt5tupleIJNSF_6TensorESK_SK_EERKSK_lbbbEUlllE0_EEPmJS9_EEE10hipError_tPvRmT3_T4_T5_T6_T7_T9_mT8_P12ihipStream_tbDpT10_ENKUlT_T0_E_clISt17integral_constantIbLb1EES19_IbLb0EEEEDaS15_S16_EUlS15_E_NS1_11comp_targetILNS1_3genE4ELNS1_11target_archE910ELNS1_3gpuE8ELNS1_3repE0EEENS1_30default_config_static_selectorELNS0_4arch9wavefront6targetE1EEEvT1_.num_vgpr, 0
	.set _ZN7rocprim17ROCPRIM_400000_NS6detail17trampoline_kernelINS0_14default_configENS1_25partition_config_selectorILNS1_17partition_subalgoE9EllbEEZZNS1_14partition_implILS5_9ELb0ES3_jPlS8_PNS0_10empty_typeENS0_5tupleIJS8_S9_EEENSB_IJS8_SA_EEENS0_18inequality_wrapperIZN2at6native12_GLOBAL__N_124unique_dim_cuda_templateIdEESt5tupleIJNSF_6TensorESK_SK_EERKSK_lbbbEUlllE0_EEPmJS9_EEE10hipError_tPvRmT3_T4_T5_T6_T7_T9_mT8_P12ihipStream_tbDpT10_ENKUlT_T0_E_clISt17integral_constantIbLb1EES19_IbLb0EEEEDaS15_S16_EUlS15_E_NS1_11comp_targetILNS1_3genE4ELNS1_11target_archE910ELNS1_3gpuE8ELNS1_3repE0EEENS1_30default_config_static_selectorELNS0_4arch9wavefront6targetE1EEEvT1_.num_agpr, 0
	.set _ZN7rocprim17ROCPRIM_400000_NS6detail17trampoline_kernelINS0_14default_configENS1_25partition_config_selectorILNS1_17partition_subalgoE9EllbEEZZNS1_14partition_implILS5_9ELb0ES3_jPlS8_PNS0_10empty_typeENS0_5tupleIJS8_S9_EEENSB_IJS8_SA_EEENS0_18inequality_wrapperIZN2at6native12_GLOBAL__N_124unique_dim_cuda_templateIdEESt5tupleIJNSF_6TensorESK_SK_EERKSK_lbbbEUlllE0_EEPmJS9_EEE10hipError_tPvRmT3_T4_T5_T6_T7_T9_mT8_P12ihipStream_tbDpT10_ENKUlT_T0_E_clISt17integral_constantIbLb1EES19_IbLb0EEEEDaS15_S16_EUlS15_E_NS1_11comp_targetILNS1_3genE4ELNS1_11target_archE910ELNS1_3gpuE8ELNS1_3repE0EEENS1_30default_config_static_selectorELNS0_4arch9wavefront6targetE1EEEvT1_.numbered_sgpr, 0
	.set _ZN7rocprim17ROCPRIM_400000_NS6detail17trampoline_kernelINS0_14default_configENS1_25partition_config_selectorILNS1_17partition_subalgoE9EllbEEZZNS1_14partition_implILS5_9ELb0ES3_jPlS8_PNS0_10empty_typeENS0_5tupleIJS8_S9_EEENSB_IJS8_SA_EEENS0_18inequality_wrapperIZN2at6native12_GLOBAL__N_124unique_dim_cuda_templateIdEESt5tupleIJNSF_6TensorESK_SK_EERKSK_lbbbEUlllE0_EEPmJS9_EEE10hipError_tPvRmT3_T4_T5_T6_T7_T9_mT8_P12ihipStream_tbDpT10_ENKUlT_T0_E_clISt17integral_constantIbLb1EES19_IbLb0EEEEDaS15_S16_EUlS15_E_NS1_11comp_targetILNS1_3genE4ELNS1_11target_archE910ELNS1_3gpuE8ELNS1_3repE0EEENS1_30default_config_static_selectorELNS0_4arch9wavefront6targetE1EEEvT1_.num_named_barrier, 0
	.set _ZN7rocprim17ROCPRIM_400000_NS6detail17trampoline_kernelINS0_14default_configENS1_25partition_config_selectorILNS1_17partition_subalgoE9EllbEEZZNS1_14partition_implILS5_9ELb0ES3_jPlS8_PNS0_10empty_typeENS0_5tupleIJS8_S9_EEENSB_IJS8_SA_EEENS0_18inequality_wrapperIZN2at6native12_GLOBAL__N_124unique_dim_cuda_templateIdEESt5tupleIJNSF_6TensorESK_SK_EERKSK_lbbbEUlllE0_EEPmJS9_EEE10hipError_tPvRmT3_T4_T5_T6_T7_T9_mT8_P12ihipStream_tbDpT10_ENKUlT_T0_E_clISt17integral_constantIbLb1EES19_IbLb0EEEEDaS15_S16_EUlS15_E_NS1_11comp_targetILNS1_3genE4ELNS1_11target_archE910ELNS1_3gpuE8ELNS1_3repE0EEENS1_30default_config_static_selectorELNS0_4arch9wavefront6targetE1EEEvT1_.private_seg_size, 0
	.set _ZN7rocprim17ROCPRIM_400000_NS6detail17trampoline_kernelINS0_14default_configENS1_25partition_config_selectorILNS1_17partition_subalgoE9EllbEEZZNS1_14partition_implILS5_9ELb0ES3_jPlS8_PNS0_10empty_typeENS0_5tupleIJS8_S9_EEENSB_IJS8_SA_EEENS0_18inequality_wrapperIZN2at6native12_GLOBAL__N_124unique_dim_cuda_templateIdEESt5tupleIJNSF_6TensorESK_SK_EERKSK_lbbbEUlllE0_EEPmJS9_EEE10hipError_tPvRmT3_T4_T5_T6_T7_T9_mT8_P12ihipStream_tbDpT10_ENKUlT_T0_E_clISt17integral_constantIbLb1EES19_IbLb0EEEEDaS15_S16_EUlS15_E_NS1_11comp_targetILNS1_3genE4ELNS1_11target_archE910ELNS1_3gpuE8ELNS1_3repE0EEENS1_30default_config_static_selectorELNS0_4arch9wavefront6targetE1EEEvT1_.uses_vcc, 0
	.set _ZN7rocprim17ROCPRIM_400000_NS6detail17trampoline_kernelINS0_14default_configENS1_25partition_config_selectorILNS1_17partition_subalgoE9EllbEEZZNS1_14partition_implILS5_9ELb0ES3_jPlS8_PNS0_10empty_typeENS0_5tupleIJS8_S9_EEENSB_IJS8_SA_EEENS0_18inequality_wrapperIZN2at6native12_GLOBAL__N_124unique_dim_cuda_templateIdEESt5tupleIJNSF_6TensorESK_SK_EERKSK_lbbbEUlllE0_EEPmJS9_EEE10hipError_tPvRmT3_T4_T5_T6_T7_T9_mT8_P12ihipStream_tbDpT10_ENKUlT_T0_E_clISt17integral_constantIbLb1EES19_IbLb0EEEEDaS15_S16_EUlS15_E_NS1_11comp_targetILNS1_3genE4ELNS1_11target_archE910ELNS1_3gpuE8ELNS1_3repE0EEENS1_30default_config_static_selectorELNS0_4arch9wavefront6targetE1EEEvT1_.uses_flat_scratch, 0
	.set _ZN7rocprim17ROCPRIM_400000_NS6detail17trampoline_kernelINS0_14default_configENS1_25partition_config_selectorILNS1_17partition_subalgoE9EllbEEZZNS1_14partition_implILS5_9ELb0ES3_jPlS8_PNS0_10empty_typeENS0_5tupleIJS8_S9_EEENSB_IJS8_SA_EEENS0_18inequality_wrapperIZN2at6native12_GLOBAL__N_124unique_dim_cuda_templateIdEESt5tupleIJNSF_6TensorESK_SK_EERKSK_lbbbEUlllE0_EEPmJS9_EEE10hipError_tPvRmT3_T4_T5_T6_T7_T9_mT8_P12ihipStream_tbDpT10_ENKUlT_T0_E_clISt17integral_constantIbLb1EES19_IbLb0EEEEDaS15_S16_EUlS15_E_NS1_11comp_targetILNS1_3genE4ELNS1_11target_archE910ELNS1_3gpuE8ELNS1_3repE0EEENS1_30default_config_static_selectorELNS0_4arch9wavefront6targetE1EEEvT1_.has_dyn_sized_stack, 0
	.set _ZN7rocprim17ROCPRIM_400000_NS6detail17trampoline_kernelINS0_14default_configENS1_25partition_config_selectorILNS1_17partition_subalgoE9EllbEEZZNS1_14partition_implILS5_9ELb0ES3_jPlS8_PNS0_10empty_typeENS0_5tupleIJS8_S9_EEENSB_IJS8_SA_EEENS0_18inequality_wrapperIZN2at6native12_GLOBAL__N_124unique_dim_cuda_templateIdEESt5tupleIJNSF_6TensorESK_SK_EERKSK_lbbbEUlllE0_EEPmJS9_EEE10hipError_tPvRmT3_T4_T5_T6_T7_T9_mT8_P12ihipStream_tbDpT10_ENKUlT_T0_E_clISt17integral_constantIbLb1EES19_IbLb0EEEEDaS15_S16_EUlS15_E_NS1_11comp_targetILNS1_3genE4ELNS1_11target_archE910ELNS1_3gpuE8ELNS1_3repE0EEENS1_30default_config_static_selectorELNS0_4arch9wavefront6targetE1EEEvT1_.has_recursion, 0
	.set _ZN7rocprim17ROCPRIM_400000_NS6detail17trampoline_kernelINS0_14default_configENS1_25partition_config_selectorILNS1_17partition_subalgoE9EllbEEZZNS1_14partition_implILS5_9ELb0ES3_jPlS8_PNS0_10empty_typeENS0_5tupleIJS8_S9_EEENSB_IJS8_SA_EEENS0_18inequality_wrapperIZN2at6native12_GLOBAL__N_124unique_dim_cuda_templateIdEESt5tupleIJNSF_6TensorESK_SK_EERKSK_lbbbEUlllE0_EEPmJS9_EEE10hipError_tPvRmT3_T4_T5_T6_T7_T9_mT8_P12ihipStream_tbDpT10_ENKUlT_T0_E_clISt17integral_constantIbLb1EES19_IbLb0EEEEDaS15_S16_EUlS15_E_NS1_11comp_targetILNS1_3genE4ELNS1_11target_archE910ELNS1_3gpuE8ELNS1_3repE0EEENS1_30default_config_static_selectorELNS0_4arch9wavefront6targetE1EEEvT1_.has_indirect_call, 0
	.section	.AMDGPU.csdata,"",@progbits
; Kernel info:
; codeLenInByte = 0
; TotalNumSgprs: 6
; NumVgprs: 0
; NumAgprs: 0
; TotalNumVgprs: 0
; ScratchSize: 0
; MemoryBound: 0
; FloatMode: 240
; IeeeMode: 1
; LDSByteSize: 0 bytes/workgroup (compile time only)
; SGPRBlocks: 0
; VGPRBlocks: 0
; NumSGPRsForWavesPerEU: 6
; NumVGPRsForWavesPerEU: 1
; AccumOffset: 4
; Occupancy: 8
; WaveLimiterHint : 0
; COMPUTE_PGM_RSRC2:SCRATCH_EN: 0
; COMPUTE_PGM_RSRC2:USER_SGPR: 2
; COMPUTE_PGM_RSRC2:TRAP_HANDLER: 0
; COMPUTE_PGM_RSRC2:TGID_X_EN: 1
; COMPUTE_PGM_RSRC2:TGID_Y_EN: 0
; COMPUTE_PGM_RSRC2:TGID_Z_EN: 0
; COMPUTE_PGM_RSRC2:TIDIG_COMP_CNT: 0
; COMPUTE_PGM_RSRC3_GFX90A:ACCUM_OFFSET: 0
; COMPUTE_PGM_RSRC3_GFX90A:TG_SPLIT: 0
	.section	.text._ZN7rocprim17ROCPRIM_400000_NS6detail17trampoline_kernelINS0_14default_configENS1_25partition_config_selectorILNS1_17partition_subalgoE9EllbEEZZNS1_14partition_implILS5_9ELb0ES3_jPlS8_PNS0_10empty_typeENS0_5tupleIJS8_S9_EEENSB_IJS8_SA_EEENS0_18inequality_wrapperIZN2at6native12_GLOBAL__N_124unique_dim_cuda_templateIdEESt5tupleIJNSF_6TensorESK_SK_EERKSK_lbbbEUlllE0_EEPmJS9_EEE10hipError_tPvRmT3_T4_T5_T6_T7_T9_mT8_P12ihipStream_tbDpT10_ENKUlT_T0_E_clISt17integral_constantIbLb1EES19_IbLb0EEEEDaS15_S16_EUlS15_E_NS1_11comp_targetILNS1_3genE3ELNS1_11target_archE908ELNS1_3gpuE7ELNS1_3repE0EEENS1_30default_config_static_selectorELNS0_4arch9wavefront6targetE1EEEvT1_,"axG",@progbits,_ZN7rocprim17ROCPRIM_400000_NS6detail17trampoline_kernelINS0_14default_configENS1_25partition_config_selectorILNS1_17partition_subalgoE9EllbEEZZNS1_14partition_implILS5_9ELb0ES3_jPlS8_PNS0_10empty_typeENS0_5tupleIJS8_S9_EEENSB_IJS8_SA_EEENS0_18inequality_wrapperIZN2at6native12_GLOBAL__N_124unique_dim_cuda_templateIdEESt5tupleIJNSF_6TensorESK_SK_EERKSK_lbbbEUlllE0_EEPmJS9_EEE10hipError_tPvRmT3_T4_T5_T6_T7_T9_mT8_P12ihipStream_tbDpT10_ENKUlT_T0_E_clISt17integral_constantIbLb1EES19_IbLb0EEEEDaS15_S16_EUlS15_E_NS1_11comp_targetILNS1_3genE3ELNS1_11target_archE908ELNS1_3gpuE7ELNS1_3repE0EEENS1_30default_config_static_selectorELNS0_4arch9wavefront6targetE1EEEvT1_,comdat
	.globl	_ZN7rocprim17ROCPRIM_400000_NS6detail17trampoline_kernelINS0_14default_configENS1_25partition_config_selectorILNS1_17partition_subalgoE9EllbEEZZNS1_14partition_implILS5_9ELb0ES3_jPlS8_PNS0_10empty_typeENS0_5tupleIJS8_S9_EEENSB_IJS8_SA_EEENS0_18inequality_wrapperIZN2at6native12_GLOBAL__N_124unique_dim_cuda_templateIdEESt5tupleIJNSF_6TensorESK_SK_EERKSK_lbbbEUlllE0_EEPmJS9_EEE10hipError_tPvRmT3_T4_T5_T6_T7_T9_mT8_P12ihipStream_tbDpT10_ENKUlT_T0_E_clISt17integral_constantIbLb1EES19_IbLb0EEEEDaS15_S16_EUlS15_E_NS1_11comp_targetILNS1_3genE3ELNS1_11target_archE908ELNS1_3gpuE7ELNS1_3repE0EEENS1_30default_config_static_selectorELNS0_4arch9wavefront6targetE1EEEvT1_ ; -- Begin function _ZN7rocprim17ROCPRIM_400000_NS6detail17trampoline_kernelINS0_14default_configENS1_25partition_config_selectorILNS1_17partition_subalgoE9EllbEEZZNS1_14partition_implILS5_9ELb0ES3_jPlS8_PNS0_10empty_typeENS0_5tupleIJS8_S9_EEENSB_IJS8_SA_EEENS0_18inequality_wrapperIZN2at6native12_GLOBAL__N_124unique_dim_cuda_templateIdEESt5tupleIJNSF_6TensorESK_SK_EERKSK_lbbbEUlllE0_EEPmJS9_EEE10hipError_tPvRmT3_T4_T5_T6_T7_T9_mT8_P12ihipStream_tbDpT10_ENKUlT_T0_E_clISt17integral_constantIbLb1EES19_IbLb0EEEEDaS15_S16_EUlS15_E_NS1_11comp_targetILNS1_3genE3ELNS1_11target_archE908ELNS1_3gpuE7ELNS1_3repE0EEENS1_30default_config_static_selectorELNS0_4arch9wavefront6targetE1EEEvT1_
	.p2align	8
	.type	_ZN7rocprim17ROCPRIM_400000_NS6detail17trampoline_kernelINS0_14default_configENS1_25partition_config_selectorILNS1_17partition_subalgoE9EllbEEZZNS1_14partition_implILS5_9ELb0ES3_jPlS8_PNS0_10empty_typeENS0_5tupleIJS8_S9_EEENSB_IJS8_SA_EEENS0_18inequality_wrapperIZN2at6native12_GLOBAL__N_124unique_dim_cuda_templateIdEESt5tupleIJNSF_6TensorESK_SK_EERKSK_lbbbEUlllE0_EEPmJS9_EEE10hipError_tPvRmT3_T4_T5_T6_T7_T9_mT8_P12ihipStream_tbDpT10_ENKUlT_T0_E_clISt17integral_constantIbLb1EES19_IbLb0EEEEDaS15_S16_EUlS15_E_NS1_11comp_targetILNS1_3genE3ELNS1_11target_archE908ELNS1_3gpuE7ELNS1_3repE0EEENS1_30default_config_static_selectorELNS0_4arch9wavefront6targetE1EEEvT1_,@function
_ZN7rocprim17ROCPRIM_400000_NS6detail17trampoline_kernelINS0_14default_configENS1_25partition_config_selectorILNS1_17partition_subalgoE9EllbEEZZNS1_14partition_implILS5_9ELb0ES3_jPlS8_PNS0_10empty_typeENS0_5tupleIJS8_S9_EEENSB_IJS8_SA_EEENS0_18inequality_wrapperIZN2at6native12_GLOBAL__N_124unique_dim_cuda_templateIdEESt5tupleIJNSF_6TensorESK_SK_EERKSK_lbbbEUlllE0_EEPmJS9_EEE10hipError_tPvRmT3_T4_T5_T6_T7_T9_mT8_P12ihipStream_tbDpT10_ENKUlT_T0_E_clISt17integral_constantIbLb1EES19_IbLb0EEEEDaS15_S16_EUlS15_E_NS1_11comp_targetILNS1_3genE3ELNS1_11target_archE908ELNS1_3gpuE7ELNS1_3repE0EEENS1_30default_config_static_selectorELNS0_4arch9wavefront6targetE1EEEvT1_: ; @_ZN7rocprim17ROCPRIM_400000_NS6detail17trampoline_kernelINS0_14default_configENS1_25partition_config_selectorILNS1_17partition_subalgoE9EllbEEZZNS1_14partition_implILS5_9ELb0ES3_jPlS8_PNS0_10empty_typeENS0_5tupleIJS8_S9_EEENSB_IJS8_SA_EEENS0_18inequality_wrapperIZN2at6native12_GLOBAL__N_124unique_dim_cuda_templateIdEESt5tupleIJNSF_6TensorESK_SK_EERKSK_lbbbEUlllE0_EEPmJS9_EEE10hipError_tPvRmT3_T4_T5_T6_T7_T9_mT8_P12ihipStream_tbDpT10_ENKUlT_T0_E_clISt17integral_constantIbLb1EES19_IbLb0EEEEDaS15_S16_EUlS15_E_NS1_11comp_targetILNS1_3genE3ELNS1_11target_archE908ELNS1_3gpuE7ELNS1_3repE0EEENS1_30default_config_static_selectorELNS0_4arch9wavefront6targetE1EEEvT1_
; %bb.0:
	.section	.rodata,"a",@progbits
	.p2align	6, 0x0
	.amdhsa_kernel _ZN7rocprim17ROCPRIM_400000_NS6detail17trampoline_kernelINS0_14default_configENS1_25partition_config_selectorILNS1_17partition_subalgoE9EllbEEZZNS1_14partition_implILS5_9ELb0ES3_jPlS8_PNS0_10empty_typeENS0_5tupleIJS8_S9_EEENSB_IJS8_SA_EEENS0_18inequality_wrapperIZN2at6native12_GLOBAL__N_124unique_dim_cuda_templateIdEESt5tupleIJNSF_6TensorESK_SK_EERKSK_lbbbEUlllE0_EEPmJS9_EEE10hipError_tPvRmT3_T4_T5_T6_T7_T9_mT8_P12ihipStream_tbDpT10_ENKUlT_T0_E_clISt17integral_constantIbLb1EES19_IbLb0EEEEDaS15_S16_EUlS15_E_NS1_11comp_targetILNS1_3genE3ELNS1_11target_archE908ELNS1_3gpuE7ELNS1_3repE0EEENS1_30default_config_static_selectorELNS0_4arch9wavefront6targetE1EEEvT1_
		.amdhsa_group_segment_fixed_size 0
		.amdhsa_private_segment_fixed_size 0
		.amdhsa_kernarg_size 120
		.amdhsa_user_sgpr_count 2
		.amdhsa_user_sgpr_dispatch_ptr 0
		.amdhsa_user_sgpr_queue_ptr 0
		.amdhsa_user_sgpr_kernarg_segment_ptr 1
		.amdhsa_user_sgpr_dispatch_id 0
		.amdhsa_user_sgpr_kernarg_preload_length 0
		.amdhsa_user_sgpr_kernarg_preload_offset 0
		.amdhsa_user_sgpr_private_segment_size 0
		.amdhsa_uses_dynamic_stack 0
		.amdhsa_enable_private_segment 0
		.amdhsa_system_sgpr_workgroup_id_x 1
		.amdhsa_system_sgpr_workgroup_id_y 0
		.amdhsa_system_sgpr_workgroup_id_z 0
		.amdhsa_system_sgpr_workgroup_info 0
		.amdhsa_system_vgpr_workitem_id 0
		.amdhsa_next_free_vgpr 1
		.amdhsa_next_free_sgpr 0
		.amdhsa_accum_offset 4
		.amdhsa_reserve_vcc 0
		.amdhsa_float_round_mode_32 0
		.amdhsa_float_round_mode_16_64 0
		.amdhsa_float_denorm_mode_32 3
		.amdhsa_float_denorm_mode_16_64 3
		.amdhsa_dx10_clamp 1
		.amdhsa_ieee_mode 1
		.amdhsa_fp16_overflow 0
		.amdhsa_tg_split 0
		.amdhsa_exception_fp_ieee_invalid_op 0
		.amdhsa_exception_fp_denorm_src 0
		.amdhsa_exception_fp_ieee_div_zero 0
		.amdhsa_exception_fp_ieee_overflow 0
		.amdhsa_exception_fp_ieee_underflow 0
		.amdhsa_exception_fp_ieee_inexact 0
		.amdhsa_exception_int_div_zero 0
	.end_amdhsa_kernel
	.section	.text._ZN7rocprim17ROCPRIM_400000_NS6detail17trampoline_kernelINS0_14default_configENS1_25partition_config_selectorILNS1_17partition_subalgoE9EllbEEZZNS1_14partition_implILS5_9ELb0ES3_jPlS8_PNS0_10empty_typeENS0_5tupleIJS8_S9_EEENSB_IJS8_SA_EEENS0_18inequality_wrapperIZN2at6native12_GLOBAL__N_124unique_dim_cuda_templateIdEESt5tupleIJNSF_6TensorESK_SK_EERKSK_lbbbEUlllE0_EEPmJS9_EEE10hipError_tPvRmT3_T4_T5_T6_T7_T9_mT8_P12ihipStream_tbDpT10_ENKUlT_T0_E_clISt17integral_constantIbLb1EES19_IbLb0EEEEDaS15_S16_EUlS15_E_NS1_11comp_targetILNS1_3genE3ELNS1_11target_archE908ELNS1_3gpuE7ELNS1_3repE0EEENS1_30default_config_static_selectorELNS0_4arch9wavefront6targetE1EEEvT1_,"axG",@progbits,_ZN7rocprim17ROCPRIM_400000_NS6detail17trampoline_kernelINS0_14default_configENS1_25partition_config_selectorILNS1_17partition_subalgoE9EllbEEZZNS1_14partition_implILS5_9ELb0ES3_jPlS8_PNS0_10empty_typeENS0_5tupleIJS8_S9_EEENSB_IJS8_SA_EEENS0_18inequality_wrapperIZN2at6native12_GLOBAL__N_124unique_dim_cuda_templateIdEESt5tupleIJNSF_6TensorESK_SK_EERKSK_lbbbEUlllE0_EEPmJS9_EEE10hipError_tPvRmT3_T4_T5_T6_T7_T9_mT8_P12ihipStream_tbDpT10_ENKUlT_T0_E_clISt17integral_constantIbLb1EES19_IbLb0EEEEDaS15_S16_EUlS15_E_NS1_11comp_targetILNS1_3genE3ELNS1_11target_archE908ELNS1_3gpuE7ELNS1_3repE0EEENS1_30default_config_static_selectorELNS0_4arch9wavefront6targetE1EEEvT1_,comdat
.Lfunc_end858:
	.size	_ZN7rocprim17ROCPRIM_400000_NS6detail17trampoline_kernelINS0_14default_configENS1_25partition_config_selectorILNS1_17partition_subalgoE9EllbEEZZNS1_14partition_implILS5_9ELb0ES3_jPlS8_PNS0_10empty_typeENS0_5tupleIJS8_S9_EEENSB_IJS8_SA_EEENS0_18inequality_wrapperIZN2at6native12_GLOBAL__N_124unique_dim_cuda_templateIdEESt5tupleIJNSF_6TensorESK_SK_EERKSK_lbbbEUlllE0_EEPmJS9_EEE10hipError_tPvRmT3_T4_T5_T6_T7_T9_mT8_P12ihipStream_tbDpT10_ENKUlT_T0_E_clISt17integral_constantIbLb1EES19_IbLb0EEEEDaS15_S16_EUlS15_E_NS1_11comp_targetILNS1_3genE3ELNS1_11target_archE908ELNS1_3gpuE7ELNS1_3repE0EEENS1_30default_config_static_selectorELNS0_4arch9wavefront6targetE1EEEvT1_, .Lfunc_end858-_ZN7rocprim17ROCPRIM_400000_NS6detail17trampoline_kernelINS0_14default_configENS1_25partition_config_selectorILNS1_17partition_subalgoE9EllbEEZZNS1_14partition_implILS5_9ELb0ES3_jPlS8_PNS0_10empty_typeENS0_5tupleIJS8_S9_EEENSB_IJS8_SA_EEENS0_18inequality_wrapperIZN2at6native12_GLOBAL__N_124unique_dim_cuda_templateIdEESt5tupleIJNSF_6TensorESK_SK_EERKSK_lbbbEUlllE0_EEPmJS9_EEE10hipError_tPvRmT3_T4_T5_T6_T7_T9_mT8_P12ihipStream_tbDpT10_ENKUlT_T0_E_clISt17integral_constantIbLb1EES19_IbLb0EEEEDaS15_S16_EUlS15_E_NS1_11comp_targetILNS1_3genE3ELNS1_11target_archE908ELNS1_3gpuE7ELNS1_3repE0EEENS1_30default_config_static_selectorELNS0_4arch9wavefront6targetE1EEEvT1_
                                        ; -- End function
	.set _ZN7rocprim17ROCPRIM_400000_NS6detail17trampoline_kernelINS0_14default_configENS1_25partition_config_selectorILNS1_17partition_subalgoE9EllbEEZZNS1_14partition_implILS5_9ELb0ES3_jPlS8_PNS0_10empty_typeENS0_5tupleIJS8_S9_EEENSB_IJS8_SA_EEENS0_18inequality_wrapperIZN2at6native12_GLOBAL__N_124unique_dim_cuda_templateIdEESt5tupleIJNSF_6TensorESK_SK_EERKSK_lbbbEUlllE0_EEPmJS9_EEE10hipError_tPvRmT3_T4_T5_T6_T7_T9_mT8_P12ihipStream_tbDpT10_ENKUlT_T0_E_clISt17integral_constantIbLb1EES19_IbLb0EEEEDaS15_S16_EUlS15_E_NS1_11comp_targetILNS1_3genE3ELNS1_11target_archE908ELNS1_3gpuE7ELNS1_3repE0EEENS1_30default_config_static_selectorELNS0_4arch9wavefront6targetE1EEEvT1_.num_vgpr, 0
	.set _ZN7rocprim17ROCPRIM_400000_NS6detail17trampoline_kernelINS0_14default_configENS1_25partition_config_selectorILNS1_17partition_subalgoE9EllbEEZZNS1_14partition_implILS5_9ELb0ES3_jPlS8_PNS0_10empty_typeENS0_5tupleIJS8_S9_EEENSB_IJS8_SA_EEENS0_18inequality_wrapperIZN2at6native12_GLOBAL__N_124unique_dim_cuda_templateIdEESt5tupleIJNSF_6TensorESK_SK_EERKSK_lbbbEUlllE0_EEPmJS9_EEE10hipError_tPvRmT3_T4_T5_T6_T7_T9_mT8_P12ihipStream_tbDpT10_ENKUlT_T0_E_clISt17integral_constantIbLb1EES19_IbLb0EEEEDaS15_S16_EUlS15_E_NS1_11comp_targetILNS1_3genE3ELNS1_11target_archE908ELNS1_3gpuE7ELNS1_3repE0EEENS1_30default_config_static_selectorELNS0_4arch9wavefront6targetE1EEEvT1_.num_agpr, 0
	.set _ZN7rocprim17ROCPRIM_400000_NS6detail17trampoline_kernelINS0_14default_configENS1_25partition_config_selectorILNS1_17partition_subalgoE9EllbEEZZNS1_14partition_implILS5_9ELb0ES3_jPlS8_PNS0_10empty_typeENS0_5tupleIJS8_S9_EEENSB_IJS8_SA_EEENS0_18inequality_wrapperIZN2at6native12_GLOBAL__N_124unique_dim_cuda_templateIdEESt5tupleIJNSF_6TensorESK_SK_EERKSK_lbbbEUlllE0_EEPmJS9_EEE10hipError_tPvRmT3_T4_T5_T6_T7_T9_mT8_P12ihipStream_tbDpT10_ENKUlT_T0_E_clISt17integral_constantIbLb1EES19_IbLb0EEEEDaS15_S16_EUlS15_E_NS1_11comp_targetILNS1_3genE3ELNS1_11target_archE908ELNS1_3gpuE7ELNS1_3repE0EEENS1_30default_config_static_selectorELNS0_4arch9wavefront6targetE1EEEvT1_.numbered_sgpr, 0
	.set _ZN7rocprim17ROCPRIM_400000_NS6detail17trampoline_kernelINS0_14default_configENS1_25partition_config_selectorILNS1_17partition_subalgoE9EllbEEZZNS1_14partition_implILS5_9ELb0ES3_jPlS8_PNS0_10empty_typeENS0_5tupleIJS8_S9_EEENSB_IJS8_SA_EEENS0_18inequality_wrapperIZN2at6native12_GLOBAL__N_124unique_dim_cuda_templateIdEESt5tupleIJNSF_6TensorESK_SK_EERKSK_lbbbEUlllE0_EEPmJS9_EEE10hipError_tPvRmT3_T4_T5_T6_T7_T9_mT8_P12ihipStream_tbDpT10_ENKUlT_T0_E_clISt17integral_constantIbLb1EES19_IbLb0EEEEDaS15_S16_EUlS15_E_NS1_11comp_targetILNS1_3genE3ELNS1_11target_archE908ELNS1_3gpuE7ELNS1_3repE0EEENS1_30default_config_static_selectorELNS0_4arch9wavefront6targetE1EEEvT1_.num_named_barrier, 0
	.set _ZN7rocprim17ROCPRIM_400000_NS6detail17trampoline_kernelINS0_14default_configENS1_25partition_config_selectorILNS1_17partition_subalgoE9EllbEEZZNS1_14partition_implILS5_9ELb0ES3_jPlS8_PNS0_10empty_typeENS0_5tupleIJS8_S9_EEENSB_IJS8_SA_EEENS0_18inequality_wrapperIZN2at6native12_GLOBAL__N_124unique_dim_cuda_templateIdEESt5tupleIJNSF_6TensorESK_SK_EERKSK_lbbbEUlllE0_EEPmJS9_EEE10hipError_tPvRmT3_T4_T5_T6_T7_T9_mT8_P12ihipStream_tbDpT10_ENKUlT_T0_E_clISt17integral_constantIbLb1EES19_IbLb0EEEEDaS15_S16_EUlS15_E_NS1_11comp_targetILNS1_3genE3ELNS1_11target_archE908ELNS1_3gpuE7ELNS1_3repE0EEENS1_30default_config_static_selectorELNS0_4arch9wavefront6targetE1EEEvT1_.private_seg_size, 0
	.set _ZN7rocprim17ROCPRIM_400000_NS6detail17trampoline_kernelINS0_14default_configENS1_25partition_config_selectorILNS1_17partition_subalgoE9EllbEEZZNS1_14partition_implILS5_9ELb0ES3_jPlS8_PNS0_10empty_typeENS0_5tupleIJS8_S9_EEENSB_IJS8_SA_EEENS0_18inequality_wrapperIZN2at6native12_GLOBAL__N_124unique_dim_cuda_templateIdEESt5tupleIJNSF_6TensorESK_SK_EERKSK_lbbbEUlllE0_EEPmJS9_EEE10hipError_tPvRmT3_T4_T5_T6_T7_T9_mT8_P12ihipStream_tbDpT10_ENKUlT_T0_E_clISt17integral_constantIbLb1EES19_IbLb0EEEEDaS15_S16_EUlS15_E_NS1_11comp_targetILNS1_3genE3ELNS1_11target_archE908ELNS1_3gpuE7ELNS1_3repE0EEENS1_30default_config_static_selectorELNS0_4arch9wavefront6targetE1EEEvT1_.uses_vcc, 0
	.set _ZN7rocprim17ROCPRIM_400000_NS6detail17trampoline_kernelINS0_14default_configENS1_25partition_config_selectorILNS1_17partition_subalgoE9EllbEEZZNS1_14partition_implILS5_9ELb0ES3_jPlS8_PNS0_10empty_typeENS0_5tupleIJS8_S9_EEENSB_IJS8_SA_EEENS0_18inequality_wrapperIZN2at6native12_GLOBAL__N_124unique_dim_cuda_templateIdEESt5tupleIJNSF_6TensorESK_SK_EERKSK_lbbbEUlllE0_EEPmJS9_EEE10hipError_tPvRmT3_T4_T5_T6_T7_T9_mT8_P12ihipStream_tbDpT10_ENKUlT_T0_E_clISt17integral_constantIbLb1EES19_IbLb0EEEEDaS15_S16_EUlS15_E_NS1_11comp_targetILNS1_3genE3ELNS1_11target_archE908ELNS1_3gpuE7ELNS1_3repE0EEENS1_30default_config_static_selectorELNS0_4arch9wavefront6targetE1EEEvT1_.uses_flat_scratch, 0
	.set _ZN7rocprim17ROCPRIM_400000_NS6detail17trampoline_kernelINS0_14default_configENS1_25partition_config_selectorILNS1_17partition_subalgoE9EllbEEZZNS1_14partition_implILS5_9ELb0ES3_jPlS8_PNS0_10empty_typeENS0_5tupleIJS8_S9_EEENSB_IJS8_SA_EEENS0_18inequality_wrapperIZN2at6native12_GLOBAL__N_124unique_dim_cuda_templateIdEESt5tupleIJNSF_6TensorESK_SK_EERKSK_lbbbEUlllE0_EEPmJS9_EEE10hipError_tPvRmT3_T4_T5_T6_T7_T9_mT8_P12ihipStream_tbDpT10_ENKUlT_T0_E_clISt17integral_constantIbLb1EES19_IbLb0EEEEDaS15_S16_EUlS15_E_NS1_11comp_targetILNS1_3genE3ELNS1_11target_archE908ELNS1_3gpuE7ELNS1_3repE0EEENS1_30default_config_static_selectorELNS0_4arch9wavefront6targetE1EEEvT1_.has_dyn_sized_stack, 0
	.set _ZN7rocprim17ROCPRIM_400000_NS6detail17trampoline_kernelINS0_14default_configENS1_25partition_config_selectorILNS1_17partition_subalgoE9EllbEEZZNS1_14partition_implILS5_9ELb0ES3_jPlS8_PNS0_10empty_typeENS0_5tupleIJS8_S9_EEENSB_IJS8_SA_EEENS0_18inequality_wrapperIZN2at6native12_GLOBAL__N_124unique_dim_cuda_templateIdEESt5tupleIJNSF_6TensorESK_SK_EERKSK_lbbbEUlllE0_EEPmJS9_EEE10hipError_tPvRmT3_T4_T5_T6_T7_T9_mT8_P12ihipStream_tbDpT10_ENKUlT_T0_E_clISt17integral_constantIbLb1EES19_IbLb0EEEEDaS15_S16_EUlS15_E_NS1_11comp_targetILNS1_3genE3ELNS1_11target_archE908ELNS1_3gpuE7ELNS1_3repE0EEENS1_30default_config_static_selectorELNS0_4arch9wavefront6targetE1EEEvT1_.has_recursion, 0
	.set _ZN7rocprim17ROCPRIM_400000_NS6detail17trampoline_kernelINS0_14default_configENS1_25partition_config_selectorILNS1_17partition_subalgoE9EllbEEZZNS1_14partition_implILS5_9ELb0ES3_jPlS8_PNS0_10empty_typeENS0_5tupleIJS8_S9_EEENSB_IJS8_SA_EEENS0_18inequality_wrapperIZN2at6native12_GLOBAL__N_124unique_dim_cuda_templateIdEESt5tupleIJNSF_6TensorESK_SK_EERKSK_lbbbEUlllE0_EEPmJS9_EEE10hipError_tPvRmT3_T4_T5_T6_T7_T9_mT8_P12ihipStream_tbDpT10_ENKUlT_T0_E_clISt17integral_constantIbLb1EES19_IbLb0EEEEDaS15_S16_EUlS15_E_NS1_11comp_targetILNS1_3genE3ELNS1_11target_archE908ELNS1_3gpuE7ELNS1_3repE0EEENS1_30default_config_static_selectorELNS0_4arch9wavefront6targetE1EEEvT1_.has_indirect_call, 0
	.section	.AMDGPU.csdata,"",@progbits
; Kernel info:
; codeLenInByte = 0
; TotalNumSgprs: 6
; NumVgprs: 0
; NumAgprs: 0
; TotalNumVgprs: 0
; ScratchSize: 0
; MemoryBound: 0
; FloatMode: 240
; IeeeMode: 1
; LDSByteSize: 0 bytes/workgroup (compile time only)
; SGPRBlocks: 0
; VGPRBlocks: 0
; NumSGPRsForWavesPerEU: 6
; NumVGPRsForWavesPerEU: 1
; AccumOffset: 4
; Occupancy: 8
; WaveLimiterHint : 0
; COMPUTE_PGM_RSRC2:SCRATCH_EN: 0
; COMPUTE_PGM_RSRC2:USER_SGPR: 2
; COMPUTE_PGM_RSRC2:TRAP_HANDLER: 0
; COMPUTE_PGM_RSRC2:TGID_X_EN: 1
; COMPUTE_PGM_RSRC2:TGID_Y_EN: 0
; COMPUTE_PGM_RSRC2:TGID_Z_EN: 0
; COMPUTE_PGM_RSRC2:TIDIG_COMP_CNT: 0
; COMPUTE_PGM_RSRC3_GFX90A:ACCUM_OFFSET: 0
; COMPUTE_PGM_RSRC3_GFX90A:TG_SPLIT: 0
	.section	.text._ZN7rocprim17ROCPRIM_400000_NS6detail17trampoline_kernelINS0_14default_configENS1_25partition_config_selectorILNS1_17partition_subalgoE9EllbEEZZNS1_14partition_implILS5_9ELb0ES3_jPlS8_PNS0_10empty_typeENS0_5tupleIJS8_S9_EEENSB_IJS8_SA_EEENS0_18inequality_wrapperIZN2at6native12_GLOBAL__N_124unique_dim_cuda_templateIdEESt5tupleIJNSF_6TensorESK_SK_EERKSK_lbbbEUlllE0_EEPmJS9_EEE10hipError_tPvRmT3_T4_T5_T6_T7_T9_mT8_P12ihipStream_tbDpT10_ENKUlT_T0_E_clISt17integral_constantIbLb1EES19_IbLb0EEEEDaS15_S16_EUlS15_E_NS1_11comp_targetILNS1_3genE2ELNS1_11target_archE906ELNS1_3gpuE6ELNS1_3repE0EEENS1_30default_config_static_selectorELNS0_4arch9wavefront6targetE1EEEvT1_,"axG",@progbits,_ZN7rocprim17ROCPRIM_400000_NS6detail17trampoline_kernelINS0_14default_configENS1_25partition_config_selectorILNS1_17partition_subalgoE9EllbEEZZNS1_14partition_implILS5_9ELb0ES3_jPlS8_PNS0_10empty_typeENS0_5tupleIJS8_S9_EEENSB_IJS8_SA_EEENS0_18inequality_wrapperIZN2at6native12_GLOBAL__N_124unique_dim_cuda_templateIdEESt5tupleIJNSF_6TensorESK_SK_EERKSK_lbbbEUlllE0_EEPmJS9_EEE10hipError_tPvRmT3_T4_T5_T6_T7_T9_mT8_P12ihipStream_tbDpT10_ENKUlT_T0_E_clISt17integral_constantIbLb1EES19_IbLb0EEEEDaS15_S16_EUlS15_E_NS1_11comp_targetILNS1_3genE2ELNS1_11target_archE906ELNS1_3gpuE6ELNS1_3repE0EEENS1_30default_config_static_selectorELNS0_4arch9wavefront6targetE1EEEvT1_,comdat
	.globl	_ZN7rocprim17ROCPRIM_400000_NS6detail17trampoline_kernelINS0_14default_configENS1_25partition_config_selectorILNS1_17partition_subalgoE9EllbEEZZNS1_14partition_implILS5_9ELb0ES3_jPlS8_PNS0_10empty_typeENS0_5tupleIJS8_S9_EEENSB_IJS8_SA_EEENS0_18inequality_wrapperIZN2at6native12_GLOBAL__N_124unique_dim_cuda_templateIdEESt5tupleIJNSF_6TensorESK_SK_EERKSK_lbbbEUlllE0_EEPmJS9_EEE10hipError_tPvRmT3_T4_T5_T6_T7_T9_mT8_P12ihipStream_tbDpT10_ENKUlT_T0_E_clISt17integral_constantIbLb1EES19_IbLb0EEEEDaS15_S16_EUlS15_E_NS1_11comp_targetILNS1_3genE2ELNS1_11target_archE906ELNS1_3gpuE6ELNS1_3repE0EEENS1_30default_config_static_selectorELNS0_4arch9wavefront6targetE1EEEvT1_ ; -- Begin function _ZN7rocprim17ROCPRIM_400000_NS6detail17trampoline_kernelINS0_14default_configENS1_25partition_config_selectorILNS1_17partition_subalgoE9EllbEEZZNS1_14partition_implILS5_9ELb0ES3_jPlS8_PNS0_10empty_typeENS0_5tupleIJS8_S9_EEENSB_IJS8_SA_EEENS0_18inequality_wrapperIZN2at6native12_GLOBAL__N_124unique_dim_cuda_templateIdEESt5tupleIJNSF_6TensorESK_SK_EERKSK_lbbbEUlllE0_EEPmJS9_EEE10hipError_tPvRmT3_T4_T5_T6_T7_T9_mT8_P12ihipStream_tbDpT10_ENKUlT_T0_E_clISt17integral_constantIbLb1EES19_IbLb0EEEEDaS15_S16_EUlS15_E_NS1_11comp_targetILNS1_3genE2ELNS1_11target_archE906ELNS1_3gpuE6ELNS1_3repE0EEENS1_30default_config_static_selectorELNS0_4arch9wavefront6targetE1EEEvT1_
	.p2align	8
	.type	_ZN7rocprim17ROCPRIM_400000_NS6detail17trampoline_kernelINS0_14default_configENS1_25partition_config_selectorILNS1_17partition_subalgoE9EllbEEZZNS1_14partition_implILS5_9ELb0ES3_jPlS8_PNS0_10empty_typeENS0_5tupleIJS8_S9_EEENSB_IJS8_SA_EEENS0_18inequality_wrapperIZN2at6native12_GLOBAL__N_124unique_dim_cuda_templateIdEESt5tupleIJNSF_6TensorESK_SK_EERKSK_lbbbEUlllE0_EEPmJS9_EEE10hipError_tPvRmT3_T4_T5_T6_T7_T9_mT8_P12ihipStream_tbDpT10_ENKUlT_T0_E_clISt17integral_constantIbLb1EES19_IbLb0EEEEDaS15_S16_EUlS15_E_NS1_11comp_targetILNS1_3genE2ELNS1_11target_archE906ELNS1_3gpuE6ELNS1_3repE0EEENS1_30default_config_static_selectorELNS0_4arch9wavefront6targetE1EEEvT1_,@function
_ZN7rocprim17ROCPRIM_400000_NS6detail17trampoline_kernelINS0_14default_configENS1_25partition_config_selectorILNS1_17partition_subalgoE9EllbEEZZNS1_14partition_implILS5_9ELb0ES3_jPlS8_PNS0_10empty_typeENS0_5tupleIJS8_S9_EEENSB_IJS8_SA_EEENS0_18inequality_wrapperIZN2at6native12_GLOBAL__N_124unique_dim_cuda_templateIdEESt5tupleIJNSF_6TensorESK_SK_EERKSK_lbbbEUlllE0_EEPmJS9_EEE10hipError_tPvRmT3_T4_T5_T6_T7_T9_mT8_P12ihipStream_tbDpT10_ENKUlT_T0_E_clISt17integral_constantIbLb1EES19_IbLb0EEEEDaS15_S16_EUlS15_E_NS1_11comp_targetILNS1_3genE2ELNS1_11target_archE906ELNS1_3gpuE6ELNS1_3repE0EEENS1_30default_config_static_selectorELNS0_4arch9wavefront6targetE1EEEvT1_: ; @_ZN7rocprim17ROCPRIM_400000_NS6detail17trampoline_kernelINS0_14default_configENS1_25partition_config_selectorILNS1_17partition_subalgoE9EllbEEZZNS1_14partition_implILS5_9ELb0ES3_jPlS8_PNS0_10empty_typeENS0_5tupleIJS8_S9_EEENSB_IJS8_SA_EEENS0_18inequality_wrapperIZN2at6native12_GLOBAL__N_124unique_dim_cuda_templateIdEESt5tupleIJNSF_6TensorESK_SK_EERKSK_lbbbEUlllE0_EEPmJS9_EEE10hipError_tPvRmT3_T4_T5_T6_T7_T9_mT8_P12ihipStream_tbDpT10_ENKUlT_T0_E_clISt17integral_constantIbLb1EES19_IbLb0EEEEDaS15_S16_EUlS15_E_NS1_11comp_targetILNS1_3genE2ELNS1_11target_archE906ELNS1_3gpuE6ELNS1_3repE0EEENS1_30default_config_static_selectorELNS0_4arch9wavefront6targetE1EEEvT1_
; %bb.0:
	.section	.rodata,"a",@progbits
	.p2align	6, 0x0
	.amdhsa_kernel _ZN7rocprim17ROCPRIM_400000_NS6detail17trampoline_kernelINS0_14default_configENS1_25partition_config_selectorILNS1_17partition_subalgoE9EllbEEZZNS1_14partition_implILS5_9ELb0ES3_jPlS8_PNS0_10empty_typeENS0_5tupleIJS8_S9_EEENSB_IJS8_SA_EEENS0_18inequality_wrapperIZN2at6native12_GLOBAL__N_124unique_dim_cuda_templateIdEESt5tupleIJNSF_6TensorESK_SK_EERKSK_lbbbEUlllE0_EEPmJS9_EEE10hipError_tPvRmT3_T4_T5_T6_T7_T9_mT8_P12ihipStream_tbDpT10_ENKUlT_T0_E_clISt17integral_constantIbLb1EES19_IbLb0EEEEDaS15_S16_EUlS15_E_NS1_11comp_targetILNS1_3genE2ELNS1_11target_archE906ELNS1_3gpuE6ELNS1_3repE0EEENS1_30default_config_static_selectorELNS0_4arch9wavefront6targetE1EEEvT1_
		.amdhsa_group_segment_fixed_size 0
		.amdhsa_private_segment_fixed_size 0
		.amdhsa_kernarg_size 120
		.amdhsa_user_sgpr_count 2
		.amdhsa_user_sgpr_dispatch_ptr 0
		.amdhsa_user_sgpr_queue_ptr 0
		.amdhsa_user_sgpr_kernarg_segment_ptr 1
		.amdhsa_user_sgpr_dispatch_id 0
		.amdhsa_user_sgpr_kernarg_preload_length 0
		.amdhsa_user_sgpr_kernarg_preload_offset 0
		.amdhsa_user_sgpr_private_segment_size 0
		.amdhsa_uses_dynamic_stack 0
		.amdhsa_enable_private_segment 0
		.amdhsa_system_sgpr_workgroup_id_x 1
		.amdhsa_system_sgpr_workgroup_id_y 0
		.amdhsa_system_sgpr_workgroup_id_z 0
		.amdhsa_system_sgpr_workgroup_info 0
		.amdhsa_system_vgpr_workitem_id 0
		.amdhsa_next_free_vgpr 1
		.amdhsa_next_free_sgpr 0
		.amdhsa_accum_offset 4
		.amdhsa_reserve_vcc 0
		.amdhsa_float_round_mode_32 0
		.amdhsa_float_round_mode_16_64 0
		.amdhsa_float_denorm_mode_32 3
		.amdhsa_float_denorm_mode_16_64 3
		.amdhsa_dx10_clamp 1
		.amdhsa_ieee_mode 1
		.amdhsa_fp16_overflow 0
		.amdhsa_tg_split 0
		.amdhsa_exception_fp_ieee_invalid_op 0
		.amdhsa_exception_fp_denorm_src 0
		.amdhsa_exception_fp_ieee_div_zero 0
		.amdhsa_exception_fp_ieee_overflow 0
		.amdhsa_exception_fp_ieee_underflow 0
		.amdhsa_exception_fp_ieee_inexact 0
		.amdhsa_exception_int_div_zero 0
	.end_amdhsa_kernel
	.section	.text._ZN7rocprim17ROCPRIM_400000_NS6detail17trampoline_kernelINS0_14default_configENS1_25partition_config_selectorILNS1_17partition_subalgoE9EllbEEZZNS1_14partition_implILS5_9ELb0ES3_jPlS8_PNS0_10empty_typeENS0_5tupleIJS8_S9_EEENSB_IJS8_SA_EEENS0_18inequality_wrapperIZN2at6native12_GLOBAL__N_124unique_dim_cuda_templateIdEESt5tupleIJNSF_6TensorESK_SK_EERKSK_lbbbEUlllE0_EEPmJS9_EEE10hipError_tPvRmT3_T4_T5_T6_T7_T9_mT8_P12ihipStream_tbDpT10_ENKUlT_T0_E_clISt17integral_constantIbLb1EES19_IbLb0EEEEDaS15_S16_EUlS15_E_NS1_11comp_targetILNS1_3genE2ELNS1_11target_archE906ELNS1_3gpuE6ELNS1_3repE0EEENS1_30default_config_static_selectorELNS0_4arch9wavefront6targetE1EEEvT1_,"axG",@progbits,_ZN7rocprim17ROCPRIM_400000_NS6detail17trampoline_kernelINS0_14default_configENS1_25partition_config_selectorILNS1_17partition_subalgoE9EllbEEZZNS1_14partition_implILS5_9ELb0ES3_jPlS8_PNS0_10empty_typeENS0_5tupleIJS8_S9_EEENSB_IJS8_SA_EEENS0_18inequality_wrapperIZN2at6native12_GLOBAL__N_124unique_dim_cuda_templateIdEESt5tupleIJNSF_6TensorESK_SK_EERKSK_lbbbEUlllE0_EEPmJS9_EEE10hipError_tPvRmT3_T4_T5_T6_T7_T9_mT8_P12ihipStream_tbDpT10_ENKUlT_T0_E_clISt17integral_constantIbLb1EES19_IbLb0EEEEDaS15_S16_EUlS15_E_NS1_11comp_targetILNS1_3genE2ELNS1_11target_archE906ELNS1_3gpuE6ELNS1_3repE0EEENS1_30default_config_static_selectorELNS0_4arch9wavefront6targetE1EEEvT1_,comdat
.Lfunc_end859:
	.size	_ZN7rocprim17ROCPRIM_400000_NS6detail17trampoline_kernelINS0_14default_configENS1_25partition_config_selectorILNS1_17partition_subalgoE9EllbEEZZNS1_14partition_implILS5_9ELb0ES3_jPlS8_PNS0_10empty_typeENS0_5tupleIJS8_S9_EEENSB_IJS8_SA_EEENS0_18inequality_wrapperIZN2at6native12_GLOBAL__N_124unique_dim_cuda_templateIdEESt5tupleIJNSF_6TensorESK_SK_EERKSK_lbbbEUlllE0_EEPmJS9_EEE10hipError_tPvRmT3_T4_T5_T6_T7_T9_mT8_P12ihipStream_tbDpT10_ENKUlT_T0_E_clISt17integral_constantIbLb1EES19_IbLb0EEEEDaS15_S16_EUlS15_E_NS1_11comp_targetILNS1_3genE2ELNS1_11target_archE906ELNS1_3gpuE6ELNS1_3repE0EEENS1_30default_config_static_selectorELNS0_4arch9wavefront6targetE1EEEvT1_, .Lfunc_end859-_ZN7rocprim17ROCPRIM_400000_NS6detail17trampoline_kernelINS0_14default_configENS1_25partition_config_selectorILNS1_17partition_subalgoE9EllbEEZZNS1_14partition_implILS5_9ELb0ES3_jPlS8_PNS0_10empty_typeENS0_5tupleIJS8_S9_EEENSB_IJS8_SA_EEENS0_18inequality_wrapperIZN2at6native12_GLOBAL__N_124unique_dim_cuda_templateIdEESt5tupleIJNSF_6TensorESK_SK_EERKSK_lbbbEUlllE0_EEPmJS9_EEE10hipError_tPvRmT3_T4_T5_T6_T7_T9_mT8_P12ihipStream_tbDpT10_ENKUlT_T0_E_clISt17integral_constantIbLb1EES19_IbLb0EEEEDaS15_S16_EUlS15_E_NS1_11comp_targetILNS1_3genE2ELNS1_11target_archE906ELNS1_3gpuE6ELNS1_3repE0EEENS1_30default_config_static_selectorELNS0_4arch9wavefront6targetE1EEEvT1_
                                        ; -- End function
	.set _ZN7rocprim17ROCPRIM_400000_NS6detail17trampoline_kernelINS0_14default_configENS1_25partition_config_selectorILNS1_17partition_subalgoE9EllbEEZZNS1_14partition_implILS5_9ELb0ES3_jPlS8_PNS0_10empty_typeENS0_5tupleIJS8_S9_EEENSB_IJS8_SA_EEENS0_18inequality_wrapperIZN2at6native12_GLOBAL__N_124unique_dim_cuda_templateIdEESt5tupleIJNSF_6TensorESK_SK_EERKSK_lbbbEUlllE0_EEPmJS9_EEE10hipError_tPvRmT3_T4_T5_T6_T7_T9_mT8_P12ihipStream_tbDpT10_ENKUlT_T0_E_clISt17integral_constantIbLb1EES19_IbLb0EEEEDaS15_S16_EUlS15_E_NS1_11comp_targetILNS1_3genE2ELNS1_11target_archE906ELNS1_3gpuE6ELNS1_3repE0EEENS1_30default_config_static_selectorELNS0_4arch9wavefront6targetE1EEEvT1_.num_vgpr, 0
	.set _ZN7rocprim17ROCPRIM_400000_NS6detail17trampoline_kernelINS0_14default_configENS1_25partition_config_selectorILNS1_17partition_subalgoE9EllbEEZZNS1_14partition_implILS5_9ELb0ES3_jPlS8_PNS0_10empty_typeENS0_5tupleIJS8_S9_EEENSB_IJS8_SA_EEENS0_18inequality_wrapperIZN2at6native12_GLOBAL__N_124unique_dim_cuda_templateIdEESt5tupleIJNSF_6TensorESK_SK_EERKSK_lbbbEUlllE0_EEPmJS9_EEE10hipError_tPvRmT3_T4_T5_T6_T7_T9_mT8_P12ihipStream_tbDpT10_ENKUlT_T0_E_clISt17integral_constantIbLb1EES19_IbLb0EEEEDaS15_S16_EUlS15_E_NS1_11comp_targetILNS1_3genE2ELNS1_11target_archE906ELNS1_3gpuE6ELNS1_3repE0EEENS1_30default_config_static_selectorELNS0_4arch9wavefront6targetE1EEEvT1_.num_agpr, 0
	.set _ZN7rocprim17ROCPRIM_400000_NS6detail17trampoline_kernelINS0_14default_configENS1_25partition_config_selectorILNS1_17partition_subalgoE9EllbEEZZNS1_14partition_implILS5_9ELb0ES3_jPlS8_PNS0_10empty_typeENS0_5tupleIJS8_S9_EEENSB_IJS8_SA_EEENS0_18inequality_wrapperIZN2at6native12_GLOBAL__N_124unique_dim_cuda_templateIdEESt5tupleIJNSF_6TensorESK_SK_EERKSK_lbbbEUlllE0_EEPmJS9_EEE10hipError_tPvRmT3_T4_T5_T6_T7_T9_mT8_P12ihipStream_tbDpT10_ENKUlT_T0_E_clISt17integral_constantIbLb1EES19_IbLb0EEEEDaS15_S16_EUlS15_E_NS1_11comp_targetILNS1_3genE2ELNS1_11target_archE906ELNS1_3gpuE6ELNS1_3repE0EEENS1_30default_config_static_selectorELNS0_4arch9wavefront6targetE1EEEvT1_.numbered_sgpr, 0
	.set _ZN7rocprim17ROCPRIM_400000_NS6detail17trampoline_kernelINS0_14default_configENS1_25partition_config_selectorILNS1_17partition_subalgoE9EllbEEZZNS1_14partition_implILS5_9ELb0ES3_jPlS8_PNS0_10empty_typeENS0_5tupleIJS8_S9_EEENSB_IJS8_SA_EEENS0_18inequality_wrapperIZN2at6native12_GLOBAL__N_124unique_dim_cuda_templateIdEESt5tupleIJNSF_6TensorESK_SK_EERKSK_lbbbEUlllE0_EEPmJS9_EEE10hipError_tPvRmT3_T4_T5_T6_T7_T9_mT8_P12ihipStream_tbDpT10_ENKUlT_T0_E_clISt17integral_constantIbLb1EES19_IbLb0EEEEDaS15_S16_EUlS15_E_NS1_11comp_targetILNS1_3genE2ELNS1_11target_archE906ELNS1_3gpuE6ELNS1_3repE0EEENS1_30default_config_static_selectorELNS0_4arch9wavefront6targetE1EEEvT1_.num_named_barrier, 0
	.set _ZN7rocprim17ROCPRIM_400000_NS6detail17trampoline_kernelINS0_14default_configENS1_25partition_config_selectorILNS1_17partition_subalgoE9EllbEEZZNS1_14partition_implILS5_9ELb0ES3_jPlS8_PNS0_10empty_typeENS0_5tupleIJS8_S9_EEENSB_IJS8_SA_EEENS0_18inequality_wrapperIZN2at6native12_GLOBAL__N_124unique_dim_cuda_templateIdEESt5tupleIJNSF_6TensorESK_SK_EERKSK_lbbbEUlllE0_EEPmJS9_EEE10hipError_tPvRmT3_T4_T5_T6_T7_T9_mT8_P12ihipStream_tbDpT10_ENKUlT_T0_E_clISt17integral_constantIbLb1EES19_IbLb0EEEEDaS15_S16_EUlS15_E_NS1_11comp_targetILNS1_3genE2ELNS1_11target_archE906ELNS1_3gpuE6ELNS1_3repE0EEENS1_30default_config_static_selectorELNS0_4arch9wavefront6targetE1EEEvT1_.private_seg_size, 0
	.set _ZN7rocprim17ROCPRIM_400000_NS6detail17trampoline_kernelINS0_14default_configENS1_25partition_config_selectorILNS1_17partition_subalgoE9EllbEEZZNS1_14partition_implILS5_9ELb0ES3_jPlS8_PNS0_10empty_typeENS0_5tupleIJS8_S9_EEENSB_IJS8_SA_EEENS0_18inequality_wrapperIZN2at6native12_GLOBAL__N_124unique_dim_cuda_templateIdEESt5tupleIJNSF_6TensorESK_SK_EERKSK_lbbbEUlllE0_EEPmJS9_EEE10hipError_tPvRmT3_T4_T5_T6_T7_T9_mT8_P12ihipStream_tbDpT10_ENKUlT_T0_E_clISt17integral_constantIbLb1EES19_IbLb0EEEEDaS15_S16_EUlS15_E_NS1_11comp_targetILNS1_3genE2ELNS1_11target_archE906ELNS1_3gpuE6ELNS1_3repE0EEENS1_30default_config_static_selectorELNS0_4arch9wavefront6targetE1EEEvT1_.uses_vcc, 0
	.set _ZN7rocprim17ROCPRIM_400000_NS6detail17trampoline_kernelINS0_14default_configENS1_25partition_config_selectorILNS1_17partition_subalgoE9EllbEEZZNS1_14partition_implILS5_9ELb0ES3_jPlS8_PNS0_10empty_typeENS0_5tupleIJS8_S9_EEENSB_IJS8_SA_EEENS0_18inequality_wrapperIZN2at6native12_GLOBAL__N_124unique_dim_cuda_templateIdEESt5tupleIJNSF_6TensorESK_SK_EERKSK_lbbbEUlllE0_EEPmJS9_EEE10hipError_tPvRmT3_T4_T5_T6_T7_T9_mT8_P12ihipStream_tbDpT10_ENKUlT_T0_E_clISt17integral_constantIbLb1EES19_IbLb0EEEEDaS15_S16_EUlS15_E_NS1_11comp_targetILNS1_3genE2ELNS1_11target_archE906ELNS1_3gpuE6ELNS1_3repE0EEENS1_30default_config_static_selectorELNS0_4arch9wavefront6targetE1EEEvT1_.uses_flat_scratch, 0
	.set _ZN7rocprim17ROCPRIM_400000_NS6detail17trampoline_kernelINS0_14default_configENS1_25partition_config_selectorILNS1_17partition_subalgoE9EllbEEZZNS1_14partition_implILS5_9ELb0ES3_jPlS8_PNS0_10empty_typeENS0_5tupleIJS8_S9_EEENSB_IJS8_SA_EEENS0_18inequality_wrapperIZN2at6native12_GLOBAL__N_124unique_dim_cuda_templateIdEESt5tupleIJNSF_6TensorESK_SK_EERKSK_lbbbEUlllE0_EEPmJS9_EEE10hipError_tPvRmT3_T4_T5_T6_T7_T9_mT8_P12ihipStream_tbDpT10_ENKUlT_T0_E_clISt17integral_constantIbLb1EES19_IbLb0EEEEDaS15_S16_EUlS15_E_NS1_11comp_targetILNS1_3genE2ELNS1_11target_archE906ELNS1_3gpuE6ELNS1_3repE0EEENS1_30default_config_static_selectorELNS0_4arch9wavefront6targetE1EEEvT1_.has_dyn_sized_stack, 0
	.set _ZN7rocprim17ROCPRIM_400000_NS6detail17trampoline_kernelINS0_14default_configENS1_25partition_config_selectorILNS1_17partition_subalgoE9EllbEEZZNS1_14partition_implILS5_9ELb0ES3_jPlS8_PNS0_10empty_typeENS0_5tupleIJS8_S9_EEENSB_IJS8_SA_EEENS0_18inequality_wrapperIZN2at6native12_GLOBAL__N_124unique_dim_cuda_templateIdEESt5tupleIJNSF_6TensorESK_SK_EERKSK_lbbbEUlllE0_EEPmJS9_EEE10hipError_tPvRmT3_T4_T5_T6_T7_T9_mT8_P12ihipStream_tbDpT10_ENKUlT_T0_E_clISt17integral_constantIbLb1EES19_IbLb0EEEEDaS15_S16_EUlS15_E_NS1_11comp_targetILNS1_3genE2ELNS1_11target_archE906ELNS1_3gpuE6ELNS1_3repE0EEENS1_30default_config_static_selectorELNS0_4arch9wavefront6targetE1EEEvT1_.has_recursion, 0
	.set _ZN7rocprim17ROCPRIM_400000_NS6detail17trampoline_kernelINS0_14default_configENS1_25partition_config_selectorILNS1_17partition_subalgoE9EllbEEZZNS1_14partition_implILS5_9ELb0ES3_jPlS8_PNS0_10empty_typeENS0_5tupleIJS8_S9_EEENSB_IJS8_SA_EEENS0_18inequality_wrapperIZN2at6native12_GLOBAL__N_124unique_dim_cuda_templateIdEESt5tupleIJNSF_6TensorESK_SK_EERKSK_lbbbEUlllE0_EEPmJS9_EEE10hipError_tPvRmT3_T4_T5_T6_T7_T9_mT8_P12ihipStream_tbDpT10_ENKUlT_T0_E_clISt17integral_constantIbLb1EES19_IbLb0EEEEDaS15_S16_EUlS15_E_NS1_11comp_targetILNS1_3genE2ELNS1_11target_archE906ELNS1_3gpuE6ELNS1_3repE0EEENS1_30default_config_static_selectorELNS0_4arch9wavefront6targetE1EEEvT1_.has_indirect_call, 0
	.section	.AMDGPU.csdata,"",@progbits
; Kernel info:
; codeLenInByte = 0
; TotalNumSgprs: 6
; NumVgprs: 0
; NumAgprs: 0
; TotalNumVgprs: 0
; ScratchSize: 0
; MemoryBound: 0
; FloatMode: 240
; IeeeMode: 1
; LDSByteSize: 0 bytes/workgroup (compile time only)
; SGPRBlocks: 0
; VGPRBlocks: 0
; NumSGPRsForWavesPerEU: 6
; NumVGPRsForWavesPerEU: 1
; AccumOffset: 4
; Occupancy: 8
; WaveLimiterHint : 0
; COMPUTE_PGM_RSRC2:SCRATCH_EN: 0
; COMPUTE_PGM_RSRC2:USER_SGPR: 2
; COMPUTE_PGM_RSRC2:TRAP_HANDLER: 0
; COMPUTE_PGM_RSRC2:TGID_X_EN: 1
; COMPUTE_PGM_RSRC2:TGID_Y_EN: 0
; COMPUTE_PGM_RSRC2:TGID_Z_EN: 0
; COMPUTE_PGM_RSRC2:TIDIG_COMP_CNT: 0
; COMPUTE_PGM_RSRC3_GFX90A:ACCUM_OFFSET: 0
; COMPUTE_PGM_RSRC3_GFX90A:TG_SPLIT: 0
	.section	.text._ZN7rocprim17ROCPRIM_400000_NS6detail17trampoline_kernelINS0_14default_configENS1_25partition_config_selectorILNS1_17partition_subalgoE9EllbEEZZNS1_14partition_implILS5_9ELb0ES3_jPlS8_PNS0_10empty_typeENS0_5tupleIJS8_S9_EEENSB_IJS8_SA_EEENS0_18inequality_wrapperIZN2at6native12_GLOBAL__N_124unique_dim_cuda_templateIdEESt5tupleIJNSF_6TensorESK_SK_EERKSK_lbbbEUlllE0_EEPmJS9_EEE10hipError_tPvRmT3_T4_T5_T6_T7_T9_mT8_P12ihipStream_tbDpT10_ENKUlT_T0_E_clISt17integral_constantIbLb1EES19_IbLb0EEEEDaS15_S16_EUlS15_E_NS1_11comp_targetILNS1_3genE10ELNS1_11target_archE1200ELNS1_3gpuE4ELNS1_3repE0EEENS1_30default_config_static_selectorELNS0_4arch9wavefront6targetE1EEEvT1_,"axG",@progbits,_ZN7rocprim17ROCPRIM_400000_NS6detail17trampoline_kernelINS0_14default_configENS1_25partition_config_selectorILNS1_17partition_subalgoE9EllbEEZZNS1_14partition_implILS5_9ELb0ES3_jPlS8_PNS0_10empty_typeENS0_5tupleIJS8_S9_EEENSB_IJS8_SA_EEENS0_18inequality_wrapperIZN2at6native12_GLOBAL__N_124unique_dim_cuda_templateIdEESt5tupleIJNSF_6TensorESK_SK_EERKSK_lbbbEUlllE0_EEPmJS9_EEE10hipError_tPvRmT3_T4_T5_T6_T7_T9_mT8_P12ihipStream_tbDpT10_ENKUlT_T0_E_clISt17integral_constantIbLb1EES19_IbLb0EEEEDaS15_S16_EUlS15_E_NS1_11comp_targetILNS1_3genE10ELNS1_11target_archE1200ELNS1_3gpuE4ELNS1_3repE0EEENS1_30default_config_static_selectorELNS0_4arch9wavefront6targetE1EEEvT1_,comdat
	.globl	_ZN7rocprim17ROCPRIM_400000_NS6detail17trampoline_kernelINS0_14default_configENS1_25partition_config_selectorILNS1_17partition_subalgoE9EllbEEZZNS1_14partition_implILS5_9ELb0ES3_jPlS8_PNS0_10empty_typeENS0_5tupleIJS8_S9_EEENSB_IJS8_SA_EEENS0_18inequality_wrapperIZN2at6native12_GLOBAL__N_124unique_dim_cuda_templateIdEESt5tupleIJNSF_6TensorESK_SK_EERKSK_lbbbEUlllE0_EEPmJS9_EEE10hipError_tPvRmT3_T4_T5_T6_T7_T9_mT8_P12ihipStream_tbDpT10_ENKUlT_T0_E_clISt17integral_constantIbLb1EES19_IbLb0EEEEDaS15_S16_EUlS15_E_NS1_11comp_targetILNS1_3genE10ELNS1_11target_archE1200ELNS1_3gpuE4ELNS1_3repE0EEENS1_30default_config_static_selectorELNS0_4arch9wavefront6targetE1EEEvT1_ ; -- Begin function _ZN7rocprim17ROCPRIM_400000_NS6detail17trampoline_kernelINS0_14default_configENS1_25partition_config_selectorILNS1_17partition_subalgoE9EllbEEZZNS1_14partition_implILS5_9ELb0ES3_jPlS8_PNS0_10empty_typeENS0_5tupleIJS8_S9_EEENSB_IJS8_SA_EEENS0_18inequality_wrapperIZN2at6native12_GLOBAL__N_124unique_dim_cuda_templateIdEESt5tupleIJNSF_6TensorESK_SK_EERKSK_lbbbEUlllE0_EEPmJS9_EEE10hipError_tPvRmT3_T4_T5_T6_T7_T9_mT8_P12ihipStream_tbDpT10_ENKUlT_T0_E_clISt17integral_constantIbLb1EES19_IbLb0EEEEDaS15_S16_EUlS15_E_NS1_11comp_targetILNS1_3genE10ELNS1_11target_archE1200ELNS1_3gpuE4ELNS1_3repE0EEENS1_30default_config_static_selectorELNS0_4arch9wavefront6targetE1EEEvT1_
	.p2align	8
	.type	_ZN7rocprim17ROCPRIM_400000_NS6detail17trampoline_kernelINS0_14default_configENS1_25partition_config_selectorILNS1_17partition_subalgoE9EllbEEZZNS1_14partition_implILS5_9ELb0ES3_jPlS8_PNS0_10empty_typeENS0_5tupleIJS8_S9_EEENSB_IJS8_SA_EEENS0_18inequality_wrapperIZN2at6native12_GLOBAL__N_124unique_dim_cuda_templateIdEESt5tupleIJNSF_6TensorESK_SK_EERKSK_lbbbEUlllE0_EEPmJS9_EEE10hipError_tPvRmT3_T4_T5_T6_T7_T9_mT8_P12ihipStream_tbDpT10_ENKUlT_T0_E_clISt17integral_constantIbLb1EES19_IbLb0EEEEDaS15_S16_EUlS15_E_NS1_11comp_targetILNS1_3genE10ELNS1_11target_archE1200ELNS1_3gpuE4ELNS1_3repE0EEENS1_30default_config_static_selectorELNS0_4arch9wavefront6targetE1EEEvT1_,@function
_ZN7rocprim17ROCPRIM_400000_NS6detail17trampoline_kernelINS0_14default_configENS1_25partition_config_selectorILNS1_17partition_subalgoE9EllbEEZZNS1_14partition_implILS5_9ELb0ES3_jPlS8_PNS0_10empty_typeENS0_5tupleIJS8_S9_EEENSB_IJS8_SA_EEENS0_18inequality_wrapperIZN2at6native12_GLOBAL__N_124unique_dim_cuda_templateIdEESt5tupleIJNSF_6TensorESK_SK_EERKSK_lbbbEUlllE0_EEPmJS9_EEE10hipError_tPvRmT3_T4_T5_T6_T7_T9_mT8_P12ihipStream_tbDpT10_ENKUlT_T0_E_clISt17integral_constantIbLb1EES19_IbLb0EEEEDaS15_S16_EUlS15_E_NS1_11comp_targetILNS1_3genE10ELNS1_11target_archE1200ELNS1_3gpuE4ELNS1_3repE0EEENS1_30default_config_static_selectorELNS0_4arch9wavefront6targetE1EEEvT1_: ; @_ZN7rocprim17ROCPRIM_400000_NS6detail17trampoline_kernelINS0_14default_configENS1_25partition_config_selectorILNS1_17partition_subalgoE9EllbEEZZNS1_14partition_implILS5_9ELb0ES3_jPlS8_PNS0_10empty_typeENS0_5tupleIJS8_S9_EEENSB_IJS8_SA_EEENS0_18inequality_wrapperIZN2at6native12_GLOBAL__N_124unique_dim_cuda_templateIdEESt5tupleIJNSF_6TensorESK_SK_EERKSK_lbbbEUlllE0_EEPmJS9_EEE10hipError_tPvRmT3_T4_T5_T6_T7_T9_mT8_P12ihipStream_tbDpT10_ENKUlT_T0_E_clISt17integral_constantIbLb1EES19_IbLb0EEEEDaS15_S16_EUlS15_E_NS1_11comp_targetILNS1_3genE10ELNS1_11target_archE1200ELNS1_3gpuE4ELNS1_3repE0EEENS1_30default_config_static_selectorELNS0_4arch9wavefront6targetE1EEEvT1_
; %bb.0:
	.section	.rodata,"a",@progbits
	.p2align	6, 0x0
	.amdhsa_kernel _ZN7rocprim17ROCPRIM_400000_NS6detail17trampoline_kernelINS0_14default_configENS1_25partition_config_selectorILNS1_17partition_subalgoE9EllbEEZZNS1_14partition_implILS5_9ELb0ES3_jPlS8_PNS0_10empty_typeENS0_5tupleIJS8_S9_EEENSB_IJS8_SA_EEENS0_18inequality_wrapperIZN2at6native12_GLOBAL__N_124unique_dim_cuda_templateIdEESt5tupleIJNSF_6TensorESK_SK_EERKSK_lbbbEUlllE0_EEPmJS9_EEE10hipError_tPvRmT3_T4_T5_T6_T7_T9_mT8_P12ihipStream_tbDpT10_ENKUlT_T0_E_clISt17integral_constantIbLb1EES19_IbLb0EEEEDaS15_S16_EUlS15_E_NS1_11comp_targetILNS1_3genE10ELNS1_11target_archE1200ELNS1_3gpuE4ELNS1_3repE0EEENS1_30default_config_static_selectorELNS0_4arch9wavefront6targetE1EEEvT1_
		.amdhsa_group_segment_fixed_size 0
		.amdhsa_private_segment_fixed_size 0
		.amdhsa_kernarg_size 120
		.amdhsa_user_sgpr_count 2
		.amdhsa_user_sgpr_dispatch_ptr 0
		.amdhsa_user_sgpr_queue_ptr 0
		.amdhsa_user_sgpr_kernarg_segment_ptr 1
		.amdhsa_user_sgpr_dispatch_id 0
		.amdhsa_user_sgpr_kernarg_preload_length 0
		.amdhsa_user_sgpr_kernarg_preload_offset 0
		.amdhsa_user_sgpr_private_segment_size 0
		.amdhsa_uses_dynamic_stack 0
		.amdhsa_enable_private_segment 0
		.amdhsa_system_sgpr_workgroup_id_x 1
		.amdhsa_system_sgpr_workgroup_id_y 0
		.amdhsa_system_sgpr_workgroup_id_z 0
		.amdhsa_system_sgpr_workgroup_info 0
		.amdhsa_system_vgpr_workitem_id 0
		.amdhsa_next_free_vgpr 1
		.amdhsa_next_free_sgpr 0
		.amdhsa_accum_offset 4
		.amdhsa_reserve_vcc 0
		.amdhsa_float_round_mode_32 0
		.amdhsa_float_round_mode_16_64 0
		.amdhsa_float_denorm_mode_32 3
		.amdhsa_float_denorm_mode_16_64 3
		.amdhsa_dx10_clamp 1
		.amdhsa_ieee_mode 1
		.amdhsa_fp16_overflow 0
		.amdhsa_tg_split 0
		.amdhsa_exception_fp_ieee_invalid_op 0
		.amdhsa_exception_fp_denorm_src 0
		.amdhsa_exception_fp_ieee_div_zero 0
		.amdhsa_exception_fp_ieee_overflow 0
		.amdhsa_exception_fp_ieee_underflow 0
		.amdhsa_exception_fp_ieee_inexact 0
		.amdhsa_exception_int_div_zero 0
	.end_amdhsa_kernel
	.section	.text._ZN7rocprim17ROCPRIM_400000_NS6detail17trampoline_kernelINS0_14default_configENS1_25partition_config_selectorILNS1_17partition_subalgoE9EllbEEZZNS1_14partition_implILS5_9ELb0ES3_jPlS8_PNS0_10empty_typeENS0_5tupleIJS8_S9_EEENSB_IJS8_SA_EEENS0_18inequality_wrapperIZN2at6native12_GLOBAL__N_124unique_dim_cuda_templateIdEESt5tupleIJNSF_6TensorESK_SK_EERKSK_lbbbEUlllE0_EEPmJS9_EEE10hipError_tPvRmT3_T4_T5_T6_T7_T9_mT8_P12ihipStream_tbDpT10_ENKUlT_T0_E_clISt17integral_constantIbLb1EES19_IbLb0EEEEDaS15_S16_EUlS15_E_NS1_11comp_targetILNS1_3genE10ELNS1_11target_archE1200ELNS1_3gpuE4ELNS1_3repE0EEENS1_30default_config_static_selectorELNS0_4arch9wavefront6targetE1EEEvT1_,"axG",@progbits,_ZN7rocprim17ROCPRIM_400000_NS6detail17trampoline_kernelINS0_14default_configENS1_25partition_config_selectorILNS1_17partition_subalgoE9EllbEEZZNS1_14partition_implILS5_9ELb0ES3_jPlS8_PNS0_10empty_typeENS0_5tupleIJS8_S9_EEENSB_IJS8_SA_EEENS0_18inequality_wrapperIZN2at6native12_GLOBAL__N_124unique_dim_cuda_templateIdEESt5tupleIJNSF_6TensorESK_SK_EERKSK_lbbbEUlllE0_EEPmJS9_EEE10hipError_tPvRmT3_T4_T5_T6_T7_T9_mT8_P12ihipStream_tbDpT10_ENKUlT_T0_E_clISt17integral_constantIbLb1EES19_IbLb0EEEEDaS15_S16_EUlS15_E_NS1_11comp_targetILNS1_3genE10ELNS1_11target_archE1200ELNS1_3gpuE4ELNS1_3repE0EEENS1_30default_config_static_selectorELNS0_4arch9wavefront6targetE1EEEvT1_,comdat
.Lfunc_end860:
	.size	_ZN7rocprim17ROCPRIM_400000_NS6detail17trampoline_kernelINS0_14default_configENS1_25partition_config_selectorILNS1_17partition_subalgoE9EllbEEZZNS1_14partition_implILS5_9ELb0ES3_jPlS8_PNS0_10empty_typeENS0_5tupleIJS8_S9_EEENSB_IJS8_SA_EEENS0_18inequality_wrapperIZN2at6native12_GLOBAL__N_124unique_dim_cuda_templateIdEESt5tupleIJNSF_6TensorESK_SK_EERKSK_lbbbEUlllE0_EEPmJS9_EEE10hipError_tPvRmT3_T4_T5_T6_T7_T9_mT8_P12ihipStream_tbDpT10_ENKUlT_T0_E_clISt17integral_constantIbLb1EES19_IbLb0EEEEDaS15_S16_EUlS15_E_NS1_11comp_targetILNS1_3genE10ELNS1_11target_archE1200ELNS1_3gpuE4ELNS1_3repE0EEENS1_30default_config_static_selectorELNS0_4arch9wavefront6targetE1EEEvT1_, .Lfunc_end860-_ZN7rocprim17ROCPRIM_400000_NS6detail17trampoline_kernelINS0_14default_configENS1_25partition_config_selectorILNS1_17partition_subalgoE9EllbEEZZNS1_14partition_implILS5_9ELb0ES3_jPlS8_PNS0_10empty_typeENS0_5tupleIJS8_S9_EEENSB_IJS8_SA_EEENS0_18inequality_wrapperIZN2at6native12_GLOBAL__N_124unique_dim_cuda_templateIdEESt5tupleIJNSF_6TensorESK_SK_EERKSK_lbbbEUlllE0_EEPmJS9_EEE10hipError_tPvRmT3_T4_T5_T6_T7_T9_mT8_P12ihipStream_tbDpT10_ENKUlT_T0_E_clISt17integral_constantIbLb1EES19_IbLb0EEEEDaS15_S16_EUlS15_E_NS1_11comp_targetILNS1_3genE10ELNS1_11target_archE1200ELNS1_3gpuE4ELNS1_3repE0EEENS1_30default_config_static_selectorELNS0_4arch9wavefront6targetE1EEEvT1_
                                        ; -- End function
	.set _ZN7rocprim17ROCPRIM_400000_NS6detail17trampoline_kernelINS0_14default_configENS1_25partition_config_selectorILNS1_17partition_subalgoE9EllbEEZZNS1_14partition_implILS5_9ELb0ES3_jPlS8_PNS0_10empty_typeENS0_5tupleIJS8_S9_EEENSB_IJS8_SA_EEENS0_18inequality_wrapperIZN2at6native12_GLOBAL__N_124unique_dim_cuda_templateIdEESt5tupleIJNSF_6TensorESK_SK_EERKSK_lbbbEUlllE0_EEPmJS9_EEE10hipError_tPvRmT3_T4_T5_T6_T7_T9_mT8_P12ihipStream_tbDpT10_ENKUlT_T0_E_clISt17integral_constantIbLb1EES19_IbLb0EEEEDaS15_S16_EUlS15_E_NS1_11comp_targetILNS1_3genE10ELNS1_11target_archE1200ELNS1_3gpuE4ELNS1_3repE0EEENS1_30default_config_static_selectorELNS0_4arch9wavefront6targetE1EEEvT1_.num_vgpr, 0
	.set _ZN7rocprim17ROCPRIM_400000_NS6detail17trampoline_kernelINS0_14default_configENS1_25partition_config_selectorILNS1_17partition_subalgoE9EllbEEZZNS1_14partition_implILS5_9ELb0ES3_jPlS8_PNS0_10empty_typeENS0_5tupleIJS8_S9_EEENSB_IJS8_SA_EEENS0_18inequality_wrapperIZN2at6native12_GLOBAL__N_124unique_dim_cuda_templateIdEESt5tupleIJNSF_6TensorESK_SK_EERKSK_lbbbEUlllE0_EEPmJS9_EEE10hipError_tPvRmT3_T4_T5_T6_T7_T9_mT8_P12ihipStream_tbDpT10_ENKUlT_T0_E_clISt17integral_constantIbLb1EES19_IbLb0EEEEDaS15_S16_EUlS15_E_NS1_11comp_targetILNS1_3genE10ELNS1_11target_archE1200ELNS1_3gpuE4ELNS1_3repE0EEENS1_30default_config_static_selectorELNS0_4arch9wavefront6targetE1EEEvT1_.num_agpr, 0
	.set _ZN7rocprim17ROCPRIM_400000_NS6detail17trampoline_kernelINS0_14default_configENS1_25partition_config_selectorILNS1_17partition_subalgoE9EllbEEZZNS1_14partition_implILS5_9ELb0ES3_jPlS8_PNS0_10empty_typeENS0_5tupleIJS8_S9_EEENSB_IJS8_SA_EEENS0_18inequality_wrapperIZN2at6native12_GLOBAL__N_124unique_dim_cuda_templateIdEESt5tupleIJNSF_6TensorESK_SK_EERKSK_lbbbEUlllE0_EEPmJS9_EEE10hipError_tPvRmT3_T4_T5_T6_T7_T9_mT8_P12ihipStream_tbDpT10_ENKUlT_T0_E_clISt17integral_constantIbLb1EES19_IbLb0EEEEDaS15_S16_EUlS15_E_NS1_11comp_targetILNS1_3genE10ELNS1_11target_archE1200ELNS1_3gpuE4ELNS1_3repE0EEENS1_30default_config_static_selectorELNS0_4arch9wavefront6targetE1EEEvT1_.numbered_sgpr, 0
	.set _ZN7rocprim17ROCPRIM_400000_NS6detail17trampoline_kernelINS0_14default_configENS1_25partition_config_selectorILNS1_17partition_subalgoE9EllbEEZZNS1_14partition_implILS5_9ELb0ES3_jPlS8_PNS0_10empty_typeENS0_5tupleIJS8_S9_EEENSB_IJS8_SA_EEENS0_18inequality_wrapperIZN2at6native12_GLOBAL__N_124unique_dim_cuda_templateIdEESt5tupleIJNSF_6TensorESK_SK_EERKSK_lbbbEUlllE0_EEPmJS9_EEE10hipError_tPvRmT3_T4_T5_T6_T7_T9_mT8_P12ihipStream_tbDpT10_ENKUlT_T0_E_clISt17integral_constantIbLb1EES19_IbLb0EEEEDaS15_S16_EUlS15_E_NS1_11comp_targetILNS1_3genE10ELNS1_11target_archE1200ELNS1_3gpuE4ELNS1_3repE0EEENS1_30default_config_static_selectorELNS0_4arch9wavefront6targetE1EEEvT1_.num_named_barrier, 0
	.set _ZN7rocprim17ROCPRIM_400000_NS6detail17trampoline_kernelINS0_14default_configENS1_25partition_config_selectorILNS1_17partition_subalgoE9EllbEEZZNS1_14partition_implILS5_9ELb0ES3_jPlS8_PNS0_10empty_typeENS0_5tupleIJS8_S9_EEENSB_IJS8_SA_EEENS0_18inequality_wrapperIZN2at6native12_GLOBAL__N_124unique_dim_cuda_templateIdEESt5tupleIJNSF_6TensorESK_SK_EERKSK_lbbbEUlllE0_EEPmJS9_EEE10hipError_tPvRmT3_T4_T5_T6_T7_T9_mT8_P12ihipStream_tbDpT10_ENKUlT_T0_E_clISt17integral_constantIbLb1EES19_IbLb0EEEEDaS15_S16_EUlS15_E_NS1_11comp_targetILNS1_3genE10ELNS1_11target_archE1200ELNS1_3gpuE4ELNS1_3repE0EEENS1_30default_config_static_selectorELNS0_4arch9wavefront6targetE1EEEvT1_.private_seg_size, 0
	.set _ZN7rocprim17ROCPRIM_400000_NS6detail17trampoline_kernelINS0_14default_configENS1_25partition_config_selectorILNS1_17partition_subalgoE9EllbEEZZNS1_14partition_implILS5_9ELb0ES3_jPlS8_PNS0_10empty_typeENS0_5tupleIJS8_S9_EEENSB_IJS8_SA_EEENS0_18inequality_wrapperIZN2at6native12_GLOBAL__N_124unique_dim_cuda_templateIdEESt5tupleIJNSF_6TensorESK_SK_EERKSK_lbbbEUlllE0_EEPmJS9_EEE10hipError_tPvRmT3_T4_T5_T6_T7_T9_mT8_P12ihipStream_tbDpT10_ENKUlT_T0_E_clISt17integral_constantIbLb1EES19_IbLb0EEEEDaS15_S16_EUlS15_E_NS1_11comp_targetILNS1_3genE10ELNS1_11target_archE1200ELNS1_3gpuE4ELNS1_3repE0EEENS1_30default_config_static_selectorELNS0_4arch9wavefront6targetE1EEEvT1_.uses_vcc, 0
	.set _ZN7rocprim17ROCPRIM_400000_NS6detail17trampoline_kernelINS0_14default_configENS1_25partition_config_selectorILNS1_17partition_subalgoE9EllbEEZZNS1_14partition_implILS5_9ELb0ES3_jPlS8_PNS0_10empty_typeENS0_5tupleIJS8_S9_EEENSB_IJS8_SA_EEENS0_18inequality_wrapperIZN2at6native12_GLOBAL__N_124unique_dim_cuda_templateIdEESt5tupleIJNSF_6TensorESK_SK_EERKSK_lbbbEUlllE0_EEPmJS9_EEE10hipError_tPvRmT3_T4_T5_T6_T7_T9_mT8_P12ihipStream_tbDpT10_ENKUlT_T0_E_clISt17integral_constantIbLb1EES19_IbLb0EEEEDaS15_S16_EUlS15_E_NS1_11comp_targetILNS1_3genE10ELNS1_11target_archE1200ELNS1_3gpuE4ELNS1_3repE0EEENS1_30default_config_static_selectorELNS0_4arch9wavefront6targetE1EEEvT1_.uses_flat_scratch, 0
	.set _ZN7rocprim17ROCPRIM_400000_NS6detail17trampoline_kernelINS0_14default_configENS1_25partition_config_selectorILNS1_17partition_subalgoE9EllbEEZZNS1_14partition_implILS5_9ELb0ES3_jPlS8_PNS0_10empty_typeENS0_5tupleIJS8_S9_EEENSB_IJS8_SA_EEENS0_18inequality_wrapperIZN2at6native12_GLOBAL__N_124unique_dim_cuda_templateIdEESt5tupleIJNSF_6TensorESK_SK_EERKSK_lbbbEUlllE0_EEPmJS9_EEE10hipError_tPvRmT3_T4_T5_T6_T7_T9_mT8_P12ihipStream_tbDpT10_ENKUlT_T0_E_clISt17integral_constantIbLb1EES19_IbLb0EEEEDaS15_S16_EUlS15_E_NS1_11comp_targetILNS1_3genE10ELNS1_11target_archE1200ELNS1_3gpuE4ELNS1_3repE0EEENS1_30default_config_static_selectorELNS0_4arch9wavefront6targetE1EEEvT1_.has_dyn_sized_stack, 0
	.set _ZN7rocprim17ROCPRIM_400000_NS6detail17trampoline_kernelINS0_14default_configENS1_25partition_config_selectorILNS1_17partition_subalgoE9EllbEEZZNS1_14partition_implILS5_9ELb0ES3_jPlS8_PNS0_10empty_typeENS0_5tupleIJS8_S9_EEENSB_IJS8_SA_EEENS0_18inequality_wrapperIZN2at6native12_GLOBAL__N_124unique_dim_cuda_templateIdEESt5tupleIJNSF_6TensorESK_SK_EERKSK_lbbbEUlllE0_EEPmJS9_EEE10hipError_tPvRmT3_T4_T5_T6_T7_T9_mT8_P12ihipStream_tbDpT10_ENKUlT_T0_E_clISt17integral_constantIbLb1EES19_IbLb0EEEEDaS15_S16_EUlS15_E_NS1_11comp_targetILNS1_3genE10ELNS1_11target_archE1200ELNS1_3gpuE4ELNS1_3repE0EEENS1_30default_config_static_selectorELNS0_4arch9wavefront6targetE1EEEvT1_.has_recursion, 0
	.set _ZN7rocprim17ROCPRIM_400000_NS6detail17trampoline_kernelINS0_14default_configENS1_25partition_config_selectorILNS1_17partition_subalgoE9EllbEEZZNS1_14partition_implILS5_9ELb0ES3_jPlS8_PNS0_10empty_typeENS0_5tupleIJS8_S9_EEENSB_IJS8_SA_EEENS0_18inequality_wrapperIZN2at6native12_GLOBAL__N_124unique_dim_cuda_templateIdEESt5tupleIJNSF_6TensorESK_SK_EERKSK_lbbbEUlllE0_EEPmJS9_EEE10hipError_tPvRmT3_T4_T5_T6_T7_T9_mT8_P12ihipStream_tbDpT10_ENKUlT_T0_E_clISt17integral_constantIbLb1EES19_IbLb0EEEEDaS15_S16_EUlS15_E_NS1_11comp_targetILNS1_3genE10ELNS1_11target_archE1200ELNS1_3gpuE4ELNS1_3repE0EEENS1_30default_config_static_selectorELNS0_4arch9wavefront6targetE1EEEvT1_.has_indirect_call, 0
	.section	.AMDGPU.csdata,"",@progbits
; Kernel info:
; codeLenInByte = 0
; TotalNumSgprs: 6
; NumVgprs: 0
; NumAgprs: 0
; TotalNumVgprs: 0
; ScratchSize: 0
; MemoryBound: 0
; FloatMode: 240
; IeeeMode: 1
; LDSByteSize: 0 bytes/workgroup (compile time only)
; SGPRBlocks: 0
; VGPRBlocks: 0
; NumSGPRsForWavesPerEU: 6
; NumVGPRsForWavesPerEU: 1
; AccumOffset: 4
; Occupancy: 8
; WaveLimiterHint : 0
; COMPUTE_PGM_RSRC2:SCRATCH_EN: 0
; COMPUTE_PGM_RSRC2:USER_SGPR: 2
; COMPUTE_PGM_RSRC2:TRAP_HANDLER: 0
; COMPUTE_PGM_RSRC2:TGID_X_EN: 1
; COMPUTE_PGM_RSRC2:TGID_Y_EN: 0
; COMPUTE_PGM_RSRC2:TGID_Z_EN: 0
; COMPUTE_PGM_RSRC2:TIDIG_COMP_CNT: 0
; COMPUTE_PGM_RSRC3_GFX90A:ACCUM_OFFSET: 0
; COMPUTE_PGM_RSRC3_GFX90A:TG_SPLIT: 0
	.section	.text._ZN7rocprim17ROCPRIM_400000_NS6detail17trampoline_kernelINS0_14default_configENS1_25partition_config_selectorILNS1_17partition_subalgoE9EllbEEZZNS1_14partition_implILS5_9ELb0ES3_jPlS8_PNS0_10empty_typeENS0_5tupleIJS8_S9_EEENSB_IJS8_SA_EEENS0_18inequality_wrapperIZN2at6native12_GLOBAL__N_124unique_dim_cuda_templateIdEESt5tupleIJNSF_6TensorESK_SK_EERKSK_lbbbEUlllE0_EEPmJS9_EEE10hipError_tPvRmT3_T4_T5_T6_T7_T9_mT8_P12ihipStream_tbDpT10_ENKUlT_T0_E_clISt17integral_constantIbLb1EES19_IbLb0EEEEDaS15_S16_EUlS15_E_NS1_11comp_targetILNS1_3genE9ELNS1_11target_archE1100ELNS1_3gpuE3ELNS1_3repE0EEENS1_30default_config_static_selectorELNS0_4arch9wavefront6targetE1EEEvT1_,"axG",@progbits,_ZN7rocprim17ROCPRIM_400000_NS6detail17trampoline_kernelINS0_14default_configENS1_25partition_config_selectorILNS1_17partition_subalgoE9EllbEEZZNS1_14partition_implILS5_9ELb0ES3_jPlS8_PNS0_10empty_typeENS0_5tupleIJS8_S9_EEENSB_IJS8_SA_EEENS0_18inequality_wrapperIZN2at6native12_GLOBAL__N_124unique_dim_cuda_templateIdEESt5tupleIJNSF_6TensorESK_SK_EERKSK_lbbbEUlllE0_EEPmJS9_EEE10hipError_tPvRmT3_T4_T5_T6_T7_T9_mT8_P12ihipStream_tbDpT10_ENKUlT_T0_E_clISt17integral_constantIbLb1EES19_IbLb0EEEEDaS15_S16_EUlS15_E_NS1_11comp_targetILNS1_3genE9ELNS1_11target_archE1100ELNS1_3gpuE3ELNS1_3repE0EEENS1_30default_config_static_selectorELNS0_4arch9wavefront6targetE1EEEvT1_,comdat
	.globl	_ZN7rocprim17ROCPRIM_400000_NS6detail17trampoline_kernelINS0_14default_configENS1_25partition_config_selectorILNS1_17partition_subalgoE9EllbEEZZNS1_14partition_implILS5_9ELb0ES3_jPlS8_PNS0_10empty_typeENS0_5tupleIJS8_S9_EEENSB_IJS8_SA_EEENS0_18inequality_wrapperIZN2at6native12_GLOBAL__N_124unique_dim_cuda_templateIdEESt5tupleIJNSF_6TensorESK_SK_EERKSK_lbbbEUlllE0_EEPmJS9_EEE10hipError_tPvRmT3_T4_T5_T6_T7_T9_mT8_P12ihipStream_tbDpT10_ENKUlT_T0_E_clISt17integral_constantIbLb1EES19_IbLb0EEEEDaS15_S16_EUlS15_E_NS1_11comp_targetILNS1_3genE9ELNS1_11target_archE1100ELNS1_3gpuE3ELNS1_3repE0EEENS1_30default_config_static_selectorELNS0_4arch9wavefront6targetE1EEEvT1_ ; -- Begin function _ZN7rocprim17ROCPRIM_400000_NS6detail17trampoline_kernelINS0_14default_configENS1_25partition_config_selectorILNS1_17partition_subalgoE9EllbEEZZNS1_14partition_implILS5_9ELb0ES3_jPlS8_PNS0_10empty_typeENS0_5tupleIJS8_S9_EEENSB_IJS8_SA_EEENS0_18inequality_wrapperIZN2at6native12_GLOBAL__N_124unique_dim_cuda_templateIdEESt5tupleIJNSF_6TensorESK_SK_EERKSK_lbbbEUlllE0_EEPmJS9_EEE10hipError_tPvRmT3_T4_T5_T6_T7_T9_mT8_P12ihipStream_tbDpT10_ENKUlT_T0_E_clISt17integral_constantIbLb1EES19_IbLb0EEEEDaS15_S16_EUlS15_E_NS1_11comp_targetILNS1_3genE9ELNS1_11target_archE1100ELNS1_3gpuE3ELNS1_3repE0EEENS1_30default_config_static_selectorELNS0_4arch9wavefront6targetE1EEEvT1_
	.p2align	8
	.type	_ZN7rocprim17ROCPRIM_400000_NS6detail17trampoline_kernelINS0_14default_configENS1_25partition_config_selectorILNS1_17partition_subalgoE9EllbEEZZNS1_14partition_implILS5_9ELb0ES3_jPlS8_PNS0_10empty_typeENS0_5tupleIJS8_S9_EEENSB_IJS8_SA_EEENS0_18inequality_wrapperIZN2at6native12_GLOBAL__N_124unique_dim_cuda_templateIdEESt5tupleIJNSF_6TensorESK_SK_EERKSK_lbbbEUlllE0_EEPmJS9_EEE10hipError_tPvRmT3_T4_T5_T6_T7_T9_mT8_P12ihipStream_tbDpT10_ENKUlT_T0_E_clISt17integral_constantIbLb1EES19_IbLb0EEEEDaS15_S16_EUlS15_E_NS1_11comp_targetILNS1_3genE9ELNS1_11target_archE1100ELNS1_3gpuE3ELNS1_3repE0EEENS1_30default_config_static_selectorELNS0_4arch9wavefront6targetE1EEEvT1_,@function
_ZN7rocprim17ROCPRIM_400000_NS6detail17trampoline_kernelINS0_14default_configENS1_25partition_config_selectorILNS1_17partition_subalgoE9EllbEEZZNS1_14partition_implILS5_9ELb0ES3_jPlS8_PNS0_10empty_typeENS0_5tupleIJS8_S9_EEENSB_IJS8_SA_EEENS0_18inequality_wrapperIZN2at6native12_GLOBAL__N_124unique_dim_cuda_templateIdEESt5tupleIJNSF_6TensorESK_SK_EERKSK_lbbbEUlllE0_EEPmJS9_EEE10hipError_tPvRmT3_T4_T5_T6_T7_T9_mT8_P12ihipStream_tbDpT10_ENKUlT_T0_E_clISt17integral_constantIbLb1EES19_IbLb0EEEEDaS15_S16_EUlS15_E_NS1_11comp_targetILNS1_3genE9ELNS1_11target_archE1100ELNS1_3gpuE3ELNS1_3repE0EEENS1_30default_config_static_selectorELNS0_4arch9wavefront6targetE1EEEvT1_: ; @_ZN7rocprim17ROCPRIM_400000_NS6detail17trampoline_kernelINS0_14default_configENS1_25partition_config_selectorILNS1_17partition_subalgoE9EllbEEZZNS1_14partition_implILS5_9ELb0ES3_jPlS8_PNS0_10empty_typeENS0_5tupleIJS8_S9_EEENSB_IJS8_SA_EEENS0_18inequality_wrapperIZN2at6native12_GLOBAL__N_124unique_dim_cuda_templateIdEESt5tupleIJNSF_6TensorESK_SK_EERKSK_lbbbEUlllE0_EEPmJS9_EEE10hipError_tPvRmT3_T4_T5_T6_T7_T9_mT8_P12ihipStream_tbDpT10_ENKUlT_T0_E_clISt17integral_constantIbLb1EES19_IbLb0EEEEDaS15_S16_EUlS15_E_NS1_11comp_targetILNS1_3genE9ELNS1_11target_archE1100ELNS1_3gpuE3ELNS1_3repE0EEENS1_30default_config_static_selectorELNS0_4arch9wavefront6targetE1EEEvT1_
; %bb.0:
	.section	.rodata,"a",@progbits
	.p2align	6, 0x0
	.amdhsa_kernel _ZN7rocprim17ROCPRIM_400000_NS6detail17trampoline_kernelINS0_14default_configENS1_25partition_config_selectorILNS1_17partition_subalgoE9EllbEEZZNS1_14partition_implILS5_9ELb0ES3_jPlS8_PNS0_10empty_typeENS0_5tupleIJS8_S9_EEENSB_IJS8_SA_EEENS0_18inequality_wrapperIZN2at6native12_GLOBAL__N_124unique_dim_cuda_templateIdEESt5tupleIJNSF_6TensorESK_SK_EERKSK_lbbbEUlllE0_EEPmJS9_EEE10hipError_tPvRmT3_T4_T5_T6_T7_T9_mT8_P12ihipStream_tbDpT10_ENKUlT_T0_E_clISt17integral_constantIbLb1EES19_IbLb0EEEEDaS15_S16_EUlS15_E_NS1_11comp_targetILNS1_3genE9ELNS1_11target_archE1100ELNS1_3gpuE3ELNS1_3repE0EEENS1_30default_config_static_selectorELNS0_4arch9wavefront6targetE1EEEvT1_
		.amdhsa_group_segment_fixed_size 0
		.amdhsa_private_segment_fixed_size 0
		.amdhsa_kernarg_size 120
		.amdhsa_user_sgpr_count 2
		.amdhsa_user_sgpr_dispatch_ptr 0
		.amdhsa_user_sgpr_queue_ptr 0
		.amdhsa_user_sgpr_kernarg_segment_ptr 1
		.amdhsa_user_sgpr_dispatch_id 0
		.amdhsa_user_sgpr_kernarg_preload_length 0
		.amdhsa_user_sgpr_kernarg_preload_offset 0
		.amdhsa_user_sgpr_private_segment_size 0
		.amdhsa_uses_dynamic_stack 0
		.amdhsa_enable_private_segment 0
		.amdhsa_system_sgpr_workgroup_id_x 1
		.amdhsa_system_sgpr_workgroup_id_y 0
		.amdhsa_system_sgpr_workgroup_id_z 0
		.amdhsa_system_sgpr_workgroup_info 0
		.amdhsa_system_vgpr_workitem_id 0
		.amdhsa_next_free_vgpr 1
		.amdhsa_next_free_sgpr 0
		.amdhsa_accum_offset 4
		.amdhsa_reserve_vcc 0
		.amdhsa_float_round_mode_32 0
		.amdhsa_float_round_mode_16_64 0
		.amdhsa_float_denorm_mode_32 3
		.amdhsa_float_denorm_mode_16_64 3
		.amdhsa_dx10_clamp 1
		.amdhsa_ieee_mode 1
		.amdhsa_fp16_overflow 0
		.amdhsa_tg_split 0
		.amdhsa_exception_fp_ieee_invalid_op 0
		.amdhsa_exception_fp_denorm_src 0
		.amdhsa_exception_fp_ieee_div_zero 0
		.amdhsa_exception_fp_ieee_overflow 0
		.amdhsa_exception_fp_ieee_underflow 0
		.amdhsa_exception_fp_ieee_inexact 0
		.amdhsa_exception_int_div_zero 0
	.end_amdhsa_kernel
	.section	.text._ZN7rocprim17ROCPRIM_400000_NS6detail17trampoline_kernelINS0_14default_configENS1_25partition_config_selectorILNS1_17partition_subalgoE9EllbEEZZNS1_14partition_implILS5_9ELb0ES3_jPlS8_PNS0_10empty_typeENS0_5tupleIJS8_S9_EEENSB_IJS8_SA_EEENS0_18inequality_wrapperIZN2at6native12_GLOBAL__N_124unique_dim_cuda_templateIdEESt5tupleIJNSF_6TensorESK_SK_EERKSK_lbbbEUlllE0_EEPmJS9_EEE10hipError_tPvRmT3_T4_T5_T6_T7_T9_mT8_P12ihipStream_tbDpT10_ENKUlT_T0_E_clISt17integral_constantIbLb1EES19_IbLb0EEEEDaS15_S16_EUlS15_E_NS1_11comp_targetILNS1_3genE9ELNS1_11target_archE1100ELNS1_3gpuE3ELNS1_3repE0EEENS1_30default_config_static_selectorELNS0_4arch9wavefront6targetE1EEEvT1_,"axG",@progbits,_ZN7rocprim17ROCPRIM_400000_NS6detail17trampoline_kernelINS0_14default_configENS1_25partition_config_selectorILNS1_17partition_subalgoE9EllbEEZZNS1_14partition_implILS5_9ELb0ES3_jPlS8_PNS0_10empty_typeENS0_5tupleIJS8_S9_EEENSB_IJS8_SA_EEENS0_18inequality_wrapperIZN2at6native12_GLOBAL__N_124unique_dim_cuda_templateIdEESt5tupleIJNSF_6TensorESK_SK_EERKSK_lbbbEUlllE0_EEPmJS9_EEE10hipError_tPvRmT3_T4_T5_T6_T7_T9_mT8_P12ihipStream_tbDpT10_ENKUlT_T0_E_clISt17integral_constantIbLb1EES19_IbLb0EEEEDaS15_S16_EUlS15_E_NS1_11comp_targetILNS1_3genE9ELNS1_11target_archE1100ELNS1_3gpuE3ELNS1_3repE0EEENS1_30default_config_static_selectorELNS0_4arch9wavefront6targetE1EEEvT1_,comdat
.Lfunc_end861:
	.size	_ZN7rocprim17ROCPRIM_400000_NS6detail17trampoline_kernelINS0_14default_configENS1_25partition_config_selectorILNS1_17partition_subalgoE9EllbEEZZNS1_14partition_implILS5_9ELb0ES3_jPlS8_PNS0_10empty_typeENS0_5tupleIJS8_S9_EEENSB_IJS8_SA_EEENS0_18inequality_wrapperIZN2at6native12_GLOBAL__N_124unique_dim_cuda_templateIdEESt5tupleIJNSF_6TensorESK_SK_EERKSK_lbbbEUlllE0_EEPmJS9_EEE10hipError_tPvRmT3_T4_T5_T6_T7_T9_mT8_P12ihipStream_tbDpT10_ENKUlT_T0_E_clISt17integral_constantIbLb1EES19_IbLb0EEEEDaS15_S16_EUlS15_E_NS1_11comp_targetILNS1_3genE9ELNS1_11target_archE1100ELNS1_3gpuE3ELNS1_3repE0EEENS1_30default_config_static_selectorELNS0_4arch9wavefront6targetE1EEEvT1_, .Lfunc_end861-_ZN7rocprim17ROCPRIM_400000_NS6detail17trampoline_kernelINS0_14default_configENS1_25partition_config_selectorILNS1_17partition_subalgoE9EllbEEZZNS1_14partition_implILS5_9ELb0ES3_jPlS8_PNS0_10empty_typeENS0_5tupleIJS8_S9_EEENSB_IJS8_SA_EEENS0_18inequality_wrapperIZN2at6native12_GLOBAL__N_124unique_dim_cuda_templateIdEESt5tupleIJNSF_6TensorESK_SK_EERKSK_lbbbEUlllE0_EEPmJS9_EEE10hipError_tPvRmT3_T4_T5_T6_T7_T9_mT8_P12ihipStream_tbDpT10_ENKUlT_T0_E_clISt17integral_constantIbLb1EES19_IbLb0EEEEDaS15_S16_EUlS15_E_NS1_11comp_targetILNS1_3genE9ELNS1_11target_archE1100ELNS1_3gpuE3ELNS1_3repE0EEENS1_30default_config_static_selectorELNS0_4arch9wavefront6targetE1EEEvT1_
                                        ; -- End function
	.set _ZN7rocprim17ROCPRIM_400000_NS6detail17trampoline_kernelINS0_14default_configENS1_25partition_config_selectorILNS1_17partition_subalgoE9EllbEEZZNS1_14partition_implILS5_9ELb0ES3_jPlS8_PNS0_10empty_typeENS0_5tupleIJS8_S9_EEENSB_IJS8_SA_EEENS0_18inequality_wrapperIZN2at6native12_GLOBAL__N_124unique_dim_cuda_templateIdEESt5tupleIJNSF_6TensorESK_SK_EERKSK_lbbbEUlllE0_EEPmJS9_EEE10hipError_tPvRmT3_T4_T5_T6_T7_T9_mT8_P12ihipStream_tbDpT10_ENKUlT_T0_E_clISt17integral_constantIbLb1EES19_IbLb0EEEEDaS15_S16_EUlS15_E_NS1_11comp_targetILNS1_3genE9ELNS1_11target_archE1100ELNS1_3gpuE3ELNS1_3repE0EEENS1_30default_config_static_selectorELNS0_4arch9wavefront6targetE1EEEvT1_.num_vgpr, 0
	.set _ZN7rocprim17ROCPRIM_400000_NS6detail17trampoline_kernelINS0_14default_configENS1_25partition_config_selectorILNS1_17partition_subalgoE9EllbEEZZNS1_14partition_implILS5_9ELb0ES3_jPlS8_PNS0_10empty_typeENS0_5tupleIJS8_S9_EEENSB_IJS8_SA_EEENS0_18inequality_wrapperIZN2at6native12_GLOBAL__N_124unique_dim_cuda_templateIdEESt5tupleIJNSF_6TensorESK_SK_EERKSK_lbbbEUlllE0_EEPmJS9_EEE10hipError_tPvRmT3_T4_T5_T6_T7_T9_mT8_P12ihipStream_tbDpT10_ENKUlT_T0_E_clISt17integral_constantIbLb1EES19_IbLb0EEEEDaS15_S16_EUlS15_E_NS1_11comp_targetILNS1_3genE9ELNS1_11target_archE1100ELNS1_3gpuE3ELNS1_3repE0EEENS1_30default_config_static_selectorELNS0_4arch9wavefront6targetE1EEEvT1_.num_agpr, 0
	.set _ZN7rocprim17ROCPRIM_400000_NS6detail17trampoline_kernelINS0_14default_configENS1_25partition_config_selectorILNS1_17partition_subalgoE9EllbEEZZNS1_14partition_implILS5_9ELb0ES3_jPlS8_PNS0_10empty_typeENS0_5tupleIJS8_S9_EEENSB_IJS8_SA_EEENS0_18inequality_wrapperIZN2at6native12_GLOBAL__N_124unique_dim_cuda_templateIdEESt5tupleIJNSF_6TensorESK_SK_EERKSK_lbbbEUlllE0_EEPmJS9_EEE10hipError_tPvRmT3_T4_T5_T6_T7_T9_mT8_P12ihipStream_tbDpT10_ENKUlT_T0_E_clISt17integral_constantIbLb1EES19_IbLb0EEEEDaS15_S16_EUlS15_E_NS1_11comp_targetILNS1_3genE9ELNS1_11target_archE1100ELNS1_3gpuE3ELNS1_3repE0EEENS1_30default_config_static_selectorELNS0_4arch9wavefront6targetE1EEEvT1_.numbered_sgpr, 0
	.set _ZN7rocprim17ROCPRIM_400000_NS6detail17trampoline_kernelINS0_14default_configENS1_25partition_config_selectorILNS1_17partition_subalgoE9EllbEEZZNS1_14partition_implILS5_9ELb0ES3_jPlS8_PNS0_10empty_typeENS0_5tupleIJS8_S9_EEENSB_IJS8_SA_EEENS0_18inequality_wrapperIZN2at6native12_GLOBAL__N_124unique_dim_cuda_templateIdEESt5tupleIJNSF_6TensorESK_SK_EERKSK_lbbbEUlllE0_EEPmJS9_EEE10hipError_tPvRmT3_T4_T5_T6_T7_T9_mT8_P12ihipStream_tbDpT10_ENKUlT_T0_E_clISt17integral_constantIbLb1EES19_IbLb0EEEEDaS15_S16_EUlS15_E_NS1_11comp_targetILNS1_3genE9ELNS1_11target_archE1100ELNS1_3gpuE3ELNS1_3repE0EEENS1_30default_config_static_selectorELNS0_4arch9wavefront6targetE1EEEvT1_.num_named_barrier, 0
	.set _ZN7rocprim17ROCPRIM_400000_NS6detail17trampoline_kernelINS0_14default_configENS1_25partition_config_selectorILNS1_17partition_subalgoE9EllbEEZZNS1_14partition_implILS5_9ELb0ES3_jPlS8_PNS0_10empty_typeENS0_5tupleIJS8_S9_EEENSB_IJS8_SA_EEENS0_18inequality_wrapperIZN2at6native12_GLOBAL__N_124unique_dim_cuda_templateIdEESt5tupleIJNSF_6TensorESK_SK_EERKSK_lbbbEUlllE0_EEPmJS9_EEE10hipError_tPvRmT3_T4_T5_T6_T7_T9_mT8_P12ihipStream_tbDpT10_ENKUlT_T0_E_clISt17integral_constantIbLb1EES19_IbLb0EEEEDaS15_S16_EUlS15_E_NS1_11comp_targetILNS1_3genE9ELNS1_11target_archE1100ELNS1_3gpuE3ELNS1_3repE0EEENS1_30default_config_static_selectorELNS0_4arch9wavefront6targetE1EEEvT1_.private_seg_size, 0
	.set _ZN7rocprim17ROCPRIM_400000_NS6detail17trampoline_kernelINS0_14default_configENS1_25partition_config_selectorILNS1_17partition_subalgoE9EllbEEZZNS1_14partition_implILS5_9ELb0ES3_jPlS8_PNS0_10empty_typeENS0_5tupleIJS8_S9_EEENSB_IJS8_SA_EEENS0_18inequality_wrapperIZN2at6native12_GLOBAL__N_124unique_dim_cuda_templateIdEESt5tupleIJNSF_6TensorESK_SK_EERKSK_lbbbEUlllE0_EEPmJS9_EEE10hipError_tPvRmT3_T4_T5_T6_T7_T9_mT8_P12ihipStream_tbDpT10_ENKUlT_T0_E_clISt17integral_constantIbLb1EES19_IbLb0EEEEDaS15_S16_EUlS15_E_NS1_11comp_targetILNS1_3genE9ELNS1_11target_archE1100ELNS1_3gpuE3ELNS1_3repE0EEENS1_30default_config_static_selectorELNS0_4arch9wavefront6targetE1EEEvT1_.uses_vcc, 0
	.set _ZN7rocprim17ROCPRIM_400000_NS6detail17trampoline_kernelINS0_14default_configENS1_25partition_config_selectorILNS1_17partition_subalgoE9EllbEEZZNS1_14partition_implILS5_9ELb0ES3_jPlS8_PNS0_10empty_typeENS0_5tupleIJS8_S9_EEENSB_IJS8_SA_EEENS0_18inequality_wrapperIZN2at6native12_GLOBAL__N_124unique_dim_cuda_templateIdEESt5tupleIJNSF_6TensorESK_SK_EERKSK_lbbbEUlllE0_EEPmJS9_EEE10hipError_tPvRmT3_T4_T5_T6_T7_T9_mT8_P12ihipStream_tbDpT10_ENKUlT_T0_E_clISt17integral_constantIbLb1EES19_IbLb0EEEEDaS15_S16_EUlS15_E_NS1_11comp_targetILNS1_3genE9ELNS1_11target_archE1100ELNS1_3gpuE3ELNS1_3repE0EEENS1_30default_config_static_selectorELNS0_4arch9wavefront6targetE1EEEvT1_.uses_flat_scratch, 0
	.set _ZN7rocprim17ROCPRIM_400000_NS6detail17trampoline_kernelINS0_14default_configENS1_25partition_config_selectorILNS1_17partition_subalgoE9EllbEEZZNS1_14partition_implILS5_9ELb0ES3_jPlS8_PNS0_10empty_typeENS0_5tupleIJS8_S9_EEENSB_IJS8_SA_EEENS0_18inequality_wrapperIZN2at6native12_GLOBAL__N_124unique_dim_cuda_templateIdEESt5tupleIJNSF_6TensorESK_SK_EERKSK_lbbbEUlllE0_EEPmJS9_EEE10hipError_tPvRmT3_T4_T5_T6_T7_T9_mT8_P12ihipStream_tbDpT10_ENKUlT_T0_E_clISt17integral_constantIbLb1EES19_IbLb0EEEEDaS15_S16_EUlS15_E_NS1_11comp_targetILNS1_3genE9ELNS1_11target_archE1100ELNS1_3gpuE3ELNS1_3repE0EEENS1_30default_config_static_selectorELNS0_4arch9wavefront6targetE1EEEvT1_.has_dyn_sized_stack, 0
	.set _ZN7rocprim17ROCPRIM_400000_NS6detail17trampoline_kernelINS0_14default_configENS1_25partition_config_selectorILNS1_17partition_subalgoE9EllbEEZZNS1_14partition_implILS5_9ELb0ES3_jPlS8_PNS0_10empty_typeENS0_5tupleIJS8_S9_EEENSB_IJS8_SA_EEENS0_18inequality_wrapperIZN2at6native12_GLOBAL__N_124unique_dim_cuda_templateIdEESt5tupleIJNSF_6TensorESK_SK_EERKSK_lbbbEUlllE0_EEPmJS9_EEE10hipError_tPvRmT3_T4_T5_T6_T7_T9_mT8_P12ihipStream_tbDpT10_ENKUlT_T0_E_clISt17integral_constantIbLb1EES19_IbLb0EEEEDaS15_S16_EUlS15_E_NS1_11comp_targetILNS1_3genE9ELNS1_11target_archE1100ELNS1_3gpuE3ELNS1_3repE0EEENS1_30default_config_static_selectorELNS0_4arch9wavefront6targetE1EEEvT1_.has_recursion, 0
	.set _ZN7rocprim17ROCPRIM_400000_NS6detail17trampoline_kernelINS0_14default_configENS1_25partition_config_selectorILNS1_17partition_subalgoE9EllbEEZZNS1_14partition_implILS5_9ELb0ES3_jPlS8_PNS0_10empty_typeENS0_5tupleIJS8_S9_EEENSB_IJS8_SA_EEENS0_18inequality_wrapperIZN2at6native12_GLOBAL__N_124unique_dim_cuda_templateIdEESt5tupleIJNSF_6TensorESK_SK_EERKSK_lbbbEUlllE0_EEPmJS9_EEE10hipError_tPvRmT3_T4_T5_T6_T7_T9_mT8_P12ihipStream_tbDpT10_ENKUlT_T0_E_clISt17integral_constantIbLb1EES19_IbLb0EEEEDaS15_S16_EUlS15_E_NS1_11comp_targetILNS1_3genE9ELNS1_11target_archE1100ELNS1_3gpuE3ELNS1_3repE0EEENS1_30default_config_static_selectorELNS0_4arch9wavefront6targetE1EEEvT1_.has_indirect_call, 0
	.section	.AMDGPU.csdata,"",@progbits
; Kernel info:
; codeLenInByte = 0
; TotalNumSgprs: 6
; NumVgprs: 0
; NumAgprs: 0
; TotalNumVgprs: 0
; ScratchSize: 0
; MemoryBound: 0
; FloatMode: 240
; IeeeMode: 1
; LDSByteSize: 0 bytes/workgroup (compile time only)
; SGPRBlocks: 0
; VGPRBlocks: 0
; NumSGPRsForWavesPerEU: 6
; NumVGPRsForWavesPerEU: 1
; AccumOffset: 4
; Occupancy: 8
; WaveLimiterHint : 0
; COMPUTE_PGM_RSRC2:SCRATCH_EN: 0
; COMPUTE_PGM_RSRC2:USER_SGPR: 2
; COMPUTE_PGM_RSRC2:TRAP_HANDLER: 0
; COMPUTE_PGM_RSRC2:TGID_X_EN: 1
; COMPUTE_PGM_RSRC2:TGID_Y_EN: 0
; COMPUTE_PGM_RSRC2:TGID_Z_EN: 0
; COMPUTE_PGM_RSRC2:TIDIG_COMP_CNT: 0
; COMPUTE_PGM_RSRC3_GFX90A:ACCUM_OFFSET: 0
; COMPUTE_PGM_RSRC3_GFX90A:TG_SPLIT: 0
	.section	.text._ZN7rocprim17ROCPRIM_400000_NS6detail17trampoline_kernelINS0_14default_configENS1_25partition_config_selectorILNS1_17partition_subalgoE9EllbEEZZNS1_14partition_implILS5_9ELb0ES3_jPlS8_PNS0_10empty_typeENS0_5tupleIJS8_S9_EEENSB_IJS8_SA_EEENS0_18inequality_wrapperIZN2at6native12_GLOBAL__N_124unique_dim_cuda_templateIdEESt5tupleIJNSF_6TensorESK_SK_EERKSK_lbbbEUlllE0_EEPmJS9_EEE10hipError_tPvRmT3_T4_T5_T6_T7_T9_mT8_P12ihipStream_tbDpT10_ENKUlT_T0_E_clISt17integral_constantIbLb1EES19_IbLb0EEEEDaS15_S16_EUlS15_E_NS1_11comp_targetILNS1_3genE8ELNS1_11target_archE1030ELNS1_3gpuE2ELNS1_3repE0EEENS1_30default_config_static_selectorELNS0_4arch9wavefront6targetE1EEEvT1_,"axG",@progbits,_ZN7rocprim17ROCPRIM_400000_NS6detail17trampoline_kernelINS0_14default_configENS1_25partition_config_selectorILNS1_17partition_subalgoE9EllbEEZZNS1_14partition_implILS5_9ELb0ES3_jPlS8_PNS0_10empty_typeENS0_5tupleIJS8_S9_EEENSB_IJS8_SA_EEENS0_18inequality_wrapperIZN2at6native12_GLOBAL__N_124unique_dim_cuda_templateIdEESt5tupleIJNSF_6TensorESK_SK_EERKSK_lbbbEUlllE0_EEPmJS9_EEE10hipError_tPvRmT3_T4_T5_T6_T7_T9_mT8_P12ihipStream_tbDpT10_ENKUlT_T0_E_clISt17integral_constantIbLb1EES19_IbLb0EEEEDaS15_S16_EUlS15_E_NS1_11comp_targetILNS1_3genE8ELNS1_11target_archE1030ELNS1_3gpuE2ELNS1_3repE0EEENS1_30default_config_static_selectorELNS0_4arch9wavefront6targetE1EEEvT1_,comdat
	.globl	_ZN7rocprim17ROCPRIM_400000_NS6detail17trampoline_kernelINS0_14default_configENS1_25partition_config_selectorILNS1_17partition_subalgoE9EllbEEZZNS1_14partition_implILS5_9ELb0ES3_jPlS8_PNS0_10empty_typeENS0_5tupleIJS8_S9_EEENSB_IJS8_SA_EEENS0_18inequality_wrapperIZN2at6native12_GLOBAL__N_124unique_dim_cuda_templateIdEESt5tupleIJNSF_6TensorESK_SK_EERKSK_lbbbEUlllE0_EEPmJS9_EEE10hipError_tPvRmT3_T4_T5_T6_T7_T9_mT8_P12ihipStream_tbDpT10_ENKUlT_T0_E_clISt17integral_constantIbLb1EES19_IbLb0EEEEDaS15_S16_EUlS15_E_NS1_11comp_targetILNS1_3genE8ELNS1_11target_archE1030ELNS1_3gpuE2ELNS1_3repE0EEENS1_30default_config_static_selectorELNS0_4arch9wavefront6targetE1EEEvT1_ ; -- Begin function _ZN7rocprim17ROCPRIM_400000_NS6detail17trampoline_kernelINS0_14default_configENS1_25partition_config_selectorILNS1_17partition_subalgoE9EllbEEZZNS1_14partition_implILS5_9ELb0ES3_jPlS8_PNS0_10empty_typeENS0_5tupleIJS8_S9_EEENSB_IJS8_SA_EEENS0_18inequality_wrapperIZN2at6native12_GLOBAL__N_124unique_dim_cuda_templateIdEESt5tupleIJNSF_6TensorESK_SK_EERKSK_lbbbEUlllE0_EEPmJS9_EEE10hipError_tPvRmT3_T4_T5_T6_T7_T9_mT8_P12ihipStream_tbDpT10_ENKUlT_T0_E_clISt17integral_constantIbLb1EES19_IbLb0EEEEDaS15_S16_EUlS15_E_NS1_11comp_targetILNS1_3genE8ELNS1_11target_archE1030ELNS1_3gpuE2ELNS1_3repE0EEENS1_30default_config_static_selectorELNS0_4arch9wavefront6targetE1EEEvT1_
	.p2align	8
	.type	_ZN7rocprim17ROCPRIM_400000_NS6detail17trampoline_kernelINS0_14default_configENS1_25partition_config_selectorILNS1_17partition_subalgoE9EllbEEZZNS1_14partition_implILS5_9ELb0ES3_jPlS8_PNS0_10empty_typeENS0_5tupleIJS8_S9_EEENSB_IJS8_SA_EEENS0_18inequality_wrapperIZN2at6native12_GLOBAL__N_124unique_dim_cuda_templateIdEESt5tupleIJNSF_6TensorESK_SK_EERKSK_lbbbEUlllE0_EEPmJS9_EEE10hipError_tPvRmT3_T4_T5_T6_T7_T9_mT8_P12ihipStream_tbDpT10_ENKUlT_T0_E_clISt17integral_constantIbLb1EES19_IbLb0EEEEDaS15_S16_EUlS15_E_NS1_11comp_targetILNS1_3genE8ELNS1_11target_archE1030ELNS1_3gpuE2ELNS1_3repE0EEENS1_30default_config_static_selectorELNS0_4arch9wavefront6targetE1EEEvT1_,@function
_ZN7rocprim17ROCPRIM_400000_NS6detail17trampoline_kernelINS0_14default_configENS1_25partition_config_selectorILNS1_17partition_subalgoE9EllbEEZZNS1_14partition_implILS5_9ELb0ES3_jPlS8_PNS0_10empty_typeENS0_5tupleIJS8_S9_EEENSB_IJS8_SA_EEENS0_18inequality_wrapperIZN2at6native12_GLOBAL__N_124unique_dim_cuda_templateIdEESt5tupleIJNSF_6TensorESK_SK_EERKSK_lbbbEUlllE0_EEPmJS9_EEE10hipError_tPvRmT3_T4_T5_T6_T7_T9_mT8_P12ihipStream_tbDpT10_ENKUlT_T0_E_clISt17integral_constantIbLb1EES19_IbLb0EEEEDaS15_S16_EUlS15_E_NS1_11comp_targetILNS1_3genE8ELNS1_11target_archE1030ELNS1_3gpuE2ELNS1_3repE0EEENS1_30default_config_static_selectorELNS0_4arch9wavefront6targetE1EEEvT1_: ; @_ZN7rocprim17ROCPRIM_400000_NS6detail17trampoline_kernelINS0_14default_configENS1_25partition_config_selectorILNS1_17partition_subalgoE9EllbEEZZNS1_14partition_implILS5_9ELb0ES3_jPlS8_PNS0_10empty_typeENS0_5tupleIJS8_S9_EEENSB_IJS8_SA_EEENS0_18inequality_wrapperIZN2at6native12_GLOBAL__N_124unique_dim_cuda_templateIdEESt5tupleIJNSF_6TensorESK_SK_EERKSK_lbbbEUlllE0_EEPmJS9_EEE10hipError_tPvRmT3_T4_T5_T6_T7_T9_mT8_P12ihipStream_tbDpT10_ENKUlT_T0_E_clISt17integral_constantIbLb1EES19_IbLb0EEEEDaS15_S16_EUlS15_E_NS1_11comp_targetILNS1_3genE8ELNS1_11target_archE1030ELNS1_3gpuE2ELNS1_3repE0EEENS1_30default_config_static_selectorELNS0_4arch9wavefront6targetE1EEEvT1_
; %bb.0:
	.section	.rodata,"a",@progbits
	.p2align	6, 0x0
	.amdhsa_kernel _ZN7rocprim17ROCPRIM_400000_NS6detail17trampoline_kernelINS0_14default_configENS1_25partition_config_selectorILNS1_17partition_subalgoE9EllbEEZZNS1_14partition_implILS5_9ELb0ES3_jPlS8_PNS0_10empty_typeENS0_5tupleIJS8_S9_EEENSB_IJS8_SA_EEENS0_18inequality_wrapperIZN2at6native12_GLOBAL__N_124unique_dim_cuda_templateIdEESt5tupleIJNSF_6TensorESK_SK_EERKSK_lbbbEUlllE0_EEPmJS9_EEE10hipError_tPvRmT3_T4_T5_T6_T7_T9_mT8_P12ihipStream_tbDpT10_ENKUlT_T0_E_clISt17integral_constantIbLb1EES19_IbLb0EEEEDaS15_S16_EUlS15_E_NS1_11comp_targetILNS1_3genE8ELNS1_11target_archE1030ELNS1_3gpuE2ELNS1_3repE0EEENS1_30default_config_static_selectorELNS0_4arch9wavefront6targetE1EEEvT1_
		.amdhsa_group_segment_fixed_size 0
		.amdhsa_private_segment_fixed_size 0
		.amdhsa_kernarg_size 120
		.amdhsa_user_sgpr_count 2
		.amdhsa_user_sgpr_dispatch_ptr 0
		.amdhsa_user_sgpr_queue_ptr 0
		.amdhsa_user_sgpr_kernarg_segment_ptr 1
		.amdhsa_user_sgpr_dispatch_id 0
		.amdhsa_user_sgpr_kernarg_preload_length 0
		.amdhsa_user_sgpr_kernarg_preload_offset 0
		.amdhsa_user_sgpr_private_segment_size 0
		.amdhsa_uses_dynamic_stack 0
		.amdhsa_enable_private_segment 0
		.amdhsa_system_sgpr_workgroup_id_x 1
		.amdhsa_system_sgpr_workgroup_id_y 0
		.amdhsa_system_sgpr_workgroup_id_z 0
		.amdhsa_system_sgpr_workgroup_info 0
		.amdhsa_system_vgpr_workitem_id 0
		.amdhsa_next_free_vgpr 1
		.amdhsa_next_free_sgpr 0
		.amdhsa_accum_offset 4
		.amdhsa_reserve_vcc 0
		.amdhsa_float_round_mode_32 0
		.amdhsa_float_round_mode_16_64 0
		.amdhsa_float_denorm_mode_32 3
		.amdhsa_float_denorm_mode_16_64 3
		.amdhsa_dx10_clamp 1
		.amdhsa_ieee_mode 1
		.amdhsa_fp16_overflow 0
		.amdhsa_tg_split 0
		.amdhsa_exception_fp_ieee_invalid_op 0
		.amdhsa_exception_fp_denorm_src 0
		.amdhsa_exception_fp_ieee_div_zero 0
		.amdhsa_exception_fp_ieee_overflow 0
		.amdhsa_exception_fp_ieee_underflow 0
		.amdhsa_exception_fp_ieee_inexact 0
		.amdhsa_exception_int_div_zero 0
	.end_amdhsa_kernel
	.section	.text._ZN7rocprim17ROCPRIM_400000_NS6detail17trampoline_kernelINS0_14default_configENS1_25partition_config_selectorILNS1_17partition_subalgoE9EllbEEZZNS1_14partition_implILS5_9ELb0ES3_jPlS8_PNS0_10empty_typeENS0_5tupleIJS8_S9_EEENSB_IJS8_SA_EEENS0_18inequality_wrapperIZN2at6native12_GLOBAL__N_124unique_dim_cuda_templateIdEESt5tupleIJNSF_6TensorESK_SK_EERKSK_lbbbEUlllE0_EEPmJS9_EEE10hipError_tPvRmT3_T4_T5_T6_T7_T9_mT8_P12ihipStream_tbDpT10_ENKUlT_T0_E_clISt17integral_constantIbLb1EES19_IbLb0EEEEDaS15_S16_EUlS15_E_NS1_11comp_targetILNS1_3genE8ELNS1_11target_archE1030ELNS1_3gpuE2ELNS1_3repE0EEENS1_30default_config_static_selectorELNS0_4arch9wavefront6targetE1EEEvT1_,"axG",@progbits,_ZN7rocprim17ROCPRIM_400000_NS6detail17trampoline_kernelINS0_14default_configENS1_25partition_config_selectorILNS1_17partition_subalgoE9EllbEEZZNS1_14partition_implILS5_9ELb0ES3_jPlS8_PNS0_10empty_typeENS0_5tupleIJS8_S9_EEENSB_IJS8_SA_EEENS0_18inequality_wrapperIZN2at6native12_GLOBAL__N_124unique_dim_cuda_templateIdEESt5tupleIJNSF_6TensorESK_SK_EERKSK_lbbbEUlllE0_EEPmJS9_EEE10hipError_tPvRmT3_T4_T5_T6_T7_T9_mT8_P12ihipStream_tbDpT10_ENKUlT_T0_E_clISt17integral_constantIbLb1EES19_IbLb0EEEEDaS15_S16_EUlS15_E_NS1_11comp_targetILNS1_3genE8ELNS1_11target_archE1030ELNS1_3gpuE2ELNS1_3repE0EEENS1_30default_config_static_selectorELNS0_4arch9wavefront6targetE1EEEvT1_,comdat
.Lfunc_end862:
	.size	_ZN7rocprim17ROCPRIM_400000_NS6detail17trampoline_kernelINS0_14default_configENS1_25partition_config_selectorILNS1_17partition_subalgoE9EllbEEZZNS1_14partition_implILS5_9ELb0ES3_jPlS8_PNS0_10empty_typeENS0_5tupleIJS8_S9_EEENSB_IJS8_SA_EEENS0_18inequality_wrapperIZN2at6native12_GLOBAL__N_124unique_dim_cuda_templateIdEESt5tupleIJNSF_6TensorESK_SK_EERKSK_lbbbEUlllE0_EEPmJS9_EEE10hipError_tPvRmT3_T4_T5_T6_T7_T9_mT8_P12ihipStream_tbDpT10_ENKUlT_T0_E_clISt17integral_constantIbLb1EES19_IbLb0EEEEDaS15_S16_EUlS15_E_NS1_11comp_targetILNS1_3genE8ELNS1_11target_archE1030ELNS1_3gpuE2ELNS1_3repE0EEENS1_30default_config_static_selectorELNS0_4arch9wavefront6targetE1EEEvT1_, .Lfunc_end862-_ZN7rocprim17ROCPRIM_400000_NS6detail17trampoline_kernelINS0_14default_configENS1_25partition_config_selectorILNS1_17partition_subalgoE9EllbEEZZNS1_14partition_implILS5_9ELb0ES3_jPlS8_PNS0_10empty_typeENS0_5tupleIJS8_S9_EEENSB_IJS8_SA_EEENS0_18inequality_wrapperIZN2at6native12_GLOBAL__N_124unique_dim_cuda_templateIdEESt5tupleIJNSF_6TensorESK_SK_EERKSK_lbbbEUlllE0_EEPmJS9_EEE10hipError_tPvRmT3_T4_T5_T6_T7_T9_mT8_P12ihipStream_tbDpT10_ENKUlT_T0_E_clISt17integral_constantIbLb1EES19_IbLb0EEEEDaS15_S16_EUlS15_E_NS1_11comp_targetILNS1_3genE8ELNS1_11target_archE1030ELNS1_3gpuE2ELNS1_3repE0EEENS1_30default_config_static_selectorELNS0_4arch9wavefront6targetE1EEEvT1_
                                        ; -- End function
	.set _ZN7rocprim17ROCPRIM_400000_NS6detail17trampoline_kernelINS0_14default_configENS1_25partition_config_selectorILNS1_17partition_subalgoE9EllbEEZZNS1_14partition_implILS5_9ELb0ES3_jPlS8_PNS0_10empty_typeENS0_5tupleIJS8_S9_EEENSB_IJS8_SA_EEENS0_18inequality_wrapperIZN2at6native12_GLOBAL__N_124unique_dim_cuda_templateIdEESt5tupleIJNSF_6TensorESK_SK_EERKSK_lbbbEUlllE0_EEPmJS9_EEE10hipError_tPvRmT3_T4_T5_T6_T7_T9_mT8_P12ihipStream_tbDpT10_ENKUlT_T0_E_clISt17integral_constantIbLb1EES19_IbLb0EEEEDaS15_S16_EUlS15_E_NS1_11comp_targetILNS1_3genE8ELNS1_11target_archE1030ELNS1_3gpuE2ELNS1_3repE0EEENS1_30default_config_static_selectorELNS0_4arch9wavefront6targetE1EEEvT1_.num_vgpr, 0
	.set _ZN7rocprim17ROCPRIM_400000_NS6detail17trampoline_kernelINS0_14default_configENS1_25partition_config_selectorILNS1_17partition_subalgoE9EllbEEZZNS1_14partition_implILS5_9ELb0ES3_jPlS8_PNS0_10empty_typeENS0_5tupleIJS8_S9_EEENSB_IJS8_SA_EEENS0_18inequality_wrapperIZN2at6native12_GLOBAL__N_124unique_dim_cuda_templateIdEESt5tupleIJNSF_6TensorESK_SK_EERKSK_lbbbEUlllE0_EEPmJS9_EEE10hipError_tPvRmT3_T4_T5_T6_T7_T9_mT8_P12ihipStream_tbDpT10_ENKUlT_T0_E_clISt17integral_constantIbLb1EES19_IbLb0EEEEDaS15_S16_EUlS15_E_NS1_11comp_targetILNS1_3genE8ELNS1_11target_archE1030ELNS1_3gpuE2ELNS1_3repE0EEENS1_30default_config_static_selectorELNS0_4arch9wavefront6targetE1EEEvT1_.num_agpr, 0
	.set _ZN7rocprim17ROCPRIM_400000_NS6detail17trampoline_kernelINS0_14default_configENS1_25partition_config_selectorILNS1_17partition_subalgoE9EllbEEZZNS1_14partition_implILS5_9ELb0ES3_jPlS8_PNS0_10empty_typeENS0_5tupleIJS8_S9_EEENSB_IJS8_SA_EEENS0_18inequality_wrapperIZN2at6native12_GLOBAL__N_124unique_dim_cuda_templateIdEESt5tupleIJNSF_6TensorESK_SK_EERKSK_lbbbEUlllE0_EEPmJS9_EEE10hipError_tPvRmT3_T4_T5_T6_T7_T9_mT8_P12ihipStream_tbDpT10_ENKUlT_T0_E_clISt17integral_constantIbLb1EES19_IbLb0EEEEDaS15_S16_EUlS15_E_NS1_11comp_targetILNS1_3genE8ELNS1_11target_archE1030ELNS1_3gpuE2ELNS1_3repE0EEENS1_30default_config_static_selectorELNS0_4arch9wavefront6targetE1EEEvT1_.numbered_sgpr, 0
	.set _ZN7rocprim17ROCPRIM_400000_NS6detail17trampoline_kernelINS0_14default_configENS1_25partition_config_selectorILNS1_17partition_subalgoE9EllbEEZZNS1_14partition_implILS5_9ELb0ES3_jPlS8_PNS0_10empty_typeENS0_5tupleIJS8_S9_EEENSB_IJS8_SA_EEENS0_18inequality_wrapperIZN2at6native12_GLOBAL__N_124unique_dim_cuda_templateIdEESt5tupleIJNSF_6TensorESK_SK_EERKSK_lbbbEUlllE0_EEPmJS9_EEE10hipError_tPvRmT3_T4_T5_T6_T7_T9_mT8_P12ihipStream_tbDpT10_ENKUlT_T0_E_clISt17integral_constantIbLb1EES19_IbLb0EEEEDaS15_S16_EUlS15_E_NS1_11comp_targetILNS1_3genE8ELNS1_11target_archE1030ELNS1_3gpuE2ELNS1_3repE0EEENS1_30default_config_static_selectorELNS0_4arch9wavefront6targetE1EEEvT1_.num_named_barrier, 0
	.set _ZN7rocprim17ROCPRIM_400000_NS6detail17trampoline_kernelINS0_14default_configENS1_25partition_config_selectorILNS1_17partition_subalgoE9EllbEEZZNS1_14partition_implILS5_9ELb0ES3_jPlS8_PNS0_10empty_typeENS0_5tupleIJS8_S9_EEENSB_IJS8_SA_EEENS0_18inequality_wrapperIZN2at6native12_GLOBAL__N_124unique_dim_cuda_templateIdEESt5tupleIJNSF_6TensorESK_SK_EERKSK_lbbbEUlllE0_EEPmJS9_EEE10hipError_tPvRmT3_T4_T5_T6_T7_T9_mT8_P12ihipStream_tbDpT10_ENKUlT_T0_E_clISt17integral_constantIbLb1EES19_IbLb0EEEEDaS15_S16_EUlS15_E_NS1_11comp_targetILNS1_3genE8ELNS1_11target_archE1030ELNS1_3gpuE2ELNS1_3repE0EEENS1_30default_config_static_selectorELNS0_4arch9wavefront6targetE1EEEvT1_.private_seg_size, 0
	.set _ZN7rocprim17ROCPRIM_400000_NS6detail17trampoline_kernelINS0_14default_configENS1_25partition_config_selectorILNS1_17partition_subalgoE9EllbEEZZNS1_14partition_implILS5_9ELb0ES3_jPlS8_PNS0_10empty_typeENS0_5tupleIJS8_S9_EEENSB_IJS8_SA_EEENS0_18inequality_wrapperIZN2at6native12_GLOBAL__N_124unique_dim_cuda_templateIdEESt5tupleIJNSF_6TensorESK_SK_EERKSK_lbbbEUlllE0_EEPmJS9_EEE10hipError_tPvRmT3_T4_T5_T6_T7_T9_mT8_P12ihipStream_tbDpT10_ENKUlT_T0_E_clISt17integral_constantIbLb1EES19_IbLb0EEEEDaS15_S16_EUlS15_E_NS1_11comp_targetILNS1_3genE8ELNS1_11target_archE1030ELNS1_3gpuE2ELNS1_3repE0EEENS1_30default_config_static_selectorELNS0_4arch9wavefront6targetE1EEEvT1_.uses_vcc, 0
	.set _ZN7rocprim17ROCPRIM_400000_NS6detail17trampoline_kernelINS0_14default_configENS1_25partition_config_selectorILNS1_17partition_subalgoE9EllbEEZZNS1_14partition_implILS5_9ELb0ES3_jPlS8_PNS0_10empty_typeENS0_5tupleIJS8_S9_EEENSB_IJS8_SA_EEENS0_18inequality_wrapperIZN2at6native12_GLOBAL__N_124unique_dim_cuda_templateIdEESt5tupleIJNSF_6TensorESK_SK_EERKSK_lbbbEUlllE0_EEPmJS9_EEE10hipError_tPvRmT3_T4_T5_T6_T7_T9_mT8_P12ihipStream_tbDpT10_ENKUlT_T0_E_clISt17integral_constantIbLb1EES19_IbLb0EEEEDaS15_S16_EUlS15_E_NS1_11comp_targetILNS1_3genE8ELNS1_11target_archE1030ELNS1_3gpuE2ELNS1_3repE0EEENS1_30default_config_static_selectorELNS0_4arch9wavefront6targetE1EEEvT1_.uses_flat_scratch, 0
	.set _ZN7rocprim17ROCPRIM_400000_NS6detail17trampoline_kernelINS0_14default_configENS1_25partition_config_selectorILNS1_17partition_subalgoE9EllbEEZZNS1_14partition_implILS5_9ELb0ES3_jPlS8_PNS0_10empty_typeENS0_5tupleIJS8_S9_EEENSB_IJS8_SA_EEENS0_18inequality_wrapperIZN2at6native12_GLOBAL__N_124unique_dim_cuda_templateIdEESt5tupleIJNSF_6TensorESK_SK_EERKSK_lbbbEUlllE0_EEPmJS9_EEE10hipError_tPvRmT3_T4_T5_T6_T7_T9_mT8_P12ihipStream_tbDpT10_ENKUlT_T0_E_clISt17integral_constantIbLb1EES19_IbLb0EEEEDaS15_S16_EUlS15_E_NS1_11comp_targetILNS1_3genE8ELNS1_11target_archE1030ELNS1_3gpuE2ELNS1_3repE0EEENS1_30default_config_static_selectorELNS0_4arch9wavefront6targetE1EEEvT1_.has_dyn_sized_stack, 0
	.set _ZN7rocprim17ROCPRIM_400000_NS6detail17trampoline_kernelINS0_14default_configENS1_25partition_config_selectorILNS1_17partition_subalgoE9EllbEEZZNS1_14partition_implILS5_9ELb0ES3_jPlS8_PNS0_10empty_typeENS0_5tupleIJS8_S9_EEENSB_IJS8_SA_EEENS0_18inequality_wrapperIZN2at6native12_GLOBAL__N_124unique_dim_cuda_templateIdEESt5tupleIJNSF_6TensorESK_SK_EERKSK_lbbbEUlllE0_EEPmJS9_EEE10hipError_tPvRmT3_T4_T5_T6_T7_T9_mT8_P12ihipStream_tbDpT10_ENKUlT_T0_E_clISt17integral_constantIbLb1EES19_IbLb0EEEEDaS15_S16_EUlS15_E_NS1_11comp_targetILNS1_3genE8ELNS1_11target_archE1030ELNS1_3gpuE2ELNS1_3repE0EEENS1_30default_config_static_selectorELNS0_4arch9wavefront6targetE1EEEvT1_.has_recursion, 0
	.set _ZN7rocprim17ROCPRIM_400000_NS6detail17trampoline_kernelINS0_14default_configENS1_25partition_config_selectorILNS1_17partition_subalgoE9EllbEEZZNS1_14partition_implILS5_9ELb0ES3_jPlS8_PNS0_10empty_typeENS0_5tupleIJS8_S9_EEENSB_IJS8_SA_EEENS0_18inequality_wrapperIZN2at6native12_GLOBAL__N_124unique_dim_cuda_templateIdEESt5tupleIJNSF_6TensorESK_SK_EERKSK_lbbbEUlllE0_EEPmJS9_EEE10hipError_tPvRmT3_T4_T5_T6_T7_T9_mT8_P12ihipStream_tbDpT10_ENKUlT_T0_E_clISt17integral_constantIbLb1EES19_IbLb0EEEEDaS15_S16_EUlS15_E_NS1_11comp_targetILNS1_3genE8ELNS1_11target_archE1030ELNS1_3gpuE2ELNS1_3repE0EEENS1_30default_config_static_selectorELNS0_4arch9wavefront6targetE1EEEvT1_.has_indirect_call, 0
	.section	.AMDGPU.csdata,"",@progbits
; Kernel info:
; codeLenInByte = 0
; TotalNumSgprs: 6
; NumVgprs: 0
; NumAgprs: 0
; TotalNumVgprs: 0
; ScratchSize: 0
; MemoryBound: 0
; FloatMode: 240
; IeeeMode: 1
; LDSByteSize: 0 bytes/workgroup (compile time only)
; SGPRBlocks: 0
; VGPRBlocks: 0
; NumSGPRsForWavesPerEU: 6
; NumVGPRsForWavesPerEU: 1
; AccumOffset: 4
; Occupancy: 8
; WaveLimiterHint : 0
; COMPUTE_PGM_RSRC2:SCRATCH_EN: 0
; COMPUTE_PGM_RSRC2:USER_SGPR: 2
; COMPUTE_PGM_RSRC2:TRAP_HANDLER: 0
; COMPUTE_PGM_RSRC2:TGID_X_EN: 1
; COMPUTE_PGM_RSRC2:TGID_Y_EN: 0
; COMPUTE_PGM_RSRC2:TGID_Z_EN: 0
; COMPUTE_PGM_RSRC2:TIDIG_COMP_CNT: 0
; COMPUTE_PGM_RSRC3_GFX90A:ACCUM_OFFSET: 0
; COMPUTE_PGM_RSRC3_GFX90A:TG_SPLIT: 0
	.section	.text._ZN7rocprim17ROCPRIM_400000_NS6detail17trampoline_kernelINS0_14default_configENS1_25partition_config_selectorILNS1_17partition_subalgoE9EllbEEZZNS1_14partition_implILS5_9ELb0ES3_jPlS8_PNS0_10empty_typeENS0_5tupleIJS8_S9_EEENSB_IJS8_SA_EEENS0_18inequality_wrapperIZN2at6native12_GLOBAL__N_124unique_dim_cuda_templateIdEESt5tupleIJNSF_6TensorESK_SK_EERKSK_lbbbEUlllE0_EEPmJS9_EEE10hipError_tPvRmT3_T4_T5_T6_T7_T9_mT8_P12ihipStream_tbDpT10_ENKUlT_T0_E_clISt17integral_constantIbLb0EES19_IbLb1EEEEDaS15_S16_EUlS15_E_NS1_11comp_targetILNS1_3genE0ELNS1_11target_archE4294967295ELNS1_3gpuE0ELNS1_3repE0EEENS1_30default_config_static_selectorELNS0_4arch9wavefront6targetE1EEEvT1_,"axG",@progbits,_ZN7rocprim17ROCPRIM_400000_NS6detail17trampoline_kernelINS0_14default_configENS1_25partition_config_selectorILNS1_17partition_subalgoE9EllbEEZZNS1_14partition_implILS5_9ELb0ES3_jPlS8_PNS0_10empty_typeENS0_5tupleIJS8_S9_EEENSB_IJS8_SA_EEENS0_18inequality_wrapperIZN2at6native12_GLOBAL__N_124unique_dim_cuda_templateIdEESt5tupleIJNSF_6TensorESK_SK_EERKSK_lbbbEUlllE0_EEPmJS9_EEE10hipError_tPvRmT3_T4_T5_T6_T7_T9_mT8_P12ihipStream_tbDpT10_ENKUlT_T0_E_clISt17integral_constantIbLb0EES19_IbLb1EEEEDaS15_S16_EUlS15_E_NS1_11comp_targetILNS1_3genE0ELNS1_11target_archE4294967295ELNS1_3gpuE0ELNS1_3repE0EEENS1_30default_config_static_selectorELNS0_4arch9wavefront6targetE1EEEvT1_,comdat
	.globl	_ZN7rocprim17ROCPRIM_400000_NS6detail17trampoline_kernelINS0_14default_configENS1_25partition_config_selectorILNS1_17partition_subalgoE9EllbEEZZNS1_14partition_implILS5_9ELb0ES3_jPlS8_PNS0_10empty_typeENS0_5tupleIJS8_S9_EEENSB_IJS8_SA_EEENS0_18inequality_wrapperIZN2at6native12_GLOBAL__N_124unique_dim_cuda_templateIdEESt5tupleIJNSF_6TensorESK_SK_EERKSK_lbbbEUlllE0_EEPmJS9_EEE10hipError_tPvRmT3_T4_T5_T6_T7_T9_mT8_P12ihipStream_tbDpT10_ENKUlT_T0_E_clISt17integral_constantIbLb0EES19_IbLb1EEEEDaS15_S16_EUlS15_E_NS1_11comp_targetILNS1_3genE0ELNS1_11target_archE4294967295ELNS1_3gpuE0ELNS1_3repE0EEENS1_30default_config_static_selectorELNS0_4arch9wavefront6targetE1EEEvT1_ ; -- Begin function _ZN7rocprim17ROCPRIM_400000_NS6detail17trampoline_kernelINS0_14default_configENS1_25partition_config_selectorILNS1_17partition_subalgoE9EllbEEZZNS1_14partition_implILS5_9ELb0ES3_jPlS8_PNS0_10empty_typeENS0_5tupleIJS8_S9_EEENSB_IJS8_SA_EEENS0_18inequality_wrapperIZN2at6native12_GLOBAL__N_124unique_dim_cuda_templateIdEESt5tupleIJNSF_6TensorESK_SK_EERKSK_lbbbEUlllE0_EEPmJS9_EEE10hipError_tPvRmT3_T4_T5_T6_T7_T9_mT8_P12ihipStream_tbDpT10_ENKUlT_T0_E_clISt17integral_constantIbLb0EES19_IbLb1EEEEDaS15_S16_EUlS15_E_NS1_11comp_targetILNS1_3genE0ELNS1_11target_archE4294967295ELNS1_3gpuE0ELNS1_3repE0EEENS1_30default_config_static_selectorELNS0_4arch9wavefront6targetE1EEEvT1_
	.p2align	8
	.type	_ZN7rocprim17ROCPRIM_400000_NS6detail17trampoline_kernelINS0_14default_configENS1_25partition_config_selectorILNS1_17partition_subalgoE9EllbEEZZNS1_14partition_implILS5_9ELb0ES3_jPlS8_PNS0_10empty_typeENS0_5tupleIJS8_S9_EEENSB_IJS8_SA_EEENS0_18inequality_wrapperIZN2at6native12_GLOBAL__N_124unique_dim_cuda_templateIdEESt5tupleIJNSF_6TensorESK_SK_EERKSK_lbbbEUlllE0_EEPmJS9_EEE10hipError_tPvRmT3_T4_T5_T6_T7_T9_mT8_P12ihipStream_tbDpT10_ENKUlT_T0_E_clISt17integral_constantIbLb0EES19_IbLb1EEEEDaS15_S16_EUlS15_E_NS1_11comp_targetILNS1_3genE0ELNS1_11target_archE4294967295ELNS1_3gpuE0ELNS1_3repE0EEENS1_30default_config_static_selectorELNS0_4arch9wavefront6targetE1EEEvT1_,@function
_ZN7rocprim17ROCPRIM_400000_NS6detail17trampoline_kernelINS0_14default_configENS1_25partition_config_selectorILNS1_17partition_subalgoE9EllbEEZZNS1_14partition_implILS5_9ELb0ES3_jPlS8_PNS0_10empty_typeENS0_5tupleIJS8_S9_EEENSB_IJS8_SA_EEENS0_18inequality_wrapperIZN2at6native12_GLOBAL__N_124unique_dim_cuda_templateIdEESt5tupleIJNSF_6TensorESK_SK_EERKSK_lbbbEUlllE0_EEPmJS9_EEE10hipError_tPvRmT3_T4_T5_T6_T7_T9_mT8_P12ihipStream_tbDpT10_ENKUlT_T0_E_clISt17integral_constantIbLb0EES19_IbLb1EEEEDaS15_S16_EUlS15_E_NS1_11comp_targetILNS1_3genE0ELNS1_11target_archE4294967295ELNS1_3gpuE0ELNS1_3repE0EEENS1_30default_config_static_selectorELNS0_4arch9wavefront6targetE1EEEvT1_: ; @_ZN7rocprim17ROCPRIM_400000_NS6detail17trampoline_kernelINS0_14default_configENS1_25partition_config_selectorILNS1_17partition_subalgoE9EllbEEZZNS1_14partition_implILS5_9ELb0ES3_jPlS8_PNS0_10empty_typeENS0_5tupleIJS8_S9_EEENSB_IJS8_SA_EEENS0_18inequality_wrapperIZN2at6native12_GLOBAL__N_124unique_dim_cuda_templateIdEESt5tupleIJNSF_6TensorESK_SK_EERKSK_lbbbEUlllE0_EEPmJS9_EEE10hipError_tPvRmT3_T4_T5_T6_T7_T9_mT8_P12ihipStream_tbDpT10_ENKUlT_T0_E_clISt17integral_constantIbLb0EES19_IbLb1EEEEDaS15_S16_EUlS15_E_NS1_11comp_targetILNS1_3genE0ELNS1_11target_archE4294967295ELNS1_3gpuE0ELNS1_3repE0EEENS1_30default_config_static_selectorELNS0_4arch9wavefront6targetE1EEEvT1_
; %bb.0:
	s_load_dwordx4 s[4:7], s[0:1], 0x8
	s_load_dwordx2 s[10:11], s[0:1], 0x18
	s_load_dwordx8 s[20:27], s[0:1], 0x40
	s_load_dwordx4 s[36:39], s[0:1], 0x60
	v_cmp_ne_u32_e64 s[2:3], 0, v0
	v_cmp_eq_u32_e64 s[18:19], 0, v0
	s_and_saveexec_b64 s[8:9], s[18:19]
	s_cbranch_execz .LBB863_4
; %bb.1:
	s_mov_b64 s[14:15], exec
	v_mbcnt_lo_u32_b32 v1, s14, 0
	v_mbcnt_hi_u32_b32 v1, s15, v1
	v_cmp_eq_u32_e32 vcc, 0, v1
                                        ; implicit-def: $vgpr2
	s_and_saveexec_b64 s[12:13], vcc
	s_cbranch_execz .LBB863_3
; %bb.2:
	s_load_dwordx2 s[16:17], s[0:1], 0x78
	s_bcnt1_i32_b64 s14, s[14:15]
	v_mov_b32_e32 v2, 0
	v_mov_b32_e32 v3, s14
	s_waitcnt lgkmcnt(0)
	global_atomic_add v2, v2, v3, s[16:17] sc0
.LBB863_3:
	s_or_b64 exec, exec, s[12:13]
	s_waitcnt vmcnt(0)
	v_readfirstlane_b32 s12, v2
	v_mov_b32_e32 v2, 0
	s_nop 0
	v_add_u32_e32 v1, s12, v1
	ds_write_b32 v2, v1
.LBB863_4:
	s_or_b64 exec, exec, s[8:9]
	v_mov_b32_e32 v3, 0
	s_load_dwordx4 s[28:31], s[0:1], 0x28
	s_load_dword s8, s[0:1], 0x70
	s_waitcnt lgkmcnt(0)
	s_barrier
	ds_read_b32 v1, v3
	s_waitcnt lgkmcnt(0)
	s_barrier
	global_load_dwordx2 v[4:5], v3, s[22:23]
	s_lshl_b64 s[12:13], s[6:7], 3
	s_mul_i32 s14, s8, 0x280
	s_add_u32 s16, s4, s12
	s_addc_u32 s17, s5, s13
	s_add_i32 s4, s14, s6
	s_sub_i32 s48, s24, s4
	s_add_i32 s15, s8, -1
	s_addk_i32 s48, 0x280
	s_add_u32 s4, s6, s14
	v_readfirstlane_b32 s33, v1
	s_addc_u32 s5, s7, 0
	v_mov_b64_e32 v[6:7], s[4:5]
	s_cmp_eq_u32 s33, s15
	s_mov_b32 s9, 0
	s_mul_i32 s8, s33, 0x280
	v_cmp_le_u64_e32 vcc, s[24:25], v[6:7]
	s_cselect_b64 s[24:25], -1, 0
	s_lshl_b64 s[14:15], s[8:9], 3
	s_and_b64 s[8:9], vcc, s[24:25]
	s_xor_b64 s[34:35], s[8:9], -1
	s_add_u32 s4, s16, s14
	s_mov_b64 s[0:1], -1
	v_lshlrev_b32_e32 v32, 3, v0
	s_addc_u32 s5, s17, s15
	s_and_b64 vcc, exec, s[34:35]
	s_waitcnt vmcnt(0)
	v_readfirstlane_b32 s22, v4
	v_readfirstlane_b32 s23, v5
	s_cbranch_vccz .LBB863_6
; %bb.5:
	v_lshlrev_b32_e32 v2, 3, v0
	v_lshl_add_u64 v[4:5], s[4:5], 0, v[2:3]
	v_add_co_u32_e32 v4, vcc, 0x1000, v4
	global_load_dwordx2 v[6:7], v2, s[4:5] offset:3072
	s_nop 0
	v_addc_co_u32_e32 v5, vcc, 0, v5, vcc
	global_load_dwordx2 v[8:9], v2, s[4:5]
	global_load_dwordx2 v[10:11], v2, s[4:5] offset:1024
	global_load_dwordx2 v[12:13], v2, s[4:5] offset:2048
	global_load_dwordx2 v[14:15], v[4:5], off
	s_mov_b64 s[0:1], 0
	s_waitcnt vmcnt(2)
	ds_write2st64_b64 v2, v[8:9], v[10:11] offset1:2
	s_waitcnt vmcnt(1)
	ds_write2st64_b64 v2, v[12:13], v[6:7] offset0:4 offset1:6
	s_waitcnt vmcnt(0)
	ds_write_b64 v2, v[14:15] offset:4096
	s_waitcnt lgkmcnt(0)
	s_barrier
.LBB863_6:
	s_andn2_b64 vcc, exec, s[0:1]
	v_cmp_gt_u32_e64 s[0:1], s48, v0
	s_cbranch_vccnz .LBB863_18
; %bb.7:
	v_mov_b32_e32 v2, 0
	v_mov_b32_e32 v3, v2
	;; [unrolled: 1-line block ×10, first 2 shown]
	s_and_saveexec_b64 s[16:17], s[0:1]
	s_cbranch_execz .LBB863_9
; %bb.8:
	v_lshlrev_b32_e32 v1, 3, v0
	global_load_dwordx2 v[4:5], v1, s[4:5]
	v_mov_b32_e32 v6, v2
	v_mov_b32_e32 v7, v2
	;; [unrolled: 1-line block ×8, first 2 shown]
	s_waitcnt vmcnt(0)
	v_mov_b64_e32 v[2:3], v[4:5]
	v_mov_b64_e32 v[4:5], v[6:7]
	;; [unrolled: 1-line block ×8, first 2 shown]
.LBB863_9:
	s_or_b64 exec, exec, s[16:17]
	v_or_b32_e32 v1, 0x80, v0
	v_cmp_gt_u32_e32 vcc, s48, v1
	s_and_saveexec_b64 s[0:1], vcc
	s_cbranch_execz .LBB863_11
; %bb.10:
	v_lshlrev_b32_e32 v1, 3, v0
	global_load_dwordx2 v[4:5], v1, s[4:5] offset:1024
.LBB863_11:
	s_or_b64 exec, exec, s[0:1]
	v_or_b32_e32 v1, 0x100, v0
	v_cmp_gt_u32_e32 vcc, s48, v1
	s_and_saveexec_b64 s[0:1], vcc
	s_cbranch_execz .LBB863_13
; %bb.12:
	v_lshlrev_b32_e32 v1, 3, v0
	global_load_dwordx2 v[6:7], v1, s[4:5] offset:2048
.LBB863_13:
	;; [unrolled: 9-line block ×3, first 2 shown]
	s_or_b64 exec, exec, s[0:1]
	v_or_b32_e32 v1, 0x200, v0
	v_cmp_gt_u32_e32 vcc, s48, v1
	s_and_saveexec_b64 s[0:1], vcc
	s_cbranch_execz .LBB863_17
; %bb.16:
	v_lshlrev_b32_e32 v1, 3, v1
	global_load_dwordx2 v[10:11], v1, s[4:5]
.LBB863_17:
	s_or_b64 exec, exec, s[0:1]
	v_lshlrev_b32_e32 v1, 3, v0
	s_waitcnt vmcnt(0)
	ds_write2st64_b64 v1, v[2:3], v[4:5] offset1:2
	ds_write2st64_b64 v1, v[6:7], v[8:9] offset0:4 offset1:6
	ds_write_b64 v1, v[10:11] offset:4096
	s_waitcnt lgkmcnt(0)
	s_barrier
.LBB863_18:
	v_mul_u32_u24_e32 v1, 5, v0
	v_lshlrev_b32_e32 v22, 3, v1
	ds_read2_b64 v[6:9], v22 offset1:1
	ds_read2_b64 v[2:5], v22 offset0:2 offset1:3
	ds_read_b64 v[12:13], v22 offset:32
	s_add_u32 s0, s10, s12
	s_addc_u32 s1, s11, s13
	s_add_u32 s0, s0, s14
	s_addc_u32 s1, s1, s15
	s_mov_b64 s[10:11], -1
	s_and_b64 vcc, exec, s[34:35]
	s_waitcnt lgkmcnt(0)
	s_barrier
	s_cbranch_vccz .LBB863_20
; %bb.19:
	v_lshlrev_b32_e32 v10, 3, v0
	v_mov_b32_e32 v11, 0
	v_lshl_add_u64 v[14:15], s[0:1], 0, v[10:11]
	v_add_co_u32_e32 v14, vcc, 0x1000, v14
	global_load_dwordx2 v[16:17], v10, s[0:1] offset:3072
	s_nop 0
	v_addc_co_u32_e32 v15, vcc, 0, v15, vcc
	global_load_dwordx2 v[18:19], v10, s[0:1]
	global_load_dwordx2 v[20:21], v10, s[0:1] offset:1024
	global_load_dwordx2 v[24:25], v10, s[0:1] offset:2048
	global_load_dwordx2 v[26:27], v[14:15], off
	s_mov_b64 s[10:11], 0
	s_waitcnt vmcnt(2)
	ds_write2st64_b64 v10, v[18:19], v[20:21] offset1:2
	s_waitcnt vmcnt(1)
	ds_write2st64_b64 v10, v[24:25], v[16:17] offset0:4 offset1:6
	s_waitcnt vmcnt(0)
	ds_write_b64 v10, v[26:27] offset:4096
	s_waitcnt lgkmcnt(0)
	s_barrier
.LBB863_20:
	s_andn2_b64 vcc, exec, s[10:11]
	s_cbranch_vccnz .LBB863_32
; %bb.21:
	v_cmp_gt_u32_e32 vcc, s48, v0
                                        ; implicit-def: $vgpr10_vgpr11
	s_and_saveexec_b64 s[10:11], vcc
	s_cbranch_execz .LBB863_23
; %bb.22:
	v_lshlrev_b32_e32 v10, 3, v0
	global_load_dwordx2 v[10:11], v10, s[0:1]
.LBB863_23:
	s_or_b64 exec, exec, s[10:11]
	v_or_b32_e32 v14, 0x80, v0
	v_cmp_gt_u32_e32 vcc, s48, v14
                                        ; implicit-def: $vgpr14_vgpr15
	s_and_saveexec_b64 s[10:11], vcc
	s_cbranch_execz .LBB863_25
; %bb.24:
	v_lshlrev_b32_e32 v14, 3, v0
	global_load_dwordx2 v[14:15], v14, s[0:1] offset:1024
.LBB863_25:
	s_or_b64 exec, exec, s[10:11]
	v_or_b32_e32 v16, 0x100, v0
	v_cmp_gt_u32_e32 vcc, s48, v16
                                        ; implicit-def: $vgpr16_vgpr17
	s_and_saveexec_b64 s[10:11], vcc
	s_cbranch_execz .LBB863_27
; %bb.26:
	v_lshlrev_b32_e32 v16, 3, v0
	global_load_dwordx2 v[16:17], v16, s[0:1] offset:2048
.LBB863_27:
	s_or_b64 exec, exec, s[10:11]
	v_or_b32_e32 v18, 0x180, v0
	v_cmp_gt_u32_e32 vcc, s48, v18
                                        ; implicit-def: $vgpr18_vgpr19
	s_and_saveexec_b64 s[10:11], vcc
	s_cbranch_execz .LBB863_29
; %bb.28:
	v_lshlrev_b32_e32 v18, 3, v0
	global_load_dwordx2 v[18:19], v18, s[0:1] offset:3072
.LBB863_29:
	s_or_b64 exec, exec, s[10:11]
	v_or_b32_e32 v20, 0x200, v0
	v_cmp_gt_u32_e32 vcc, s48, v20
                                        ; implicit-def: $vgpr24_vgpr25
	s_and_saveexec_b64 s[10:11], vcc
	s_cbranch_execz .LBB863_31
; %bb.30:
	v_lshlrev_b32_e32 v20, 3, v20
	global_load_dwordx2 v[24:25], v20, s[0:1]
.LBB863_31:
	s_or_b64 exec, exec, s[10:11]
	v_lshlrev_b32_e32 v20, 5, v0
	v_sub_u32_e32 v20, v22, v20
	s_waitcnt vmcnt(0)
	ds_write2st64_b64 v20, v[10:11], v[14:15] offset1:2
	ds_write2st64_b64 v20, v[16:17], v[18:19] offset0:4 offset1:6
	ds_write_b64 v20, v[24:25] offset:4096
	s_waitcnt lgkmcnt(0)
	s_barrier
.LBB863_32:
	ds_read_b64 v[10:11], v22 offset:32
	ds_read2_b64 v[52:55], v22 offset0:2 offset1:3
	ds_read2_b64 v[56:59], v22 offset1:1
	s_cmp_lg_u32 s33, 0
	s_cselect_b64 s[16:17], -1, 0
	s_cmp_lg_u64 s[6:7], 0
	s_cselect_b64 s[0:1], -1, 0
	s_or_b64 s[0:1], s[0:1], s[16:17]
	s_mov_b64 s[10:11], 0
	s_and_b64 vcc, exec, s[0:1]
	v_cmp_gt_i64_e64 s[6:7], s[26:27], 0
	s_waitcnt lgkmcnt(0)
	s_barrier
	s_cbranch_vccz .LBB863_51
; %bb.33:
	v_mov_b32_e32 v18, 0
	global_load_dwordx2 v[14:15], v18, s[4:5] offset:-8
	v_cndmask_b32_e64 v16, 0, 1, s[6:7]
	v_lshlrev_b32_e32 v23, 3, v0
	s_mov_b64 s[0:1], 0
	s_and_b64 vcc, exec, s[34:35]
	v_cmp_ne_u32_e64 s[4:5], 1, v16
	ds_write_b64 v23, v[12:13]
	s_cbranch_vccz .LBB863_53
; %bb.34:
	s_and_b64 vcc, exec, s[4:5]
	v_mov_b32_e32 v33, 0
	s_cbranch_vccnz .LBB863_44
; %bb.35:
	v_mul_lo_u32 v18, v5, s26
	v_mul_lo_u32 v19, v4, s27
	v_mad_u64_u32 v[16:17], s[0:1], v4, s26, 0
	v_add3_u32 v17, v17, v19, v18
	v_mul_lo_u32 v20, v13, s26
	v_mul_lo_u32 v21, v12, s27
	v_mad_u64_u32 v[18:19], s[0:1], v12, s26, 0
	s_add_u32 s10, s26, -1
	v_lshl_add_u64 v[16:17], v[16:17], 3, s[36:37]
	v_add3_u32 v19, v19, v21, v20
	s_addc_u32 s11, s27, -1
	v_lshl_add_u64 v[18:19], v[18:19], 3, s[36:37]
	s_mov_b64 s[12:13], 0
	s_mov_b64 s[14:15], s[10:11]
	v_mov_b64_e32 v[20:21], v[16:17]
                                        ; implicit-def: $sgpr6_sgpr7
.LBB863_36:                             ; =>This Inner Loop Header: Depth=1
	global_load_dwordx2 v[24:25], v[20:21], off
	global_load_dwordx2 v[26:27], v[18:19], off
	s_add_u32 s0, s14, -1
	s_addc_u32 s1, s15, -1
	s_cmp_eq_u64 s[14:15], 0
	s_mov_b64 s[14:15], s[0:1]
	s_cselect_b64 s[40:41], -1, 0
	v_lshl_add_u64 v[20:21], v[20:21], 0, 8
	v_lshl_add_u64 v[18:19], v[18:19], 0, 8
	s_waitcnt vmcnt(0)
	v_cmp_neq_f64_e64 s[0:1], v[24:25], v[26:27]
	s_or_b64 s[0:1], s[0:1], s[40:41]
	s_and_b64 s[0:1], exec, s[0:1]
	v_cmp_eq_f64_e32 vcc, v[24:25], v[26:27]
	s_or_b64 s[12:13], s[0:1], s[12:13]
	s_andn2_b64 s[0:1], s[6:7], exec
	s_and_b64 s[6:7], vcc, exec
	s_or_b64 s[6:7], s[0:1], s[6:7]
	s_andn2_b64 exec, exec, s[12:13]
	s_cbranch_execnz .LBB863_36
; %bb.37:
	s_or_b64 exec, exec, s[12:13]
	v_mul_lo_u32 v20, v3, s26
	v_mul_lo_u32 v21, v2, s27
	v_mad_u64_u32 v[18:19], s[0:1], v2, s26, 0
	v_add3_u32 v19, v19, v21, v20
	v_lshl_add_u64 v[18:19], v[18:19], 3, s[36:37]
	s_mov_b64 s[14:15], 0
	s_mov_b64 s[40:41], s[10:11]
	v_mov_b64_e32 v[20:21], v[18:19]
                                        ; implicit-def: $sgpr12_sgpr13
.LBB863_38:                             ; =>This Inner Loop Header: Depth=1
	global_load_dwordx2 v[24:25], v[20:21], off
	global_load_dwordx2 v[26:27], v[16:17], off
	s_add_u32 s0, s40, -1
	s_addc_u32 s1, s41, -1
	s_cmp_eq_u64 s[40:41], 0
	s_mov_b64 s[40:41], s[0:1]
	s_cselect_b64 s[42:43], -1, 0
	v_lshl_add_u64 v[20:21], v[20:21], 0, 8
	v_lshl_add_u64 v[16:17], v[16:17], 0, 8
	s_waitcnt vmcnt(0)
	v_cmp_neq_f64_e64 s[0:1], v[24:25], v[26:27]
	s_or_b64 s[0:1], s[0:1], s[42:43]
	s_and_b64 s[0:1], exec, s[0:1]
	v_cmp_eq_f64_e32 vcc, v[24:25], v[26:27]
	s_or_b64 s[14:15], s[0:1], s[14:15]
	s_andn2_b64 s[0:1], s[12:13], exec
	s_and_b64 s[12:13], vcc, exec
	s_or_b64 s[12:13], s[0:1], s[12:13]
	s_andn2_b64 exec, exec, s[14:15]
	s_cbranch_execnz .LBB863_38
; %bb.39:
	s_or_b64 exec, exec, s[14:15]
	v_mul_lo_u32 v20, v9, s26
	v_mul_lo_u32 v21, v8, s27
	v_mad_u64_u32 v[16:17], s[0:1], v8, s26, 0
	v_add3_u32 v17, v17, v21, v20
	v_lshl_add_u64 v[16:17], v[16:17], 3, s[36:37]
	s_mov_b64 s[40:41], 0
	s_mov_b64 s[42:43], s[10:11]
	v_mov_b64_e32 v[20:21], v[16:17]
                                        ; implicit-def: $sgpr14_sgpr15
.LBB863_40:                             ; =>This Inner Loop Header: Depth=1
	global_load_dwordx2 v[24:25], v[20:21], off
	global_load_dwordx2 v[26:27], v[18:19], off
	s_add_u32 s0, s42, -1
	s_addc_u32 s1, s43, -1
	s_cmp_eq_u64 s[42:43], 0
	s_mov_b64 s[42:43], s[0:1]
	s_cselect_b64 s[44:45], -1, 0
	v_lshl_add_u64 v[20:21], v[20:21], 0, 8
	v_lshl_add_u64 v[18:19], v[18:19], 0, 8
	s_waitcnt vmcnt(0)
	v_cmp_neq_f64_e64 s[0:1], v[24:25], v[26:27]
	s_or_b64 s[0:1], s[0:1], s[44:45]
	s_and_b64 s[0:1], exec, s[0:1]
	v_cmp_eq_f64_e32 vcc, v[24:25], v[26:27]
	s_or_b64 s[40:41], s[0:1], s[40:41]
	s_andn2_b64 s[0:1], s[14:15], exec
	s_and_b64 s[14:15], vcc, exec
	s_or_b64 s[14:15], s[0:1], s[14:15]
	s_andn2_b64 exec, exec, s[40:41]
	s_cbranch_execnz .LBB863_40
; %bb.41:
	s_or_b64 exec, exec, s[40:41]
	v_mul_lo_u32 v20, v7, s26
	v_mul_lo_u32 v21, v6, s27
	v_mad_u64_u32 v[18:19], s[0:1], v6, s26, 0
	v_add3_u32 v19, v19, v21, v20
	v_lshl_add_u64 v[18:19], v[18:19], 3, s[36:37]
	s_mov_b64 s[42:43], 0
                                        ; implicit-def: $sgpr40_sgpr41
.LBB863_42:                             ; =>This Inner Loop Header: Depth=1
	global_load_dwordx2 v[20:21], v[18:19], off
	global_load_dwordx2 v[24:25], v[16:17], off
	s_add_u32 s0, s10, -1
	s_addc_u32 s1, s11, -1
	s_cmp_eq_u64 s[10:11], 0
	s_mov_b64 s[10:11], s[0:1]
	s_cselect_b64 s[44:45], -1, 0
	v_lshl_add_u64 v[18:19], v[18:19], 0, 8
	v_lshl_add_u64 v[16:17], v[16:17], 0, 8
	s_waitcnt vmcnt(0)
	v_cmp_neq_f64_e64 s[0:1], v[20:21], v[24:25]
	s_or_b64 s[0:1], s[0:1], s[44:45]
	s_and_b64 s[0:1], exec, s[0:1]
	v_cmp_eq_f64_e32 vcc, v[20:21], v[24:25]
	s_or_b64 s[42:43], s[0:1], s[42:43]
	s_andn2_b64 s[0:1], s[40:41], exec
	s_and_b64 s[40:41], vcc, exec
	s_or_b64 s[40:41], s[0:1], s[40:41]
	s_andn2_b64 exec, exec, s[42:43]
	s_cbranch_execnz .LBB863_42
; %bb.43:
	s_or_b64 exec, exec, s[42:43]
	s_xor_b64 s[0:1], s[6:7], -1
	v_cndmask_b32_e64 v33, 0, 1, s[0:1]
	s_xor_b64 s[0:1], s[12:13], -1
	v_cndmask_b32_e64 v16, 0, 1, s[0:1]
	v_lshlrev_b16_e32 v16, 8, v16
	v_mov_b32_e32 v17, 8
	s_xor_b64 s[6:7], s[14:15], -1
	v_lshrrev_b32_sdwa v16, v17, v16 dst_sel:BYTE_1 dst_unused:UNUSED_PAD src0_sel:DWORD src1_sel:DWORD
	v_cndmask_b32_e64 v17, 0, 1, s[6:7]
	s_xor_b64 s[0:1], s[40:41], -1
	v_or_b32_sdwa v18, v17, v16 dst_sel:WORD_1 dst_unused:UNUSED_PAD src0_sel:DWORD src1_sel:DWORD
.LBB863_44:
	s_waitcnt vmcnt(0)
	v_mov_b64_e32 v[16:17], v[14:15]
	s_waitcnt lgkmcnt(0)
	s_barrier
	s_and_saveexec_b64 s[6:7], s[2:3]
; %bb.45:
	v_add_u32_e32 v16, -8, v23
	ds_read_b64 v[16:17], v16
; %bb.46:
	s_or_b64 exec, exec, s[6:7]
	v_cndmask_b32_e64 v19, 0, 1, s[0:1]
	v_lshrrev_b32_e32 v20, 16, v18
	s_mov_b32 s0, 0xc0c0304
	v_perm_b32 v20, v20, v18, s0
	v_lshlrev_b16_e32 v19, 8, v19
	s_movk_i32 s0, 0xff
	v_bitop3_b16 v18, v18, v19, s0 bitop3:0xec
	v_and_b32_e32 v21, 0xffff, v18
	s_mov_b64 s[6:7], 0
	s_and_b64 vcc, exec, s[4:5]
	s_mov_b64 s[0:1], 0
	s_cbranch_vccnz .LBB863_50
; %bb.47:
	s_waitcnt lgkmcnt(0)
	v_mul_lo_u32 v18, v17, s26
	v_mul_lo_u32 v19, v16, s27
	v_mad_u64_u32 v[16:17], s[0:1], v16, s26, 0
	v_add3_u32 v17, v17, v19, v18
	v_mul_lo_u32 v24, v7, s26
	v_mul_lo_u32 v25, v6, s27
	v_mad_u64_u32 v[18:19], s[0:1], v6, s26, 0
	v_add3_u32 v19, v19, v25, v24
	s_add_u32 s14, s26, -1
	v_lshl_add_u64 v[16:17], v[16:17], 3, s[36:37]
	v_lshl_add_u64 v[18:19], v[18:19], 3, s[36:37]
	s_addc_u32 s15, s27, -1
	s_mov_b64 s[10:11], 0
                                        ; implicit-def: $sgpr12_sgpr13
.LBB863_48:                             ; =>This Inner Loop Header: Depth=1
	global_load_dwordx2 v[24:25], v[16:17], off
	global_load_dwordx2 v[26:27], v[18:19], off
	s_add_u32 s0, s14, -1
	s_addc_u32 s1, s15, -1
	s_cmp_eq_u64 s[14:15], 0
	s_mov_b64 s[14:15], s[0:1]
	s_cselect_b64 s[40:41], -1, 0
	v_lshl_add_u64 v[16:17], v[16:17], 0, 8
	v_lshl_add_u64 v[18:19], v[18:19], 0, 8
	s_waitcnt vmcnt(0)
	v_cmp_neq_f64_e64 s[0:1], v[24:25], v[26:27]
	s_or_b64 s[0:1], s[0:1], s[40:41]
	s_and_b64 s[0:1], exec, s[0:1]
	v_cmp_eq_f64_e32 vcc, v[24:25], v[26:27]
	s_or_b64 s[10:11], s[0:1], s[10:11]
	s_andn2_b64 s[0:1], s[12:13], exec
	s_and_b64 s[12:13], vcc, exec
	s_or_b64 s[12:13], s[0:1], s[12:13]
	s_andn2_b64 exec, exec, s[10:11]
	s_cbranch_execnz .LBB863_48
; %bb.49:
	s_or_b64 exec, exec, s[10:11]
	s_xor_b64 s[0:1], s[12:13], -1
.LBB863_50:
	s_waitcnt lgkmcnt(0)
	v_lshl_or_b32 v17, v20, 16, v21
	s_and_b64 vcc, exec, s[6:7]
	s_cbranch_vccnz .LBB863_54
	s_branch .LBB863_87
.LBB863_51:
                                        ; implicit-def: $sgpr0_sgpr1
                                        ; implicit-def: $vgpr33
                                        ; implicit-def: $vgpr17
	s_branch .LBB863_88
.LBB863_52:
                                        ; implicit-def: $vgpr16
                                        ; implicit-def: $vgpr35
                                        ; implicit-def: $vgpr34
                                        ; implicit-def: $vgpr14
	s_branch .LBB863_141
.LBB863_53:
                                        ; implicit-def: $sgpr0_sgpr1
                                        ; implicit-def: $vgpr33
                                        ; implicit-def: $vgpr17
	s_cbranch_execz .LBB863_87
.LBB863_54:
	v_add_u32_e32 v16, 4, v1
	v_cmp_gt_u32_e32 vcc, s48, v16
	s_mov_b64 s[10:11], 0
	s_mov_b64 s[6:7], 0
	s_and_saveexec_b64 s[12:13], vcc
	s_cbranch_execz .LBB863_60
; %bb.55:
	s_and_b64 vcc, exec, s[4:5]
	s_mov_b64 s[0:1], 0
	s_cbranch_vccnz .LBB863_59
; %bb.56:
	v_mul_lo_u32 v18, v5, s26
	v_mul_lo_u32 v19, v4, s27
	v_mad_u64_u32 v[16:17], s[0:1], v4, s26, 0
	v_add3_u32 v17, v17, v19, v18
	v_mul_lo_u32 v20, v13, s26
	v_mul_lo_u32 v21, v12, s27
	v_mad_u64_u32 v[18:19], s[0:1], v12, s26, 0
	v_add3_u32 v19, v19, v21, v20
	s_add_u32 s40, s26, -1
	v_lshl_add_u64 v[16:17], v[16:17], 3, s[36:37]
	v_lshl_add_u64 v[18:19], v[18:19], 3, s[36:37]
	s_addc_u32 s41, s27, -1
                                        ; implicit-def: $sgpr14_sgpr15
.LBB863_57:                             ; =>This Inner Loop Header: Depth=1
	global_load_dwordx2 v[20:21], v[16:17], off
	global_load_dwordx2 v[24:25], v[18:19], off
	s_add_u32 s0, s40, -1
	s_addc_u32 s1, s41, -1
	s_cmp_eq_u64 s[40:41], 0
	s_mov_b64 s[40:41], s[0:1]
	s_cselect_b64 s[42:43], -1, 0
	v_lshl_add_u64 v[16:17], v[16:17], 0, 8
	v_lshl_add_u64 v[18:19], v[18:19], 0, 8
	s_waitcnt vmcnt(0)
	v_cmp_neq_f64_e64 s[0:1], v[20:21], v[24:25]
	s_or_b64 s[0:1], s[0:1], s[42:43]
	s_and_b64 s[0:1], exec, s[0:1]
	v_cmp_eq_f64_e32 vcc, v[20:21], v[24:25]
	s_or_b64 s[6:7], s[0:1], s[6:7]
	s_andn2_b64 s[0:1], s[14:15], exec
	s_and_b64 s[14:15], vcc, exec
	s_or_b64 s[14:15], s[0:1], s[14:15]
	s_andn2_b64 exec, exec, s[6:7]
	s_cbranch_execnz .LBB863_57
; %bb.58:
	s_or_b64 exec, exec, s[6:7]
	s_xor_b64 s[0:1], s[14:15], -1
.LBB863_59:
	s_and_b64 s[6:7], s[0:1], exec
.LBB863_60:
	s_or_b64 exec, exec, s[12:13]
	v_add_u32_e32 v16, 3, v1
	v_cmp_gt_u32_e32 vcc, s48, v16
	s_and_saveexec_b64 s[12:13], vcc
	s_cbranch_execz .LBB863_66
; %bb.61:
	s_and_b64 vcc, exec, s[4:5]
	s_mov_b64 s[0:1], 0
	s_cbranch_vccnz .LBB863_65
; %bb.62:
	v_mul_lo_u32 v18, v3, s26
	v_mul_lo_u32 v19, v2, s27
	v_mad_u64_u32 v[16:17], s[0:1], v2, s26, 0
	v_add3_u32 v17, v17, v19, v18
	v_mul_lo_u32 v20, v5, s26
	v_mul_lo_u32 v21, v4, s27
	v_mad_u64_u32 v[18:19], s[0:1], v4, s26, 0
	v_add3_u32 v19, v19, v21, v20
	s_add_u32 s40, s26, -1
	v_lshl_add_u64 v[16:17], v[16:17], 3, s[36:37]
	v_lshl_add_u64 v[18:19], v[18:19], 3, s[36:37]
	s_addc_u32 s41, s27, -1
	s_mov_b64 s[10:11], 0
                                        ; implicit-def: $sgpr14_sgpr15
.LBB863_63:                             ; =>This Inner Loop Header: Depth=1
	global_load_dwordx2 v[20:21], v[16:17], off
	global_load_dwordx2 v[24:25], v[18:19], off
	s_add_u32 s0, s40, -1
	s_addc_u32 s1, s41, -1
	s_cmp_eq_u64 s[40:41], 0
	s_mov_b64 s[40:41], s[0:1]
	s_cselect_b64 s[42:43], -1, 0
	v_lshl_add_u64 v[16:17], v[16:17], 0, 8
	v_lshl_add_u64 v[18:19], v[18:19], 0, 8
	s_waitcnt vmcnt(0)
	v_cmp_neq_f64_e64 s[0:1], v[20:21], v[24:25]
	s_or_b64 s[0:1], s[0:1], s[42:43]
	s_and_b64 s[0:1], exec, s[0:1]
	v_cmp_eq_f64_e32 vcc, v[20:21], v[24:25]
	s_or_b64 s[10:11], s[0:1], s[10:11]
	s_andn2_b64 s[0:1], s[14:15], exec
	s_and_b64 s[14:15], vcc, exec
	s_or_b64 s[14:15], s[0:1], s[14:15]
	s_andn2_b64 exec, exec, s[10:11]
	s_cbranch_execnz .LBB863_63
; %bb.64:
	s_or_b64 exec, exec, s[10:11]
	s_xor_b64 s[0:1], s[14:15], -1
.LBB863_65:
	s_and_b64 s[10:11], s[0:1], exec
.LBB863_66:
	s_or_b64 exec, exec, s[12:13]
	v_add_u32_e32 v16, 2, v1
	v_cmp_gt_u32_e32 vcc, s48, v16
	s_mov_b64 s[12:13], 0
	s_mov_b64 s[14:15], 0
	s_and_saveexec_b64 s[40:41], vcc
	s_cbranch_execz .LBB863_72
; %bb.67:
	s_and_b64 vcc, exec, s[4:5]
	s_mov_b64 s[0:1], 0
	s_cbranch_vccnz .LBB863_71
; %bb.68:
	v_mul_lo_u32 v18, v9, s26
	v_mul_lo_u32 v19, v8, s27
	v_mad_u64_u32 v[16:17], s[0:1], v8, s26, 0
	v_add3_u32 v17, v17, v19, v18
	v_mul_lo_u32 v20, v3, s26
	v_mul_lo_u32 v21, v2, s27
	v_mad_u64_u32 v[18:19], s[0:1], v2, s26, 0
	v_add3_u32 v19, v19, v21, v20
	s_add_u32 s44, s26, -1
	v_lshl_add_u64 v[16:17], v[16:17], 3, s[36:37]
	v_lshl_add_u64 v[18:19], v[18:19], 3, s[36:37]
	s_addc_u32 s45, s27, -1
                                        ; implicit-def: $sgpr42_sgpr43
.LBB863_69:                             ; =>This Inner Loop Header: Depth=1
	global_load_dwordx2 v[20:21], v[16:17], off
	global_load_dwordx2 v[24:25], v[18:19], off
	s_add_u32 s0, s44, -1
	s_addc_u32 s1, s45, -1
	s_cmp_eq_u64 s[44:45], 0
	s_mov_b64 s[44:45], s[0:1]
	s_cselect_b64 s[46:47], -1, 0
	v_lshl_add_u64 v[16:17], v[16:17], 0, 8
	v_lshl_add_u64 v[18:19], v[18:19], 0, 8
	s_waitcnt vmcnt(0)
	v_cmp_neq_f64_e64 s[0:1], v[20:21], v[24:25]
	s_or_b64 s[0:1], s[0:1], s[46:47]
	s_and_b64 s[0:1], exec, s[0:1]
	v_cmp_eq_f64_e32 vcc, v[20:21], v[24:25]
	s_or_b64 s[14:15], s[0:1], s[14:15]
	s_andn2_b64 s[0:1], s[42:43], exec
	s_and_b64 s[42:43], vcc, exec
	s_or_b64 s[42:43], s[0:1], s[42:43]
	s_andn2_b64 exec, exec, s[14:15]
	s_cbranch_execnz .LBB863_69
; %bb.70:
	s_or_b64 exec, exec, s[14:15]
	s_xor_b64 s[0:1], s[42:43], -1
.LBB863_71:
	s_and_b64 s[14:15], s[0:1], exec
.LBB863_72:
	s_or_b64 exec, exec, s[40:41]
	v_add_u32_e32 v16, 1, v1
	v_cmp_gt_u32_e32 vcc, s48, v16
	s_and_saveexec_b64 s[40:41], vcc
	s_cbranch_execz .LBB863_78
; %bb.73:
	s_and_b64 vcc, exec, s[4:5]
	s_mov_b64 s[0:1], 0
	s_cbranch_vccnz .LBB863_77
; %bb.74:
	v_mul_lo_u32 v18, v7, s26
	v_mul_lo_u32 v19, v6, s27
	v_mad_u64_u32 v[16:17], s[0:1], v6, s26, 0
	v_add3_u32 v17, v17, v19, v18
	v_mul_lo_u32 v20, v9, s26
	v_mul_lo_u32 v21, v8, s27
	v_mad_u64_u32 v[18:19], s[0:1], v8, s26, 0
	v_add3_u32 v19, v19, v21, v20
	s_add_u32 s44, s26, -1
	v_lshl_add_u64 v[16:17], v[16:17], 3, s[36:37]
	v_lshl_add_u64 v[18:19], v[18:19], 3, s[36:37]
	s_addc_u32 s45, s27, -1
	s_mov_b64 s[12:13], 0
                                        ; implicit-def: $sgpr42_sgpr43
.LBB863_75:                             ; =>This Inner Loop Header: Depth=1
	global_load_dwordx2 v[20:21], v[16:17], off
	global_load_dwordx2 v[24:25], v[18:19], off
	s_add_u32 s0, s44, -1
	s_addc_u32 s1, s45, -1
	s_cmp_eq_u64 s[44:45], 0
	s_mov_b64 s[44:45], s[0:1]
	s_cselect_b64 s[46:47], -1, 0
	v_lshl_add_u64 v[16:17], v[16:17], 0, 8
	v_lshl_add_u64 v[18:19], v[18:19], 0, 8
	s_waitcnt vmcnt(0)
	v_cmp_neq_f64_e64 s[0:1], v[20:21], v[24:25]
	s_or_b64 s[0:1], s[0:1], s[46:47]
	s_and_b64 s[0:1], exec, s[0:1]
	v_cmp_eq_f64_e32 vcc, v[20:21], v[24:25]
	s_or_b64 s[12:13], s[0:1], s[12:13]
	s_andn2_b64 s[0:1], s[42:43], exec
	s_and_b64 s[42:43], vcc, exec
	s_or_b64 s[42:43], s[0:1], s[42:43]
	s_andn2_b64 exec, exec, s[12:13]
	s_cbranch_execnz .LBB863_75
; %bb.76:
	s_or_b64 exec, exec, s[12:13]
	s_xor_b64 s[0:1], s[42:43], -1
.LBB863_77:
	s_and_b64 s[12:13], s[0:1], exec
.LBB863_78:
	s_or_b64 exec, exec, s[40:41]
	s_waitcnt lgkmcnt(0)
	s_barrier
	s_and_saveexec_b64 s[0:1], s[2:3]
	s_cbranch_execz .LBB863_80
; %bb.79:
	s_waitcnt vmcnt(0)
	v_add_u32_e32 v14, -8, v23
	ds_read_b64 v[14:15], v14
.LBB863_80:
	s_or_b64 exec, exec, s[0:1]
	v_cndmask_b32_e64 v17, 0, 1, s[10:11]
	v_cndmask_b32_e64 v16, 0, 1, s[14:15]
	;; [unrolled: 1-line block ×3, first 2 shown]
	v_lshlrev_b16_e32 v17, 8, v17
	v_cmp_gt_u32_e32 vcc, s48, v1
	v_lshlrev_b16_e32 v18, 8, v18
	v_or_b32_sdwa v19, v16, v17 dst_sel:WORD_1 dst_unused:UNUSED_PAD src0_sel:DWORD src1_sel:DWORD
	s_mov_b64 s[0:1], 0
	s_and_saveexec_b64 s[10:11], vcc
	s_cbranch_execz .LBB863_86
; %bb.81:
	s_and_b64 vcc, exec, s[4:5]
	s_cbranch_vccnz .LBB863_85
; %bb.82:
	s_waitcnt vmcnt(0) lgkmcnt(0)
	v_mul_lo_u32 v16, v15, s26
	v_mul_lo_u32 v17, v14, s27
	v_mad_u64_u32 v[14:15], s[0:1], v14, s26, 0
	v_add3_u32 v15, v15, v17, v16
	v_mul_lo_u32 v20, v7, s26
	v_mul_lo_u32 v21, v6, s27
	v_mad_u64_u32 v[16:17], s[0:1], v6, s26, 0
	v_add3_u32 v17, v17, v21, v20
	s_add_u32 s14, s26, -1
	v_lshl_add_u64 v[14:15], v[14:15], 3, s[36:37]
	v_lshl_add_u64 v[16:17], v[16:17], 3, s[36:37]
	s_addc_u32 s15, s27, -1
	s_mov_b64 s[4:5], 0
                                        ; implicit-def: $sgpr12_sgpr13
.LBB863_83:                             ; =>This Inner Loop Header: Depth=1
	global_load_dwordx2 v[20:21], v[14:15], off
	global_load_dwordx2 v[24:25], v[16:17], off
	s_add_u32 s0, s14, -1
	s_addc_u32 s1, s15, -1
	s_cmp_eq_u64 s[14:15], 0
	s_mov_b64 s[14:15], s[0:1]
	s_cselect_b64 s[40:41], -1, 0
	v_lshl_add_u64 v[14:15], v[14:15], 0, 8
	v_lshl_add_u64 v[16:17], v[16:17], 0, 8
	s_waitcnt vmcnt(0)
	v_cmp_neq_f64_e64 s[0:1], v[20:21], v[24:25]
	s_or_b64 s[0:1], s[0:1], s[40:41]
	s_and_b64 s[0:1], exec, s[0:1]
	v_cmp_eq_f64_e32 vcc, v[20:21], v[24:25]
	s_or_b64 s[4:5], s[0:1], s[4:5]
	s_andn2_b64 s[0:1], s[12:13], exec
	s_and_b64 s[12:13], vcc, exec
	s_or_b64 s[12:13], s[0:1], s[12:13]
	s_andn2_b64 exec, exec, s[4:5]
	s_cbranch_execnz .LBB863_83
; %bb.84:
	s_or_b64 exec, exec, s[4:5]
	s_xor_b64 s[0:1], s[12:13], -1
.LBB863_85:
	s_and_b64 s[0:1], s[0:1], exec
.LBB863_86:
	s_or_b64 exec, exec, s[10:11]
	v_cndmask_b32_e64 v33, 0, 1, s[6:7]
	v_or_b32_e32 v17, v18, v19
.LBB863_87:
	s_mov_b64 s[10:11], -1
	s_cbranch_execnz .LBB863_52
.LBB863_88:
	s_waitcnt vmcnt(0) lgkmcnt(0)
	v_lshlrev_b32_e32 v14, 5, v0
	v_sub_u32_e32 v22, v22, v14
	s_mov_b64 s[0:1], 0
	v_cmp_gt_i64_e64 s[6:7], s[26:27], 0
	s_and_b64 vcc, exec, s[34:35]
	ds_write_b64 v22, v[12:13]
	s_cbranch_vccz .LBB863_99
; %bb.89:
	v_cndmask_b32_e64 v14, 0, 1, s[6:7]
	v_cmp_ne_u32_e64 s[4:5], 1, v14
	s_andn2_b64 vcc, exec, s[6:7]
	s_cbranch_vccnz .LBB863_100
; %bb.90:
	v_mul_lo_u32 v16, v5, s26
	v_mul_lo_u32 v17, v4, s27
	v_mad_u64_u32 v[14:15], s[0:1], v4, s26, 0
	v_add3_u32 v15, v15, v17, v16
	v_mul_lo_u32 v18, v13, s26
	v_mul_lo_u32 v19, v12, s27
	v_mad_u64_u32 v[16:17], s[0:1], v12, s26, 0
	s_add_u32 s14, s26, -1
	v_lshl_add_u64 v[14:15], v[14:15], 3, s[36:37]
	v_add3_u32 v17, v17, v19, v18
	s_addc_u32 s15, s27, -1
	v_lshl_add_u64 v[16:17], v[16:17], 3, s[36:37]
	s_mov_b64 s[40:41], 0
	s_mov_b64 s[42:43], s[14:15]
	v_mov_b64_e32 v[18:19], v[14:15]
                                        ; implicit-def: $sgpr12_sgpr13
.LBB863_91:                             ; =>This Inner Loop Header: Depth=1
	global_load_dwordx2 v[20:21], v[18:19], off
	global_load_dwordx2 v[24:25], v[16:17], off
	s_add_u32 s0, s42, -1
	s_addc_u32 s1, s43, -1
	s_cmp_eq_u64 s[42:43], 0
	s_mov_b64 s[42:43], s[0:1]
	s_cselect_b64 s[44:45], -1, 0
	v_lshl_add_u64 v[18:19], v[18:19], 0, 8
	v_lshl_add_u64 v[16:17], v[16:17], 0, 8
	s_waitcnt vmcnt(0)
	v_cmp_neq_f64_e64 s[0:1], v[20:21], v[24:25]
	s_or_b64 s[0:1], s[0:1], s[44:45]
	s_and_b64 s[0:1], exec, s[0:1]
	v_cmp_eq_f64_e32 vcc, v[20:21], v[24:25]
	s_or_b64 s[40:41], s[0:1], s[40:41]
	s_andn2_b64 s[0:1], s[12:13], exec
	s_and_b64 s[12:13], vcc, exec
	s_or_b64 s[12:13], s[0:1], s[12:13]
	s_andn2_b64 exec, exec, s[40:41]
	s_cbranch_execnz .LBB863_91
; %bb.92:
	s_or_b64 exec, exec, s[40:41]
	v_mul_lo_u32 v18, v3, s26
	v_mul_lo_u32 v19, v2, s27
	v_mad_u64_u32 v[16:17], s[0:1], v2, s26, 0
	v_add3_u32 v17, v17, v19, v18
	v_lshl_add_u64 v[16:17], v[16:17], 3, s[36:37]
	s_mov_b64 s[42:43], 0
	s_mov_b64 s[44:45], s[14:15]
	v_mov_b64_e32 v[18:19], v[16:17]
                                        ; implicit-def: $sgpr40_sgpr41
.LBB863_93:                             ; =>This Inner Loop Header: Depth=1
	global_load_dwordx2 v[20:21], v[18:19], off
	global_load_dwordx2 v[24:25], v[14:15], off
	s_add_u32 s0, s44, -1
	s_addc_u32 s1, s45, -1
	s_cmp_eq_u64 s[44:45], 0
	s_mov_b64 s[44:45], s[0:1]
	s_cselect_b64 s[46:47], -1, 0
	v_lshl_add_u64 v[18:19], v[18:19], 0, 8
	v_lshl_add_u64 v[14:15], v[14:15], 0, 8
	s_waitcnt vmcnt(0)
	v_cmp_neq_f64_e64 s[0:1], v[20:21], v[24:25]
	s_or_b64 s[0:1], s[0:1], s[46:47]
	s_and_b64 s[0:1], exec, s[0:1]
	v_cmp_eq_f64_e32 vcc, v[20:21], v[24:25]
	s_or_b64 s[42:43], s[0:1], s[42:43]
	s_andn2_b64 s[0:1], s[40:41], exec
	s_and_b64 s[40:41], vcc, exec
	s_or_b64 s[40:41], s[0:1], s[40:41]
	s_andn2_b64 exec, exec, s[42:43]
	s_cbranch_execnz .LBB863_93
; %bb.94:
	s_or_b64 exec, exec, s[42:43]
	v_mul_lo_u32 v18, v9, s26
	v_mul_lo_u32 v19, v8, s27
	v_mad_u64_u32 v[14:15], s[0:1], v8, s26, 0
	v_add3_u32 v15, v15, v19, v18
	v_lshl_add_u64 v[14:15], v[14:15], 3, s[36:37]
	s_mov_b64 s[44:45], 0
	s_mov_b64 s[46:47], s[14:15]
	v_mov_b64_e32 v[18:19], v[14:15]
                                        ; implicit-def: $sgpr42_sgpr43
.LBB863_95:                             ; =>This Inner Loop Header: Depth=1
	global_load_dwordx2 v[20:21], v[18:19], off
	global_load_dwordx2 v[24:25], v[16:17], off
	s_add_u32 s0, s46, -1
	s_addc_u32 s1, s47, -1
	s_cmp_eq_u64 s[46:47], 0
	s_mov_b64 s[46:47], s[0:1]
	s_cselect_b64 s[50:51], -1, 0
	v_lshl_add_u64 v[18:19], v[18:19], 0, 8
	v_lshl_add_u64 v[16:17], v[16:17], 0, 8
	s_waitcnt vmcnt(0)
	v_cmp_neq_f64_e64 s[0:1], v[20:21], v[24:25]
	s_or_b64 s[0:1], s[0:1], s[50:51]
	s_and_b64 s[0:1], exec, s[0:1]
	v_cmp_eq_f64_e32 vcc, v[20:21], v[24:25]
	s_or_b64 s[44:45], s[0:1], s[44:45]
	s_andn2_b64 s[0:1], s[42:43], exec
	s_and_b64 s[42:43], vcc, exec
	s_or_b64 s[42:43], s[0:1], s[42:43]
	s_andn2_b64 exec, exec, s[44:45]
	s_cbranch_execnz .LBB863_95
; %bb.96:
	s_or_b64 exec, exec, s[44:45]
	v_mul_lo_u32 v18, v7, s26
	v_mul_lo_u32 v19, v6, s27
	v_mad_u64_u32 v[16:17], s[0:1], v6, s26, 0
	v_add3_u32 v17, v17, v19, v18
	v_lshl_add_u64 v[16:17], v[16:17], 3, s[36:37]
	s_mov_b64 s[46:47], 0
                                        ; implicit-def: $sgpr44_sgpr45
.LBB863_97:                             ; =>This Inner Loop Header: Depth=1
	global_load_dwordx2 v[18:19], v[16:17], off
	global_load_dwordx2 v[20:21], v[14:15], off
	s_add_u32 s0, s14, -1
	s_addc_u32 s1, s15, -1
	s_cmp_eq_u64 s[14:15], 0
	s_mov_b64 s[14:15], s[0:1]
	s_cselect_b64 s[50:51], -1, 0
	v_lshl_add_u64 v[16:17], v[16:17], 0, 8
	v_lshl_add_u64 v[14:15], v[14:15], 0, 8
	s_waitcnt vmcnt(0)
	v_cmp_neq_f64_e64 s[0:1], v[18:19], v[20:21]
	s_or_b64 s[0:1], s[0:1], s[50:51]
	s_and_b64 s[0:1], exec, s[0:1]
	v_cmp_eq_f64_e32 vcc, v[18:19], v[20:21]
	s_or_b64 s[46:47], s[0:1], s[46:47]
	s_andn2_b64 s[0:1], s[44:45], exec
	s_and_b64 s[44:45], vcc, exec
	s_or_b64 s[44:45], s[0:1], s[44:45]
	s_andn2_b64 exec, exec, s[46:47]
	s_cbranch_execnz .LBB863_97
; %bb.98:
	s_or_b64 exec, exec, s[46:47]
	s_xor_b64 s[0:1], s[12:13], -1
	v_cndmask_b32_e64 v33, 0, 1, s[0:1]
	s_xor_b64 s[0:1], s[40:41], -1
	v_cndmask_b32_e64 v14, 0, 1, s[0:1]
	v_lshlrev_b16_e32 v14, 8, v14
	v_mov_b32_e32 v15, 8
	s_xor_b64 s[12:13], s[42:43], -1
	v_lshrrev_b32_sdwa v14, v15, v14 dst_sel:BYTE_1 dst_unused:UNUSED_PAD src0_sel:DWORD src1_sel:DWORD
	v_cndmask_b32_e64 v15, 0, 1, s[12:13]
	s_xor_b64 s[0:1], s[44:45], -1
	v_or_b32_sdwa v14, v15, v14 dst_sel:WORD_1 dst_unused:UNUSED_PAD src0_sel:DWORD src1_sel:DWORD
	s_branch .LBB863_101
.LBB863_99:
                                        ; implicit-def: $sgpr0_sgpr1
                                        ; implicit-def: $vgpr33
                                        ; implicit-def: $vgpr17
                                        ; implicit-def: $vgpr16
                                        ; implicit-def: $vgpr35
                                        ; implicit-def: $vgpr34
                                        ; implicit-def: $vgpr14
	s_cbranch_execnz .LBB863_108
	s_branch .LBB863_141
.LBB863_100:
	v_mov_b32_e32 v14, 0
	v_mov_b32_e32 v33, 0
.LBB863_101:
	v_lshrrev_b32_e32 v34, 16, v14
	v_lshrrev_b32_e32 v14, 24, v14
	v_cndmask_b32_e64 v35, 0, 1, s[0:1]
	v_mov_b32_e32 v16, 1
	s_waitcnt lgkmcnt(0)
	s_barrier
                                        ; implicit-def: $sgpr0_sgpr1
                                        ; implicit-def: $vgpr17
	s_and_saveexec_b64 s[12:13], s[2:3]
	s_xor_b64 s[12:13], exec, s[12:13]
	s_cbranch_execz .LBB863_107
; %bb.102:
	v_lshlrev_b16_e32 v15, 8, v14
	s_movk_i32 s0, 0xff
	v_bitop3_b16 v15, v34, v15, s0 bitop3:0xec
	v_lshlrev_b16_e32 v17, 8, v35
	v_lshlrev_b32_e32 v15, 16, v15
	v_or_b32_e32 v17, 1, v17
	v_or_b32_sdwa v15, v17, v15 dst_sel:DWORD dst_unused:UNUSED_PAD src0_sel:WORD_0 src1_sel:DWORD
	s_mov_b32 s42, 0x3020104
	s_and_b64 vcc, exec, s[4:5]
	s_mov_b64 s[0:1], 0
	s_cbranch_vccnz .LBB863_106
; %bb.103:
	v_add_u32_e32 v17, -8, v22
	ds_read_b64 v[18:19], v17
	v_mul_lo_u32 v17, v7, s26
	v_mul_lo_u32 v23, v6, s27
	s_add_u32 s40, s26, -1
	s_addc_u32 s41, s27, -1
	s_waitcnt lgkmcnt(0)
	v_mul_lo_u32 v20, v19, s26
	v_mul_lo_u32 v21, v18, s27
	v_mad_u64_u32 v[18:19], s[0:1], v18, s26, 0
	v_add3_u32 v19, v19, v21, v20
	v_mad_u64_u32 v[20:21], s[0:1], v6, s26, 0
	v_add3_u32 v21, v21, v23, v17
	v_lshl_add_u64 v[18:19], v[18:19], 3, s[36:37]
	v_lshl_add_u64 v[20:21], v[20:21], 3, s[36:37]
	s_mov_b64 s[4:5], 0
                                        ; implicit-def: $sgpr14_sgpr15
.LBB863_104:                            ; =>This Inner Loop Header: Depth=1
	global_load_dwordx2 v[24:25], v[18:19], off
	global_load_dwordx2 v[26:27], v[20:21], off
	s_add_u32 s0, s40, -1
	s_addc_u32 s1, s41, -1
	s_cmp_eq_u64 s[40:41], 0
	s_mov_b64 s[40:41], s[0:1]
	s_cselect_b64 s[44:45], -1, 0
	v_lshl_add_u64 v[18:19], v[18:19], 0, 8
	v_lshl_add_u64 v[20:21], v[20:21], 0, 8
	s_waitcnt vmcnt(0)
	v_cmp_neq_f64_e64 s[0:1], v[24:25], v[26:27]
	s_or_b64 s[0:1], s[0:1], s[44:45]
	s_and_b64 s[0:1], exec, s[0:1]
	v_cmp_eq_f64_e32 vcc, v[24:25], v[26:27]
	s_or_b64 s[4:5], s[0:1], s[4:5]
	s_andn2_b64 s[0:1], s[14:15], exec
	s_and_b64 s[14:15], vcc, exec
	s_or_b64 s[14:15], s[0:1], s[14:15]
	s_andn2_b64 exec, exec, s[4:5]
	s_cbranch_execnz .LBB863_104
; %bb.105:
	s_or_b64 exec, exec, s[4:5]
	s_xor_b64 s[0:1], s[14:15], -1
.LBB863_106:
	v_perm_b32 v17, v15, v15, s42
	s_or_b64 s[10:11], s[10:11], exec
.LBB863_107:
	s_or_b64 exec, exec, s[12:13]
	s_branch .LBB863_141
.LBB863_108:
	v_add_u32_e32 v14, 4, v1
	v_cmp_gt_u32_e32 vcc, s48, v14
	s_mov_b64 s[4:5], 0
	s_mov_b64 s[12:13], 0
	s_and_saveexec_b64 s[14:15], vcc
	s_cbranch_execz .LBB863_114
; %bb.109:
	s_andn2_b64 vcc, exec, s[6:7]
	s_mov_b64 s[0:1], 0
	s_cbranch_vccnz .LBB863_113
; %bb.110:
	v_mul_lo_u32 v16, v5, s26
	v_mul_lo_u32 v17, v4, s27
	v_mad_u64_u32 v[14:15], s[0:1], v4, s26, 0
	v_add3_u32 v15, v15, v17, v16
	v_mul_lo_u32 v18, v13, s26
	v_mul_lo_u32 v19, v12, s27
	v_mad_u64_u32 v[16:17], s[0:1], v12, s26, 0
	v_add3_u32 v17, v17, v19, v18
	s_add_u32 s42, s26, -1
	v_lshl_add_u64 v[14:15], v[14:15], 3, s[36:37]
	v_lshl_add_u64 v[16:17], v[16:17], 3, s[36:37]
	s_addc_u32 s43, s27, -1
                                        ; implicit-def: $sgpr40_sgpr41
.LBB863_111:                            ; =>This Inner Loop Header: Depth=1
	global_load_dwordx2 v[18:19], v[14:15], off
	global_load_dwordx2 v[20:21], v[16:17], off
	s_add_u32 s0, s42, -1
	s_addc_u32 s1, s43, -1
	s_cmp_eq_u64 s[42:43], 0
	s_mov_b64 s[42:43], s[0:1]
	s_cselect_b64 s[44:45], -1, 0
	v_lshl_add_u64 v[14:15], v[14:15], 0, 8
	v_lshl_add_u64 v[16:17], v[16:17], 0, 8
	s_waitcnt vmcnt(0)
	v_cmp_neq_f64_e64 s[0:1], v[18:19], v[20:21]
	s_or_b64 s[0:1], s[0:1], s[44:45]
	s_and_b64 s[0:1], exec, s[0:1]
	v_cmp_eq_f64_e32 vcc, v[18:19], v[20:21]
	s_or_b64 s[12:13], s[0:1], s[12:13]
	s_andn2_b64 s[0:1], s[40:41], exec
	s_and_b64 s[40:41], vcc, exec
	s_or_b64 s[40:41], s[0:1], s[40:41]
	s_andn2_b64 exec, exec, s[12:13]
	s_cbranch_execnz .LBB863_111
; %bb.112:
	s_or_b64 exec, exec, s[12:13]
	s_xor_b64 s[0:1], s[40:41], -1
.LBB863_113:
	s_and_b64 s[12:13], s[0:1], exec
.LBB863_114:
	s_or_b64 exec, exec, s[14:15]
	v_add_u32_e32 v14, 3, v1
	v_cmp_gt_u32_e32 vcc, s48, v14
	s_and_saveexec_b64 s[14:15], vcc
	s_cbranch_execz .LBB863_120
; %bb.115:
	s_andn2_b64 vcc, exec, s[6:7]
	s_mov_b64 s[0:1], 0
	s_cbranch_vccnz .LBB863_119
; %bb.116:
	v_mul_lo_u32 v16, v3, s26
	v_mul_lo_u32 v17, v2, s27
	v_mad_u64_u32 v[14:15], s[0:1], v2, s26, 0
	v_add3_u32 v15, v15, v17, v16
	v_mul_lo_u32 v18, v5, s26
	v_mul_lo_u32 v19, v4, s27
	v_mad_u64_u32 v[16:17], s[0:1], v4, s26, 0
	v_add3_u32 v17, v17, v19, v18
	s_add_u32 s42, s26, -1
	v_lshl_add_u64 v[14:15], v[14:15], 3, s[36:37]
	v_lshl_add_u64 v[16:17], v[16:17], 3, s[36:37]
	s_addc_u32 s43, s27, -1
	s_mov_b64 s[4:5], 0
                                        ; implicit-def: $sgpr40_sgpr41
.LBB863_117:                            ; =>This Inner Loop Header: Depth=1
	global_load_dwordx2 v[18:19], v[14:15], off
	global_load_dwordx2 v[20:21], v[16:17], off
	s_add_u32 s0, s42, -1
	s_addc_u32 s1, s43, -1
	s_cmp_eq_u64 s[42:43], 0
	s_mov_b64 s[42:43], s[0:1]
	s_cselect_b64 s[44:45], -1, 0
	v_lshl_add_u64 v[14:15], v[14:15], 0, 8
	v_lshl_add_u64 v[16:17], v[16:17], 0, 8
	s_waitcnt vmcnt(0)
	v_cmp_neq_f64_e64 s[0:1], v[18:19], v[20:21]
	s_or_b64 s[0:1], s[0:1], s[44:45]
	s_and_b64 s[0:1], exec, s[0:1]
	v_cmp_eq_f64_e32 vcc, v[18:19], v[20:21]
	s_or_b64 s[4:5], s[0:1], s[4:5]
	s_andn2_b64 s[0:1], s[40:41], exec
	s_and_b64 s[40:41], vcc, exec
	s_or_b64 s[40:41], s[0:1], s[40:41]
	s_andn2_b64 exec, exec, s[4:5]
	s_cbranch_execnz .LBB863_117
; %bb.118:
	s_or_b64 exec, exec, s[4:5]
	s_xor_b64 s[0:1], s[40:41], -1
.LBB863_119:
	s_and_b64 s[4:5], s[0:1], exec
.LBB863_120:
	s_or_b64 exec, exec, s[14:15]
	v_add_u32_e32 v14, 2, v1
	v_cmp_gt_u32_e32 vcc, s48, v14
	s_mov_b64 s[14:15], 0
	s_mov_b64 s[40:41], 0
	s_and_saveexec_b64 s[42:43], vcc
	s_cbranch_execz .LBB863_126
; %bb.121:
	s_andn2_b64 vcc, exec, s[6:7]
	s_mov_b64 s[0:1], 0
	s_cbranch_vccnz .LBB863_125
; %bb.122:
	v_mul_lo_u32 v16, v9, s26
	v_mul_lo_u32 v17, v8, s27
	v_mad_u64_u32 v[14:15], s[0:1], v8, s26, 0
	v_add3_u32 v15, v15, v17, v16
	v_mul_lo_u32 v18, v3, s26
	v_mul_lo_u32 v19, v2, s27
	v_mad_u64_u32 v[16:17], s[0:1], v2, s26, 0
	v_add3_u32 v17, v17, v19, v18
	s_add_u32 s46, s26, -1
	v_lshl_add_u64 v[14:15], v[14:15], 3, s[36:37]
	v_lshl_add_u64 v[16:17], v[16:17], 3, s[36:37]
	s_addc_u32 s47, s27, -1
                                        ; implicit-def: $sgpr44_sgpr45
.LBB863_123:                            ; =>This Inner Loop Header: Depth=1
	global_load_dwordx2 v[18:19], v[14:15], off
	global_load_dwordx2 v[20:21], v[16:17], off
	s_add_u32 s0, s46, -1
	s_addc_u32 s1, s47, -1
	s_cmp_eq_u64 s[46:47], 0
	s_mov_b64 s[46:47], s[0:1]
	s_cselect_b64 s[50:51], -1, 0
	v_lshl_add_u64 v[14:15], v[14:15], 0, 8
	v_lshl_add_u64 v[16:17], v[16:17], 0, 8
	s_waitcnt vmcnt(0)
	v_cmp_neq_f64_e64 s[0:1], v[18:19], v[20:21]
	s_or_b64 s[0:1], s[0:1], s[50:51]
	s_and_b64 s[0:1], exec, s[0:1]
	v_cmp_eq_f64_e32 vcc, v[18:19], v[20:21]
	s_or_b64 s[40:41], s[0:1], s[40:41]
	s_andn2_b64 s[0:1], s[44:45], exec
	s_and_b64 s[44:45], vcc, exec
	s_or_b64 s[44:45], s[0:1], s[44:45]
	s_andn2_b64 exec, exec, s[40:41]
	s_cbranch_execnz .LBB863_123
; %bb.124:
	s_or_b64 exec, exec, s[40:41]
	s_xor_b64 s[0:1], s[44:45], -1
.LBB863_125:
	s_and_b64 s[40:41], s[0:1], exec
.LBB863_126:
	s_or_b64 exec, exec, s[42:43]
	v_add_u32_e32 v14, 1, v1
	v_cmp_gt_u32_e32 vcc, s48, v14
	s_and_saveexec_b64 s[42:43], vcc
	s_cbranch_execz .LBB863_132
; %bb.127:
	s_andn2_b64 vcc, exec, s[6:7]
	s_mov_b64 s[0:1], 0
	s_cbranch_vccnz .LBB863_131
; %bb.128:
	v_mul_lo_u32 v16, v7, s26
	v_mul_lo_u32 v17, v6, s27
	v_mad_u64_u32 v[14:15], s[0:1], v6, s26, 0
	v_add3_u32 v15, v15, v17, v16
	v_mul_lo_u32 v18, v9, s26
	v_mul_lo_u32 v19, v8, s27
	v_mad_u64_u32 v[16:17], s[0:1], v8, s26, 0
	v_add3_u32 v17, v17, v19, v18
	s_add_u32 s46, s26, -1
	v_lshl_add_u64 v[14:15], v[14:15], 3, s[36:37]
	v_lshl_add_u64 v[16:17], v[16:17], 3, s[36:37]
	s_addc_u32 s47, s27, -1
	s_mov_b64 s[14:15], 0
                                        ; implicit-def: $sgpr44_sgpr45
.LBB863_129:                            ; =>This Inner Loop Header: Depth=1
	global_load_dwordx2 v[18:19], v[14:15], off
	global_load_dwordx2 v[20:21], v[16:17], off
	s_add_u32 s0, s46, -1
	s_addc_u32 s1, s47, -1
	s_cmp_eq_u64 s[46:47], 0
	s_mov_b64 s[46:47], s[0:1]
	s_cselect_b64 s[50:51], -1, 0
	v_lshl_add_u64 v[14:15], v[14:15], 0, 8
	v_lshl_add_u64 v[16:17], v[16:17], 0, 8
	s_waitcnt vmcnt(0)
	v_cmp_neq_f64_e64 s[0:1], v[18:19], v[20:21]
	s_or_b64 s[0:1], s[0:1], s[50:51]
	s_and_b64 s[0:1], exec, s[0:1]
	v_cmp_eq_f64_e32 vcc, v[18:19], v[20:21]
	s_or_b64 s[14:15], s[0:1], s[14:15]
	s_andn2_b64 s[0:1], s[44:45], exec
	s_and_b64 s[44:45], vcc, exec
	s_or_b64 s[44:45], s[0:1], s[44:45]
	s_andn2_b64 exec, exec, s[14:15]
	s_cbranch_execnz .LBB863_129
; %bb.130:
	s_or_b64 exec, exec, s[14:15]
	s_xor_b64 s[0:1], s[44:45], -1
.LBB863_131:
	s_and_b64 s[14:15], s[0:1], exec
.LBB863_132:
	s_or_b64 exec, exec, s[42:43]
	v_cndmask_b32_e64 v33, 0, 1, s[12:13]
	v_cndmask_b32_e64 v34, 0, 1, s[40:41]
	v_cndmask_b32_e64 v14, 0, 1, s[4:5]
	v_cndmask_b32_e64 v35, 0, 1, s[14:15]
	v_mov_b32_e32 v16, 1
	s_waitcnt lgkmcnt(0)
	s_barrier
                                        ; implicit-def: $sgpr0_sgpr1
                                        ; implicit-def: $vgpr17
	s_and_saveexec_b64 s[4:5], s[2:3]
	s_cbranch_execz .LBB863_140
; %bb.133:
	v_lshlrev_b16_e32 v15, 8, v35
	v_lshlrev_b16_e32 v17, 8, v14
	v_or_b32_e32 v15, 1, v15
	v_or_b32_sdwa v17, v34, v17 dst_sel:WORD_1 dst_unused:UNUSED_PAD src0_sel:DWORD src1_sel:DWORD
	v_cmp_gt_u32_e32 vcc, s48, v1
	v_or_b32_sdwa v15, v15, v17 dst_sel:DWORD dst_unused:UNUSED_PAD src0_sel:WORD_0 src1_sel:DWORD
	s_mov_b32 s40, 0x3020104
	s_mov_b64 s[0:1], 0
	s_and_saveexec_b64 s[2:3], vcc
	s_cbranch_execz .LBB863_139
; %bb.134:
	s_andn2_b64 vcc, exec, s[6:7]
	s_cbranch_vccnz .LBB863_138
; %bb.135:
	v_add_u32_e32 v17, -8, v22
	ds_read_b64 v[18:19], v17
	v_mul_lo_u32 v17, v7, s26
	v_mul_lo_u32 v22, v6, s27
	s_add_u32 s14, s26, -1
	s_addc_u32 s15, s27, -1
	s_waitcnt lgkmcnt(0)
	v_mul_lo_u32 v20, v19, s26
	v_mul_lo_u32 v21, v18, s27
	v_mad_u64_u32 v[18:19], s[0:1], v18, s26, 0
	v_add3_u32 v19, v19, v21, v20
	v_mad_u64_u32 v[20:21], s[0:1], v6, s26, 0
	v_add3_u32 v21, v21, v22, v17
	v_lshl_add_u64 v[18:19], v[18:19], 3, s[36:37]
	v_lshl_add_u64 v[20:21], v[20:21], 3, s[36:37]
	s_mov_b64 s[6:7], 0
                                        ; implicit-def: $sgpr12_sgpr13
.LBB863_136:                            ; =>This Inner Loop Header: Depth=1
	global_load_dwordx2 v[22:23], v[18:19], off
	global_load_dwordx2 v[24:25], v[20:21], off
	s_add_u32 s0, s14, -1
	s_addc_u32 s1, s15, -1
	s_cmp_eq_u64 s[14:15], 0
	s_mov_b64 s[14:15], s[0:1]
	s_cselect_b64 s[26:27], -1, 0
	v_lshl_add_u64 v[18:19], v[18:19], 0, 8
	v_lshl_add_u64 v[20:21], v[20:21], 0, 8
	s_waitcnt vmcnt(0)
	v_cmp_neq_f64_e64 s[0:1], v[22:23], v[24:25]
	s_or_b64 s[0:1], s[0:1], s[26:27]
	s_and_b64 s[0:1], exec, s[0:1]
	v_cmp_eq_f64_e32 vcc, v[22:23], v[24:25]
	s_or_b64 s[6:7], s[0:1], s[6:7]
	s_andn2_b64 s[0:1], s[12:13], exec
	s_and_b64 s[12:13], vcc, exec
	s_or_b64 s[12:13], s[0:1], s[12:13]
	s_andn2_b64 exec, exec, s[6:7]
	s_cbranch_execnz .LBB863_136
; %bb.137:
	s_or_b64 exec, exec, s[6:7]
	s_xor_b64 s[0:1], s[12:13], -1
.LBB863_138:
	s_and_b64 s[0:1], s[0:1], exec
.LBB863_139:
	s_or_b64 exec, exec, s[2:3]
	v_perm_b32 v17, v15, v15, s40
	s_or_b64 s[10:11], s[10:11], exec
.LBB863_140:
	s_or_b64 exec, exec, s[4:5]
.LBB863_141:
	s_and_saveexec_b64 s[2:3], s[10:11]
	s_cbranch_execz .LBB863_143
; %bb.142:
	s_waitcnt vmcnt(0) lgkmcnt(0)
	v_lshrrev_b32_e32 v14, 24, v17
	v_lshrrev_b32_e32 v34, 16, v17
	;; [unrolled: 1-line block ×3, first 2 shown]
	v_cndmask_b32_e64 v16, 0, 1, s[0:1]
.LBB863_143:
	s_or_b64 exec, exec, s[2:3]
	s_andn2_b64 vcc, exec, s[8:9]
	s_cbranch_vccnz .LBB863_147
; %bb.144:
	s_mov_b32 s0, 0xc0c0004
	s_waitcnt vmcnt(0) lgkmcnt(0)
	v_perm_b32 v14, v34, v14, s0
	v_perm_b32 v15, v16, v35, s0
	v_lshlrev_b32_e32 v14, 16, v14
	v_or_b32_e32 v15, v15, v14
	v_cmp_gt_u32_e32 vcc, s48, v1
	v_add_u32_e32 v16, 1, v1
	s_mov_b32 s0, 0x40c0100
	v_cndmask_b32_e32 v14, v14, v15, vcc
	v_and_b32_e32 v14, 0xffff00ff, v14
	v_cmp_gt_u32_e32 vcc, s48, v16
	v_add_u32_e32 v16, 2, v1
	v_and_b32_e32 v33, 0xff, v33
	v_cndmask_b32_e32 v14, v14, v15, vcc
	v_lshrrev_b32_e32 v18, 24, v14
	v_perm_b32 v14, v18, v14, s0
	v_cmp_gt_u32_e32 vcc, s48, v16
	v_add_u32_e32 v16, 3, v1
	v_and_b32_e32 v17, 0xffff, v33
	v_cndmask_b32_e32 v14, v14, v15, vcc
	v_and_b32_e32 v14, 0xffffff, v14
	v_cmp_gt_u32_e32 vcc, s48, v16
	v_add_u32_e32 v1, 4, v1
	s_nop 0
	v_cndmask_b32_e32 v16, v14, v15, vcc
	v_lshrrev_b32_e32 v34, 16, v16
	v_lshrrev_b32_e32 v35, 8, v16
	v_lshrrev_b64 v[14:15], 24, v[16:17]
	v_cmp_le_u32_e32 vcc, s48, v1
	s_and_saveexec_b64 s[0:1], vcc
; %bb.145:
	v_mov_b32_e32 v33, 0
; %bb.146:
	s_or_b64 exec, exec, s[0:1]
.LBB863_147:
	v_and_b32_e32 v1, 0xff, v16
	s_waitcnt vmcnt(0) lgkmcnt(0)
	v_and_b32_e32 v15, 0xff, v35
	v_and_b32_e32 v17, 0xff, v34
	;; [unrolled: 1-line block ×4, first 2 shown]
	v_add3_u32 v19, v15, v1, v17
	v_add3_u32 v37, v19, v29, v18
	v_mbcnt_lo_u32_b32 v18, -1, 0
	v_mbcnt_hi_u32_b32 v31, -1, v18
	v_and_b32_e32 v18, 15, v31
	v_cmp_eq_u32_e64 s[14:15], 0, v18
	v_cmp_lt_u32_e64 s[12:13], 1, v18
	v_cmp_lt_u32_e64 s[10:11], 3, v18
	;; [unrolled: 1-line block ×3, first 2 shown]
	v_and_b32_e32 v18, 16, v31
	v_cmp_eq_u32_e64 s[6:7], 0, v18
	v_or_b32_e32 v18, 63, v0
	v_cmp_lt_u32_e64 s[2:3], 31, v31
	v_lshrrev_b32_e32 v36, 6, v0
	v_cmp_eq_u32_e64 s[4:5], v0, v18
	s_and_b64 vcc, exec, s[16:17]
	s_barrier
	s_cbranch_vccz .LBB863_169
; %bb.148:
	v_mov_b32_dpp v18, v37 row_shr:1 row_mask:0xf bank_mask:0xf
	v_cndmask_b32_e64 v18, v18, 0, s[14:15]
	v_add_u32_e32 v18, v18, v37
	s_nop 1
	v_mov_b32_dpp v19, v18 row_shr:2 row_mask:0xf bank_mask:0xf
	v_cndmask_b32_e64 v19, 0, v19, s[12:13]
	v_add_u32_e32 v18, v18, v19
	s_nop 1
	;; [unrolled: 4-line block ×4, first 2 shown]
	v_mov_b32_dpp v19, v18 row_bcast:15 row_mask:0xf bank_mask:0xf
	v_cndmask_b32_e64 v19, v19, 0, s[6:7]
	v_add_u32_e32 v18, v18, v19
	s_nop 1
	v_mov_b32_dpp v19, v18 row_bcast:31 row_mask:0xf bank_mask:0xf
	v_cndmask_b32_e64 v19, 0, v19, s[2:3]
	v_add_u32_e32 v18, v18, v19
	s_and_saveexec_b64 s[0:1], s[4:5]
; %bb.149:
	v_lshlrev_b32_e32 v19, 2, v36
	ds_write_b32 v19, v18
; %bb.150:
	s_or_b64 exec, exec, s[0:1]
	v_cmp_gt_u32_e32 vcc, 2, v0
	s_waitcnt lgkmcnt(0)
	s_barrier
	s_and_saveexec_b64 s[0:1], vcc
	s_cbranch_execz .LBB863_152
; %bb.151:
	v_lshlrev_b32_e32 v19, 2, v0
	ds_read_b32 v20, v19
	v_bfe_i32 v21, v31, 0, 1
	s_waitcnt lgkmcnt(0)
	v_mov_b32_dpp v22, v20 row_shr:1 row_mask:0xf bank_mask:0xf
	v_and_b32_e32 v21, v21, v22
	v_add_u32_e32 v20, v21, v20
	ds_write_b32 v19, v20
.LBB863_152:
	s_or_b64 exec, exec, s[0:1]
	v_cmp_gt_u32_e32 vcc, 64, v0
	v_cmp_lt_u32_e64 s[0:1], 63, v0
	s_waitcnt lgkmcnt(0)
	s_barrier
                                        ; implicit-def: $vgpr28
	s_and_saveexec_b64 s[16:17], s[0:1]
	s_cbranch_execz .LBB863_154
; %bb.153:
	v_lshl_add_u32 v19, v36, 2, -4
	ds_read_b32 v28, v19
	s_waitcnt lgkmcnt(0)
	v_add_u32_e32 v18, v28, v18
.LBB863_154:
	s_or_b64 exec, exec, s[16:17]
	v_subrev_co_u32_e64 v19, s[16:17], 1, v31
	v_and_b32_e32 v20, 64, v31
	v_cmp_lt_i32_e64 s[0:1], v19, v20
	s_nop 1
	v_cndmask_b32_e64 v19, v19, v31, s[0:1]
	v_lshlrev_b32_e32 v19, 2, v19
	ds_bpermute_b32 v30, v19, v18
	s_and_saveexec_b64 s[0:1], vcc
	s_cbranch_execz .LBB863_174
; %bb.155:
	v_mov_b32_e32 v25, 0
	ds_read_b32 v18, v25 offset:4
	s_and_saveexec_b64 s[26:27], s[16:17]
	s_cbranch_execz .LBB863_157
; %bb.156:
	s_add_i32 s36, s33, 64
	s_mov_b32 s37, 0
	s_lshl_b64 s[36:37], s[36:37], 3
	s_add_u32 s36, s38, s36
	v_mov_b32_e32 v19, 1
	s_addc_u32 s37, s39, s37
	s_waitcnt lgkmcnt(0)
	global_store_dwordx2 v25, v[18:19], s[36:37] sc1
.LBB863_157:
	s_or_b64 exec, exec, s[26:27]
	v_xad_u32 v20, v31, -1, s33
	v_add_u32_e32 v24, 64, v20
	v_lshl_add_u64 v[26:27], v[24:25], 3, s[38:39]
	global_load_dwordx2 v[22:23], v[26:27], off sc1
	s_waitcnt vmcnt(0)
	v_cmp_eq_u16_sdwa s[36:37], v23, v25 src0_sel:BYTE_0 src1_sel:DWORD
	s_and_saveexec_b64 s[26:27], s[36:37]
	s_cbranch_execz .LBB863_161
; %bb.158:
	s_mov_b64 s[36:37], 0
	v_mov_b32_e32 v19, 0
.LBB863_159:                            ; =>This Inner Loop Header: Depth=1
	global_load_dwordx2 v[22:23], v[26:27], off sc1
	s_waitcnt vmcnt(0)
	v_cmp_ne_u16_sdwa s[40:41], v23, v19 src0_sel:BYTE_0 src1_sel:DWORD
	s_or_b64 s[36:37], s[40:41], s[36:37]
	s_andn2_b64 exec, exec, s[36:37]
	s_cbranch_execnz .LBB863_159
; %bb.160:
	s_or_b64 exec, exec, s[36:37]
.LBB863_161:
	s_or_b64 exec, exec, s[26:27]
	v_and_b32_e32 v39, 63, v31
	v_mov_b32_e32 v38, 2
	v_cmp_ne_u32_e32 vcc, 63, v39
	v_cmp_eq_u16_sdwa s[26:27], v23, v38 src0_sel:BYTE_0 src1_sel:DWORD
	v_lshlrev_b64 v[24:25], v31, -1
	v_addc_co_u32_e32 v26, vcc, 0, v31, vcc
	v_and_b32_e32 v19, s27, v25
	v_lshlrev_b32_e32 v40, 2, v26
	v_or_b32_e32 v19, 0x80000000, v19
	ds_bpermute_b32 v26, v40, v22
	v_and_b32_e32 v21, s26, v24
	v_ffbl_b32_e32 v19, v19
	v_add_u32_e32 v19, 32, v19
	v_ffbl_b32_e32 v21, v21
	v_min_u32_e32 v19, v21, v19
	v_cmp_lt_u32_e32 vcc, v39, v19
	v_add_u32_e32 v42, 2, v39
	v_add_u32_e32 v44, 4, v39
	s_waitcnt lgkmcnt(0)
	v_cndmask_b32_e32 v21, 0, v26, vcc
	v_cmp_gt_u32_e32 vcc, 62, v39
	v_add_u32_e32 v21, v21, v22
	v_add_u32_e32 v46, 8, v39
	v_cndmask_b32_e64 v22, 0, 2, vcc
	v_add_lshl_u32 v41, v22, v31, 2
	ds_bpermute_b32 v22, v41, v21
	v_cmp_le_u32_e32 vcc, v42, v19
	v_add_u32_e32 v48, 16, v39
	v_add_u32_e32 v50, 32, v39
	s_waitcnt lgkmcnt(0)
	v_cndmask_b32_e32 v22, 0, v22, vcc
	v_cmp_gt_u32_e32 vcc, 60, v39
	v_add_u32_e32 v21, v21, v22
	s_nop 0
	v_cndmask_b32_e64 v22, 0, 4, vcc
	v_add_lshl_u32 v43, v22, v31, 2
	ds_bpermute_b32 v22, v43, v21
	v_cmp_le_u32_e32 vcc, v44, v19
	s_waitcnt lgkmcnt(0)
	s_nop 0
	v_cndmask_b32_e32 v22, 0, v22, vcc
	v_cmp_gt_u32_e32 vcc, 56, v39
	v_add_u32_e32 v21, v21, v22
	s_nop 0
	v_cndmask_b32_e64 v22, 0, 8, vcc
	v_add_lshl_u32 v45, v22, v31, 2
	ds_bpermute_b32 v22, v45, v21
	v_cmp_le_u32_e32 vcc, v46, v19
	s_waitcnt lgkmcnt(0)
	s_nop 0
	;; [unrolled: 10-line block ×3, first 2 shown]
	v_cndmask_b32_e32 v22, 0, v22, vcc
	v_add_u32_e32 v21, v21, v22
	v_mov_b32_e32 v22, 0x80
	v_lshl_or_b32 v49, v31, 2, v22
	ds_bpermute_b32 v22, v49, v21
	v_cmp_le_u32_e32 vcc, v50, v19
	s_waitcnt lgkmcnt(0)
	s_nop 0
	v_cndmask_b32_e32 v19, 0, v22, vcc
	v_add_u32_e32 v22, v21, v19
	v_mov_b32_e32 v21, 0
	s_branch .LBB863_164
.LBB863_162:                            ;   in Loop: Header=BB863_164 Depth=1
	s_or_b64 exec, exec, s[26:27]
	v_cmp_eq_u16_sdwa s[26:27], v23, v38 src0_sel:BYTE_0 src1_sel:DWORD
	ds_bpermute_b32 v51, v40, v22
	v_subrev_u32_e32 v20, 64, v20
	v_and_b32_e32 v26, s27, v25
	v_or_b32_e32 v26, 0x80000000, v26
	v_and_b32_e32 v27, s26, v24
	v_ffbl_b32_e32 v26, v26
	v_add_u32_e32 v26, 32, v26
	v_ffbl_b32_e32 v27, v27
	v_min_u32_e32 v26, v27, v26
	v_cmp_lt_u32_e32 vcc, v39, v26
	s_mov_b64 s[26:27], 0
	s_waitcnt lgkmcnt(0)
	v_cndmask_b32_e32 v27, 0, v51, vcc
	v_add_u32_e32 v22, v27, v22
	ds_bpermute_b32 v27, v41, v22
	v_cmp_le_u32_e32 vcc, v42, v26
	s_waitcnt lgkmcnt(0)
	s_nop 0
	v_cndmask_b32_e32 v27, 0, v27, vcc
	v_add_u32_e32 v22, v22, v27
	ds_bpermute_b32 v27, v43, v22
	v_cmp_le_u32_e32 vcc, v44, v26
	s_waitcnt lgkmcnt(0)
	s_nop 0
	;; [unrolled: 6-line block ×5, first 2 shown]
	v_cndmask_b32_e32 v26, 0, v27, vcc
	v_add3_u32 v22, v26, v19, v22
.LBB863_163:                            ;   in Loop: Header=BB863_164 Depth=1
	s_and_b64 vcc, exec, s[26:27]
	s_cbranch_vccnz .LBB863_170
.LBB863_164:                            ; =>This Loop Header: Depth=1
                                        ;     Child Loop BB863_167 Depth 2
	v_cmp_ne_u16_sdwa s[26:27], v23, v38 src0_sel:BYTE_0 src1_sel:DWORD
	v_mov_b32_e32 v19, v22
	s_cmp_lg_u64 s[26:27], exec
	s_mov_b64 s[26:27], -1
                                        ; implicit-def: $vgpr22
                                        ; implicit-def: $vgpr23
	s_cbranch_scc1 .LBB863_163
; %bb.165:                              ;   in Loop: Header=BB863_164 Depth=1
	v_lshl_add_u64 v[26:27], v[20:21], 3, s[38:39]
	global_load_dwordx2 v[22:23], v[26:27], off sc1
	s_waitcnt vmcnt(0)
	v_cmp_eq_u16_sdwa s[36:37], v23, v21 src0_sel:BYTE_0 src1_sel:DWORD
	s_and_saveexec_b64 s[26:27], s[36:37]
	s_cbranch_execz .LBB863_162
; %bb.166:                              ;   in Loop: Header=BB863_164 Depth=1
	s_mov_b64 s[36:37], 0
.LBB863_167:                            ;   Parent Loop BB863_164 Depth=1
                                        ; =>  This Inner Loop Header: Depth=2
	global_load_dwordx2 v[22:23], v[26:27], off sc1
	s_waitcnt vmcnt(0)
	v_cmp_ne_u16_sdwa s[40:41], v23, v21 src0_sel:BYTE_0 src1_sel:DWORD
	s_or_b64 s[36:37], s[40:41], s[36:37]
	s_andn2_b64 exec, exec, s[36:37]
	s_cbranch_execnz .LBB863_167
; %bb.168:                              ;   in Loop: Header=BB863_164 Depth=1
	s_or_b64 exec, exec, s[36:37]
	s_branch .LBB863_162
.LBB863_169:
                                        ; implicit-def: $vgpr22
                                        ; implicit-def: $vgpr24
                                        ; implicit-def: $vgpr26
                                        ; implicit-def: $vgpr28
                                        ; implicit-def: $vgpr30
                                        ; implicit-def: $vgpr20
                                        ; implicit-def: $vgpr18
	s_cbranch_execnz .LBB863_175
	s_branch .LBB863_184
.LBB863_170:
	s_and_saveexec_b64 s[26:27], s[16:17]
	s_cbranch_execz .LBB863_172
; %bb.171:
	s_add_i32 s36, s33, 64
	s_mov_b32 s37, 0
	s_lshl_b64 s[36:37], s[36:37], 3
	s_add_u32 s36, s38, s36
	v_add_u32_e32 v20, v19, v18
	v_mov_b32_e32 v21, 2
	s_addc_u32 s37, s39, s37
	v_mov_b32_e32 v22, 0
	global_store_dwordx2 v22, v[20:21], s[36:37] sc1
	ds_write_b64 v22, v[18:19] offset:5120
.LBB863_172:
	s_or_b64 exec, exec, s[26:27]
	s_and_b64 exec, exec, s[18:19]
; %bb.173:
	v_mov_b32_e32 v18, 0
	ds_write_b32 v18, v19 offset:4
.LBB863_174:
	s_or_b64 exec, exec, s[0:1]
	v_mov_b32_e32 v18, 0
	s_waitcnt lgkmcnt(0)
	s_barrier
	ds_read_b32 v19, v18 offset:4
	v_cndmask_b32_e64 v20, v30, v28, s[16:17]
	v_cndmask_b32_e64 v20, v20, 0, s[18:19]
	s_waitcnt lgkmcnt(0)
	s_barrier
	v_add_u32_e32 v30, v19, v20
	ds_read_b64 v[18:19], v18 offset:5120
	v_add_u32_e32 v28, v30, v1
	v_add_u32_e32 v26, v28, v15
	v_add_u32_e32 v24, v26, v17
	v_add_u32_e32 v22, v24, v29
	s_waitcnt lgkmcnt(0)
	v_mov_b32_e32 v20, v19
	s_branch .LBB863_184
.LBB863_175:
	v_mov_b32_dpp v18, v37 row_shr:1 row_mask:0xf bank_mask:0xf
	v_cndmask_b32_e64 v18, v18, 0, s[14:15]
	v_add_u32_e32 v18, v18, v37
	s_nop 1
	v_mov_b32_dpp v19, v18 row_shr:2 row_mask:0xf bank_mask:0xf
	v_cndmask_b32_e64 v19, 0, v19, s[12:13]
	v_add_u32_e32 v18, v18, v19
	s_nop 1
	;; [unrolled: 4-line block ×4, first 2 shown]
	v_mov_b32_dpp v19, v18 row_bcast:15 row_mask:0xf bank_mask:0xf
	v_cndmask_b32_e64 v19, v19, 0, s[6:7]
	v_add_u32_e32 v18, v18, v19
	s_nop 1
	v_mov_b32_dpp v19, v18 row_bcast:31 row_mask:0xf bank_mask:0xf
	v_cndmask_b32_e64 v19, 0, v19, s[2:3]
	v_add_u32_e32 v18, v18, v19
	s_and_saveexec_b64 s[0:1], s[4:5]
; %bb.176:
	v_lshlrev_b32_e32 v19, 2, v36
	ds_write_b32 v19, v18
; %bb.177:
	s_or_b64 exec, exec, s[0:1]
	v_cmp_gt_u32_e32 vcc, 2, v0
	s_waitcnt lgkmcnt(0)
	s_barrier
	s_and_saveexec_b64 s[0:1], vcc
	s_cbranch_execz .LBB863_179
; %bb.178:
	v_lshlrev_b32_e32 v19, 2, v0
	ds_read_b32 v20, v19
	v_bfe_i32 v21, v31, 0, 1
	s_waitcnt lgkmcnt(0)
	v_mov_b32_dpp v22, v20 row_shr:1 row_mask:0xf bank_mask:0xf
	v_and_b32_e32 v21, v21, v22
	v_add_u32_e32 v20, v21, v20
	ds_write_b32 v19, v20
.LBB863_179:
	s_or_b64 exec, exec, s[0:1]
	v_cmp_lt_u32_e32 vcc, 63, v0
	v_mov_b32_e32 v19, 0
	v_mov_b32_e32 v20, 0
	s_waitcnt lgkmcnt(0)
	s_barrier
	s_and_saveexec_b64 s[0:1], vcc
; %bb.180:
	v_lshl_add_u32 v20, v36, 2, -4
	ds_read_b32 v20, v20
; %bb.181:
	s_or_b64 exec, exec, s[0:1]
	v_subrev_co_u32_e32 v21, vcc, 1, v31
	v_and_b32_e32 v22, 64, v31
	v_cmp_lt_i32_e64 s[0:1], v21, v22
	s_waitcnt lgkmcnt(0)
	v_add_u32_e32 v18, v20, v18
	v_cndmask_b32_e64 v21, v21, v31, s[0:1]
	v_lshlrev_b32_e32 v21, 2, v21
	ds_bpermute_b32 v21, v21, v18
	ds_read_b32 v18, v19 offset:4
	s_and_saveexec_b64 s[0:1], s[18:19]
	s_cbranch_execz .LBB863_183
; %bb.182:
	v_mov_b32_e32 v22, 0
	v_mov_b32_e32 v19, 2
	s_waitcnt lgkmcnt(0)
	global_store_dwordx2 v22, v[18:19], s[38:39] offset:512 sc1
.LBB863_183:
	s_or_b64 exec, exec, s[0:1]
	s_waitcnt lgkmcnt(1)
	v_cndmask_b32_e32 v19, v21, v20, vcc
	v_cndmask_b32_e64 v30, v19, 0, s[18:19]
	v_add_u32_e32 v28, v30, v1
	v_add_u32_e32 v26, v28, v15
	;; [unrolled: 1-line block ×4, first 2 shown]
	s_waitcnt lgkmcnt(0)
	s_barrier
	v_mov_b32_e32 v20, 0
.LBB863_184:
	s_movk_i32 s0, 0x81
	v_cmp_gt_u32_e64 s[2:3], s0, v18
	v_add_u32_e32 v15, v20, v18
	v_and_b32_e32 v1, 1, v16
	s_mov_b64 s[6:7], -1
	s_and_b64 vcc, exec, s[2:3]
	v_cmp_lt_u32_e64 s[0:1], v30, v15
	v_cmp_eq_u32_e64 s[4:5], 1, v1
	s_cbranch_vccz .LBB863_196
; %bb.185:
	s_or_b64 s[0:1], s[34:35], s[0:1]
	s_and_b64 s[4:5], s[0:1], s[4:5]
	s_and_saveexec_b64 s[0:1], s[4:5]
	s_cbranch_execz .LBB863_187
; %bb.186:
	s_lshl_b64 s[4:5], s[22:23], 3
	s_add_u32 s4, s28, s4
	s_addc_u32 s5, s29, s5
	v_mov_b32_e32 v31, 0
	v_lshl_add_u64 v[16:17], v[30:31], 3, s[4:5]
	global_store_dwordx2 v[16:17], v[6:7], off
.LBB863_187:
	s_or_b64 exec, exec, s[0:1]
	v_cmp_lt_u32_e32 vcc, v28, v15
	v_and_b32_e32 v16, 1, v35
	s_or_b64 s[0:1], s[34:35], vcc
	v_cmp_eq_u32_e32 vcc, 1, v16
	s_and_b64 s[4:5], s[0:1], vcc
	s_and_saveexec_b64 s[0:1], s[4:5]
	s_cbranch_execz .LBB863_189
; %bb.188:
	s_lshl_b64 s[4:5], s[22:23], 3
	s_add_u32 s4, s28, s4
	s_addc_u32 s5, s29, s5
	v_mov_b32_e32 v29, 0
	v_lshl_add_u64 v[16:17], v[28:29], 3, s[4:5]
	global_store_dwordx2 v[16:17], v[8:9], off
.LBB863_189:
	s_or_b64 exec, exec, s[0:1]
	v_cmp_lt_u32_e32 vcc, v26, v15
	v_and_b32_e32 v16, 1, v34
	s_or_b64 s[0:1], s[34:35], vcc
	v_cmp_eq_u32_e32 vcc, 1, v16
	s_and_b64 s[4:5], s[0:1], vcc
	;; [unrolled: 16-line block ×4, first 2 shown]
	s_and_saveexec_b64 s[0:1], s[4:5]
	s_cbranch_execz .LBB863_195
; %bb.194:
	s_lshl_b64 s[4:5], s[22:23], 3
	s_add_u32 s4, s28, s4
	s_addc_u32 s5, s29, s5
	v_mov_b32_e32 v23, 0
	v_lshl_add_u64 v[16:17], v[22:23], 3, s[4:5]
	global_store_dwordx2 v[16:17], v[12:13], off
.LBB863_195:
	s_or_b64 exec, exec, s[0:1]
	s_mov_b64 s[6:7], 0
.LBB863_196:
	s_and_b64 vcc, exec, s[6:7]
	s_cbranch_vccz .LBB863_210
; %bb.197:
	v_cmp_eq_u32_e32 vcc, 1, v1
	s_and_saveexec_b64 s[0:1], vcc
; %bb.198:
	v_sub_u32_e32 v16, v30, v20
	v_lshlrev_b32_e32 v16, 3, v16
	ds_write_b64 v16, v[6:7]
; %bb.199:
	s_or_b64 exec, exec, s[0:1]
	v_and_b32_e32 v6, 1, v35
	v_cmp_eq_u32_e32 vcc, 1, v6
	s_and_saveexec_b64 s[0:1], vcc
; %bb.200:
	v_sub_u32_e32 v6, v28, v20
	v_lshlrev_b32_e32 v6, 3, v6
	ds_write_b64 v6, v[8:9]
; %bb.201:
	s_or_b64 exec, exec, s[0:1]
	v_and_b32_e32 v6, 1, v34
	;; [unrolled: 9-line block ×4, first 2 shown]
	v_cmp_eq_u32_e32 vcc, 1, v2
	s_and_saveexec_b64 s[0:1], vcc
; %bb.206:
	v_sub_u32_e32 v2, v22, v20
	v_lshlrev_b32_e32 v2, 3, v2
	ds_write_b64 v2, v[12:13]
; %bb.207:
	s_or_b64 exec, exec, s[0:1]
	v_mov_b32_e32 v3, 0
	v_mov_b32_e32 v21, v3
	v_lshlrev_b64 v[4:5], 3, v[20:21]
	v_lshl_add_u64 v[4:5], s[28:29], 0, v[4:5]
	s_lshl_b64 s[0:1], s[22:23], 3
	v_lshl_add_u64 v[4:5], v[4:5], 0, s[0:1]
	v_lshlrev_b32_e32 v6, 3, v0
	s_mov_b64 s[0:1], 0
	v_mov_b32_e32 v2, v0
	s_waitcnt lgkmcnt(0)
	s_barrier
.LBB863_208:                            ; =>This Inner Loop Header: Depth=1
	ds_read_b64 v[8:9], v6
	v_lshl_add_u64 v[12:13], v[2:3], 3, v[4:5]
	v_add_u32_e32 v2, 0x80, v2
	v_cmp_ge_u32_e32 vcc, v2, v18
	v_add_u32_e32 v6, 0x400, v6
	s_or_b64 s[0:1], vcc, s[0:1]
	s_waitcnt lgkmcnt(0)
	global_store_dwordx2 v[12:13], v[8:9], off
	s_andn2_b64 exec, exec, s[0:1]
	s_cbranch_execnz .LBB863_208
; %bb.209:
	s_or_b64 exec, exec, s[0:1]
.LBB863_210:
	s_mov_b64 s[0:1], -1
	s_and_b64 vcc, exec, s[2:3]
	s_barrier
	s_cbranch_vccnz .LBB863_214
; %bb.211:
	s_and_b64 vcc, exec, s[0:1]
	s_cbranch_vccnz .LBB863_225
.LBB863_212:
	s_and_b64 s[0:1], s[18:19], s[24:25]
	s_and_saveexec_b64 s[2:3], s[0:1]
	s_cbranch_execnz .LBB863_238
.LBB863_213:
	s_endpgm
.LBB863_214:
	v_cmp_lt_u32_e32 vcc, v30, v15
	s_or_b64 s[0:1], s[34:35], vcc
	v_cmp_eq_u32_e32 vcc, 1, v1
	s_and_b64 s[2:3], s[0:1], vcc
	s_and_saveexec_b64 s[0:1], s[2:3]
	s_cbranch_execz .LBB863_216
; %bb.215:
	s_lshl_b64 s[2:3], s[22:23], 3
	s_add_u32 s2, s30, s2
	s_addc_u32 s3, s31, s3
	v_mov_b32_e32 v31, 0
	v_lshl_add_u64 v[2:3], v[30:31], 3, s[2:3]
	global_store_dwordx2 v[2:3], v[56:57], off
.LBB863_216:
	s_or_b64 exec, exec, s[0:1]
	v_cmp_lt_u32_e32 vcc, v28, v15
	v_and_b32_e32 v2, 1, v35
	s_or_b64 s[0:1], s[34:35], vcc
	v_cmp_eq_u32_e32 vcc, 1, v2
	s_and_b64 s[2:3], s[0:1], vcc
	s_and_saveexec_b64 s[0:1], s[2:3]
	s_cbranch_execz .LBB863_218
; %bb.217:
	s_lshl_b64 s[2:3], s[22:23], 3
	s_add_u32 s2, s30, s2
	s_addc_u32 s3, s31, s3
	v_mov_b32_e32 v29, 0
	v_lshl_add_u64 v[2:3], v[28:29], 3, s[2:3]
	global_store_dwordx2 v[2:3], v[58:59], off
.LBB863_218:
	s_or_b64 exec, exec, s[0:1]
	v_cmp_lt_u32_e32 vcc, v26, v15
	v_and_b32_e32 v2, 1, v34
	;; [unrolled: 16-line block ×4, first 2 shown]
	s_or_b64 s[0:1], s[34:35], vcc
	v_cmp_eq_u32_e32 vcc, 1, v2
	s_and_b64 s[2:3], s[0:1], vcc
	s_and_saveexec_b64 s[0:1], s[2:3]
	s_cbranch_execz .LBB863_224
; %bb.223:
	s_lshl_b64 s[2:3], s[22:23], 3
	s_add_u32 s2, s30, s2
	s_addc_u32 s3, s31, s3
	v_mov_b32_e32 v23, 0
	v_lshl_add_u64 v[2:3], v[22:23], 3, s[2:3]
	global_store_dwordx2 v[2:3], v[10:11], off
.LBB863_224:
	s_or_b64 exec, exec, s[0:1]
	s_branch .LBB863_212
.LBB863_225:
	v_cmp_eq_u32_e32 vcc, 1, v1
	s_and_saveexec_b64 s[0:1], vcc
; %bb.226:
	v_sub_u32_e32 v1, v30, v20
	v_lshlrev_b32_e32 v1, 3, v1
	ds_write_b64 v1, v[56:57]
; %bb.227:
	s_or_b64 exec, exec, s[0:1]
	v_and_b32_e32 v1, 1, v35
	v_cmp_eq_u32_e32 vcc, 1, v1
	s_and_saveexec_b64 s[0:1], vcc
; %bb.228:
	v_sub_u32_e32 v1, v28, v20
	v_lshlrev_b32_e32 v1, 3, v1
	ds_write_b64 v1, v[58:59]
; %bb.229:
	s_or_b64 exec, exec, s[0:1]
	v_and_b32_e32 v1, 1, v34
	;; [unrolled: 9-line block ×4, first 2 shown]
	v_cmp_eq_u32_e32 vcc, 1, v1
	s_and_saveexec_b64 s[0:1], vcc
; %bb.234:
	v_sub_u32_e32 v1, v22, v20
	v_lshlrev_b32_e32 v1, 3, v1
	ds_write_b64 v1, v[10:11]
; %bb.235:
	s_or_b64 exec, exec, s[0:1]
	v_mov_b32_e32 v1, 0
	v_mov_b32_e32 v21, v1
	v_lshlrev_b64 v[2:3], 3, v[20:21]
	v_lshl_add_u64 v[2:3], s[30:31], 0, v[2:3]
	s_lshl_b64 s[0:1], s[22:23], 3
	v_lshl_add_u64 v[2:3], v[2:3], 0, s[0:1]
	s_mov_b64 s[0:1], 0
	s_waitcnt lgkmcnt(0)
	s_barrier
.LBB863_236:                            ; =>This Inner Loop Header: Depth=1
	ds_read_b64 v[4:5], v32
	v_lshl_add_u64 v[6:7], v[0:1], 3, v[2:3]
	v_add_u32_e32 v0, 0x80, v0
	v_cmp_ge_u32_e32 vcc, v0, v18
	v_add_u32_e32 v32, 0x400, v32
	s_or_b64 s[0:1], vcc, s[0:1]
	s_waitcnt lgkmcnt(0)
	global_store_dwordx2 v[6:7], v[4:5], off
	s_andn2_b64 exec, exec, s[0:1]
	s_cbranch_execnz .LBB863_236
; %bb.237:
	s_or_b64 exec, exec, s[0:1]
	s_and_b64 s[0:1], s[18:19], s[24:25]
	s_and_saveexec_b64 s[2:3], s[0:1]
	s_cbranch_execz .LBB863_213
.LBB863_238:
	v_mov_b32_e32 v19, 0
	v_lshl_add_u64 v[0:1], s[22:23], 0, v[18:19]
	v_mov_b32_e32 v21, v19
	v_lshl_add_u64 v[0:1], v[0:1], 0, v[20:21]
	global_store_dwordx2 v19, v[0:1], s[20:21]
	s_endpgm
	.section	.rodata,"a",@progbits
	.p2align	6, 0x0
	.amdhsa_kernel _ZN7rocprim17ROCPRIM_400000_NS6detail17trampoline_kernelINS0_14default_configENS1_25partition_config_selectorILNS1_17partition_subalgoE9EllbEEZZNS1_14partition_implILS5_9ELb0ES3_jPlS8_PNS0_10empty_typeENS0_5tupleIJS8_S9_EEENSB_IJS8_SA_EEENS0_18inequality_wrapperIZN2at6native12_GLOBAL__N_124unique_dim_cuda_templateIdEESt5tupleIJNSF_6TensorESK_SK_EERKSK_lbbbEUlllE0_EEPmJS9_EEE10hipError_tPvRmT3_T4_T5_T6_T7_T9_mT8_P12ihipStream_tbDpT10_ENKUlT_T0_E_clISt17integral_constantIbLb0EES19_IbLb1EEEEDaS15_S16_EUlS15_E_NS1_11comp_targetILNS1_3genE0ELNS1_11target_archE4294967295ELNS1_3gpuE0ELNS1_3repE0EEENS1_30default_config_static_selectorELNS0_4arch9wavefront6targetE1EEEvT1_
		.amdhsa_group_segment_fixed_size 5128
		.amdhsa_private_segment_fixed_size 0
		.amdhsa_kernarg_size 136
		.amdhsa_user_sgpr_count 2
		.amdhsa_user_sgpr_dispatch_ptr 0
		.amdhsa_user_sgpr_queue_ptr 0
		.amdhsa_user_sgpr_kernarg_segment_ptr 1
		.amdhsa_user_sgpr_dispatch_id 0
		.amdhsa_user_sgpr_kernarg_preload_length 0
		.amdhsa_user_sgpr_kernarg_preload_offset 0
		.amdhsa_user_sgpr_private_segment_size 0
		.amdhsa_uses_dynamic_stack 0
		.amdhsa_enable_private_segment 0
		.amdhsa_system_sgpr_workgroup_id_x 1
		.amdhsa_system_sgpr_workgroup_id_y 0
		.amdhsa_system_sgpr_workgroup_id_z 0
		.amdhsa_system_sgpr_workgroup_info 0
		.amdhsa_system_vgpr_workitem_id 0
		.amdhsa_next_free_vgpr 60
		.amdhsa_next_free_sgpr 52
		.amdhsa_accum_offset 60
		.amdhsa_reserve_vcc 1
		.amdhsa_float_round_mode_32 0
		.amdhsa_float_round_mode_16_64 0
		.amdhsa_float_denorm_mode_32 3
		.amdhsa_float_denorm_mode_16_64 3
		.amdhsa_dx10_clamp 1
		.amdhsa_ieee_mode 1
		.amdhsa_fp16_overflow 0
		.amdhsa_tg_split 0
		.amdhsa_exception_fp_ieee_invalid_op 0
		.amdhsa_exception_fp_denorm_src 0
		.amdhsa_exception_fp_ieee_div_zero 0
		.amdhsa_exception_fp_ieee_overflow 0
		.amdhsa_exception_fp_ieee_underflow 0
		.amdhsa_exception_fp_ieee_inexact 0
		.amdhsa_exception_int_div_zero 0
	.end_amdhsa_kernel
	.section	.text._ZN7rocprim17ROCPRIM_400000_NS6detail17trampoline_kernelINS0_14default_configENS1_25partition_config_selectorILNS1_17partition_subalgoE9EllbEEZZNS1_14partition_implILS5_9ELb0ES3_jPlS8_PNS0_10empty_typeENS0_5tupleIJS8_S9_EEENSB_IJS8_SA_EEENS0_18inequality_wrapperIZN2at6native12_GLOBAL__N_124unique_dim_cuda_templateIdEESt5tupleIJNSF_6TensorESK_SK_EERKSK_lbbbEUlllE0_EEPmJS9_EEE10hipError_tPvRmT3_T4_T5_T6_T7_T9_mT8_P12ihipStream_tbDpT10_ENKUlT_T0_E_clISt17integral_constantIbLb0EES19_IbLb1EEEEDaS15_S16_EUlS15_E_NS1_11comp_targetILNS1_3genE0ELNS1_11target_archE4294967295ELNS1_3gpuE0ELNS1_3repE0EEENS1_30default_config_static_selectorELNS0_4arch9wavefront6targetE1EEEvT1_,"axG",@progbits,_ZN7rocprim17ROCPRIM_400000_NS6detail17trampoline_kernelINS0_14default_configENS1_25partition_config_selectorILNS1_17partition_subalgoE9EllbEEZZNS1_14partition_implILS5_9ELb0ES3_jPlS8_PNS0_10empty_typeENS0_5tupleIJS8_S9_EEENSB_IJS8_SA_EEENS0_18inequality_wrapperIZN2at6native12_GLOBAL__N_124unique_dim_cuda_templateIdEESt5tupleIJNSF_6TensorESK_SK_EERKSK_lbbbEUlllE0_EEPmJS9_EEE10hipError_tPvRmT3_T4_T5_T6_T7_T9_mT8_P12ihipStream_tbDpT10_ENKUlT_T0_E_clISt17integral_constantIbLb0EES19_IbLb1EEEEDaS15_S16_EUlS15_E_NS1_11comp_targetILNS1_3genE0ELNS1_11target_archE4294967295ELNS1_3gpuE0ELNS1_3repE0EEENS1_30default_config_static_selectorELNS0_4arch9wavefront6targetE1EEEvT1_,comdat
.Lfunc_end863:
	.size	_ZN7rocprim17ROCPRIM_400000_NS6detail17trampoline_kernelINS0_14default_configENS1_25partition_config_selectorILNS1_17partition_subalgoE9EllbEEZZNS1_14partition_implILS5_9ELb0ES3_jPlS8_PNS0_10empty_typeENS0_5tupleIJS8_S9_EEENSB_IJS8_SA_EEENS0_18inequality_wrapperIZN2at6native12_GLOBAL__N_124unique_dim_cuda_templateIdEESt5tupleIJNSF_6TensorESK_SK_EERKSK_lbbbEUlllE0_EEPmJS9_EEE10hipError_tPvRmT3_T4_T5_T6_T7_T9_mT8_P12ihipStream_tbDpT10_ENKUlT_T0_E_clISt17integral_constantIbLb0EES19_IbLb1EEEEDaS15_S16_EUlS15_E_NS1_11comp_targetILNS1_3genE0ELNS1_11target_archE4294967295ELNS1_3gpuE0ELNS1_3repE0EEENS1_30default_config_static_selectorELNS0_4arch9wavefront6targetE1EEEvT1_, .Lfunc_end863-_ZN7rocprim17ROCPRIM_400000_NS6detail17trampoline_kernelINS0_14default_configENS1_25partition_config_selectorILNS1_17partition_subalgoE9EllbEEZZNS1_14partition_implILS5_9ELb0ES3_jPlS8_PNS0_10empty_typeENS0_5tupleIJS8_S9_EEENSB_IJS8_SA_EEENS0_18inequality_wrapperIZN2at6native12_GLOBAL__N_124unique_dim_cuda_templateIdEESt5tupleIJNSF_6TensorESK_SK_EERKSK_lbbbEUlllE0_EEPmJS9_EEE10hipError_tPvRmT3_T4_T5_T6_T7_T9_mT8_P12ihipStream_tbDpT10_ENKUlT_T0_E_clISt17integral_constantIbLb0EES19_IbLb1EEEEDaS15_S16_EUlS15_E_NS1_11comp_targetILNS1_3genE0ELNS1_11target_archE4294967295ELNS1_3gpuE0ELNS1_3repE0EEENS1_30default_config_static_selectorELNS0_4arch9wavefront6targetE1EEEvT1_
                                        ; -- End function
	.set _ZN7rocprim17ROCPRIM_400000_NS6detail17trampoline_kernelINS0_14default_configENS1_25partition_config_selectorILNS1_17partition_subalgoE9EllbEEZZNS1_14partition_implILS5_9ELb0ES3_jPlS8_PNS0_10empty_typeENS0_5tupleIJS8_S9_EEENSB_IJS8_SA_EEENS0_18inequality_wrapperIZN2at6native12_GLOBAL__N_124unique_dim_cuda_templateIdEESt5tupleIJNSF_6TensorESK_SK_EERKSK_lbbbEUlllE0_EEPmJS9_EEE10hipError_tPvRmT3_T4_T5_T6_T7_T9_mT8_P12ihipStream_tbDpT10_ENKUlT_T0_E_clISt17integral_constantIbLb0EES19_IbLb1EEEEDaS15_S16_EUlS15_E_NS1_11comp_targetILNS1_3genE0ELNS1_11target_archE4294967295ELNS1_3gpuE0ELNS1_3repE0EEENS1_30default_config_static_selectorELNS0_4arch9wavefront6targetE1EEEvT1_.num_vgpr, 60
	.set _ZN7rocprim17ROCPRIM_400000_NS6detail17trampoline_kernelINS0_14default_configENS1_25partition_config_selectorILNS1_17partition_subalgoE9EllbEEZZNS1_14partition_implILS5_9ELb0ES3_jPlS8_PNS0_10empty_typeENS0_5tupleIJS8_S9_EEENSB_IJS8_SA_EEENS0_18inequality_wrapperIZN2at6native12_GLOBAL__N_124unique_dim_cuda_templateIdEESt5tupleIJNSF_6TensorESK_SK_EERKSK_lbbbEUlllE0_EEPmJS9_EEE10hipError_tPvRmT3_T4_T5_T6_T7_T9_mT8_P12ihipStream_tbDpT10_ENKUlT_T0_E_clISt17integral_constantIbLb0EES19_IbLb1EEEEDaS15_S16_EUlS15_E_NS1_11comp_targetILNS1_3genE0ELNS1_11target_archE4294967295ELNS1_3gpuE0ELNS1_3repE0EEENS1_30default_config_static_selectorELNS0_4arch9wavefront6targetE1EEEvT1_.num_agpr, 0
	.set _ZN7rocprim17ROCPRIM_400000_NS6detail17trampoline_kernelINS0_14default_configENS1_25partition_config_selectorILNS1_17partition_subalgoE9EllbEEZZNS1_14partition_implILS5_9ELb0ES3_jPlS8_PNS0_10empty_typeENS0_5tupleIJS8_S9_EEENSB_IJS8_SA_EEENS0_18inequality_wrapperIZN2at6native12_GLOBAL__N_124unique_dim_cuda_templateIdEESt5tupleIJNSF_6TensorESK_SK_EERKSK_lbbbEUlllE0_EEPmJS9_EEE10hipError_tPvRmT3_T4_T5_T6_T7_T9_mT8_P12ihipStream_tbDpT10_ENKUlT_T0_E_clISt17integral_constantIbLb0EES19_IbLb1EEEEDaS15_S16_EUlS15_E_NS1_11comp_targetILNS1_3genE0ELNS1_11target_archE4294967295ELNS1_3gpuE0ELNS1_3repE0EEENS1_30default_config_static_selectorELNS0_4arch9wavefront6targetE1EEEvT1_.numbered_sgpr, 52
	.set _ZN7rocprim17ROCPRIM_400000_NS6detail17trampoline_kernelINS0_14default_configENS1_25partition_config_selectorILNS1_17partition_subalgoE9EllbEEZZNS1_14partition_implILS5_9ELb0ES3_jPlS8_PNS0_10empty_typeENS0_5tupleIJS8_S9_EEENSB_IJS8_SA_EEENS0_18inequality_wrapperIZN2at6native12_GLOBAL__N_124unique_dim_cuda_templateIdEESt5tupleIJNSF_6TensorESK_SK_EERKSK_lbbbEUlllE0_EEPmJS9_EEE10hipError_tPvRmT3_T4_T5_T6_T7_T9_mT8_P12ihipStream_tbDpT10_ENKUlT_T0_E_clISt17integral_constantIbLb0EES19_IbLb1EEEEDaS15_S16_EUlS15_E_NS1_11comp_targetILNS1_3genE0ELNS1_11target_archE4294967295ELNS1_3gpuE0ELNS1_3repE0EEENS1_30default_config_static_selectorELNS0_4arch9wavefront6targetE1EEEvT1_.num_named_barrier, 0
	.set _ZN7rocprim17ROCPRIM_400000_NS6detail17trampoline_kernelINS0_14default_configENS1_25partition_config_selectorILNS1_17partition_subalgoE9EllbEEZZNS1_14partition_implILS5_9ELb0ES3_jPlS8_PNS0_10empty_typeENS0_5tupleIJS8_S9_EEENSB_IJS8_SA_EEENS0_18inequality_wrapperIZN2at6native12_GLOBAL__N_124unique_dim_cuda_templateIdEESt5tupleIJNSF_6TensorESK_SK_EERKSK_lbbbEUlllE0_EEPmJS9_EEE10hipError_tPvRmT3_T4_T5_T6_T7_T9_mT8_P12ihipStream_tbDpT10_ENKUlT_T0_E_clISt17integral_constantIbLb0EES19_IbLb1EEEEDaS15_S16_EUlS15_E_NS1_11comp_targetILNS1_3genE0ELNS1_11target_archE4294967295ELNS1_3gpuE0ELNS1_3repE0EEENS1_30default_config_static_selectorELNS0_4arch9wavefront6targetE1EEEvT1_.private_seg_size, 0
	.set _ZN7rocprim17ROCPRIM_400000_NS6detail17trampoline_kernelINS0_14default_configENS1_25partition_config_selectorILNS1_17partition_subalgoE9EllbEEZZNS1_14partition_implILS5_9ELb0ES3_jPlS8_PNS0_10empty_typeENS0_5tupleIJS8_S9_EEENSB_IJS8_SA_EEENS0_18inequality_wrapperIZN2at6native12_GLOBAL__N_124unique_dim_cuda_templateIdEESt5tupleIJNSF_6TensorESK_SK_EERKSK_lbbbEUlllE0_EEPmJS9_EEE10hipError_tPvRmT3_T4_T5_T6_T7_T9_mT8_P12ihipStream_tbDpT10_ENKUlT_T0_E_clISt17integral_constantIbLb0EES19_IbLb1EEEEDaS15_S16_EUlS15_E_NS1_11comp_targetILNS1_3genE0ELNS1_11target_archE4294967295ELNS1_3gpuE0ELNS1_3repE0EEENS1_30default_config_static_selectorELNS0_4arch9wavefront6targetE1EEEvT1_.uses_vcc, 1
	.set _ZN7rocprim17ROCPRIM_400000_NS6detail17trampoline_kernelINS0_14default_configENS1_25partition_config_selectorILNS1_17partition_subalgoE9EllbEEZZNS1_14partition_implILS5_9ELb0ES3_jPlS8_PNS0_10empty_typeENS0_5tupleIJS8_S9_EEENSB_IJS8_SA_EEENS0_18inequality_wrapperIZN2at6native12_GLOBAL__N_124unique_dim_cuda_templateIdEESt5tupleIJNSF_6TensorESK_SK_EERKSK_lbbbEUlllE0_EEPmJS9_EEE10hipError_tPvRmT3_T4_T5_T6_T7_T9_mT8_P12ihipStream_tbDpT10_ENKUlT_T0_E_clISt17integral_constantIbLb0EES19_IbLb1EEEEDaS15_S16_EUlS15_E_NS1_11comp_targetILNS1_3genE0ELNS1_11target_archE4294967295ELNS1_3gpuE0ELNS1_3repE0EEENS1_30default_config_static_selectorELNS0_4arch9wavefront6targetE1EEEvT1_.uses_flat_scratch, 0
	.set _ZN7rocprim17ROCPRIM_400000_NS6detail17trampoline_kernelINS0_14default_configENS1_25partition_config_selectorILNS1_17partition_subalgoE9EllbEEZZNS1_14partition_implILS5_9ELb0ES3_jPlS8_PNS0_10empty_typeENS0_5tupleIJS8_S9_EEENSB_IJS8_SA_EEENS0_18inequality_wrapperIZN2at6native12_GLOBAL__N_124unique_dim_cuda_templateIdEESt5tupleIJNSF_6TensorESK_SK_EERKSK_lbbbEUlllE0_EEPmJS9_EEE10hipError_tPvRmT3_T4_T5_T6_T7_T9_mT8_P12ihipStream_tbDpT10_ENKUlT_T0_E_clISt17integral_constantIbLb0EES19_IbLb1EEEEDaS15_S16_EUlS15_E_NS1_11comp_targetILNS1_3genE0ELNS1_11target_archE4294967295ELNS1_3gpuE0ELNS1_3repE0EEENS1_30default_config_static_selectorELNS0_4arch9wavefront6targetE1EEEvT1_.has_dyn_sized_stack, 0
	.set _ZN7rocprim17ROCPRIM_400000_NS6detail17trampoline_kernelINS0_14default_configENS1_25partition_config_selectorILNS1_17partition_subalgoE9EllbEEZZNS1_14partition_implILS5_9ELb0ES3_jPlS8_PNS0_10empty_typeENS0_5tupleIJS8_S9_EEENSB_IJS8_SA_EEENS0_18inequality_wrapperIZN2at6native12_GLOBAL__N_124unique_dim_cuda_templateIdEESt5tupleIJNSF_6TensorESK_SK_EERKSK_lbbbEUlllE0_EEPmJS9_EEE10hipError_tPvRmT3_T4_T5_T6_T7_T9_mT8_P12ihipStream_tbDpT10_ENKUlT_T0_E_clISt17integral_constantIbLb0EES19_IbLb1EEEEDaS15_S16_EUlS15_E_NS1_11comp_targetILNS1_3genE0ELNS1_11target_archE4294967295ELNS1_3gpuE0ELNS1_3repE0EEENS1_30default_config_static_selectorELNS0_4arch9wavefront6targetE1EEEvT1_.has_recursion, 0
	.set _ZN7rocprim17ROCPRIM_400000_NS6detail17trampoline_kernelINS0_14default_configENS1_25partition_config_selectorILNS1_17partition_subalgoE9EllbEEZZNS1_14partition_implILS5_9ELb0ES3_jPlS8_PNS0_10empty_typeENS0_5tupleIJS8_S9_EEENSB_IJS8_SA_EEENS0_18inequality_wrapperIZN2at6native12_GLOBAL__N_124unique_dim_cuda_templateIdEESt5tupleIJNSF_6TensorESK_SK_EERKSK_lbbbEUlllE0_EEPmJS9_EEE10hipError_tPvRmT3_T4_T5_T6_T7_T9_mT8_P12ihipStream_tbDpT10_ENKUlT_T0_E_clISt17integral_constantIbLb0EES19_IbLb1EEEEDaS15_S16_EUlS15_E_NS1_11comp_targetILNS1_3genE0ELNS1_11target_archE4294967295ELNS1_3gpuE0ELNS1_3repE0EEENS1_30default_config_static_selectorELNS0_4arch9wavefront6targetE1EEEvT1_.has_indirect_call, 0
	.section	.AMDGPU.csdata,"",@progbits
; Kernel info:
; codeLenInByte = 9596
; TotalNumSgprs: 58
; NumVgprs: 60
; NumAgprs: 0
; TotalNumVgprs: 60
; ScratchSize: 0
; MemoryBound: 0
; FloatMode: 240
; IeeeMode: 1
; LDSByteSize: 5128 bytes/workgroup (compile time only)
; SGPRBlocks: 7
; VGPRBlocks: 7
; NumSGPRsForWavesPerEU: 58
; NumVGPRsForWavesPerEU: 60
; AccumOffset: 60
; Occupancy: 8
; WaveLimiterHint : 1
; COMPUTE_PGM_RSRC2:SCRATCH_EN: 0
; COMPUTE_PGM_RSRC2:USER_SGPR: 2
; COMPUTE_PGM_RSRC2:TRAP_HANDLER: 0
; COMPUTE_PGM_RSRC2:TGID_X_EN: 1
; COMPUTE_PGM_RSRC2:TGID_Y_EN: 0
; COMPUTE_PGM_RSRC2:TGID_Z_EN: 0
; COMPUTE_PGM_RSRC2:TIDIG_COMP_CNT: 0
; COMPUTE_PGM_RSRC3_GFX90A:ACCUM_OFFSET: 14
; COMPUTE_PGM_RSRC3_GFX90A:TG_SPLIT: 0
	.section	.text._ZN7rocprim17ROCPRIM_400000_NS6detail17trampoline_kernelINS0_14default_configENS1_25partition_config_selectorILNS1_17partition_subalgoE9EllbEEZZNS1_14partition_implILS5_9ELb0ES3_jPlS8_PNS0_10empty_typeENS0_5tupleIJS8_S9_EEENSB_IJS8_SA_EEENS0_18inequality_wrapperIZN2at6native12_GLOBAL__N_124unique_dim_cuda_templateIdEESt5tupleIJNSF_6TensorESK_SK_EERKSK_lbbbEUlllE0_EEPmJS9_EEE10hipError_tPvRmT3_T4_T5_T6_T7_T9_mT8_P12ihipStream_tbDpT10_ENKUlT_T0_E_clISt17integral_constantIbLb0EES19_IbLb1EEEEDaS15_S16_EUlS15_E_NS1_11comp_targetILNS1_3genE5ELNS1_11target_archE942ELNS1_3gpuE9ELNS1_3repE0EEENS1_30default_config_static_selectorELNS0_4arch9wavefront6targetE1EEEvT1_,"axG",@progbits,_ZN7rocprim17ROCPRIM_400000_NS6detail17trampoline_kernelINS0_14default_configENS1_25partition_config_selectorILNS1_17partition_subalgoE9EllbEEZZNS1_14partition_implILS5_9ELb0ES3_jPlS8_PNS0_10empty_typeENS0_5tupleIJS8_S9_EEENSB_IJS8_SA_EEENS0_18inequality_wrapperIZN2at6native12_GLOBAL__N_124unique_dim_cuda_templateIdEESt5tupleIJNSF_6TensorESK_SK_EERKSK_lbbbEUlllE0_EEPmJS9_EEE10hipError_tPvRmT3_T4_T5_T6_T7_T9_mT8_P12ihipStream_tbDpT10_ENKUlT_T0_E_clISt17integral_constantIbLb0EES19_IbLb1EEEEDaS15_S16_EUlS15_E_NS1_11comp_targetILNS1_3genE5ELNS1_11target_archE942ELNS1_3gpuE9ELNS1_3repE0EEENS1_30default_config_static_selectorELNS0_4arch9wavefront6targetE1EEEvT1_,comdat
	.globl	_ZN7rocprim17ROCPRIM_400000_NS6detail17trampoline_kernelINS0_14default_configENS1_25partition_config_selectorILNS1_17partition_subalgoE9EllbEEZZNS1_14partition_implILS5_9ELb0ES3_jPlS8_PNS0_10empty_typeENS0_5tupleIJS8_S9_EEENSB_IJS8_SA_EEENS0_18inequality_wrapperIZN2at6native12_GLOBAL__N_124unique_dim_cuda_templateIdEESt5tupleIJNSF_6TensorESK_SK_EERKSK_lbbbEUlllE0_EEPmJS9_EEE10hipError_tPvRmT3_T4_T5_T6_T7_T9_mT8_P12ihipStream_tbDpT10_ENKUlT_T0_E_clISt17integral_constantIbLb0EES19_IbLb1EEEEDaS15_S16_EUlS15_E_NS1_11comp_targetILNS1_3genE5ELNS1_11target_archE942ELNS1_3gpuE9ELNS1_3repE0EEENS1_30default_config_static_selectorELNS0_4arch9wavefront6targetE1EEEvT1_ ; -- Begin function _ZN7rocprim17ROCPRIM_400000_NS6detail17trampoline_kernelINS0_14default_configENS1_25partition_config_selectorILNS1_17partition_subalgoE9EllbEEZZNS1_14partition_implILS5_9ELb0ES3_jPlS8_PNS0_10empty_typeENS0_5tupleIJS8_S9_EEENSB_IJS8_SA_EEENS0_18inequality_wrapperIZN2at6native12_GLOBAL__N_124unique_dim_cuda_templateIdEESt5tupleIJNSF_6TensorESK_SK_EERKSK_lbbbEUlllE0_EEPmJS9_EEE10hipError_tPvRmT3_T4_T5_T6_T7_T9_mT8_P12ihipStream_tbDpT10_ENKUlT_T0_E_clISt17integral_constantIbLb0EES19_IbLb1EEEEDaS15_S16_EUlS15_E_NS1_11comp_targetILNS1_3genE5ELNS1_11target_archE942ELNS1_3gpuE9ELNS1_3repE0EEENS1_30default_config_static_selectorELNS0_4arch9wavefront6targetE1EEEvT1_
	.p2align	8
	.type	_ZN7rocprim17ROCPRIM_400000_NS6detail17trampoline_kernelINS0_14default_configENS1_25partition_config_selectorILNS1_17partition_subalgoE9EllbEEZZNS1_14partition_implILS5_9ELb0ES3_jPlS8_PNS0_10empty_typeENS0_5tupleIJS8_S9_EEENSB_IJS8_SA_EEENS0_18inequality_wrapperIZN2at6native12_GLOBAL__N_124unique_dim_cuda_templateIdEESt5tupleIJNSF_6TensorESK_SK_EERKSK_lbbbEUlllE0_EEPmJS9_EEE10hipError_tPvRmT3_T4_T5_T6_T7_T9_mT8_P12ihipStream_tbDpT10_ENKUlT_T0_E_clISt17integral_constantIbLb0EES19_IbLb1EEEEDaS15_S16_EUlS15_E_NS1_11comp_targetILNS1_3genE5ELNS1_11target_archE942ELNS1_3gpuE9ELNS1_3repE0EEENS1_30default_config_static_selectorELNS0_4arch9wavefront6targetE1EEEvT1_,@function
_ZN7rocprim17ROCPRIM_400000_NS6detail17trampoline_kernelINS0_14default_configENS1_25partition_config_selectorILNS1_17partition_subalgoE9EllbEEZZNS1_14partition_implILS5_9ELb0ES3_jPlS8_PNS0_10empty_typeENS0_5tupleIJS8_S9_EEENSB_IJS8_SA_EEENS0_18inequality_wrapperIZN2at6native12_GLOBAL__N_124unique_dim_cuda_templateIdEESt5tupleIJNSF_6TensorESK_SK_EERKSK_lbbbEUlllE0_EEPmJS9_EEE10hipError_tPvRmT3_T4_T5_T6_T7_T9_mT8_P12ihipStream_tbDpT10_ENKUlT_T0_E_clISt17integral_constantIbLb0EES19_IbLb1EEEEDaS15_S16_EUlS15_E_NS1_11comp_targetILNS1_3genE5ELNS1_11target_archE942ELNS1_3gpuE9ELNS1_3repE0EEENS1_30default_config_static_selectorELNS0_4arch9wavefront6targetE1EEEvT1_: ; @_ZN7rocprim17ROCPRIM_400000_NS6detail17trampoline_kernelINS0_14default_configENS1_25partition_config_selectorILNS1_17partition_subalgoE9EllbEEZZNS1_14partition_implILS5_9ELb0ES3_jPlS8_PNS0_10empty_typeENS0_5tupleIJS8_S9_EEENSB_IJS8_SA_EEENS0_18inequality_wrapperIZN2at6native12_GLOBAL__N_124unique_dim_cuda_templateIdEESt5tupleIJNSF_6TensorESK_SK_EERKSK_lbbbEUlllE0_EEPmJS9_EEE10hipError_tPvRmT3_T4_T5_T6_T7_T9_mT8_P12ihipStream_tbDpT10_ENKUlT_T0_E_clISt17integral_constantIbLb0EES19_IbLb1EEEEDaS15_S16_EUlS15_E_NS1_11comp_targetILNS1_3genE5ELNS1_11target_archE942ELNS1_3gpuE9ELNS1_3repE0EEENS1_30default_config_static_selectorELNS0_4arch9wavefront6targetE1EEEvT1_
; %bb.0:
	.section	.rodata,"a",@progbits
	.p2align	6, 0x0
	.amdhsa_kernel _ZN7rocprim17ROCPRIM_400000_NS6detail17trampoline_kernelINS0_14default_configENS1_25partition_config_selectorILNS1_17partition_subalgoE9EllbEEZZNS1_14partition_implILS5_9ELb0ES3_jPlS8_PNS0_10empty_typeENS0_5tupleIJS8_S9_EEENSB_IJS8_SA_EEENS0_18inequality_wrapperIZN2at6native12_GLOBAL__N_124unique_dim_cuda_templateIdEESt5tupleIJNSF_6TensorESK_SK_EERKSK_lbbbEUlllE0_EEPmJS9_EEE10hipError_tPvRmT3_T4_T5_T6_T7_T9_mT8_P12ihipStream_tbDpT10_ENKUlT_T0_E_clISt17integral_constantIbLb0EES19_IbLb1EEEEDaS15_S16_EUlS15_E_NS1_11comp_targetILNS1_3genE5ELNS1_11target_archE942ELNS1_3gpuE9ELNS1_3repE0EEENS1_30default_config_static_selectorELNS0_4arch9wavefront6targetE1EEEvT1_
		.amdhsa_group_segment_fixed_size 0
		.amdhsa_private_segment_fixed_size 0
		.amdhsa_kernarg_size 136
		.amdhsa_user_sgpr_count 2
		.amdhsa_user_sgpr_dispatch_ptr 0
		.amdhsa_user_sgpr_queue_ptr 0
		.amdhsa_user_sgpr_kernarg_segment_ptr 1
		.amdhsa_user_sgpr_dispatch_id 0
		.amdhsa_user_sgpr_kernarg_preload_length 0
		.amdhsa_user_sgpr_kernarg_preload_offset 0
		.amdhsa_user_sgpr_private_segment_size 0
		.amdhsa_uses_dynamic_stack 0
		.amdhsa_enable_private_segment 0
		.amdhsa_system_sgpr_workgroup_id_x 1
		.amdhsa_system_sgpr_workgroup_id_y 0
		.amdhsa_system_sgpr_workgroup_id_z 0
		.amdhsa_system_sgpr_workgroup_info 0
		.amdhsa_system_vgpr_workitem_id 0
		.amdhsa_next_free_vgpr 1
		.amdhsa_next_free_sgpr 0
		.amdhsa_accum_offset 4
		.amdhsa_reserve_vcc 0
		.amdhsa_float_round_mode_32 0
		.amdhsa_float_round_mode_16_64 0
		.amdhsa_float_denorm_mode_32 3
		.amdhsa_float_denorm_mode_16_64 3
		.amdhsa_dx10_clamp 1
		.amdhsa_ieee_mode 1
		.amdhsa_fp16_overflow 0
		.amdhsa_tg_split 0
		.amdhsa_exception_fp_ieee_invalid_op 0
		.amdhsa_exception_fp_denorm_src 0
		.amdhsa_exception_fp_ieee_div_zero 0
		.amdhsa_exception_fp_ieee_overflow 0
		.amdhsa_exception_fp_ieee_underflow 0
		.amdhsa_exception_fp_ieee_inexact 0
		.amdhsa_exception_int_div_zero 0
	.end_amdhsa_kernel
	.section	.text._ZN7rocprim17ROCPRIM_400000_NS6detail17trampoline_kernelINS0_14default_configENS1_25partition_config_selectorILNS1_17partition_subalgoE9EllbEEZZNS1_14partition_implILS5_9ELb0ES3_jPlS8_PNS0_10empty_typeENS0_5tupleIJS8_S9_EEENSB_IJS8_SA_EEENS0_18inequality_wrapperIZN2at6native12_GLOBAL__N_124unique_dim_cuda_templateIdEESt5tupleIJNSF_6TensorESK_SK_EERKSK_lbbbEUlllE0_EEPmJS9_EEE10hipError_tPvRmT3_T4_T5_T6_T7_T9_mT8_P12ihipStream_tbDpT10_ENKUlT_T0_E_clISt17integral_constantIbLb0EES19_IbLb1EEEEDaS15_S16_EUlS15_E_NS1_11comp_targetILNS1_3genE5ELNS1_11target_archE942ELNS1_3gpuE9ELNS1_3repE0EEENS1_30default_config_static_selectorELNS0_4arch9wavefront6targetE1EEEvT1_,"axG",@progbits,_ZN7rocprim17ROCPRIM_400000_NS6detail17trampoline_kernelINS0_14default_configENS1_25partition_config_selectorILNS1_17partition_subalgoE9EllbEEZZNS1_14partition_implILS5_9ELb0ES3_jPlS8_PNS0_10empty_typeENS0_5tupleIJS8_S9_EEENSB_IJS8_SA_EEENS0_18inequality_wrapperIZN2at6native12_GLOBAL__N_124unique_dim_cuda_templateIdEESt5tupleIJNSF_6TensorESK_SK_EERKSK_lbbbEUlllE0_EEPmJS9_EEE10hipError_tPvRmT3_T4_T5_T6_T7_T9_mT8_P12ihipStream_tbDpT10_ENKUlT_T0_E_clISt17integral_constantIbLb0EES19_IbLb1EEEEDaS15_S16_EUlS15_E_NS1_11comp_targetILNS1_3genE5ELNS1_11target_archE942ELNS1_3gpuE9ELNS1_3repE0EEENS1_30default_config_static_selectorELNS0_4arch9wavefront6targetE1EEEvT1_,comdat
.Lfunc_end864:
	.size	_ZN7rocprim17ROCPRIM_400000_NS6detail17trampoline_kernelINS0_14default_configENS1_25partition_config_selectorILNS1_17partition_subalgoE9EllbEEZZNS1_14partition_implILS5_9ELb0ES3_jPlS8_PNS0_10empty_typeENS0_5tupleIJS8_S9_EEENSB_IJS8_SA_EEENS0_18inequality_wrapperIZN2at6native12_GLOBAL__N_124unique_dim_cuda_templateIdEESt5tupleIJNSF_6TensorESK_SK_EERKSK_lbbbEUlllE0_EEPmJS9_EEE10hipError_tPvRmT3_T4_T5_T6_T7_T9_mT8_P12ihipStream_tbDpT10_ENKUlT_T0_E_clISt17integral_constantIbLb0EES19_IbLb1EEEEDaS15_S16_EUlS15_E_NS1_11comp_targetILNS1_3genE5ELNS1_11target_archE942ELNS1_3gpuE9ELNS1_3repE0EEENS1_30default_config_static_selectorELNS0_4arch9wavefront6targetE1EEEvT1_, .Lfunc_end864-_ZN7rocprim17ROCPRIM_400000_NS6detail17trampoline_kernelINS0_14default_configENS1_25partition_config_selectorILNS1_17partition_subalgoE9EllbEEZZNS1_14partition_implILS5_9ELb0ES3_jPlS8_PNS0_10empty_typeENS0_5tupleIJS8_S9_EEENSB_IJS8_SA_EEENS0_18inequality_wrapperIZN2at6native12_GLOBAL__N_124unique_dim_cuda_templateIdEESt5tupleIJNSF_6TensorESK_SK_EERKSK_lbbbEUlllE0_EEPmJS9_EEE10hipError_tPvRmT3_T4_T5_T6_T7_T9_mT8_P12ihipStream_tbDpT10_ENKUlT_T0_E_clISt17integral_constantIbLb0EES19_IbLb1EEEEDaS15_S16_EUlS15_E_NS1_11comp_targetILNS1_3genE5ELNS1_11target_archE942ELNS1_3gpuE9ELNS1_3repE0EEENS1_30default_config_static_selectorELNS0_4arch9wavefront6targetE1EEEvT1_
                                        ; -- End function
	.set _ZN7rocprim17ROCPRIM_400000_NS6detail17trampoline_kernelINS0_14default_configENS1_25partition_config_selectorILNS1_17partition_subalgoE9EllbEEZZNS1_14partition_implILS5_9ELb0ES3_jPlS8_PNS0_10empty_typeENS0_5tupleIJS8_S9_EEENSB_IJS8_SA_EEENS0_18inequality_wrapperIZN2at6native12_GLOBAL__N_124unique_dim_cuda_templateIdEESt5tupleIJNSF_6TensorESK_SK_EERKSK_lbbbEUlllE0_EEPmJS9_EEE10hipError_tPvRmT3_T4_T5_T6_T7_T9_mT8_P12ihipStream_tbDpT10_ENKUlT_T0_E_clISt17integral_constantIbLb0EES19_IbLb1EEEEDaS15_S16_EUlS15_E_NS1_11comp_targetILNS1_3genE5ELNS1_11target_archE942ELNS1_3gpuE9ELNS1_3repE0EEENS1_30default_config_static_selectorELNS0_4arch9wavefront6targetE1EEEvT1_.num_vgpr, 0
	.set _ZN7rocprim17ROCPRIM_400000_NS6detail17trampoline_kernelINS0_14default_configENS1_25partition_config_selectorILNS1_17partition_subalgoE9EllbEEZZNS1_14partition_implILS5_9ELb0ES3_jPlS8_PNS0_10empty_typeENS0_5tupleIJS8_S9_EEENSB_IJS8_SA_EEENS0_18inequality_wrapperIZN2at6native12_GLOBAL__N_124unique_dim_cuda_templateIdEESt5tupleIJNSF_6TensorESK_SK_EERKSK_lbbbEUlllE0_EEPmJS9_EEE10hipError_tPvRmT3_T4_T5_T6_T7_T9_mT8_P12ihipStream_tbDpT10_ENKUlT_T0_E_clISt17integral_constantIbLb0EES19_IbLb1EEEEDaS15_S16_EUlS15_E_NS1_11comp_targetILNS1_3genE5ELNS1_11target_archE942ELNS1_3gpuE9ELNS1_3repE0EEENS1_30default_config_static_selectorELNS0_4arch9wavefront6targetE1EEEvT1_.num_agpr, 0
	.set _ZN7rocprim17ROCPRIM_400000_NS6detail17trampoline_kernelINS0_14default_configENS1_25partition_config_selectorILNS1_17partition_subalgoE9EllbEEZZNS1_14partition_implILS5_9ELb0ES3_jPlS8_PNS0_10empty_typeENS0_5tupleIJS8_S9_EEENSB_IJS8_SA_EEENS0_18inequality_wrapperIZN2at6native12_GLOBAL__N_124unique_dim_cuda_templateIdEESt5tupleIJNSF_6TensorESK_SK_EERKSK_lbbbEUlllE0_EEPmJS9_EEE10hipError_tPvRmT3_T4_T5_T6_T7_T9_mT8_P12ihipStream_tbDpT10_ENKUlT_T0_E_clISt17integral_constantIbLb0EES19_IbLb1EEEEDaS15_S16_EUlS15_E_NS1_11comp_targetILNS1_3genE5ELNS1_11target_archE942ELNS1_3gpuE9ELNS1_3repE0EEENS1_30default_config_static_selectorELNS0_4arch9wavefront6targetE1EEEvT1_.numbered_sgpr, 0
	.set _ZN7rocprim17ROCPRIM_400000_NS6detail17trampoline_kernelINS0_14default_configENS1_25partition_config_selectorILNS1_17partition_subalgoE9EllbEEZZNS1_14partition_implILS5_9ELb0ES3_jPlS8_PNS0_10empty_typeENS0_5tupleIJS8_S9_EEENSB_IJS8_SA_EEENS0_18inequality_wrapperIZN2at6native12_GLOBAL__N_124unique_dim_cuda_templateIdEESt5tupleIJNSF_6TensorESK_SK_EERKSK_lbbbEUlllE0_EEPmJS9_EEE10hipError_tPvRmT3_T4_T5_T6_T7_T9_mT8_P12ihipStream_tbDpT10_ENKUlT_T0_E_clISt17integral_constantIbLb0EES19_IbLb1EEEEDaS15_S16_EUlS15_E_NS1_11comp_targetILNS1_3genE5ELNS1_11target_archE942ELNS1_3gpuE9ELNS1_3repE0EEENS1_30default_config_static_selectorELNS0_4arch9wavefront6targetE1EEEvT1_.num_named_barrier, 0
	.set _ZN7rocprim17ROCPRIM_400000_NS6detail17trampoline_kernelINS0_14default_configENS1_25partition_config_selectorILNS1_17partition_subalgoE9EllbEEZZNS1_14partition_implILS5_9ELb0ES3_jPlS8_PNS0_10empty_typeENS0_5tupleIJS8_S9_EEENSB_IJS8_SA_EEENS0_18inequality_wrapperIZN2at6native12_GLOBAL__N_124unique_dim_cuda_templateIdEESt5tupleIJNSF_6TensorESK_SK_EERKSK_lbbbEUlllE0_EEPmJS9_EEE10hipError_tPvRmT3_T4_T5_T6_T7_T9_mT8_P12ihipStream_tbDpT10_ENKUlT_T0_E_clISt17integral_constantIbLb0EES19_IbLb1EEEEDaS15_S16_EUlS15_E_NS1_11comp_targetILNS1_3genE5ELNS1_11target_archE942ELNS1_3gpuE9ELNS1_3repE0EEENS1_30default_config_static_selectorELNS0_4arch9wavefront6targetE1EEEvT1_.private_seg_size, 0
	.set _ZN7rocprim17ROCPRIM_400000_NS6detail17trampoline_kernelINS0_14default_configENS1_25partition_config_selectorILNS1_17partition_subalgoE9EllbEEZZNS1_14partition_implILS5_9ELb0ES3_jPlS8_PNS0_10empty_typeENS0_5tupleIJS8_S9_EEENSB_IJS8_SA_EEENS0_18inequality_wrapperIZN2at6native12_GLOBAL__N_124unique_dim_cuda_templateIdEESt5tupleIJNSF_6TensorESK_SK_EERKSK_lbbbEUlllE0_EEPmJS9_EEE10hipError_tPvRmT3_T4_T5_T6_T7_T9_mT8_P12ihipStream_tbDpT10_ENKUlT_T0_E_clISt17integral_constantIbLb0EES19_IbLb1EEEEDaS15_S16_EUlS15_E_NS1_11comp_targetILNS1_3genE5ELNS1_11target_archE942ELNS1_3gpuE9ELNS1_3repE0EEENS1_30default_config_static_selectorELNS0_4arch9wavefront6targetE1EEEvT1_.uses_vcc, 0
	.set _ZN7rocprim17ROCPRIM_400000_NS6detail17trampoline_kernelINS0_14default_configENS1_25partition_config_selectorILNS1_17partition_subalgoE9EllbEEZZNS1_14partition_implILS5_9ELb0ES3_jPlS8_PNS0_10empty_typeENS0_5tupleIJS8_S9_EEENSB_IJS8_SA_EEENS0_18inequality_wrapperIZN2at6native12_GLOBAL__N_124unique_dim_cuda_templateIdEESt5tupleIJNSF_6TensorESK_SK_EERKSK_lbbbEUlllE0_EEPmJS9_EEE10hipError_tPvRmT3_T4_T5_T6_T7_T9_mT8_P12ihipStream_tbDpT10_ENKUlT_T0_E_clISt17integral_constantIbLb0EES19_IbLb1EEEEDaS15_S16_EUlS15_E_NS1_11comp_targetILNS1_3genE5ELNS1_11target_archE942ELNS1_3gpuE9ELNS1_3repE0EEENS1_30default_config_static_selectorELNS0_4arch9wavefront6targetE1EEEvT1_.uses_flat_scratch, 0
	.set _ZN7rocprim17ROCPRIM_400000_NS6detail17trampoline_kernelINS0_14default_configENS1_25partition_config_selectorILNS1_17partition_subalgoE9EllbEEZZNS1_14partition_implILS5_9ELb0ES3_jPlS8_PNS0_10empty_typeENS0_5tupleIJS8_S9_EEENSB_IJS8_SA_EEENS0_18inequality_wrapperIZN2at6native12_GLOBAL__N_124unique_dim_cuda_templateIdEESt5tupleIJNSF_6TensorESK_SK_EERKSK_lbbbEUlllE0_EEPmJS9_EEE10hipError_tPvRmT3_T4_T5_T6_T7_T9_mT8_P12ihipStream_tbDpT10_ENKUlT_T0_E_clISt17integral_constantIbLb0EES19_IbLb1EEEEDaS15_S16_EUlS15_E_NS1_11comp_targetILNS1_3genE5ELNS1_11target_archE942ELNS1_3gpuE9ELNS1_3repE0EEENS1_30default_config_static_selectorELNS0_4arch9wavefront6targetE1EEEvT1_.has_dyn_sized_stack, 0
	.set _ZN7rocprim17ROCPRIM_400000_NS6detail17trampoline_kernelINS0_14default_configENS1_25partition_config_selectorILNS1_17partition_subalgoE9EllbEEZZNS1_14partition_implILS5_9ELb0ES3_jPlS8_PNS0_10empty_typeENS0_5tupleIJS8_S9_EEENSB_IJS8_SA_EEENS0_18inequality_wrapperIZN2at6native12_GLOBAL__N_124unique_dim_cuda_templateIdEESt5tupleIJNSF_6TensorESK_SK_EERKSK_lbbbEUlllE0_EEPmJS9_EEE10hipError_tPvRmT3_T4_T5_T6_T7_T9_mT8_P12ihipStream_tbDpT10_ENKUlT_T0_E_clISt17integral_constantIbLb0EES19_IbLb1EEEEDaS15_S16_EUlS15_E_NS1_11comp_targetILNS1_3genE5ELNS1_11target_archE942ELNS1_3gpuE9ELNS1_3repE0EEENS1_30default_config_static_selectorELNS0_4arch9wavefront6targetE1EEEvT1_.has_recursion, 0
	.set _ZN7rocprim17ROCPRIM_400000_NS6detail17trampoline_kernelINS0_14default_configENS1_25partition_config_selectorILNS1_17partition_subalgoE9EllbEEZZNS1_14partition_implILS5_9ELb0ES3_jPlS8_PNS0_10empty_typeENS0_5tupleIJS8_S9_EEENSB_IJS8_SA_EEENS0_18inequality_wrapperIZN2at6native12_GLOBAL__N_124unique_dim_cuda_templateIdEESt5tupleIJNSF_6TensorESK_SK_EERKSK_lbbbEUlllE0_EEPmJS9_EEE10hipError_tPvRmT3_T4_T5_T6_T7_T9_mT8_P12ihipStream_tbDpT10_ENKUlT_T0_E_clISt17integral_constantIbLb0EES19_IbLb1EEEEDaS15_S16_EUlS15_E_NS1_11comp_targetILNS1_3genE5ELNS1_11target_archE942ELNS1_3gpuE9ELNS1_3repE0EEENS1_30default_config_static_selectorELNS0_4arch9wavefront6targetE1EEEvT1_.has_indirect_call, 0
	.section	.AMDGPU.csdata,"",@progbits
; Kernel info:
; codeLenInByte = 0
; TotalNumSgprs: 6
; NumVgprs: 0
; NumAgprs: 0
; TotalNumVgprs: 0
; ScratchSize: 0
; MemoryBound: 0
; FloatMode: 240
; IeeeMode: 1
; LDSByteSize: 0 bytes/workgroup (compile time only)
; SGPRBlocks: 0
; VGPRBlocks: 0
; NumSGPRsForWavesPerEU: 6
; NumVGPRsForWavesPerEU: 1
; AccumOffset: 4
; Occupancy: 8
; WaveLimiterHint : 0
; COMPUTE_PGM_RSRC2:SCRATCH_EN: 0
; COMPUTE_PGM_RSRC2:USER_SGPR: 2
; COMPUTE_PGM_RSRC2:TRAP_HANDLER: 0
; COMPUTE_PGM_RSRC2:TGID_X_EN: 1
; COMPUTE_PGM_RSRC2:TGID_Y_EN: 0
; COMPUTE_PGM_RSRC2:TGID_Z_EN: 0
; COMPUTE_PGM_RSRC2:TIDIG_COMP_CNT: 0
; COMPUTE_PGM_RSRC3_GFX90A:ACCUM_OFFSET: 0
; COMPUTE_PGM_RSRC3_GFX90A:TG_SPLIT: 0
	.section	.text._ZN7rocprim17ROCPRIM_400000_NS6detail17trampoline_kernelINS0_14default_configENS1_25partition_config_selectorILNS1_17partition_subalgoE9EllbEEZZNS1_14partition_implILS5_9ELb0ES3_jPlS8_PNS0_10empty_typeENS0_5tupleIJS8_S9_EEENSB_IJS8_SA_EEENS0_18inequality_wrapperIZN2at6native12_GLOBAL__N_124unique_dim_cuda_templateIdEESt5tupleIJNSF_6TensorESK_SK_EERKSK_lbbbEUlllE0_EEPmJS9_EEE10hipError_tPvRmT3_T4_T5_T6_T7_T9_mT8_P12ihipStream_tbDpT10_ENKUlT_T0_E_clISt17integral_constantIbLb0EES19_IbLb1EEEEDaS15_S16_EUlS15_E_NS1_11comp_targetILNS1_3genE4ELNS1_11target_archE910ELNS1_3gpuE8ELNS1_3repE0EEENS1_30default_config_static_selectorELNS0_4arch9wavefront6targetE1EEEvT1_,"axG",@progbits,_ZN7rocprim17ROCPRIM_400000_NS6detail17trampoline_kernelINS0_14default_configENS1_25partition_config_selectorILNS1_17partition_subalgoE9EllbEEZZNS1_14partition_implILS5_9ELb0ES3_jPlS8_PNS0_10empty_typeENS0_5tupleIJS8_S9_EEENSB_IJS8_SA_EEENS0_18inequality_wrapperIZN2at6native12_GLOBAL__N_124unique_dim_cuda_templateIdEESt5tupleIJNSF_6TensorESK_SK_EERKSK_lbbbEUlllE0_EEPmJS9_EEE10hipError_tPvRmT3_T4_T5_T6_T7_T9_mT8_P12ihipStream_tbDpT10_ENKUlT_T0_E_clISt17integral_constantIbLb0EES19_IbLb1EEEEDaS15_S16_EUlS15_E_NS1_11comp_targetILNS1_3genE4ELNS1_11target_archE910ELNS1_3gpuE8ELNS1_3repE0EEENS1_30default_config_static_selectorELNS0_4arch9wavefront6targetE1EEEvT1_,comdat
	.globl	_ZN7rocprim17ROCPRIM_400000_NS6detail17trampoline_kernelINS0_14default_configENS1_25partition_config_selectorILNS1_17partition_subalgoE9EllbEEZZNS1_14partition_implILS5_9ELb0ES3_jPlS8_PNS0_10empty_typeENS0_5tupleIJS8_S9_EEENSB_IJS8_SA_EEENS0_18inequality_wrapperIZN2at6native12_GLOBAL__N_124unique_dim_cuda_templateIdEESt5tupleIJNSF_6TensorESK_SK_EERKSK_lbbbEUlllE0_EEPmJS9_EEE10hipError_tPvRmT3_T4_T5_T6_T7_T9_mT8_P12ihipStream_tbDpT10_ENKUlT_T0_E_clISt17integral_constantIbLb0EES19_IbLb1EEEEDaS15_S16_EUlS15_E_NS1_11comp_targetILNS1_3genE4ELNS1_11target_archE910ELNS1_3gpuE8ELNS1_3repE0EEENS1_30default_config_static_selectorELNS0_4arch9wavefront6targetE1EEEvT1_ ; -- Begin function _ZN7rocprim17ROCPRIM_400000_NS6detail17trampoline_kernelINS0_14default_configENS1_25partition_config_selectorILNS1_17partition_subalgoE9EllbEEZZNS1_14partition_implILS5_9ELb0ES3_jPlS8_PNS0_10empty_typeENS0_5tupleIJS8_S9_EEENSB_IJS8_SA_EEENS0_18inequality_wrapperIZN2at6native12_GLOBAL__N_124unique_dim_cuda_templateIdEESt5tupleIJNSF_6TensorESK_SK_EERKSK_lbbbEUlllE0_EEPmJS9_EEE10hipError_tPvRmT3_T4_T5_T6_T7_T9_mT8_P12ihipStream_tbDpT10_ENKUlT_T0_E_clISt17integral_constantIbLb0EES19_IbLb1EEEEDaS15_S16_EUlS15_E_NS1_11comp_targetILNS1_3genE4ELNS1_11target_archE910ELNS1_3gpuE8ELNS1_3repE0EEENS1_30default_config_static_selectorELNS0_4arch9wavefront6targetE1EEEvT1_
	.p2align	8
	.type	_ZN7rocprim17ROCPRIM_400000_NS6detail17trampoline_kernelINS0_14default_configENS1_25partition_config_selectorILNS1_17partition_subalgoE9EllbEEZZNS1_14partition_implILS5_9ELb0ES3_jPlS8_PNS0_10empty_typeENS0_5tupleIJS8_S9_EEENSB_IJS8_SA_EEENS0_18inequality_wrapperIZN2at6native12_GLOBAL__N_124unique_dim_cuda_templateIdEESt5tupleIJNSF_6TensorESK_SK_EERKSK_lbbbEUlllE0_EEPmJS9_EEE10hipError_tPvRmT3_T4_T5_T6_T7_T9_mT8_P12ihipStream_tbDpT10_ENKUlT_T0_E_clISt17integral_constantIbLb0EES19_IbLb1EEEEDaS15_S16_EUlS15_E_NS1_11comp_targetILNS1_3genE4ELNS1_11target_archE910ELNS1_3gpuE8ELNS1_3repE0EEENS1_30default_config_static_selectorELNS0_4arch9wavefront6targetE1EEEvT1_,@function
_ZN7rocprim17ROCPRIM_400000_NS6detail17trampoline_kernelINS0_14default_configENS1_25partition_config_selectorILNS1_17partition_subalgoE9EllbEEZZNS1_14partition_implILS5_9ELb0ES3_jPlS8_PNS0_10empty_typeENS0_5tupleIJS8_S9_EEENSB_IJS8_SA_EEENS0_18inequality_wrapperIZN2at6native12_GLOBAL__N_124unique_dim_cuda_templateIdEESt5tupleIJNSF_6TensorESK_SK_EERKSK_lbbbEUlllE0_EEPmJS9_EEE10hipError_tPvRmT3_T4_T5_T6_T7_T9_mT8_P12ihipStream_tbDpT10_ENKUlT_T0_E_clISt17integral_constantIbLb0EES19_IbLb1EEEEDaS15_S16_EUlS15_E_NS1_11comp_targetILNS1_3genE4ELNS1_11target_archE910ELNS1_3gpuE8ELNS1_3repE0EEENS1_30default_config_static_selectorELNS0_4arch9wavefront6targetE1EEEvT1_: ; @_ZN7rocprim17ROCPRIM_400000_NS6detail17trampoline_kernelINS0_14default_configENS1_25partition_config_selectorILNS1_17partition_subalgoE9EllbEEZZNS1_14partition_implILS5_9ELb0ES3_jPlS8_PNS0_10empty_typeENS0_5tupleIJS8_S9_EEENSB_IJS8_SA_EEENS0_18inequality_wrapperIZN2at6native12_GLOBAL__N_124unique_dim_cuda_templateIdEESt5tupleIJNSF_6TensorESK_SK_EERKSK_lbbbEUlllE0_EEPmJS9_EEE10hipError_tPvRmT3_T4_T5_T6_T7_T9_mT8_P12ihipStream_tbDpT10_ENKUlT_T0_E_clISt17integral_constantIbLb0EES19_IbLb1EEEEDaS15_S16_EUlS15_E_NS1_11comp_targetILNS1_3genE4ELNS1_11target_archE910ELNS1_3gpuE8ELNS1_3repE0EEENS1_30default_config_static_selectorELNS0_4arch9wavefront6targetE1EEEvT1_
; %bb.0:
	.section	.rodata,"a",@progbits
	.p2align	6, 0x0
	.amdhsa_kernel _ZN7rocprim17ROCPRIM_400000_NS6detail17trampoline_kernelINS0_14default_configENS1_25partition_config_selectorILNS1_17partition_subalgoE9EllbEEZZNS1_14partition_implILS5_9ELb0ES3_jPlS8_PNS0_10empty_typeENS0_5tupleIJS8_S9_EEENSB_IJS8_SA_EEENS0_18inequality_wrapperIZN2at6native12_GLOBAL__N_124unique_dim_cuda_templateIdEESt5tupleIJNSF_6TensorESK_SK_EERKSK_lbbbEUlllE0_EEPmJS9_EEE10hipError_tPvRmT3_T4_T5_T6_T7_T9_mT8_P12ihipStream_tbDpT10_ENKUlT_T0_E_clISt17integral_constantIbLb0EES19_IbLb1EEEEDaS15_S16_EUlS15_E_NS1_11comp_targetILNS1_3genE4ELNS1_11target_archE910ELNS1_3gpuE8ELNS1_3repE0EEENS1_30default_config_static_selectorELNS0_4arch9wavefront6targetE1EEEvT1_
		.amdhsa_group_segment_fixed_size 0
		.amdhsa_private_segment_fixed_size 0
		.amdhsa_kernarg_size 136
		.amdhsa_user_sgpr_count 2
		.amdhsa_user_sgpr_dispatch_ptr 0
		.amdhsa_user_sgpr_queue_ptr 0
		.amdhsa_user_sgpr_kernarg_segment_ptr 1
		.amdhsa_user_sgpr_dispatch_id 0
		.amdhsa_user_sgpr_kernarg_preload_length 0
		.amdhsa_user_sgpr_kernarg_preload_offset 0
		.amdhsa_user_sgpr_private_segment_size 0
		.amdhsa_uses_dynamic_stack 0
		.amdhsa_enable_private_segment 0
		.amdhsa_system_sgpr_workgroup_id_x 1
		.amdhsa_system_sgpr_workgroup_id_y 0
		.amdhsa_system_sgpr_workgroup_id_z 0
		.amdhsa_system_sgpr_workgroup_info 0
		.amdhsa_system_vgpr_workitem_id 0
		.amdhsa_next_free_vgpr 1
		.amdhsa_next_free_sgpr 0
		.amdhsa_accum_offset 4
		.amdhsa_reserve_vcc 0
		.amdhsa_float_round_mode_32 0
		.amdhsa_float_round_mode_16_64 0
		.amdhsa_float_denorm_mode_32 3
		.amdhsa_float_denorm_mode_16_64 3
		.amdhsa_dx10_clamp 1
		.amdhsa_ieee_mode 1
		.amdhsa_fp16_overflow 0
		.amdhsa_tg_split 0
		.amdhsa_exception_fp_ieee_invalid_op 0
		.amdhsa_exception_fp_denorm_src 0
		.amdhsa_exception_fp_ieee_div_zero 0
		.amdhsa_exception_fp_ieee_overflow 0
		.amdhsa_exception_fp_ieee_underflow 0
		.amdhsa_exception_fp_ieee_inexact 0
		.amdhsa_exception_int_div_zero 0
	.end_amdhsa_kernel
	.section	.text._ZN7rocprim17ROCPRIM_400000_NS6detail17trampoline_kernelINS0_14default_configENS1_25partition_config_selectorILNS1_17partition_subalgoE9EllbEEZZNS1_14partition_implILS5_9ELb0ES3_jPlS8_PNS0_10empty_typeENS0_5tupleIJS8_S9_EEENSB_IJS8_SA_EEENS0_18inequality_wrapperIZN2at6native12_GLOBAL__N_124unique_dim_cuda_templateIdEESt5tupleIJNSF_6TensorESK_SK_EERKSK_lbbbEUlllE0_EEPmJS9_EEE10hipError_tPvRmT3_T4_T5_T6_T7_T9_mT8_P12ihipStream_tbDpT10_ENKUlT_T0_E_clISt17integral_constantIbLb0EES19_IbLb1EEEEDaS15_S16_EUlS15_E_NS1_11comp_targetILNS1_3genE4ELNS1_11target_archE910ELNS1_3gpuE8ELNS1_3repE0EEENS1_30default_config_static_selectorELNS0_4arch9wavefront6targetE1EEEvT1_,"axG",@progbits,_ZN7rocprim17ROCPRIM_400000_NS6detail17trampoline_kernelINS0_14default_configENS1_25partition_config_selectorILNS1_17partition_subalgoE9EllbEEZZNS1_14partition_implILS5_9ELb0ES3_jPlS8_PNS0_10empty_typeENS0_5tupleIJS8_S9_EEENSB_IJS8_SA_EEENS0_18inequality_wrapperIZN2at6native12_GLOBAL__N_124unique_dim_cuda_templateIdEESt5tupleIJNSF_6TensorESK_SK_EERKSK_lbbbEUlllE0_EEPmJS9_EEE10hipError_tPvRmT3_T4_T5_T6_T7_T9_mT8_P12ihipStream_tbDpT10_ENKUlT_T0_E_clISt17integral_constantIbLb0EES19_IbLb1EEEEDaS15_S16_EUlS15_E_NS1_11comp_targetILNS1_3genE4ELNS1_11target_archE910ELNS1_3gpuE8ELNS1_3repE0EEENS1_30default_config_static_selectorELNS0_4arch9wavefront6targetE1EEEvT1_,comdat
.Lfunc_end865:
	.size	_ZN7rocprim17ROCPRIM_400000_NS6detail17trampoline_kernelINS0_14default_configENS1_25partition_config_selectorILNS1_17partition_subalgoE9EllbEEZZNS1_14partition_implILS5_9ELb0ES3_jPlS8_PNS0_10empty_typeENS0_5tupleIJS8_S9_EEENSB_IJS8_SA_EEENS0_18inequality_wrapperIZN2at6native12_GLOBAL__N_124unique_dim_cuda_templateIdEESt5tupleIJNSF_6TensorESK_SK_EERKSK_lbbbEUlllE0_EEPmJS9_EEE10hipError_tPvRmT3_T4_T5_T6_T7_T9_mT8_P12ihipStream_tbDpT10_ENKUlT_T0_E_clISt17integral_constantIbLb0EES19_IbLb1EEEEDaS15_S16_EUlS15_E_NS1_11comp_targetILNS1_3genE4ELNS1_11target_archE910ELNS1_3gpuE8ELNS1_3repE0EEENS1_30default_config_static_selectorELNS0_4arch9wavefront6targetE1EEEvT1_, .Lfunc_end865-_ZN7rocprim17ROCPRIM_400000_NS6detail17trampoline_kernelINS0_14default_configENS1_25partition_config_selectorILNS1_17partition_subalgoE9EllbEEZZNS1_14partition_implILS5_9ELb0ES3_jPlS8_PNS0_10empty_typeENS0_5tupleIJS8_S9_EEENSB_IJS8_SA_EEENS0_18inequality_wrapperIZN2at6native12_GLOBAL__N_124unique_dim_cuda_templateIdEESt5tupleIJNSF_6TensorESK_SK_EERKSK_lbbbEUlllE0_EEPmJS9_EEE10hipError_tPvRmT3_T4_T5_T6_T7_T9_mT8_P12ihipStream_tbDpT10_ENKUlT_T0_E_clISt17integral_constantIbLb0EES19_IbLb1EEEEDaS15_S16_EUlS15_E_NS1_11comp_targetILNS1_3genE4ELNS1_11target_archE910ELNS1_3gpuE8ELNS1_3repE0EEENS1_30default_config_static_selectorELNS0_4arch9wavefront6targetE1EEEvT1_
                                        ; -- End function
	.set _ZN7rocprim17ROCPRIM_400000_NS6detail17trampoline_kernelINS0_14default_configENS1_25partition_config_selectorILNS1_17partition_subalgoE9EllbEEZZNS1_14partition_implILS5_9ELb0ES3_jPlS8_PNS0_10empty_typeENS0_5tupleIJS8_S9_EEENSB_IJS8_SA_EEENS0_18inequality_wrapperIZN2at6native12_GLOBAL__N_124unique_dim_cuda_templateIdEESt5tupleIJNSF_6TensorESK_SK_EERKSK_lbbbEUlllE0_EEPmJS9_EEE10hipError_tPvRmT3_T4_T5_T6_T7_T9_mT8_P12ihipStream_tbDpT10_ENKUlT_T0_E_clISt17integral_constantIbLb0EES19_IbLb1EEEEDaS15_S16_EUlS15_E_NS1_11comp_targetILNS1_3genE4ELNS1_11target_archE910ELNS1_3gpuE8ELNS1_3repE0EEENS1_30default_config_static_selectorELNS0_4arch9wavefront6targetE1EEEvT1_.num_vgpr, 0
	.set _ZN7rocprim17ROCPRIM_400000_NS6detail17trampoline_kernelINS0_14default_configENS1_25partition_config_selectorILNS1_17partition_subalgoE9EllbEEZZNS1_14partition_implILS5_9ELb0ES3_jPlS8_PNS0_10empty_typeENS0_5tupleIJS8_S9_EEENSB_IJS8_SA_EEENS0_18inequality_wrapperIZN2at6native12_GLOBAL__N_124unique_dim_cuda_templateIdEESt5tupleIJNSF_6TensorESK_SK_EERKSK_lbbbEUlllE0_EEPmJS9_EEE10hipError_tPvRmT3_T4_T5_T6_T7_T9_mT8_P12ihipStream_tbDpT10_ENKUlT_T0_E_clISt17integral_constantIbLb0EES19_IbLb1EEEEDaS15_S16_EUlS15_E_NS1_11comp_targetILNS1_3genE4ELNS1_11target_archE910ELNS1_3gpuE8ELNS1_3repE0EEENS1_30default_config_static_selectorELNS0_4arch9wavefront6targetE1EEEvT1_.num_agpr, 0
	.set _ZN7rocprim17ROCPRIM_400000_NS6detail17trampoline_kernelINS0_14default_configENS1_25partition_config_selectorILNS1_17partition_subalgoE9EllbEEZZNS1_14partition_implILS5_9ELb0ES3_jPlS8_PNS0_10empty_typeENS0_5tupleIJS8_S9_EEENSB_IJS8_SA_EEENS0_18inequality_wrapperIZN2at6native12_GLOBAL__N_124unique_dim_cuda_templateIdEESt5tupleIJNSF_6TensorESK_SK_EERKSK_lbbbEUlllE0_EEPmJS9_EEE10hipError_tPvRmT3_T4_T5_T6_T7_T9_mT8_P12ihipStream_tbDpT10_ENKUlT_T0_E_clISt17integral_constantIbLb0EES19_IbLb1EEEEDaS15_S16_EUlS15_E_NS1_11comp_targetILNS1_3genE4ELNS1_11target_archE910ELNS1_3gpuE8ELNS1_3repE0EEENS1_30default_config_static_selectorELNS0_4arch9wavefront6targetE1EEEvT1_.numbered_sgpr, 0
	.set _ZN7rocprim17ROCPRIM_400000_NS6detail17trampoline_kernelINS0_14default_configENS1_25partition_config_selectorILNS1_17partition_subalgoE9EllbEEZZNS1_14partition_implILS5_9ELb0ES3_jPlS8_PNS0_10empty_typeENS0_5tupleIJS8_S9_EEENSB_IJS8_SA_EEENS0_18inequality_wrapperIZN2at6native12_GLOBAL__N_124unique_dim_cuda_templateIdEESt5tupleIJNSF_6TensorESK_SK_EERKSK_lbbbEUlllE0_EEPmJS9_EEE10hipError_tPvRmT3_T4_T5_T6_T7_T9_mT8_P12ihipStream_tbDpT10_ENKUlT_T0_E_clISt17integral_constantIbLb0EES19_IbLb1EEEEDaS15_S16_EUlS15_E_NS1_11comp_targetILNS1_3genE4ELNS1_11target_archE910ELNS1_3gpuE8ELNS1_3repE0EEENS1_30default_config_static_selectorELNS0_4arch9wavefront6targetE1EEEvT1_.num_named_barrier, 0
	.set _ZN7rocprim17ROCPRIM_400000_NS6detail17trampoline_kernelINS0_14default_configENS1_25partition_config_selectorILNS1_17partition_subalgoE9EllbEEZZNS1_14partition_implILS5_9ELb0ES3_jPlS8_PNS0_10empty_typeENS0_5tupleIJS8_S9_EEENSB_IJS8_SA_EEENS0_18inequality_wrapperIZN2at6native12_GLOBAL__N_124unique_dim_cuda_templateIdEESt5tupleIJNSF_6TensorESK_SK_EERKSK_lbbbEUlllE0_EEPmJS9_EEE10hipError_tPvRmT3_T4_T5_T6_T7_T9_mT8_P12ihipStream_tbDpT10_ENKUlT_T0_E_clISt17integral_constantIbLb0EES19_IbLb1EEEEDaS15_S16_EUlS15_E_NS1_11comp_targetILNS1_3genE4ELNS1_11target_archE910ELNS1_3gpuE8ELNS1_3repE0EEENS1_30default_config_static_selectorELNS0_4arch9wavefront6targetE1EEEvT1_.private_seg_size, 0
	.set _ZN7rocprim17ROCPRIM_400000_NS6detail17trampoline_kernelINS0_14default_configENS1_25partition_config_selectorILNS1_17partition_subalgoE9EllbEEZZNS1_14partition_implILS5_9ELb0ES3_jPlS8_PNS0_10empty_typeENS0_5tupleIJS8_S9_EEENSB_IJS8_SA_EEENS0_18inequality_wrapperIZN2at6native12_GLOBAL__N_124unique_dim_cuda_templateIdEESt5tupleIJNSF_6TensorESK_SK_EERKSK_lbbbEUlllE0_EEPmJS9_EEE10hipError_tPvRmT3_T4_T5_T6_T7_T9_mT8_P12ihipStream_tbDpT10_ENKUlT_T0_E_clISt17integral_constantIbLb0EES19_IbLb1EEEEDaS15_S16_EUlS15_E_NS1_11comp_targetILNS1_3genE4ELNS1_11target_archE910ELNS1_3gpuE8ELNS1_3repE0EEENS1_30default_config_static_selectorELNS0_4arch9wavefront6targetE1EEEvT1_.uses_vcc, 0
	.set _ZN7rocprim17ROCPRIM_400000_NS6detail17trampoline_kernelINS0_14default_configENS1_25partition_config_selectorILNS1_17partition_subalgoE9EllbEEZZNS1_14partition_implILS5_9ELb0ES3_jPlS8_PNS0_10empty_typeENS0_5tupleIJS8_S9_EEENSB_IJS8_SA_EEENS0_18inequality_wrapperIZN2at6native12_GLOBAL__N_124unique_dim_cuda_templateIdEESt5tupleIJNSF_6TensorESK_SK_EERKSK_lbbbEUlllE0_EEPmJS9_EEE10hipError_tPvRmT3_T4_T5_T6_T7_T9_mT8_P12ihipStream_tbDpT10_ENKUlT_T0_E_clISt17integral_constantIbLb0EES19_IbLb1EEEEDaS15_S16_EUlS15_E_NS1_11comp_targetILNS1_3genE4ELNS1_11target_archE910ELNS1_3gpuE8ELNS1_3repE0EEENS1_30default_config_static_selectorELNS0_4arch9wavefront6targetE1EEEvT1_.uses_flat_scratch, 0
	.set _ZN7rocprim17ROCPRIM_400000_NS6detail17trampoline_kernelINS0_14default_configENS1_25partition_config_selectorILNS1_17partition_subalgoE9EllbEEZZNS1_14partition_implILS5_9ELb0ES3_jPlS8_PNS0_10empty_typeENS0_5tupleIJS8_S9_EEENSB_IJS8_SA_EEENS0_18inequality_wrapperIZN2at6native12_GLOBAL__N_124unique_dim_cuda_templateIdEESt5tupleIJNSF_6TensorESK_SK_EERKSK_lbbbEUlllE0_EEPmJS9_EEE10hipError_tPvRmT3_T4_T5_T6_T7_T9_mT8_P12ihipStream_tbDpT10_ENKUlT_T0_E_clISt17integral_constantIbLb0EES19_IbLb1EEEEDaS15_S16_EUlS15_E_NS1_11comp_targetILNS1_3genE4ELNS1_11target_archE910ELNS1_3gpuE8ELNS1_3repE0EEENS1_30default_config_static_selectorELNS0_4arch9wavefront6targetE1EEEvT1_.has_dyn_sized_stack, 0
	.set _ZN7rocprim17ROCPRIM_400000_NS6detail17trampoline_kernelINS0_14default_configENS1_25partition_config_selectorILNS1_17partition_subalgoE9EllbEEZZNS1_14partition_implILS5_9ELb0ES3_jPlS8_PNS0_10empty_typeENS0_5tupleIJS8_S9_EEENSB_IJS8_SA_EEENS0_18inequality_wrapperIZN2at6native12_GLOBAL__N_124unique_dim_cuda_templateIdEESt5tupleIJNSF_6TensorESK_SK_EERKSK_lbbbEUlllE0_EEPmJS9_EEE10hipError_tPvRmT3_T4_T5_T6_T7_T9_mT8_P12ihipStream_tbDpT10_ENKUlT_T0_E_clISt17integral_constantIbLb0EES19_IbLb1EEEEDaS15_S16_EUlS15_E_NS1_11comp_targetILNS1_3genE4ELNS1_11target_archE910ELNS1_3gpuE8ELNS1_3repE0EEENS1_30default_config_static_selectorELNS0_4arch9wavefront6targetE1EEEvT1_.has_recursion, 0
	.set _ZN7rocprim17ROCPRIM_400000_NS6detail17trampoline_kernelINS0_14default_configENS1_25partition_config_selectorILNS1_17partition_subalgoE9EllbEEZZNS1_14partition_implILS5_9ELb0ES3_jPlS8_PNS0_10empty_typeENS0_5tupleIJS8_S9_EEENSB_IJS8_SA_EEENS0_18inequality_wrapperIZN2at6native12_GLOBAL__N_124unique_dim_cuda_templateIdEESt5tupleIJNSF_6TensorESK_SK_EERKSK_lbbbEUlllE0_EEPmJS9_EEE10hipError_tPvRmT3_T4_T5_T6_T7_T9_mT8_P12ihipStream_tbDpT10_ENKUlT_T0_E_clISt17integral_constantIbLb0EES19_IbLb1EEEEDaS15_S16_EUlS15_E_NS1_11comp_targetILNS1_3genE4ELNS1_11target_archE910ELNS1_3gpuE8ELNS1_3repE0EEENS1_30default_config_static_selectorELNS0_4arch9wavefront6targetE1EEEvT1_.has_indirect_call, 0
	.section	.AMDGPU.csdata,"",@progbits
; Kernel info:
; codeLenInByte = 0
; TotalNumSgprs: 6
; NumVgprs: 0
; NumAgprs: 0
; TotalNumVgprs: 0
; ScratchSize: 0
; MemoryBound: 0
; FloatMode: 240
; IeeeMode: 1
; LDSByteSize: 0 bytes/workgroup (compile time only)
; SGPRBlocks: 0
; VGPRBlocks: 0
; NumSGPRsForWavesPerEU: 6
; NumVGPRsForWavesPerEU: 1
; AccumOffset: 4
; Occupancy: 8
; WaveLimiterHint : 0
; COMPUTE_PGM_RSRC2:SCRATCH_EN: 0
; COMPUTE_PGM_RSRC2:USER_SGPR: 2
; COMPUTE_PGM_RSRC2:TRAP_HANDLER: 0
; COMPUTE_PGM_RSRC2:TGID_X_EN: 1
; COMPUTE_PGM_RSRC2:TGID_Y_EN: 0
; COMPUTE_PGM_RSRC2:TGID_Z_EN: 0
; COMPUTE_PGM_RSRC2:TIDIG_COMP_CNT: 0
; COMPUTE_PGM_RSRC3_GFX90A:ACCUM_OFFSET: 0
; COMPUTE_PGM_RSRC3_GFX90A:TG_SPLIT: 0
	.section	.text._ZN7rocprim17ROCPRIM_400000_NS6detail17trampoline_kernelINS0_14default_configENS1_25partition_config_selectorILNS1_17partition_subalgoE9EllbEEZZNS1_14partition_implILS5_9ELb0ES3_jPlS8_PNS0_10empty_typeENS0_5tupleIJS8_S9_EEENSB_IJS8_SA_EEENS0_18inequality_wrapperIZN2at6native12_GLOBAL__N_124unique_dim_cuda_templateIdEESt5tupleIJNSF_6TensorESK_SK_EERKSK_lbbbEUlllE0_EEPmJS9_EEE10hipError_tPvRmT3_T4_T5_T6_T7_T9_mT8_P12ihipStream_tbDpT10_ENKUlT_T0_E_clISt17integral_constantIbLb0EES19_IbLb1EEEEDaS15_S16_EUlS15_E_NS1_11comp_targetILNS1_3genE3ELNS1_11target_archE908ELNS1_3gpuE7ELNS1_3repE0EEENS1_30default_config_static_selectorELNS0_4arch9wavefront6targetE1EEEvT1_,"axG",@progbits,_ZN7rocprim17ROCPRIM_400000_NS6detail17trampoline_kernelINS0_14default_configENS1_25partition_config_selectorILNS1_17partition_subalgoE9EllbEEZZNS1_14partition_implILS5_9ELb0ES3_jPlS8_PNS0_10empty_typeENS0_5tupleIJS8_S9_EEENSB_IJS8_SA_EEENS0_18inequality_wrapperIZN2at6native12_GLOBAL__N_124unique_dim_cuda_templateIdEESt5tupleIJNSF_6TensorESK_SK_EERKSK_lbbbEUlllE0_EEPmJS9_EEE10hipError_tPvRmT3_T4_T5_T6_T7_T9_mT8_P12ihipStream_tbDpT10_ENKUlT_T0_E_clISt17integral_constantIbLb0EES19_IbLb1EEEEDaS15_S16_EUlS15_E_NS1_11comp_targetILNS1_3genE3ELNS1_11target_archE908ELNS1_3gpuE7ELNS1_3repE0EEENS1_30default_config_static_selectorELNS0_4arch9wavefront6targetE1EEEvT1_,comdat
	.globl	_ZN7rocprim17ROCPRIM_400000_NS6detail17trampoline_kernelINS0_14default_configENS1_25partition_config_selectorILNS1_17partition_subalgoE9EllbEEZZNS1_14partition_implILS5_9ELb0ES3_jPlS8_PNS0_10empty_typeENS0_5tupleIJS8_S9_EEENSB_IJS8_SA_EEENS0_18inequality_wrapperIZN2at6native12_GLOBAL__N_124unique_dim_cuda_templateIdEESt5tupleIJNSF_6TensorESK_SK_EERKSK_lbbbEUlllE0_EEPmJS9_EEE10hipError_tPvRmT3_T4_T5_T6_T7_T9_mT8_P12ihipStream_tbDpT10_ENKUlT_T0_E_clISt17integral_constantIbLb0EES19_IbLb1EEEEDaS15_S16_EUlS15_E_NS1_11comp_targetILNS1_3genE3ELNS1_11target_archE908ELNS1_3gpuE7ELNS1_3repE0EEENS1_30default_config_static_selectorELNS0_4arch9wavefront6targetE1EEEvT1_ ; -- Begin function _ZN7rocprim17ROCPRIM_400000_NS6detail17trampoline_kernelINS0_14default_configENS1_25partition_config_selectorILNS1_17partition_subalgoE9EllbEEZZNS1_14partition_implILS5_9ELb0ES3_jPlS8_PNS0_10empty_typeENS0_5tupleIJS8_S9_EEENSB_IJS8_SA_EEENS0_18inequality_wrapperIZN2at6native12_GLOBAL__N_124unique_dim_cuda_templateIdEESt5tupleIJNSF_6TensorESK_SK_EERKSK_lbbbEUlllE0_EEPmJS9_EEE10hipError_tPvRmT3_T4_T5_T6_T7_T9_mT8_P12ihipStream_tbDpT10_ENKUlT_T0_E_clISt17integral_constantIbLb0EES19_IbLb1EEEEDaS15_S16_EUlS15_E_NS1_11comp_targetILNS1_3genE3ELNS1_11target_archE908ELNS1_3gpuE7ELNS1_3repE0EEENS1_30default_config_static_selectorELNS0_4arch9wavefront6targetE1EEEvT1_
	.p2align	8
	.type	_ZN7rocprim17ROCPRIM_400000_NS6detail17trampoline_kernelINS0_14default_configENS1_25partition_config_selectorILNS1_17partition_subalgoE9EllbEEZZNS1_14partition_implILS5_9ELb0ES3_jPlS8_PNS0_10empty_typeENS0_5tupleIJS8_S9_EEENSB_IJS8_SA_EEENS0_18inequality_wrapperIZN2at6native12_GLOBAL__N_124unique_dim_cuda_templateIdEESt5tupleIJNSF_6TensorESK_SK_EERKSK_lbbbEUlllE0_EEPmJS9_EEE10hipError_tPvRmT3_T4_T5_T6_T7_T9_mT8_P12ihipStream_tbDpT10_ENKUlT_T0_E_clISt17integral_constantIbLb0EES19_IbLb1EEEEDaS15_S16_EUlS15_E_NS1_11comp_targetILNS1_3genE3ELNS1_11target_archE908ELNS1_3gpuE7ELNS1_3repE0EEENS1_30default_config_static_selectorELNS0_4arch9wavefront6targetE1EEEvT1_,@function
_ZN7rocprim17ROCPRIM_400000_NS6detail17trampoline_kernelINS0_14default_configENS1_25partition_config_selectorILNS1_17partition_subalgoE9EllbEEZZNS1_14partition_implILS5_9ELb0ES3_jPlS8_PNS0_10empty_typeENS0_5tupleIJS8_S9_EEENSB_IJS8_SA_EEENS0_18inequality_wrapperIZN2at6native12_GLOBAL__N_124unique_dim_cuda_templateIdEESt5tupleIJNSF_6TensorESK_SK_EERKSK_lbbbEUlllE0_EEPmJS9_EEE10hipError_tPvRmT3_T4_T5_T6_T7_T9_mT8_P12ihipStream_tbDpT10_ENKUlT_T0_E_clISt17integral_constantIbLb0EES19_IbLb1EEEEDaS15_S16_EUlS15_E_NS1_11comp_targetILNS1_3genE3ELNS1_11target_archE908ELNS1_3gpuE7ELNS1_3repE0EEENS1_30default_config_static_selectorELNS0_4arch9wavefront6targetE1EEEvT1_: ; @_ZN7rocprim17ROCPRIM_400000_NS6detail17trampoline_kernelINS0_14default_configENS1_25partition_config_selectorILNS1_17partition_subalgoE9EllbEEZZNS1_14partition_implILS5_9ELb0ES3_jPlS8_PNS0_10empty_typeENS0_5tupleIJS8_S9_EEENSB_IJS8_SA_EEENS0_18inequality_wrapperIZN2at6native12_GLOBAL__N_124unique_dim_cuda_templateIdEESt5tupleIJNSF_6TensorESK_SK_EERKSK_lbbbEUlllE0_EEPmJS9_EEE10hipError_tPvRmT3_T4_T5_T6_T7_T9_mT8_P12ihipStream_tbDpT10_ENKUlT_T0_E_clISt17integral_constantIbLb0EES19_IbLb1EEEEDaS15_S16_EUlS15_E_NS1_11comp_targetILNS1_3genE3ELNS1_11target_archE908ELNS1_3gpuE7ELNS1_3repE0EEENS1_30default_config_static_selectorELNS0_4arch9wavefront6targetE1EEEvT1_
; %bb.0:
	.section	.rodata,"a",@progbits
	.p2align	6, 0x0
	.amdhsa_kernel _ZN7rocprim17ROCPRIM_400000_NS6detail17trampoline_kernelINS0_14default_configENS1_25partition_config_selectorILNS1_17partition_subalgoE9EllbEEZZNS1_14partition_implILS5_9ELb0ES3_jPlS8_PNS0_10empty_typeENS0_5tupleIJS8_S9_EEENSB_IJS8_SA_EEENS0_18inequality_wrapperIZN2at6native12_GLOBAL__N_124unique_dim_cuda_templateIdEESt5tupleIJNSF_6TensorESK_SK_EERKSK_lbbbEUlllE0_EEPmJS9_EEE10hipError_tPvRmT3_T4_T5_T6_T7_T9_mT8_P12ihipStream_tbDpT10_ENKUlT_T0_E_clISt17integral_constantIbLb0EES19_IbLb1EEEEDaS15_S16_EUlS15_E_NS1_11comp_targetILNS1_3genE3ELNS1_11target_archE908ELNS1_3gpuE7ELNS1_3repE0EEENS1_30default_config_static_selectorELNS0_4arch9wavefront6targetE1EEEvT1_
		.amdhsa_group_segment_fixed_size 0
		.amdhsa_private_segment_fixed_size 0
		.amdhsa_kernarg_size 136
		.amdhsa_user_sgpr_count 2
		.amdhsa_user_sgpr_dispatch_ptr 0
		.amdhsa_user_sgpr_queue_ptr 0
		.amdhsa_user_sgpr_kernarg_segment_ptr 1
		.amdhsa_user_sgpr_dispatch_id 0
		.amdhsa_user_sgpr_kernarg_preload_length 0
		.amdhsa_user_sgpr_kernarg_preload_offset 0
		.amdhsa_user_sgpr_private_segment_size 0
		.amdhsa_uses_dynamic_stack 0
		.amdhsa_enable_private_segment 0
		.amdhsa_system_sgpr_workgroup_id_x 1
		.amdhsa_system_sgpr_workgroup_id_y 0
		.amdhsa_system_sgpr_workgroup_id_z 0
		.amdhsa_system_sgpr_workgroup_info 0
		.amdhsa_system_vgpr_workitem_id 0
		.amdhsa_next_free_vgpr 1
		.amdhsa_next_free_sgpr 0
		.amdhsa_accum_offset 4
		.amdhsa_reserve_vcc 0
		.amdhsa_float_round_mode_32 0
		.amdhsa_float_round_mode_16_64 0
		.amdhsa_float_denorm_mode_32 3
		.amdhsa_float_denorm_mode_16_64 3
		.amdhsa_dx10_clamp 1
		.amdhsa_ieee_mode 1
		.amdhsa_fp16_overflow 0
		.amdhsa_tg_split 0
		.amdhsa_exception_fp_ieee_invalid_op 0
		.amdhsa_exception_fp_denorm_src 0
		.amdhsa_exception_fp_ieee_div_zero 0
		.amdhsa_exception_fp_ieee_overflow 0
		.amdhsa_exception_fp_ieee_underflow 0
		.amdhsa_exception_fp_ieee_inexact 0
		.amdhsa_exception_int_div_zero 0
	.end_amdhsa_kernel
	.section	.text._ZN7rocprim17ROCPRIM_400000_NS6detail17trampoline_kernelINS0_14default_configENS1_25partition_config_selectorILNS1_17partition_subalgoE9EllbEEZZNS1_14partition_implILS5_9ELb0ES3_jPlS8_PNS0_10empty_typeENS0_5tupleIJS8_S9_EEENSB_IJS8_SA_EEENS0_18inequality_wrapperIZN2at6native12_GLOBAL__N_124unique_dim_cuda_templateIdEESt5tupleIJNSF_6TensorESK_SK_EERKSK_lbbbEUlllE0_EEPmJS9_EEE10hipError_tPvRmT3_T4_T5_T6_T7_T9_mT8_P12ihipStream_tbDpT10_ENKUlT_T0_E_clISt17integral_constantIbLb0EES19_IbLb1EEEEDaS15_S16_EUlS15_E_NS1_11comp_targetILNS1_3genE3ELNS1_11target_archE908ELNS1_3gpuE7ELNS1_3repE0EEENS1_30default_config_static_selectorELNS0_4arch9wavefront6targetE1EEEvT1_,"axG",@progbits,_ZN7rocprim17ROCPRIM_400000_NS6detail17trampoline_kernelINS0_14default_configENS1_25partition_config_selectorILNS1_17partition_subalgoE9EllbEEZZNS1_14partition_implILS5_9ELb0ES3_jPlS8_PNS0_10empty_typeENS0_5tupleIJS8_S9_EEENSB_IJS8_SA_EEENS0_18inequality_wrapperIZN2at6native12_GLOBAL__N_124unique_dim_cuda_templateIdEESt5tupleIJNSF_6TensorESK_SK_EERKSK_lbbbEUlllE0_EEPmJS9_EEE10hipError_tPvRmT3_T4_T5_T6_T7_T9_mT8_P12ihipStream_tbDpT10_ENKUlT_T0_E_clISt17integral_constantIbLb0EES19_IbLb1EEEEDaS15_S16_EUlS15_E_NS1_11comp_targetILNS1_3genE3ELNS1_11target_archE908ELNS1_3gpuE7ELNS1_3repE0EEENS1_30default_config_static_selectorELNS0_4arch9wavefront6targetE1EEEvT1_,comdat
.Lfunc_end866:
	.size	_ZN7rocprim17ROCPRIM_400000_NS6detail17trampoline_kernelINS0_14default_configENS1_25partition_config_selectorILNS1_17partition_subalgoE9EllbEEZZNS1_14partition_implILS5_9ELb0ES3_jPlS8_PNS0_10empty_typeENS0_5tupleIJS8_S9_EEENSB_IJS8_SA_EEENS0_18inequality_wrapperIZN2at6native12_GLOBAL__N_124unique_dim_cuda_templateIdEESt5tupleIJNSF_6TensorESK_SK_EERKSK_lbbbEUlllE0_EEPmJS9_EEE10hipError_tPvRmT3_T4_T5_T6_T7_T9_mT8_P12ihipStream_tbDpT10_ENKUlT_T0_E_clISt17integral_constantIbLb0EES19_IbLb1EEEEDaS15_S16_EUlS15_E_NS1_11comp_targetILNS1_3genE3ELNS1_11target_archE908ELNS1_3gpuE7ELNS1_3repE0EEENS1_30default_config_static_selectorELNS0_4arch9wavefront6targetE1EEEvT1_, .Lfunc_end866-_ZN7rocprim17ROCPRIM_400000_NS6detail17trampoline_kernelINS0_14default_configENS1_25partition_config_selectorILNS1_17partition_subalgoE9EllbEEZZNS1_14partition_implILS5_9ELb0ES3_jPlS8_PNS0_10empty_typeENS0_5tupleIJS8_S9_EEENSB_IJS8_SA_EEENS0_18inequality_wrapperIZN2at6native12_GLOBAL__N_124unique_dim_cuda_templateIdEESt5tupleIJNSF_6TensorESK_SK_EERKSK_lbbbEUlllE0_EEPmJS9_EEE10hipError_tPvRmT3_T4_T5_T6_T7_T9_mT8_P12ihipStream_tbDpT10_ENKUlT_T0_E_clISt17integral_constantIbLb0EES19_IbLb1EEEEDaS15_S16_EUlS15_E_NS1_11comp_targetILNS1_3genE3ELNS1_11target_archE908ELNS1_3gpuE7ELNS1_3repE0EEENS1_30default_config_static_selectorELNS0_4arch9wavefront6targetE1EEEvT1_
                                        ; -- End function
	.set _ZN7rocprim17ROCPRIM_400000_NS6detail17trampoline_kernelINS0_14default_configENS1_25partition_config_selectorILNS1_17partition_subalgoE9EllbEEZZNS1_14partition_implILS5_9ELb0ES3_jPlS8_PNS0_10empty_typeENS0_5tupleIJS8_S9_EEENSB_IJS8_SA_EEENS0_18inequality_wrapperIZN2at6native12_GLOBAL__N_124unique_dim_cuda_templateIdEESt5tupleIJNSF_6TensorESK_SK_EERKSK_lbbbEUlllE0_EEPmJS9_EEE10hipError_tPvRmT3_T4_T5_T6_T7_T9_mT8_P12ihipStream_tbDpT10_ENKUlT_T0_E_clISt17integral_constantIbLb0EES19_IbLb1EEEEDaS15_S16_EUlS15_E_NS1_11comp_targetILNS1_3genE3ELNS1_11target_archE908ELNS1_3gpuE7ELNS1_3repE0EEENS1_30default_config_static_selectorELNS0_4arch9wavefront6targetE1EEEvT1_.num_vgpr, 0
	.set _ZN7rocprim17ROCPRIM_400000_NS6detail17trampoline_kernelINS0_14default_configENS1_25partition_config_selectorILNS1_17partition_subalgoE9EllbEEZZNS1_14partition_implILS5_9ELb0ES3_jPlS8_PNS0_10empty_typeENS0_5tupleIJS8_S9_EEENSB_IJS8_SA_EEENS0_18inequality_wrapperIZN2at6native12_GLOBAL__N_124unique_dim_cuda_templateIdEESt5tupleIJNSF_6TensorESK_SK_EERKSK_lbbbEUlllE0_EEPmJS9_EEE10hipError_tPvRmT3_T4_T5_T6_T7_T9_mT8_P12ihipStream_tbDpT10_ENKUlT_T0_E_clISt17integral_constantIbLb0EES19_IbLb1EEEEDaS15_S16_EUlS15_E_NS1_11comp_targetILNS1_3genE3ELNS1_11target_archE908ELNS1_3gpuE7ELNS1_3repE0EEENS1_30default_config_static_selectorELNS0_4arch9wavefront6targetE1EEEvT1_.num_agpr, 0
	.set _ZN7rocprim17ROCPRIM_400000_NS6detail17trampoline_kernelINS0_14default_configENS1_25partition_config_selectorILNS1_17partition_subalgoE9EllbEEZZNS1_14partition_implILS5_9ELb0ES3_jPlS8_PNS0_10empty_typeENS0_5tupleIJS8_S9_EEENSB_IJS8_SA_EEENS0_18inequality_wrapperIZN2at6native12_GLOBAL__N_124unique_dim_cuda_templateIdEESt5tupleIJNSF_6TensorESK_SK_EERKSK_lbbbEUlllE0_EEPmJS9_EEE10hipError_tPvRmT3_T4_T5_T6_T7_T9_mT8_P12ihipStream_tbDpT10_ENKUlT_T0_E_clISt17integral_constantIbLb0EES19_IbLb1EEEEDaS15_S16_EUlS15_E_NS1_11comp_targetILNS1_3genE3ELNS1_11target_archE908ELNS1_3gpuE7ELNS1_3repE0EEENS1_30default_config_static_selectorELNS0_4arch9wavefront6targetE1EEEvT1_.numbered_sgpr, 0
	.set _ZN7rocprim17ROCPRIM_400000_NS6detail17trampoline_kernelINS0_14default_configENS1_25partition_config_selectorILNS1_17partition_subalgoE9EllbEEZZNS1_14partition_implILS5_9ELb0ES3_jPlS8_PNS0_10empty_typeENS0_5tupleIJS8_S9_EEENSB_IJS8_SA_EEENS0_18inequality_wrapperIZN2at6native12_GLOBAL__N_124unique_dim_cuda_templateIdEESt5tupleIJNSF_6TensorESK_SK_EERKSK_lbbbEUlllE0_EEPmJS9_EEE10hipError_tPvRmT3_T4_T5_T6_T7_T9_mT8_P12ihipStream_tbDpT10_ENKUlT_T0_E_clISt17integral_constantIbLb0EES19_IbLb1EEEEDaS15_S16_EUlS15_E_NS1_11comp_targetILNS1_3genE3ELNS1_11target_archE908ELNS1_3gpuE7ELNS1_3repE0EEENS1_30default_config_static_selectorELNS0_4arch9wavefront6targetE1EEEvT1_.num_named_barrier, 0
	.set _ZN7rocprim17ROCPRIM_400000_NS6detail17trampoline_kernelINS0_14default_configENS1_25partition_config_selectorILNS1_17partition_subalgoE9EllbEEZZNS1_14partition_implILS5_9ELb0ES3_jPlS8_PNS0_10empty_typeENS0_5tupleIJS8_S9_EEENSB_IJS8_SA_EEENS0_18inequality_wrapperIZN2at6native12_GLOBAL__N_124unique_dim_cuda_templateIdEESt5tupleIJNSF_6TensorESK_SK_EERKSK_lbbbEUlllE0_EEPmJS9_EEE10hipError_tPvRmT3_T4_T5_T6_T7_T9_mT8_P12ihipStream_tbDpT10_ENKUlT_T0_E_clISt17integral_constantIbLb0EES19_IbLb1EEEEDaS15_S16_EUlS15_E_NS1_11comp_targetILNS1_3genE3ELNS1_11target_archE908ELNS1_3gpuE7ELNS1_3repE0EEENS1_30default_config_static_selectorELNS0_4arch9wavefront6targetE1EEEvT1_.private_seg_size, 0
	.set _ZN7rocprim17ROCPRIM_400000_NS6detail17trampoline_kernelINS0_14default_configENS1_25partition_config_selectorILNS1_17partition_subalgoE9EllbEEZZNS1_14partition_implILS5_9ELb0ES3_jPlS8_PNS0_10empty_typeENS0_5tupleIJS8_S9_EEENSB_IJS8_SA_EEENS0_18inequality_wrapperIZN2at6native12_GLOBAL__N_124unique_dim_cuda_templateIdEESt5tupleIJNSF_6TensorESK_SK_EERKSK_lbbbEUlllE0_EEPmJS9_EEE10hipError_tPvRmT3_T4_T5_T6_T7_T9_mT8_P12ihipStream_tbDpT10_ENKUlT_T0_E_clISt17integral_constantIbLb0EES19_IbLb1EEEEDaS15_S16_EUlS15_E_NS1_11comp_targetILNS1_3genE3ELNS1_11target_archE908ELNS1_3gpuE7ELNS1_3repE0EEENS1_30default_config_static_selectorELNS0_4arch9wavefront6targetE1EEEvT1_.uses_vcc, 0
	.set _ZN7rocprim17ROCPRIM_400000_NS6detail17trampoline_kernelINS0_14default_configENS1_25partition_config_selectorILNS1_17partition_subalgoE9EllbEEZZNS1_14partition_implILS5_9ELb0ES3_jPlS8_PNS0_10empty_typeENS0_5tupleIJS8_S9_EEENSB_IJS8_SA_EEENS0_18inequality_wrapperIZN2at6native12_GLOBAL__N_124unique_dim_cuda_templateIdEESt5tupleIJNSF_6TensorESK_SK_EERKSK_lbbbEUlllE0_EEPmJS9_EEE10hipError_tPvRmT3_T4_T5_T6_T7_T9_mT8_P12ihipStream_tbDpT10_ENKUlT_T0_E_clISt17integral_constantIbLb0EES19_IbLb1EEEEDaS15_S16_EUlS15_E_NS1_11comp_targetILNS1_3genE3ELNS1_11target_archE908ELNS1_3gpuE7ELNS1_3repE0EEENS1_30default_config_static_selectorELNS0_4arch9wavefront6targetE1EEEvT1_.uses_flat_scratch, 0
	.set _ZN7rocprim17ROCPRIM_400000_NS6detail17trampoline_kernelINS0_14default_configENS1_25partition_config_selectorILNS1_17partition_subalgoE9EllbEEZZNS1_14partition_implILS5_9ELb0ES3_jPlS8_PNS0_10empty_typeENS0_5tupleIJS8_S9_EEENSB_IJS8_SA_EEENS0_18inequality_wrapperIZN2at6native12_GLOBAL__N_124unique_dim_cuda_templateIdEESt5tupleIJNSF_6TensorESK_SK_EERKSK_lbbbEUlllE0_EEPmJS9_EEE10hipError_tPvRmT3_T4_T5_T6_T7_T9_mT8_P12ihipStream_tbDpT10_ENKUlT_T0_E_clISt17integral_constantIbLb0EES19_IbLb1EEEEDaS15_S16_EUlS15_E_NS1_11comp_targetILNS1_3genE3ELNS1_11target_archE908ELNS1_3gpuE7ELNS1_3repE0EEENS1_30default_config_static_selectorELNS0_4arch9wavefront6targetE1EEEvT1_.has_dyn_sized_stack, 0
	.set _ZN7rocprim17ROCPRIM_400000_NS6detail17trampoline_kernelINS0_14default_configENS1_25partition_config_selectorILNS1_17partition_subalgoE9EllbEEZZNS1_14partition_implILS5_9ELb0ES3_jPlS8_PNS0_10empty_typeENS0_5tupleIJS8_S9_EEENSB_IJS8_SA_EEENS0_18inequality_wrapperIZN2at6native12_GLOBAL__N_124unique_dim_cuda_templateIdEESt5tupleIJNSF_6TensorESK_SK_EERKSK_lbbbEUlllE0_EEPmJS9_EEE10hipError_tPvRmT3_T4_T5_T6_T7_T9_mT8_P12ihipStream_tbDpT10_ENKUlT_T0_E_clISt17integral_constantIbLb0EES19_IbLb1EEEEDaS15_S16_EUlS15_E_NS1_11comp_targetILNS1_3genE3ELNS1_11target_archE908ELNS1_3gpuE7ELNS1_3repE0EEENS1_30default_config_static_selectorELNS0_4arch9wavefront6targetE1EEEvT1_.has_recursion, 0
	.set _ZN7rocprim17ROCPRIM_400000_NS6detail17trampoline_kernelINS0_14default_configENS1_25partition_config_selectorILNS1_17partition_subalgoE9EllbEEZZNS1_14partition_implILS5_9ELb0ES3_jPlS8_PNS0_10empty_typeENS0_5tupleIJS8_S9_EEENSB_IJS8_SA_EEENS0_18inequality_wrapperIZN2at6native12_GLOBAL__N_124unique_dim_cuda_templateIdEESt5tupleIJNSF_6TensorESK_SK_EERKSK_lbbbEUlllE0_EEPmJS9_EEE10hipError_tPvRmT3_T4_T5_T6_T7_T9_mT8_P12ihipStream_tbDpT10_ENKUlT_T0_E_clISt17integral_constantIbLb0EES19_IbLb1EEEEDaS15_S16_EUlS15_E_NS1_11comp_targetILNS1_3genE3ELNS1_11target_archE908ELNS1_3gpuE7ELNS1_3repE0EEENS1_30default_config_static_selectorELNS0_4arch9wavefront6targetE1EEEvT1_.has_indirect_call, 0
	.section	.AMDGPU.csdata,"",@progbits
; Kernel info:
; codeLenInByte = 0
; TotalNumSgprs: 6
; NumVgprs: 0
; NumAgprs: 0
; TotalNumVgprs: 0
; ScratchSize: 0
; MemoryBound: 0
; FloatMode: 240
; IeeeMode: 1
; LDSByteSize: 0 bytes/workgroup (compile time only)
; SGPRBlocks: 0
; VGPRBlocks: 0
; NumSGPRsForWavesPerEU: 6
; NumVGPRsForWavesPerEU: 1
; AccumOffset: 4
; Occupancy: 8
; WaveLimiterHint : 0
; COMPUTE_PGM_RSRC2:SCRATCH_EN: 0
; COMPUTE_PGM_RSRC2:USER_SGPR: 2
; COMPUTE_PGM_RSRC2:TRAP_HANDLER: 0
; COMPUTE_PGM_RSRC2:TGID_X_EN: 1
; COMPUTE_PGM_RSRC2:TGID_Y_EN: 0
; COMPUTE_PGM_RSRC2:TGID_Z_EN: 0
; COMPUTE_PGM_RSRC2:TIDIG_COMP_CNT: 0
; COMPUTE_PGM_RSRC3_GFX90A:ACCUM_OFFSET: 0
; COMPUTE_PGM_RSRC3_GFX90A:TG_SPLIT: 0
	.section	.text._ZN7rocprim17ROCPRIM_400000_NS6detail17trampoline_kernelINS0_14default_configENS1_25partition_config_selectorILNS1_17partition_subalgoE9EllbEEZZNS1_14partition_implILS5_9ELb0ES3_jPlS8_PNS0_10empty_typeENS0_5tupleIJS8_S9_EEENSB_IJS8_SA_EEENS0_18inequality_wrapperIZN2at6native12_GLOBAL__N_124unique_dim_cuda_templateIdEESt5tupleIJNSF_6TensorESK_SK_EERKSK_lbbbEUlllE0_EEPmJS9_EEE10hipError_tPvRmT3_T4_T5_T6_T7_T9_mT8_P12ihipStream_tbDpT10_ENKUlT_T0_E_clISt17integral_constantIbLb0EES19_IbLb1EEEEDaS15_S16_EUlS15_E_NS1_11comp_targetILNS1_3genE2ELNS1_11target_archE906ELNS1_3gpuE6ELNS1_3repE0EEENS1_30default_config_static_selectorELNS0_4arch9wavefront6targetE1EEEvT1_,"axG",@progbits,_ZN7rocprim17ROCPRIM_400000_NS6detail17trampoline_kernelINS0_14default_configENS1_25partition_config_selectorILNS1_17partition_subalgoE9EllbEEZZNS1_14partition_implILS5_9ELb0ES3_jPlS8_PNS0_10empty_typeENS0_5tupleIJS8_S9_EEENSB_IJS8_SA_EEENS0_18inequality_wrapperIZN2at6native12_GLOBAL__N_124unique_dim_cuda_templateIdEESt5tupleIJNSF_6TensorESK_SK_EERKSK_lbbbEUlllE0_EEPmJS9_EEE10hipError_tPvRmT3_T4_T5_T6_T7_T9_mT8_P12ihipStream_tbDpT10_ENKUlT_T0_E_clISt17integral_constantIbLb0EES19_IbLb1EEEEDaS15_S16_EUlS15_E_NS1_11comp_targetILNS1_3genE2ELNS1_11target_archE906ELNS1_3gpuE6ELNS1_3repE0EEENS1_30default_config_static_selectorELNS0_4arch9wavefront6targetE1EEEvT1_,comdat
	.globl	_ZN7rocprim17ROCPRIM_400000_NS6detail17trampoline_kernelINS0_14default_configENS1_25partition_config_selectorILNS1_17partition_subalgoE9EllbEEZZNS1_14partition_implILS5_9ELb0ES3_jPlS8_PNS0_10empty_typeENS0_5tupleIJS8_S9_EEENSB_IJS8_SA_EEENS0_18inequality_wrapperIZN2at6native12_GLOBAL__N_124unique_dim_cuda_templateIdEESt5tupleIJNSF_6TensorESK_SK_EERKSK_lbbbEUlllE0_EEPmJS9_EEE10hipError_tPvRmT3_T4_T5_T6_T7_T9_mT8_P12ihipStream_tbDpT10_ENKUlT_T0_E_clISt17integral_constantIbLb0EES19_IbLb1EEEEDaS15_S16_EUlS15_E_NS1_11comp_targetILNS1_3genE2ELNS1_11target_archE906ELNS1_3gpuE6ELNS1_3repE0EEENS1_30default_config_static_selectorELNS0_4arch9wavefront6targetE1EEEvT1_ ; -- Begin function _ZN7rocprim17ROCPRIM_400000_NS6detail17trampoline_kernelINS0_14default_configENS1_25partition_config_selectorILNS1_17partition_subalgoE9EllbEEZZNS1_14partition_implILS5_9ELb0ES3_jPlS8_PNS0_10empty_typeENS0_5tupleIJS8_S9_EEENSB_IJS8_SA_EEENS0_18inequality_wrapperIZN2at6native12_GLOBAL__N_124unique_dim_cuda_templateIdEESt5tupleIJNSF_6TensorESK_SK_EERKSK_lbbbEUlllE0_EEPmJS9_EEE10hipError_tPvRmT3_T4_T5_T6_T7_T9_mT8_P12ihipStream_tbDpT10_ENKUlT_T0_E_clISt17integral_constantIbLb0EES19_IbLb1EEEEDaS15_S16_EUlS15_E_NS1_11comp_targetILNS1_3genE2ELNS1_11target_archE906ELNS1_3gpuE6ELNS1_3repE0EEENS1_30default_config_static_selectorELNS0_4arch9wavefront6targetE1EEEvT1_
	.p2align	8
	.type	_ZN7rocprim17ROCPRIM_400000_NS6detail17trampoline_kernelINS0_14default_configENS1_25partition_config_selectorILNS1_17partition_subalgoE9EllbEEZZNS1_14partition_implILS5_9ELb0ES3_jPlS8_PNS0_10empty_typeENS0_5tupleIJS8_S9_EEENSB_IJS8_SA_EEENS0_18inequality_wrapperIZN2at6native12_GLOBAL__N_124unique_dim_cuda_templateIdEESt5tupleIJNSF_6TensorESK_SK_EERKSK_lbbbEUlllE0_EEPmJS9_EEE10hipError_tPvRmT3_T4_T5_T6_T7_T9_mT8_P12ihipStream_tbDpT10_ENKUlT_T0_E_clISt17integral_constantIbLb0EES19_IbLb1EEEEDaS15_S16_EUlS15_E_NS1_11comp_targetILNS1_3genE2ELNS1_11target_archE906ELNS1_3gpuE6ELNS1_3repE0EEENS1_30default_config_static_selectorELNS0_4arch9wavefront6targetE1EEEvT1_,@function
_ZN7rocprim17ROCPRIM_400000_NS6detail17trampoline_kernelINS0_14default_configENS1_25partition_config_selectorILNS1_17partition_subalgoE9EllbEEZZNS1_14partition_implILS5_9ELb0ES3_jPlS8_PNS0_10empty_typeENS0_5tupleIJS8_S9_EEENSB_IJS8_SA_EEENS0_18inequality_wrapperIZN2at6native12_GLOBAL__N_124unique_dim_cuda_templateIdEESt5tupleIJNSF_6TensorESK_SK_EERKSK_lbbbEUlllE0_EEPmJS9_EEE10hipError_tPvRmT3_T4_T5_T6_T7_T9_mT8_P12ihipStream_tbDpT10_ENKUlT_T0_E_clISt17integral_constantIbLb0EES19_IbLb1EEEEDaS15_S16_EUlS15_E_NS1_11comp_targetILNS1_3genE2ELNS1_11target_archE906ELNS1_3gpuE6ELNS1_3repE0EEENS1_30default_config_static_selectorELNS0_4arch9wavefront6targetE1EEEvT1_: ; @_ZN7rocprim17ROCPRIM_400000_NS6detail17trampoline_kernelINS0_14default_configENS1_25partition_config_selectorILNS1_17partition_subalgoE9EllbEEZZNS1_14partition_implILS5_9ELb0ES3_jPlS8_PNS0_10empty_typeENS0_5tupleIJS8_S9_EEENSB_IJS8_SA_EEENS0_18inequality_wrapperIZN2at6native12_GLOBAL__N_124unique_dim_cuda_templateIdEESt5tupleIJNSF_6TensorESK_SK_EERKSK_lbbbEUlllE0_EEPmJS9_EEE10hipError_tPvRmT3_T4_T5_T6_T7_T9_mT8_P12ihipStream_tbDpT10_ENKUlT_T0_E_clISt17integral_constantIbLb0EES19_IbLb1EEEEDaS15_S16_EUlS15_E_NS1_11comp_targetILNS1_3genE2ELNS1_11target_archE906ELNS1_3gpuE6ELNS1_3repE0EEENS1_30default_config_static_selectorELNS0_4arch9wavefront6targetE1EEEvT1_
; %bb.0:
	.section	.rodata,"a",@progbits
	.p2align	6, 0x0
	.amdhsa_kernel _ZN7rocprim17ROCPRIM_400000_NS6detail17trampoline_kernelINS0_14default_configENS1_25partition_config_selectorILNS1_17partition_subalgoE9EllbEEZZNS1_14partition_implILS5_9ELb0ES3_jPlS8_PNS0_10empty_typeENS0_5tupleIJS8_S9_EEENSB_IJS8_SA_EEENS0_18inequality_wrapperIZN2at6native12_GLOBAL__N_124unique_dim_cuda_templateIdEESt5tupleIJNSF_6TensorESK_SK_EERKSK_lbbbEUlllE0_EEPmJS9_EEE10hipError_tPvRmT3_T4_T5_T6_T7_T9_mT8_P12ihipStream_tbDpT10_ENKUlT_T0_E_clISt17integral_constantIbLb0EES19_IbLb1EEEEDaS15_S16_EUlS15_E_NS1_11comp_targetILNS1_3genE2ELNS1_11target_archE906ELNS1_3gpuE6ELNS1_3repE0EEENS1_30default_config_static_selectorELNS0_4arch9wavefront6targetE1EEEvT1_
		.amdhsa_group_segment_fixed_size 0
		.amdhsa_private_segment_fixed_size 0
		.amdhsa_kernarg_size 136
		.amdhsa_user_sgpr_count 2
		.amdhsa_user_sgpr_dispatch_ptr 0
		.amdhsa_user_sgpr_queue_ptr 0
		.amdhsa_user_sgpr_kernarg_segment_ptr 1
		.amdhsa_user_sgpr_dispatch_id 0
		.amdhsa_user_sgpr_kernarg_preload_length 0
		.amdhsa_user_sgpr_kernarg_preload_offset 0
		.amdhsa_user_sgpr_private_segment_size 0
		.amdhsa_uses_dynamic_stack 0
		.amdhsa_enable_private_segment 0
		.amdhsa_system_sgpr_workgroup_id_x 1
		.amdhsa_system_sgpr_workgroup_id_y 0
		.amdhsa_system_sgpr_workgroup_id_z 0
		.amdhsa_system_sgpr_workgroup_info 0
		.amdhsa_system_vgpr_workitem_id 0
		.amdhsa_next_free_vgpr 1
		.amdhsa_next_free_sgpr 0
		.amdhsa_accum_offset 4
		.amdhsa_reserve_vcc 0
		.amdhsa_float_round_mode_32 0
		.amdhsa_float_round_mode_16_64 0
		.amdhsa_float_denorm_mode_32 3
		.amdhsa_float_denorm_mode_16_64 3
		.amdhsa_dx10_clamp 1
		.amdhsa_ieee_mode 1
		.amdhsa_fp16_overflow 0
		.amdhsa_tg_split 0
		.amdhsa_exception_fp_ieee_invalid_op 0
		.amdhsa_exception_fp_denorm_src 0
		.amdhsa_exception_fp_ieee_div_zero 0
		.amdhsa_exception_fp_ieee_overflow 0
		.amdhsa_exception_fp_ieee_underflow 0
		.amdhsa_exception_fp_ieee_inexact 0
		.amdhsa_exception_int_div_zero 0
	.end_amdhsa_kernel
	.section	.text._ZN7rocprim17ROCPRIM_400000_NS6detail17trampoline_kernelINS0_14default_configENS1_25partition_config_selectorILNS1_17partition_subalgoE9EllbEEZZNS1_14partition_implILS5_9ELb0ES3_jPlS8_PNS0_10empty_typeENS0_5tupleIJS8_S9_EEENSB_IJS8_SA_EEENS0_18inequality_wrapperIZN2at6native12_GLOBAL__N_124unique_dim_cuda_templateIdEESt5tupleIJNSF_6TensorESK_SK_EERKSK_lbbbEUlllE0_EEPmJS9_EEE10hipError_tPvRmT3_T4_T5_T6_T7_T9_mT8_P12ihipStream_tbDpT10_ENKUlT_T0_E_clISt17integral_constantIbLb0EES19_IbLb1EEEEDaS15_S16_EUlS15_E_NS1_11comp_targetILNS1_3genE2ELNS1_11target_archE906ELNS1_3gpuE6ELNS1_3repE0EEENS1_30default_config_static_selectorELNS0_4arch9wavefront6targetE1EEEvT1_,"axG",@progbits,_ZN7rocprim17ROCPRIM_400000_NS6detail17trampoline_kernelINS0_14default_configENS1_25partition_config_selectorILNS1_17partition_subalgoE9EllbEEZZNS1_14partition_implILS5_9ELb0ES3_jPlS8_PNS0_10empty_typeENS0_5tupleIJS8_S9_EEENSB_IJS8_SA_EEENS0_18inequality_wrapperIZN2at6native12_GLOBAL__N_124unique_dim_cuda_templateIdEESt5tupleIJNSF_6TensorESK_SK_EERKSK_lbbbEUlllE0_EEPmJS9_EEE10hipError_tPvRmT3_T4_T5_T6_T7_T9_mT8_P12ihipStream_tbDpT10_ENKUlT_T0_E_clISt17integral_constantIbLb0EES19_IbLb1EEEEDaS15_S16_EUlS15_E_NS1_11comp_targetILNS1_3genE2ELNS1_11target_archE906ELNS1_3gpuE6ELNS1_3repE0EEENS1_30default_config_static_selectorELNS0_4arch9wavefront6targetE1EEEvT1_,comdat
.Lfunc_end867:
	.size	_ZN7rocprim17ROCPRIM_400000_NS6detail17trampoline_kernelINS0_14default_configENS1_25partition_config_selectorILNS1_17partition_subalgoE9EllbEEZZNS1_14partition_implILS5_9ELb0ES3_jPlS8_PNS0_10empty_typeENS0_5tupleIJS8_S9_EEENSB_IJS8_SA_EEENS0_18inequality_wrapperIZN2at6native12_GLOBAL__N_124unique_dim_cuda_templateIdEESt5tupleIJNSF_6TensorESK_SK_EERKSK_lbbbEUlllE0_EEPmJS9_EEE10hipError_tPvRmT3_T4_T5_T6_T7_T9_mT8_P12ihipStream_tbDpT10_ENKUlT_T0_E_clISt17integral_constantIbLb0EES19_IbLb1EEEEDaS15_S16_EUlS15_E_NS1_11comp_targetILNS1_3genE2ELNS1_11target_archE906ELNS1_3gpuE6ELNS1_3repE0EEENS1_30default_config_static_selectorELNS0_4arch9wavefront6targetE1EEEvT1_, .Lfunc_end867-_ZN7rocprim17ROCPRIM_400000_NS6detail17trampoline_kernelINS0_14default_configENS1_25partition_config_selectorILNS1_17partition_subalgoE9EllbEEZZNS1_14partition_implILS5_9ELb0ES3_jPlS8_PNS0_10empty_typeENS0_5tupleIJS8_S9_EEENSB_IJS8_SA_EEENS0_18inequality_wrapperIZN2at6native12_GLOBAL__N_124unique_dim_cuda_templateIdEESt5tupleIJNSF_6TensorESK_SK_EERKSK_lbbbEUlllE0_EEPmJS9_EEE10hipError_tPvRmT3_T4_T5_T6_T7_T9_mT8_P12ihipStream_tbDpT10_ENKUlT_T0_E_clISt17integral_constantIbLb0EES19_IbLb1EEEEDaS15_S16_EUlS15_E_NS1_11comp_targetILNS1_3genE2ELNS1_11target_archE906ELNS1_3gpuE6ELNS1_3repE0EEENS1_30default_config_static_selectorELNS0_4arch9wavefront6targetE1EEEvT1_
                                        ; -- End function
	.set _ZN7rocprim17ROCPRIM_400000_NS6detail17trampoline_kernelINS0_14default_configENS1_25partition_config_selectorILNS1_17partition_subalgoE9EllbEEZZNS1_14partition_implILS5_9ELb0ES3_jPlS8_PNS0_10empty_typeENS0_5tupleIJS8_S9_EEENSB_IJS8_SA_EEENS0_18inequality_wrapperIZN2at6native12_GLOBAL__N_124unique_dim_cuda_templateIdEESt5tupleIJNSF_6TensorESK_SK_EERKSK_lbbbEUlllE0_EEPmJS9_EEE10hipError_tPvRmT3_T4_T5_T6_T7_T9_mT8_P12ihipStream_tbDpT10_ENKUlT_T0_E_clISt17integral_constantIbLb0EES19_IbLb1EEEEDaS15_S16_EUlS15_E_NS1_11comp_targetILNS1_3genE2ELNS1_11target_archE906ELNS1_3gpuE6ELNS1_3repE0EEENS1_30default_config_static_selectorELNS0_4arch9wavefront6targetE1EEEvT1_.num_vgpr, 0
	.set _ZN7rocprim17ROCPRIM_400000_NS6detail17trampoline_kernelINS0_14default_configENS1_25partition_config_selectorILNS1_17partition_subalgoE9EllbEEZZNS1_14partition_implILS5_9ELb0ES3_jPlS8_PNS0_10empty_typeENS0_5tupleIJS8_S9_EEENSB_IJS8_SA_EEENS0_18inequality_wrapperIZN2at6native12_GLOBAL__N_124unique_dim_cuda_templateIdEESt5tupleIJNSF_6TensorESK_SK_EERKSK_lbbbEUlllE0_EEPmJS9_EEE10hipError_tPvRmT3_T4_T5_T6_T7_T9_mT8_P12ihipStream_tbDpT10_ENKUlT_T0_E_clISt17integral_constantIbLb0EES19_IbLb1EEEEDaS15_S16_EUlS15_E_NS1_11comp_targetILNS1_3genE2ELNS1_11target_archE906ELNS1_3gpuE6ELNS1_3repE0EEENS1_30default_config_static_selectorELNS0_4arch9wavefront6targetE1EEEvT1_.num_agpr, 0
	.set _ZN7rocprim17ROCPRIM_400000_NS6detail17trampoline_kernelINS0_14default_configENS1_25partition_config_selectorILNS1_17partition_subalgoE9EllbEEZZNS1_14partition_implILS5_9ELb0ES3_jPlS8_PNS0_10empty_typeENS0_5tupleIJS8_S9_EEENSB_IJS8_SA_EEENS0_18inequality_wrapperIZN2at6native12_GLOBAL__N_124unique_dim_cuda_templateIdEESt5tupleIJNSF_6TensorESK_SK_EERKSK_lbbbEUlllE0_EEPmJS9_EEE10hipError_tPvRmT3_T4_T5_T6_T7_T9_mT8_P12ihipStream_tbDpT10_ENKUlT_T0_E_clISt17integral_constantIbLb0EES19_IbLb1EEEEDaS15_S16_EUlS15_E_NS1_11comp_targetILNS1_3genE2ELNS1_11target_archE906ELNS1_3gpuE6ELNS1_3repE0EEENS1_30default_config_static_selectorELNS0_4arch9wavefront6targetE1EEEvT1_.numbered_sgpr, 0
	.set _ZN7rocprim17ROCPRIM_400000_NS6detail17trampoline_kernelINS0_14default_configENS1_25partition_config_selectorILNS1_17partition_subalgoE9EllbEEZZNS1_14partition_implILS5_9ELb0ES3_jPlS8_PNS0_10empty_typeENS0_5tupleIJS8_S9_EEENSB_IJS8_SA_EEENS0_18inequality_wrapperIZN2at6native12_GLOBAL__N_124unique_dim_cuda_templateIdEESt5tupleIJNSF_6TensorESK_SK_EERKSK_lbbbEUlllE0_EEPmJS9_EEE10hipError_tPvRmT3_T4_T5_T6_T7_T9_mT8_P12ihipStream_tbDpT10_ENKUlT_T0_E_clISt17integral_constantIbLb0EES19_IbLb1EEEEDaS15_S16_EUlS15_E_NS1_11comp_targetILNS1_3genE2ELNS1_11target_archE906ELNS1_3gpuE6ELNS1_3repE0EEENS1_30default_config_static_selectorELNS0_4arch9wavefront6targetE1EEEvT1_.num_named_barrier, 0
	.set _ZN7rocprim17ROCPRIM_400000_NS6detail17trampoline_kernelINS0_14default_configENS1_25partition_config_selectorILNS1_17partition_subalgoE9EllbEEZZNS1_14partition_implILS5_9ELb0ES3_jPlS8_PNS0_10empty_typeENS0_5tupleIJS8_S9_EEENSB_IJS8_SA_EEENS0_18inequality_wrapperIZN2at6native12_GLOBAL__N_124unique_dim_cuda_templateIdEESt5tupleIJNSF_6TensorESK_SK_EERKSK_lbbbEUlllE0_EEPmJS9_EEE10hipError_tPvRmT3_T4_T5_T6_T7_T9_mT8_P12ihipStream_tbDpT10_ENKUlT_T0_E_clISt17integral_constantIbLb0EES19_IbLb1EEEEDaS15_S16_EUlS15_E_NS1_11comp_targetILNS1_3genE2ELNS1_11target_archE906ELNS1_3gpuE6ELNS1_3repE0EEENS1_30default_config_static_selectorELNS0_4arch9wavefront6targetE1EEEvT1_.private_seg_size, 0
	.set _ZN7rocprim17ROCPRIM_400000_NS6detail17trampoline_kernelINS0_14default_configENS1_25partition_config_selectorILNS1_17partition_subalgoE9EllbEEZZNS1_14partition_implILS5_9ELb0ES3_jPlS8_PNS0_10empty_typeENS0_5tupleIJS8_S9_EEENSB_IJS8_SA_EEENS0_18inequality_wrapperIZN2at6native12_GLOBAL__N_124unique_dim_cuda_templateIdEESt5tupleIJNSF_6TensorESK_SK_EERKSK_lbbbEUlllE0_EEPmJS9_EEE10hipError_tPvRmT3_T4_T5_T6_T7_T9_mT8_P12ihipStream_tbDpT10_ENKUlT_T0_E_clISt17integral_constantIbLb0EES19_IbLb1EEEEDaS15_S16_EUlS15_E_NS1_11comp_targetILNS1_3genE2ELNS1_11target_archE906ELNS1_3gpuE6ELNS1_3repE0EEENS1_30default_config_static_selectorELNS0_4arch9wavefront6targetE1EEEvT1_.uses_vcc, 0
	.set _ZN7rocprim17ROCPRIM_400000_NS6detail17trampoline_kernelINS0_14default_configENS1_25partition_config_selectorILNS1_17partition_subalgoE9EllbEEZZNS1_14partition_implILS5_9ELb0ES3_jPlS8_PNS0_10empty_typeENS0_5tupleIJS8_S9_EEENSB_IJS8_SA_EEENS0_18inequality_wrapperIZN2at6native12_GLOBAL__N_124unique_dim_cuda_templateIdEESt5tupleIJNSF_6TensorESK_SK_EERKSK_lbbbEUlllE0_EEPmJS9_EEE10hipError_tPvRmT3_T4_T5_T6_T7_T9_mT8_P12ihipStream_tbDpT10_ENKUlT_T0_E_clISt17integral_constantIbLb0EES19_IbLb1EEEEDaS15_S16_EUlS15_E_NS1_11comp_targetILNS1_3genE2ELNS1_11target_archE906ELNS1_3gpuE6ELNS1_3repE0EEENS1_30default_config_static_selectorELNS0_4arch9wavefront6targetE1EEEvT1_.uses_flat_scratch, 0
	.set _ZN7rocprim17ROCPRIM_400000_NS6detail17trampoline_kernelINS0_14default_configENS1_25partition_config_selectorILNS1_17partition_subalgoE9EllbEEZZNS1_14partition_implILS5_9ELb0ES3_jPlS8_PNS0_10empty_typeENS0_5tupleIJS8_S9_EEENSB_IJS8_SA_EEENS0_18inequality_wrapperIZN2at6native12_GLOBAL__N_124unique_dim_cuda_templateIdEESt5tupleIJNSF_6TensorESK_SK_EERKSK_lbbbEUlllE0_EEPmJS9_EEE10hipError_tPvRmT3_T4_T5_T6_T7_T9_mT8_P12ihipStream_tbDpT10_ENKUlT_T0_E_clISt17integral_constantIbLb0EES19_IbLb1EEEEDaS15_S16_EUlS15_E_NS1_11comp_targetILNS1_3genE2ELNS1_11target_archE906ELNS1_3gpuE6ELNS1_3repE0EEENS1_30default_config_static_selectorELNS0_4arch9wavefront6targetE1EEEvT1_.has_dyn_sized_stack, 0
	.set _ZN7rocprim17ROCPRIM_400000_NS6detail17trampoline_kernelINS0_14default_configENS1_25partition_config_selectorILNS1_17partition_subalgoE9EllbEEZZNS1_14partition_implILS5_9ELb0ES3_jPlS8_PNS0_10empty_typeENS0_5tupleIJS8_S9_EEENSB_IJS8_SA_EEENS0_18inequality_wrapperIZN2at6native12_GLOBAL__N_124unique_dim_cuda_templateIdEESt5tupleIJNSF_6TensorESK_SK_EERKSK_lbbbEUlllE0_EEPmJS9_EEE10hipError_tPvRmT3_T4_T5_T6_T7_T9_mT8_P12ihipStream_tbDpT10_ENKUlT_T0_E_clISt17integral_constantIbLb0EES19_IbLb1EEEEDaS15_S16_EUlS15_E_NS1_11comp_targetILNS1_3genE2ELNS1_11target_archE906ELNS1_3gpuE6ELNS1_3repE0EEENS1_30default_config_static_selectorELNS0_4arch9wavefront6targetE1EEEvT1_.has_recursion, 0
	.set _ZN7rocprim17ROCPRIM_400000_NS6detail17trampoline_kernelINS0_14default_configENS1_25partition_config_selectorILNS1_17partition_subalgoE9EllbEEZZNS1_14partition_implILS5_9ELb0ES3_jPlS8_PNS0_10empty_typeENS0_5tupleIJS8_S9_EEENSB_IJS8_SA_EEENS0_18inequality_wrapperIZN2at6native12_GLOBAL__N_124unique_dim_cuda_templateIdEESt5tupleIJNSF_6TensorESK_SK_EERKSK_lbbbEUlllE0_EEPmJS9_EEE10hipError_tPvRmT3_T4_T5_T6_T7_T9_mT8_P12ihipStream_tbDpT10_ENKUlT_T0_E_clISt17integral_constantIbLb0EES19_IbLb1EEEEDaS15_S16_EUlS15_E_NS1_11comp_targetILNS1_3genE2ELNS1_11target_archE906ELNS1_3gpuE6ELNS1_3repE0EEENS1_30default_config_static_selectorELNS0_4arch9wavefront6targetE1EEEvT1_.has_indirect_call, 0
	.section	.AMDGPU.csdata,"",@progbits
; Kernel info:
; codeLenInByte = 0
; TotalNumSgprs: 6
; NumVgprs: 0
; NumAgprs: 0
; TotalNumVgprs: 0
; ScratchSize: 0
; MemoryBound: 0
; FloatMode: 240
; IeeeMode: 1
; LDSByteSize: 0 bytes/workgroup (compile time only)
; SGPRBlocks: 0
; VGPRBlocks: 0
; NumSGPRsForWavesPerEU: 6
; NumVGPRsForWavesPerEU: 1
; AccumOffset: 4
; Occupancy: 8
; WaveLimiterHint : 0
; COMPUTE_PGM_RSRC2:SCRATCH_EN: 0
; COMPUTE_PGM_RSRC2:USER_SGPR: 2
; COMPUTE_PGM_RSRC2:TRAP_HANDLER: 0
; COMPUTE_PGM_RSRC2:TGID_X_EN: 1
; COMPUTE_PGM_RSRC2:TGID_Y_EN: 0
; COMPUTE_PGM_RSRC2:TGID_Z_EN: 0
; COMPUTE_PGM_RSRC2:TIDIG_COMP_CNT: 0
; COMPUTE_PGM_RSRC3_GFX90A:ACCUM_OFFSET: 0
; COMPUTE_PGM_RSRC3_GFX90A:TG_SPLIT: 0
	.section	.text._ZN7rocprim17ROCPRIM_400000_NS6detail17trampoline_kernelINS0_14default_configENS1_25partition_config_selectorILNS1_17partition_subalgoE9EllbEEZZNS1_14partition_implILS5_9ELb0ES3_jPlS8_PNS0_10empty_typeENS0_5tupleIJS8_S9_EEENSB_IJS8_SA_EEENS0_18inequality_wrapperIZN2at6native12_GLOBAL__N_124unique_dim_cuda_templateIdEESt5tupleIJNSF_6TensorESK_SK_EERKSK_lbbbEUlllE0_EEPmJS9_EEE10hipError_tPvRmT3_T4_T5_T6_T7_T9_mT8_P12ihipStream_tbDpT10_ENKUlT_T0_E_clISt17integral_constantIbLb0EES19_IbLb1EEEEDaS15_S16_EUlS15_E_NS1_11comp_targetILNS1_3genE10ELNS1_11target_archE1200ELNS1_3gpuE4ELNS1_3repE0EEENS1_30default_config_static_selectorELNS0_4arch9wavefront6targetE1EEEvT1_,"axG",@progbits,_ZN7rocprim17ROCPRIM_400000_NS6detail17trampoline_kernelINS0_14default_configENS1_25partition_config_selectorILNS1_17partition_subalgoE9EllbEEZZNS1_14partition_implILS5_9ELb0ES3_jPlS8_PNS0_10empty_typeENS0_5tupleIJS8_S9_EEENSB_IJS8_SA_EEENS0_18inequality_wrapperIZN2at6native12_GLOBAL__N_124unique_dim_cuda_templateIdEESt5tupleIJNSF_6TensorESK_SK_EERKSK_lbbbEUlllE0_EEPmJS9_EEE10hipError_tPvRmT3_T4_T5_T6_T7_T9_mT8_P12ihipStream_tbDpT10_ENKUlT_T0_E_clISt17integral_constantIbLb0EES19_IbLb1EEEEDaS15_S16_EUlS15_E_NS1_11comp_targetILNS1_3genE10ELNS1_11target_archE1200ELNS1_3gpuE4ELNS1_3repE0EEENS1_30default_config_static_selectorELNS0_4arch9wavefront6targetE1EEEvT1_,comdat
	.globl	_ZN7rocprim17ROCPRIM_400000_NS6detail17trampoline_kernelINS0_14default_configENS1_25partition_config_selectorILNS1_17partition_subalgoE9EllbEEZZNS1_14partition_implILS5_9ELb0ES3_jPlS8_PNS0_10empty_typeENS0_5tupleIJS8_S9_EEENSB_IJS8_SA_EEENS0_18inequality_wrapperIZN2at6native12_GLOBAL__N_124unique_dim_cuda_templateIdEESt5tupleIJNSF_6TensorESK_SK_EERKSK_lbbbEUlllE0_EEPmJS9_EEE10hipError_tPvRmT3_T4_T5_T6_T7_T9_mT8_P12ihipStream_tbDpT10_ENKUlT_T0_E_clISt17integral_constantIbLb0EES19_IbLb1EEEEDaS15_S16_EUlS15_E_NS1_11comp_targetILNS1_3genE10ELNS1_11target_archE1200ELNS1_3gpuE4ELNS1_3repE0EEENS1_30default_config_static_selectorELNS0_4arch9wavefront6targetE1EEEvT1_ ; -- Begin function _ZN7rocprim17ROCPRIM_400000_NS6detail17trampoline_kernelINS0_14default_configENS1_25partition_config_selectorILNS1_17partition_subalgoE9EllbEEZZNS1_14partition_implILS5_9ELb0ES3_jPlS8_PNS0_10empty_typeENS0_5tupleIJS8_S9_EEENSB_IJS8_SA_EEENS0_18inequality_wrapperIZN2at6native12_GLOBAL__N_124unique_dim_cuda_templateIdEESt5tupleIJNSF_6TensorESK_SK_EERKSK_lbbbEUlllE0_EEPmJS9_EEE10hipError_tPvRmT3_T4_T5_T6_T7_T9_mT8_P12ihipStream_tbDpT10_ENKUlT_T0_E_clISt17integral_constantIbLb0EES19_IbLb1EEEEDaS15_S16_EUlS15_E_NS1_11comp_targetILNS1_3genE10ELNS1_11target_archE1200ELNS1_3gpuE4ELNS1_3repE0EEENS1_30default_config_static_selectorELNS0_4arch9wavefront6targetE1EEEvT1_
	.p2align	8
	.type	_ZN7rocprim17ROCPRIM_400000_NS6detail17trampoline_kernelINS0_14default_configENS1_25partition_config_selectorILNS1_17partition_subalgoE9EllbEEZZNS1_14partition_implILS5_9ELb0ES3_jPlS8_PNS0_10empty_typeENS0_5tupleIJS8_S9_EEENSB_IJS8_SA_EEENS0_18inequality_wrapperIZN2at6native12_GLOBAL__N_124unique_dim_cuda_templateIdEESt5tupleIJNSF_6TensorESK_SK_EERKSK_lbbbEUlllE0_EEPmJS9_EEE10hipError_tPvRmT3_T4_T5_T6_T7_T9_mT8_P12ihipStream_tbDpT10_ENKUlT_T0_E_clISt17integral_constantIbLb0EES19_IbLb1EEEEDaS15_S16_EUlS15_E_NS1_11comp_targetILNS1_3genE10ELNS1_11target_archE1200ELNS1_3gpuE4ELNS1_3repE0EEENS1_30default_config_static_selectorELNS0_4arch9wavefront6targetE1EEEvT1_,@function
_ZN7rocprim17ROCPRIM_400000_NS6detail17trampoline_kernelINS0_14default_configENS1_25partition_config_selectorILNS1_17partition_subalgoE9EllbEEZZNS1_14partition_implILS5_9ELb0ES3_jPlS8_PNS0_10empty_typeENS0_5tupleIJS8_S9_EEENSB_IJS8_SA_EEENS0_18inequality_wrapperIZN2at6native12_GLOBAL__N_124unique_dim_cuda_templateIdEESt5tupleIJNSF_6TensorESK_SK_EERKSK_lbbbEUlllE0_EEPmJS9_EEE10hipError_tPvRmT3_T4_T5_T6_T7_T9_mT8_P12ihipStream_tbDpT10_ENKUlT_T0_E_clISt17integral_constantIbLb0EES19_IbLb1EEEEDaS15_S16_EUlS15_E_NS1_11comp_targetILNS1_3genE10ELNS1_11target_archE1200ELNS1_3gpuE4ELNS1_3repE0EEENS1_30default_config_static_selectorELNS0_4arch9wavefront6targetE1EEEvT1_: ; @_ZN7rocprim17ROCPRIM_400000_NS6detail17trampoline_kernelINS0_14default_configENS1_25partition_config_selectorILNS1_17partition_subalgoE9EllbEEZZNS1_14partition_implILS5_9ELb0ES3_jPlS8_PNS0_10empty_typeENS0_5tupleIJS8_S9_EEENSB_IJS8_SA_EEENS0_18inequality_wrapperIZN2at6native12_GLOBAL__N_124unique_dim_cuda_templateIdEESt5tupleIJNSF_6TensorESK_SK_EERKSK_lbbbEUlllE0_EEPmJS9_EEE10hipError_tPvRmT3_T4_T5_T6_T7_T9_mT8_P12ihipStream_tbDpT10_ENKUlT_T0_E_clISt17integral_constantIbLb0EES19_IbLb1EEEEDaS15_S16_EUlS15_E_NS1_11comp_targetILNS1_3genE10ELNS1_11target_archE1200ELNS1_3gpuE4ELNS1_3repE0EEENS1_30default_config_static_selectorELNS0_4arch9wavefront6targetE1EEEvT1_
; %bb.0:
	.section	.rodata,"a",@progbits
	.p2align	6, 0x0
	.amdhsa_kernel _ZN7rocprim17ROCPRIM_400000_NS6detail17trampoline_kernelINS0_14default_configENS1_25partition_config_selectorILNS1_17partition_subalgoE9EllbEEZZNS1_14partition_implILS5_9ELb0ES3_jPlS8_PNS0_10empty_typeENS0_5tupleIJS8_S9_EEENSB_IJS8_SA_EEENS0_18inequality_wrapperIZN2at6native12_GLOBAL__N_124unique_dim_cuda_templateIdEESt5tupleIJNSF_6TensorESK_SK_EERKSK_lbbbEUlllE0_EEPmJS9_EEE10hipError_tPvRmT3_T4_T5_T6_T7_T9_mT8_P12ihipStream_tbDpT10_ENKUlT_T0_E_clISt17integral_constantIbLb0EES19_IbLb1EEEEDaS15_S16_EUlS15_E_NS1_11comp_targetILNS1_3genE10ELNS1_11target_archE1200ELNS1_3gpuE4ELNS1_3repE0EEENS1_30default_config_static_selectorELNS0_4arch9wavefront6targetE1EEEvT1_
		.amdhsa_group_segment_fixed_size 0
		.amdhsa_private_segment_fixed_size 0
		.amdhsa_kernarg_size 136
		.amdhsa_user_sgpr_count 2
		.amdhsa_user_sgpr_dispatch_ptr 0
		.amdhsa_user_sgpr_queue_ptr 0
		.amdhsa_user_sgpr_kernarg_segment_ptr 1
		.amdhsa_user_sgpr_dispatch_id 0
		.amdhsa_user_sgpr_kernarg_preload_length 0
		.amdhsa_user_sgpr_kernarg_preload_offset 0
		.amdhsa_user_sgpr_private_segment_size 0
		.amdhsa_uses_dynamic_stack 0
		.amdhsa_enable_private_segment 0
		.amdhsa_system_sgpr_workgroup_id_x 1
		.amdhsa_system_sgpr_workgroup_id_y 0
		.amdhsa_system_sgpr_workgroup_id_z 0
		.amdhsa_system_sgpr_workgroup_info 0
		.amdhsa_system_vgpr_workitem_id 0
		.amdhsa_next_free_vgpr 1
		.amdhsa_next_free_sgpr 0
		.amdhsa_accum_offset 4
		.amdhsa_reserve_vcc 0
		.amdhsa_float_round_mode_32 0
		.amdhsa_float_round_mode_16_64 0
		.amdhsa_float_denorm_mode_32 3
		.amdhsa_float_denorm_mode_16_64 3
		.amdhsa_dx10_clamp 1
		.amdhsa_ieee_mode 1
		.amdhsa_fp16_overflow 0
		.amdhsa_tg_split 0
		.amdhsa_exception_fp_ieee_invalid_op 0
		.amdhsa_exception_fp_denorm_src 0
		.amdhsa_exception_fp_ieee_div_zero 0
		.amdhsa_exception_fp_ieee_overflow 0
		.amdhsa_exception_fp_ieee_underflow 0
		.amdhsa_exception_fp_ieee_inexact 0
		.amdhsa_exception_int_div_zero 0
	.end_amdhsa_kernel
	.section	.text._ZN7rocprim17ROCPRIM_400000_NS6detail17trampoline_kernelINS0_14default_configENS1_25partition_config_selectorILNS1_17partition_subalgoE9EllbEEZZNS1_14partition_implILS5_9ELb0ES3_jPlS8_PNS0_10empty_typeENS0_5tupleIJS8_S9_EEENSB_IJS8_SA_EEENS0_18inequality_wrapperIZN2at6native12_GLOBAL__N_124unique_dim_cuda_templateIdEESt5tupleIJNSF_6TensorESK_SK_EERKSK_lbbbEUlllE0_EEPmJS9_EEE10hipError_tPvRmT3_T4_T5_T6_T7_T9_mT8_P12ihipStream_tbDpT10_ENKUlT_T0_E_clISt17integral_constantIbLb0EES19_IbLb1EEEEDaS15_S16_EUlS15_E_NS1_11comp_targetILNS1_3genE10ELNS1_11target_archE1200ELNS1_3gpuE4ELNS1_3repE0EEENS1_30default_config_static_selectorELNS0_4arch9wavefront6targetE1EEEvT1_,"axG",@progbits,_ZN7rocprim17ROCPRIM_400000_NS6detail17trampoline_kernelINS0_14default_configENS1_25partition_config_selectorILNS1_17partition_subalgoE9EllbEEZZNS1_14partition_implILS5_9ELb0ES3_jPlS8_PNS0_10empty_typeENS0_5tupleIJS8_S9_EEENSB_IJS8_SA_EEENS0_18inequality_wrapperIZN2at6native12_GLOBAL__N_124unique_dim_cuda_templateIdEESt5tupleIJNSF_6TensorESK_SK_EERKSK_lbbbEUlllE0_EEPmJS9_EEE10hipError_tPvRmT3_T4_T5_T6_T7_T9_mT8_P12ihipStream_tbDpT10_ENKUlT_T0_E_clISt17integral_constantIbLb0EES19_IbLb1EEEEDaS15_S16_EUlS15_E_NS1_11comp_targetILNS1_3genE10ELNS1_11target_archE1200ELNS1_3gpuE4ELNS1_3repE0EEENS1_30default_config_static_selectorELNS0_4arch9wavefront6targetE1EEEvT1_,comdat
.Lfunc_end868:
	.size	_ZN7rocprim17ROCPRIM_400000_NS6detail17trampoline_kernelINS0_14default_configENS1_25partition_config_selectorILNS1_17partition_subalgoE9EllbEEZZNS1_14partition_implILS5_9ELb0ES3_jPlS8_PNS0_10empty_typeENS0_5tupleIJS8_S9_EEENSB_IJS8_SA_EEENS0_18inequality_wrapperIZN2at6native12_GLOBAL__N_124unique_dim_cuda_templateIdEESt5tupleIJNSF_6TensorESK_SK_EERKSK_lbbbEUlllE0_EEPmJS9_EEE10hipError_tPvRmT3_T4_T5_T6_T7_T9_mT8_P12ihipStream_tbDpT10_ENKUlT_T0_E_clISt17integral_constantIbLb0EES19_IbLb1EEEEDaS15_S16_EUlS15_E_NS1_11comp_targetILNS1_3genE10ELNS1_11target_archE1200ELNS1_3gpuE4ELNS1_3repE0EEENS1_30default_config_static_selectorELNS0_4arch9wavefront6targetE1EEEvT1_, .Lfunc_end868-_ZN7rocprim17ROCPRIM_400000_NS6detail17trampoline_kernelINS0_14default_configENS1_25partition_config_selectorILNS1_17partition_subalgoE9EllbEEZZNS1_14partition_implILS5_9ELb0ES3_jPlS8_PNS0_10empty_typeENS0_5tupleIJS8_S9_EEENSB_IJS8_SA_EEENS0_18inequality_wrapperIZN2at6native12_GLOBAL__N_124unique_dim_cuda_templateIdEESt5tupleIJNSF_6TensorESK_SK_EERKSK_lbbbEUlllE0_EEPmJS9_EEE10hipError_tPvRmT3_T4_T5_T6_T7_T9_mT8_P12ihipStream_tbDpT10_ENKUlT_T0_E_clISt17integral_constantIbLb0EES19_IbLb1EEEEDaS15_S16_EUlS15_E_NS1_11comp_targetILNS1_3genE10ELNS1_11target_archE1200ELNS1_3gpuE4ELNS1_3repE0EEENS1_30default_config_static_selectorELNS0_4arch9wavefront6targetE1EEEvT1_
                                        ; -- End function
	.set _ZN7rocprim17ROCPRIM_400000_NS6detail17trampoline_kernelINS0_14default_configENS1_25partition_config_selectorILNS1_17partition_subalgoE9EllbEEZZNS1_14partition_implILS5_9ELb0ES3_jPlS8_PNS0_10empty_typeENS0_5tupleIJS8_S9_EEENSB_IJS8_SA_EEENS0_18inequality_wrapperIZN2at6native12_GLOBAL__N_124unique_dim_cuda_templateIdEESt5tupleIJNSF_6TensorESK_SK_EERKSK_lbbbEUlllE0_EEPmJS9_EEE10hipError_tPvRmT3_T4_T5_T6_T7_T9_mT8_P12ihipStream_tbDpT10_ENKUlT_T0_E_clISt17integral_constantIbLb0EES19_IbLb1EEEEDaS15_S16_EUlS15_E_NS1_11comp_targetILNS1_3genE10ELNS1_11target_archE1200ELNS1_3gpuE4ELNS1_3repE0EEENS1_30default_config_static_selectorELNS0_4arch9wavefront6targetE1EEEvT1_.num_vgpr, 0
	.set _ZN7rocprim17ROCPRIM_400000_NS6detail17trampoline_kernelINS0_14default_configENS1_25partition_config_selectorILNS1_17partition_subalgoE9EllbEEZZNS1_14partition_implILS5_9ELb0ES3_jPlS8_PNS0_10empty_typeENS0_5tupleIJS8_S9_EEENSB_IJS8_SA_EEENS0_18inequality_wrapperIZN2at6native12_GLOBAL__N_124unique_dim_cuda_templateIdEESt5tupleIJNSF_6TensorESK_SK_EERKSK_lbbbEUlllE0_EEPmJS9_EEE10hipError_tPvRmT3_T4_T5_T6_T7_T9_mT8_P12ihipStream_tbDpT10_ENKUlT_T0_E_clISt17integral_constantIbLb0EES19_IbLb1EEEEDaS15_S16_EUlS15_E_NS1_11comp_targetILNS1_3genE10ELNS1_11target_archE1200ELNS1_3gpuE4ELNS1_3repE0EEENS1_30default_config_static_selectorELNS0_4arch9wavefront6targetE1EEEvT1_.num_agpr, 0
	.set _ZN7rocprim17ROCPRIM_400000_NS6detail17trampoline_kernelINS0_14default_configENS1_25partition_config_selectorILNS1_17partition_subalgoE9EllbEEZZNS1_14partition_implILS5_9ELb0ES3_jPlS8_PNS0_10empty_typeENS0_5tupleIJS8_S9_EEENSB_IJS8_SA_EEENS0_18inequality_wrapperIZN2at6native12_GLOBAL__N_124unique_dim_cuda_templateIdEESt5tupleIJNSF_6TensorESK_SK_EERKSK_lbbbEUlllE0_EEPmJS9_EEE10hipError_tPvRmT3_T4_T5_T6_T7_T9_mT8_P12ihipStream_tbDpT10_ENKUlT_T0_E_clISt17integral_constantIbLb0EES19_IbLb1EEEEDaS15_S16_EUlS15_E_NS1_11comp_targetILNS1_3genE10ELNS1_11target_archE1200ELNS1_3gpuE4ELNS1_3repE0EEENS1_30default_config_static_selectorELNS0_4arch9wavefront6targetE1EEEvT1_.numbered_sgpr, 0
	.set _ZN7rocprim17ROCPRIM_400000_NS6detail17trampoline_kernelINS0_14default_configENS1_25partition_config_selectorILNS1_17partition_subalgoE9EllbEEZZNS1_14partition_implILS5_9ELb0ES3_jPlS8_PNS0_10empty_typeENS0_5tupleIJS8_S9_EEENSB_IJS8_SA_EEENS0_18inequality_wrapperIZN2at6native12_GLOBAL__N_124unique_dim_cuda_templateIdEESt5tupleIJNSF_6TensorESK_SK_EERKSK_lbbbEUlllE0_EEPmJS9_EEE10hipError_tPvRmT3_T4_T5_T6_T7_T9_mT8_P12ihipStream_tbDpT10_ENKUlT_T0_E_clISt17integral_constantIbLb0EES19_IbLb1EEEEDaS15_S16_EUlS15_E_NS1_11comp_targetILNS1_3genE10ELNS1_11target_archE1200ELNS1_3gpuE4ELNS1_3repE0EEENS1_30default_config_static_selectorELNS0_4arch9wavefront6targetE1EEEvT1_.num_named_barrier, 0
	.set _ZN7rocprim17ROCPRIM_400000_NS6detail17trampoline_kernelINS0_14default_configENS1_25partition_config_selectorILNS1_17partition_subalgoE9EllbEEZZNS1_14partition_implILS5_9ELb0ES3_jPlS8_PNS0_10empty_typeENS0_5tupleIJS8_S9_EEENSB_IJS8_SA_EEENS0_18inequality_wrapperIZN2at6native12_GLOBAL__N_124unique_dim_cuda_templateIdEESt5tupleIJNSF_6TensorESK_SK_EERKSK_lbbbEUlllE0_EEPmJS9_EEE10hipError_tPvRmT3_T4_T5_T6_T7_T9_mT8_P12ihipStream_tbDpT10_ENKUlT_T0_E_clISt17integral_constantIbLb0EES19_IbLb1EEEEDaS15_S16_EUlS15_E_NS1_11comp_targetILNS1_3genE10ELNS1_11target_archE1200ELNS1_3gpuE4ELNS1_3repE0EEENS1_30default_config_static_selectorELNS0_4arch9wavefront6targetE1EEEvT1_.private_seg_size, 0
	.set _ZN7rocprim17ROCPRIM_400000_NS6detail17trampoline_kernelINS0_14default_configENS1_25partition_config_selectorILNS1_17partition_subalgoE9EllbEEZZNS1_14partition_implILS5_9ELb0ES3_jPlS8_PNS0_10empty_typeENS0_5tupleIJS8_S9_EEENSB_IJS8_SA_EEENS0_18inequality_wrapperIZN2at6native12_GLOBAL__N_124unique_dim_cuda_templateIdEESt5tupleIJNSF_6TensorESK_SK_EERKSK_lbbbEUlllE0_EEPmJS9_EEE10hipError_tPvRmT3_T4_T5_T6_T7_T9_mT8_P12ihipStream_tbDpT10_ENKUlT_T0_E_clISt17integral_constantIbLb0EES19_IbLb1EEEEDaS15_S16_EUlS15_E_NS1_11comp_targetILNS1_3genE10ELNS1_11target_archE1200ELNS1_3gpuE4ELNS1_3repE0EEENS1_30default_config_static_selectorELNS0_4arch9wavefront6targetE1EEEvT1_.uses_vcc, 0
	.set _ZN7rocprim17ROCPRIM_400000_NS6detail17trampoline_kernelINS0_14default_configENS1_25partition_config_selectorILNS1_17partition_subalgoE9EllbEEZZNS1_14partition_implILS5_9ELb0ES3_jPlS8_PNS0_10empty_typeENS0_5tupleIJS8_S9_EEENSB_IJS8_SA_EEENS0_18inequality_wrapperIZN2at6native12_GLOBAL__N_124unique_dim_cuda_templateIdEESt5tupleIJNSF_6TensorESK_SK_EERKSK_lbbbEUlllE0_EEPmJS9_EEE10hipError_tPvRmT3_T4_T5_T6_T7_T9_mT8_P12ihipStream_tbDpT10_ENKUlT_T0_E_clISt17integral_constantIbLb0EES19_IbLb1EEEEDaS15_S16_EUlS15_E_NS1_11comp_targetILNS1_3genE10ELNS1_11target_archE1200ELNS1_3gpuE4ELNS1_3repE0EEENS1_30default_config_static_selectorELNS0_4arch9wavefront6targetE1EEEvT1_.uses_flat_scratch, 0
	.set _ZN7rocprim17ROCPRIM_400000_NS6detail17trampoline_kernelINS0_14default_configENS1_25partition_config_selectorILNS1_17partition_subalgoE9EllbEEZZNS1_14partition_implILS5_9ELb0ES3_jPlS8_PNS0_10empty_typeENS0_5tupleIJS8_S9_EEENSB_IJS8_SA_EEENS0_18inequality_wrapperIZN2at6native12_GLOBAL__N_124unique_dim_cuda_templateIdEESt5tupleIJNSF_6TensorESK_SK_EERKSK_lbbbEUlllE0_EEPmJS9_EEE10hipError_tPvRmT3_T4_T5_T6_T7_T9_mT8_P12ihipStream_tbDpT10_ENKUlT_T0_E_clISt17integral_constantIbLb0EES19_IbLb1EEEEDaS15_S16_EUlS15_E_NS1_11comp_targetILNS1_3genE10ELNS1_11target_archE1200ELNS1_3gpuE4ELNS1_3repE0EEENS1_30default_config_static_selectorELNS0_4arch9wavefront6targetE1EEEvT1_.has_dyn_sized_stack, 0
	.set _ZN7rocprim17ROCPRIM_400000_NS6detail17trampoline_kernelINS0_14default_configENS1_25partition_config_selectorILNS1_17partition_subalgoE9EllbEEZZNS1_14partition_implILS5_9ELb0ES3_jPlS8_PNS0_10empty_typeENS0_5tupleIJS8_S9_EEENSB_IJS8_SA_EEENS0_18inequality_wrapperIZN2at6native12_GLOBAL__N_124unique_dim_cuda_templateIdEESt5tupleIJNSF_6TensorESK_SK_EERKSK_lbbbEUlllE0_EEPmJS9_EEE10hipError_tPvRmT3_T4_T5_T6_T7_T9_mT8_P12ihipStream_tbDpT10_ENKUlT_T0_E_clISt17integral_constantIbLb0EES19_IbLb1EEEEDaS15_S16_EUlS15_E_NS1_11comp_targetILNS1_3genE10ELNS1_11target_archE1200ELNS1_3gpuE4ELNS1_3repE0EEENS1_30default_config_static_selectorELNS0_4arch9wavefront6targetE1EEEvT1_.has_recursion, 0
	.set _ZN7rocprim17ROCPRIM_400000_NS6detail17trampoline_kernelINS0_14default_configENS1_25partition_config_selectorILNS1_17partition_subalgoE9EllbEEZZNS1_14partition_implILS5_9ELb0ES3_jPlS8_PNS0_10empty_typeENS0_5tupleIJS8_S9_EEENSB_IJS8_SA_EEENS0_18inequality_wrapperIZN2at6native12_GLOBAL__N_124unique_dim_cuda_templateIdEESt5tupleIJNSF_6TensorESK_SK_EERKSK_lbbbEUlllE0_EEPmJS9_EEE10hipError_tPvRmT3_T4_T5_T6_T7_T9_mT8_P12ihipStream_tbDpT10_ENKUlT_T0_E_clISt17integral_constantIbLb0EES19_IbLb1EEEEDaS15_S16_EUlS15_E_NS1_11comp_targetILNS1_3genE10ELNS1_11target_archE1200ELNS1_3gpuE4ELNS1_3repE0EEENS1_30default_config_static_selectorELNS0_4arch9wavefront6targetE1EEEvT1_.has_indirect_call, 0
	.section	.AMDGPU.csdata,"",@progbits
; Kernel info:
; codeLenInByte = 0
; TotalNumSgprs: 6
; NumVgprs: 0
; NumAgprs: 0
; TotalNumVgprs: 0
; ScratchSize: 0
; MemoryBound: 0
; FloatMode: 240
; IeeeMode: 1
; LDSByteSize: 0 bytes/workgroup (compile time only)
; SGPRBlocks: 0
; VGPRBlocks: 0
; NumSGPRsForWavesPerEU: 6
; NumVGPRsForWavesPerEU: 1
; AccumOffset: 4
; Occupancy: 8
; WaveLimiterHint : 0
; COMPUTE_PGM_RSRC2:SCRATCH_EN: 0
; COMPUTE_PGM_RSRC2:USER_SGPR: 2
; COMPUTE_PGM_RSRC2:TRAP_HANDLER: 0
; COMPUTE_PGM_RSRC2:TGID_X_EN: 1
; COMPUTE_PGM_RSRC2:TGID_Y_EN: 0
; COMPUTE_PGM_RSRC2:TGID_Z_EN: 0
; COMPUTE_PGM_RSRC2:TIDIG_COMP_CNT: 0
; COMPUTE_PGM_RSRC3_GFX90A:ACCUM_OFFSET: 0
; COMPUTE_PGM_RSRC3_GFX90A:TG_SPLIT: 0
	.section	.text._ZN7rocprim17ROCPRIM_400000_NS6detail17trampoline_kernelINS0_14default_configENS1_25partition_config_selectorILNS1_17partition_subalgoE9EllbEEZZNS1_14partition_implILS5_9ELb0ES3_jPlS8_PNS0_10empty_typeENS0_5tupleIJS8_S9_EEENSB_IJS8_SA_EEENS0_18inequality_wrapperIZN2at6native12_GLOBAL__N_124unique_dim_cuda_templateIdEESt5tupleIJNSF_6TensorESK_SK_EERKSK_lbbbEUlllE0_EEPmJS9_EEE10hipError_tPvRmT3_T4_T5_T6_T7_T9_mT8_P12ihipStream_tbDpT10_ENKUlT_T0_E_clISt17integral_constantIbLb0EES19_IbLb1EEEEDaS15_S16_EUlS15_E_NS1_11comp_targetILNS1_3genE9ELNS1_11target_archE1100ELNS1_3gpuE3ELNS1_3repE0EEENS1_30default_config_static_selectorELNS0_4arch9wavefront6targetE1EEEvT1_,"axG",@progbits,_ZN7rocprim17ROCPRIM_400000_NS6detail17trampoline_kernelINS0_14default_configENS1_25partition_config_selectorILNS1_17partition_subalgoE9EllbEEZZNS1_14partition_implILS5_9ELb0ES3_jPlS8_PNS0_10empty_typeENS0_5tupleIJS8_S9_EEENSB_IJS8_SA_EEENS0_18inequality_wrapperIZN2at6native12_GLOBAL__N_124unique_dim_cuda_templateIdEESt5tupleIJNSF_6TensorESK_SK_EERKSK_lbbbEUlllE0_EEPmJS9_EEE10hipError_tPvRmT3_T4_T5_T6_T7_T9_mT8_P12ihipStream_tbDpT10_ENKUlT_T0_E_clISt17integral_constantIbLb0EES19_IbLb1EEEEDaS15_S16_EUlS15_E_NS1_11comp_targetILNS1_3genE9ELNS1_11target_archE1100ELNS1_3gpuE3ELNS1_3repE0EEENS1_30default_config_static_selectorELNS0_4arch9wavefront6targetE1EEEvT1_,comdat
	.globl	_ZN7rocprim17ROCPRIM_400000_NS6detail17trampoline_kernelINS0_14default_configENS1_25partition_config_selectorILNS1_17partition_subalgoE9EllbEEZZNS1_14partition_implILS5_9ELb0ES3_jPlS8_PNS0_10empty_typeENS0_5tupleIJS8_S9_EEENSB_IJS8_SA_EEENS0_18inequality_wrapperIZN2at6native12_GLOBAL__N_124unique_dim_cuda_templateIdEESt5tupleIJNSF_6TensorESK_SK_EERKSK_lbbbEUlllE0_EEPmJS9_EEE10hipError_tPvRmT3_T4_T5_T6_T7_T9_mT8_P12ihipStream_tbDpT10_ENKUlT_T0_E_clISt17integral_constantIbLb0EES19_IbLb1EEEEDaS15_S16_EUlS15_E_NS1_11comp_targetILNS1_3genE9ELNS1_11target_archE1100ELNS1_3gpuE3ELNS1_3repE0EEENS1_30default_config_static_selectorELNS0_4arch9wavefront6targetE1EEEvT1_ ; -- Begin function _ZN7rocprim17ROCPRIM_400000_NS6detail17trampoline_kernelINS0_14default_configENS1_25partition_config_selectorILNS1_17partition_subalgoE9EllbEEZZNS1_14partition_implILS5_9ELb0ES3_jPlS8_PNS0_10empty_typeENS0_5tupleIJS8_S9_EEENSB_IJS8_SA_EEENS0_18inequality_wrapperIZN2at6native12_GLOBAL__N_124unique_dim_cuda_templateIdEESt5tupleIJNSF_6TensorESK_SK_EERKSK_lbbbEUlllE0_EEPmJS9_EEE10hipError_tPvRmT3_T4_T5_T6_T7_T9_mT8_P12ihipStream_tbDpT10_ENKUlT_T0_E_clISt17integral_constantIbLb0EES19_IbLb1EEEEDaS15_S16_EUlS15_E_NS1_11comp_targetILNS1_3genE9ELNS1_11target_archE1100ELNS1_3gpuE3ELNS1_3repE0EEENS1_30default_config_static_selectorELNS0_4arch9wavefront6targetE1EEEvT1_
	.p2align	8
	.type	_ZN7rocprim17ROCPRIM_400000_NS6detail17trampoline_kernelINS0_14default_configENS1_25partition_config_selectorILNS1_17partition_subalgoE9EllbEEZZNS1_14partition_implILS5_9ELb0ES3_jPlS8_PNS0_10empty_typeENS0_5tupleIJS8_S9_EEENSB_IJS8_SA_EEENS0_18inequality_wrapperIZN2at6native12_GLOBAL__N_124unique_dim_cuda_templateIdEESt5tupleIJNSF_6TensorESK_SK_EERKSK_lbbbEUlllE0_EEPmJS9_EEE10hipError_tPvRmT3_T4_T5_T6_T7_T9_mT8_P12ihipStream_tbDpT10_ENKUlT_T0_E_clISt17integral_constantIbLb0EES19_IbLb1EEEEDaS15_S16_EUlS15_E_NS1_11comp_targetILNS1_3genE9ELNS1_11target_archE1100ELNS1_3gpuE3ELNS1_3repE0EEENS1_30default_config_static_selectorELNS0_4arch9wavefront6targetE1EEEvT1_,@function
_ZN7rocprim17ROCPRIM_400000_NS6detail17trampoline_kernelINS0_14default_configENS1_25partition_config_selectorILNS1_17partition_subalgoE9EllbEEZZNS1_14partition_implILS5_9ELb0ES3_jPlS8_PNS0_10empty_typeENS0_5tupleIJS8_S9_EEENSB_IJS8_SA_EEENS0_18inequality_wrapperIZN2at6native12_GLOBAL__N_124unique_dim_cuda_templateIdEESt5tupleIJNSF_6TensorESK_SK_EERKSK_lbbbEUlllE0_EEPmJS9_EEE10hipError_tPvRmT3_T4_T5_T6_T7_T9_mT8_P12ihipStream_tbDpT10_ENKUlT_T0_E_clISt17integral_constantIbLb0EES19_IbLb1EEEEDaS15_S16_EUlS15_E_NS1_11comp_targetILNS1_3genE9ELNS1_11target_archE1100ELNS1_3gpuE3ELNS1_3repE0EEENS1_30default_config_static_selectorELNS0_4arch9wavefront6targetE1EEEvT1_: ; @_ZN7rocprim17ROCPRIM_400000_NS6detail17trampoline_kernelINS0_14default_configENS1_25partition_config_selectorILNS1_17partition_subalgoE9EllbEEZZNS1_14partition_implILS5_9ELb0ES3_jPlS8_PNS0_10empty_typeENS0_5tupleIJS8_S9_EEENSB_IJS8_SA_EEENS0_18inequality_wrapperIZN2at6native12_GLOBAL__N_124unique_dim_cuda_templateIdEESt5tupleIJNSF_6TensorESK_SK_EERKSK_lbbbEUlllE0_EEPmJS9_EEE10hipError_tPvRmT3_T4_T5_T6_T7_T9_mT8_P12ihipStream_tbDpT10_ENKUlT_T0_E_clISt17integral_constantIbLb0EES19_IbLb1EEEEDaS15_S16_EUlS15_E_NS1_11comp_targetILNS1_3genE9ELNS1_11target_archE1100ELNS1_3gpuE3ELNS1_3repE0EEENS1_30default_config_static_selectorELNS0_4arch9wavefront6targetE1EEEvT1_
; %bb.0:
	.section	.rodata,"a",@progbits
	.p2align	6, 0x0
	.amdhsa_kernel _ZN7rocprim17ROCPRIM_400000_NS6detail17trampoline_kernelINS0_14default_configENS1_25partition_config_selectorILNS1_17partition_subalgoE9EllbEEZZNS1_14partition_implILS5_9ELb0ES3_jPlS8_PNS0_10empty_typeENS0_5tupleIJS8_S9_EEENSB_IJS8_SA_EEENS0_18inequality_wrapperIZN2at6native12_GLOBAL__N_124unique_dim_cuda_templateIdEESt5tupleIJNSF_6TensorESK_SK_EERKSK_lbbbEUlllE0_EEPmJS9_EEE10hipError_tPvRmT3_T4_T5_T6_T7_T9_mT8_P12ihipStream_tbDpT10_ENKUlT_T0_E_clISt17integral_constantIbLb0EES19_IbLb1EEEEDaS15_S16_EUlS15_E_NS1_11comp_targetILNS1_3genE9ELNS1_11target_archE1100ELNS1_3gpuE3ELNS1_3repE0EEENS1_30default_config_static_selectorELNS0_4arch9wavefront6targetE1EEEvT1_
		.amdhsa_group_segment_fixed_size 0
		.amdhsa_private_segment_fixed_size 0
		.amdhsa_kernarg_size 136
		.amdhsa_user_sgpr_count 2
		.amdhsa_user_sgpr_dispatch_ptr 0
		.amdhsa_user_sgpr_queue_ptr 0
		.amdhsa_user_sgpr_kernarg_segment_ptr 1
		.amdhsa_user_sgpr_dispatch_id 0
		.amdhsa_user_sgpr_kernarg_preload_length 0
		.amdhsa_user_sgpr_kernarg_preload_offset 0
		.amdhsa_user_sgpr_private_segment_size 0
		.amdhsa_uses_dynamic_stack 0
		.amdhsa_enable_private_segment 0
		.amdhsa_system_sgpr_workgroup_id_x 1
		.amdhsa_system_sgpr_workgroup_id_y 0
		.amdhsa_system_sgpr_workgroup_id_z 0
		.amdhsa_system_sgpr_workgroup_info 0
		.amdhsa_system_vgpr_workitem_id 0
		.amdhsa_next_free_vgpr 1
		.amdhsa_next_free_sgpr 0
		.amdhsa_accum_offset 4
		.amdhsa_reserve_vcc 0
		.amdhsa_float_round_mode_32 0
		.amdhsa_float_round_mode_16_64 0
		.amdhsa_float_denorm_mode_32 3
		.amdhsa_float_denorm_mode_16_64 3
		.amdhsa_dx10_clamp 1
		.amdhsa_ieee_mode 1
		.amdhsa_fp16_overflow 0
		.amdhsa_tg_split 0
		.amdhsa_exception_fp_ieee_invalid_op 0
		.amdhsa_exception_fp_denorm_src 0
		.amdhsa_exception_fp_ieee_div_zero 0
		.amdhsa_exception_fp_ieee_overflow 0
		.amdhsa_exception_fp_ieee_underflow 0
		.amdhsa_exception_fp_ieee_inexact 0
		.amdhsa_exception_int_div_zero 0
	.end_amdhsa_kernel
	.section	.text._ZN7rocprim17ROCPRIM_400000_NS6detail17trampoline_kernelINS0_14default_configENS1_25partition_config_selectorILNS1_17partition_subalgoE9EllbEEZZNS1_14partition_implILS5_9ELb0ES3_jPlS8_PNS0_10empty_typeENS0_5tupleIJS8_S9_EEENSB_IJS8_SA_EEENS0_18inequality_wrapperIZN2at6native12_GLOBAL__N_124unique_dim_cuda_templateIdEESt5tupleIJNSF_6TensorESK_SK_EERKSK_lbbbEUlllE0_EEPmJS9_EEE10hipError_tPvRmT3_T4_T5_T6_T7_T9_mT8_P12ihipStream_tbDpT10_ENKUlT_T0_E_clISt17integral_constantIbLb0EES19_IbLb1EEEEDaS15_S16_EUlS15_E_NS1_11comp_targetILNS1_3genE9ELNS1_11target_archE1100ELNS1_3gpuE3ELNS1_3repE0EEENS1_30default_config_static_selectorELNS0_4arch9wavefront6targetE1EEEvT1_,"axG",@progbits,_ZN7rocprim17ROCPRIM_400000_NS6detail17trampoline_kernelINS0_14default_configENS1_25partition_config_selectorILNS1_17partition_subalgoE9EllbEEZZNS1_14partition_implILS5_9ELb0ES3_jPlS8_PNS0_10empty_typeENS0_5tupleIJS8_S9_EEENSB_IJS8_SA_EEENS0_18inequality_wrapperIZN2at6native12_GLOBAL__N_124unique_dim_cuda_templateIdEESt5tupleIJNSF_6TensorESK_SK_EERKSK_lbbbEUlllE0_EEPmJS9_EEE10hipError_tPvRmT3_T4_T5_T6_T7_T9_mT8_P12ihipStream_tbDpT10_ENKUlT_T0_E_clISt17integral_constantIbLb0EES19_IbLb1EEEEDaS15_S16_EUlS15_E_NS1_11comp_targetILNS1_3genE9ELNS1_11target_archE1100ELNS1_3gpuE3ELNS1_3repE0EEENS1_30default_config_static_selectorELNS0_4arch9wavefront6targetE1EEEvT1_,comdat
.Lfunc_end869:
	.size	_ZN7rocprim17ROCPRIM_400000_NS6detail17trampoline_kernelINS0_14default_configENS1_25partition_config_selectorILNS1_17partition_subalgoE9EllbEEZZNS1_14partition_implILS5_9ELb0ES3_jPlS8_PNS0_10empty_typeENS0_5tupleIJS8_S9_EEENSB_IJS8_SA_EEENS0_18inequality_wrapperIZN2at6native12_GLOBAL__N_124unique_dim_cuda_templateIdEESt5tupleIJNSF_6TensorESK_SK_EERKSK_lbbbEUlllE0_EEPmJS9_EEE10hipError_tPvRmT3_T4_T5_T6_T7_T9_mT8_P12ihipStream_tbDpT10_ENKUlT_T0_E_clISt17integral_constantIbLb0EES19_IbLb1EEEEDaS15_S16_EUlS15_E_NS1_11comp_targetILNS1_3genE9ELNS1_11target_archE1100ELNS1_3gpuE3ELNS1_3repE0EEENS1_30default_config_static_selectorELNS0_4arch9wavefront6targetE1EEEvT1_, .Lfunc_end869-_ZN7rocprim17ROCPRIM_400000_NS6detail17trampoline_kernelINS0_14default_configENS1_25partition_config_selectorILNS1_17partition_subalgoE9EllbEEZZNS1_14partition_implILS5_9ELb0ES3_jPlS8_PNS0_10empty_typeENS0_5tupleIJS8_S9_EEENSB_IJS8_SA_EEENS0_18inequality_wrapperIZN2at6native12_GLOBAL__N_124unique_dim_cuda_templateIdEESt5tupleIJNSF_6TensorESK_SK_EERKSK_lbbbEUlllE0_EEPmJS9_EEE10hipError_tPvRmT3_T4_T5_T6_T7_T9_mT8_P12ihipStream_tbDpT10_ENKUlT_T0_E_clISt17integral_constantIbLb0EES19_IbLb1EEEEDaS15_S16_EUlS15_E_NS1_11comp_targetILNS1_3genE9ELNS1_11target_archE1100ELNS1_3gpuE3ELNS1_3repE0EEENS1_30default_config_static_selectorELNS0_4arch9wavefront6targetE1EEEvT1_
                                        ; -- End function
	.set _ZN7rocprim17ROCPRIM_400000_NS6detail17trampoline_kernelINS0_14default_configENS1_25partition_config_selectorILNS1_17partition_subalgoE9EllbEEZZNS1_14partition_implILS5_9ELb0ES3_jPlS8_PNS0_10empty_typeENS0_5tupleIJS8_S9_EEENSB_IJS8_SA_EEENS0_18inequality_wrapperIZN2at6native12_GLOBAL__N_124unique_dim_cuda_templateIdEESt5tupleIJNSF_6TensorESK_SK_EERKSK_lbbbEUlllE0_EEPmJS9_EEE10hipError_tPvRmT3_T4_T5_T6_T7_T9_mT8_P12ihipStream_tbDpT10_ENKUlT_T0_E_clISt17integral_constantIbLb0EES19_IbLb1EEEEDaS15_S16_EUlS15_E_NS1_11comp_targetILNS1_3genE9ELNS1_11target_archE1100ELNS1_3gpuE3ELNS1_3repE0EEENS1_30default_config_static_selectorELNS0_4arch9wavefront6targetE1EEEvT1_.num_vgpr, 0
	.set _ZN7rocprim17ROCPRIM_400000_NS6detail17trampoline_kernelINS0_14default_configENS1_25partition_config_selectorILNS1_17partition_subalgoE9EllbEEZZNS1_14partition_implILS5_9ELb0ES3_jPlS8_PNS0_10empty_typeENS0_5tupleIJS8_S9_EEENSB_IJS8_SA_EEENS0_18inequality_wrapperIZN2at6native12_GLOBAL__N_124unique_dim_cuda_templateIdEESt5tupleIJNSF_6TensorESK_SK_EERKSK_lbbbEUlllE0_EEPmJS9_EEE10hipError_tPvRmT3_T4_T5_T6_T7_T9_mT8_P12ihipStream_tbDpT10_ENKUlT_T0_E_clISt17integral_constantIbLb0EES19_IbLb1EEEEDaS15_S16_EUlS15_E_NS1_11comp_targetILNS1_3genE9ELNS1_11target_archE1100ELNS1_3gpuE3ELNS1_3repE0EEENS1_30default_config_static_selectorELNS0_4arch9wavefront6targetE1EEEvT1_.num_agpr, 0
	.set _ZN7rocprim17ROCPRIM_400000_NS6detail17trampoline_kernelINS0_14default_configENS1_25partition_config_selectorILNS1_17partition_subalgoE9EllbEEZZNS1_14partition_implILS5_9ELb0ES3_jPlS8_PNS0_10empty_typeENS0_5tupleIJS8_S9_EEENSB_IJS8_SA_EEENS0_18inequality_wrapperIZN2at6native12_GLOBAL__N_124unique_dim_cuda_templateIdEESt5tupleIJNSF_6TensorESK_SK_EERKSK_lbbbEUlllE0_EEPmJS9_EEE10hipError_tPvRmT3_T4_T5_T6_T7_T9_mT8_P12ihipStream_tbDpT10_ENKUlT_T0_E_clISt17integral_constantIbLb0EES19_IbLb1EEEEDaS15_S16_EUlS15_E_NS1_11comp_targetILNS1_3genE9ELNS1_11target_archE1100ELNS1_3gpuE3ELNS1_3repE0EEENS1_30default_config_static_selectorELNS0_4arch9wavefront6targetE1EEEvT1_.numbered_sgpr, 0
	.set _ZN7rocprim17ROCPRIM_400000_NS6detail17trampoline_kernelINS0_14default_configENS1_25partition_config_selectorILNS1_17partition_subalgoE9EllbEEZZNS1_14partition_implILS5_9ELb0ES3_jPlS8_PNS0_10empty_typeENS0_5tupleIJS8_S9_EEENSB_IJS8_SA_EEENS0_18inequality_wrapperIZN2at6native12_GLOBAL__N_124unique_dim_cuda_templateIdEESt5tupleIJNSF_6TensorESK_SK_EERKSK_lbbbEUlllE0_EEPmJS9_EEE10hipError_tPvRmT3_T4_T5_T6_T7_T9_mT8_P12ihipStream_tbDpT10_ENKUlT_T0_E_clISt17integral_constantIbLb0EES19_IbLb1EEEEDaS15_S16_EUlS15_E_NS1_11comp_targetILNS1_3genE9ELNS1_11target_archE1100ELNS1_3gpuE3ELNS1_3repE0EEENS1_30default_config_static_selectorELNS0_4arch9wavefront6targetE1EEEvT1_.num_named_barrier, 0
	.set _ZN7rocprim17ROCPRIM_400000_NS6detail17trampoline_kernelINS0_14default_configENS1_25partition_config_selectorILNS1_17partition_subalgoE9EllbEEZZNS1_14partition_implILS5_9ELb0ES3_jPlS8_PNS0_10empty_typeENS0_5tupleIJS8_S9_EEENSB_IJS8_SA_EEENS0_18inequality_wrapperIZN2at6native12_GLOBAL__N_124unique_dim_cuda_templateIdEESt5tupleIJNSF_6TensorESK_SK_EERKSK_lbbbEUlllE0_EEPmJS9_EEE10hipError_tPvRmT3_T4_T5_T6_T7_T9_mT8_P12ihipStream_tbDpT10_ENKUlT_T0_E_clISt17integral_constantIbLb0EES19_IbLb1EEEEDaS15_S16_EUlS15_E_NS1_11comp_targetILNS1_3genE9ELNS1_11target_archE1100ELNS1_3gpuE3ELNS1_3repE0EEENS1_30default_config_static_selectorELNS0_4arch9wavefront6targetE1EEEvT1_.private_seg_size, 0
	.set _ZN7rocprim17ROCPRIM_400000_NS6detail17trampoline_kernelINS0_14default_configENS1_25partition_config_selectorILNS1_17partition_subalgoE9EllbEEZZNS1_14partition_implILS5_9ELb0ES3_jPlS8_PNS0_10empty_typeENS0_5tupleIJS8_S9_EEENSB_IJS8_SA_EEENS0_18inequality_wrapperIZN2at6native12_GLOBAL__N_124unique_dim_cuda_templateIdEESt5tupleIJNSF_6TensorESK_SK_EERKSK_lbbbEUlllE0_EEPmJS9_EEE10hipError_tPvRmT3_T4_T5_T6_T7_T9_mT8_P12ihipStream_tbDpT10_ENKUlT_T0_E_clISt17integral_constantIbLb0EES19_IbLb1EEEEDaS15_S16_EUlS15_E_NS1_11comp_targetILNS1_3genE9ELNS1_11target_archE1100ELNS1_3gpuE3ELNS1_3repE0EEENS1_30default_config_static_selectorELNS0_4arch9wavefront6targetE1EEEvT1_.uses_vcc, 0
	.set _ZN7rocprim17ROCPRIM_400000_NS6detail17trampoline_kernelINS0_14default_configENS1_25partition_config_selectorILNS1_17partition_subalgoE9EllbEEZZNS1_14partition_implILS5_9ELb0ES3_jPlS8_PNS0_10empty_typeENS0_5tupleIJS8_S9_EEENSB_IJS8_SA_EEENS0_18inequality_wrapperIZN2at6native12_GLOBAL__N_124unique_dim_cuda_templateIdEESt5tupleIJNSF_6TensorESK_SK_EERKSK_lbbbEUlllE0_EEPmJS9_EEE10hipError_tPvRmT3_T4_T5_T6_T7_T9_mT8_P12ihipStream_tbDpT10_ENKUlT_T0_E_clISt17integral_constantIbLb0EES19_IbLb1EEEEDaS15_S16_EUlS15_E_NS1_11comp_targetILNS1_3genE9ELNS1_11target_archE1100ELNS1_3gpuE3ELNS1_3repE0EEENS1_30default_config_static_selectorELNS0_4arch9wavefront6targetE1EEEvT1_.uses_flat_scratch, 0
	.set _ZN7rocprim17ROCPRIM_400000_NS6detail17trampoline_kernelINS0_14default_configENS1_25partition_config_selectorILNS1_17partition_subalgoE9EllbEEZZNS1_14partition_implILS5_9ELb0ES3_jPlS8_PNS0_10empty_typeENS0_5tupleIJS8_S9_EEENSB_IJS8_SA_EEENS0_18inequality_wrapperIZN2at6native12_GLOBAL__N_124unique_dim_cuda_templateIdEESt5tupleIJNSF_6TensorESK_SK_EERKSK_lbbbEUlllE0_EEPmJS9_EEE10hipError_tPvRmT3_T4_T5_T6_T7_T9_mT8_P12ihipStream_tbDpT10_ENKUlT_T0_E_clISt17integral_constantIbLb0EES19_IbLb1EEEEDaS15_S16_EUlS15_E_NS1_11comp_targetILNS1_3genE9ELNS1_11target_archE1100ELNS1_3gpuE3ELNS1_3repE0EEENS1_30default_config_static_selectorELNS0_4arch9wavefront6targetE1EEEvT1_.has_dyn_sized_stack, 0
	.set _ZN7rocprim17ROCPRIM_400000_NS6detail17trampoline_kernelINS0_14default_configENS1_25partition_config_selectorILNS1_17partition_subalgoE9EllbEEZZNS1_14partition_implILS5_9ELb0ES3_jPlS8_PNS0_10empty_typeENS0_5tupleIJS8_S9_EEENSB_IJS8_SA_EEENS0_18inequality_wrapperIZN2at6native12_GLOBAL__N_124unique_dim_cuda_templateIdEESt5tupleIJNSF_6TensorESK_SK_EERKSK_lbbbEUlllE0_EEPmJS9_EEE10hipError_tPvRmT3_T4_T5_T6_T7_T9_mT8_P12ihipStream_tbDpT10_ENKUlT_T0_E_clISt17integral_constantIbLb0EES19_IbLb1EEEEDaS15_S16_EUlS15_E_NS1_11comp_targetILNS1_3genE9ELNS1_11target_archE1100ELNS1_3gpuE3ELNS1_3repE0EEENS1_30default_config_static_selectorELNS0_4arch9wavefront6targetE1EEEvT1_.has_recursion, 0
	.set _ZN7rocprim17ROCPRIM_400000_NS6detail17trampoline_kernelINS0_14default_configENS1_25partition_config_selectorILNS1_17partition_subalgoE9EllbEEZZNS1_14partition_implILS5_9ELb0ES3_jPlS8_PNS0_10empty_typeENS0_5tupleIJS8_S9_EEENSB_IJS8_SA_EEENS0_18inequality_wrapperIZN2at6native12_GLOBAL__N_124unique_dim_cuda_templateIdEESt5tupleIJNSF_6TensorESK_SK_EERKSK_lbbbEUlllE0_EEPmJS9_EEE10hipError_tPvRmT3_T4_T5_T6_T7_T9_mT8_P12ihipStream_tbDpT10_ENKUlT_T0_E_clISt17integral_constantIbLb0EES19_IbLb1EEEEDaS15_S16_EUlS15_E_NS1_11comp_targetILNS1_3genE9ELNS1_11target_archE1100ELNS1_3gpuE3ELNS1_3repE0EEENS1_30default_config_static_selectorELNS0_4arch9wavefront6targetE1EEEvT1_.has_indirect_call, 0
	.section	.AMDGPU.csdata,"",@progbits
; Kernel info:
; codeLenInByte = 0
; TotalNumSgprs: 6
; NumVgprs: 0
; NumAgprs: 0
; TotalNumVgprs: 0
; ScratchSize: 0
; MemoryBound: 0
; FloatMode: 240
; IeeeMode: 1
; LDSByteSize: 0 bytes/workgroup (compile time only)
; SGPRBlocks: 0
; VGPRBlocks: 0
; NumSGPRsForWavesPerEU: 6
; NumVGPRsForWavesPerEU: 1
; AccumOffset: 4
; Occupancy: 8
; WaveLimiterHint : 0
; COMPUTE_PGM_RSRC2:SCRATCH_EN: 0
; COMPUTE_PGM_RSRC2:USER_SGPR: 2
; COMPUTE_PGM_RSRC2:TRAP_HANDLER: 0
; COMPUTE_PGM_RSRC2:TGID_X_EN: 1
; COMPUTE_PGM_RSRC2:TGID_Y_EN: 0
; COMPUTE_PGM_RSRC2:TGID_Z_EN: 0
; COMPUTE_PGM_RSRC2:TIDIG_COMP_CNT: 0
; COMPUTE_PGM_RSRC3_GFX90A:ACCUM_OFFSET: 0
; COMPUTE_PGM_RSRC3_GFX90A:TG_SPLIT: 0
	.section	.text._ZN7rocprim17ROCPRIM_400000_NS6detail17trampoline_kernelINS0_14default_configENS1_25partition_config_selectorILNS1_17partition_subalgoE9EllbEEZZNS1_14partition_implILS5_9ELb0ES3_jPlS8_PNS0_10empty_typeENS0_5tupleIJS8_S9_EEENSB_IJS8_SA_EEENS0_18inequality_wrapperIZN2at6native12_GLOBAL__N_124unique_dim_cuda_templateIdEESt5tupleIJNSF_6TensorESK_SK_EERKSK_lbbbEUlllE0_EEPmJS9_EEE10hipError_tPvRmT3_T4_T5_T6_T7_T9_mT8_P12ihipStream_tbDpT10_ENKUlT_T0_E_clISt17integral_constantIbLb0EES19_IbLb1EEEEDaS15_S16_EUlS15_E_NS1_11comp_targetILNS1_3genE8ELNS1_11target_archE1030ELNS1_3gpuE2ELNS1_3repE0EEENS1_30default_config_static_selectorELNS0_4arch9wavefront6targetE1EEEvT1_,"axG",@progbits,_ZN7rocprim17ROCPRIM_400000_NS6detail17trampoline_kernelINS0_14default_configENS1_25partition_config_selectorILNS1_17partition_subalgoE9EllbEEZZNS1_14partition_implILS5_9ELb0ES3_jPlS8_PNS0_10empty_typeENS0_5tupleIJS8_S9_EEENSB_IJS8_SA_EEENS0_18inequality_wrapperIZN2at6native12_GLOBAL__N_124unique_dim_cuda_templateIdEESt5tupleIJNSF_6TensorESK_SK_EERKSK_lbbbEUlllE0_EEPmJS9_EEE10hipError_tPvRmT3_T4_T5_T6_T7_T9_mT8_P12ihipStream_tbDpT10_ENKUlT_T0_E_clISt17integral_constantIbLb0EES19_IbLb1EEEEDaS15_S16_EUlS15_E_NS1_11comp_targetILNS1_3genE8ELNS1_11target_archE1030ELNS1_3gpuE2ELNS1_3repE0EEENS1_30default_config_static_selectorELNS0_4arch9wavefront6targetE1EEEvT1_,comdat
	.globl	_ZN7rocprim17ROCPRIM_400000_NS6detail17trampoline_kernelINS0_14default_configENS1_25partition_config_selectorILNS1_17partition_subalgoE9EllbEEZZNS1_14partition_implILS5_9ELb0ES3_jPlS8_PNS0_10empty_typeENS0_5tupleIJS8_S9_EEENSB_IJS8_SA_EEENS0_18inequality_wrapperIZN2at6native12_GLOBAL__N_124unique_dim_cuda_templateIdEESt5tupleIJNSF_6TensorESK_SK_EERKSK_lbbbEUlllE0_EEPmJS9_EEE10hipError_tPvRmT3_T4_T5_T6_T7_T9_mT8_P12ihipStream_tbDpT10_ENKUlT_T0_E_clISt17integral_constantIbLb0EES19_IbLb1EEEEDaS15_S16_EUlS15_E_NS1_11comp_targetILNS1_3genE8ELNS1_11target_archE1030ELNS1_3gpuE2ELNS1_3repE0EEENS1_30default_config_static_selectorELNS0_4arch9wavefront6targetE1EEEvT1_ ; -- Begin function _ZN7rocprim17ROCPRIM_400000_NS6detail17trampoline_kernelINS0_14default_configENS1_25partition_config_selectorILNS1_17partition_subalgoE9EllbEEZZNS1_14partition_implILS5_9ELb0ES3_jPlS8_PNS0_10empty_typeENS0_5tupleIJS8_S9_EEENSB_IJS8_SA_EEENS0_18inequality_wrapperIZN2at6native12_GLOBAL__N_124unique_dim_cuda_templateIdEESt5tupleIJNSF_6TensorESK_SK_EERKSK_lbbbEUlllE0_EEPmJS9_EEE10hipError_tPvRmT3_T4_T5_T6_T7_T9_mT8_P12ihipStream_tbDpT10_ENKUlT_T0_E_clISt17integral_constantIbLb0EES19_IbLb1EEEEDaS15_S16_EUlS15_E_NS1_11comp_targetILNS1_3genE8ELNS1_11target_archE1030ELNS1_3gpuE2ELNS1_3repE0EEENS1_30default_config_static_selectorELNS0_4arch9wavefront6targetE1EEEvT1_
	.p2align	8
	.type	_ZN7rocprim17ROCPRIM_400000_NS6detail17trampoline_kernelINS0_14default_configENS1_25partition_config_selectorILNS1_17partition_subalgoE9EllbEEZZNS1_14partition_implILS5_9ELb0ES3_jPlS8_PNS0_10empty_typeENS0_5tupleIJS8_S9_EEENSB_IJS8_SA_EEENS0_18inequality_wrapperIZN2at6native12_GLOBAL__N_124unique_dim_cuda_templateIdEESt5tupleIJNSF_6TensorESK_SK_EERKSK_lbbbEUlllE0_EEPmJS9_EEE10hipError_tPvRmT3_T4_T5_T6_T7_T9_mT8_P12ihipStream_tbDpT10_ENKUlT_T0_E_clISt17integral_constantIbLb0EES19_IbLb1EEEEDaS15_S16_EUlS15_E_NS1_11comp_targetILNS1_3genE8ELNS1_11target_archE1030ELNS1_3gpuE2ELNS1_3repE0EEENS1_30default_config_static_selectorELNS0_4arch9wavefront6targetE1EEEvT1_,@function
_ZN7rocprim17ROCPRIM_400000_NS6detail17trampoline_kernelINS0_14default_configENS1_25partition_config_selectorILNS1_17partition_subalgoE9EllbEEZZNS1_14partition_implILS5_9ELb0ES3_jPlS8_PNS0_10empty_typeENS0_5tupleIJS8_S9_EEENSB_IJS8_SA_EEENS0_18inequality_wrapperIZN2at6native12_GLOBAL__N_124unique_dim_cuda_templateIdEESt5tupleIJNSF_6TensorESK_SK_EERKSK_lbbbEUlllE0_EEPmJS9_EEE10hipError_tPvRmT3_T4_T5_T6_T7_T9_mT8_P12ihipStream_tbDpT10_ENKUlT_T0_E_clISt17integral_constantIbLb0EES19_IbLb1EEEEDaS15_S16_EUlS15_E_NS1_11comp_targetILNS1_3genE8ELNS1_11target_archE1030ELNS1_3gpuE2ELNS1_3repE0EEENS1_30default_config_static_selectorELNS0_4arch9wavefront6targetE1EEEvT1_: ; @_ZN7rocprim17ROCPRIM_400000_NS6detail17trampoline_kernelINS0_14default_configENS1_25partition_config_selectorILNS1_17partition_subalgoE9EllbEEZZNS1_14partition_implILS5_9ELb0ES3_jPlS8_PNS0_10empty_typeENS0_5tupleIJS8_S9_EEENSB_IJS8_SA_EEENS0_18inequality_wrapperIZN2at6native12_GLOBAL__N_124unique_dim_cuda_templateIdEESt5tupleIJNSF_6TensorESK_SK_EERKSK_lbbbEUlllE0_EEPmJS9_EEE10hipError_tPvRmT3_T4_T5_T6_T7_T9_mT8_P12ihipStream_tbDpT10_ENKUlT_T0_E_clISt17integral_constantIbLb0EES19_IbLb1EEEEDaS15_S16_EUlS15_E_NS1_11comp_targetILNS1_3genE8ELNS1_11target_archE1030ELNS1_3gpuE2ELNS1_3repE0EEENS1_30default_config_static_selectorELNS0_4arch9wavefront6targetE1EEEvT1_
; %bb.0:
	.section	.rodata,"a",@progbits
	.p2align	6, 0x0
	.amdhsa_kernel _ZN7rocprim17ROCPRIM_400000_NS6detail17trampoline_kernelINS0_14default_configENS1_25partition_config_selectorILNS1_17partition_subalgoE9EllbEEZZNS1_14partition_implILS5_9ELb0ES3_jPlS8_PNS0_10empty_typeENS0_5tupleIJS8_S9_EEENSB_IJS8_SA_EEENS0_18inequality_wrapperIZN2at6native12_GLOBAL__N_124unique_dim_cuda_templateIdEESt5tupleIJNSF_6TensorESK_SK_EERKSK_lbbbEUlllE0_EEPmJS9_EEE10hipError_tPvRmT3_T4_T5_T6_T7_T9_mT8_P12ihipStream_tbDpT10_ENKUlT_T0_E_clISt17integral_constantIbLb0EES19_IbLb1EEEEDaS15_S16_EUlS15_E_NS1_11comp_targetILNS1_3genE8ELNS1_11target_archE1030ELNS1_3gpuE2ELNS1_3repE0EEENS1_30default_config_static_selectorELNS0_4arch9wavefront6targetE1EEEvT1_
		.amdhsa_group_segment_fixed_size 0
		.amdhsa_private_segment_fixed_size 0
		.amdhsa_kernarg_size 136
		.amdhsa_user_sgpr_count 2
		.amdhsa_user_sgpr_dispatch_ptr 0
		.amdhsa_user_sgpr_queue_ptr 0
		.amdhsa_user_sgpr_kernarg_segment_ptr 1
		.amdhsa_user_sgpr_dispatch_id 0
		.amdhsa_user_sgpr_kernarg_preload_length 0
		.amdhsa_user_sgpr_kernarg_preload_offset 0
		.amdhsa_user_sgpr_private_segment_size 0
		.amdhsa_uses_dynamic_stack 0
		.amdhsa_enable_private_segment 0
		.amdhsa_system_sgpr_workgroup_id_x 1
		.amdhsa_system_sgpr_workgroup_id_y 0
		.amdhsa_system_sgpr_workgroup_id_z 0
		.amdhsa_system_sgpr_workgroup_info 0
		.amdhsa_system_vgpr_workitem_id 0
		.amdhsa_next_free_vgpr 1
		.amdhsa_next_free_sgpr 0
		.amdhsa_accum_offset 4
		.amdhsa_reserve_vcc 0
		.amdhsa_float_round_mode_32 0
		.amdhsa_float_round_mode_16_64 0
		.amdhsa_float_denorm_mode_32 3
		.amdhsa_float_denorm_mode_16_64 3
		.amdhsa_dx10_clamp 1
		.amdhsa_ieee_mode 1
		.amdhsa_fp16_overflow 0
		.amdhsa_tg_split 0
		.amdhsa_exception_fp_ieee_invalid_op 0
		.amdhsa_exception_fp_denorm_src 0
		.amdhsa_exception_fp_ieee_div_zero 0
		.amdhsa_exception_fp_ieee_overflow 0
		.amdhsa_exception_fp_ieee_underflow 0
		.amdhsa_exception_fp_ieee_inexact 0
		.amdhsa_exception_int_div_zero 0
	.end_amdhsa_kernel
	.section	.text._ZN7rocprim17ROCPRIM_400000_NS6detail17trampoline_kernelINS0_14default_configENS1_25partition_config_selectorILNS1_17partition_subalgoE9EllbEEZZNS1_14partition_implILS5_9ELb0ES3_jPlS8_PNS0_10empty_typeENS0_5tupleIJS8_S9_EEENSB_IJS8_SA_EEENS0_18inequality_wrapperIZN2at6native12_GLOBAL__N_124unique_dim_cuda_templateIdEESt5tupleIJNSF_6TensorESK_SK_EERKSK_lbbbEUlllE0_EEPmJS9_EEE10hipError_tPvRmT3_T4_T5_T6_T7_T9_mT8_P12ihipStream_tbDpT10_ENKUlT_T0_E_clISt17integral_constantIbLb0EES19_IbLb1EEEEDaS15_S16_EUlS15_E_NS1_11comp_targetILNS1_3genE8ELNS1_11target_archE1030ELNS1_3gpuE2ELNS1_3repE0EEENS1_30default_config_static_selectorELNS0_4arch9wavefront6targetE1EEEvT1_,"axG",@progbits,_ZN7rocprim17ROCPRIM_400000_NS6detail17trampoline_kernelINS0_14default_configENS1_25partition_config_selectorILNS1_17partition_subalgoE9EllbEEZZNS1_14partition_implILS5_9ELb0ES3_jPlS8_PNS0_10empty_typeENS0_5tupleIJS8_S9_EEENSB_IJS8_SA_EEENS0_18inequality_wrapperIZN2at6native12_GLOBAL__N_124unique_dim_cuda_templateIdEESt5tupleIJNSF_6TensorESK_SK_EERKSK_lbbbEUlllE0_EEPmJS9_EEE10hipError_tPvRmT3_T4_T5_T6_T7_T9_mT8_P12ihipStream_tbDpT10_ENKUlT_T0_E_clISt17integral_constantIbLb0EES19_IbLb1EEEEDaS15_S16_EUlS15_E_NS1_11comp_targetILNS1_3genE8ELNS1_11target_archE1030ELNS1_3gpuE2ELNS1_3repE0EEENS1_30default_config_static_selectorELNS0_4arch9wavefront6targetE1EEEvT1_,comdat
.Lfunc_end870:
	.size	_ZN7rocprim17ROCPRIM_400000_NS6detail17trampoline_kernelINS0_14default_configENS1_25partition_config_selectorILNS1_17partition_subalgoE9EllbEEZZNS1_14partition_implILS5_9ELb0ES3_jPlS8_PNS0_10empty_typeENS0_5tupleIJS8_S9_EEENSB_IJS8_SA_EEENS0_18inequality_wrapperIZN2at6native12_GLOBAL__N_124unique_dim_cuda_templateIdEESt5tupleIJNSF_6TensorESK_SK_EERKSK_lbbbEUlllE0_EEPmJS9_EEE10hipError_tPvRmT3_T4_T5_T6_T7_T9_mT8_P12ihipStream_tbDpT10_ENKUlT_T0_E_clISt17integral_constantIbLb0EES19_IbLb1EEEEDaS15_S16_EUlS15_E_NS1_11comp_targetILNS1_3genE8ELNS1_11target_archE1030ELNS1_3gpuE2ELNS1_3repE0EEENS1_30default_config_static_selectorELNS0_4arch9wavefront6targetE1EEEvT1_, .Lfunc_end870-_ZN7rocprim17ROCPRIM_400000_NS6detail17trampoline_kernelINS0_14default_configENS1_25partition_config_selectorILNS1_17partition_subalgoE9EllbEEZZNS1_14partition_implILS5_9ELb0ES3_jPlS8_PNS0_10empty_typeENS0_5tupleIJS8_S9_EEENSB_IJS8_SA_EEENS0_18inequality_wrapperIZN2at6native12_GLOBAL__N_124unique_dim_cuda_templateIdEESt5tupleIJNSF_6TensorESK_SK_EERKSK_lbbbEUlllE0_EEPmJS9_EEE10hipError_tPvRmT3_T4_T5_T6_T7_T9_mT8_P12ihipStream_tbDpT10_ENKUlT_T0_E_clISt17integral_constantIbLb0EES19_IbLb1EEEEDaS15_S16_EUlS15_E_NS1_11comp_targetILNS1_3genE8ELNS1_11target_archE1030ELNS1_3gpuE2ELNS1_3repE0EEENS1_30default_config_static_selectorELNS0_4arch9wavefront6targetE1EEEvT1_
                                        ; -- End function
	.set _ZN7rocprim17ROCPRIM_400000_NS6detail17trampoline_kernelINS0_14default_configENS1_25partition_config_selectorILNS1_17partition_subalgoE9EllbEEZZNS1_14partition_implILS5_9ELb0ES3_jPlS8_PNS0_10empty_typeENS0_5tupleIJS8_S9_EEENSB_IJS8_SA_EEENS0_18inequality_wrapperIZN2at6native12_GLOBAL__N_124unique_dim_cuda_templateIdEESt5tupleIJNSF_6TensorESK_SK_EERKSK_lbbbEUlllE0_EEPmJS9_EEE10hipError_tPvRmT3_T4_T5_T6_T7_T9_mT8_P12ihipStream_tbDpT10_ENKUlT_T0_E_clISt17integral_constantIbLb0EES19_IbLb1EEEEDaS15_S16_EUlS15_E_NS1_11comp_targetILNS1_3genE8ELNS1_11target_archE1030ELNS1_3gpuE2ELNS1_3repE0EEENS1_30default_config_static_selectorELNS0_4arch9wavefront6targetE1EEEvT1_.num_vgpr, 0
	.set _ZN7rocprim17ROCPRIM_400000_NS6detail17trampoline_kernelINS0_14default_configENS1_25partition_config_selectorILNS1_17partition_subalgoE9EllbEEZZNS1_14partition_implILS5_9ELb0ES3_jPlS8_PNS0_10empty_typeENS0_5tupleIJS8_S9_EEENSB_IJS8_SA_EEENS0_18inequality_wrapperIZN2at6native12_GLOBAL__N_124unique_dim_cuda_templateIdEESt5tupleIJNSF_6TensorESK_SK_EERKSK_lbbbEUlllE0_EEPmJS9_EEE10hipError_tPvRmT3_T4_T5_T6_T7_T9_mT8_P12ihipStream_tbDpT10_ENKUlT_T0_E_clISt17integral_constantIbLb0EES19_IbLb1EEEEDaS15_S16_EUlS15_E_NS1_11comp_targetILNS1_3genE8ELNS1_11target_archE1030ELNS1_3gpuE2ELNS1_3repE0EEENS1_30default_config_static_selectorELNS0_4arch9wavefront6targetE1EEEvT1_.num_agpr, 0
	.set _ZN7rocprim17ROCPRIM_400000_NS6detail17trampoline_kernelINS0_14default_configENS1_25partition_config_selectorILNS1_17partition_subalgoE9EllbEEZZNS1_14partition_implILS5_9ELb0ES3_jPlS8_PNS0_10empty_typeENS0_5tupleIJS8_S9_EEENSB_IJS8_SA_EEENS0_18inequality_wrapperIZN2at6native12_GLOBAL__N_124unique_dim_cuda_templateIdEESt5tupleIJNSF_6TensorESK_SK_EERKSK_lbbbEUlllE0_EEPmJS9_EEE10hipError_tPvRmT3_T4_T5_T6_T7_T9_mT8_P12ihipStream_tbDpT10_ENKUlT_T0_E_clISt17integral_constantIbLb0EES19_IbLb1EEEEDaS15_S16_EUlS15_E_NS1_11comp_targetILNS1_3genE8ELNS1_11target_archE1030ELNS1_3gpuE2ELNS1_3repE0EEENS1_30default_config_static_selectorELNS0_4arch9wavefront6targetE1EEEvT1_.numbered_sgpr, 0
	.set _ZN7rocprim17ROCPRIM_400000_NS6detail17trampoline_kernelINS0_14default_configENS1_25partition_config_selectorILNS1_17partition_subalgoE9EllbEEZZNS1_14partition_implILS5_9ELb0ES3_jPlS8_PNS0_10empty_typeENS0_5tupleIJS8_S9_EEENSB_IJS8_SA_EEENS0_18inequality_wrapperIZN2at6native12_GLOBAL__N_124unique_dim_cuda_templateIdEESt5tupleIJNSF_6TensorESK_SK_EERKSK_lbbbEUlllE0_EEPmJS9_EEE10hipError_tPvRmT3_T4_T5_T6_T7_T9_mT8_P12ihipStream_tbDpT10_ENKUlT_T0_E_clISt17integral_constantIbLb0EES19_IbLb1EEEEDaS15_S16_EUlS15_E_NS1_11comp_targetILNS1_3genE8ELNS1_11target_archE1030ELNS1_3gpuE2ELNS1_3repE0EEENS1_30default_config_static_selectorELNS0_4arch9wavefront6targetE1EEEvT1_.num_named_barrier, 0
	.set _ZN7rocprim17ROCPRIM_400000_NS6detail17trampoline_kernelINS0_14default_configENS1_25partition_config_selectorILNS1_17partition_subalgoE9EllbEEZZNS1_14partition_implILS5_9ELb0ES3_jPlS8_PNS0_10empty_typeENS0_5tupleIJS8_S9_EEENSB_IJS8_SA_EEENS0_18inequality_wrapperIZN2at6native12_GLOBAL__N_124unique_dim_cuda_templateIdEESt5tupleIJNSF_6TensorESK_SK_EERKSK_lbbbEUlllE0_EEPmJS9_EEE10hipError_tPvRmT3_T4_T5_T6_T7_T9_mT8_P12ihipStream_tbDpT10_ENKUlT_T0_E_clISt17integral_constantIbLb0EES19_IbLb1EEEEDaS15_S16_EUlS15_E_NS1_11comp_targetILNS1_3genE8ELNS1_11target_archE1030ELNS1_3gpuE2ELNS1_3repE0EEENS1_30default_config_static_selectorELNS0_4arch9wavefront6targetE1EEEvT1_.private_seg_size, 0
	.set _ZN7rocprim17ROCPRIM_400000_NS6detail17trampoline_kernelINS0_14default_configENS1_25partition_config_selectorILNS1_17partition_subalgoE9EllbEEZZNS1_14partition_implILS5_9ELb0ES3_jPlS8_PNS0_10empty_typeENS0_5tupleIJS8_S9_EEENSB_IJS8_SA_EEENS0_18inequality_wrapperIZN2at6native12_GLOBAL__N_124unique_dim_cuda_templateIdEESt5tupleIJNSF_6TensorESK_SK_EERKSK_lbbbEUlllE0_EEPmJS9_EEE10hipError_tPvRmT3_T4_T5_T6_T7_T9_mT8_P12ihipStream_tbDpT10_ENKUlT_T0_E_clISt17integral_constantIbLb0EES19_IbLb1EEEEDaS15_S16_EUlS15_E_NS1_11comp_targetILNS1_3genE8ELNS1_11target_archE1030ELNS1_3gpuE2ELNS1_3repE0EEENS1_30default_config_static_selectorELNS0_4arch9wavefront6targetE1EEEvT1_.uses_vcc, 0
	.set _ZN7rocprim17ROCPRIM_400000_NS6detail17trampoline_kernelINS0_14default_configENS1_25partition_config_selectorILNS1_17partition_subalgoE9EllbEEZZNS1_14partition_implILS5_9ELb0ES3_jPlS8_PNS0_10empty_typeENS0_5tupleIJS8_S9_EEENSB_IJS8_SA_EEENS0_18inequality_wrapperIZN2at6native12_GLOBAL__N_124unique_dim_cuda_templateIdEESt5tupleIJNSF_6TensorESK_SK_EERKSK_lbbbEUlllE0_EEPmJS9_EEE10hipError_tPvRmT3_T4_T5_T6_T7_T9_mT8_P12ihipStream_tbDpT10_ENKUlT_T0_E_clISt17integral_constantIbLb0EES19_IbLb1EEEEDaS15_S16_EUlS15_E_NS1_11comp_targetILNS1_3genE8ELNS1_11target_archE1030ELNS1_3gpuE2ELNS1_3repE0EEENS1_30default_config_static_selectorELNS0_4arch9wavefront6targetE1EEEvT1_.uses_flat_scratch, 0
	.set _ZN7rocprim17ROCPRIM_400000_NS6detail17trampoline_kernelINS0_14default_configENS1_25partition_config_selectorILNS1_17partition_subalgoE9EllbEEZZNS1_14partition_implILS5_9ELb0ES3_jPlS8_PNS0_10empty_typeENS0_5tupleIJS8_S9_EEENSB_IJS8_SA_EEENS0_18inequality_wrapperIZN2at6native12_GLOBAL__N_124unique_dim_cuda_templateIdEESt5tupleIJNSF_6TensorESK_SK_EERKSK_lbbbEUlllE0_EEPmJS9_EEE10hipError_tPvRmT3_T4_T5_T6_T7_T9_mT8_P12ihipStream_tbDpT10_ENKUlT_T0_E_clISt17integral_constantIbLb0EES19_IbLb1EEEEDaS15_S16_EUlS15_E_NS1_11comp_targetILNS1_3genE8ELNS1_11target_archE1030ELNS1_3gpuE2ELNS1_3repE0EEENS1_30default_config_static_selectorELNS0_4arch9wavefront6targetE1EEEvT1_.has_dyn_sized_stack, 0
	.set _ZN7rocprim17ROCPRIM_400000_NS6detail17trampoline_kernelINS0_14default_configENS1_25partition_config_selectorILNS1_17partition_subalgoE9EllbEEZZNS1_14partition_implILS5_9ELb0ES3_jPlS8_PNS0_10empty_typeENS0_5tupleIJS8_S9_EEENSB_IJS8_SA_EEENS0_18inequality_wrapperIZN2at6native12_GLOBAL__N_124unique_dim_cuda_templateIdEESt5tupleIJNSF_6TensorESK_SK_EERKSK_lbbbEUlllE0_EEPmJS9_EEE10hipError_tPvRmT3_T4_T5_T6_T7_T9_mT8_P12ihipStream_tbDpT10_ENKUlT_T0_E_clISt17integral_constantIbLb0EES19_IbLb1EEEEDaS15_S16_EUlS15_E_NS1_11comp_targetILNS1_3genE8ELNS1_11target_archE1030ELNS1_3gpuE2ELNS1_3repE0EEENS1_30default_config_static_selectorELNS0_4arch9wavefront6targetE1EEEvT1_.has_recursion, 0
	.set _ZN7rocprim17ROCPRIM_400000_NS6detail17trampoline_kernelINS0_14default_configENS1_25partition_config_selectorILNS1_17partition_subalgoE9EllbEEZZNS1_14partition_implILS5_9ELb0ES3_jPlS8_PNS0_10empty_typeENS0_5tupleIJS8_S9_EEENSB_IJS8_SA_EEENS0_18inequality_wrapperIZN2at6native12_GLOBAL__N_124unique_dim_cuda_templateIdEESt5tupleIJNSF_6TensorESK_SK_EERKSK_lbbbEUlllE0_EEPmJS9_EEE10hipError_tPvRmT3_T4_T5_T6_T7_T9_mT8_P12ihipStream_tbDpT10_ENKUlT_T0_E_clISt17integral_constantIbLb0EES19_IbLb1EEEEDaS15_S16_EUlS15_E_NS1_11comp_targetILNS1_3genE8ELNS1_11target_archE1030ELNS1_3gpuE2ELNS1_3repE0EEENS1_30default_config_static_selectorELNS0_4arch9wavefront6targetE1EEEvT1_.has_indirect_call, 0
	.section	.AMDGPU.csdata,"",@progbits
; Kernel info:
; codeLenInByte = 0
; TotalNumSgprs: 6
; NumVgprs: 0
; NumAgprs: 0
; TotalNumVgprs: 0
; ScratchSize: 0
; MemoryBound: 0
; FloatMode: 240
; IeeeMode: 1
; LDSByteSize: 0 bytes/workgroup (compile time only)
; SGPRBlocks: 0
; VGPRBlocks: 0
; NumSGPRsForWavesPerEU: 6
; NumVGPRsForWavesPerEU: 1
; AccumOffset: 4
; Occupancy: 8
; WaveLimiterHint : 0
; COMPUTE_PGM_RSRC2:SCRATCH_EN: 0
; COMPUTE_PGM_RSRC2:USER_SGPR: 2
; COMPUTE_PGM_RSRC2:TRAP_HANDLER: 0
; COMPUTE_PGM_RSRC2:TGID_X_EN: 1
; COMPUTE_PGM_RSRC2:TGID_Y_EN: 0
; COMPUTE_PGM_RSRC2:TGID_Z_EN: 0
; COMPUTE_PGM_RSRC2:TIDIG_COMP_CNT: 0
; COMPUTE_PGM_RSRC3_GFX90A:ACCUM_OFFSET: 0
; COMPUTE_PGM_RSRC3_GFX90A:TG_SPLIT: 0
	.section	.text._ZN7rocprim17ROCPRIM_400000_NS6detail17trampoline_kernelINS0_14default_configENS1_37merge_sort_block_sort_config_selectorIlNS0_10empty_typeEEEZNS1_21merge_sort_block_sortIS3_PlS8_PS5_S9_ZN2at6native12_GLOBAL__N_124unique_dim_cuda_templateIfEESt5tupleIJNSA_6TensorESF_SF_EERKSF_lbbbEUlllE_EE10hipError_tT0_T1_T2_T3_mRjT4_P12ihipStream_tbNS1_7vsmem_tEEUlT_E_NS1_11comp_targetILNS1_3genE0ELNS1_11target_archE4294967295ELNS1_3gpuE0ELNS1_3repE0EEENS1_30default_config_static_selectorELNS0_4arch9wavefront6targetE1EEEvSM_,"axG",@progbits,_ZN7rocprim17ROCPRIM_400000_NS6detail17trampoline_kernelINS0_14default_configENS1_37merge_sort_block_sort_config_selectorIlNS0_10empty_typeEEEZNS1_21merge_sort_block_sortIS3_PlS8_PS5_S9_ZN2at6native12_GLOBAL__N_124unique_dim_cuda_templateIfEESt5tupleIJNSA_6TensorESF_SF_EERKSF_lbbbEUlllE_EE10hipError_tT0_T1_T2_T3_mRjT4_P12ihipStream_tbNS1_7vsmem_tEEUlT_E_NS1_11comp_targetILNS1_3genE0ELNS1_11target_archE4294967295ELNS1_3gpuE0ELNS1_3repE0EEENS1_30default_config_static_selectorELNS0_4arch9wavefront6targetE1EEEvSM_,comdat
	.globl	_ZN7rocprim17ROCPRIM_400000_NS6detail17trampoline_kernelINS0_14default_configENS1_37merge_sort_block_sort_config_selectorIlNS0_10empty_typeEEEZNS1_21merge_sort_block_sortIS3_PlS8_PS5_S9_ZN2at6native12_GLOBAL__N_124unique_dim_cuda_templateIfEESt5tupleIJNSA_6TensorESF_SF_EERKSF_lbbbEUlllE_EE10hipError_tT0_T1_T2_T3_mRjT4_P12ihipStream_tbNS1_7vsmem_tEEUlT_E_NS1_11comp_targetILNS1_3genE0ELNS1_11target_archE4294967295ELNS1_3gpuE0ELNS1_3repE0EEENS1_30default_config_static_selectorELNS0_4arch9wavefront6targetE1EEEvSM_ ; -- Begin function _ZN7rocprim17ROCPRIM_400000_NS6detail17trampoline_kernelINS0_14default_configENS1_37merge_sort_block_sort_config_selectorIlNS0_10empty_typeEEEZNS1_21merge_sort_block_sortIS3_PlS8_PS5_S9_ZN2at6native12_GLOBAL__N_124unique_dim_cuda_templateIfEESt5tupleIJNSA_6TensorESF_SF_EERKSF_lbbbEUlllE_EE10hipError_tT0_T1_T2_T3_mRjT4_P12ihipStream_tbNS1_7vsmem_tEEUlT_E_NS1_11comp_targetILNS1_3genE0ELNS1_11target_archE4294967295ELNS1_3gpuE0ELNS1_3repE0EEENS1_30default_config_static_selectorELNS0_4arch9wavefront6targetE1EEEvSM_
	.p2align	8
	.type	_ZN7rocprim17ROCPRIM_400000_NS6detail17trampoline_kernelINS0_14default_configENS1_37merge_sort_block_sort_config_selectorIlNS0_10empty_typeEEEZNS1_21merge_sort_block_sortIS3_PlS8_PS5_S9_ZN2at6native12_GLOBAL__N_124unique_dim_cuda_templateIfEESt5tupleIJNSA_6TensorESF_SF_EERKSF_lbbbEUlllE_EE10hipError_tT0_T1_T2_T3_mRjT4_P12ihipStream_tbNS1_7vsmem_tEEUlT_E_NS1_11comp_targetILNS1_3genE0ELNS1_11target_archE4294967295ELNS1_3gpuE0ELNS1_3repE0EEENS1_30default_config_static_selectorELNS0_4arch9wavefront6targetE1EEEvSM_,@function
_ZN7rocprim17ROCPRIM_400000_NS6detail17trampoline_kernelINS0_14default_configENS1_37merge_sort_block_sort_config_selectorIlNS0_10empty_typeEEEZNS1_21merge_sort_block_sortIS3_PlS8_PS5_S9_ZN2at6native12_GLOBAL__N_124unique_dim_cuda_templateIfEESt5tupleIJNSA_6TensorESF_SF_EERKSF_lbbbEUlllE_EE10hipError_tT0_T1_T2_T3_mRjT4_P12ihipStream_tbNS1_7vsmem_tEEUlT_E_NS1_11comp_targetILNS1_3genE0ELNS1_11target_archE4294967295ELNS1_3gpuE0ELNS1_3repE0EEENS1_30default_config_static_selectorELNS0_4arch9wavefront6targetE1EEEvSM_: ; @_ZN7rocprim17ROCPRIM_400000_NS6detail17trampoline_kernelINS0_14default_configENS1_37merge_sort_block_sort_config_selectorIlNS0_10empty_typeEEEZNS1_21merge_sort_block_sortIS3_PlS8_PS5_S9_ZN2at6native12_GLOBAL__N_124unique_dim_cuda_templateIfEESt5tupleIJNSA_6TensorESF_SF_EERKSF_lbbbEUlllE_EE10hipError_tT0_T1_T2_T3_mRjT4_P12ihipStream_tbNS1_7vsmem_tEEUlT_E_NS1_11comp_targetILNS1_3genE0ELNS1_11target_archE4294967295ELNS1_3gpuE0ELNS1_3repE0EEENS1_30default_config_static_selectorELNS0_4arch9wavefront6targetE1EEEvSM_
; %bb.0:
	s_mov_b32 s14, s2
	s_load_dwordx2 s[18:19], s[0:1], 0x48
	s_load_dword s2, s[0:1], 0x0
	s_add_u32 s16, s0, 0x48
	s_addc_u32 s17, s1, 0
	s_waitcnt lgkmcnt(0)
	s_mul_i32 s4, s19, s4
	s_add_i32 s3, s4, s3
	s_mul_i32 s3, s3, s18
	s_add_i32 s6, s3, s14
	s_cmp_ge_u32 s6, s2
	s_cbranch_scc1 .LBB871_1228
; %bb.1:
	s_load_dwordx2 s[8:9], s[0:1], 0x8
	s_load_dwordx4 s[24:27], s[0:1], 0x18
	s_load_dwordx4 s[20:23], s[0:1], 0x38
	s_mov_b32 s7, 0
	s_lshl_b64 s[2:3], s[6:7], 14
	s_waitcnt lgkmcnt(0)
	s_lshr_b64 s[0:1], s[8:9], 11
	s_add_u32 s28, s24, s2
	s_addc_u32 s29, s25, s3
	s_add_u32 s24, s26, s2
	s_addc_u32 s25, s27, s3
	s_cmp_lg_u64 s[0:1], s[6:7]
	v_and_b32_e32 v18, 0x3ff, v0
	s_cbranch_scc0 .LBB871_8
; %bb.2:
	v_mov_b32_e32 v19, 0
	v_lshlrev_b32_e32 v20, 3, v18
	v_mov_b32_e32 v21, v19
	v_lshl_add_u64 v[2:3], s[28:29], 0, v[20:21]
	v_add_co_u32_e32 v8, vcc, 0x1000, v2
	global_load_dwordx2 v[4:5], v20, s[28:29]
	global_load_dwordx2 v[6:7], v20, s[28:29] offset:2048
	v_addc_co_u32_e32 v9, vcc, 0, v3, vcc
	v_add_co_u32_e32 v10, vcc, 0x2000, v2
	v_lshrrev_b32_e32 v1, 2, v18
	s_nop 0
	v_addc_co_u32_e32 v11, vcc, 0, v3, vcc
	v_add_co_u32_e32 v2, vcc, 0x3000, v2
	global_load_dwordx2 v[12:13], v[8:9], off
	global_load_dwordx2 v[14:15], v[8:9], off offset:2048
	global_load_dwordx2 v[16:17], v[10:11], off
	global_load_dwordx2 v[22:23], v[10:11], off offset:2048
	v_addc_co_u32_e32 v3, vcc, 0, v3, vcc
	global_load_dwordx2 v[8:9], v[2:3], off
	global_load_dwordx2 v[10:11], v[2:3], off offset:2048
	v_add_u32_e32 v2, 0x100, v18
	v_add_u32_e32 v3, 0x200, v18
	;; [unrolled: 1-line block ×3, first 2 shown]
	v_or_b32_e32 v24, 0x400, v18
	v_add_u32_e32 v25, 0x500, v18
	v_add_u32_e32 v26, 0x600, v18
	;; [unrolled: 1-line block ×3, first 2 shown]
	v_lshlrev_b32_e32 v28, 1, v18
	v_and_b32_e32 v1, 0xf8, v1
	v_lshrrev_b32_e32 v2, 2, v2
	v_lshrrev_b32_e32 v3, 2, v3
	;; [unrolled: 1-line block ×7, first 2 shown]
	v_and_b32_e32 v28, 0x7f8, v28
	v_add_u32_e32 v1, v1, v20
	v_and_b32_e32 v2, 0x1f8, v2
	v_and_b32_e32 v3, 0x1f8, v3
	;; [unrolled: 1-line block ×7, first 2 shown]
	v_lshl_add_u32 v32, v18, 6, v28
	v_add_u32_e32 v21, v2, v20
	v_add_u32_e32 v26, v3, v20
	;; [unrolled: 1-line block ×7, first 2 shown]
	v_bfe_u32 v24, v0, 20, 10
	v_cmp_gt_i64_e64 s[10:11], s[20:21], 0
	s_waitcnt vmcnt(7)
	ds_write_b64 v1, v[4:5]
	s_waitcnt vmcnt(6)
	ds_write_b64 v21, v[6:7] offset:2048
	s_waitcnt vmcnt(5)
	ds_write_b64 v26, v[12:13] offset:4096
	s_waitcnt vmcnt(4)
	ds_write_b64 v27, v[14:15] offset:6144
	s_waitcnt vmcnt(3)
	ds_write_b64 v28, v[16:17] offset:8192
	s_waitcnt vmcnt(2)
	ds_write_b64 v29, v[22:23] offset:10240
	s_waitcnt vmcnt(1)
	ds_write_b64 v30, v[8:9] offset:12288
	s_waitcnt vmcnt(0)
	ds_write_b64 v31, v[10:11] offset:14336
	s_waitcnt lgkmcnt(0)
	s_barrier
	ds_read2_b64 v[14:17], v32 offset1:1
	ds_read2_b64 v[10:13], v32 offset0:2 offset1:3
	ds_read2_b64 v[6:9], v32 offset0:4 offset1:5
	;; [unrolled: 1-line block ×3, first 2 shown]
	s_waitcnt lgkmcnt(0)
	s_barrier
	s_load_dword s0, s[16:17], 0xc
	v_bfe_u32 v23, v0, 10, 10
	v_cndmask_b32_e64 v25, 0, 1, s[10:11]
	s_waitcnt lgkmcnt(0)
	s_lshr_b32 s2, s0, 16
	s_cmp_lt_u32 s14, s18
	s_cselect_b32 s0, 12, 18
	s_add_u32 s0, s16, s0
	s_addc_u32 s1, s17, 0
	global_load_ushort v22, v19, s[0:1]
	v_mad_u32_u24 v23, v24, s2, v23
	s_movk_i32 s0, 0x800
	s_waitcnt vmcnt(0)
	v_mul_lo_u32 v22, v23, v22
	v_add_lshl_u32 v33, v22, v18, 3
	v_cmp_gt_u32_e32 vcc, s0, v33
	v_cmp_ne_u32_e64 s[0:1], 1, v25
	s_and_saveexec_b64 s[4:5], vcc
	s_cbranch_execz .LBB871_190
; %bb.3:
	s_and_b64 vcc, exec, s[0:1]
	s_cbranch_vccnz .LBB871_18
; %bb.4:
	v_mul_lo_u32 v24, v17, s20
	v_mul_lo_u32 v25, v16, s21
	v_mad_u64_u32 v[22:23], s[2:3], v16, s20, 0
	v_add3_u32 v23, v23, v25, v24
	v_mul_lo_u32 v34, v15, s20
	v_mul_lo_u32 v35, v14, s21
	v_mad_u64_u32 v[24:25], s[2:3], v14, s20, 0
	v_add3_u32 v25, v25, v35, v34
	v_lshl_add_u64 v[22:23], v[22:23], 2, s[22:23]
	v_lshl_add_u64 v[24:25], v[24:25], 2, s[22:23]
	s_mov_b64 s[26:27], 0
	s_mov_b64 s[40:41], s[20:21]
                                        ; implicit-def: $sgpr12_sgpr13
                                        ; implicit-def: $sgpr30_sgpr31
                                        ; implicit-def: $sgpr36_sgpr37
                                        ; implicit-def: $sgpr34_sgpr35
                                        ; implicit-def: $sgpr38_sgpr39
	s_branch .LBB871_6
.LBB871_5:                              ;   in Loop: Header=BB871_6 Depth=1
	s_or_b64 exec, exec, s[42:43]
	s_and_b64 s[2:3], s[2:3], s[38:39]
	s_or_b64 s[2:3], vcc, s[2:3]
	s_and_b64 s[42:43], exec, s[36:37]
	s_or_b64 s[26:27], s[42:43], s[26:27]
	s_andn2_b64 s[38:39], s[38:39], exec
	s_and_b64 s[2:3], s[2:3], exec
	s_andn2_b64 s[30:31], s[30:31], exec
	s_and_b64 s[42:43], s[34:35], exec
	s_andn2_b64 s[12:13], s[12:13], exec
	s_or_b64 s[38:39], s[38:39], s[2:3]
	s_or_b64 s[30:31], s[30:31], s[42:43]
	;; [unrolled: 1-line block ×3, first 2 shown]
	s_andn2_b64 exec, exec, s[26:27]
	s_cbranch_execz .LBB871_9
.LBB871_6:                              ; =>This Inner Loop Header: Depth=1
	global_load_dword v34, v[22:23], off
	global_load_dword v35, v[24:25], off
	s_or_b64 s[34:35], s[34:35], exec
	s_or_b64 s[36:37], s[36:37], exec
	s_waitcnt vmcnt(0)
	v_cmp_lt_f32_e32 vcc, v34, v35
	v_cmp_ngt_f32_e64 s[2:3], v34, v35
	s_xor_b64 s[44:45], vcc, s[2:3]
	s_and_saveexec_b64 s[42:43], s[44:45]
	s_cbranch_execz .LBB871_5
; %bb.7:                                ;   in Loop: Header=BB871_6 Depth=1
	s_add_u32 s40, s40, -1
	s_addc_u32 s41, s41, -1
	s_cmp_eq_u64 s[40:41], 0
	s_cselect_b64 s[44:45], -1, 0
	s_andn2_b64 s[36:37], s[36:37], exec
	s_and_b64 s[44:45], s[44:45], exec
	v_lshl_add_u64 v[22:23], v[22:23], 0, 4
	v_lshl_add_u64 v[24:25], v[24:25], 0, 4
	s_andn2_b64 s[34:35], s[34:35], exec
	s_or_b64 s[36:37], s[36:37], s[44:45]
	s_branch .LBB871_5
.LBB871_8:
	s_mov_b64 s[26:27], 0
                                        ; implicit-def: $vgpr14_vgpr15
	s_cbranch_execnz .LBB871_584
	s_branch .LBB871_1226
.LBB871_9:
	s_or_b64 exec, exec, s[26:27]
	s_and_saveexec_b64 s[2:3], s[30:31]
	s_xor_b64 s[2:3], exec, s[2:3]
; %bb.10:
	v_cndmask_b32_e64 v23, v17, v15, s[12:13]
	v_cndmask_b32_e64 v22, v16, v14, s[12:13]
	;; [unrolled: 1-line block ×4, first 2 shown]
	v_mov_b64_e32 v[16:17], v[22:23]
; %bb.11:
	s_or_b64 exec, exec, s[2:3]
	v_mul_lo_u32 v24, v13, s20
	v_mul_lo_u32 v25, v12, s21
	v_mad_u64_u32 v[22:23], s[2:3], v12, s20, 0
	v_add3_u32 v23, v23, v25, v24
	v_mul_lo_u32 v34, v11, s20
	v_mul_lo_u32 v35, v10, s21
	v_mad_u64_u32 v[24:25], s[2:3], v10, s20, 0
	v_add3_u32 v25, v25, v35, v34
	v_lshl_add_u64 v[22:23], v[22:23], 2, s[22:23]
	v_lshl_add_u64 v[24:25], v[24:25], 2, s[22:23]
	s_mov_b64 s[30:31], 0
	s_mov_b64 s[40:41], s[20:21]
                                        ; implicit-def: $sgpr12_sgpr13
                                        ; implicit-def: $sgpr26_sgpr27
                                        ; implicit-def: $sgpr36_sgpr37
                                        ; implicit-def: $sgpr34_sgpr35
                                        ; implicit-def: $sgpr38_sgpr39
	s_branch .LBB871_13
.LBB871_12:                             ;   in Loop: Header=BB871_13 Depth=1
	s_or_b64 exec, exec, s[42:43]
	s_and_b64 s[2:3], s[2:3], s[38:39]
	s_or_b64 s[2:3], vcc, s[2:3]
	s_and_b64 s[42:43], exec, s[36:37]
	s_or_b64 s[30:31], s[42:43], s[30:31]
	s_andn2_b64 s[38:39], s[38:39], exec
	s_and_b64 s[2:3], s[2:3], exec
	s_andn2_b64 s[26:27], s[26:27], exec
	s_and_b64 s[42:43], s[34:35], exec
	s_andn2_b64 s[12:13], s[12:13], exec
	s_or_b64 s[38:39], s[38:39], s[2:3]
	s_or_b64 s[26:27], s[26:27], s[42:43]
	;; [unrolled: 1-line block ×3, first 2 shown]
	s_andn2_b64 exec, exec, s[30:31]
	s_cbranch_execz .LBB871_15
.LBB871_13:                             ; =>This Inner Loop Header: Depth=1
	global_load_dword v34, v[22:23], off
	global_load_dword v35, v[24:25], off
	s_or_b64 s[34:35], s[34:35], exec
	s_or_b64 s[36:37], s[36:37], exec
	s_waitcnt vmcnt(0)
	v_cmp_lt_f32_e32 vcc, v34, v35
	v_cmp_ngt_f32_e64 s[2:3], v34, v35
	s_xor_b64 s[44:45], vcc, s[2:3]
	s_and_saveexec_b64 s[42:43], s[44:45]
	s_cbranch_execz .LBB871_12
; %bb.14:                               ;   in Loop: Header=BB871_13 Depth=1
	s_add_u32 s40, s40, -1
	s_addc_u32 s41, s41, -1
	s_cmp_eq_u64 s[40:41], 0
	s_cselect_b64 s[44:45], -1, 0
	s_andn2_b64 s[36:37], s[36:37], exec
	s_and_b64 s[44:45], s[44:45], exec
	v_lshl_add_u64 v[22:23], v[22:23], 0, 4
	v_lshl_add_u64 v[24:25], v[24:25], 0, 4
	s_andn2_b64 s[34:35], s[34:35], exec
	s_or_b64 s[36:37], s[36:37], s[44:45]
	s_branch .LBB871_12
.LBB871_15:
	s_or_b64 exec, exec, s[30:31]
	s_and_saveexec_b64 s[2:3], s[26:27]
	s_xor_b64 s[2:3], exec, s[2:3]
; %bb.16:
	v_cndmask_b32_e64 v23, v11, v13, s[12:13]
	v_cndmask_b32_e64 v22, v10, v12, s[12:13]
	;; [unrolled: 1-line block ×4, first 2 shown]
	v_mov_b64_e32 v[10:11], v[22:23]
; %bb.17:
	s_or_b64 exec, exec, s[2:3]
.LBB871_18:
	s_and_b64 vcc, exec, s[0:1]
	s_cbranch_vccnz .LBB871_32
; %bb.19:
	v_mul_lo_u32 v24, v9, s20
	v_mul_lo_u32 v25, v8, s21
	v_mad_u64_u32 v[22:23], s[2:3], v8, s20, 0
	v_add3_u32 v23, v23, v25, v24
	v_mul_lo_u32 v34, v7, s20
	v_mul_lo_u32 v35, v6, s21
	v_mad_u64_u32 v[24:25], s[2:3], v6, s20, 0
	v_add3_u32 v25, v25, v35, v34
	v_lshl_add_u64 v[22:23], v[22:23], 2, s[22:23]
	v_lshl_add_u64 v[24:25], v[24:25], 2, s[22:23]
	s_mov_b64 s[26:27], 0
	s_mov_b64 s[40:41], s[20:21]
                                        ; implicit-def: $sgpr12_sgpr13
                                        ; implicit-def: $sgpr30_sgpr31
                                        ; implicit-def: $sgpr36_sgpr37
                                        ; implicit-def: $sgpr34_sgpr35
                                        ; implicit-def: $sgpr38_sgpr39
	s_branch .LBB871_21
.LBB871_20:                             ;   in Loop: Header=BB871_21 Depth=1
	s_or_b64 exec, exec, s[42:43]
	s_and_b64 s[2:3], s[2:3], s[38:39]
	s_or_b64 s[2:3], vcc, s[2:3]
	s_and_b64 s[42:43], exec, s[36:37]
	s_or_b64 s[26:27], s[42:43], s[26:27]
	s_andn2_b64 s[38:39], s[38:39], exec
	s_and_b64 s[2:3], s[2:3], exec
	s_andn2_b64 s[30:31], s[30:31], exec
	s_and_b64 s[42:43], s[34:35], exec
	s_andn2_b64 s[12:13], s[12:13], exec
	s_or_b64 s[38:39], s[38:39], s[2:3]
	s_or_b64 s[30:31], s[30:31], s[42:43]
	;; [unrolled: 1-line block ×3, first 2 shown]
	s_andn2_b64 exec, exec, s[26:27]
	s_cbranch_execz .LBB871_23
.LBB871_21:                             ; =>This Inner Loop Header: Depth=1
	global_load_dword v34, v[22:23], off
	global_load_dword v35, v[24:25], off
	s_or_b64 s[34:35], s[34:35], exec
	s_or_b64 s[36:37], s[36:37], exec
	s_waitcnt vmcnt(0)
	v_cmp_lt_f32_e32 vcc, v34, v35
	v_cmp_ngt_f32_e64 s[2:3], v34, v35
	s_xor_b64 s[44:45], vcc, s[2:3]
	s_and_saveexec_b64 s[42:43], s[44:45]
	s_cbranch_execz .LBB871_20
; %bb.22:                               ;   in Loop: Header=BB871_21 Depth=1
	s_add_u32 s40, s40, -1
	s_addc_u32 s41, s41, -1
	s_cmp_eq_u64 s[40:41], 0
	s_cselect_b64 s[44:45], -1, 0
	s_andn2_b64 s[36:37], s[36:37], exec
	s_and_b64 s[44:45], s[44:45], exec
	v_lshl_add_u64 v[22:23], v[22:23], 0, 4
	v_lshl_add_u64 v[24:25], v[24:25], 0, 4
	s_andn2_b64 s[34:35], s[34:35], exec
	s_or_b64 s[36:37], s[36:37], s[44:45]
	s_branch .LBB871_20
.LBB871_23:
	s_or_b64 exec, exec, s[26:27]
	s_and_saveexec_b64 s[2:3], s[30:31]
	s_xor_b64 s[2:3], exec, s[2:3]
; %bb.24:
	v_cndmask_b32_e64 v23, v7, v9, s[12:13]
	v_cndmask_b32_e64 v22, v6, v8, s[12:13]
	;; [unrolled: 1-line block ×4, first 2 shown]
	v_mov_b64_e32 v[6:7], v[22:23]
; %bb.25:
	s_or_b64 exec, exec, s[2:3]
	v_mul_lo_u32 v24, v5, s20
	v_mul_lo_u32 v25, v4, s21
	v_mad_u64_u32 v[22:23], s[2:3], v4, s20, 0
	v_add3_u32 v23, v23, v25, v24
	v_mul_lo_u32 v34, v3, s20
	v_mul_lo_u32 v35, v2, s21
	v_mad_u64_u32 v[24:25], s[2:3], v2, s20, 0
	v_add3_u32 v25, v25, v35, v34
	v_lshl_add_u64 v[22:23], v[22:23], 2, s[22:23]
	v_lshl_add_u64 v[24:25], v[24:25], 2, s[22:23]
	s_mov_b64 s[30:31], 0
	s_mov_b64 s[40:41], s[20:21]
                                        ; implicit-def: $sgpr12_sgpr13
                                        ; implicit-def: $sgpr26_sgpr27
                                        ; implicit-def: $sgpr36_sgpr37
                                        ; implicit-def: $sgpr34_sgpr35
                                        ; implicit-def: $sgpr38_sgpr39
	s_branch .LBB871_27
.LBB871_26:                             ;   in Loop: Header=BB871_27 Depth=1
	s_or_b64 exec, exec, s[42:43]
	s_and_b64 s[2:3], s[2:3], s[38:39]
	s_or_b64 s[2:3], vcc, s[2:3]
	s_and_b64 s[42:43], exec, s[36:37]
	s_or_b64 s[30:31], s[42:43], s[30:31]
	s_andn2_b64 s[38:39], s[38:39], exec
	s_and_b64 s[2:3], s[2:3], exec
	s_andn2_b64 s[26:27], s[26:27], exec
	s_and_b64 s[42:43], s[34:35], exec
	s_andn2_b64 s[12:13], s[12:13], exec
	s_or_b64 s[38:39], s[38:39], s[2:3]
	s_or_b64 s[26:27], s[26:27], s[42:43]
	;; [unrolled: 1-line block ×3, first 2 shown]
	s_andn2_b64 exec, exec, s[30:31]
	s_cbranch_execz .LBB871_29
.LBB871_27:                             ; =>This Inner Loop Header: Depth=1
	global_load_dword v34, v[22:23], off
	global_load_dword v35, v[24:25], off
	s_or_b64 s[34:35], s[34:35], exec
	s_or_b64 s[36:37], s[36:37], exec
	s_waitcnt vmcnt(0)
	v_cmp_lt_f32_e32 vcc, v34, v35
	v_cmp_ngt_f32_e64 s[2:3], v34, v35
	s_xor_b64 s[44:45], vcc, s[2:3]
	s_and_saveexec_b64 s[42:43], s[44:45]
	s_cbranch_execz .LBB871_26
; %bb.28:                               ;   in Loop: Header=BB871_27 Depth=1
	s_add_u32 s40, s40, -1
	s_addc_u32 s41, s41, -1
	s_cmp_eq_u64 s[40:41], 0
	s_cselect_b64 s[44:45], -1, 0
	s_andn2_b64 s[36:37], s[36:37], exec
	s_and_b64 s[44:45], s[44:45], exec
	v_lshl_add_u64 v[22:23], v[22:23], 0, 4
	v_lshl_add_u64 v[24:25], v[24:25], 0, 4
	s_andn2_b64 s[34:35], s[34:35], exec
	s_or_b64 s[36:37], s[36:37], s[44:45]
	s_branch .LBB871_26
.LBB871_29:
	s_or_b64 exec, exec, s[30:31]
	s_and_saveexec_b64 s[2:3], s[26:27]
	s_xor_b64 s[2:3], exec, s[2:3]
; %bb.30:
	v_cndmask_b32_e64 v23, v3, v5, s[12:13]
	v_cndmask_b32_e64 v22, v2, v4, s[12:13]
	v_cndmask_b32_e64 v5, v5, v3, s[12:13]
	v_cndmask_b32_e64 v4, v4, v2, s[12:13]
	v_mov_b64_e32 v[2:3], v[22:23]
; %bb.31:
	s_or_b64 exec, exec, s[2:3]
.LBB871_32:
	s_and_b64 vcc, exec, s[10:11]
	s_cbranch_vccz .LBB871_46
; %bb.33:
	v_mul_lo_u32 v24, v11, s20
	v_mul_lo_u32 v25, v10, s21
	v_mad_u64_u32 v[22:23], s[2:3], v10, s20, 0
	v_add3_u32 v23, v23, v25, v24
	v_mul_lo_u32 v34, v17, s20
	v_mul_lo_u32 v35, v16, s21
	v_mad_u64_u32 v[24:25], s[2:3], v16, s20, 0
	v_add3_u32 v25, v25, v35, v34
	v_lshl_add_u64 v[22:23], v[22:23], 2, s[22:23]
	v_lshl_add_u64 v[24:25], v[24:25], 2, s[22:23]
	s_mov_b64 s[12:13], 0
	s_mov_b64 s[38:39], s[20:21]
                                        ; implicit-def: $sgpr10_sgpr11
                                        ; implicit-def: $sgpr26_sgpr27
                                        ; implicit-def: $sgpr34_sgpr35
                                        ; implicit-def: $sgpr30_sgpr31
                                        ; implicit-def: $sgpr36_sgpr37
	s_branch .LBB871_35
.LBB871_34:                             ;   in Loop: Header=BB871_35 Depth=1
	s_or_b64 exec, exec, s[40:41]
	s_and_b64 s[2:3], s[2:3], s[36:37]
	s_or_b64 s[2:3], vcc, s[2:3]
	s_and_b64 s[40:41], exec, s[34:35]
	s_or_b64 s[12:13], s[40:41], s[12:13]
	s_andn2_b64 s[36:37], s[36:37], exec
	s_and_b64 s[2:3], s[2:3], exec
	s_andn2_b64 s[26:27], s[26:27], exec
	s_and_b64 s[40:41], s[30:31], exec
	s_andn2_b64 s[10:11], s[10:11], exec
	s_or_b64 s[36:37], s[36:37], s[2:3]
	s_or_b64 s[26:27], s[26:27], s[40:41]
	s_or_b64 s[10:11], s[10:11], s[2:3]
	s_andn2_b64 exec, exec, s[12:13]
	s_cbranch_execz .LBB871_37
.LBB871_35:                             ; =>This Inner Loop Header: Depth=1
	global_load_dword v34, v[22:23], off
	global_load_dword v35, v[24:25], off
	s_or_b64 s[30:31], s[30:31], exec
	s_or_b64 s[34:35], s[34:35], exec
	s_waitcnt vmcnt(0)
	v_cmp_lt_f32_e32 vcc, v34, v35
	v_cmp_ngt_f32_e64 s[2:3], v34, v35
	s_xor_b64 s[42:43], vcc, s[2:3]
	s_and_saveexec_b64 s[40:41], s[42:43]
	s_cbranch_execz .LBB871_34
; %bb.36:                               ;   in Loop: Header=BB871_35 Depth=1
	s_add_u32 s38, s38, -1
	s_addc_u32 s39, s39, -1
	s_cmp_eq_u64 s[38:39], 0
	s_cselect_b64 s[42:43], -1, 0
	s_andn2_b64 s[34:35], s[34:35], exec
	s_and_b64 s[42:43], s[42:43], exec
	v_lshl_add_u64 v[22:23], v[22:23], 0, 4
	v_lshl_add_u64 v[24:25], v[24:25], 0, 4
	s_andn2_b64 s[30:31], s[30:31], exec
	s_or_b64 s[34:35], s[34:35], s[42:43]
	s_branch .LBB871_34
.LBB871_37:
	s_or_b64 exec, exec, s[12:13]
	s_and_saveexec_b64 s[2:3], s[26:27]
	s_xor_b64 s[2:3], exec, s[2:3]
; %bb.38:
	v_cndmask_b32_e64 v23, v17, v11, s[10:11]
	v_cndmask_b32_e64 v22, v16, v10, s[10:11]
	;; [unrolled: 1-line block ×4, first 2 shown]
	v_mov_b64_e32 v[16:17], v[22:23]
; %bb.39:
	s_or_b64 exec, exec, s[2:3]
	v_mul_lo_u32 v24, v7, s20
	v_mul_lo_u32 v25, v6, s21
	v_mad_u64_u32 v[22:23], s[2:3], v6, s20, 0
	v_add3_u32 v23, v23, v25, v24
	v_mul_lo_u32 v34, v13, s20
	v_mul_lo_u32 v35, v12, s21
	v_mad_u64_u32 v[24:25], s[2:3], v12, s20, 0
	v_add3_u32 v25, v25, v35, v34
	v_lshl_add_u64 v[22:23], v[22:23], 2, s[22:23]
	v_lshl_add_u64 v[24:25], v[24:25], 2, s[22:23]
	s_mov_b64 s[26:27], 0
	s_mov_b64 s[38:39], s[20:21]
                                        ; implicit-def: $sgpr10_sgpr11
                                        ; implicit-def: $sgpr12_sgpr13
                                        ; implicit-def: $sgpr34_sgpr35
                                        ; implicit-def: $sgpr30_sgpr31
                                        ; implicit-def: $sgpr36_sgpr37
	s_branch .LBB871_41
.LBB871_40:                             ;   in Loop: Header=BB871_41 Depth=1
	s_or_b64 exec, exec, s[40:41]
	s_and_b64 s[2:3], s[2:3], s[36:37]
	s_or_b64 s[2:3], vcc, s[2:3]
	s_and_b64 s[40:41], exec, s[34:35]
	s_or_b64 s[26:27], s[40:41], s[26:27]
	s_andn2_b64 s[36:37], s[36:37], exec
	s_and_b64 s[2:3], s[2:3], exec
	s_andn2_b64 s[12:13], s[12:13], exec
	s_and_b64 s[40:41], s[30:31], exec
	s_andn2_b64 s[10:11], s[10:11], exec
	s_or_b64 s[36:37], s[36:37], s[2:3]
	s_or_b64 s[12:13], s[12:13], s[40:41]
	;; [unrolled: 1-line block ×3, first 2 shown]
	s_andn2_b64 exec, exec, s[26:27]
	s_cbranch_execz .LBB871_43
.LBB871_41:                             ; =>This Inner Loop Header: Depth=1
	global_load_dword v34, v[22:23], off
	global_load_dword v35, v[24:25], off
	s_or_b64 s[30:31], s[30:31], exec
	s_or_b64 s[34:35], s[34:35], exec
	s_waitcnt vmcnt(0)
	v_cmp_lt_f32_e32 vcc, v34, v35
	v_cmp_ngt_f32_e64 s[2:3], v34, v35
	s_xor_b64 s[42:43], vcc, s[2:3]
	s_and_saveexec_b64 s[40:41], s[42:43]
	s_cbranch_execz .LBB871_40
; %bb.42:                               ;   in Loop: Header=BB871_41 Depth=1
	s_add_u32 s38, s38, -1
	s_addc_u32 s39, s39, -1
	s_cmp_eq_u64 s[38:39], 0
	s_cselect_b64 s[42:43], -1, 0
	s_andn2_b64 s[34:35], s[34:35], exec
	s_and_b64 s[42:43], s[42:43], exec
	v_lshl_add_u64 v[22:23], v[22:23], 0, 4
	v_lshl_add_u64 v[24:25], v[24:25], 0, 4
	s_andn2_b64 s[30:31], s[30:31], exec
	s_or_b64 s[34:35], s[34:35], s[42:43]
	s_branch .LBB871_40
.LBB871_43:
	s_or_b64 exec, exec, s[26:27]
	s_and_saveexec_b64 s[2:3], s[12:13]
	s_xor_b64 s[2:3], exec, s[2:3]
; %bb.44:
	v_cndmask_b32_e64 v23, v13, v7, s[10:11]
	v_cndmask_b32_e64 v22, v12, v6, s[10:11]
	;; [unrolled: 1-line block ×4, first 2 shown]
	v_mov_b64_e32 v[12:13], v[22:23]
; %bb.45:
	s_or_b64 exec, exec, s[2:3]
.LBB871_46:
	s_and_b64 vcc, exec, s[0:1]
	s_cbranch_vccnz .LBB871_60
; %bb.47:
	v_mul_lo_u32 v24, v3, s20
	v_mul_lo_u32 v25, v2, s21
	v_mad_u64_u32 v[22:23], s[2:3], v2, s20, 0
	v_add3_u32 v23, v23, v25, v24
	v_mul_lo_u32 v34, v9, s20
	v_mul_lo_u32 v35, v8, s21
	v_mad_u64_u32 v[24:25], s[2:3], v8, s20, 0
	v_add3_u32 v25, v25, v35, v34
	v_lshl_add_u64 v[22:23], v[22:23], 2, s[22:23]
	v_lshl_add_u64 v[24:25], v[24:25], 2, s[22:23]
	s_mov_b64 s[12:13], 0
	s_mov_b64 s[38:39], s[20:21]
                                        ; implicit-def: $sgpr10_sgpr11
                                        ; implicit-def: $sgpr26_sgpr27
                                        ; implicit-def: $sgpr34_sgpr35
                                        ; implicit-def: $sgpr30_sgpr31
                                        ; implicit-def: $sgpr36_sgpr37
	s_branch .LBB871_49
.LBB871_48:                             ;   in Loop: Header=BB871_49 Depth=1
	s_or_b64 exec, exec, s[40:41]
	s_and_b64 s[2:3], s[2:3], s[36:37]
	s_or_b64 s[2:3], vcc, s[2:3]
	s_and_b64 s[40:41], exec, s[34:35]
	s_or_b64 s[12:13], s[40:41], s[12:13]
	s_andn2_b64 s[36:37], s[36:37], exec
	s_and_b64 s[2:3], s[2:3], exec
	s_andn2_b64 s[26:27], s[26:27], exec
	s_and_b64 s[40:41], s[30:31], exec
	s_andn2_b64 s[10:11], s[10:11], exec
	s_or_b64 s[36:37], s[36:37], s[2:3]
	s_or_b64 s[26:27], s[26:27], s[40:41]
	;; [unrolled: 1-line block ×3, first 2 shown]
	s_andn2_b64 exec, exec, s[12:13]
	s_cbranch_execz .LBB871_51
.LBB871_49:                             ; =>This Inner Loop Header: Depth=1
	global_load_dword v34, v[22:23], off
	global_load_dword v35, v[24:25], off
	s_or_b64 s[30:31], s[30:31], exec
	s_or_b64 s[34:35], s[34:35], exec
	s_waitcnt vmcnt(0)
	v_cmp_lt_f32_e32 vcc, v34, v35
	v_cmp_ngt_f32_e64 s[2:3], v34, v35
	s_xor_b64 s[42:43], vcc, s[2:3]
	s_and_saveexec_b64 s[40:41], s[42:43]
	s_cbranch_execz .LBB871_48
; %bb.50:                               ;   in Loop: Header=BB871_49 Depth=1
	s_add_u32 s38, s38, -1
	s_addc_u32 s39, s39, -1
	s_cmp_eq_u64 s[38:39], 0
	s_cselect_b64 s[42:43], -1, 0
	s_andn2_b64 s[34:35], s[34:35], exec
	s_and_b64 s[42:43], s[42:43], exec
	v_lshl_add_u64 v[22:23], v[22:23], 0, 4
	v_lshl_add_u64 v[24:25], v[24:25], 0, 4
	s_andn2_b64 s[30:31], s[30:31], exec
	s_or_b64 s[34:35], s[34:35], s[42:43]
	s_branch .LBB871_48
.LBB871_51:
	s_or_b64 exec, exec, s[12:13]
	s_and_saveexec_b64 s[2:3], s[26:27]
	s_xor_b64 s[2:3], exec, s[2:3]
; %bb.52:
	v_cndmask_b32_e64 v23, v9, v3, s[10:11]
	v_cndmask_b32_e64 v22, v8, v2, s[10:11]
	;; [unrolled: 1-line block ×4, first 2 shown]
	v_mov_b64_e32 v[8:9], v[22:23]
; %bb.53:
	s_or_b64 exec, exec, s[2:3]
	v_mul_lo_u32 v24, v17, s20
	v_mul_lo_u32 v25, v16, s21
	v_mad_u64_u32 v[22:23], s[2:3], v16, s20, 0
	v_add3_u32 v23, v23, v25, v24
	v_mul_lo_u32 v34, v15, s20
	v_mul_lo_u32 v35, v14, s21
	v_mad_u64_u32 v[24:25], s[2:3], v14, s20, 0
	v_add3_u32 v25, v25, v35, v34
	v_lshl_add_u64 v[22:23], v[22:23], 2, s[22:23]
	v_lshl_add_u64 v[24:25], v[24:25], 2, s[22:23]
	s_mov_b64 s[26:27], 0
	s_mov_b64 s[38:39], s[20:21]
                                        ; implicit-def: $sgpr10_sgpr11
                                        ; implicit-def: $sgpr12_sgpr13
                                        ; implicit-def: $sgpr34_sgpr35
                                        ; implicit-def: $sgpr30_sgpr31
                                        ; implicit-def: $sgpr36_sgpr37
	s_branch .LBB871_55
.LBB871_54:                             ;   in Loop: Header=BB871_55 Depth=1
	s_or_b64 exec, exec, s[40:41]
	s_and_b64 s[2:3], s[2:3], s[36:37]
	s_or_b64 s[2:3], vcc, s[2:3]
	s_and_b64 s[40:41], exec, s[34:35]
	s_or_b64 s[26:27], s[40:41], s[26:27]
	s_andn2_b64 s[36:37], s[36:37], exec
	s_and_b64 s[2:3], s[2:3], exec
	s_andn2_b64 s[12:13], s[12:13], exec
	s_and_b64 s[40:41], s[30:31], exec
	s_andn2_b64 s[10:11], s[10:11], exec
	s_or_b64 s[36:37], s[36:37], s[2:3]
	s_or_b64 s[12:13], s[12:13], s[40:41]
	;; [unrolled: 1-line block ×3, first 2 shown]
	s_andn2_b64 exec, exec, s[26:27]
	s_cbranch_execz .LBB871_57
.LBB871_55:                             ; =>This Inner Loop Header: Depth=1
	global_load_dword v34, v[22:23], off
	global_load_dword v35, v[24:25], off
	s_or_b64 s[30:31], s[30:31], exec
	s_or_b64 s[34:35], s[34:35], exec
	s_waitcnt vmcnt(0)
	v_cmp_lt_f32_e32 vcc, v34, v35
	v_cmp_ngt_f32_e64 s[2:3], v34, v35
	s_xor_b64 s[42:43], vcc, s[2:3]
	s_and_saveexec_b64 s[40:41], s[42:43]
	s_cbranch_execz .LBB871_54
; %bb.56:                               ;   in Loop: Header=BB871_55 Depth=1
	s_add_u32 s38, s38, -1
	s_addc_u32 s39, s39, -1
	s_cmp_eq_u64 s[38:39], 0
	s_cselect_b64 s[42:43], -1, 0
	s_andn2_b64 s[34:35], s[34:35], exec
	s_and_b64 s[42:43], s[42:43], exec
	v_lshl_add_u64 v[22:23], v[22:23], 0, 4
	v_lshl_add_u64 v[24:25], v[24:25], 0, 4
	s_andn2_b64 s[30:31], s[30:31], exec
	s_or_b64 s[34:35], s[34:35], s[42:43]
	s_branch .LBB871_54
.LBB871_57:
	s_or_b64 exec, exec, s[26:27]
	s_and_saveexec_b64 s[2:3], s[12:13]
	s_xor_b64 s[2:3], exec, s[2:3]
; %bb.58:
	v_cndmask_b32_e64 v23, v17, v15, s[10:11]
	v_cndmask_b32_e64 v22, v16, v14, s[10:11]
	;; [unrolled: 1-line block ×4, first 2 shown]
	v_mov_b64_e32 v[16:17], v[22:23]
; %bb.59:
	s_or_b64 exec, exec, s[2:3]
.LBB871_60:
	s_and_b64 vcc, exec, s[0:1]
	s_cbranch_vccnz .LBB871_74
; %bb.61:
	v_mul_lo_u32 v24, v13, s20
	v_mul_lo_u32 v25, v12, s21
	v_mad_u64_u32 v[22:23], s[2:3], v12, s20, 0
	v_add3_u32 v23, v23, v25, v24
	v_mul_lo_u32 v34, v11, s20
	v_mul_lo_u32 v35, v10, s21
	v_mad_u64_u32 v[24:25], s[2:3], v10, s20, 0
	v_add3_u32 v25, v25, v35, v34
	v_lshl_add_u64 v[22:23], v[22:23], 2, s[22:23]
	v_lshl_add_u64 v[24:25], v[24:25], 2, s[22:23]
	s_mov_b64 s[12:13], 0
	s_mov_b64 s[38:39], s[20:21]
                                        ; implicit-def: $sgpr10_sgpr11
                                        ; implicit-def: $sgpr26_sgpr27
                                        ; implicit-def: $sgpr34_sgpr35
                                        ; implicit-def: $sgpr30_sgpr31
                                        ; implicit-def: $sgpr36_sgpr37
	s_branch .LBB871_63
.LBB871_62:                             ;   in Loop: Header=BB871_63 Depth=1
	s_or_b64 exec, exec, s[40:41]
	s_and_b64 s[2:3], s[2:3], s[36:37]
	s_or_b64 s[2:3], vcc, s[2:3]
	s_and_b64 s[40:41], exec, s[34:35]
	s_or_b64 s[12:13], s[40:41], s[12:13]
	s_andn2_b64 s[36:37], s[36:37], exec
	s_and_b64 s[2:3], s[2:3], exec
	s_andn2_b64 s[26:27], s[26:27], exec
	s_and_b64 s[40:41], s[30:31], exec
	s_andn2_b64 s[10:11], s[10:11], exec
	s_or_b64 s[36:37], s[36:37], s[2:3]
	s_or_b64 s[26:27], s[26:27], s[40:41]
	;; [unrolled: 1-line block ×3, first 2 shown]
	s_andn2_b64 exec, exec, s[12:13]
	s_cbranch_execz .LBB871_65
.LBB871_63:                             ; =>This Inner Loop Header: Depth=1
	global_load_dword v34, v[22:23], off
	global_load_dword v35, v[24:25], off
	s_or_b64 s[30:31], s[30:31], exec
	s_or_b64 s[34:35], s[34:35], exec
	s_waitcnt vmcnt(0)
	v_cmp_lt_f32_e32 vcc, v34, v35
	v_cmp_ngt_f32_e64 s[2:3], v34, v35
	s_xor_b64 s[42:43], vcc, s[2:3]
	s_and_saveexec_b64 s[40:41], s[42:43]
	s_cbranch_execz .LBB871_62
; %bb.64:                               ;   in Loop: Header=BB871_63 Depth=1
	s_add_u32 s38, s38, -1
	s_addc_u32 s39, s39, -1
	s_cmp_eq_u64 s[38:39], 0
	s_cselect_b64 s[42:43], -1, 0
	s_andn2_b64 s[34:35], s[34:35], exec
	s_and_b64 s[42:43], s[42:43], exec
	v_lshl_add_u64 v[22:23], v[22:23], 0, 4
	v_lshl_add_u64 v[24:25], v[24:25], 0, 4
	s_andn2_b64 s[30:31], s[30:31], exec
	s_or_b64 s[34:35], s[34:35], s[42:43]
	s_branch .LBB871_62
.LBB871_65:
	s_or_b64 exec, exec, s[12:13]
	s_and_saveexec_b64 s[2:3], s[26:27]
	s_xor_b64 s[2:3], exec, s[2:3]
; %bb.66:
	v_cndmask_b32_e64 v23, v11, v13, s[10:11]
	v_cndmask_b32_e64 v22, v10, v12, s[10:11]
	;; [unrolled: 1-line block ×4, first 2 shown]
	v_mov_b64_e32 v[10:11], v[22:23]
; %bb.67:
	s_or_b64 exec, exec, s[2:3]
	v_mul_lo_u32 v24, v9, s20
	v_mul_lo_u32 v25, v8, s21
	v_mad_u64_u32 v[22:23], s[2:3], v8, s20, 0
	v_add3_u32 v23, v23, v25, v24
	v_mul_lo_u32 v34, v7, s20
	v_mul_lo_u32 v35, v6, s21
	v_mad_u64_u32 v[24:25], s[2:3], v6, s20, 0
	v_add3_u32 v25, v25, v35, v34
	v_lshl_add_u64 v[22:23], v[22:23], 2, s[22:23]
	v_lshl_add_u64 v[24:25], v[24:25], 2, s[22:23]
	s_mov_b64 s[26:27], 0
	s_mov_b64 s[38:39], s[20:21]
                                        ; implicit-def: $sgpr10_sgpr11
                                        ; implicit-def: $sgpr12_sgpr13
                                        ; implicit-def: $sgpr34_sgpr35
                                        ; implicit-def: $sgpr30_sgpr31
                                        ; implicit-def: $sgpr36_sgpr37
	s_branch .LBB871_69
.LBB871_68:                             ;   in Loop: Header=BB871_69 Depth=1
	s_or_b64 exec, exec, s[40:41]
	s_and_b64 s[2:3], s[2:3], s[36:37]
	s_or_b64 s[2:3], vcc, s[2:3]
	s_and_b64 s[40:41], exec, s[34:35]
	s_or_b64 s[26:27], s[40:41], s[26:27]
	s_andn2_b64 s[36:37], s[36:37], exec
	s_and_b64 s[2:3], s[2:3], exec
	s_andn2_b64 s[12:13], s[12:13], exec
	s_and_b64 s[40:41], s[30:31], exec
	s_andn2_b64 s[10:11], s[10:11], exec
	s_or_b64 s[36:37], s[36:37], s[2:3]
	s_or_b64 s[12:13], s[12:13], s[40:41]
	;; [unrolled: 1-line block ×3, first 2 shown]
	s_andn2_b64 exec, exec, s[26:27]
	s_cbranch_execz .LBB871_71
.LBB871_69:                             ; =>This Inner Loop Header: Depth=1
	global_load_dword v34, v[22:23], off
	global_load_dword v35, v[24:25], off
	s_or_b64 s[30:31], s[30:31], exec
	s_or_b64 s[34:35], s[34:35], exec
	s_waitcnt vmcnt(0)
	v_cmp_lt_f32_e32 vcc, v34, v35
	v_cmp_ngt_f32_e64 s[2:3], v34, v35
	s_xor_b64 s[42:43], vcc, s[2:3]
	s_and_saveexec_b64 s[40:41], s[42:43]
	s_cbranch_execz .LBB871_68
; %bb.70:                               ;   in Loop: Header=BB871_69 Depth=1
	s_add_u32 s38, s38, -1
	s_addc_u32 s39, s39, -1
	s_cmp_eq_u64 s[38:39], 0
	s_cselect_b64 s[42:43], -1, 0
	s_andn2_b64 s[34:35], s[34:35], exec
	s_and_b64 s[42:43], s[42:43], exec
	v_lshl_add_u64 v[22:23], v[22:23], 0, 4
	v_lshl_add_u64 v[24:25], v[24:25], 0, 4
	s_andn2_b64 s[30:31], s[30:31], exec
	s_or_b64 s[34:35], s[34:35], s[42:43]
	s_branch .LBB871_68
.LBB871_71:
	s_or_b64 exec, exec, s[26:27]
	s_and_saveexec_b64 s[2:3], s[12:13]
	s_xor_b64 s[2:3], exec, s[2:3]
; %bb.72:
	v_cndmask_b32_e64 v23, v7, v9, s[10:11]
	v_cndmask_b32_e64 v22, v6, v8, s[10:11]
	;; [unrolled: 1-line block ×4, first 2 shown]
	v_mov_b64_e32 v[6:7], v[22:23]
; %bb.73:
	s_or_b64 exec, exec, s[2:3]
.LBB871_74:
	s_and_b64 vcc, exec, s[0:1]
	s_cbranch_vccnz .LBB871_88
; %bb.75:
	v_mul_lo_u32 v24, v5, s20
	v_mul_lo_u32 v25, v4, s21
	v_mad_u64_u32 v[22:23], s[2:3], v4, s20, 0
	v_add3_u32 v23, v23, v25, v24
	v_mul_lo_u32 v34, v3, s20
	v_mul_lo_u32 v35, v2, s21
	v_mad_u64_u32 v[24:25], s[2:3], v2, s20, 0
	v_add3_u32 v25, v25, v35, v34
	v_lshl_add_u64 v[22:23], v[22:23], 2, s[22:23]
	v_lshl_add_u64 v[24:25], v[24:25], 2, s[22:23]
	s_mov_b64 s[12:13], 0
	s_mov_b64 s[38:39], s[20:21]
                                        ; implicit-def: $sgpr10_sgpr11
                                        ; implicit-def: $sgpr26_sgpr27
                                        ; implicit-def: $sgpr34_sgpr35
                                        ; implicit-def: $sgpr30_sgpr31
                                        ; implicit-def: $sgpr36_sgpr37
	s_branch .LBB871_77
.LBB871_76:                             ;   in Loop: Header=BB871_77 Depth=1
	s_or_b64 exec, exec, s[40:41]
	s_and_b64 s[2:3], s[2:3], s[36:37]
	s_or_b64 s[2:3], vcc, s[2:3]
	s_and_b64 s[40:41], exec, s[34:35]
	s_or_b64 s[12:13], s[40:41], s[12:13]
	s_andn2_b64 s[36:37], s[36:37], exec
	s_and_b64 s[2:3], s[2:3], exec
	s_andn2_b64 s[26:27], s[26:27], exec
	s_and_b64 s[40:41], s[30:31], exec
	s_andn2_b64 s[10:11], s[10:11], exec
	s_or_b64 s[36:37], s[36:37], s[2:3]
	s_or_b64 s[26:27], s[26:27], s[40:41]
	;; [unrolled: 1-line block ×3, first 2 shown]
	s_andn2_b64 exec, exec, s[12:13]
	s_cbranch_execz .LBB871_79
.LBB871_77:                             ; =>This Inner Loop Header: Depth=1
	global_load_dword v34, v[22:23], off
	global_load_dword v35, v[24:25], off
	s_or_b64 s[30:31], s[30:31], exec
	s_or_b64 s[34:35], s[34:35], exec
	s_waitcnt vmcnt(0)
	v_cmp_lt_f32_e32 vcc, v34, v35
	v_cmp_ngt_f32_e64 s[2:3], v34, v35
	s_xor_b64 s[42:43], vcc, s[2:3]
	s_and_saveexec_b64 s[40:41], s[42:43]
	s_cbranch_execz .LBB871_76
; %bb.78:                               ;   in Loop: Header=BB871_77 Depth=1
	s_add_u32 s38, s38, -1
	s_addc_u32 s39, s39, -1
	s_cmp_eq_u64 s[38:39], 0
	s_cselect_b64 s[42:43], -1, 0
	s_andn2_b64 s[34:35], s[34:35], exec
	s_and_b64 s[42:43], s[42:43], exec
	v_lshl_add_u64 v[22:23], v[22:23], 0, 4
	v_lshl_add_u64 v[24:25], v[24:25], 0, 4
	s_andn2_b64 s[30:31], s[30:31], exec
	s_or_b64 s[34:35], s[34:35], s[42:43]
	s_branch .LBB871_76
.LBB871_79:
	s_or_b64 exec, exec, s[12:13]
	s_and_saveexec_b64 s[2:3], s[26:27]
	s_xor_b64 s[2:3], exec, s[2:3]
; %bb.80:
	v_cndmask_b32_e64 v23, v3, v5, s[10:11]
	v_cndmask_b32_e64 v22, v2, v4, s[10:11]
	;; [unrolled: 1-line block ×4, first 2 shown]
	v_mov_b64_e32 v[2:3], v[22:23]
; %bb.81:
	s_or_b64 exec, exec, s[2:3]
	v_mul_lo_u32 v24, v11, s20
	v_mul_lo_u32 v25, v10, s21
	v_mad_u64_u32 v[22:23], s[2:3], v10, s20, 0
	v_add3_u32 v23, v23, v25, v24
	v_mul_lo_u32 v34, v17, s20
	v_mul_lo_u32 v35, v16, s21
	v_mad_u64_u32 v[24:25], s[2:3], v16, s20, 0
	v_add3_u32 v25, v25, v35, v34
	v_lshl_add_u64 v[22:23], v[22:23], 2, s[22:23]
	v_lshl_add_u64 v[24:25], v[24:25], 2, s[22:23]
	s_mov_b64 s[26:27], 0
	s_mov_b64 s[38:39], s[20:21]
                                        ; implicit-def: $sgpr10_sgpr11
                                        ; implicit-def: $sgpr12_sgpr13
                                        ; implicit-def: $sgpr34_sgpr35
                                        ; implicit-def: $sgpr30_sgpr31
                                        ; implicit-def: $sgpr36_sgpr37
	s_branch .LBB871_83
.LBB871_82:                             ;   in Loop: Header=BB871_83 Depth=1
	s_or_b64 exec, exec, s[40:41]
	s_and_b64 s[2:3], s[2:3], s[36:37]
	s_or_b64 s[2:3], vcc, s[2:3]
	s_and_b64 s[40:41], exec, s[34:35]
	s_or_b64 s[26:27], s[40:41], s[26:27]
	s_andn2_b64 s[36:37], s[36:37], exec
	s_and_b64 s[2:3], s[2:3], exec
	s_andn2_b64 s[12:13], s[12:13], exec
	s_and_b64 s[40:41], s[30:31], exec
	s_andn2_b64 s[10:11], s[10:11], exec
	s_or_b64 s[36:37], s[36:37], s[2:3]
	s_or_b64 s[12:13], s[12:13], s[40:41]
	;; [unrolled: 1-line block ×3, first 2 shown]
	s_andn2_b64 exec, exec, s[26:27]
	s_cbranch_execz .LBB871_85
.LBB871_83:                             ; =>This Inner Loop Header: Depth=1
	global_load_dword v34, v[22:23], off
	global_load_dword v35, v[24:25], off
	s_or_b64 s[30:31], s[30:31], exec
	s_or_b64 s[34:35], s[34:35], exec
	s_waitcnt vmcnt(0)
	v_cmp_lt_f32_e32 vcc, v34, v35
	v_cmp_ngt_f32_e64 s[2:3], v34, v35
	s_xor_b64 s[42:43], vcc, s[2:3]
	s_and_saveexec_b64 s[40:41], s[42:43]
	s_cbranch_execz .LBB871_82
; %bb.84:                               ;   in Loop: Header=BB871_83 Depth=1
	s_add_u32 s38, s38, -1
	s_addc_u32 s39, s39, -1
	s_cmp_eq_u64 s[38:39], 0
	s_cselect_b64 s[42:43], -1, 0
	s_andn2_b64 s[34:35], s[34:35], exec
	s_and_b64 s[42:43], s[42:43], exec
	v_lshl_add_u64 v[22:23], v[22:23], 0, 4
	v_lshl_add_u64 v[24:25], v[24:25], 0, 4
	s_andn2_b64 s[30:31], s[30:31], exec
	s_or_b64 s[34:35], s[34:35], s[42:43]
	s_branch .LBB871_82
.LBB871_85:
	s_or_b64 exec, exec, s[26:27]
	s_and_saveexec_b64 s[2:3], s[12:13]
	s_xor_b64 s[2:3], exec, s[2:3]
; %bb.86:
	v_cndmask_b32_e64 v23, v17, v11, s[10:11]
	v_cndmask_b32_e64 v22, v16, v10, s[10:11]
	;; [unrolled: 1-line block ×4, first 2 shown]
	v_mov_b64_e32 v[16:17], v[22:23]
; %bb.87:
	s_or_b64 exec, exec, s[2:3]
.LBB871_88:
	s_and_b64 vcc, exec, s[0:1]
	s_cbranch_vccnz .LBB871_102
; %bb.89:
	v_mul_lo_u32 v24, v7, s20
	v_mul_lo_u32 v25, v6, s21
	v_mad_u64_u32 v[22:23], s[2:3], v6, s20, 0
	v_add3_u32 v23, v23, v25, v24
	v_mul_lo_u32 v34, v13, s20
	v_mul_lo_u32 v35, v12, s21
	v_mad_u64_u32 v[24:25], s[2:3], v12, s20, 0
	v_add3_u32 v25, v25, v35, v34
	v_lshl_add_u64 v[22:23], v[22:23], 2, s[22:23]
	v_lshl_add_u64 v[24:25], v[24:25], 2, s[22:23]
	s_mov_b64 s[12:13], 0
	s_mov_b64 s[38:39], s[20:21]
                                        ; implicit-def: $sgpr10_sgpr11
                                        ; implicit-def: $sgpr26_sgpr27
                                        ; implicit-def: $sgpr34_sgpr35
                                        ; implicit-def: $sgpr30_sgpr31
                                        ; implicit-def: $sgpr36_sgpr37
	s_branch .LBB871_91
.LBB871_90:                             ;   in Loop: Header=BB871_91 Depth=1
	s_or_b64 exec, exec, s[40:41]
	s_and_b64 s[2:3], s[2:3], s[36:37]
	s_or_b64 s[2:3], vcc, s[2:3]
	s_and_b64 s[40:41], exec, s[34:35]
	s_or_b64 s[12:13], s[40:41], s[12:13]
	s_andn2_b64 s[36:37], s[36:37], exec
	s_and_b64 s[2:3], s[2:3], exec
	s_andn2_b64 s[26:27], s[26:27], exec
	s_and_b64 s[40:41], s[30:31], exec
	s_andn2_b64 s[10:11], s[10:11], exec
	s_or_b64 s[36:37], s[36:37], s[2:3]
	s_or_b64 s[26:27], s[26:27], s[40:41]
	s_or_b64 s[10:11], s[10:11], s[2:3]
	s_andn2_b64 exec, exec, s[12:13]
	s_cbranch_execz .LBB871_93
.LBB871_91:                             ; =>This Inner Loop Header: Depth=1
	global_load_dword v34, v[22:23], off
	global_load_dword v35, v[24:25], off
	s_or_b64 s[30:31], s[30:31], exec
	s_or_b64 s[34:35], s[34:35], exec
	s_waitcnt vmcnt(0)
	v_cmp_lt_f32_e32 vcc, v34, v35
	v_cmp_ngt_f32_e64 s[2:3], v34, v35
	s_xor_b64 s[42:43], vcc, s[2:3]
	s_and_saveexec_b64 s[40:41], s[42:43]
	s_cbranch_execz .LBB871_90
; %bb.92:                               ;   in Loop: Header=BB871_91 Depth=1
	s_add_u32 s38, s38, -1
	s_addc_u32 s39, s39, -1
	s_cmp_eq_u64 s[38:39], 0
	s_cselect_b64 s[42:43], -1, 0
	s_andn2_b64 s[34:35], s[34:35], exec
	s_and_b64 s[42:43], s[42:43], exec
	v_lshl_add_u64 v[22:23], v[22:23], 0, 4
	v_lshl_add_u64 v[24:25], v[24:25], 0, 4
	s_andn2_b64 s[30:31], s[30:31], exec
	s_or_b64 s[34:35], s[34:35], s[42:43]
	s_branch .LBB871_90
.LBB871_93:
	s_or_b64 exec, exec, s[12:13]
	s_and_saveexec_b64 s[2:3], s[26:27]
	s_xor_b64 s[2:3], exec, s[2:3]
; %bb.94:
	v_cndmask_b32_e64 v23, v13, v7, s[10:11]
	v_cndmask_b32_e64 v22, v12, v6, s[10:11]
	;; [unrolled: 1-line block ×4, first 2 shown]
	v_mov_b64_e32 v[12:13], v[22:23]
; %bb.95:
	s_or_b64 exec, exec, s[2:3]
	v_mul_lo_u32 v24, v3, s20
	v_mul_lo_u32 v25, v2, s21
	v_mad_u64_u32 v[22:23], s[2:3], v2, s20, 0
	v_add3_u32 v23, v23, v25, v24
	v_mul_lo_u32 v34, v9, s20
	v_mul_lo_u32 v35, v8, s21
	v_mad_u64_u32 v[24:25], s[2:3], v8, s20, 0
	v_add3_u32 v25, v25, v35, v34
	v_lshl_add_u64 v[22:23], v[22:23], 2, s[22:23]
	v_lshl_add_u64 v[24:25], v[24:25], 2, s[22:23]
	s_mov_b64 s[26:27], 0
	s_mov_b64 s[38:39], s[20:21]
                                        ; implicit-def: $sgpr10_sgpr11
                                        ; implicit-def: $sgpr12_sgpr13
                                        ; implicit-def: $sgpr34_sgpr35
                                        ; implicit-def: $sgpr30_sgpr31
                                        ; implicit-def: $sgpr36_sgpr37
	s_branch .LBB871_97
.LBB871_96:                             ;   in Loop: Header=BB871_97 Depth=1
	s_or_b64 exec, exec, s[40:41]
	s_and_b64 s[2:3], s[2:3], s[36:37]
	s_or_b64 s[2:3], vcc, s[2:3]
	s_and_b64 s[40:41], exec, s[34:35]
	s_or_b64 s[26:27], s[40:41], s[26:27]
	s_andn2_b64 s[36:37], s[36:37], exec
	s_and_b64 s[2:3], s[2:3], exec
	s_andn2_b64 s[12:13], s[12:13], exec
	s_and_b64 s[40:41], s[30:31], exec
	s_andn2_b64 s[10:11], s[10:11], exec
	s_or_b64 s[36:37], s[36:37], s[2:3]
	s_or_b64 s[12:13], s[12:13], s[40:41]
	;; [unrolled: 1-line block ×3, first 2 shown]
	s_andn2_b64 exec, exec, s[26:27]
	s_cbranch_execz .LBB871_99
.LBB871_97:                             ; =>This Inner Loop Header: Depth=1
	global_load_dword v34, v[22:23], off
	global_load_dword v35, v[24:25], off
	s_or_b64 s[30:31], s[30:31], exec
	s_or_b64 s[34:35], s[34:35], exec
	s_waitcnt vmcnt(0)
	v_cmp_lt_f32_e32 vcc, v34, v35
	v_cmp_ngt_f32_e64 s[2:3], v34, v35
	s_xor_b64 s[42:43], vcc, s[2:3]
	s_and_saveexec_b64 s[40:41], s[42:43]
	s_cbranch_execz .LBB871_96
; %bb.98:                               ;   in Loop: Header=BB871_97 Depth=1
	s_add_u32 s38, s38, -1
	s_addc_u32 s39, s39, -1
	s_cmp_eq_u64 s[38:39], 0
	s_cselect_b64 s[42:43], -1, 0
	s_andn2_b64 s[34:35], s[34:35], exec
	s_and_b64 s[42:43], s[42:43], exec
	v_lshl_add_u64 v[22:23], v[22:23], 0, 4
	v_lshl_add_u64 v[24:25], v[24:25], 0, 4
	s_andn2_b64 s[30:31], s[30:31], exec
	s_or_b64 s[34:35], s[34:35], s[42:43]
	s_branch .LBB871_96
.LBB871_99:
	s_or_b64 exec, exec, s[26:27]
	s_and_saveexec_b64 s[2:3], s[12:13]
	s_xor_b64 s[2:3], exec, s[2:3]
; %bb.100:
	v_cndmask_b32_e64 v23, v9, v3, s[10:11]
	v_cndmask_b32_e64 v22, v8, v2, s[10:11]
	;; [unrolled: 1-line block ×4, first 2 shown]
	v_mov_b64_e32 v[8:9], v[22:23]
; %bb.101:
	s_or_b64 exec, exec, s[2:3]
.LBB871_102:
	s_and_b64 vcc, exec, s[0:1]
	s_cbranch_vccnz .LBB871_116
; %bb.103:
	v_mul_lo_u32 v24, v17, s20
	v_mul_lo_u32 v25, v16, s21
	v_mad_u64_u32 v[22:23], s[2:3], v16, s20, 0
	v_add3_u32 v23, v23, v25, v24
	v_mul_lo_u32 v34, v15, s20
	v_mul_lo_u32 v35, v14, s21
	v_mad_u64_u32 v[24:25], s[2:3], v14, s20, 0
	v_add3_u32 v25, v25, v35, v34
	v_lshl_add_u64 v[22:23], v[22:23], 2, s[22:23]
	v_lshl_add_u64 v[24:25], v[24:25], 2, s[22:23]
	s_mov_b64 s[12:13], 0
	s_mov_b64 s[38:39], s[20:21]
                                        ; implicit-def: $sgpr10_sgpr11
                                        ; implicit-def: $sgpr26_sgpr27
                                        ; implicit-def: $sgpr34_sgpr35
                                        ; implicit-def: $sgpr30_sgpr31
                                        ; implicit-def: $sgpr36_sgpr37
	s_branch .LBB871_105
.LBB871_104:                            ;   in Loop: Header=BB871_105 Depth=1
	s_or_b64 exec, exec, s[40:41]
	s_and_b64 s[2:3], s[2:3], s[36:37]
	s_or_b64 s[2:3], vcc, s[2:3]
	s_and_b64 s[40:41], exec, s[34:35]
	s_or_b64 s[12:13], s[40:41], s[12:13]
	s_andn2_b64 s[36:37], s[36:37], exec
	s_and_b64 s[2:3], s[2:3], exec
	s_andn2_b64 s[26:27], s[26:27], exec
	s_and_b64 s[40:41], s[30:31], exec
	s_andn2_b64 s[10:11], s[10:11], exec
	s_or_b64 s[36:37], s[36:37], s[2:3]
	s_or_b64 s[26:27], s[26:27], s[40:41]
	;; [unrolled: 1-line block ×3, first 2 shown]
	s_andn2_b64 exec, exec, s[12:13]
	s_cbranch_execz .LBB871_107
.LBB871_105:                            ; =>This Inner Loop Header: Depth=1
	global_load_dword v34, v[22:23], off
	global_load_dword v35, v[24:25], off
	s_or_b64 s[30:31], s[30:31], exec
	s_or_b64 s[34:35], s[34:35], exec
	s_waitcnt vmcnt(0)
	v_cmp_lt_f32_e32 vcc, v34, v35
	v_cmp_ngt_f32_e64 s[2:3], v34, v35
	s_xor_b64 s[42:43], vcc, s[2:3]
	s_and_saveexec_b64 s[40:41], s[42:43]
	s_cbranch_execz .LBB871_104
; %bb.106:                              ;   in Loop: Header=BB871_105 Depth=1
	s_add_u32 s38, s38, -1
	s_addc_u32 s39, s39, -1
	s_cmp_eq_u64 s[38:39], 0
	s_cselect_b64 s[42:43], -1, 0
	s_andn2_b64 s[34:35], s[34:35], exec
	s_and_b64 s[42:43], s[42:43], exec
	v_lshl_add_u64 v[22:23], v[22:23], 0, 4
	v_lshl_add_u64 v[24:25], v[24:25], 0, 4
	s_andn2_b64 s[30:31], s[30:31], exec
	s_or_b64 s[34:35], s[34:35], s[42:43]
	s_branch .LBB871_104
.LBB871_107:
	s_or_b64 exec, exec, s[12:13]
	s_and_saveexec_b64 s[2:3], s[26:27]
	s_xor_b64 s[2:3], exec, s[2:3]
; %bb.108:
	v_cndmask_b32_e64 v23, v17, v15, s[10:11]
	v_cndmask_b32_e64 v22, v16, v14, s[10:11]
	;; [unrolled: 1-line block ×4, first 2 shown]
	v_mov_b64_e32 v[16:17], v[22:23]
; %bb.109:
	s_or_b64 exec, exec, s[2:3]
	v_mul_lo_u32 v24, v13, s20
	v_mul_lo_u32 v25, v12, s21
	v_mad_u64_u32 v[22:23], s[2:3], v12, s20, 0
	v_add3_u32 v23, v23, v25, v24
	v_mul_lo_u32 v34, v11, s20
	v_mul_lo_u32 v35, v10, s21
	v_mad_u64_u32 v[24:25], s[2:3], v10, s20, 0
	v_add3_u32 v25, v25, v35, v34
	v_lshl_add_u64 v[22:23], v[22:23], 2, s[22:23]
	v_lshl_add_u64 v[24:25], v[24:25], 2, s[22:23]
	s_mov_b64 s[26:27], 0
	s_mov_b64 s[38:39], s[20:21]
                                        ; implicit-def: $sgpr10_sgpr11
                                        ; implicit-def: $sgpr12_sgpr13
                                        ; implicit-def: $sgpr34_sgpr35
                                        ; implicit-def: $sgpr30_sgpr31
                                        ; implicit-def: $sgpr36_sgpr37
	s_branch .LBB871_111
.LBB871_110:                            ;   in Loop: Header=BB871_111 Depth=1
	s_or_b64 exec, exec, s[40:41]
	s_and_b64 s[2:3], s[2:3], s[36:37]
	s_or_b64 s[2:3], vcc, s[2:3]
	s_and_b64 s[40:41], exec, s[34:35]
	s_or_b64 s[26:27], s[40:41], s[26:27]
	s_andn2_b64 s[36:37], s[36:37], exec
	s_and_b64 s[2:3], s[2:3], exec
	s_andn2_b64 s[12:13], s[12:13], exec
	s_and_b64 s[40:41], s[30:31], exec
	s_andn2_b64 s[10:11], s[10:11], exec
	s_or_b64 s[36:37], s[36:37], s[2:3]
	s_or_b64 s[12:13], s[12:13], s[40:41]
	;; [unrolled: 1-line block ×3, first 2 shown]
	s_andn2_b64 exec, exec, s[26:27]
	s_cbranch_execz .LBB871_113
.LBB871_111:                            ; =>This Inner Loop Header: Depth=1
	global_load_dword v34, v[22:23], off
	global_load_dword v35, v[24:25], off
	s_or_b64 s[30:31], s[30:31], exec
	s_or_b64 s[34:35], s[34:35], exec
	s_waitcnt vmcnt(0)
	v_cmp_lt_f32_e32 vcc, v34, v35
	v_cmp_ngt_f32_e64 s[2:3], v34, v35
	s_xor_b64 s[42:43], vcc, s[2:3]
	s_and_saveexec_b64 s[40:41], s[42:43]
	s_cbranch_execz .LBB871_110
; %bb.112:                              ;   in Loop: Header=BB871_111 Depth=1
	s_add_u32 s38, s38, -1
	s_addc_u32 s39, s39, -1
	s_cmp_eq_u64 s[38:39], 0
	s_cselect_b64 s[42:43], -1, 0
	s_andn2_b64 s[34:35], s[34:35], exec
	s_and_b64 s[42:43], s[42:43], exec
	v_lshl_add_u64 v[22:23], v[22:23], 0, 4
	v_lshl_add_u64 v[24:25], v[24:25], 0, 4
	s_andn2_b64 s[30:31], s[30:31], exec
	s_or_b64 s[34:35], s[34:35], s[42:43]
	s_branch .LBB871_110
.LBB871_113:
	s_or_b64 exec, exec, s[26:27]
	s_and_saveexec_b64 s[2:3], s[12:13]
	s_xor_b64 s[2:3], exec, s[2:3]
; %bb.114:
	v_cndmask_b32_e64 v23, v11, v13, s[10:11]
	v_cndmask_b32_e64 v22, v10, v12, s[10:11]
	;; [unrolled: 1-line block ×4, first 2 shown]
	v_mov_b64_e32 v[10:11], v[22:23]
; %bb.115:
	s_or_b64 exec, exec, s[2:3]
.LBB871_116:
	s_and_b64 vcc, exec, s[0:1]
	s_cbranch_vccnz .LBB871_190
; %bb.117:
	v_mul_lo_u32 v24, v9, s20
	v_mul_lo_u32 v25, v8, s21
	v_mad_u64_u32 v[22:23], s[2:3], v8, s20, 0
	v_add3_u32 v23, v23, v25, v24
	v_mul_lo_u32 v34, v7, s20
	v_mul_lo_u32 v35, v6, s21
	v_mad_u64_u32 v[24:25], s[2:3], v6, s20, 0
	v_add3_u32 v25, v25, v35, v34
	v_lshl_add_u64 v[22:23], v[22:23], 2, s[22:23]
	v_lshl_add_u64 v[24:25], v[24:25], 2, s[22:23]
	s_mov_b64 s[12:13], 0
	s_mov_b64 s[38:39], s[20:21]
                                        ; implicit-def: $sgpr10_sgpr11
                                        ; implicit-def: $sgpr26_sgpr27
                                        ; implicit-def: $sgpr34_sgpr35
                                        ; implicit-def: $sgpr30_sgpr31
                                        ; implicit-def: $sgpr36_sgpr37
	s_branch .LBB871_119
.LBB871_118:                            ;   in Loop: Header=BB871_119 Depth=1
	s_or_b64 exec, exec, s[40:41]
	s_and_b64 s[2:3], s[2:3], s[36:37]
	s_or_b64 s[2:3], vcc, s[2:3]
	s_and_b64 s[40:41], exec, s[34:35]
	s_or_b64 s[12:13], s[40:41], s[12:13]
	s_andn2_b64 s[36:37], s[36:37], exec
	s_and_b64 s[2:3], s[2:3], exec
	s_andn2_b64 s[26:27], s[26:27], exec
	s_and_b64 s[40:41], s[30:31], exec
	s_andn2_b64 s[10:11], s[10:11], exec
	s_or_b64 s[36:37], s[36:37], s[2:3]
	s_or_b64 s[26:27], s[26:27], s[40:41]
	;; [unrolled: 1-line block ×3, first 2 shown]
	s_andn2_b64 exec, exec, s[12:13]
	s_cbranch_execz .LBB871_121
.LBB871_119:                            ; =>This Inner Loop Header: Depth=1
	global_load_dword v34, v[22:23], off
	global_load_dword v35, v[24:25], off
	s_or_b64 s[30:31], s[30:31], exec
	s_or_b64 s[34:35], s[34:35], exec
	s_waitcnt vmcnt(0)
	v_cmp_lt_f32_e32 vcc, v34, v35
	v_cmp_ngt_f32_e64 s[2:3], v34, v35
	s_xor_b64 s[42:43], vcc, s[2:3]
	s_and_saveexec_b64 s[40:41], s[42:43]
	s_cbranch_execz .LBB871_118
; %bb.120:                              ;   in Loop: Header=BB871_119 Depth=1
	s_add_u32 s38, s38, -1
	s_addc_u32 s39, s39, -1
	s_cmp_eq_u64 s[38:39], 0
	s_cselect_b64 s[42:43], -1, 0
	s_andn2_b64 s[34:35], s[34:35], exec
	s_and_b64 s[42:43], s[42:43], exec
	v_lshl_add_u64 v[22:23], v[22:23], 0, 4
	v_lshl_add_u64 v[24:25], v[24:25], 0, 4
	s_andn2_b64 s[30:31], s[30:31], exec
	s_or_b64 s[34:35], s[34:35], s[42:43]
	s_branch .LBB871_118
.LBB871_121:
	s_or_b64 exec, exec, s[12:13]
	s_and_saveexec_b64 s[2:3], s[26:27]
	s_xor_b64 s[2:3], exec, s[2:3]
; %bb.122:
	v_cndmask_b32_e64 v23, v7, v9, s[10:11]
	v_cndmask_b32_e64 v22, v6, v8, s[10:11]
	;; [unrolled: 1-line block ×4, first 2 shown]
	v_mov_b64_e32 v[6:7], v[22:23]
; %bb.123:
	s_or_b64 exec, exec, s[2:3]
	v_mul_lo_u32 v24, v5, s20
	v_mul_lo_u32 v25, v4, s21
	v_mad_u64_u32 v[22:23], s[2:3], v4, s20, 0
	v_add3_u32 v23, v23, v25, v24
	v_mul_lo_u32 v34, v3, s20
	v_mul_lo_u32 v35, v2, s21
	v_mad_u64_u32 v[24:25], s[2:3], v2, s20, 0
	v_add3_u32 v25, v25, v35, v34
	v_lshl_add_u64 v[22:23], v[22:23], 2, s[22:23]
	v_lshl_add_u64 v[24:25], v[24:25], 2, s[22:23]
	s_mov_b64 s[12:13], 0
	s_mov_b64 s[38:39], s[20:21]
                                        ; implicit-def: $sgpr10_sgpr11
                                        ; implicit-def: $sgpr26_sgpr27
                                        ; implicit-def: $sgpr34_sgpr35
                                        ; implicit-def: $sgpr30_sgpr31
                                        ; implicit-def: $sgpr36_sgpr37
	s_branch .LBB871_125
.LBB871_124:                            ;   in Loop: Header=BB871_125 Depth=1
	s_or_b64 exec, exec, s[40:41]
	s_and_b64 s[2:3], s[2:3], s[36:37]
	s_or_b64 s[2:3], vcc, s[2:3]
	s_and_b64 s[40:41], exec, s[34:35]
	s_or_b64 s[12:13], s[40:41], s[12:13]
	s_andn2_b64 s[36:37], s[36:37], exec
	s_and_b64 s[2:3], s[2:3], exec
	s_andn2_b64 s[26:27], s[26:27], exec
	s_and_b64 s[40:41], s[30:31], exec
	s_andn2_b64 s[10:11], s[10:11], exec
	s_or_b64 s[36:37], s[36:37], s[2:3]
	s_or_b64 s[26:27], s[26:27], s[40:41]
	;; [unrolled: 1-line block ×3, first 2 shown]
	s_andn2_b64 exec, exec, s[12:13]
	s_cbranch_execz .LBB871_127
.LBB871_125:                            ; =>This Inner Loop Header: Depth=1
	global_load_dword v34, v[22:23], off
	global_load_dword v35, v[24:25], off
	s_or_b64 s[30:31], s[30:31], exec
	s_or_b64 s[34:35], s[34:35], exec
	s_waitcnt vmcnt(0)
	v_cmp_lt_f32_e32 vcc, v34, v35
	v_cmp_ngt_f32_e64 s[2:3], v34, v35
	s_xor_b64 s[42:43], vcc, s[2:3]
	s_and_saveexec_b64 s[40:41], s[42:43]
	s_cbranch_execz .LBB871_124
; %bb.126:                              ;   in Loop: Header=BB871_125 Depth=1
	s_add_u32 s38, s38, -1
	s_addc_u32 s39, s39, -1
	s_cmp_eq_u64 s[38:39], 0
	s_cselect_b64 s[42:43], -1, 0
	s_andn2_b64 s[34:35], s[34:35], exec
	s_and_b64 s[42:43], s[42:43], exec
	v_lshl_add_u64 v[22:23], v[22:23], 0, 4
	v_lshl_add_u64 v[24:25], v[24:25], 0, 4
	s_andn2_b64 s[30:31], s[30:31], exec
	s_or_b64 s[34:35], s[34:35], s[42:43]
	s_branch .LBB871_124
.LBB871_127:
	s_or_b64 exec, exec, s[12:13]
	s_and_saveexec_b64 s[2:3], s[26:27]
	s_xor_b64 s[2:3], exec, s[2:3]
; %bb.128:
	v_cndmask_b32_e64 v23, v3, v5, s[10:11]
	v_cndmask_b32_e64 v22, v2, v4, s[10:11]
	v_cndmask_b32_e64 v5, v5, v3, s[10:11]
	v_cndmask_b32_e64 v4, v4, v2, s[10:11]
	v_mov_b64_e32 v[2:3], v[22:23]
; %bb.129:
	s_or_b64 exec, exec, s[2:3]
	v_mul_lo_u32 v24, v11, s20
	v_mul_lo_u32 v25, v10, s21
	v_mad_u64_u32 v[22:23], s[2:3], v10, s20, 0
	v_add3_u32 v23, v23, v25, v24
	v_mul_lo_u32 v34, v17, s20
	v_mul_lo_u32 v35, v16, s21
	v_mad_u64_u32 v[24:25], s[2:3], v16, s20, 0
	v_add3_u32 v25, v25, v35, v34
	v_lshl_add_u64 v[22:23], v[22:23], 2, s[22:23]
	v_lshl_add_u64 v[24:25], v[24:25], 2, s[22:23]
	s_mov_b64 s[12:13], 0
	s_mov_b64 s[38:39], s[20:21]
                                        ; implicit-def: $sgpr10_sgpr11
                                        ; implicit-def: $sgpr26_sgpr27
                                        ; implicit-def: $sgpr34_sgpr35
                                        ; implicit-def: $sgpr30_sgpr31
                                        ; implicit-def: $sgpr36_sgpr37
	s_branch .LBB871_131
.LBB871_130:                            ;   in Loop: Header=BB871_131 Depth=1
	s_or_b64 exec, exec, s[40:41]
	s_and_b64 s[2:3], s[2:3], s[36:37]
	s_or_b64 s[2:3], vcc, s[2:3]
	s_and_b64 s[40:41], exec, s[34:35]
	s_or_b64 s[12:13], s[40:41], s[12:13]
	s_andn2_b64 s[36:37], s[36:37], exec
	s_and_b64 s[2:3], s[2:3], exec
	s_andn2_b64 s[26:27], s[26:27], exec
	s_and_b64 s[40:41], s[30:31], exec
	s_andn2_b64 s[10:11], s[10:11], exec
	s_or_b64 s[36:37], s[36:37], s[2:3]
	s_or_b64 s[26:27], s[26:27], s[40:41]
	;; [unrolled: 1-line block ×3, first 2 shown]
	s_andn2_b64 exec, exec, s[12:13]
	s_cbranch_execz .LBB871_133
.LBB871_131:                            ; =>This Inner Loop Header: Depth=1
	global_load_dword v34, v[22:23], off
	global_load_dword v35, v[24:25], off
	s_or_b64 s[30:31], s[30:31], exec
	s_or_b64 s[34:35], s[34:35], exec
	s_waitcnt vmcnt(0)
	v_cmp_lt_f32_e32 vcc, v34, v35
	v_cmp_ngt_f32_e64 s[2:3], v34, v35
	s_xor_b64 s[42:43], vcc, s[2:3]
	s_and_saveexec_b64 s[40:41], s[42:43]
	s_cbranch_execz .LBB871_130
; %bb.132:                              ;   in Loop: Header=BB871_131 Depth=1
	s_add_u32 s38, s38, -1
	s_addc_u32 s39, s39, -1
	s_cmp_eq_u64 s[38:39], 0
	s_cselect_b64 s[42:43], -1, 0
	s_andn2_b64 s[34:35], s[34:35], exec
	s_and_b64 s[42:43], s[42:43], exec
	v_lshl_add_u64 v[22:23], v[22:23], 0, 4
	v_lshl_add_u64 v[24:25], v[24:25], 0, 4
	s_andn2_b64 s[30:31], s[30:31], exec
	s_or_b64 s[34:35], s[34:35], s[42:43]
	s_branch .LBB871_130
.LBB871_133:
	s_or_b64 exec, exec, s[12:13]
	s_and_saveexec_b64 s[2:3], s[26:27]
	s_xor_b64 s[2:3], exec, s[2:3]
; %bb.134:
	v_cndmask_b32_e64 v23, v17, v11, s[10:11]
	v_cndmask_b32_e64 v22, v16, v10, s[10:11]
	;; [unrolled: 1-line block ×4, first 2 shown]
	v_mov_b64_e32 v[16:17], v[22:23]
; %bb.135:
	s_or_b64 exec, exec, s[2:3]
	v_mul_lo_u32 v24, v7, s20
	v_mul_lo_u32 v25, v6, s21
	v_mad_u64_u32 v[22:23], s[2:3], v6, s20, 0
	v_add3_u32 v23, v23, v25, v24
	v_mul_lo_u32 v34, v13, s20
	v_mul_lo_u32 v35, v12, s21
	v_mad_u64_u32 v[24:25], s[2:3], v12, s20, 0
	v_add3_u32 v25, v25, v35, v34
	v_lshl_add_u64 v[22:23], v[22:23], 2, s[22:23]
	v_lshl_add_u64 v[24:25], v[24:25], 2, s[22:23]
	s_mov_b64 s[12:13], 0
	s_mov_b64 s[38:39], s[20:21]
                                        ; implicit-def: $sgpr10_sgpr11
                                        ; implicit-def: $sgpr26_sgpr27
                                        ; implicit-def: $sgpr34_sgpr35
                                        ; implicit-def: $sgpr30_sgpr31
                                        ; implicit-def: $sgpr36_sgpr37
	s_branch .LBB871_137
.LBB871_136:                            ;   in Loop: Header=BB871_137 Depth=1
	s_or_b64 exec, exec, s[40:41]
	s_and_b64 s[2:3], s[2:3], s[36:37]
	s_or_b64 s[2:3], vcc, s[2:3]
	s_and_b64 s[40:41], exec, s[34:35]
	s_or_b64 s[12:13], s[40:41], s[12:13]
	s_andn2_b64 s[36:37], s[36:37], exec
	s_and_b64 s[2:3], s[2:3], exec
	s_andn2_b64 s[26:27], s[26:27], exec
	s_and_b64 s[40:41], s[30:31], exec
	s_andn2_b64 s[10:11], s[10:11], exec
	s_or_b64 s[36:37], s[36:37], s[2:3]
	s_or_b64 s[26:27], s[26:27], s[40:41]
	;; [unrolled: 1-line block ×3, first 2 shown]
	s_andn2_b64 exec, exec, s[12:13]
	s_cbranch_execz .LBB871_139
.LBB871_137:                            ; =>This Inner Loop Header: Depth=1
	global_load_dword v34, v[22:23], off
	global_load_dword v35, v[24:25], off
	s_or_b64 s[30:31], s[30:31], exec
	s_or_b64 s[34:35], s[34:35], exec
	s_waitcnt vmcnt(0)
	v_cmp_lt_f32_e32 vcc, v34, v35
	v_cmp_ngt_f32_e64 s[2:3], v34, v35
	s_xor_b64 s[42:43], vcc, s[2:3]
	s_and_saveexec_b64 s[40:41], s[42:43]
	s_cbranch_execz .LBB871_136
; %bb.138:                              ;   in Loop: Header=BB871_137 Depth=1
	s_add_u32 s38, s38, -1
	s_addc_u32 s39, s39, -1
	s_cmp_eq_u64 s[38:39], 0
	s_cselect_b64 s[42:43], -1, 0
	s_andn2_b64 s[34:35], s[34:35], exec
	s_and_b64 s[42:43], s[42:43], exec
	v_lshl_add_u64 v[22:23], v[22:23], 0, 4
	v_lshl_add_u64 v[24:25], v[24:25], 0, 4
	s_andn2_b64 s[30:31], s[30:31], exec
	s_or_b64 s[34:35], s[34:35], s[42:43]
	s_branch .LBB871_136
.LBB871_139:
	s_or_b64 exec, exec, s[12:13]
	s_and_saveexec_b64 s[2:3], s[26:27]
	s_xor_b64 s[2:3], exec, s[2:3]
; %bb.140:
	v_cndmask_b32_e64 v23, v13, v7, s[10:11]
	v_cndmask_b32_e64 v22, v12, v6, s[10:11]
	;; [unrolled: 1-line block ×4, first 2 shown]
	v_mov_b64_e32 v[12:13], v[22:23]
; %bb.141:
	s_or_b64 exec, exec, s[2:3]
	v_mul_lo_u32 v24, v3, s20
	v_mul_lo_u32 v25, v2, s21
	v_mad_u64_u32 v[22:23], s[2:3], v2, s20, 0
	v_add3_u32 v23, v23, v25, v24
	v_mul_lo_u32 v34, v9, s20
	v_mul_lo_u32 v35, v8, s21
	v_mad_u64_u32 v[24:25], s[2:3], v8, s20, 0
	v_add3_u32 v25, v25, v35, v34
	v_lshl_add_u64 v[22:23], v[22:23], 2, s[22:23]
	v_lshl_add_u64 v[24:25], v[24:25], 2, s[22:23]
	s_mov_b64 s[12:13], 0
	s_mov_b64 s[38:39], s[20:21]
                                        ; implicit-def: $sgpr10_sgpr11
                                        ; implicit-def: $sgpr26_sgpr27
                                        ; implicit-def: $sgpr34_sgpr35
                                        ; implicit-def: $sgpr30_sgpr31
                                        ; implicit-def: $sgpr36_sgpr37
	s_branch .LBB871_143
.LBB871_142:                            ;   in Loop: Header=BB871_143 Depth=1
	s_or_b64 exec, exec, s[40:41]
	s_and_b64 s[2:3], s[2:3], s[36:37]
	s_or_b64 s[2:3], vcc, s[2:3]
	s_and_b64 s[40:41], exec, s[34:35]
	s_or_b64 s[12:13], s[40:41], s[12:13]
	s_andn2_b64 s[36:37], s[36:37], exec
	s_and_b64 s[2:3], s[2:3], exec
	s_andn2_b64 s[26:27], s[26:27], exec
	s_and_b64 s[40:41], s[30:31], exec
	s_andn2_b64 s[10:11], s[10:11], exec
	s_or_b64 s[36:37], s[36:37], s[2:3]
	s_or_b64 s[26:27], s[26:27], s[40:41]
	;; [unrolled: 1-line block ×3, first 2 shown]
	s_andn2_b64 exec, exec, s[12:13]
	s_cbranch_execz .LBB871_145
.LBB871_143:                            ; =>This Inner Loop Header: Depth=1
	global_load_dword v34, v[22:23], off
	global_load_dword v35, v[24:25], off
	s_or_b64 s[30:31], s[30:31], exec
	s_or_b64 s[34:35], s[34:35], exec
	s_waitcnt vmcnt(0)
	v_cmp_lt_f32_e32 vcc, v34, v35
	v_cmp_ngt_f32_e64 s[2:3], v34, v35
	s_xor_b64 s[42:43], vcc, s[2:3]
	s_and_saveexec_b64 s[40:41], s[42:43]
	s_cbranch_execz .LBB871_142
; %bb.144:                              ;   in Loop: Header=BB871_143 Depth=1
	s_add_u32 s38, s38, -1
	s_addc_u32 s39, s39, -1
	s_cmp_eq_u64 s[38:39], 0
	s_cselect_b64 s[42:43], -1, 0
	s_andn2_b64 s[34:35], s[34:35], exec
	s_and_b64 s[42:43], s[42:43], exec
	v_lshl_add_u64 v[22:23], v[22:23], 0, 4
	v_lshl_add_u64 v[24:25], v[24:25], 0, 4
	s_andn2_b64 s[30:31], s[30:31], exec
	s_or_b64 s[34:35], s[34:35], s[42:43]
	s_branch .LBB871_142
.LBB871_145:
	s_or_b64 exec, exec, s[12:13]
	s_and_saveexec_b64 s[2:3], s[26:27]
	s_xor_b64 s[2:3], exec, s[2:3]
; %bb.146:
	v_cndmask_b32_e64 v23, v9, v3, s[10:11]
	v_cndmask_b32_e64 v22, v8, v2, s[10:11]
	;; [unrolled: 1-line block ×4, first 2 shown]
	v_mov_b64_e32 v[8:9], v[22:23]
; %bb.147:
	s_or_b64 exec, exec, s[2:3]
	v_mul_lo_u32 v24, v17, s20
	v_mul_lo_u32 v25, v16, s21
	v_mad_u64_u32 v[22:23], s[2:3], v16, s20, 0
	v_add3_u32 v23, v23, v25, v24
	v_mul_lo_u32 v34, v15, s20
	v_mul_lo_u32 v35, v14, s21
	v_mad_u64_u32 v[24:25], s[2:3], v14, s20, 0
	v_add3_u32 v25, v25, v35, v34
	v_lshl_add_u64 v[22:23], v[22:23], 2, s[22:23]
	v_lshl_add_u64 v[24:25], v[24:25], 2, s[22:23]
	s_mov_b64 s[12:13], 0
	s_mov_b64 s[38:39], s[20:21]
                                        ; implicit-def: $sgpr10_sgpr11
                                        ; implicit-def: $sgpr26_sgpr27
                                        ; implicit-def: $sgpr34_sgpr35
                                        ; implicit-def: $sgpr30_sgpr31
                                        ; implicit-def: $sgpr36_sgpr37
	s_branch .LBB871_149
.LBB871_148:                            ;   in Loop: Header=BB871_149 Depth=1
	s_or_b64 exec, exec, s[40:41]
	s_and_b64 s[2:3], s[2:3], s[36:37]
	s_or_b64 s[2:3], vcc, s[2:3]
	s_and_b64 s[40:41], exec, s[34:35]
	s_or_b64 s[12:13], s[40:41], s[12:13]
	s_andn2_b64 s[36:37], s[36:37], exec
	s_and_b64 s[2:3], s[2:3], exec
	s_andn2_b64 s[26:27], s[26:27], exec
	s_and_b64 s[40:41], s[30:31], exec
	s_andn2_b64 s[10:11], s[10:11], exec
	s_or_b64 s[36:37], s[36:37], s[2:3]
	s_or_b64 s[26:27], s[26:27], s[40:41]
	;; [unrolled: 1-line block ×3, first 2 shown]
	s_andn2_b64 exec, exec, s[12:13]
	s_cbranch_execz .LBB871_151
.LBB871_149:                            ; =>This Inner Loop Header: Depth=1
	global_load_dword v34, v[22:23], off
	global_load_dword v35, v[24:25], off
	s_or_b64 s[30:31], s[30:31], exec
	s_or_b64 s[34:35], s[34:35], exec
	s_waitcnt vmcnt(0)
	v_cmp_lt_f32_e32 vcc, v34, v35
	v_cmp_ngt_f32_e64 s[2:3], v34, v35
	s_xor_b64 s[42:43], vcc, s[2:3]
	s_and_saveexec_b64 s[40:41], s[42:43]
	s_cbranch_execz .LBB871_148
; %bb.150:                              ;   in Loop: Header=BB871_149 Depth=1
	s_add_u32 s38, s38, -1
	s_addc_u32 s39, s39, -1
	s_cmp_eq_u64 s[38:39], 0
	s_cselect_b64 s[42:43], -1, 0
	s_andn2_b64 s[34:35], s[34:35], exec
	s_and_b64 s[42:43], s[42:43], exec
	v_lshl_add_u64 v[22:23], v[22:23], 0, 4
	v_lshl_add_u64 v[24:25], v[24:25], 0, 4
	s_andn2_b64 s[30:31], s[30:31], exec
	s_or_b64 s[34:35], s[34:35], s[42:43]
	s_branch .LBB871_148
.LBB871_151:
	s_or_b64 exec, exec, s[12:13]
	s_and_saveexec_b64 s[2:3], s[26:27]
	s_xor_b64 s[2:3], exec, s[2:3]
; %bb.152:
	v_cndmask_b32_e64 v23, v17, v15, s[10:11]
	v_cndmask_b32_e64 v22, v16, v14, s[10:11]
	;; [unrolled: 1-line block ×4, first 2 shown]
	v_mov_b64_e32 v[16:17], v[22:23]
; %bb.153:
	s_or_b64 exec, exec, s[2:3]
	v_mul_lo_u32 v24, v13, s20
	v_mul_lo_u32 v25, v12, s21
	v_mad_u64_u32 v[22:23], s[2:3], v12, s20, 0
	v_add3_u32 v23, v23, v25, v24
	v_mul_lo_u32 v34, v11, s20
	v_mul_lo_u32 v35, v10, s21
	v_mad_u64_u32 v[24:25], s[2:3], v10, s20, 0
	v_add3_u32 v25, v25, v35, v34
	v_lshl_add_u64 v[22:23], v[22:23], 2, s[22:23]
	v_lshl_add_u64 v[24:25], v[24:25], 2, s[22:23]
	s_mov_b64 s[12:13], 0
	s_mov_b64 s[38:39], s[20:21]
                                        ; implicit-def: $sgpr10_sgpr11
                                        ; implicit-def: $sgpr26_sgpr27
                                        ; implicit-def: $sgpr34_sgpr35
                                        ; implicit-def: $sgpr30_sgpr31
                                        ; implicit-def: $sgpr36_sgpr37
	s_branch .LBB871_155
.LBB871_154:                            ;   in Loop: Header=BB871_155 Depth=1
	s_or_b64 exec, exec, s[40:41]
	s_and_b64 s[2:3], s[2:3], s[36:37]
	s_or_b64 s[2:3], vcc, s[2:3]
	s_and_b64 s[40:41], exec, s[34:35]
	s_or_b64 s[12:13], s[40:41], s[12:13]
	s_andn2_b64 s[36:37], s[36:37], exec
	s_and_b64 s[2:3], s[2:3], exec
	s_andn2_b64 s[26:27], s[26:27], exec
	s_and_b64 s[40:41], s[30:31], exec
	s_andn2_b64 s[10:11], s[10:11], exec
	s_or_b64 s[36:37], s[36:37], s[2:3]
	s_or_b64 s[26:27], s[26:27], s[40:41]
	;; [unrolled: 1-line block ×3, first 2 shown]
	s_andn2_b64 exec, exec, s[12:13]
	s_cbranch_execz .LBB871_157
.LBB871_155:                            ; =>This Inner Loop Header: Depth=1
	global_load_dword v34, v[22:23], off
	global_load_dword v35, v[24:25], off
	s_or_b64 s[30:31], s[30:31], exec
	s_or_b64 s[34:35], s[34:35], exec
	s_waitcnt vmcnt(0)
	v_cmp_lt_f32_e32 vcc, v34, v35
	v_cmp_ngt_f32_e64 s[2:3], v34, v35
	s_xor_b64 s[42:43], vcc, s[2:3]
	s_and_saveexec_b64 s[40:41], s[42:43]
	s_cbranch_execz .LBB871_154
; %bb.156:                              ;   in Loop: Header=BB871_155 Depth=1
	s_add_u32 s38, s38, -1
	s_addc_u32 s39, s39, -1
	s_cmp_eq_u64 s[38:39], 0
	s_cselect_b64 s[42:43], -1, 0
	s_andn2_b64 s[34:35], s[34:35], exec
	s_and_b64 s[42:43], s[42:43], exec
	v_lshl_add_u64 v[22:23], v[22:23], 0, 4
	v_lshl_add_u64 v[24:25], v[24:25], 0, 4
	s_andn2_b64 s[30:31], s[30:31], exec
	s_or_b64 s[34:35], s[34:35], s[42:43]
	s_branch .LBB871_154
.LBB871_157:
	s_or_b64 exec, exec, s[12:13]
	s_and_saveexec_b64 s[2:3], s[26:27]
	s_xor_b64 s[2:3], exec, s[2:3]
; %bb.158:
	v_cndmask_b32_e64 v23, v11, v13, s[10:11]
	v_cndmask_b32_e64 v22, v10, v12, s[10:11]
	;; [unrolled: 1-line block ×4, first 2 shown]
	v_mov_b64_e32 v[10:11], v[22:23]
; %bb.159:
	s_or_b64 exec, exec, s[2:3]
	v_mul_lo_u32 v24, v9, s20
	v_mul_lo_u32 v25, v8, s21
	v_mad_u64_u32 v[22:23], s[2:3], v8, s20, 0
	v_add3_u32 v23, v23, v25, v24
	v_mul_lo_u32 v34, v7, s20
	v_mul_lo_u32 v35, v6, s21
	v_mad_u64_u32 v[24:25], s[2:3], v6, s20, 0
	v_add3_u32 v25, v25, v35, v34
	v_lshl_add_u64 v[22:23], v[22:23], 2, s[22:23]
	v_lshl_add_u64 v[24:25], v[24:25], 2, s[22:23]
	s_mov_b64 s[12:13], 0
	s_mov_b64 s[38:39], s[20:21]
                                        ; implicit-def: $sgpr10_sgpr11
                                        ; implicit-def: $sgpr26_sgpr27
                                        ; implicit-def: $sgpr34_sgpr35
                                        ; implicit-def: $sgpr30_sgpr31
                                        ; implicit-def: $sgpr36_sgpr37
	s_branch .LBB871_161
.LBB871_160:                            ;   in Loop: Header=BB871_161 Depth=1
	s_or_b64 exec, exec, s[40:41]
	s_and_b64 s[2:3], s[2:3], s[36:37]
	s_or_b64 s[2:3], vcc, s[2:3]
	s_and_b64 s[40:41], exec, s[34:35]
	s_or_b64 s[12:13], s[40:41], s[12:13]
	s_andn2_b64 s[36:37], s[36:37], exec
	s_and_b64 s[2:3], s[2:3], exec
	s_andn2_b64 s[26:27], s[26:27], exec
	s_and_b64 s[40:41], s[30:31], exec
	s_andn2_b64 s[10:11], s[10:11], exec
	s_or_b64 s[36:37], s[36:37], s[2:3]
	s_or_b64 s[26:27], s[26:27], s[40:41]
	;; [unrolled: 1-line block ×3, first 2 shown]
	s_andn2_b64 exec, exec, s[12:13]
	s_cbranch_execz .LBB871_163
.LBB871_161:                            ; =>This Inner Loop Header: Depth=1
	global_load_dword v34, v[22:23], off
	global_load_dword v35, v[24:25], off
	s_or_b64 s[30:31], s[30:31], exec
	s_or_b64 s[34:35], s[34:35], exec
	s_waitcnt vmcnt(0)
	v_cmp_lt_f32_e32 vcc, v34, v35
	v_cmp_ngt_f32_e64 s[2:3], v34, v35
	s_xor_b64 s[42:43], vcc, s[2:3]
	s_and_saveexec_b64 s[40:41], s[42:43]
	s_cbranch_execz .LBB871_160
; %bb.162:                              ;   in Loop: Header=BB871_161 Depth=1
	s_add_u32 s38, s38, -1
	s_addc_u32 s39, s39, -1
	s_cmp_eq_u64 s[38:39], 0
	s_cselect_b64 s[42:43], -1, 0
	s_andn2_b64 s[34:35], s[34:35], exec
	s_and_b64 s[42:43], s[42:43], exec
	v_lshl_add_u64 v[22:23], v[22:23], 0, 4
	v_lshl_add_u64 v[24:25], v[24:25], 0, 4
	s_andn2_b64 s[30:31], s[30:31], exec
	s_or_b64 s[34:35], s[34:35], s[42:43]
	s_branch .LBB871_160
.LBB871_163:
	s_or_b64 exec, exec, s[12:13]
	s_and_saveexec_b64 s[2:3], s[26:27]
	s_xor_b64 s[2:3], exec, s[2:3]
; %bb.164:
	v_cndmask_b32_e64 v23, v7, v9, s[10:11]
	v_cndmask_b32_e64 v22, v6, v8, s[10:11]
	;; [unrolled: 1-line block ×4, first 2 shown]
	v_mov_b64_e32 v[6:7], v[22:23]
; %bb.165:
	s_or_b64 exec, exec, s[2:3]
	v_mul_lo_u32 v24, v5, s20
	v_mul_lo_u32 v25, v4, s21
	v_mad_u64_u32 v[22:23], s[2:3], v4, s20, 0
	v_add3_u32 v23, v23, v25, v24
	v_mul_lo_u32 v34, v3, s20
	v_mul_lo_u32 v35, v2, s21
	v_mad_u64_u32 v[24:25], s[2:3], v2, s20, 0
	v_add3_u32 v25, v25, v35, v34
	v_lshl_add_u64 v[22:23], v[22:23], 2, s[22:23]
	v_lshl_add_u64 v[24:25], v[24:25], 2, s[22:23]
	s_mov_b64 s[12:13], 0
	s_mov_b64 s[38:39], s[20:21]
                                        ; implicit-def: $sgpr10_sgpr11
                                        ; implicit-def: $sgpr26_sgpr27
                                        ; implicit-def: $sgpr34_sgpr35
                                        ; implicit-def: $sgpr30_sgpr31
                                        ; implicit-def: $sgpr36_sgpr37
	s_branch .LBB871_167
.LBB871_166:                            ;   in Loop: Header=BB871_167 Depth=1
	s_or_b64 exec, exec, s[40:41]
	s_and_b64 s[2:3], s[2:3], s[36:37]
	s_or_b64 s[2:3], vcc, s[2:3]
	s_and_b64 s[40:41], exec, s[34:35]
	s_or_b64 s[12:13], s[40:41], s[12:13]
	s_andn2_b64 s[36:37], s[36:37], exec
	s_and_b64 s[2:3], s[2:3], exec
	s_andn2_b64 s[26:27], s[26:27], exec
	s_and_b64 s[40:41], s[30:31], exec
	s_andn2_b64 s[10:11], s[10:11], exec
	s_or_b64 s[36:37], s[36:37], s[2:3]
	s_or_b64 s[26:27], s[26:27], s[40:41]
	;; [unrolled: 1-line block ×3, first 2 shown]
	s_andn2_b64 exec, exec, s[12:13]
	s_cbranch_execz .LBB871_169
.LBB871_167:                            ; =>This Inner Loop Header: Depth=1
	global_load_dword v34, v[22:23], off
	global_load_dword v35, v[24:25], off
	s_or_b64 s[30:31], s[30:31], exec
	s_or_b64 s[34:35], s[34:35], exec
	s_waitcnt vmcnt(0)
	v_cmp_lt_f32_e32 vcc, v34, v35
	v_cmp_ngt_f32_e64 s[2:3], v34, v35
	s_xor_b64 s[42:43], vcc, s[2:3]
	s_and_saveexec_b64 s[40:41], s[42:43]
	s_cbranch_execz .LBB871_166
; %bb.168:                              ;   in Loop: Header=BB871_167 Depth=1
	s_add_u32 s38, s38, -1
	s_addc_u32 s39, s39, -1
	s_cmp_eq_u64 s[38:39], 0
	s_cselect_b64 s[42:43], -1, 0
	s_andn2_b64 s[34:35], s[34:35], exec
	s_and_b64 s[42:43], s[42:43], exec
	v_lshl_add_u64 v[22:23], v[22:23], 0, 4
	v_lshl_add_u64 v[24:25], v[24:25], 0, 4
	s_andn2_b64 s[30:31], s[30:31], exec
	s_or_b64 s[34:35], s[34:35], s[42:43]
	s_branch .LBB871_166
.LBB871_169:
	s_or_b64 exec, exec, s[12:13]
	s_and_saveexec_b64 s[2:3], s[26:27]
	s_xor_b64 s[2:3], exec, s[2:3]
; %bb.170:
	v_cndmask_b32_e64 v23, v3, v5, s[10:11]
	v_cndmask_b32_e64 v22, v2, v4, s[10:11]
	;; [unrolled: 1-line block ×4, first 2 shown]
	v_mov_b64_e32 v[2:3], v[22:23]
; %bb.171:
	s_or_b64 exec, exec, s[2:3]
	v_mul_lo_u32 v24, v11, s20
	v_mul_lo_u32 v25, v10, s21
	v_mad_u64_u32 v[22:23], s[2:3], v10, s20, 0
	v_add3_u32 v23, v23, v25, v24
	v_mul_lo_u32 v34, v17, s20
	v_mul_lo_u32 v35, v16, s21
	v_mad_u64_u32 v[24:25], s[2:3], v16, s20, 0
	v_add3_u32 v25, v25, v35, v34
	v_lshl_add_u64 v[22:23], v[22:23], 2, s[22:23]
	v_lshl_add_u64 v[24:25], v[24:25], 2, s[22:23]
	s_mov_b64 s[12:13], 0
	s_mov_b64 s[38:39], s[20:21]
                                        ; implicit-def: $sgpr10_sgpr11
                                        ; implicit-def: $sgpr26_sgpr27
                                        ; implicit-def: $sgpr34_sgpr35
                                        ; implicit-def: $sgpr30_sgpr31
                                        ; implicit-def: $sgpr36_sgpr37
	s_branch .LBB871_173
.LBB871_172:                            ;   in Loop: Header=BB871_173 Depth=1
	s_or_b64 exec, exec, s[40:41]
	s_and_b64 s[2:3], s[2:3], s[36:37]
	s_or_b64 s[2:3], vcc, s[2:3]
	s_and_b64 s[40:41], exec, s[34:35]
	s_or_b64 s[12:13], s[40:41], s[12:13]
	s_andn2_b64 s[36:37], s[36:37], exec
	s_and_b64 s[2:3], s[2:3], exec
	s_andn2_b64 s[26:27], s[26:27], exec
	s_and_b64 s[40:41], s[30:31], exec
	s_andn2_b64 s[10:11], s[10:11], exec
	s_or_b64 s[36:37], s[36:37], s[2:3]
	s_or_b64 s[26:27], s[26:27], s[40:41]
	;; [unrolled: 1-line block ×3, first 2 shown]
	s_andn2_b64 exec, exec, s[12:13]
	s_cbranch_execz .LBB871_175
.LBB871_173:                            ; =>This Inner Loop Header: Depth=1
	global_load_dword v34, v[22:23], off
	global_load_dword v35, v[24:25], off
	s_or_b64 s[30:31], s[30:31], exec
	s_or_b64 s[34:35], s[34:35], exec
	s_waitcnt vmcnt(0)
	v_cmp_lt_f32_e32 vcc, v34, v35
	v_cmp_ngt_f32_e64 s[2:3], v34, v35
	s_xor_b64 s[42:43], vcc, s[2:3]
	s_and_saveexec_b64 s[40:41], s[42:43]
	s_cbranch_execz .LBB871_172
; %bb.174:                              ;   in Loop: Header=BB871_173 Depth=1
	s_add_u32 s38, s38, -1
	s_addc_u32 s39, s39, -1
	s_cmp_eq_u64 s[38:39], 0
	s_cselect_b64 s[42:43], -1, 0
	s_andn2_b64 s[34:35], s[34:35], exec
	s_and_b64 s[42:43], s[42:43], exec
	v_lshl_add_u64 v[22:23], v[22:23], 0, 4
	v_lshl_add_u64 v[24:25], v[24:25], 0, 4
	s_andn2_b64 s[30:31], s[30:31], exec
	s_or_b64 s[34:35], s[34:35], s[42:43]
	s_branch .LBB871_172
.LBB871_175:
	s_or_b64 exec, exec, s[12:13]
	s_and_saveexec_b64 s[2:3], s[26:27]
	s_xor_b64 s[2:3], exec, s[2:3]
; %bb.176:
	v_cndmask_b32_e64 v23, v17, v11, s[10:11]
	v_cndmask_b32_e64 v22, v16, v10, s[10:11]
	v_cndmask_b32_e64 v11, v11, v17, s[10:11]
	v_cndmask_b32_e64 v10, v10, v16, s[10:11]
	v_mov_b64_e32 v[16:17], v[22:23]
; %bb.177:
	s_or_b64 exec, exec, s[2:3]
	v_mul_lo_u32 v24, v7, s20
	v_mul_lo_u32 v25, v6, s21
	v_mad_u64_u32 v[22:23], s[2:3], v6, s20, 0
	v_add3_u32 v23, v23, v25, v24
	v_mul_lo_u32 v34, v13, s20
	v_mul_lo_u32 v35, v12, s21
	v_mad_u64_u32 v[24:25], s[2:3], v12, s20, 0
	v_add3_u32 v25, v25, v35, v34
	v_lshl_add_u64 v[22:23], v[22:23], 2, s[22:23]
	v_lshl_add_u64 v[24:25], v[24:25], 2, s[22:23]
	s_mov_b64 s[12:13], 0
	s_mov_b64 s[38:39], s[20:21]
                                        ; implicit-def: $sgpr10_sgpr11
                                        ; implicit-def: $sgpr26_sgpr27
                                        ; implicit-def: $sgpr34_sgpr35
                                        ; implicit-def: $sgpr30_sgpr31
                                        ; implicit-def: $sgpr36_sgpr37
	s_branch .LBB871_179
.LBB871_178:                            ;   in Loop: Header=BB871_179 Depth=1
	s_or_b64 exec, exec, s[40:41]
	s_and_b64 s[2:3], s[2:3], s[36:37]
	s_or_b64 s[2:3], vcc, s[2:3]
	s_and_b64 s[40:41], exec, s[34:35]
	s_or_b64 s[12:13], s[40:41], s[12:13]
	s_andn2_b64 s[36:37], s[36:37], exec
	s_and_b64 s[2:3], s[2:3], exec
	s_andn2_b64 s[26:27], s[26:27], exec
	s_and_b64 s[40:41], s[30:31], exec
	s_andn2_b64 s[10:11], s[10:11], exec
	s_or_b64 s[36:37], s[36:37], s[2:3]
	s_or_b64 s[26:27], s[26:27], s[40:41]
	s_or_b64 s[10:11], s[10:11], s[2:3]
	s_andn2_b64 exec, exec, s[12:13]
	s_cbranch_execz .LBB871_181
.LBB871_179:                            ; =>This Inner Loop Header: Depth=1
	global_load_dword v34, v[22:23], off
	global_load_dword v35, v[24:25], off
	s_or_b64 s[30:31], s[30:31], exec
	s_or_b64 s[34:35], s[34:35], exec
	s_waitcnt vmcnt(0)
	v_cmp_lt_f32_e32 vcc, v34, v35
	v_cmp_ngt_f32_e64 s[2:3], v34, v35
	s_xor_b64 s[42:43], vcc, s[2:3]
	s_and_saveexec_b64 s[40:41], s[42:43]
	s_cbranch_execz .LBB871_178
; %bb.180:                              ;   in Loop: Header=BB871_179 Depth=1
	s_add_u32 s38, s38, -1
	s_addc_u32 s39, s39, -1
	s_cmp_eq_u64 s[38:39], 0
	s_cselect_b64 s[42:43], -1, 0
	s_andn2_b64 s[34:35], s[34:35], exec
	s_and_b64 s[42:43], s[42:43], exec
	v_lshl_add_u64 v[22:23], v[22:23], 0, 4
	v_lshl_add_u64 v[24:25], v[24:25], 0, 4
	s_andn2_b64 s[30:31], s[30:31], exec
	s_or_b64 s[34:35], s[34:35], s[42:43]
	s_branch .LBB871_178
.LBB871_181:
	s_or_b64 exec, exec, s[12:13]
	s_and_saveexec_b64 s[2:3], s[26:27]
	s_xor_b64 s[2:3], exec, s[2:3]
; %bb.182:
	v_cndmask_b32_e64 v23, v13, v7, s[10:11]
	v_cndmask_b32_e64 v22, v12, v6, s[10:11]
	v_cndmask_b32_e64 v7, v7, v13, s[10:11]
	v_cndmask_b32_e64 v6, v6, v12, s[10:11]
	v_mov_b64_e32 v[12:13], v[22:23]
; %bb.183:
	s_or_b64 exec, exec, s[2:3]
	v_mul_lo_u32 v24, v3, s20
	v_mul_lo_u32 v25, v2, s21
	v_mad_u64_u32 v[22:23], s[2:3], v2, s20, 0
	v_add3_u32 v23, v23, v25, v24
	v_mul_lo_u32 v34, v9, s20
	v_mul_lo_u32 v35, v8, s21
	v_mad_u64_u32 v[24:25], s[2:3], v8, s20, 0
	v_add3_u32 v25, v25, v35, v34
	v_lshl_add_u64 v[22:23], v[22:23], 2, s[22:23]
	v_lshl_add_u64 v[24:25], v[24:25], 2, s[22:23]
	s_mov_b64 s[26:27], 0
	s_mov_b64 s[38:39], s[20:21]
                                        ; implicit-def: $sgpr10_sgpr11
                                        ; implicit-def: $sgpr12_sgpr13
                                        ; implicit-def: $sgpr34_sgpr35
                                        ; implicit-def: $sgpr30_sgpr31
                                        ; implicit-def: $sgpr36_sgpr37
	s_branch .LBB871_185
.LBB871_184:                            ;   in Loop: Header=BB871_185 Depth=1
	s_or_b64 exec, exec, s[40:41]
	s_and_b64 s[2:3], s[2:3], s[36:37]
	s_or_b64 s[2:3], vcc, s[2:3]
	s_and_b64 s[40:41], exec, s[34:35]
	s_or_b64 s[26:27], s[40:41], s[26:27]
	s_andn2_b64 s[36:37], s[36:37], exec
	s_and_b64 s[2:3], s[2:3], exec
	s_andn2_b64 s[12:13], s[12:13], exec
	s_and_b64 s[40:41], s[30:31], exec
	s_andn2_b64 s[10:11], s[10:11], exec
	s_or_b64 s[36:37], s[36:37], s[2:3]
	s_or_b64 s[12:13], s[12:13], s[40:41]
	;; [unrolled: 1-line block ×3, first 2 shown]
	s_andn2_b64 exec, exec, s[26:27]
	s_cbranch_execz .LBB871_187
.LBB871_185:                            ; =>This Inner Loop Header: Depth=1
	global_load_dword v34, v[22:23], off
	global_load_dword v35, v[24:25], off
	s_or_b64 s[30:31], s[30:31], exec
	s_or_b64 s[34:35], s[34:35], exec
	s_waitcnt vmcnt(0)
	v_cmp_lt_f32_e32 vcc, v34, v35
	v_cmp_ngt_f32_e64 s[2:3], v34, v35
	s_xor_b64 s[42:43], vcc, s[2:3]
	s_and_saveexec_b64 s[40:41], s[42:43]
	s_cbranch_execz .LBB871_184
; %bb.186:                              ;   in Loop: Header=BB871_185 Depth=1
	s_add_u32 s38, s38, -1
	s_addc_u32 s39, s39, -1
	s_cmp_eq_u64 s[38:39], 0
	s_cselect_b64 s[42:43], -1, 0
	s_andn2_b64 s[34:35], s[34:35], exec
	s_and_b64 s[42:43], s[42:43], exec
	v_lshl_add_u64 v[22:23], v[22:23], 0, 4
	v_lshl_add_u64 v[24:25], v[24:25], 0, 4
	s_andn2_b64 s[30:31], s[30:31], exec
	s_or_b64 s[34:35], s[34:35], s[42:43]
	s_branch .LBB871_184
.LBB871_187:
	s_or_b64 exec, exec, s[26:27]
	s_and_saveexec_b64 s[2:3], s[12:13]
	s_xor_b64 s[2:3], exec, s[2:3]
; %bb.188:
	v_cndmask_b32_e64 v23, v9, v3, s[10:11]
	v_cndmask_b32_e64 v22, v8, v2, s[10:11]
	;; [unrolled: 1-line block ×4, first 2 shown]
	v_mov_b64_e32 v[8:9], v[22:23]
; %bb.189:
	s_or_b64 exec, exec, s[2:3]
.LBB871_190:
	s_or_b64 exec, exec, s[4:5]
	v_mbcnt_lo_u32_b32 v22, -1, 0
	v_mbcnt_hi_u32_b32 v22, -1, v22
	v_and_b32_e32 v23, 0xfffffe00, v33
	s_movk_i32 s2, 0x800
	v_lshlrev_b32_e32 v33, 3, v23
	v_lshlrev_b32_e32 v35, 3, v22
	v_sub_u32_e64 v34, s2, v23 clamp
	v_lshl_add_u32 v36, v22, 6, v33
	v_or_b32_e32 v22, 8, v35
	v_min_u32_e32 v37, v34, v22
	v_add_u32_e32 v22, 8, v37
	v_and_b32_e32 v41, 0x3f0, v35
	v_min_u32_e32 v38, v34, v22
	v_and_b32_e32 v22, 8, v35
	v_min_u32_e32 v42, v34, v22
	v_sub_u32_e32 v22, v37, v41
	v_sub_u32_e32 v23, v38, v37
	v_sub_u32_e64 v40, v42, v23 clamp
	v_min_u32_e32 v43, v42, v22
	v_lshl_add_u32 v39, v41, 3, v33
	v_cmp_lt_u32_e32 vcc, v40, v43
	ds_write_b128 v36, v[14:17]
	ds_write_b128 v36, v[10:13] offset:16
	ds_write_b128 v36, v[6:9] offset:32
	ds_write_b128 v36, v[2:5] offset:48
	; wave barrier
	s_and_saveexec_b64 s[4:5], vcc
	s_cbranch_execz .LBB871_200
; %bb.191:
	v_lshlrev_b32_e32 v22, 3, v37
	v_lshlrev_b32_e32 v23, 3, v42
	v_add3_u32 v44, v33, v22, v23
	s_lshl_b64 s[12:13], s[20:21], 2
	s_mov_b64 s[10:11], 0
	s_branch .LBB871_194
.LBB871_192:                            ;   in Loop: Header=BB871_194 Depth=1
	s_or_b64 exec, exec, s[30:31]
.LBB871_193:                            ;   in Loop: Header=BB871_194 Depth=1
	v_add_u32_e32 v22, 1, v45
	v_cndmask_b32_e64 v43, v43, v45, s[26:27]
	v_cndmask_b32_e64 v40, v22, v40, s[26:27]
	v_cmp_ge_u32_e32 vcc, v40, v43
	s_or_b64 s[10:11], vcc, s[10:11]
	s_andn2_b64 exec, exec, s[10:11]
	s_cbranch_execz .LBB871_199
.LBB871_194:                            ; =>This Loop Header: Depth=1
                                        ;     Child Loop BB871_197 Depth 2
	v_add_u32_e32 v22, v43, v40
	v_lshrrev_b32_e32 v45, 1, v22
	s_and_b64 vcc, exec, s[0:1]
	s_mov_b64 s[26:27], 0
	s_cbranch_vccnz .LBB871_193
; %bb.195:                              ;   in Loop: Header=BB871_194 Depth=1
	v_not_b32_e32 v22, v45
	v_lshl_add_u32 v22, v22, 3, v44
	ds_read_b64 v[22:23], v22
	v_lshl_add_u32 v46, v45, 3, v39
	ds_read_b64 v[46:47], v46
	v_mov_b64_e32 v[24:25], s[22:23]
	s_mov_b64 s[30:31], 0
	s_waitcnt lgkmcnt(1)
	v_mul_lo_u32 v48, s12, v23
	v_mul_lo_u32 v49, s13, v22
	v_mad_u64_u32 v[22:23], s[2:3], s12, v22, v[24:25]
	v_add3_u32 v23, v49, v23, v48
	s_waitcnt lgkmcnt(0)
	v_mul_lo_u32 v47, s12, v47
	v_mul_lo_u32 v48, s13, v46
	v_mad_u64_u32 v[24:25], s[2:3], s12, v46, v[24:25]
	v_add3_u32 v25, v48, v25, v47
	s_mov_b64 s[36:37], s[20:21]
                                        ; implicit-def: $sgpr26_sgpr27
                                        ; implicit-def: $sgpr34_sgpr35
                                        ; implicit-def: $sgpr2_sgpr3
                                        ; implicit-def: $sgpr38_sgpr39
	s_branch .LBB871_197
.LBB871_196:                            ;   in Loop: Header=BB871_197 Depth=2
	s_or_b64 exec, exec, s[42:43]
	s_and_b64 s[42:43], exec, s[34:35]
	s_or_b64 s[30:31], s[42:43], s[30:31]
	s_andn2_b64 s[38:39], s[38:39], exec
	s_and_b64 s[40:41], s[40:41], exec
	s_or_b64 s[38:39], s[38:39], s[40:41]
	s_andn2_b64 s[26:27], s[26:27], exec
	s_and_b64 s[40:41], s[2:3], exec
	s_or_b64 s[26:27], s[26:27], s[40:41]
	s_andn2_b64 exec, exec, s[30:31]
	s_cbranch_execz .LBB871_192
.LBB871_197:                            ;   Parent Loop BB871_194 Depth=1
                                        ; =>  This Inner Loop Header: Depth=2
	global_load_dword v46, v[22:23], off
	global_load_dword v47, v[24:25], off
	s_andn2_b64 s[42:43], s[2:3], exec
	s_or_b64 s[34:35], s[34:35], exec
	s_waitcnt vmcnt(0)
	v_cmp_ngt_f32_e64 s[2:3], v46, v47
	v_cmp_lt_f32_e32 vcc, v46, v47
	s_and_b64 s[40:41], s[2:3], s[38:39]
	s_or_b64 s[40:41], vcc, s[40:41]
	s_xor_b64 s[44:45], vcc, s[2:3]
	s_and_b64 s[2:3], s[40:41], exec
	s_or_b64 s[2:3], s[42:43], s[2:3]
	s_and_saveexec_b64 s[42:43], s[44:45]
	s_cbranch_execz .LBB871_196
; %bb.198:                              ;   in Loop: Header=BB871_197 Depth=2
	s_add_u32 s36, s36, -1
	s_addc_u32 s37, s37, -1
	s_cmp_eq_u64 s[36:37], 0
	s_cselect_b64 s[38:39], -1, 0
	s_andn2_b64 s[34:35], s[34:35], exec
	s_and_b64 s[38:39], s[38:39], exec
	v_lshl_add_u64 v[22:23], v[22:23], 0, 4
	v_lshl_add_u64 v[24:25], v[24:25], 0, 4
	s_andn2_b64 s[2:3], s[2:3], exec
	s_or_b64 s[34:35], s[34:35], s[38:39]
                                        ; implicit-def: $sgpr38_sgpr39
	s_branch .LBB871_196
.LBB871_199:
	s_or_b64 exec, exec, s[10:11]
.LBB871_200:
	s_or_b64 exec, exec, s[4:5]
	v_add_u32_e32 v22, v37, v42
	v_add_u32_e32 v23, v40, v41
	v_sub_u32_e32 v24, v22, v40
	v_cmp_le_u32_e32 vcc, v23, v37
	v_cmp_le_u32_e64 s[2:3], v24, v38
	v_cmp_lt_i64_e64 s[10:11], s[20:21], 1
	s_or_b64 s[2:3], vcc, s[2:3]
	s_and_saveexec_b64 s[12:13], s[2:3]
	s_cbranch_execz .LBB871_268
; %bb.201:
	v_cmp_ge_u32_e32 vcc, v23, v37
	v_cmp_lt_u32_e64 s[2:3], v23, v37
                                        ; implicit-def: $vgpr2_vgpr3
	s_and_saveexec_b64 s[4:5], s[2:3]
; %bb.202:
	v_lshl_add_u32 v2, v40, 3, v39
	ds_read_b64 v[2:3], v2
; %bb.203:
	s_or_b64 exec, exec, s[4:5]
	v_cmp_ge_u32_e64 s[2:3], v24, v38
	v_cmp_lt_u32_e64 s[4:5], v24, v38
                                        ; implicit-def: $vgpr4_vgpr5
	s_and_saveexec_b64 s[26:27], s[4:5]
; %bb.204:
	v_lshl_add_u32 v4, v24, 3, v33
	ds_read_b64 v[4:5], v4
; %bb.205:
	s_or_b64 exec, exec, s[26:27]
	s_or_b64 s[4:5], vcc, s[2:3]
	s_nor_b64 s[30:31], s[4:5], s[10:11]
	s_xor_b64 s[4:5], vcc, -1
	s_or_b64 s[4:5], s[2:3], s[4:5]
	s_and_saveexec_b64 s[26:27], s[30:31]
	s_cbranch_execz .LBB871_211
; %bb.206:
	s_waitcnt lgkmcnt(0)
	v_mul_lo_u32 v8, v5, s20
	v_mul_lo_u32 v9, v4, s21
	v_mad_u64_u32 v[6:7], s[2:3], v4, s20, 0
	v_add3_u32 v7, v7, v9, v8
	v_mul_lo_u32 v10, v3, s20
	v_mul_lo_u32 v11, v2, s21
	v_mad_u64_u32 v[8:9], s[2:3], v2, s20, 0
	v_add3_u32 v9, v9, v11, v10
	v_lshl_add_u64 v[6:7], v[6:7], 2, s[22:23]
	v_lshl_add_u64 v[8:9], v[8:9], 2, s[22:23]
	s_mov_b64 s[30:31], 0
	s_mov_b64 s[38:39], s[20:21]
                                        ; implicit-def: $sgpr34_sgpr35
                                        ; implicit-def: $sgpr36_sgpr37
                                        ; implicit-def: $sgpr2_sgpr3
                                        ; implicit-def: $sgpr40_sgpr41
	s_branch .LBB871_208
.LBB871_207:                            ;   in Loop: Header=BB871_208 Depth=1
	s_or_b64 exec, exec, s[44:45]
	s_and_b64 s[44:45], exec, s[36:37]
	s_or_b64 s[30:31], s[44:45], s[30:31]
	s_andn2_b64 s[40:41], s[40:41], exec
	s_and_b64 s[42:43], s[42:43], exec
	s_or_b64 s[40:41], s[40:41], s[42:43]
	s_andn2_b64 s[34:35], s[34:35], exec
	s_and_b64 s[42:43], s[2:3], exec
	s_or_b64 s[34:35], s[34:35], s[42:43]
	s_andn2_b64 exec, exec, s[30:31]
	s_cbranch_execz .LBB871_210
.LBB871_208:                            ; =>This Inner Loop Header: Depth=1
	global_load_dword v10, v[6:7], off
	global_load_dword v11, v[8:9], off
	s_andn2_b64 s[44:45], s[2:3], exec
	s_or_b64 s[36:37], s[36:37], exec
	s_waitcnt vmcnt(0)
	v_cmp_ngt_f32_e64 s[2:3], v10, v11
	v_cmp_lt_f32_e32 vcc, v10, v11
	s_and_b64 s[42:43], s[2:3], s[40:41]
	s_or_b64 s[42:43], vcc, s[42:43]
	s_xor_b64 s[46:47], vcc, s[2:3]
	s_and_b64 s[2:3], s[42:43], exec
	s_or_b64 s[2:3], s[44:45], s[2:3]
	s_and_saveexec_b64 s[44:45], s[46:47]
	s_cbranch_execz .LBB871_207
; %bb.209:                              ;   in Loop: Header=BB871_208 Depth=1
	s_add_u32 s38, s38, -1
	s_addc_u32 s39, s39, -1
	s_cmp_eq_u64 s[38:39], 0
	s_cselect_b64 s[40:41], -1, 0
	s_andn2_b64 s[36:37], s[36:37], exec
	s_and_b64 s[40:41], s[40:41], exec
	v_lshl_add_u64 v[6:7], v[6:7], 0, 4
	v_lshl_add_u64 v[8:9], v[8:9], 0, 4
	s_andn2_b64 s[2:3], s[2:3], exec
	s_or_b64 s[36:37], s[36:37], s[40:41]
                                        ; implicit-def: $sgpr40_sgpr41
	s_branch .LBB871_207
.LBB871_210:
	s_or_b64 exec, exec, s[30:31]
	s_xor_b64 s[2:3], s[34:35], -1
	s_andn2_b64 s[4:5], s[4:5], exec
	s_and_b64 s[2:3], s[2:3], exec
	s_or_b64 s[4:5], s[4:5], s[2:3]
.LBB871_211:
	s_or_b64 exec, exec, s[26:27]
	v_cndmask_b32_e64 v6, v24, v23, s[4:5]
	v_cndmask_b32_e64 v7, v38, v37, s[4:5]
	v_add_u32_e32 v8, 1, v6
	v_add_u32_e32 v6, -1, v7
	v_min_u32_e32 v6, v8, v6
	v_lshl_add_u32 v6, v6, 3, v33
	ds_read_b64 v[6:7], v6
	v_cndmask_b32_e64 v12, v8, v24, s[4:5]
	v_cndmask_b32_e64 v13, v23, v8, s[4:5]
	v_cmp_lt_u32_e32 vcc, v12, v38
	s_mov_b64 s[30:31], -1
	s_waitcnt lgkmcnt(0)
	v_cndmask_b32_e64 v14, v7, v5, s[4:5]
	v_cndmask_b32_e64 v15, v6, v4, s[4:5]
	;; [unrolled: 1-line block ×4, first 2 shown]
	s_mov_b64 s[26:27], -1
	s_and_saveexec_b64 s[34:35], vcc
	s_cbranch_execz .LBB871_219
; %bb.212:
	v_cmp_lt_u32_e64 s[26:27], v13, v37
	s_xor_b64 s[2:3], s[10:11], -1
	s_and_b64 s[2:3], s[26:27], s[2:3]
	s_and_saveexec_b64 s[36:37], s[2:3]
	s_cbranch_execz .LBB871_218
; %bb.213:
	v_mul_lo_u32 v8, v14, s20
	v_mul_lo_u32 v9, v15, s21
	v_mad_u64_u32 v[6:7], s[2:3], v15, s20, 0
	v_add3_u32 v7, v7, v9, v8
	v_mul_lo_u32 v10, v16, s20
	v_mul_lo_u32 v11, v22, s21
	v_mad_u64_u32 v[8:9], s[2:3], v22, s20, 0
	v_add3_u32 v9, v9, v11, v10
	v_lshl_add_u64 v[6:7], v[6:7], 2, s[22:23]
	v_lshl_add_u64 v[8:9], v[8:9], 2, s[22:23]
	s_mov_b64 s[38:39], 0
	s_mov_b64 s[44:45], s[20:21]
                                        ; implicit-def: $sgpr40_sgpr41
                                        ; implicit-def: $sgpr42_sgpr43
                                        ; implicit-def: $sgpr2_sgpr3
                                        ; implicit-def: $sgpr46_sgpr47
	s_branch .LBB871_215
.LBB871_214:                            ;   in Loop: Header=BB871_215 Depth=1
	s_or_b64 exec, exec, s[50:51]
	s_and_b64 s[50:51], exec, s[42:43]
	s_or_b64 s[38:39], s[50:51], s[38:39]
	s_andn2_b64 s[46:47], s[46:47], exec
	s_and_b64 s[48:49], s[48:49], exec
	s_or_b64 s[46:47], s[46:47], s[48:49]
	s_andn2_b64 s[40:41], s[40:41], exec
	s_and_b64 s[48:49], s[2:3], exec
	s_or_b64 s[40:41], s[40:41], s[48:49]
	s_andn2_b64 exec, exec, s[38:39]
	s_cbranch_execz .LBB871_217
.LBB871_215:                            ; =>This Inner Loop Header: Depth=1
	global_load_dword v10, v[6:7], off
	global_load_dword v11, v[8:9], off
	s_andn2_b64 s[50:51], s[2:3], exec
	s_or_b64 s[42:43], s[42:43], exec
	s_waitcnt vmcnt(0)
	v_cmp_ngt_f32_e64 s[2:3], v10, v11
	v_cmp_lt_f32_e32 vcc, v10, v11
	s_and_b64 s[48:49], s[2:3], s[46:47]
	s_or_b64 s[48:49], vcc, s[48:49]
	s_xor_b64 s[52:53], vcc, s[2:3]
	s_and_b64 s[2:3], s[48:49], exec
	s_or_b64 s[2:3], s[50:51], s[2:3]
	s_and_saveexec_b64 s[50:51], s[52:53]
	s_cbranch_execz .LBB871_214
; %bb.216:                              ;   in Loop: Header=BB871_215 Depth=1
	s_add_u32 s44, s44, -1
	s_addc_u32 s45, s45, -1
	s_cmp_eq_u64 s[44:45], 0
	s_cselect_b64 s[46:47], -1, 0
	s_andn2_b64 s[42:43], s[42:43], exec
	s_and_b64 s[46:47], s[46:47], exec
	v_lshl_add_u64 v[6:7], v[6:7], 0, 4
	v_lshl_add_u64 v[8:9], v[8:9], 0, 4
	s_andn2_b64 s[2:3], s[2:3], exec
	s_or_b64 s[42:43], s[42:43], s[46:47]
                                        ; implicit-def: $sgpr46_sgpr47
	s_branch .LBB871_214
.LBB871_217:
	s_or_b64 exec, exec, s[38:39]
	s_xor_b64 s[2:3], s[40:41], -1
	s_andn2_b64 s[26:27], s[26:27], exec
	s_and_b64 s[2:3], s[2:3], exec
	s_or_b64 s[26:27], s[26:27], s[2:3]
.LBB871_218:
	s_or_b64 exec, exec, s[36:37]
	s_orn2_b64 s[26:27], s[26:27], exec
.LBB871_219:
	s_or_b64 exec, exec, s[34:35]
	v_cndmask_b32_e64 v6, v12, v13, s[26:27]
	v_cndmask_b32_e64 v7, v38, v37, s[26:27]
	v_add_u32_e32 v8, 1, v6
	v_add_u32_e32 v6, -1, v7
	v_min_u32_e32 v6, v8, v6
	v_lshl_add_u32 v6, v6, 3, v33
	ds_read_b64 v[6:7], v6
	v_cndmask_b32_e64 v39, v8, v12, s[26:27]
	v_cndmask_b32_e64 v40, v13, v8, s[26:27]
	v_cmp_lt_u32_e32 vcc, v39, v38
	s_waitcnt lgkmcnt(0)
	v_cndmask_b32_e64 v10, v7, v14, s[26:27]
	v_cndmask_b32_e64 v17, v6, v15, s[26:27]
	v_cndmask_b32_e64 v11, v16, v7, s[26:27]
	v_cndmask_b32_e64 v23, v22, v6, s[26:27]
	s_and_saveexec_b64 s[34:35], vcc
	s_cbranch_execz .LBB871_227
; %bb.220:
	v_cmp_lt_u32_e64 s[30:31], v40, v37
	s_xor_b64 s[2:3], s[10:11], -1
	s_and_b64 s[2:3], s[30:31], s[2:3]
	s_and_saveexec_b64 s[36:37], s[2:3]
	s_cbranch_execz .LBB871_226
; %bb.221:
	v_mul_lo_u32 v8, v10, s20
	v_mul_lo_u32 v9, v17, s21
	v_mad_u64_u32 v[6:7], s[2:3], v17, s20, 0
	v_add3_u32 v7, v7, v9, v8
	v_mul_lo_u32 v12, v11, s20
	v_mul_lo_u32 v13, v23, s21
	v_mad_u64_u32 v[8:9], s[2:3], v23, s20, 0
	v_add3_u32 v9, v9, v13, v12
	v_lshl_add_u64 v[6:7], v[6:7], 2, s[22:23]
	v_lshl_add_u64 v[8:9], v[8:9], 2, s[22:23]
	s_mov_b64 s[38:39], 0
	s_mov_b64 s[44:45], s[20:21]
                                        ; implicit-def: $sgpr40_sgpr41
                                        ; implicit-def: $sgpr42_sgpr43
                                        ; implicit-def: $sgpr2_sgpr3
                                        ; implicit-def: $sgpr46_sgpr47
	s_branch .LBB871_223
.LBB871_222:                            ;   in Loop: Header=BB871_223 Depth=1
	s_or_b64 exec, exec, s[50:51]
	s_and_b64 s[50:51], exec, s[42:43]
	s_or_b64 s[38:39], s[50:51], s[38:39]
	s_andn2_b64 s[46:47], s[46:47], exec
	s_and_b64 s[48:49], s[48:49], exec
	s_or_b64 s[46:47], s[46:47], s[48:49]
	s_andn2_b64 s[40:41], s[40:41], exec
	s_and_b64 s[48:49], s[2:3], exec
	s_or_b64 s[40:41], s[40:41], s[48:49]
	s_andn2_b64 exec, exec, s[38:39]
	s_cbranch_execz .LBB871_225
.LBB871_223:                            ; =>This Inner Loop Header: Depth=1
	global_load_dword v12, v[6:7], off
	global_load_dword v13, v[8:9], off
	s_andn2_b64 s[50:51], s[2:3], exec
	s_or_b64 s[42:43], s[42:43], exec
	s_waitcnt vmcnt(0)
	v_cmp_ngt_f32_e64 s[2:3], v12, v13
	v_cmp_lt_f32_e32 vcc, v12, v13
	s_and_b64 s[48:49], s[2:3], s[46:47]
	s_or_b64 s[48:49], vcc, s[48:49]
	s_xor_b64 s[52:53], vcc, s[2:3]
	s_and_b64 s[2:3], s[48:49], exec
	s_or_b64 s[2:3], s[50:51], s[2:3]
	s_and_saveexec_b64 s[50:51], s[52:53]
	s_cbranch_execz .LBB871_222
; %bb.224:                              ;   in Loop: Header=BB871_223 Depth=1
	s_add_u32 s44, s44, -1
	s_addc_u32 s45, s45, -1
	s_cmp_eq_u64 s[44:45], 0
	s_cselect_b64 s[46:47], -1, 0
	s_andn2_b64 s[42:43], s[42:43], exec
	s_and_b64 s[46:47], s[46:47], exec
	v_lshl_add_u64 v[6:7], v[6:7], 0, 4
	v_lshl_add_u64 v[8:9], v[8:9], 0, 4
	s_andn2_b64 s[2:3], s[2:3], exec
	s_or_b64 s[42:43], s[42:43], s[46:47]
                                        ; implicit-def: $sgpr46_sgpr47
	s_branch .LBB871_222
.LBB871_225:
	s_or_b64 exec, exec, s[38:39]
	s_xor_b64 s[2:3], s[40:41], -1
	s_andn2_b64 s[30:31], s[30:31], exec
	s_and_b64 s[2:3], s[2:3], exec
	s_or_b64 s[30:31], s[30:31], s[2:3]
.LBB871_226:
	s_or_b64 exec, exec, s[36:37]
	s_orn2_b64 s[30:31], s[30:31], exec
.LBB871_227:
	s_or_b64 exec, exec, s[34:35]
	v_cndmask_b32_e64 v6, v39, v40, s[30:31]
	v_cndmask_b32_e64 v7, v38, v37, s[30:31]
	v_add_u32_e32 v8, 1, v6
	v_add_u32_e32 v6, -1, v7
	v_min_u32_e32 v6, v8, v6
	v_lshl_add_u32 v6, v6, 3, v33
	ds_read_b64 v[6:7], v6
	v_cndmask_b32_e64 v43, v8, v39, s[30:31]
	v_cndmask_b32_e64 v44, v40, v8, s[30:31]
	v_cmp_lt_u32_e32 vcc, v43, v38
	s_mov_b64 s[36:37], -1
	s_waitcnt lgkmcnt(0)
	v_cndmask_b32_e64 v12, v7, v10, s[30:31]
	v_cndmask_b32_e64 v24, v6, v17, s[30:31]
	;; [unrolled: 1-line block ×4, first 2 shown]
	s_mov_b64 s[34:35], -1
	s_and_saveexec_b64 s[38:39], vcc
	s_cbranch_execz .LBB871_235
; %bb.228:
	v_cmp_lt_u32_e64 s[34:35], v44, v37
	s_xor_b64 s[2:3], s[10:11], -1
	s_and_b64 s[2:3], s[34:35], s[2:3]
	s_and_saveexec_b64 s[40:41], s[2:3]
	s_cbranch_execz .LBB871_234
; %bb.229:
	v_mul_lo_u32 v8, v12, s20
	v_mul_lo_u32 v9, v24, s21
	v_mad_u64_u32 v[6:7], s[2:3], v24, s20, 0
	v_add3_u32 v7, v7, v9, v8
	v_mul_lo_u32 v39, v13, s20
	v_mul_lo_u32 v40, v25, s21
	v_mad_u64_u32 v[8:9], s[2:3], v25, s20, 0
	v_add3_u32 v9, v9, v40, v39
	v_lshl_add_u64 v[6:7], v[6:7], 2, s[22:23]
	v_lshl_add_u64 v[8:9], v[8:9], 2, s[22:23]
	s_mov_b64 s[42:43], 0
	s_mov_b64 s[48:49], s[20:21]
                                        ; implicit-def: $sgpr44_sgpr45
                                        ; implicit-def: $sgpr46_sgpr47
                                        ; implicit-def: $sgpr2_sgpr3
                                        ; implicit-def: $sgpr50_sgpr51
	s_branch .LBB871_231
.LBB871_230:                            ;   in Loop: Header=BB871_231 Depth=1
	s_or_b64 exec, exec, s[54:55]
	s_and_b64 s[54:55], exec, s[46:47]
	s_or_b64 s[42:43], s[54:55], s[42:43]
	s_andn2_b64 s[50:51], s[50:51], exec
	s_and_b64 s[52:53], s[52:53], exec
	s_or_b64 s[50:51], s[50:51], s[52:53]
	s_andn2_b64 s[44:45], s[44:45], exec
	s_and_b64 s[52:53], s[2:3], exec
	s_or_b64 s[44:45], s[44:45], s[52:53]
	s_andn2_b64 exec, exec, s[42:43]
	s_cbranch_execz .LBB871_233
.LBB871_231:                            ; =>This Inner Loop Header: Depth=1
	global_load_dword v39, v[6:7], off
	global_load_dword v40, v[8:9], off
	s_andn2_b64 s[54:55], s[2:3], exec
	s_or_b64 s[46:47], s[46:47], exec
	s_waitcnt vmcnt(0)
	v_cmp_ngt_f32_e64 s[2:3], v39, v40
	v_cmp_lt_f32_e32 vcc, v39, v40
	s_and_b64 s[52:53], s[2:3], s[50:51]
	s_or_b64 s[52:53], vcc, s[52:53]
	s_xor_b64 s[56:57], vcc, s[2:3]
	s_and_b64 s[2:3], s[52:53], exec
	s_or_b64 s[2:3], s[54:55], s[2:3]
	s_and_saveexec_b64 s[54:55], s[56:57]
	s_cbranch_execz .LBB871_230
; %bb.232:                              ;   in Loop: Header=BB871_231 Depth=1
	s_add_u32 s48, s48, -1
	s_addc_u32 s49, s49, -1
	s_cmp_eq_u64 s[48:49], 0
	s_cselect_b64 s[50:51], -1, 0
	s_andn2_b64 s[46:47], s[46:47], exec
	s_and_b64 s[50:51], s[50:51], exec
	v_lshl_add_u64 v[6:7], v[6:7], 0, 4
	v_lshl_add_u64 v[8:9], v[8:9], 0, 4
	s_andn2_b64 s[2:3], s[2:3], exec
	s_or_b64 s[46:47], s[46:47], s[50:51]
                                        ; implicit-def: $sgpr50_sgpr51
	s_branch .LBB871_230
.LBB871_233:
	s_or_b64 exec, exec, s[42:43]
	s_xor_b64 s[2:3], s[44:45], -1
	s_andn2_b64 s[34:35], s[34:35], exec
	s_and_b64 s[2:3], s[2:3], exec
	s_or_b64 s[34:35], s[34:35], s[2:3]
.LBB871_234:
	s_or_b64 exec, exec, s[40:41]
	s_orn2_b64 s[34:35], s[34:35], exec
.LBB871_235:
	s_or_b64 exec, exec, s[38:39]
	v_cndmask_b32_e64 v6, v43, v44, s[34:35]
	v_cndmask_b32_e64 v7, v38, v37, s[34:35]
	v_add_u32_e32 v8, 1, v6
	v_add_u32_e32 v6, -1, v7
	v_min_u32_e32 v6, v8, v6
	v_lshl_add_u32 v6, v6, 3, v33
	ds_read_b64 v[6:7], v6
	v_cndmask_b32_e64 v47, v8, v43, s[34:35]
	v_cndmask_b32_e64 v48, v44, v8, s[34:35]
	v_cmp_lt_u32_e32 vcc, v47, v38
	s_waitcnt lgkmcnt(0)
	v_cndmask_b32_e64 v39, v7, v12, s[34:35]
	v_cndmask_b32_e64 v40, v6, v24, s[34:35]
	;; [unrolled: 1-line block ×4, first 2 shown]
	s_and_saveexec_b64 s[38:39], vcc
	s_cbranch_execz .LBB871_243
; %bb.236:
	v_cmp_lt_u32_e64 s[36:37], v48, v37
	s_xor_b64 s[2:3], s[10:11], -1
	s_and_b64 s[2:3], s[36:37], s[2:3]
	s_and_saveexec_b64 s[40:41], s[2:3]
	s_cbranch_execz .LBB871_242
; %bb.237:
	v_mul_lo_u32 v8, v39, s20
	v_mul_lo_u32 v9, v40, s21
	v_mad_u64_u32 v[6:7], s[2:3], v40, s20, 0
	v_add3_u32 v7, v7, v9, v8
	v_mul_lo_u32 v43, v41, s20
	v_mul_lo_u32 v44, v42, s21
	v_mad_u64_u32 v[8:9], s[2:3], v42, s20, 0
	v_add3_u32 v9, v9, v44, v43
	v_lshl_add_u64 v[6:7], v[6:7], 2, s[22:23]
	v_lshl_add_u64 v[8:9], v[8:9], 2, s[22:23]
	s_mov_b64 s[42:43], 0
	s_mov_b64 s[48:49], s[20:21]
                                        ; implicit-def: $sgpr44_sgpr45
                                        ; implicit-def: $sgpr46_sgpr47
                                        ; implicit-def: $sgpr2_sgpr3
                                        ; implicit-def: $sgpr50_sgpr51
	s_branch .LBB871_239
.LBB871_238:                            ;   in Loop: Header=BB871_239 Depth=1
	s_or_b64 exec, exec, s[54:55]
	s_and_b64 s[54:55], exec, s[46:47]
	s_or_b64 s[42:43], s[54:55], s[42:43]
	s_andn2_b64 s[50:51], s[50:51], exec
	s_and_b64 s[52:53], s[52:53], exec
	s_or_b64 s[50:51], s[50:51], s[52:53]
	s_andn2_b64 s[44:45], s[44:45], exec
	s_and_b64 s[52:53], s[2:3], exec
	s_or_b64 s[44:45], s[44:45], s[52:53]
	s_andn2_b64 exec, exec, s[42:43]
	s_cbranch_execz .LBB871_241
.LBB871_239:                            ; =>This Inner Loop Header: Depth=1
	global_load_dword v43, v[6:7], off
	global_load_dword v44, v[8:9], off
	s_andn2_b64 s[54:55], s[2:3], exec
	s_or_b64 s[46:47], s[46:47], exec
	s_waitcnt vmcnt(0)
	v_cmp_ngt_f32_e64 s[2:3], v43, v44
	v_cmp_lt_f32_e32 vcc, v43, v44
	s_and_b64 s[52:53], s[2:3], s[50:51]
	s_or_b64 s[52:53], vcc, s[52:53]
	s_xor_b64 s[56:57], vcc, s[2:3]
	s_and_b64 s[2:3], s[52:53], exec
	s_or_b64 s[2:3], s[54:55], s[2:3]
	s_and_saveexec_b64 s[54:55], s[56:57]
	s_cbranch_execz .LBB871_238
; %bb.240:                              ;   in Loop: Header=BB871_239 Depth=1
	s_add_u32 s48, s48, -1
	s_addc_u32 s49, s49, -1
	s_cmp_eq_u64 s[48:49], 0
	s_cselect_b64 s[50:51], -1, 0
	s_andn2_b64 s[46:47], s[46:47], exec
	s_and_b64 s[50:51], s[50:51], exec
	v_lshl_add_u64 v[6:7], v[6:7], 0, 4
	v_lshl_add_u64 v[8:9], v[8:9], 0, 4
	s_andn2_b64 s[2:3], s[2:3], exec
	s_or_b64 s[46:47], s[46:47], s[50:51]
                                        ; implicit-def: $sgpr50_sgpr51
	s_branch .LBB871_238
.LBB871_241:
	s_or_b64 exec, exec, s[42:43]
	s_xor_b64 s[2:3], s[44:45], -1
	s_andn2_b64 s[36:37], s[36:37], exec
	s_and_b64 s[2:3], s[2:3], exec
	s_or_b64 s[36:37], s[36:37], s[2:3]
.LBB871_242:
	s_or_b64 exec, exec, s[40:41]
	s_orn2_b64 s[36:37], s[36:37], exec
.LBB871_243:
	s_or_b64 exec, exec, s[38:39]
	v_cndmask_b32_e64 v6, v47, v48, s[36:37]
	v_cndmask_b32_e64 v7, v38, v37, s[36:37]
	v_add_u32_e32 v8, 1, v6
	v_add_u32_e32 v6, -1, v7
	v_min_u32_e32 v6, v8, v6
	v_lshl_add_u32 v6, v6, 3, v33
	ds_read_b64 v[6:7], v6
	v_cndmask_b32_e64 v49, v8, v47, s[36:37]
	v_cndmask_b32_e64 v53, v48, v8, s[36:37]
	v_cmp_lt_u32_e32 vcc, v49, v38
	s_mov_b64 s[38:39], -1
	s_waitcnt lgkmcnt(0)
	v_cndmask_b32_e64 v43, v7, v39, s[36:37]
	v_cndmask_b32_e64 v44, v6, v40, s[36:37]
	;; [unrolled: 1-line block ×4, first 2 shown]
	s_mov_b64 s[40:41], -1
	s_and_saveexec_b64 s[42:43], vcc
	s_cbranch_execz .LBB871_251
; %bb.244:
	v_cmp_lt_u32_e64 s[40:41], v53, v37
	s_xor_b64 s[2:3], s[10:11], -1
	s_and_b64 s[2:3], s[40:41], s[2:3]
	s_and_saveexec_b64 s[44:45], s[2:3]
	s_cbranch_execz .LBB871_250
; %bb.245:
	v_mul_lo_u32 v8, v43, s20
	v_mul_lo_u32 v9, v44, s21
	v_mad_u64_u32 v[6:7], s[2:3], v44, s20, 0
	v_add3_u32 v7, v7, v9, v8
	v_mul_lo_u32 v47, v45, s20
	v_mul_lo_u32 v48, v46, s21
	v_mad_u64_u32 v[8:9], s[2:3], v46, s20, 0
	v_add3_u32 v9, v9, v48, v47
	v_lshl_add_u64 v[6:7], v[6:7], 2, s[22:23]
	v_lshl_add_u64 v[8:9], v[8:9], 2, s[22:23]
	s_mov_b64 s[46:47], 0
	s_mov_b64 s[52:53], s[20:21]
                                        ; implicit-def: $sgpr48_sgpr49
                                        ; implicit-def: $sgpr50_sgpr51
                                        ; implicit-def: $sgpr2_sgpr3
                                        ; implicit-def: $sgpr54_sgpr55
	s_branch .LBB871_247
.LBB871_246:                            ;   in Loop: Header=BB871_247 Depth=1
	s_or_b64 exec, exec, s[58:59]
	s_and_b64 s[58:59], exec, s[50:51]
	s_or_b64 s[46:47], s[58:59], s[46:47]
	s_andn2_b64 s[54:55], s[54:55], exec
	s_and_b64 s[56:57], s[56:57], exec
	s_or_b64 s[54:55], s[54:55], s[56:57]
	s_andn2_b64 s[48:49], s[48:49], exec
	s_and_b64 s[56:57], s[2:3], exec
	s_or_b64 s[48:49], s[48:49], s[56:57]
	s_andn2_b64 exec, exec, s[46:47]
	s_cbranch_execz .LBB871_249
.LBB871_247:                            ; =>This Inner Loop Header: Depth=1
	global_load_dword v47, v[6:7], off
	global_load_dword v48, v[8:9], off
	s_andn2_b64 s[58:59], s[2:3], exec
	s_or_b64 s[50:51], s[50:51], exec
	s_waitcnt vmcnt(0)
	v_cmp_ngt_f32_e64 s[2:3], v47, v48
	v_cmp_lt_f32_e32 vcc, v47, v48
	s_and_b64 s[56:57], s[2:3], s[54:55]
	s_or_b64 s[56:57], vcc, s[56:57]
	s_xor_b64 s[60:61], vcc, s[2:3]
	s_and_b64 s[2:3], s[56:57], exec
	s_or_b64 s[2:3], s[58:59], s[2:3]
	s_and_saveexec_b64 s[58:59], s[60:61]
	s_cbranch_execz .LBB871_246
; %bb.248:                              ;   in Loop: Header=BB871_247 Depth=1
	s_add_u32 s52, s52, -1
	s_addc_u32 s53, s53, -1
	s_cmp_eq_u64 s[52:53], 0
	s_cselect_b64 s[54:55], -1, 0
	s_andn2_b64 s[50:51], s[50:51], exec
	s_and_b64 s[54:55], s[54:55], exec
	v_lshl_add_u64 v[6:7], v[6:7], 0, 4
	v_lshl_add_u64 v[8:9], v[8:9], 0, 4
	s_andn2_b64 s[2:3], s[2:3], exec
	s_or_b64 s[50:51], s[50:51], s[54:55]
                                        ; implicit-def: $sgpr54_sgpr55
	s_branch .LBB871_246
.LBB871_249:
	s_or_b64 exec, exec, s[46:47]
	s_xor_b64 s[2:3], s[48:49], -1
	s_andn2_b64 s[40:41], s[40:41], exec
	s_and_b64 s[2:3], s[2:3], exec
	s_or_b64 s[40:41], s[40:41], s[2:3]
.LBB871_250:
	s_or_b64 exec, exec, s[44:45]
	s_orn2_b64 s[40:41], s[40:41], exec
.LBB871_251:
	s_or_b64 exec, exec, s[42:43]
	v_cndmask_b32_e64 v6, v49, v53, s[40:41]
	v_cndmask_b32_e64 v7, v38, v37, s[40:41]
	v_add_u32_e32 v8, 1, v6
	v_add_u32_e32 v6, -1, v7
	v_min_u32_e32 v6, v8, v6
	v_lshl_add_u32 v6, v6, 3, v33
	ds_read_b64 v[6:7], v6
	v_cndmask_b32_e64 v50, v8, v49, s[40:41]
	v_cndmask_b32_e64 v49, v53, v8, s[40:41]
	v_cmp_lt_u32_e32 vcc, v50, v38
	s_waitcnt lgkmcnt(0)
	v_cndmask_b32_e64 v47, v7, v43, s[40:41]
	v_cndmask_b32_e64 v48, v6, v44, s[40:41]
	;; [unrolled: 1-line block ×4, first 2 shown]
	s_and_saveexec_b64 s[42:43], vcc
	s_cbranch_execz .LBB871_259
; %bb.252:
	v_cmp_lt_u32_e64 s[38:39], v49, v37
	s_xor_b64 s[2:3], s[10:11], -1
	s_and_b64 s[2:3], s[38:39], s[2:3]
	s_and_saveexec_b64 s[44:45], s[2:3]
	s_cbranch_execz .LBB871_258
; %bb.253:
	v_mul_lo_u32 v8, v47, s20
	v_mul_lo_u32 v9, v48, s21
	v_mad_u64_u32 v[6:7], s[2:3], v48, s20, 0
	v_add3_u32 v7, v7, v9, v8
	v_mul_lo_u32 v53, v51, s20
	v_mul_lo_u32 v54, v52, s21
	v_mad_u64_u32 v[8:9], s[2:3], v52, s20, 0
	v_add3_u32 v9, v9, v54, v53
	v_lshl_add_u64 v[6:7], v[6:7], 2, s[22:23]
	v_lshl_add_u64 v[8:9], v[8:9], 2, s[22:23]
	s_mov_b64 s[46:47], 0
	s_mov_b64 s[52:53], s[20:21]
                                        ; implicit-def: $sgpr48_sgpr49
                                        ; implicit-def: $sgpr50_sgpr51
                                        ; implicit-def: $sgpr2_sgpr3
                                        ; implicit-def: $sgpr54_sgpr55
	s_branch .LBB871_255
.LBB871_254:                            ;   in Loop: Header=BB871_255 Depth=1
	s_or_b64 exec, exec, s[58:59]
	s_and_b64 s[58:59], exec, s[50:51]
	s_or_b64 s[46:47], s[58:59], s[46:47]
	s_andn2_b64 s[54:55], s[54:55], exec
	s_and_b64 s[56:57], s[56:57], exec
	s_or_b64 s[54:55], s[54:55], s[56:57]
	s_andn2_b64 s[48:49], s[48:49], exec
	s_and_b64 s[56:57], s[2:3], exec
	s_or_b64 s[48:49], s[48:49], s[56:57]
	s_andn2_b64 exec, exec, s[46:47]
	s_cbranch_execz .LBB871_257
.LBB871_255:                            ; =>This Inner Loop Header: Depth=1
	global_load_dword v53, v[6:7], off
	global_load_dword v54, v[8:9], off
	s_andn2_b64 s[58:59], s[2:3], exec
	s_or_b64 s[50:51], s[50:51], exec
	s_waitcnt vmcnt(0)
	v_cmp_ngt_f32_e64 s[2:3], v53, v54
	v_cmp_lt_f32_e32 vcc, v53, v54
	s_and_b64 s[56:57], s[2:3], s[54:55]
	s_or_b64 s[56:57], vcc, s[56:57]
	s_xor_b64 s[60:61], vcc, s[2:3]
	s_and_b64 s[2:3], s[56:57], exec
	s_or_b64 s[2:3], s[58:59], s[2:3]
	s_and_saveexec_b64 s[58:59], s[60:61]
	s_cbranch_execz .LBB871_254
; %bb.256:                              ;   in Loop: Header=BB871_255 Depth=1
	s_add_u32 s52, s52, -1
	s_addc_u32 s53, s53, -1
	s_cmp_eq_u64 s[52:53], 0
	s_cselect_b64 s[54:55], -1, 0
	s_andn2_b64 s[50:51], s[50:51], exec
	s_and_b64 s[54:55], s[54:55], exec
	v_lshl_add_u64 v[6:7], v[6:7], 0, 4
	v_lshl_add_u64 v[8:9], v[8:9], 0, 4
	s_andn2_b64 s[2:3], s[2:3], exec
	s_or_b64 s[50:51], s[50:51], s[54:55]
                                        ; implicit-def: $sgpr54_sgpr55
	s_branch .LBB871_254
.LBB871_257:
	s_or_b64 exec, exec, s[46:47]
	s_xor_b64 s[2:3], s[48:49], -1
	s_andn2_b64 s[38:39], s[38:39], exec
	s_and_b64 s[2:3], s[2:3], exec
	s_or_b64 s[38:39], s[38:39], s[2:3]
.LBB871_258:
	s_or_b64 exec, exec, s[44:45]
	s_orn2_b64 s[38:39], s[38:39], exec
.LBB871_259:
	s_or_b64 exec, exec, s[42:43]
	v_cndmask_b32_e64 v11, v10, v11, s[30:31]
	v_cndmask_b32_e64 v10, v17, v23, s[30:31]
	;; [unrolled: 1-line block ×8, first 2 shown]
	v_add_u32_e32 v24, 1, v14
	v_add_u32_e32 v14, -1, v15
	v_min_u32_e32 v14, v24, v14
	v_lshl_add_u32 v14, v14, 3, v33
	ds_read_b64 v[22:23], v14
	v_cndmask_b32_e64 v25, v24, v50, s[38:39]
	v_cndmask_b32_e64 v9, v43, v45, s[40:41]
	;; [unrolled: 1-line block ×9, first 2 shown]
	s_waitcnt lgkmcnt(0)
	v_cndmask_b32_e64 v5, v51, v23, s[38:39]
	v_cndmask_b32_e64 v4, v52, v22, s[38:39]
	v_cmp_lt_u32_e32 vcc, v25, v38
	s_and_saveexec_b64 s[4:5], vcc
	s_cbranch_execz .LBB871_267
; %bb.260:
	v_cndmask_b32_e64 v39, v22, v48, s[38:39]
	v_cndmask_b32_e64 v22, v49, v24, s[38:39]
	;; [unrolled: 1-line block ×3, first 2 shown]
	v_cmp_ge_u32_e32 vcc, v22, v37
	s_nor_b64 s[2:3], vcc, s[10:11]
	s_nop 0
	v_cndmask_b32_e32 v23, v5, v38, vcc
	v_cndmask_b32_e32 v22, v4, v39, vcc
	s_and_saveexec_b64 s[26:27], s[2:3]
	s_cbranch_execz .LBB871_266
; %bb.261:
	v_mul_lo_u32 v24, v38, s20
	v_mul_lo_u32 v25, v39, s21
	v_mad_u64_u32 v[22:23], s[2:3], v39, s20, 0
	v_add3_u32 v23, v23, v25, v24
	v_mul_lo_u32 v37, v5, s20
	v_mul_lo_u32 v40, v4, s21
	v_mad_u64_u32 v[24:25], s[2:3], v4, s20, 0
	v_add3_u32 v25, v25, v40, v37
	v_lshl_add_u64 v[22:23], v[22:23], 2, s[22:23]
	v_lshl_add_u64 v[24:25], v[24:25], 2, s[22:23]
	s_mov_b64 s[30:31], 0
	s_mov_b64 s[38:39], s[20:21]
                                        ; implicit-def: $sgpr34_sgpr35
                                        ; implicit-def: $sgpr36_sgpr37
                                        ; implicit-def: $sgpr2_sgpr3
                                        ; implicit-def: $sgpr40_sgpr41
	s_branch .LBB871_263
.LBB871_262:                            ;   in Loop: Header=BB871_263 Depth=1
	s_or_b64 exec, exec, s[44:45]
	s_and_b64 s[44:45], exec, s[36:37]
	s_or_b64 s[30:31], s[44:45], s[30:31]
	s_andn2_b64 s[40:41], s[40:41], exec
	s_and_b64 s[42:43], s[42:43], exec
	s_or_b64 s[40:41], s[40:41], s[42:43]
	s_andn2_b64 s[34:35], s[34:35], exec
	s_and_b64 s[42:43], s[2:3], exec
	s_or_b64 s[34:35], s[34:35], s[42:43]
	s_andn2_b64 exec, exec, s[30:31]
	s_cbranch_execz .LBB871_265
.LBB871_263:                            ; =>This Inner Loop Header: Depth=1
	global_load_dword v37, v[22:23], off
	global_load_dword v40, v[24:25], off
	s_andn2_b64 s[44:45], s[2:3], exec
	s_or_b64 s[36:37], s[36:37], exec
	s_waitcnt vmcnt(0)
	v_cmp_ngt_f32_e64 s[2:3], v37, v40
	v_cmp_lt_f32_e32 vcc, v37, v40
	s_and_b64 s[42:43], s[2:3], s[40:41]
	s_or_b64 s[42:43], vcc, s[42:43]
	s_xor_b64 s[46:47], vcc, s[2:3]
	s_and_b64 s[2:3], s[42:43], exec
	s_or_b64 s[2:3], s[44:45], s[2:3]
	s_and_saveexec_b64 s[44:45], s[46:47]
	s_cbranch_execz .LBB871_262
; %bb.264:                              ;   in Loop: Header=BB871_263 Depth=1
	s_add_u32 s38, s38, -1
	s_addc_u32 s39, s39, -1
	s_cmp_eq_u64 s[38:39], 0
	s_cselect_b64 s[40:41], -1, 0
	s_andn2_b64 s[36:37], s[36:37], exec
	s_and_b64 s[40:41], s[40:41], exec
	v_lshl_add_u64 v[22:23], v[22:23], 0, 4
	v_lshl_add_u64 v[24:25], v[24:25], 0, 4
	s_andn2_b64 s[2:3], s[2:3], exec
	s_or_b64 s[36:37], s[36:37], s[40:41]
                                        ; implicit-def: $sgpr40_sgpr41
	s_branch .LBB871_262
.LBB871_265:
	s_or_b64 exec, exec, s[30:31]
	v_cndmask_b32_e64 v23, v5, v38, s[34:35]
	v_cndmask_b32_e64 v22, v4, v39, s[34:35]
.LBB871_266:
	s_or_b64 exec, exec, s[26:27]
	v_mov_b64_e32 v[4:5], v[22:23]
.LBB871_267:
	s_or_b64 exec, exec, s[4:5]
.LBB871_268:
	s_or_b64 exec, exec, s[12:13]
	v_and_b32_e32 v41, 0x3e0, v35
	v_or_b32_e32 v22, 16, v41
	v_min_u32_e32 v37, v34, v22
	v_add_u32_e32 v22, 16, v37
	v_min_u32_e32 v38, v34, v22
	v_and_b32_e32 v22, 24, v35
	v_min_u32_e32 v42, v34, v22
	v_sub_u32_e32 v22, v37, v41
	v_sub_u32_e32 v23, v38, v37
	v_sub_u32_e64 v40, v42, v23 clamp
	v_min_u32_e32 v43, v42, v22
	v_lshl_add_u32 v39, v41, 3, v33
	v_cmp_lt_u32_e32 vcc, v40, v43
	; wave barrier
	ds_write_b128 v36, v[14:17]
	ds_write_b128 v36, v[10:13] offset:16
	ds_write_b128 v36, v[6:9] offset:32
	ds_write_b128 v36, v[2:5] offset:48
	; wave barrier
	s_and_saveexec_b64 s[4:5], vcc
	s_cbranch_execz .LBB871_278
; %bb.269:
	v_lshlrev_b32_e32 v22, 3, v37
	v_lshlrev_b32_e32 v23, 3, v42
	v_add3_u32 v44, v33, v22, v23
	s_lshl_b64 s[26:27], s[20:21], 2
	s_mov_b64 s[12:13], 0
	s_branch .LBB871_272
.LBB871_270:                            ;   in Loop: Header=BB871_272 Depth=1
	s_or_b64 exec, exec, s[34:35]
.LBB871_271:                            ;   in Loop: Header=BB871_272 Depth=1
	v_add_u32_e32 v22, 1, v45
	v_cndmask_b32_e64 v43, v43, v45, s[30:31]
	v_cndmask_b32_e64 v40, v22, v40, s[30:31]
	v_cmp_ge_u32_e32 vcc, v40, v43
	s_or_b64 s[12:13], vcc, s[12:13]
	s_andn2_b64 exec, exec, s[12:13]
	s_cbranch_execz .LBB871_277
.LBB871_272:                            ; =>This Loop Header: Depth=1
                                        ;     Child Loop BB871_275 Depth 2
	v_add_u32_e32 v22, v43, v40
	v_lshrrev_b32_e32 v45, 1, v22
	s_and_b64 vcc, exec, s[0:1]
	s_mov_b64 s[30:31], 0
	s_cbranch_vccnz .LBB871_271
; %bb.273:                              ;   in Loop: Header=BB871_272 Depth=1
	v_not_b32_e32 v22, v45
	v_lshl_add_u32 v22, v22, 3, v44
	ds_read_b64 v[22:23], v22
	v_lshl_add_u32 v46, v45, 3, v39
	ds_read_b64 v[46:47], v46
	v_mov_b64_e32 v[24:25], s[22:23]
	s_mov_b64 s[34:35], 0
	s_waitcnt lgkmcnt(1)
	v_mul_lo_u32 v48, s26, v23
	v_mul_lo_u32 v49, s27, v22
	v_mad_u64_u32 v[22:23], s[2:3], s26, v22, v[24:25]
	v_add3_u32 v23, v49, v23, v48
	s_waitcnt lgkmcnt(0)
	v_mul_lo_u32 v47, s26, v47
	v_mul_lo_u32 v48, s27, v46
	v_mad_u64_u32 v[24:25], s[2:3], s26, v46, v[24:25]
	v_add3_u32 v25, v48, v25, v47
	s_mov_b64 s[38:39], s[20:21]
                                        ; implicit-def: $sgpr30_sgpr31
                                        ; implicit-def: $sgpr36_sgpr37
                                        ; implicit-def: $sgpr2_sgpr3
                                        ; implicit-def: $sgpr40_sgpr41
	s_branch .LBB871_275
.LBB871_274:                            ;   in Loop: Header=BB871_275 Depth=2
	s_or_b64 exec, exec, s[44:45]
	s_and_b64 s[44:45], exec, s[36:37]
	s_or_b64 s[34:35], s[44:45], s[34:35]
	s_andn2_b64 s[40:41], s[40:41], exec
	s_and_b64 s[42:43], s[42:43], exec
	s_or_b64 s[40:41], s[40:41], s[42:43]
	s_andn2_b64 s[30:31], s[30:31], exec
	s_and_b64 s[42:43], s[2:3], exec
	s_or_b64 s[30:31], s[30:31], s[42:43]
	s_andn2_b64 exec, exec, s[34:35]
	s_cbranch_execz .LBB871_270
.LBB871_275:                            ;   Parent Loop BB871_272 Depth=1
                                        ; =>  This Inner Loop Header: Depth=2
	global_load_dword v46, v[22:23], off
	global_load_dword v47, v[24:25], off
	s_andn2_b64 s[44:45], s[2:3], exec
	s_or_b64 s[36:37], s[36:37], exec
	s_waitcnt vmcnt(0)
	v_cmp_ngt_f32_e64 s[2:3], v46, v47
	v_cmp_lt_f32_e32 vcc, v46, v47
	s_and_b64 s[42:43], s[2:3], s[40:41]
	s_or_b64 s[42:43], vcc, s[42:43]
	s_xor_b64 s[46:47], vcc, s[2:3]
	s_and_b64 s[2:3], s[42:43], exec
	s_or_b64 s[2:3], s[44:45], s[2:3]
	s_and_saveexec_b64 s[44:45], s[46:47]
	s_cbranch_execz .LBB871_274
; %bb.276:                              ;   in Loop: Header=BB871_275 Depth=2
	s_add_u32 s38, s38, -1
	s_addc_u32 s39, s39, -1
	s_cmp_eq_u64 s[38:39], 0
	s_cselect_b64 s[40:41], -1, 0
	s_andn2_b64 s[36:37], s[36:37], exec
	s_and_b64 s[40:41], s[40:41], exec
	v_lshl_add_u64 v[22:23], v[22:23], 0, 4
	v_lshl_add_u64 v[24:25], v[24:25], 0, 4
	s_andn2_b64 s[2:3], s[2:3], exec
	s_or_b64 s[36:37], s[36:37], s[40:41]
                                        ; implicit-def: $sgpr40_sgpr41
	s_branch .LBB871_274
.LBB871_277:
	s_or_b64 exec, exec, s[12:13]
.LBB871_278:
	s_or_b64 exec, exec, s[4:5]
	v_add_u32_e32 v22, v37, v42
	v_add_u32_e32 v23, v40, v41
	v_sub_u32_e32 v24, v22, v40
	v_cmp_le_u32_e32 vcc, v23, v37
	v_cmp_le_u32_e64 s[2:3], v24, v38
	s_or_b64 s[2:3], vcc, s[2:3]
	s_and_saveexec_b64 s[12:13], s[2:3]
	s_cbranch_execz .LBB871_346
; %bb.279:
	v_cmp_ge_u32_e32 vcc, v23, v37
	v_cmp_lt_u32_e64 s[2:3], v23, v37
                                        ; implicit-def: $vgpr2_vgpr3
	s_and_saveexec_b64 s[4:5], s[2:3]
; %bb.280:
	v_lshl_add_u32 v2, v40, 3, v39
	ds_read_b64 v[2:3], v2
; %bb.281:
	s_or_b64 exec, exec, s[4:5]
	v_cmp_ge_u32_e64 s[2:3], v24, v38
	v_cmp_lt_u32_e64 s[4:5], v24, v38
                                        ; implicit-def: $vgpr4_vgpr5
	s_and_saveexec_b64 s[26:27], s[4:5]
; %bb.282:
	v_lshl_add_u32 v4, v24, 3, v33
	ds_read_b64 v[4:5], v4
; %bb.283:
	s_or_b64 exec, exec, s[26:27]
	s_or_b64 s[4:5], vcc, s[2:3]
	s_nor_b64 s[30:31], s[4:5], s[10:11]
	s_xor_b64 s[4:5], vcc, -1
	s_or_b64 s[4:5], s[2:3], s[4:5]
	s_and_saveexec_b64 s[26:27], s[30:31]
	s_cbranch_execz .LBB871_289
; %bb.284:
	s_waitcnt lgkmcnt(0)
	v_mul_lo_u32 v8, v5, s20
	v_mul_lo_u32 v9, v4, s21
	v_mad_u64_u32 v[6:7], s[2:3], v4, s20, 0
	v_add3_u32 v7, v7, v9, v8
	v_mul_lo_u32 v10, v3, s20
	v_mul_lo_u32 v11, v2, s21
	v_mad_u64_u32 v[8:9], s[2:3], v2, s20, 0
	v_add3_u32 v9, v9, v11, v10
	v_lshl_add_u64 v[6:7], v[6:7], 2, s[22:23]
	v_lshl_add_u64 v[8:9], v[8:9], 2, s[22:23]
	s_mov_b64 s[30:31], 0
	s_mov_b64 s[38:39], s[20:21]
                                        ; implicit-def: $sgpr34_sgpr35
                                        ; implicit-def: $sgpr36_sgpr37
                                        ; implicit-def: $sgpr2_sgpr3
                                        ; implicit-def: $sgpr40_sgpr41
	s_branch .LBB871_286
.LBB871_285:                            ;   in Loop: Header=BB871_286 Depth=1
	s_or_b64 exec, exec, s[44:45]
	s_and_b64 s[44:45], exec, s[36:37]
	s_or_b64 s[30:31], s[44:45], s[30:31]
	s_andn2_b64 s[40:41], s[40:41], exec
	s_and_b64 s[42:43], s[42:43], exec
	s_or_b64 s[40:41], s[40:41], s[42:43]
	s_andn2_b64 s[34:35], s[34:35], exec
	s_and_b64 s[42:43], s[2:3], exec
	s_or_b64 s[34:35], s[34:35], s[42:43]
	s_andn2_b64 exec, exec, s[30:31]
	s_cbranch_execz .LBB871_288
.LBB871_286:                            ; =>This Inner Loop Header: Depth=1
	global_load_dword v10, v[6:7], off
	global_load_dword v11, v[8:9], off
	s_andn2_b64 s[44:45], s[2:3], exec
	s_or_b64 s[36:37], s[36:37], exec
	s_waitcnt vmcnt(0)
	v_cmp_ngt_f32_e64 s[2:3], v10, v11
	v_cmp_lt_f32_e32 vcc, v10, v11
	s_and_b64 s[42:43], s[2:3], s[40:41]
	s_or_b64 s[42:43], vcc, s[42:43]
	s_xor_b64 s[46:47], vcc, s[2:3]
	s_and_b64 s[2:3], s[42:43], exec
	s_or_b64 s[2:3], s[44:45], s[2:3]
	s_and_saveexec_b64 s[44:45], s[46:47]
	s_cbranch_execz .LBB871_285
; %bb.287:                              ;   in Loop: Header=BB871_286 Depth=1
	s_add_u32 s38, s38, -1
	s_addc_u32 s39, s39, -1
	s_cmp_eq_u64 s[38:39], 0
	s_cselect_b64 s[40:41], -1, 0
	s_andn2_b64 s[36:37], s[36:37], exec
	s_and_b64 s[40:41], s[40:41], exec
	v_lshl_add_u64 v[6:7], v[6:7], 0, 4
	v_lshl_add_u64 v[8:9], v[8:9], 0, 4
	s_andn2_b64 s[2:3], s[2:3], exec
	s_or_b64 s[36:37], s[36:37], s[40:41]
                                        ; implicit-def: $sgpr40_sgpr41
	s_branch .LBB871_285
.LBB871_288:
	s_or_b64 exec, exec, s[30:31]
	s_xor_b64 s[2:3], s[34:35], -1
	s_andn2_b64 s[4:5], s[4:5], exec
	s_and_b64 s[2:3], s[2:3], exec
	s_or_b64 s[4:5], s[4:5], s[2:3]
.LBB871_289:
	s_or_b64 exec, exec, s[26:27]
	v_cndmask_b32_e64 v6, v24, v23, s[4:5]
	v_cndmask_b32_e64 v7, v38, v37, s[4:5]
	v_add_u32_e32 v8, 1, v6
	v_add_u32_e32 v6, -1, v7
	v_min_u32_e32 v6, v8, v6
	v_lshl_add_u32 v6, v6, 3, v33
	ds_read_b64 v[6:7], v6
	v_cndmask_b32_e64 v12, v8, v24, s[4:5]
	v_cndmask_b32_e64 v13, v23, v8, s[4:5]
	v_cmp_lt_u32_e32 vcc, v12, v38
	s_mov_b64 s[30:31], -1
	s_waitcnt lgkmcnt(0)
	v_cndmask_b32_e64 v14, v7, v5, s[4:5]
	v_cndmask_b32_e64 v15, v6, v4, s[4:5]
	;; [unrolled: 1-line block ×4, first 2 shown]
	s_mov_b64 s[26:27], -1
	s_and_saveexec_b64 s[34:35], vcc
	s_cbranch_execz .LBB871_297
; %bb.290:
	v_cmp_lt_u32_e64 s[26:27], v13, v37
	s_xor_b64 s[2:3], s[10:11], -1
	s_and_b64 s[2:3], s[26:27], s[2:3]
	s_and_saveexec_b64 s[36:37], s[2:3]
	s_cbranch_execz .LBB871_296
; %bb.291:
	v_mul_lo_u32 v8, v14, s20
	v_mul_lo_u32 v9, v15, s21
	v_mad_u64_u32 v[6:7], s[2:3], v15, s20, 0
	v_add3_u32 v7, v7, v9, v8
	v_mul_lo_u32 v10, v16, s20
	v_mul_lo_u32 v11, v22, s21
	v_mad_u64_u32 v[8:9], s[2:3], v22, s20, 0
	v_add3_u32 v9, v9, v11, v10
	v_lshl_add_u64 v[6:7], v[6:7], 2, s[22:23]
	v_lshl_add_u64 v[8:9], v[8:9], 2, s[22:23]
	s_mov_b64 s[38:39], 0
	s_mov_b64 s[44:45], s[20:21]
                                        ; implicit-def: $sgpr40_sgpr41
                                        ; implicit-def: $sgpr42_sgpr43
                                        ; implicit-def: $sgpr2_sgpr3
                                        ; implicit-def: $sgpr46_sgpr47
	s_branch .LBB871_293
.LBB871_292:                            ;   in Loop: Header=BB871_293 Depth=1
	s_or_b64 exec, exec, s[50:51]
	s_and_b64 s[50:51], exec, s[42:43]
	s_or_b64 s[38:39], s[50:51], s[38:39]
	s_andn2_b64 s[46:47], s[46:47], exec
	s_and_b64 s[48:49], s[48:49], exec
	s_or_b64 s[46:47], s[46:47], s[48:49]
	s_andn2_b64 s[40:41], s[40:41], exec
	s_and_b64 s[48:49], s[2:3], exec
	s_or_b64 s[40:41], s[40:41], s[48:49]
	s_andn2_b64 exec, exec, s[38:39]
	s_cbranch_execz .LBB871_295
.LBB871_293:                            ; =>This Inner Loop Header: Depth=1
	global_load_dword v10, v[6:7], off
	global_load_dword v11, v[8:9], off
	s_andn2_b64 s[50:51], s[2:3], exec
	s_or_b64 s[42:43], s[42:43], exec
	s_waitcnt vmcnt(0)
	v_cmp_ngt_f32_e64 s[2:3], v10, v11
	v_cmp_lt_f32_e32 vcc, v10, v11
	s_and_b64 s[48:49], s[2:3], s[46:47]
	s_or_b64 s[48:49], vcc, s[48:49]
	s_xor_b64 s[52:53], vcc, s[2:3]
	s_and_b64 s[2:3], s[48:49], exec
	s_or_b64 s[2:3], s[50:51], s[2:3]
	s_and_saveexec_b64 s[50:51], s[52:53]
	s_cbranch_execz .LBB871_292
; %bb.294:                              ;   in Loop: Header=BB871_293 Depth=1
	s_add_u32 s44, s44, -1
	s_addc_u32 s45, s45, -1
	s_cmp_eq_u64 s[44:45], 0
	s_cselect_b64 s[46:47], -1, 0
	s_andn2_b64 s[42:43], s[42:43], exec
	s_and_b64 s[46:47], s[46:47], exec
	v_lshl_add_u64 v[6:7], v[6:7], 0, 4
	v_lshl_add_u64 v[8:9], v[8:9], 0, 4
	s_andn2_b64 s[2:3], s[2:3], exec
	s_or_b64 s[42:43], s[42:43], s[46:47]
                                        ; implicit-def: $sgpr46_sgpr47
	s_branch .LBB871_292
.LBB871_295:
	s_or_b64 exec, exec, s[38:39]
	s_xor_b64 s[2:3], s[40:41], -1
	s_andn2_b64 s[26:27], s[26:27], exec
	s_and_b64 s[2:3], s[2:3], exec
	s_or_b64 s[26:27], s[26:27], s[2:3]
.LBB871_296:
	s_or_b64 exec, exec, s[36:37]
	s_orn2_b64 s[26:27], s[26:27], exec
.LBB871_297:
	s_or_b64 exec, exec, s[34:35]
	v_cndmask_b32_e64 v6, v12, v13, s[26:27]
	v_cndmask_b32_e64 v7, v38, v37, s[26:27]
	v_add_u32_e32 v8, 1, v6
	v_add_u32_e32 v6, -1, v7
	v_min_u32_e32 v6, v8, v6
	v_lshl_add_u32 v6, v6, 3, v33
	ds_read_b64 v[6:7], v6
	v_cndmask_b32_e64 v39, v8, v12, s[26:27]
	v_cndmask_b32_e64 v40, v13, v8, s[26:27]
	v_cmp_lt_u32_e32 vcc, v39, v38
	s_waitcnt lgkmcnt(0)
	v_cndmask_b32_e64 v10, v7, v14, s[26:27]
	v_cndmask_b32_e64 v17, v6, v15, s[26:27]
	;; [unrolled: 1-line block ×4, first 2 shown]
	s_and_saveexec_b64 s[34:35], vcc
	s_cbranch_execz .LBB871_305
; %bb.298:
	v_cmp_lt_u32_e64 s[30:31], v40, v37
	s_xor_b64 s[2:3], s[10:11], -1
	s_and_b64 s[2:3], s[30:31], s[2:3]
	s_and_saveexec_b64 s[36:37], s[2:3]
	s_cbranch_execz .LBB871_304
; %bb.299:
	v_mul_lo_u32 v8, v10, s20
	v_mul_lo_u32 v9, v17, s21
	v_mad_u64_u32 v[6:7], s[2:3], v17, s20, 0
	v_add3_u32 v7, v7, v9, v8
	v_mul_lo_u32 v12, v11, s20
	v_mul_lo_u32 v13, v23, s21
	v_mad_u64_u32 v[8:9], s[2:3], v23, s20, 0
	v_add3_u32 v9, v9, v13, v12
	v_lshl_add_u64 v[6:7], v[6:7], 2, s[22:23]
	v_lshl_add_u64 v[8:9], v[8:9], 2, s[22:23]
	s_mov_b64 s[38:39], 0
	s_mov_b64 s[44:45], s[20:21]
                                        ; implicit-def: $sgpr40_sgpr41
                                        ; implicit-def: $sgpr42_sgpr43
                                        ; implicit-def: $sgpr2_sgpr3
                                        ; implicit-def: $sgpr46_sgpr47
	s_branch .LBB871_301
.LBB871_300:                            ;   in Loop: Header=BB871_301 Depth=1
	s_or_b64 exec, exec, s[50:51]
	s_and_b64 s[50:51], exec, s[42:43]
	s_or_b64 s[38:39], s[50:51], s[38:39]
	s_andn2_b64 s[46:47], s[46:47], exec
	s_and_b64 s[48:49], s[48:49], exec
	s_or_b64 s[46:47], s[46:47], s[48:49]
	s_andn2_b64 s[40:41], s[40:41], exec
	s_and_b64 s[48:49], s[2:3], exec
	s_or_b64 s[40:41], s[40:41], s[48:49]
	s_andn2_b64 exec, exec, s[38:39]
	s_cbranch_execz .LBB871_303
.LBB871_301:                            ; =>This Inner Loop Header: Depth=1
	global_load_dword v12, v[6:7], off
	global_load_dword v13, v[8:9], off
	s_andn2_b64 s[50:51], s[2:3], exec
	s_or_b64 s[42:43], s[42:43], exec
	s_waitcnt vmcnt(0)
	v_cmp_ngt_f32_e64 s[2:3], v12, v13
	v_cmp_lt_f32_e32 vcc, v12, v13
	s_and_b64 s[48:49], s[2:3], s[46:47]
	s_or_b64 s[48:49], vcc, s[48:49]
	s_xor_b64 s[52:53], vcc, s[2:3]
	s_and_b64 s[2:3], s[48:49], exec
	s_or_b64 s[2:3], s[50:51], s[2:3]
	s_and_saveexec_b64 s[50:51], s[52:53]
	s_cbranch_execz .LBB871_300
; %bb.302:                              ;   in Loop: Header=BB871_301 Depth=1
	s_add_u32 s44, s44, -1
	s_addc_u32 s45, s45, -1
	s_cmp_eq_u64 s[44:45], 0
	s_cselect_b64 s[46:47], -1, 0
	s_andn2_b64 s[42:43], s[42:43], exec
	s_and_b64 s[46:47], s[46:47], exec
	v_lshl_add_u64 v[6:7], v[6:7], 0, 4
	v_lshl_add_u64 v[8:9], v[8:9], 0, 4
	s_andn2_b64 s[2:3], s[2:3], exec
	s_or_b64 s[42:43], s[42:43], s[46:47]
                                        ; implicit-def: $sgpr46_sgpr47
	s_branch .LBB871_300
.LBB871_303:
	s_or_b64 exec, exec, s[38:39]
	s_xor_b64 s[2:3], s[40:41], -1
	s_andn2_b64 s[30:31], s[30:31], exec
	s_and_b64 s[2:3], s[2:3], exec
	s_or_b64 s[30:31], s[30:31], s[2:3]
.LBB871_304:
	s_or_b64 exec, exec, s[36:37]
	s_orn2_b64 s[30:31], s[30:31], exec
.LBB871_305:
	s_or_b64 exec, exec, s[34:35]
	v_cndmask_b32_e64 v6, v39, v40, s[30:31]
	v_cndmask_b32_e64 v7, v38, v37, s[30:31]
	v_add_u32_e32 v8, 1, v6
	v_add_u32_e32 v6, -1, v7
	v_min_u32_e32 v6, v8, v6
	v_lshl_add_u32 v6, v6, 3, v33
	ds_read_b64 v[6:7], v6
	v_cndmask_b32_e64 v43, v8, v39, s[30:31]
	v_cndmask_b32_e64 v44, v40, v8, s[30:31]
	v_cmp_lt_u32_e32 vcc, v43, v38
	s_mov_b64 s[36:37], -1
	s_waitcnt lgkmcnt(0)
	v_cndmask_b32_e64 v12, v7, v10, s[30:31]
	v_cndmask_b32_e64 v24, v6, v17, s[30:31]
	;; [unrolled: 1-line block ×4, first 2 shown]
	s_mov_b64 s[34:35], -1
	s_and_saveexec_b64 s[38:39], vcc
	s_cbranch_execz .LBB871_313
; %bb.306:
	v_cmp_lt_u32_e64 s[34:35], v44, v37
	s_xor_b64 s[2:3], s[10:11], -1
	s_and_b64 s[2:3], s[34:35], s[2:3]
	s_and_saveexec_b64 s[40:41], s[2:3]
	s_cbranch_execz .LBB871_312
; %bb.307:
	v_mul_lo_u32 v8, v12, s20
	v_mul_lo_u32 v9, v24, s21
	v_mad_u64_u32 v[6:7], s[2:3], v24, s20, 0
	v_add3_u32 v7, v7, v9, v8
	v_mul_lo_u32 v39, v13, s20
	v_mul_lo_u32 v40, v25, s21
	v_mad_u64_u32 v[8:9], s[2:3], v25, s20, 0
	v_add3_u32 v9, v9, v40, v39
	v_lshl_add_u64 v[6:7], v[6:7], 2, s[22:23]
	v_lshl_add_u64 v[8:9], v[8:9], 2, s[22:23]
	s_mov_b64 s[42:43], 0
	s_mov_b64 s[48:49], s[20:21]
                                        ; implicit-def: $sgpr44_sgpr45
                                        ; implicit-def: $sgpr46_sgpr47
                                        ; implicit-def: $sgpr2_sgpr3
                                        ; implicit-def: $sgpr50_sgpr51
	s_branch .LBB871_309
.LBB871_308:                            ;   in Loop: Header=BB871_309 Depth=1
	s_or_b64 exec, exec, s[54:55]
	s_and_b64 s[54:55], exec, s[46:47]
	s_or_b64 s[42:43], s[54:55], s[42:43]
	s_andn2_b64 s[50:51], s[50:51], exec
	s_and_b64 s[52:53], s[52:53], exec
	s_or_b64 s[50:51], s[50:51], s[52:53]
	s_andn2_b64 s[44:45], s[44:45], exec
	s_and_b64 s[52:53], s[2:3], exec
	s_or_b64 s[44:45], s[44:45], s[52:53]
	s_andn2_b64 exec, exec, s[42:43]
	s_cbranch_execz .LBB871_311
.LBB871_309:                            ; =>This Inner Loop Header: Depth=1
	global_load_dword v39, v[6:7], off
	global_load_dword v40, v[8:9], off
	s_andn2_b64 s[54:55], s[2:3], exec
	s_or_b64 s[46:47], s[46:47], exec
	s_waitcnt vmcnt(0)
	v_cmp_ngt_f32_e64 s[2:3], v39, v40
	v_cmp_lt_f32_e32 vcc, v39, v40
	s_and_b64 s[52:53], s[2:3], s[50:51]
	s_or_b64 s[52:53], vcc, s[52:53]
	s_xor_b64 s[56:57], vcc, s[2:3]
	s_and_b64 s[2:3], s[52:53], exec
	s_or_b64 s[2:3], s[54:55], s[2:3]
	s_and_saveexec_b64 s[54:55], s[56:57]
	s_cbranch_execz .LBB871_308
; %bb.310:                              ;   in Loop: Header=BB871_309 Depth=1
	s_add_u32 s48, s48, -1
	s_addc_u32 s49, s49, -1
	s_cmp_eq_u64 s[48:49], 0
	s_cselect_b64 s[50:51], -1, 0
	s_andn2_b64 s[46:47], s[46:47], exec
	s_and_b64 s[50:51], s[50:51], exec
	v_lshl_add_u64 v[6:7], v[6:7], 0, 4
	v_lshl_add_u64 v[8:9], v[8:9], 0, 4
	s_andn2_b64 s[2:3], s[2:3], exec
	s_or_b64 s[46:47], s[46:47], s[50:51]
                                        ; implicit-def: $sgpr50_sgpr51
	s_branch .LBB871_308
.LBB871_311:
	s_or_b64 exec, exec, s[42:43]
	s_xor_b64 s[2:3], s[44:45], -1
	s_andn2_b64 s[34:35], s[34:35], exec
	s_and_b64 s[2:3], s[2:3], exec
	s_or_b64 s[34:35], s[34:35], s[2:3]
.LBB871_312:
	s_or_b64 exec, exec, s[40:41]
	s_orn2_b64 s[34:35], s[34:35], exec
.LBB871_313:
	s_or_b64 exec, exec, s[38:39]
	v_cndmask_b32_e64 v6, v43, v44, s[34:35]
	v_cndmask_b32_e64 v7, v38, v37, s[34:35]
	v_add_u32_e32 v8, 1, v6
	v_add_u32_e32 v6, -1, v7
	v_min_u32_e32 v6, v8, v6
	v_lshl_add_u32 v6, v6, 3, v33
	ds_read_b64 v[6:7], v6
	v_cndmask_b32_e64 v47, v8, v43, s[34:35]
	v_cndmask_b32_e64 v48, v44, v8, s[34:35]
	v_cmp_lt_u32_e32 vcc, v47, v38
	s_waitcnt lgkmcnt(0)
	v_cndmask_b32_e64 v39, v7, v12, s[34:35]
	v_cndmask_b32_e64 v40, v6, v24, s[34:35]
	;; [unrolled: 1-line block ×4, first 2 shown]
	s_and_saveexec_b64 s[38:39], vcc
	s_cbranch_execz .LBB871_321
; %bb.314:
	v_cmp_lt_u32_e64 s[36:37], v48, v37
	s_xor_b64 s[2:3], s[10:11], -1
	s_and_b64 s[2:3], s[36:37], s[2:3]
	s_and_saveexec_b64 s[40:41], s[2:3]
	s_cbranch_execz .LBB871_320
; %bb.315:
	v_mul_lo_u32 v8, v39, s20
	v_mul_lo_u32 v9, v40, s21
	v_mad_u64_u32 v[6:7], s[2:3], v40, s20, 0
	v_add3_u32 v7, v7, v9, v8
	v_mul_lo_u32 v43, v41, s20
	v_mul_lo_u32 v44, v42, s21
	v_mad_u64_u32 v[8:9], s[2:3], v42, s20, 0
	v_add3_u32 v9, v9, v44, v43
	v_lshl_add_u64 v[6:7], v[6:7], 2, s[22:23]
	v_lshl_add_u64 v[8:9], v[8:9], 2, s[22:23]
	s_mov_b64 s[42:43], 0
	s_mov_b64 s[48:49], s[20:21]
                                        ; implicit-def: $sgpr44_sgpr45
                                        ; implicit-def: $sgpr46_sgpr47
                                        ; implicit-def: $sgpr2_sgpr3
                                        ; implicit-def: $sgpr50_sgpr51
	s_branch .LBB871_317
.LBB871_316:                            ;   in Loop: Header=BB871_317 Depth=1
	s_or_b64 exec, exec, s[54:55]
	s_and_b64 s[54:55], exec, s[46:47]
	s_or_b64 s[42:43], s[54:55], s[42:43]
	s_andn2_b64 s[50:51], s[50:51], exec
	s_and_b64 s[52:53], s[52:53], exec
	s_or_b64 s[50:51], s[50:51], s[52:53]
	s_andn2_b64 s[44:45], s[44:45], exec
	s_and_b64 s[52:53], s[2:3], exec
	s_or_b64 s[44:45], s[44:45], s[52:53]
	s_andn2_b64 exec, exec, s[42:43]
	s_cbranch_execz .LBB871_319
.LBB871_317:                            ; =>This Inner Loop Header: Depth=1
	global_load_dword v43, v[6:7], off
	global_load_dword v44, v[8:9], off
	s_andn2_b64 s[54:55], s[2:3], exec
	s_or_b64 s[46:47], s[46:47], exec
	s_waitcnt vmcnt(0)
	v_cmp_ngt_f32_e64 s[2:3], v43, v44
	v_cmp_lt_f32_e32 vcc, v43, v44
	s_and_b64 s[52:53], s[2:3], s[50:51]
	s_or_b64 s[52:53], vcc, s[52:53]
	s_xor_b64 s[56:57], vcc, s[2:3]
	s_and_b64 s[2:3], s[52:53], exec
	s_or_b64 s[2:3], s[54:55], s[2:3]
	s_and_saveexec_b64 s[54:55], s[56:57]
	s_cbranch_execz .LBB871_316
; %bb.318:                              ;   in Loop: Header=BB871_317 Depth=1
	s_add_u32 s48, s48, -1
	s_addc_u32 s49, s49, -1
	s_cmp_eq_u64 s[48:49], 0
	s_cselect_b64 s[50:51], -1, 0
	s_andn2_b64 s[46:47], s[46:47], exec
	s_and_b64 s[50:51], s[50:51], exec
	v_lshl_add_u64 v[6:7], v[6:7], 0, 4
	v_lshl_add_u64 v[8:9], v[8:9], 0, 4
	s_andn2_b64 s[2:3], s[2:3], exec
	s_or_b64 s[46:47], s[46:47], s[50:51]
                                        ; implicit-def: $sgpr50_sgpr51
	s_branch .LBB871_316
.LBB871_319:
	s_or_b64 exec, exec, s[42:43]
	s_xor_b64 s[2:3], s[44:45], -1
	s_andn2_b64 s[36:37], s[36:37], exec
	s_and_b64 s[2:3], s[2:3], exec
	s_or_b64 s[36:37], s[36:37], s[2:3]
.LBB871_320:
	s_or_b64 exec, exec, s[40:41]
	s_orn2_b64 s[36:37], s[36:37], exec
.LBB871_321:
	s_or_b64 exec, exec, s[38:39]
	v_cndmask_b32_e64 v6, v47, v48, s[36:37]
	v_cndmask_b32_e64 v7, v38, v37, s[36:37]
	v_add_u32_e32 v8, 1, v6
	v_add_u32_e32 v6, -1, v7
	v_min_u32_e32 v6, v8, v6
	v_lshl_add_u32 v6, v6, 3, v33
	ds_read_b64 v[6:7], v6
	v_cndmask_b32_e64 v49, v8, v47, s[36:37]
	v_cndmask_b32_e64 v53, v48, v8, s[36:37]
	v_cmp_lt_u32_e32 vcc, v49, v38
	s_mov_b64 s[38:39], -1
	s_waitcnt lgkmcnt(0)
	v_cndmask_b32_e64 v43, v7, v39, s[36:37]
	v_cndmask_b32_e64 v44, v6, v40, s[36:37]
	;; [unrolled: 1-line block ×4, first 2 shown]
	s_mov_b64 s[40:41], -1
	s_and_saveexec_b64 s[42:43], vcc
	s_cbranch_execz .LBB871_329
; %bb.322:
	v_cmp_lt_u32_e64 s[40:41], v53, v37
	s_xor_b64 s[2:3], s[10:11], -1
	s_and_b64 s[2:3], s[40:41], s[2:3]
	s_and_saveexec_b64 s[44:45], s[2:3]
	s_cbranch_execz .LBB871_328
; %bb.323:
	v_mul_lo_u32 v8, v43, s20
	v_mul_lo_u32 v9, v44, s21
	v_mad_u64_u32 v[6:7], s[2:3], v44, s20, 0
	v_add3_u32 v7, v7, v9, v8
	v_mul_lo_u32 v47, v45, s20
	v_mul_lo_u32 v48, v46, s21
	v_mad_u64_u32 v[8:9], s[2:3], v46, s20, 0
	v_add3_u32 v9, v9, v48, v47
	v_lshl_add_u64 v[6:7], v[6:7], 2, s[22:23]
	v_lshl_add_u64 v[8:9], v[8:9], 2, s[22:23]
	s_mov_b64 s[46:47], 0
	s_mov_b64 s[52:53], s[20:21]
                                        ; implicit-def: $sgpr48_sgpr49
                                        ; implicit-def: $sgpr50_sgpr51
                                        ; implicit-def: $sgpr2_sgpr3
                                        ; implicit-def: $sgpr54_sgpr55
	s_branch .LBB871_325
.LBB871_324:                            ;   in Loop: Header=BB871_325 Depth=1
	s_or_b64 exec, exec, s[58:59]
	s_and_b64 s[58:59], exec, s[50:51]
	s_or_b64 s[46:47], s[58:59], s[46:47]
	s_andn2_b64 s[54:55], s[54:55], exec
	s_and_b64 s[56:57], s[56:57], exec
	s_or_b64 s[54:55], s[54:55], s[56:57]
	s_andn2_b64 s[48:49], s[48:49], exec
	s_and_b64 s[56:57], s[2:3], exec
	s_or_b64 s[48:49], s[48:49], s[56:57]
	s_andn2_b64 exec, exec, s[46:47]
	s_cbranch_execz .LBB871_327
.LBB871_325:                            ; =>This Inner Loop Header: Depth=1
	global_load_dword v47, v[6:7], off
	global_load_dword v48, v[8:9], off
	s_andn2_b64 s[58:59], s[2:3], exec
	s_or_b64 s[50:51], s[50:51], exec
	s_waitcnt vmcnt(0)
	v_cmp_ngt_f32_e64 s[2:3], v47, v48
	v_cmp_lt_f32_e32 vcc, v47, v48
	s_and_b64 s[56:57], s[2:3], s[54:55]
	s_or_b64 s[56:57], vcc, s[56:57]
	s_xor_b64 s[60:61], vcc, s[2:3]
	s_and_b64 s[2:3], s[56:57], exec
	s_or_b64 s[2:3], s[58:59], s[2:3]
	s_and_saveexec_b64 s[58:59], s[60:61]
	s_cbranch_execz .LBB871_324
; %bb.326:                              ;   in Loop: Header=BB871_325 Depth=1
	s_add_u32 s52, s52, -1
	s_addc_u32 s53, s53, -1
	s_cmp_eq_u64 s[52:53], 0
	s_cselect_b64 s[54:55], -1, 0
	s_andn2_b64 s[50:51], s[50:51], exec
	s_and_b64 s[54:55], s[54:55], exec
	v_lshl_add_u64 v[6:7], v[6:7], 0, 4
	v_lshl_add_u64 v[8:9], v[8:9], 0, 4
	s_andn2_b64 s[2:3], s[2:3], exec
	s_or_b64 s[50:51], s[50:51], s[54:55]
                                        ; implicit-def: $sgpr54_sgpr55
	s_branch .LBB871_324
.LBB871_327:
	s_or_b64 exec, exec, s[46:47]
	s_xor_b64 s[2:3], s[48:49], -1
	s_andn2_b64 s[40:41], s[40:41], exec
	s_and_b64 s[2:3], s[2:3], exec
	s_or_b64 s[40:41], s[40:41], s[2:3]
.LBB871_328:
	s_or_b64 exec, exec, s[44:45]
	s_orn2_b64 s[40:41], s[40:41], exec
.LBB871_329:
	s_or_b64 exec, exec, s[42:43]
	v_cndmask_b32_e64 v6, v49, v53, s[40:41]
	v_cndmask_b32_e64 v7, v38, v37, s[40:41]
	v_add_u32_e32 v8, 1, v6
	v_add_u32_e32 v6, -1, v7
	v_min_u32_e32 v6, v8, v6
	v_lshl_add_u32 v6, v6, 3, v33
	ds_read_b64 v[6:7], v6
	v_cndmask_b32_e64 v50, v8, v49, s[40:41]
	v_cndmask_b32_e64 v49, v53, v8, s[40:41]
	v_cmp_lt_u32_e32 vcc, v50, v38
	s_waitcnt lgkmcnt(0)
	v_cndmask_b32_e64 v47, v7, v43, s[40:41]
	v_cndmask_b32_e64 v48, v6, v44, s[40:41]
	;; [unrolled: 1-line block ×4, first 2 shown]
	s_and_saveexec_b64 s[42:43], vcc
	s_cbranch_execz .LBB871_337
; %bb.330:
	v_cmp_lt_u32_e64 s[38:39], v49, v37
	s_xor_b64 s[2:3], s[10:11], -1
	s_and_b64 s[2:3], s[38:39], s[2:3]
	s_and_saveexec_b64 s[44:45], s[2:3]
	s_cbranch_execz .LBB871_336
; %bb.331:
	v_mul_lo_u32 v8, v47, s20
	v_mul_lo_u32 v9, v48, s21
	v_mad_u64_u32 v[6:7], s[2:3], v48, s20, 0
	v_add3_u32 v7, v7, v9, v8
	v_mul_lo_u32 v53, v51, s20
	v_mul_lo_u32 v54, v52, s21
	v_mad_u64_u32 v[8:9], s[2:3], v52, s20, 0
	v_add3_u32 v9, v9, v54, v53
	v_lshl_add_u64 v[6:7], v[6:7], 2, s[22:23]
	v_lshl_add_u64 v[8:9], v[8:9], 2, s[22:23]
	s_mov_b64 s[46:47], 0
	s_mov_b64 s[52:53], s[20:21]
                                        ; implicit-def: $sgpr48_sgpr49
                                        ; implicit-def: $sgpr50_sgpr51
                                        ; implicit-def: $sgpr2_sgpr3
                                        ; implicit-def: $sgpr54_sgpr55
	s_branch .LBB871_333
.LBB871_332:                            ;   in Loop: Header=BB871_333 Depth=1
	s_or_b64 exec, exec, s[58:59]
	s_and_b64 s[58:59], exec, s[50:51]
	s_or_b64 s[46:47], s[58:59], s[46:47]
	s_andn2_b64 s[54:55], s[54:55], exec
	s_and_b64 s[56:57], s[56:57], exec
	s_or_b64 s[54:55], s[54:55], s[56:57]
	s_andn2_b64 s[48:49], s[48:49], exec
	s_and_b64 s[56:57], s[2:3], exec
	s_or_b64 s[48:49], s[48:49], s[56:57]
	s_andn2_b64 exec, exec, s[46:47]
	s_cbranch_execz .LBB871_335
.LBB871_333:                            ; =>This Inner Loop Header: Depth=1
	global_load_dword v53, v[6:7], off
	global_load_dword v54, v[8:9], off
	s_andn2_b64 s[58:59], s[2:3], exec
	s_or_b64 s[50:51], s[50:51], exec
	s_waitcnt vmcnt(0)
	v_cmp_ngt_f32_e64 s[2:3], v53, v54
	v_cmp_lt_f32_e32 vcc, v53, v54
	s_and_b64 s[56:57], s[2:3], s[54:55]
	s_or_b64 s[56:57], vcc, s[56:57]
	s_xor_b64 s[60:61], vcc, s[2:3]
	s_and_b64 s[2:3], s[56:57], exec
	s_or_b64 s[2:3], s[58:59], s[2:3]
	s_and_saveexec_b64 s[58:59], s[60:61]
	s_cbranch_execz .LBB871_332
; %bb.334:                              ;   in Loop: Header=BB871_333 Depth=1
	s_add_u32 s52, s52, -1
	s_addc_u32 s53, s53, -1
	s_cmp_eq_u64 s[52:53], 0
	s_cselect_b64 s[54:55], -1, 0
	s_andn2_b64 s[50:51], s[50:51], exec
	s_and_b64 s[54:55], s[54:55], exec
	v_lshl_add_u64 v[6:7], v[6:7], 0, 4
	v_lshl_add_u64 v[8:9], v[8:9], 0, 4
	s_andn2_b64 s[2:3], s[2:3], exec
	s_or_b64 s[50:51], s[50:51], s[54:55]
                                        ; implicit-def: $sgpr54_sgpr55
	s_branch .LBB871_332
.LBB871_335:
	s_or_b64 exec, exec, s[46:47]
	s_xor_b64 s[2:3], s[48:49], -1
	s_andn2_b64 s[38:39], s[38:39], exec
	s_and_b64 s[2:3], s[2:3], exec
	s_or_b64 s[38:39], s[38:39], s[2:3]
.LBB871_336:
	s_or_b64 exec, exec, s[44:45]
	s_orn2_b64 s[38:39], s[38:39], exec
.LBB871_337:
	s_or_b64 exec, exec, s[42:43]
	v_cndmask_b32_e64 v11, v10, v11, s[30:31]
	v_cndmask_b32_e64 v10, v17, v23, s[30:31]
	;; [unrolled: 1-line block ×8, first 2 shown]
	v_add_u32_e32 v24, 1, v14
	v_add_u32_e32 v14, -1, v15
	v_min_u32_e32 v14, v24, v14
	v_lshl_add_u32 v14, v14, 3, v33
	ds_read_b64 v[22:23], v14
	v_cndmask_b32_e64 v25, v24, v50, s[38:39]
	v_cndmask_b32_e64 v9, v43, v45, s[40:41]
	;; [unrolled: 1-line block ×9, first 2 shown]
	s_waitcnt lgkmcnt(0)
	v_cndmask_b32_e64 v5, v51, v23, s[38:39]
	v_cndmask_b32_e64 v4, v52, v22, s[38:39]
	v_cmp_lt_u32_e32 vcc, v25, v38
	s_and_saveexec_b64 s[4:5], vcc
	s_cbranch_execz .LBB871_345
; %bb.338:
	v_cndmask_b32_e64 v39, v22, v48, s[38:39]
	v_cndmask_b32_e64 v22, v49, v24, s[38:39]
	;; [unrolled: 1-line block ×3, first 2 shown]
	v_cmp_ge_u32_e32 vcc, v22, v37
	s_nor_b64 s[2:3], vcc, s[10:11]
	s_nop 0
	v_cndmask_b32_e32 v23, v5, v38, vcc
	v_cndmask_b32_e32 v22, v4, v39, vcc
	s_and_saveexec_b64 s[26:27], s[2:3]
	s_cbranch_execz .LBB871_344
; %bb.339:
	v_mul_lo_u32 v24, v38, s20
	v_mul_lo_u32 v25, v39, s21
	v_mad_u64_u32 v[22:23], s[2:3], v39, s20, 0
	v_add3_u32 v23, v23, v25, v24
	v_mul_lo_u32 v37, v5, s20
	v_mul_lo_u32 v40, v4, s21
	v_mad_u64_u32 v[24:25], s[2:3], v4, s20, 0
	v_add3_u32 v25, v25, v40, v37
	v_lshl_add_u64 v[22:23], v[22:23], 2, s[22:23]
	v_lshl_add_u64 v[24:25], v[24:25], 2, s[22:23]
	s_mov_b64 s[30:31], 0
	s_mov_b64 s[38:39], s[20:21]
                                        ; implicit-def: $sgpr34_sgpr35
                                        ; implicit-def: $sgpr36_sgpr37
                                        ; implicit-def: $sgpr2_sgpr3
                                        ; implicit-def: $sgpr40_sgpr41
	s_branch .LBB871_341
.LBB871_340:                            ;   in Loop: Header=BB871_341 Depth=1
	s_or_b64 exec, exec, s[44:45]
	s_and_b64 s[44:45], exec, s[36:37]
	s_or_b64 s[30:31], s[44:45], s[30:31]
	s_andn2_b64 s[40:41], s[40:41], exec
	s_and_b64 s[42:43], s[42:43], exec
	s_or_b64 s[40:41], s[40:41], s[42:43]
	s_andn2_b64 s[34:35], s[34:35], exec
	s_and_b64 s[42:43], s[2:3], exec
	s_or_b64 s[34:35], s[34:35], s[42:43]
	s_andn2_b64 exec, exec, s[30:31]
	s_cbranch_execz .LBB871_343
.LBB871_341:                            ; =>This Inner Loop Header: Depth=1
	global_load_dword v37, v[22:23], off
	global_load_dword v40, v[24:25], off
	s_andn2_b64 s[44:45], s[2:3], exec
	s_or_b64 s[36:37], s[36:37], exec
	s_waitcnt vmcnt(0)
	v_cmp_ngt_f32_e64 s[2:3], v37, v40
	v_cmp_lt_f32_e32 vcc, v37, v40
	s_and_b64 s[42:43], s[2:3], s[40:41]
	s_or_b64 s[42:43], vcc, s[42:43]
	s_xor_b64 s[46:47], vcc, s[2:3]
	s_and_b64 s[2:3], s[42:43], exec
	s_or_b64 s[2:3], s[44:45], s[2:3]
	s_and_saveexec_b64 s[44:45], s[46:47]
	s_cbranch_execz .LBB871_340
; %bb.342:                              ;   in Loop: Header=BB871_341 Depth=1
	s_add_u32 s38, s38, -1
	s_addc_u32 s39, s39, -1
	s_cmp_eq_u64 s[38:39], 0
	s_cselect_b64 s[40:41], -1, 0
	s_andn2_b64 s[36:37], s[36:37], exec
	s_and_b64 s[40:41], s[40:41], exec
	v_lshl_add_u64 v[22:23], v[22:23], 0, 4
	v_lshl_add_u64 v[24:25], v[24:25], 0, 4
	s_andn2_b64 s[2:3], s[2:3], exec
	s_or_b64 s[36:37], s[36:37], s[40:41]
                                        ; implicit-def: $sgpr40_sgpr41
	s_branch .LBB871_340
.LBB871_343:
	s_or_b64 exec, exec, s[30:31]
	v_cndmask_b32_e64 v23, v5, v38, s[34:35]
	v_cndmask_b32_e64 v22, v4, v39, s[34:35]
.LBB871_344:
	s_or_b64 exec, exec, s[26:27]
	v_mov_b64_e32 v[4:5], v[22:23]
.LBB871_345:
	s_or_b64 exec, exec, s[4:5]
.LBB871_346:
	s_or_b64 exec, exec, s[12:13]
	v_and_b32_e32 v41, 0x3c0, v35
	v_or_b32_e32 v22, 32, v41
	v_min_u32_e32 v37, v34, v22
	v_add_u32_e32 v22, 32, v37
	v_min_u32_e32 v38, v34, v22
	v_and_b32_e32 v22, 56, v35
	v_min_u32_e32 v42, v34, v22
	v_sub_u32_e32 v22, v37, v41
	v_sub_u32_e32 v23, v38, v37
	v_sub_u32_e64 v40, v42, v23 clamp
	v_min_u32_e32 v43, v42, v22
	v_lshl_add_u32 v39, v41, 3, v33
	v_cmp_lt_u32_e32 vcc, v40, v43
	; wave barrier
	ds_write_b128 v36, v[14:17]
	ds_write_b128 v36, v[10:13] offset:16
	ds_write_b128 v36, v[6:9] offset:32
	;; [unrolled: 1-line block ×3, first 2 shown]
	; wave barrier
	s_and_saveexec_b64 s[4:5], vcc
	s_cbranch_execz .LBB871_356
; %bb.347:
	v_lshlrev_b32_e32 v22, 3, v37
	v_lshlrev_b32_e32 v23, 3, v42
	v_add3_u32 v44, v33, v22, v23
	s_lshl_b64 s[26:27], s[20:21], 2
	s_mov_b64 s[12:13], 0
	s_branch .LBB871_350
.LBB871_348:                            ;   in Loop: Header=BB871_350 Depth=1
	s_or_b64 exec, exec, s[34:35]
.LBB871_349:                            ;   in Loop: Header=BB871_350 Depth=1
	v_add_u32_e32 v22, 1, v45
	v_cndmask_b32_e64 v43, v43, v45, s[30:31]
	v_cndmask_b32_e64 v40, v22, v40, s[30:31]
	v_cmp_ge_u32_e32 vcc, v40, v43
	s_or_b64 s[12:13], vcc, s[12:13]
	s_andn2_b64 exec, exec, s[12:13]
	s_cbranch_execz .LBB871_355
.LBB871_350:                            ; =>This Loop Header: Depth=1
                                        ;     Child Loop BB871_353 Depth 2
	v_add_u32_e32 v22, v43, v40
	v_lshrrev_b32_e32 v45, 1, v22
	s_and_b64 vcc, exec, s[0:1]
	s_mov_b64 s[30:31], 0
	s_cbranch_vccnz .LBB871_349
; %bb.351:                              ;   in Loop: Header=BB871_350 Depth=1
	v_not_b32_e32 v22, v45
	v_lshl_add_u32 v22, v22, 3, v44
	ds_read_b64 v[22:23], v22
	v_lshl_add_u32 v46, v45, 3, v39
	ds_read_b64 v[46:47], v46
	v_mov_b64_e32 v[24:25], s[22:23]
	s_mov_b64 s[34:35], 0
	s_waitcnt lgkmcnt(1)
	v_mul_lo_u32 v48, s26, v23
	v_mul_lo_u32 v49, s27, v22
	v_mad_u64_u32 v[22:23], s[2:3], s26, v22, v[24:25]
	v_add3_u32 v23, v49, v23, v48
	s_waitcnt lgkmcnt(0)
	v_mul_lo_u32 v47, s26, v47
	v_mul_lo_u32 v48, s27, v46
	v_mad_u64_u32 v[24:25], s[2:3], s26, v46, v[24:25]
	v_add3_u32 v25, v48, v25, v47
	s_mov_b64 s[38:39], s[20:21]
                                        ; implicit-def: $sgpr30_sgpr31
                                        ; implicit-def: $sgpr36_sgpr37
                                        ; implicit-def: $sgpr2_sgpr3
                                        ; implicit-def: $sgpr40_sgpr41
	s_branch .LBB871_353
.LBB871_352:                            ;   in Loop: Header=BB871_353 Depth=2
	s_or_b64 exec, exec, s[44:45]
	s_and_b64 s[44:45], exec, s[36:37]
	s_or_b64 s[34:35], s[44:45], s[34:35]
	s_andn2_b64 s[40:41], s[40:41], exec
	s_and_b64 s[42:43], s[42:43], exec
	s_or_b64 s[40:41], s[40:41], s[42:43]
	s_andn2_b64 s[30:31], s[30:31], exec
	s_and_b64 s[42:43], s[2:3], exec
	s_or_b64 s[30:31], s[30:31], s[42:43]
	s_andn2_b64 exec, exec, s[34:35]
	s_cbranch_execz .LBB871_348
.LBB871_353:                            ;   Parent Loop BB871_350 Depth=1
                                        ; =>  This Inner Loop Header: Depth=2
	global_load_dword v46, v[22:23], off
	global_load_dword v47, v[24:25], off
	s_andn2_b64 s[44:45], s[2:3], exec
	s_or_b64 s[36:37], s[36:37], exec
	s_waitcnt vmcnt(0)
	v_cmp_ngt_f32_e64 s[2:3], v46, v47
	v_cmp_lt_f32_e32 vcc, v46, v47
	s_and_b64 s[42:43], s[2:3], s[40:41]
	s_or_b64 s[42:43], vcc, s[42:43]
	s_xor_b64 s[46:47], vcc, s[2:3]
	s_and_b64 s[2:3], s[42:43], exec
	s_or_b64 s[2:3], s[44:45], s[2:3]
	s_and_saveexec_b64 s[44:45], s[46:47]
	s_cbranch_execz .LBB871_352
; %bb.354:                              ;   in Loop: Header=BB871_353 Depth=2
	s_add_u32 s38, s38, -1
	s_addc_u32 s39, s39, -1
	s_cmp_eq_u64 s[38:39], 0
	s_cselect_b64 s[40:41], -1, 0
	s_andn2_b64 s[36:37], s[36:37], exec
	s_and_b64 s[40:41], s[40:41], exec
	v_lshl_add_u64 v[22:23], v[22:23], 0, 4
	v_lshl_add_u64 v[24:25], v[24:25], 0, 4
	s_andn2_b64 s[2:3], s[2:3], exec
	s_or_b64 s[36:37], s[36:37], s[40:41]
                                        ; implicit-def: $sgpr40_sgpr41
	s_branch .LBB871_352
.LBB871_355:
	s_or_b64 exec, exec, s[12:13]
.LBB871_356:
	s_or_b64 exec, exec, s[4:5]
	v_add_u32_e32 v22, v37, v42
	v_add_u32_e32 v23, v40, v41
	v_sub_u32_e32 v24, v22, v40
	v_cmp_le_u32_e32 vcc, v23, v37
	v_cmp_le_u32_e64 s[2:3], v24, v38
	s_or_b64 s[2:3], vcc, s[2:3]
	s_and_saveexec_b64 s[12:13], s[2:3]
	s_cbranch_execz .LBB871_424
; %bb.357:
	v_cmp_ge_u32_e32 vcc, v23, v37
	v_cmp_lt_u32_e64 s[2:3], v23, v37
                                        ; implicit-def: $vgpr2_vgpr3
	s_and_saveexec_b64 s[4:5], s[2:3]
; %bb.358:
	v_lshl_add_u32 v2, v40, 3, v39
	ds_read_b64 v[2:3], v2
; %bb.359:
	s_or_b64 exec, exec, s[4:5]
	v_cmp_ge_u32_e64 s[2:3], v24, v38
	v_cmp_lt_u32_e64 s[4:5], v24, v38
                                        ; implicit-def: $vgpr4_vgpr5
	s_and_saveexec_b64 s[26:27], s[4:5]
; %bb.360:
	v_lshl_add_u32 v4, v24, 3, v33
	ds_read_b64 v[4:5], v4
; %bb.361:
	s_or_b64 exec, exec, s[26:27]
	s_or_b64 s[4:5], vcc, s[2:3]
	s_nor_b64 s[30:31], s[4:5], s[10:11]
	s_xor_b64 s[4:5], vcc, -1
	s_or_b64 s[4:5], s[2:3], s[4:5]
	s_and_saveexec_b64 s[26:27], s[30:31]
	s_cbranch_execz .LBB871_367
; %bb.362:
	s_waitcnt lgkmcnt(0)
	v_mul_lo_u32 v8, v5, s20
	v_mul_lo_u32 v9, v4, s21
	v_mad_u64_u32 v[6:7], s[2:3], v4, s20, 0
	v_add3_u32 v7, v7, v9, v8
	v_mul_lo_u32 v10, v3, s20
	v_mul_lo_u32 v11, v2, s21
	v_mad_u64_u32 v[8:9], s[2:3], v2, s20, 0
	v_add3_u32 v9, v9, v11, v10
	v_lshl_add_u64 v[6:7], v[6:7], 2, s[22:23]
	v_lshl_add_u64 v[8:9], v[8:9], 2, s[22:23]
	s_mov_b64 s[30:31], 0
	s_mov_b64 s[38:39], s[20:21]
                                        ; implicit-def: $sgpr34_sgpr35
                                        ; implicit-def: $sgpr36_sgpr37
                                        ; implicit-def: $sgpr2_sgpr3
                                        ; implicit-def: $sgpr40_sgpr41
	s_branch .LBB871_364
.LBB871_363:                            ;   in Loop: Header=BB871_364 Depth=1
	s_or_b64 exec, exec, s[44:45]
	s_and_b64 s[44:45], exec, s[36:37]
	s_or_b64 s[30:31], s[44:45], s[30:31]
	s_andn2_b64 s[40:41], s[40:41], exec
	s_and_b64 s[42:43], s[42:43], exec
	s_or_b64 s[40:41], s[40:41], s[42:43]
	s_andn2_b64 s[34:35], s[34:35], exec
	s_and_b64 s[42:43], s[2:3], exec
	s_or_b64 s[34:35], s[34:35], s[42:43]
	s_andn2_b64 exec, exec, s[30:31]
	s_cbranch_execz .LBB871_366
.LBB871_364:                            ; =>This Inner Loop Header: Depth=1
	global_load_dword v10, v[6:7], off
	global_load_dword v11, v[8:9], off
	s_andn2_b64 s[44:45], s[2:3], exec
	s_or_b64 s[36:37], s[36:37], exec
	s_waitcnt vmcnt(0)
	v_cmp_ngt_f32_e64 s[2:3], v10, v11
	v_cmp_lt_f32_e32 vcc, v10, v11
	s_and_b64 s[42:43], s[2:3], s[40:41]
	s_or_b64 s[42:43], vcc, s[42:43]
	s_xor_b64 s[46:47], vcc, s[2:3]
	s_and_b64 s[2:3], s[42:43], exec
	s_or_b64 s[2:3], s[44:45], s[2:3]
	s_and_saveexec_b64 s[44:45], s[46:47]
	s_cbranch_execz .LBB871_363
; %bb.365:                              ;   in Loop: Header=BB871_364 Depth=1
	s_add_u32 s38, s38, -1
	s_addc_u32 s39, s39, -1
	s_cmp_eq_u64 s[38:39], 0
	s_cselect_b64 s[40:41], -1, 0
	s_andn2_b64 s[36:37], s[36:37], exec
	s_and_b64 s[40:41], s[40:41], exec
	v_lshl_add_u64 v[6:7], v[6:7], 0, 4
	v_lshl_add_u64 v[8:9], v[8:9], 0, 4
	s_andn2_b64 s[2:3], s[2:3], exec
	s_or_b64 s[36:37], s[36:37], s[40:41]
                                        ; implicit-def: $sgpr40_sgpr41
	s_branch .LBB871_363
.LBB871_366:
	s_or_b64 exec, exec, s[30:31]
	s_xor_b64 s[2:3], s[34:35], -1
	s_andn2_b64 s[4:5], s[4:5], exec
	s_and_b64 s[2:3], s[2:3], exec
	s_or_b64 s[4:5], s[4:5], s[2:3]
.LBB871_367:
	s_or_b64 exec, exec, s[26:27]
	v_cndmask_b32_e64 v6, v24, v23, s[4:5]
	v_cndmask_b32_e64 v7, v38, v37, s[4:5]
	v_add_u32_e32 v8, 1, v6
	v_add_u32_e32 v6, -1, v7
	v_min_u32_e32 v6, v8, v6
	v_lshl_add_u32 v6, v6, 3, v33
	ds_read_b64 v[6:7], v6
	v_cndmask_b32_e64 v12, v8, v24, s[4:5]
	v_cndmask_b32_e64 v13, v23, v8, s[4:5]
	v_cmp_lt_u32_e32 vcc, v12, v38
	s_mov_b64 s[30:31], -1
	s_waitcnt lgkmcnt(0)
	v_cndmask_b32_e64 v14, v7, v5, s[4:5]
	v_cndmask_b32_e64 v15, v6, v4, s[4:5]
	;; [unrolled: 1-line block ×4, first 2 shown]
	s_mov_b64 s[26:27], -1
	s_and_saveexec_b64 s[34:35], vcc
	s_cbranch_execz .LBB871_375
; %bb.368:
	v_cmp_lt_u32_e64 s[26:27], v13, v37
	s_xor_b64 s[2:3], s[10:11], -1
	s_and_b64 s[2:3], s[26:27], s[2:3]
	s_and_saveexec_b64 s[36:37], s[2:3]
	s_cbranch_execz .LBB871_374
; %bb.369:
	v_mul_lo_u32 v8, v14, s20
	v_mul_lo_u32 v9, v15, s21
	v_mad_u64_u32 v[6:7], s[2:3], v15, s20, 0
	v_add3_u32 v7, v7, v9, v8
	v_mul_lo_u32 v10, v16, s20
	v_mul_lo_u32 v11, v22, s21
	v_mad_u64_u32 v[8:9], s[2:3], v22, s20, 0
	v_add3_u32 v9, v9, v11, v10
	v_lshl_add_u64 v[6:7], v[6:7], 2, s[22:23]
	v_lshl_add_u64 v[8:9], v[8:9], 2, s[22:23]
	s_mov_b64 s[38:39], 0
	s_mov_b64 s[44:45], s[20:21]
                                        ; implicit-def: $sgpr40_sgpr41
                                        ; implicit-def: $sgpr42_sgpr43
                                        ; implicit-def: $sgpr2_sgpr3
                                        ; implicit-def: $sgpr46_sgpr47
	s_branch .LBB871_371
.LBB871_370:                            ;   in Loop: Header=BB871_371 Depth=1
	s_or_b64 exec, exec, s[50:51]
	s_and_b64 s[50:51], exec, s[42:43]
	s_or_b64 s[38:39], s[50:51], s[38:39]
	s_andn2_b64 s[46:47], s[46:47], exec
	s_and_b64 s[48:49], s[48:49], exec
	s_or_b64 s[46:47], s[46:47], s[48:49]
	s_andn2_b64 s[40:41], s[40:41], exec
	s_and_b64 s[48:49], s[2:3], exec
	s_or_b64 s[40:41], s[40:41], s[48:49]
	s_andn2_b64 exec, exec, s[38:39]
	s_cbranch_execz .LBB871_373
.LBB871_371:                            ; =>This Inner Loop Header: Depth=1
	global_load_dword v10, v[6:7], off
	global_load_dword v11, v[8:9], off
	s_andn2_b64 s[50:51], s[2:3], exec
	s_or_b64 s[42:43], s[42:43], exec
	s_waitcnt vmcnt(0)
	v_cmp_ngt_f32_e64 s[2:3], v10, v11
	v_cmp_lt_f32_e32 vcc, v10, v11
	s_and_b64 s[48:49], s[2:3], s[46:47]
	s_or_b64 s[48:49], vcc, s[48:49]
	s_xor_b64 s[52:53], vcc, s[2:3]
	s_and_b64 s[2:3], s[48:49], exec
	s_or_b64 s[2:3], s[50:51], s[2:3]
	s_and_saveexec_b64 s[50:51], s[52:53]
	s_cbranch_execz .LBB871_370
; %bb.372:                              ;   in Loop: Header=BB871_371 Depth=1
	s_add_u32 s44, s44, -1
	s_addc_u32 s45, s45, -1
	s_cmp_eq_u64 s[44:45], 0
	s_cselect_b64 s[46:47], -1, 0
	s_andn2_b64 s[42:43], s[42:43], exec
	s_and_b64 s[46:47], s[46:47], exec
	v_lshl_add_u64 v[6:7], v[6:7], 0, 4
	v_lshl_add_u64 v[8:9], v[8:9], 0, 4
	s_andn2_b64 s[2:3], s[2:3], exec
	s_or_b64 s[42:43], s[42:43], s[46:47]
                                        ; implicit-def: $sgpr46_sgpr47
	s_branch .LBB871_370
.LBB871_373:
	s_or_b64 exec, exec, s[38:39]
	s_xor_b64 s[2:3], s[40:41], -1
	s_andn2_b64 s[26:27], s[26:27], exec
	s_and_b64 s[2:3], s[2:3], exec
	s_or_b64 s[26:27], s[26:27], s[2:3]
.LBB871_374:
	s_or_b64 exec, exec, s[36:37]
	s_orn2_b64 s[26:27], s[26:27], exec
.LBB871_375:
	s_or_b64 exec, exec, s[34:35]
	v_cndmask_b32_e64 v6, v12, v13, s[26:27]
	v_cndmask_b32_e64 v7, v38, v37, s[26:27]
	v_add_u32_e32 v8, 1, v6
	v_add_u32_e32 v6, -1, v7
	v_min_u32_e32 v6, v8, v6
	v_lshl_add_u32 v6, v6, 3, v33
	ds_read_b64 v[6:7], v6
	v_cndmask_b32_e64 v39, v8, v12, s[26:27]
	v_cndmask_b32_e64 v40, v13, v8, s[26:27]
	v_cmp_lt_u32_e32 vcc, v39, v38
	s_waitcnt lgkmcnt(0)
	v_cndmask_b32_e64 v10, v7, v14, s[26:27]
	v_cndmask_b32_e64 v17, v6, v15, s[26:27]
	;; [unrolled: 1-line block ×4, first 2 shown]
	s_and_saveexec_b64 s[34:35], vcc
	s_cbranch_execz .LBB871_383
; %bb.376:
	v_cmp_lt_u32_e64 s[30:31], v40, v37
	s_xor_b64 s[2:3], s[10:11], -1
	s_and_b64 s[2:3], s[30:31], s[2:3]
	s_and_saveexec_b64 s[36:37], s[2:3]
	s_cbranch_execz .LBB871_382
; %bb.377:
	v_mul_lo_u32 v8, v10, s20
	v_mul_lo_u32 v9, v17, s21
	v_mad_u64_u32 v[6:7], s[2:3], v17, s20, 0
	v_add3_u32 v7, v7, v9, v8
	v_mul_lo_u32 v12, v11, s20
	v_mul_lo_u32 v13, v23, s21
	v_mad_u64_u32 v[8:9], s[2:3], v23, s20, 0
	v_add3_u32 v9, v9, v13, v12
	v_lshl_add_u64 v[6:7], v[6:7], 2, s[22:23]
	v_lshl_add_u64 v[8:9], v[8:9], 2, s[22:23]
	s_mov_b64 s[38:39], 0
	s_mov_b64 s[44:45], s[20:21]
                                        ; implicit-def: $sgpr40_sgpr41
                                        ; implicit-def: $sgpr42_sgpr43
                                        ; implicit-def: $sgpr2_sgpr3
                                        ; implicit-def: $sgpr46_sgpr47
	s_branch .LBB871_379
.LBB871_378:                            ;   in Loop: Header=BB871_379 Depth=1
	s_or_b64 exec, exec, s[50:51]
	s_and_b64 s[50:51], exec, s[42:43]
	s_or_b64 s[38:39], s[50:51], s[38:39]
	s_andn2_b64 s[46:47], s[46:47], exec
	s_and_b64 s[48:49], s[48:49], exec
	s_or_b64 s[46:47], s[46:47], s[48:49]
	s_andn2_b64 s[40:41], s[40:41], exec
	s_and_b64 s[48:49], s[2:3], exec
	s_or_b64 s[40:41], s[40:41], s[48:49]
	s_andn2_b64 exec, exec, s[38:39]
	s_cbranch_execz .LBB871_381
.LBB871_379:                            ; =>This Inner Loop Header: Depth=1
	global_load_dword v12, v[6:7], off
	global_load_dword v13, v[8:9], off
	s_andn2_b64 s[50:51], s[2:3], exec
	s_or_b64 s[42:43], s[42:43], exec
	s_waitcnt vmcnt(0)
	v_cmp_ngt_f32_e64 s[2:3], v12, v13
	v_cmp_lt_f32_e32 vcc, v12, v13
	s_and_b64 s[48:49], s[2:3], s[46:47]
	s_or_b64 s[48:49], vcc, s[48:49]
	s_xor_b64 s[52:53], vcc, s[2:3]
	s_and_b64 s[2:3], s[48:49], exec
	s_or_b64 s[2:3], s[50:51], s[2:3]
	s_and_saveexec_b64 s[50:51], s[52:53]
	s_cbranch_execz .LBB871_378
; %bb.380:                              ;   in Loop: Header=BB871_379 Depth=1
	s_add_u32 s44, s44, -1
	s_addc_u32 s45, s45, -1
	s_cmp_eq_u64 s[44:45], 0
	s_cselect_b64 s[46:47], -1, 0
	s_andn2_b64 s[42:43], s[42:43], exec
	s_and_b64 s[46:47], s[46:47], exec
	v_lshl_add_u64 v[6:7], v[6:7], 0, 4
	v_lshl_add_u64 v[8:9], v[8:9], 0, 4
	s_andn2_b64 s[2:3], s[2:3], exec
	s_or_b64 s[42:43], s[42:43], s[46:47]
                                        ; implicit-def: $sgpr46_sgpr47
	s_branch .LBB871_378
.LBB871_381:
	s_or_b64 exec, exec, s[38:39]
	s_xor_b64 s[2:3], s[40:41], -1
	s_andn2_b64 s[30:31], s[30:31], exec
	s_and_b64 s[2:3], s[2:3], exec
	s_or_b64 s[30:31], s[30:31], s[2:3]
.LBB871_382:
	s_or_b64 exec, exec, s[36:37]
	s_orn2_b64 s[30:31], s[30:31], exec
.LBB871_383:
	s_or_b64 exec, exec, s[34:35]
	v_cndmask_b32_e64 v6, v39, v40, s[30:31]
	v_cndmask_b32_e64 v7, v38, v37, s[30:31]
	v_add_u32_e32 v8, 1, v6
	v_add_u32_e32 v6, -1, v7
	v_min_u32_e32 v6, v8, v6
	v_lshl_add_u32 v6, v6, 3, v33
	ds_read_b64 v[6:7], v6
	v_cndmask_b32_e64 v43, v8, v39, s[30:31]
	v_cndmask_b32_e64 v44, v40, v8, s[30:31]
	v_cmp_lt_u32_e32 vcc, v43, v38
	s_mov_b64 s[36:37], -1
	s_waitcnt lgkmcnt(0)
	v_cndmask_b32_e64 v12, v7, v10, s[30:31]
	v_cndmask_b32_e64 v24, v6, v17, s[30:31]
	;; [unrolled: 1-line block ×4, first 2 shown]
	s_mov_b64 s[34:35], -1
	s_and_saveexec_b64 s[38:39], vcc
	s_cbranch_execz .LBB871_391
; %bb.384:
	v_cmp_lt_u32_e64 s[34:35], v44, v37
	s_xor_b64 s[2:3], s[10:11], -1
	s_and_b64 s[2:3], s[34:35], s[2:3]
	s_and_saveexec_b64 s[40:41], s[2:3]
	s_cbranch_execz .LBB871_390
; %bb.385:
	v_mul_lo_u32 v8, v12, s20
	v_mul_lo_u32 v9, v24, s21
	v_mad_u64_u32 v[6:7], s[2:3], v24, s20, 0
	v_add3_u32 v7, v7, v9, v8
	v_mul_lo_u32 v39, v13, s20
	v_mul_lo_u32 v40, v25, s21
	v_mad_u64_u32 v[8:9], s[2:3], v25, s20, 0
	v_add3_u32 v9, v9, v40, v39
	v_lshl_add_u64 v[6:7], v[6:7], 2, s[22:23]
	v_lshl_add_u64 v[8:9], v[8:9], 2, s[22:23]
	s_mov_b64 s[42:43], 0
	s_mov_b64 s[48:49], s[20:21]
                                        ; implicit-def: $sgpr44_sgpr45
                                        ; implicit-def: $sgpr46_sgpr47
                                        ; implicit-def: $sgpr2_sgpr3
                                        ; implicit-def: $sgpr50_sgpr51
	s_branch .LBB871_387
.LBB871_386:                            ;   in Loop: Header=BB871_387 Depth=1
	s_or_b64 exec, exec, s[54:55]
	s_and_b64 s[54:55], exec, s[46:47]
	s_or_b64 s[42:43], s[54:55], s[42:43]
	s_andn2_b64 s[50:51], s[50:51], exec
	s_and_b64 s[52:53], s[52:53], exec
	s_or_b64 s[50:51], s[50:51], s[52:53]
	s_andn2_b64 s[44:45], s[44:45], exec
	s_and_b64 s[52:53], s[2:3], exec
	s_or_b64 s[44:45], s[44:45], s[52:53]
	s_andn2_b64 exec, exec, s[42:43]
	s_cbranch_execz .LBB871_389
.LBB871_387:                            ; =>This Inner Loop Header: Depth=1
	global_load_dword v39, v[6:7], off
	global_load_dword v40, v[8:9], off
	s_andn2_b64 s[54:55], s[2:3], exec
	s_or_b64 s[46:47], s[46:47], exec
	s_waitcnt vmcnt(0)
	v_cmp_ngt_f32_e64 s[2:3], v39, v40
	v_cmp_lt_f32_e32 vcc, v39, v40
	s_and_b64 s[52:53], s[2:3], s[50:51]
	s_or_b64 s[52:53], vcc, s[52:53]
	s_xor_b64 s[56:57], vcc, s[2:3]
	s_and_b64 s[2:3], s[52:53], exec
	s_or_b64 s[2:3], s[54:55], s[2:3]
	s_and_saveexec_b64 s[54:55], s[56:57]
	s_cbranch_execz .LBB871_386
; %bb.388:                              ;   in Loop: Header=BB871_387 Depth=1
	s_add_u32 s48, s48, -1
	s_addc_u32 s49, s49, -1
	s_cmp_eq_u64 s[48:49], 0
	s_cselect_b64 s[50:51], -1, 0
	s_andn2_b64 s[46:47], s[46:47], exec
	s_and_b64 s[50:51], s[50:51], exec
	v_lshl_add_u64 v[6:7], v[6:7], 0, 4
	v_lshl_add_u64 v[8:9], v[8:9], 0, 4
	s_andn2_b64 s[2:3], s[2:3], exec
	s_or_b64 s[46:47], s[46:47], s[50:51]
                                        ; implicit-def: $sgpr50_sgpr51
	s_branch .LBB871_386
.LBB871_389:
	s_or_b64 exec, exec, s[42:43]
	s_xor_b64 s[2:3], s[44:45], -1
	s_andn2_b64 s[34:35], s[34:35], exec
	s_and_b64 s[2:3], s[2:3], exec
	s_or_b64 s[34:35], s[34:35], s[2:3]
.LBB871_390:
	s_or_b64 exec, exec, s[40:41]
	s_orn2_b64 s[34:35], s[34:35], exec
.LBB871_391:
	s_or_b64 exec, exec, s[38:39]
	v_cndmask_b32_e64 v6, v43, v44, s[34:35]
	v_cndmask_b32_e64 v7, v38, v37, s[34:35]
	v_add_u32_e32 v8, 1, v6
	v_add_u32_e32 v6, -1, v7
	v_min_u32_e32 v6, v8, v6
	v_lshl_add_u32 v6, v6, 3, v33
	ds_read_b64 v[6:7], v6
	v_cndmask_b32_e64 v47, v8, v43, s[34:35]
	v_cndmask_b32_e64 v48, v44, v8, s[34:35]
	v_cmp_lt_u32_e32 vcc, v47, v38
	s_waitcnt lgkmcnt(0)
	v_cndmask_b32_e64 v39, v7, v12, s[34:35]
	v_cndmask_b32_e64 v40, v6, v24, s[34:35]
	;; [unrolled: 1-line block ×4, first 2 shown]
	s_and_saveexec_b64 s[38:39], vcc
	s_cbranch_execz .LBB871_399
; %bb.392:
	v_cmp_lt_u32_e64 s[36:37], v48, v37
	s_xor_b64 s[2:3], s[10:11], -1
	s_and_b64 s[2:3], s[36:37], s[2:3]
	s_and_saveexec_b64 s[40:41], s[2:3]
	s_cbranch_execz .LBB871_398
; %bb.393:
	v_mul_lo_u32 v8, v39, s20
	v_mul_lo_u32 v9, v40, s21
	v_mad_u64_u32 v[6:7], s[2:3], v40, s20, 0
	v_add3_u32 v7, v7, v9, v8
	v_mul_lo_u32 v43, v41, s20
	v_mul_lo_u32 v44, v42, s21
	v_mad_u64_u32 v[8:9], s[2:3], v42, s20, 0
	v_add3_u32 v9, v9, v44, v43
	v_lshl_add_u64 v[6:7], v[6:7], 2, s[22:23]
	v_lshl_add_u64 v[8:9], v[8:9], 2, s[22:23]
	s_mov_b64 s[42:43], 0
	s_mov_b64 s[48:49], s[20:21]
                                        ; implicit-def: $sgpr44_sgpr45
                                        ; implicit-def: $sgpr46_sgpr47
                                        ; implicit-def: $sgpr2_sgpr3
                                        ; implicit-def: $sgpr50_sgpr51
	s_branch .LBB871_395
.LBB871_394:                            ;   in Loop: Header=BB871_395 Depth=1
	s_or_b64 exec, exec, s[54:55]
	s_and_b64 s[54:55], exec, s[46:47]
	s_or_b64 s[42:43], s[54:55], s[42:43]
	s_andn2_b64 s[50:51], s[50:51], exec
	s_and_b64 s[52:53], s[52:53], exec
	s_or_b64 s[50:51], s[50:51], s[52:53]
	s_andn2_b64 s[44:45], s[44:45], exec
	s_and_b64 s[52:53], s[2:3], exec
	s_or_b64 s[44:45], s[44:45], s[52:53]
	s_andn2_b64 exec, exec, s[42:43]
	s_cbranch_execz .LBB871_397
.LBB871_395:                            ; =>This Inner Loop Header: Depth=1
	global_load_dword v43, v[6:7], off
	global_load_dword v44, v[8:9], off
	s_andn2_b64 s[54:55], s[2:3], exec
	s_or_b64 s[46:47], s[46:47], exec
	s_waitcnt vmcnt(0)
	v_cmp_ngt_f32_e64 s[2:3], v43, v44
	v_cmp_lt_f32_e32 vcc, v43, v44
	s_and_b64 s[52:53], s[2:3], s[50:51]
	s_or_b64 s[52:53], vcc, s[52:53]
	s_xor_b64 s[56:57], vcc, s[2:3]
	s_and_b64 s[2:3], s[52:53], exec
	s_or_b64 s[2:3], s[54:55], s[2:3]
	s_and_saveexec_b64 s[54:55], s[56:57]
	s_cbranch_execz .LBB871_394
; %bb.396:                              ;   in Loop: Header=BB871_395 Depth=1
	s_add_u32 s48, s48, -1
	s_addc_u32 s49, s49, -1
	s_cmp_eq_u64 s[48:49], 0
	s_cselect_b64 s[50:51], -1, 0
	s_andn2_b64 s[46:47], s[46:47], exec
	s_and_b64 s[50:51], s[50:51], exec
	v_lshl_add_u64 v[6:7], v[6:7], 0, 4
	v_lshl_add_u64 v[8:9], v[8:9], 0, 4
	s_andn2_b64 s[2:3], s[2:3], exec
	s_or_b64 s[46:47], s[46:47], s[50:51]
                                        ; implicit-def: $sgpr50_sgpr51
	s_branch .LBB871_394
.LBB871_397:
	s_or_b64 exec, exec, s[42:43]
	s_xor_b64 s[2:3], s[44:45], -1
	s_andn2_b64 s[36:37], s[36:37], exec
	s_and_b64 s[2:3], s[2:3], exec
	s_or_b64 s[36:37], s[36:37], s[2:3]
.LBB871_398:
	s_or_b64 exec, exec, s[40:41]
	s_orn2_b64 s[36:37], s[36:37], exec
.LBB871_399:
	s_or_b64 exec, exec, s[38:39]
	v_cndmask_b32_e64 v6, v47, v48, s[36:37]
	v_cndmask_b32_e64 v7, v38, v37, s[36:37]
	v_add_u32_e32 v8, 1, v6
	v_add_u32_e32 v6, -1, v7
	v_min_u32_e32 v6, v8, v6
	v_lshl_add_u32 v6, v6, 3, v33
	ds_read_b64 v[6:7], v6
	v_cndmask_b32_e64 v49, v8, v47, s[36:37]
	v_cndmask_b32_e64 v53, v48, v8, s[36:37]
	v_cmp_lt_u32_e32 vcc, v49, v38
	s_mov_b64 s[38:39], -1
	s_waitcnt lgkmcnt(0)
	v_cndmask_b32_e64 v43, v7, v39, s[36:37]
	v_cndmask_b32_e64 v44, v6, v40, s[36:37]
	;; [unrolled: 1-line block ×4, first 2 shown]
	s_mov_b64 s[40:41], -1
	s_and_saveexec_b64 s[42:43], vcc
	s_cbranch_execz .LBB871_407
; %bb.400:
	v_cmp_lt_u32_e64 s[40:41], v53, v37
	s_xor_b64 s[2:3], s[10:11], -1
	s_and_b64 s[2:3], s[40:41], s[2:3]
	s_and_saveexec_b64 s[44:45], s[2:3]
	s_cbranch_execz .LBB871_406
; %bb.401:
	v_mul_lo_u32 v8, v43, s20
	v_mul_lo_u32 v9, v44, s21
	v_mad_u64_u32 v[6:7], s[2:3], v44, s20, 0
	v_add3_u32 v7, v7, v9, v8
	v_mul_lo_u32 v47, v45, s20
	v_mul_lo_u32 v48, v46, s21
	v_mad_u64_u32 v[8:9], s[2:3], v46, s20, 0
	v_add3_u32 v9, v9, v48, v47
	v_lshl_add_u64 v[6:7], v[6:7], 2, s[22:23]
	v_lshl_add_u64 v[8:9], v[8:9], 2, s[22:23]
	s_mov_b64 s[46:47], 0
	s_mov_b64 s[52:53], s[20:21]
                                        ; implicit-def: $sgpr48_sgpr49
                                        ; implicit-def: $sgpr50_sgpr51
                                        ; implicit-def: $sgpr2_sgpr3
                                        ; implicit-def: $sgpr54_sgpr55
	s_branch .LBB871_403
.LBB871_402:                            ;   in Loop: Header=BB871_403 Depth=1
	s_or_b64 exec, exec, s[58:59]
	s_and_b64 s[58:59], exec, s[50:51]
	s_or_b64 s[46:47], s[58:59], s[46:47]
	s_andn2_b64 s[54:55], s[54:55], exec
	s_and_b64 s[56:57], s[56:57], exec
	s_or_b64 s[54:55], s[54:55], s[56:57]
	s_andn2_b64 s[48:49], s[48:49], exec
	s_and_b64 s[56:57], s[2:3], exec
	s_or_b64 s[48:49], s[48:49], s[56:57]
	s_andn2_b64 exec, exec, s[46:47]
	s_cbranch_execz .LBB871_405
.LBB871_403:                            ; =>This Inner Loop Header: Depth=1
	global_load_dword v47, v[6:7], off
	global_load_dword v48, v[8:9], off
	s_andn2_b64 s[58:59], s[2:3], exec
	s_or_b64 s[50:51], s[50:51], exec
	s_waitcnt vmcnt(0)
	v_cmp_ngt_f32_e64 s[2:3], v47, v48
	v_cmp_lt_f32_e32 vcc, v47, v48
	s_and_b64 s[56:57], s[2:3], s[54:55]
	s_or_b64 s[56:57], vcc, s[56:57]
	s_xor_b64 s[60:61], vcc, s[2:3]
	s_and_b64 s[2:3], s[56:57], exec
	s_or_b64 s[2:3], s[58:59], s[2:3]
	s_and_saveexec_b64 s[58:59], s[60:61]
	s_cbranch_execz .LBB871_402
; %bb.404:                              ;   in Loop: Header=BB871_403 Depth=1
	s_add_u32 s52, s52, -1
	s_addc_u32 s53, s53, -1
	s_cmp_eq_u64 s[52:53], 0
	s_cselect_b64 s[54:55], -1, 0
	s_andn2_b64 s[50:51], s[50:51], exec
	s_and_b64 s[54:55], s[54:55], exec
	v_lshl_add_u64 v[6:7], v[6:7], 0, 4
	v_lshl_add_u64 v[8:9], v[8:9], 0, 4
	s_andn2_b64 s[2:3], s[2:3], exec
	s_or_b64 s[50:51], s[50:51], s[54:55]
                                        ; implicit-def: $sgpr54_sgpr55
	s_branch .LBB871_402
.LBB871_405:
	s_or_b64 exec, exec, s[46:47]
	s_xor_b64 s[2:3], s[48:49], -1
	s_andn2_b64 s[40:41], s[40:41], exec
	s_and_b64 s[2:3], s[2:3], exec
	s_or_b64 s[40:41], s[40:41], s[2:3]
.LBB871_406:
	s_or_b64 exec, exec, s[44:45]
	s_orn2_b64 s[40:41], s[40:41], exec
.LBB871_407:
	s_or_b64 exec, exec, s[42:43]
	v_cndmask_b32_e64 v6, v49, v53, s[40:41]
	v_cndmask_b32_e64 v7, v38, v37, s[40:41]
	v_add_u32_e32 v8, 1, v6
	v_add_u32_e32 v6, -1, v7
	v_min_u32_e32 v6, v8, v6
	v_lshl_add_u32 v6, v6, 3, v33
	ds_read_b64 v[6:7], v6
	v_cndmask_b32_e64 v50, v8, v49, s[40:41]
	v_cndmask_b32_e64 v49, v53, v8, s[40:41]
	v_cmp_lt_u32_e32 vcc, v50, v38
	s_waitcnt lgkmcnt(0)
	v_cndmask_b32_e64 v47, v7, v43, s[40:41]
	v_cndmask_b32_e64 v48, v6, v44, s[40:41]
	;; [unrolled: 1-line block ×4, first 2 shown]
	s_and_saveexec_b64 s[42:43], vcc
	s_cbranch_execz .LBB871_415
; %bb.408:
	v_cmp_lt_u32_e64 s[38:39], v49, v37
	s_xor_b64 s[2:3], s[10:11], -1
	s_and_b64 s[2:3], s[38:39], s[2:3]
	s_and_saveexec_b64 s[44:45], s[2:3]
	s_cbranch_execz .LBB871_414
; %bb.409:
	v_mul_lo_u32 v8, v47, s20
	v_mul_lo_u32 v9, v48, s21
	v_mad_u64_u32 v[6:7], s[2:3], v48, s20, 0
	v_add3_u32 v7, v7, v9, v8
	v_mul_lo_u32 v53, v51, s20
	v_mul_lo_u32 v54, v52, s21
	v_mad_u64_u32 v[8:9], s[2:3], v52, s20, 0
	v_add3_u32 v9, v9, v54, v53
	v_lshl_add_u64 v[6:7], v[6:7], 2, s[22:23]
	v_lshl_add_u64 v[8:9], v[8:9], 2, s[22:23]
	s_mov_b64 s[46:47], 0
	s_mov_b64 s[52:53], s[20:21]
                                        ; implicit-def: $sgpr48_sgpr49
                                        ; implicit-def: $sgpr50_sgpr51
                                        ; implicit-def: $sgpr2_sgpr3
                                        ; implicit-def: $sgpr54_sgpr55
	s_branch .LBB871_411
.LBB871_410:                            ;   in Loop: Header=BB871_411 Depth=1
	s_or_b64 exec, exec, s[58:59]
	s_and_b64 s[58:59], exec, s[50:51]
	s_or_b64 s[46:47], s[58:59], s[46:47]
	s_andn2_b64 s[54:55], s[54:55], exec
	s_and_b64 s[56:57], s[56:57], exec
	s_or_b64 s[54:55], s[54:55], s[56:57]
	s_andn2_b64 s[48:49], s[48:49], exec
	s_and_b64 s[56:57], s[2:3], exec
	s_or_b64 s[48:49], s[48:49], s[56:57]
	s_andn2_b64 exec, exec, s[46:47]
	s_cbranch_execz .LBB871_413
.LBB871_411:                            ; =>This Inner Loop Header: Depth=1
	global_load_dword v53, v[6:7], off
	global_load_dword v54, v[8:9], off
	s_andn2_b64 s[58:59], s[2:3], exec
	s_or_b64 s[50:51], s[50:51], exec
	s_waitcnt vmcnt(0)
	v_cmp_ngt_f32_e64 s[2:3], v53, v54
	v_cmp_lt_f32_e32 vcc, v53, v54
	s_and_b64 s[56:57], s[2:3], s[54:55]
	s_or_b64 s[56:57], vcc, s[56:57]
	s_xor_b64 s[60:61], vcc, s[2:3]
	s_and_b64 s[2:3], s[56:57], exec
	s_or_b64 s[2:3], s[58:59], s[2:3]
	s_and_saveexec_b64 s[58:59], s[60:61]
	s_cbranch_execz .LBB871_410
; %bb.412:                              ;   in Loop: Header=BB871_411 Depth=1
	s_add_u32 s52, s52, -1
	s_addc_u32 s53, s53, -1
	s_cmp_eq_u64 s[52:53], 0
	s_cselect_b64 s[54:55], -1, 0
	s_andn2_b64 s[50:51], s[50:51], exec
	s_and_b64 s[54:55], s[54:55], exec
	v_lshl_add_u64 v[6:7], v[6:7], 0, 4
	v_lshl_add_u64 v[8:9], v[8:9], 0, 4
	s_andn2_b64 s[2:3], s[2:3], exec
	s_or_b64 s[50:51], s[50:51], s[54:55]
                                        ; implicit-def: $sgpr54_sgpr55
	s_branch .LBB871_410
.LBB871_413:
	s_or_b64 exec, exec, s[46:47]
	s_xor_b64 s[2:3], s[48:49], -1
	s_andn2_b64 s[38:39], s[38:39], exec
	s_and_b64 s[2:3], s[2:3], exec
	s_or_b64 s[38:39], s[38:39], s[2:3]
.LBB871_414:
	s_or_b64 exec, exec, s[44:45]
	s_orn2_b64 s[38:39], s[38:39], exec
.LBB871_415:
	s_or_b64 exec, exec, s[42:43]
	v_cndmask_b32_e64 v11, v10, v11, s[30:31]
	v_cndmask_b32_e64 v10, v17, v23, s[30:31]
	;; [unrolled: 1-line block ×8, first 2 shown]
	v_add_u32_e32 v24, 1, v14
	v_add_u32_e32 v14, -1, v15
	v_min_u32_e32 v14, v24, v14
	v_lshl_add_u32 v14, v14, 3, v33
	ds_read_b64 v[22:23], v14
	v_cndmask_b32_e64 v25, v24, v50, s[38:39]
	v_cndmask_b32_e64 v9, v43, v45, s[40:41]
	;; [unrolled: 1-line block ×9, first 2 shown]
	s_waitcnt lgkmcnt(0)
	v_cndmask_b32_e64 v5, v51, v23, s[38:39]
	v_cndmask_b32_e64 v4, v52, v22, s[38:39]
	v_cmp_lt_u32_e32 vcc, v25, v38
	s_and_saveexec_b64 s[4:5], vcc
	s_cbranch_execz .LBB871_423
; %bb.416:
	v_cndmask_b32_e64 v39, v22, v48, s[38:39]
	v_cndmask_b32_e64 v22, v49, v24, s[38:39]
	;; [unrolled: 1-line block ×3, first 2 shown]
	v_cmp_ge_u32_e32 vcc, v22, v37
	s_nor_b64 s[2:3], vcc, s[10:11]
	s_nop 0
	v_cndmask_b32_e32 v23, v5, v38, vcc
	v_cndmask_b32_e32 v22, v4, v39, vcc
	s_and_saveexec_b64 s[26:27], s[2:3]
	s_cbranch_execz .LBB871_422
; %bb.417:
	v_mul_lo_u32 v24, v38, s20
	v_mul_lo_u32 v25, v39, s21
	v_mad_u64_u32 v[22:23], s[2:3], v39, s20, 0
	v_add3_u32 v23, v23, v25, v24
	v_mul_lo_u32 v37, v5, s20
	v_mul_lo_u32 v40, v4, s21
	v_mad_u64_u32 v[24:25], s[2:3], v4, s20, 0
	v_add3_u32 v25, v25, v40, v37
	v_lshl_add_u64 v[22:23], v[22:23], 2, s[22:23]
	v_lshl_add_u64 v[24:25], v[24:25], 2, s[22:23]
	s_mov_b64 s[30:31], 0
	s_mov_b64 s[38:39], s[20:21]
                                        ; implicit-def: $sgpr34_sgpr35
                                        ; implicit-def: $sgpr36_sgpr37
                                        ; implicit-def: $sgpr2_sgpr3
                                        ; implicit-def: $sgpr40_sgpr41
	s_branch .LBB871_419
.LBB871_418:                            ;   in Loop: Header=BB871_419 Depth=1
	s_or_b64 exec, exec, s[44:45]
	s_and_b64 s[44:45], exec, s[36:37]
	s_or_b64 s[30:31], s[44:45], s[30:31]
	s_andn2_b64 s[40:41], s[40:41], exec
	s_and_b64 s[42:43], s[42:43], exec
	s_or_b64 s[40:41], s[40:41], s[42:43]
	s_andn2_b64 s[34:35], s[34:35], exec
	s_and_b64 s[42:43], s[2:3], exec
	s_or_b64 s[34:35], s[34:35], s[42:43]
	s_andn2_b64 exec, exec, s[30:31]
	s_cbranch_execz .LBB871_421
.LBB871_419:                            ; =>This Inner Loop Header: Depth=1
	global_load_dword v37, v[22:23], off
	global_load_dword v40, v[24:25], off
	s_andn2_b64 s[44:45], s[2:3], exec
	s_or_b64 s[36:37], s[36:37], exec
	s_waitcnt vmcnt(0)
	v_cmp_ngt_f32_e64 s[2:3], v37, v40
	v_cmp_lt_f32_e32 vcc, v37, v40
	s_and_b64 s[42:43], s[2:3], s[40:41]
	s_or_b64 s[42:43], vcc, s[42:43]
	s_xor_b64 s[46:47], vcc, s[2:3]
	s_and_b64 s[2:3], s[42:43], exec
	s_or_b64 s[2:3], s[44:45], s[2:3]
	s_and_saveexec_b64 s[44:45], s[46:47]
	s_cbranch_execz .LBB871_418
; %bb.420:                              ;   in Loop: Header=BB871_419 Depth=1
	s_add_u32 s38, s38, -1
	s_addc_u32 s39, s39, -1
	s_cmp_eq_u64 s[38:39], 0
	s_cselect_b64 s[40:41], -1, 0
	s_andn2_b64 s[36:37], s[36:37], exec
	s_and_b64 s[40:41], s[40:41], exec
	v_lshl_add_u64 v[22:23], v[22:23], 0, 4
	v_lshl_add_u64 v[24:25], v[24:25], 0, 4
	s_andn2_b64 s[2:3], s[2:3], exec
	s_or_b64 s[36:37], s[36:37], s[40:41]
                                        ; implicit-def: $sgpr40_sgpr41
	s_branch .LBB871_418
.LBB871_421:
	s_or_b64 exec, exec, s[30:31]
	v_cndmask_b32_e64 v23, v5, v38, s[34:35]
	v_cndmask_b32_e64 v22, v4, v39, s[34:35]
.LBB871_422:
	s_or_b64 exec, exec, s[26:27]
	v_mov_b64_e32 v[4:5], v[22:23]
.LBB871_423:
	s_or_b64 exec, exec, s[4:5]
.LBB871_424:
	s_or_b64 exec, exec, s[12:13]
	v_and_b32_e32 v38, 0x380, v35
	v_or_b32_e32 v22, 64, v38
	; wave barrier
	ds_write_b128 v36, v[14:17]
	ds_write_b128 v36, v[10:13] offset:16
	ds_write_b128 v36, v[6:9] offset:32
	;; [unrolled: 1-line block ×3, first 2 shown]
	v_min_u32_e32 v36, v34, v22
	v_add_u32_e32 v22, 64, v36
	v_min_u32_e32 v37, v34, v22
	v_and_b32_e32 v22, 0x78, v35
	v_min_u32_e32 v39, v34, v22
	v_sub_u32_e32 v22, v36, v38
	v_sub_u32_e32 v23, v37, v36
	v_sub_u32_e64 v35, v39, v23 clamp
	v_min_u32_e32 v40, v39, v22
	v_lshl_add_u32 v34, v38, 3, v33
	v_cmp_lt_u32_e32 vcc, v35, v40
	; wave barrier
	s_and_saveexec_b64 s[4:5], vcc
	s_cbranch_execz .LBB871_434
; %bb.425:
	v_lshlrev_b32_e32 v22, 3, v36
	v_lshlrev_b32_e32 v23, 3, v39
	v_add3_u32 v41, v33, v22, v23
	s_lshl_b64 s[26:27], s[20:21], 2
	s_mov_b64 s[12:13], 0
	s_branch .LBB871_428
.LBB871_426:                            ;   in Loop: Header=BB871_428 Depth=1
	s_or_b64 exec, exec, s[34:35]
.LBB871_427:                            ;   in Loop: Header=BB871_428 Depth=1
	v_add_u32_e32 v22, 1, v42
	v_cndmask_b32_e64 v40, v40, v42, s[30:31]
	v_cndmask_b32_e64 v35, v22, v35, s[30:31]
	v_cmp_ge_u32_e32 vcc, v35, v40
	s_or_b64 s[12:13], vcc, s[12:13]
	s_andn2_b64 exec, exec, s[12:13]
	s_cbranch_execz .LBB871_433
.LBB871_428:                            ; =>This Loop Header: Depth=1
                                        ;     Child Loop BB871_431 Depth 2
	v_add_u32_e32 v22, v40, v35
	v_lshrrev_b32_e32 v42, 1, v22
	s_and_b64 vcc, exec, s[0:1]
	s_mov_b64 s[30:31], 0
	s_cbranch_vccnz .LBB871_427
; %bb.429:                              ;   in Loop: Header=BB871_428 Depth=1
	v_not_b32_e32 v22, v42
	v_lshl_add_u32 v22, v22, 3, v41
	ds_read_b64 v[22:23], v22
	v_lshl_add_u32 v43, v42, 3, v34
	ds_read_b64 v[44:45], v43
	v_mov_b64_e32 v[24:25], s[22:23]
	s_mov_b64 s[34:35], 0
	s_waitcnt lgkmcnt(1)
	v_mul_lo_u32 v43, s26, v23
	v_mul_lo_u32 v46, s27, v22
	v_mad_u64_u32 v[22:23], s[2:3], s26, v22, v[24:25]
	v_add3_u32 v23, v46, v23, v43
	s_waitcnt lgkmcnt(0)
	v_mul_lo_u32 v43, s26, v45
	v_mul_lo_u32 v45, s27, v44
	v_mad_u64_u32 v[24:25], s[2:3], s26, v44, v[24:25]
	v_add3_u32 v25, v45, v25, v43
	s_mov_b64 s[38:39], s[20:21]
                                        ; implicit-def: $sgpr30_sgpr31
                                        ; implicit-def: $sgpr36_sgpr37
                                        ; implicit-def: $sgpr2_sgpr3
                                        ; implicit-def: $sgpr40_sgpr41
	s_branch .LBB871_431
.LBB871_430:                            ;   in Loop: Header=BB871_431 Depth=2
	s_or_b64 exec, exec, s[44:45]
	s_and_b64 s[44:45], exec, s[36:37]
	s_or_b64 s[34:35], s[44:45], s[34:35]
	s_andn2_b64 s[40:41], s[40:41], exec
	s_and_b64 s[42:43], s[42:43], exec
	s_or_b64 s[40:41], s[40:41], s[42:43]
	s_andn2_b64 s[30:31], s[30:31], exec
	s_and_b64 s[42:43], s[2:3], exec
	s_or_b64 s[30:31], s[30:31], s[42:43]
	s_andn2_b64 exec, exec, s[34:35]
	s_cbranch_execz .LBB871_426
.LBB871_431:                            ;   Parent Loop BB871_428 Depth=1
                                        ; =>  This Inner Loop Header: Depth=2
	global_load_dword v43, v[22:23], off
	global_load_dword v44, v[24:25], off
	s_andn2_b64 s[44:45], s[2:3], exec
	s_or_b64 s[36:37], s[36:37], exec
	s_waitcnt vmcnt(0)
	v_cmp_ngt_f32_e64 s[2:3], v43, v44
	v_cmp_lt_f32_e32 vcc, v43, v44
	s_and_b64 s[42:43], s[2:3], s[40:41]
	s_or_b64 s[42:43], vcc, s[42:43]
	s_xor_b64 s[46:47], vcc, s[2:3]
	s_and_b64 s[2:3], s[42:43], exec
	s_or_b64 s[2:3], s[44:45], s[2:3]
	s_and_saveexec_b64 s[44:45], s[46:47]
	s_cbranch_execz .LBB871_430
; %bb.432:                              ;   in Loop: Header=BB871_431 Depth=2
	s_add_u32 s38, s38, -1
	s_addc_u32 s39, s39, -1
	s_cmp_eq_u64 s[38:39], 0
	s_cselect_b64 s[40:41], -1, 0
	s_andn2_b64 s[36:37], s[36:37], exec
	s_and_b64 s[40:41], s[40:41], exec
	v_lshl_add_u64 v[22:23], v[22:23], 0, 4
	v_lshl_add_u64 v[24:25], v[24:25], 0, 4
	s_andn2_b64 s[2:3], s[2:3], exec
	s_or_b64 s[36:37], s[36:37], s[40:41]
                                        ; implicit-def: $sgpr40_sgpr41
	s_branch .LBB871_430
.LBB871_433:
	s_or_b64 exec, exec, s[12:13]
.LBB871_434:
	s_or_b64 exec, exec, s[4:5]
	v_add_u32_e32 v22, v36, v39
	v_add_u32_e32 v23, v35, v38
	v_sub_u32_e32 v24, v22, v35
	v_cmp_le_u32_e32 vcc, v23, v36
	v_cmp_le_u32_e64 s[2:3], v24, v37
	s_or_b64 s[2:3], vcc, s[2:3]
	s_and_saveexec_b64 s[12:13], s[2:3]
	s_cbranch_execz .LBB871_502
; %bb.435:
	v_cmp_ge_u32_e32 vcc, v23, v36
	v_cmp_lt_u32_e64 s[2:3], v23, v36
                                        ; implicit-def: $vgpr2_vgpr3
	s_and_saveexec_b64 s[4:5], s[2:3]
; %bb.436:
	v_lshl_add_u32 v2, v35, 3, v34
	ds_read_b64 v[2:3], v2
; %bb.437:
	s_or_b64 exec, exec, s[4:5]
	v_cmp_ge_u32_e64 s[2:3], v24, v37
	v_cmp_lt_u32_e64 s[4:5], v24, v37
                                        ; implicit-def: $vgpr4_vgpr5
	s_and_saveexec_b64 s[26:27], s[4:5]
; %bb.438:
	v_lshl_add_u32 v4, v24, 3, v33
	ds_read_b64 v[4:5], v4
; %bb.439:
	s_or_b64 exec, exec, s[26:27]
	s_or_b64 s[4:5], vcc, s[2:3]
	s_nor_b64 s[30:31], s[4:5], s[10:11]
	s_xor_b64 s[4:5], vcc, -1
	s_or_b64 s[4:5], s[2:3], s[4:5]
	s_and_saveexec_b64 s[26:27], s[30:31]
	s_cbranch_execz .LBB871_445
; %bb.440:
	s_waitcnt lgkmcnt(0)
	v_mul_lo_u32 v8, v5, s20
	v_mul_lo_u32 v9, v4, s21
	v_mad_u64_u32 v[6:7], s[2:3], v4, s20, 0
	v_add3_u32 v7, v7, v9, v8
	v_mul_lo_u32 v10, v3, s20
	v_mul_lo_u32 v11, v2, s21
	v_mad_u64_u32 v[8:9], s[2:3], v2, s20, 0
	v_add3_u32 v9, v9, v11, v10
	v_lshl_add_u64 v[6:7], v[6:7], 2, s[22:23]
	v_lshl_add_u64 v[8:9], v[8:9], 2, s[22:23]
	s_mov_b64 s[30:31], 0
	s_mov_b64 s[38:39], s[20:21]
                                        ; implicit-def: $sgpr34_sgpr35
                                        ; implicit-def: $sgpr36_sgpr37
                                        ; implicit-def: $sgpr2_sgpr3
                                        ; implicit-def: $sgpr40_sgpr41
	s_branch .LBB871_442
.LBB871_441:                            ;   in Loop: Header=BB871_442 Depth=1
	s_or_b64 exec, exec, s[44:45]
	s_and_b64 s[44:45], exec, s[36:37]
	s_or_b64 s[30:31], s[44:45], s[30:31]
	s_andn2_b64 s[40:41], s[40:41], exec
	s_and_b64 s[42:43], s[42:43], exec
	s_or_b64 s[40:41], s[40:41], s[42:43]
	s_andn2_b64 s[34:35], s[34:35], exec
	s_and_b64 s[42:43], s[2:3], exec
	s_or_b64 s[34:35], s[34:35], s[42:43]
	s_andn2_b64 exec, exec, s[30:31]
	s_cbranch_execz .LBB871_444
.LBB871_442:                            ; =>This Inner Loop Header: Depth=1
	global_load_dword v10, v[6:7], off
	global_load_dword v11, v[8:9], off
	s_andn2_b64 s[44:45], s[2:3], exec
	s_or_b64 s[36:37], s[36:37], exec
	s_waitcnt vmcnt(0)
	v_cmp_ngt_f32_e64 s[2:3], v10, v11
	v_cmp_lt_f32_e32 vcc, v10, v11
	s_and_b64 s[42:43], s[2:3], s[40:41]
	s_or_b64 s[42:43], vcc, s[42:43]
	s_xor_b64 s[46:47], vcc, s[2:3]
	s_and_b64 s[2:3], s[42:43], exec
	s_or_b64 s[2:3], s[44:45], s[2:3]
	s_and_saveexec_b64 s[44:45], s[46:47]
	s_cbranch_execz .LBB871_441
; %bb.443:                              ;   in Loop: Header=BB871_442 Depth=1
	s_add_u32 s38, s38, -1
	s_addc_u32 s39, s39, -1
	s_cmp_eq_u64 s[38:39], 0
	s_cselect_b64 s[40:41], -1, 0
	s_andn2_b64 s[36:37], s[36:37], exec
	s_and_b64 s[40:41], s[40:41], exec
	v_lshl_add_u64 v[6:7], v[6:7], 0, 4
	v_lshl_add_u64 v[8:9], v[8:9], 0, 4
	s_andn2_b64 s[2:3], s[2:3], exec
	s_or_b64 s[36:37], s[36:37], s[40:41]
                                        ; implicit-def: $sgpr40_sgpr41
	s_branch .LBB871_441
.LBB871_444:
	s_or_b64 exec, exec, s[30:31]
	s_xor_b64 s[2:3], s[34:35], -1
	s_andn2_b64 s[4:5], s[4:5], exec
	s_and_b64 s[2:3], s[2:3], exec
	s_or_b64 s[4:5], s[4:5], s[2:3]
.LBB871_445:
	s_or_b64 exec, exec, s[26:27]
	v_cndmask_b32_e64 v6, v24, v23, s[4:5]
	v_cndmask_b32_e64 v7, v37, v36, s[4:5]
	v_add_u32_e32 v8, 1, v6
	v_add_u32_e32 v6, -1, v7
	v_min_u32_e32 v6, v8, v6
	v_lshl_add_u32 v6, v6, 3, v33
	ds_read_b64 v[6:7], v6
	v_cndmask_b32_e64 v12, v8, v24, s[4:5]
	v_cndmask_b32_e64 v13, v23, v8, s[4:5]
	v_cmp_lt_u32_e32 vcc, v12, v37
	s_mov_b64 s[30:31], -1
	s_waitcnt lgkmcnt(0)
	v_cndmask_b32_e64 v14, v7, v5, s[4:5]
	v_cndmask_b32_e64 v15, v6, v4, s[4:5]
	v_cndmask_b32_e64 v16, v3, v7, s[4:5]
	v_cndmask_b32_e64 v22, v2, v6, s[4:5]
	s_mov_b64 s[26:27], -1
	s_and_saveexec_b64 s[34:35], vcc
	s_cbranch_execz .LBB871_453
; %bb.446:
	v_cmp_lt_u32_e64 s[26:27], v13, v36
	s_xor_b64 s[2:3], s[10:11], -1
	s_and_b64 s[2:3], s[26:27], s[2:3]
	s_and_saveexec_b64 s[36:37], s[2:3]
	s_cbranch_execz .LBB871_452
; %bb.447:
	v_mul_lo_u32 v8, v14, s20
	v_mul_lo_u32 v9, v15, s21
	v_mad_u64_u32 v[6:7], s[2:3], v15, s20, 0
	v_add3_u32 v7, v7, v9, v8
	v_mul_lo_u32 v10, v16, s20
	v_mul_lo_u32 v11, v22, s21
	v_mad_u64_u32 v[8:9], s[2:3], v22, s20, 0
	v_add3_u32 v9, v9, v11, v10
	v_lshl_add_u64 v[6:7], v[6:7], 2, s[22:23]
	v_lshl_add_u64 v[8:9], v[8:9], 2, s[22:23]
	s_mov_b64 s[38:39], 0
	s_mov_b64 s[44:45], s[20:21]
                                        ; implicit-def: $sgpr40_sgpr41
                                        ; implicit-def: $sgpr42_sgpr43
                                        ; implicit-def: $sgpr2_sgpr3
                                        ; implicit-def: $sgpr46_sgpr47
	s_branch .LBB871_449
.LBB871_448:                            ;   in Loop: Header=BB871_449 Depth=1
	s_or_b64 exec, exec, s[50:51]
	s_and_b64 s[50:51], exec, s[42:43]
	s_or_b64 s[38:39], s[50:51], s[38:39]
	s_andn2_b64 s[46:47], s[46:47], exec
	s_and_b64 s[48:49], s[48:49], exec
	s_or_b64 s[46:47], s[46:47], s[48:49]
	s_andn2_b64 s[40:41], s[40:41], exec
	s_and_b64 s[48:49], s[2:3], exec
	s_or_b64 s[40:41], s[40:41], s[48:49]
	s_andn2_b64 exec, exec, s[38:39]
	s_cbranch_execz .LBB871_451
.LBB871_449:                            ; =>This Inner Loop Header: Depth=1
	global_load_dword v10, v[6:7], off
	global_load_dword v11, v[8:9], off
	s_andn2_b64 s[50:51], s[2:3], exec
	s_or_b64 s[42:43], s[42:43], exec
	s_waitcnt vmcnt(0)
	v_cmp_ngt_f32_e64 s[2:3], v10, v11
	v_cmp_lt_f32_e32 vcc, v10, v11
	s_and_b64 s[48:49], s[2:3], s[46:47]
	s_or_b64 s[48:49], vcc, s[48:49]
	s_xor_b64 s[52:53], vcc, s[2:3]
	s_and_b64 s[2:3], s[48:49], exec
	s_or_b64 s[2:3], s[50:51], s[2:3]
	s_and_saveexec_b64 s[50:51], s[52:53]
	s_cbranch_execz .LBB871_448
; %bb.450:                              ;   in Loop: Header=BB871_449 Depth=1
	s_add_u32 s44, s44, -1
	s_addc_u32 s45, s45, -1
	s_cmp_eq_u64 s[44:45], 0
	s_cselect_b64 s[46:47], -1, 0
	s_andn2_b64 s[42:43], s[42:43], exec
	s_and_b64 s[46:47], s[46:47], exec
	v_lshl_add_u64 v[6:7], v[6:7], 0, 4
	v_lshl_add_u64 v[8:9], v[8:9], 0, 4
	s_andn2_b64 s[2:3], s[2:3], exec
	s_or_b64 s[42:43], s[42:43], s[46:47]
                                        ; implicit-def: $sgpr46_sgpr47
	s_branch .LBB871_448
.LBB871_451:
	s_or_b64 exec, exec, s[38:39]
	s_xor_b64 s[2:3], s[40:41], -1
	s_andn2_b64 s[26:27], s[26:27], exec
	s_and_b64 s[2:3], s[2:3], exec
	s_or_b64 s[26:27], s[26:27], s[2:3]
.LBB871_452:
	s_or_b64 exec, exec, s[36:37]
	s_orn2_b64 s[26:27], s[26:27], exec
.LBB871_453:
	s_or_b64 exec, exec, s[34:35]
	v_cndmask_b32_e64 v6, v12, v13, s[26:27]
	v_cndmask_b32_e64 v7, v37, v36, s[26:27]
	v_add_u32_e32 v8, 1, v6
	v_add_u32_e32 v6, -1, v7
	v_min_u32_e32 v6, v8, v6
	v_lshl_add_u32 v6, v6, 3, v33
	ds_read_b64 v[6:7], v6
	v_cndmask_b32_e64 v34, v8, v12, s[26:27]
	v_cndmask_b32_e64 v35, v13, v8, s[26:27]
	v_cmp_lt_u32_e32 vcc, v34, v37
	s_waitcnt lgkmcnt(0)
	v_cndmask_b32_e64 v10, v7, v14, s[26:27]
	v_cndmask_b32_e64 v17, v6, v15, s[26:27]
	;; [unrolled: 1-line block ×4, first 2 shown]
	s_and_saveexec_b64 s[34:35], vcc
	s_cbranch_execz .LBB871_461
; %bb.454:
	v_cmp_lt_u32_e64 s[30:31], v35, v36
	s_xor_b64 s[2:3], s[10:11], -1
	s_and_b64 s[2:3], s[30:31], s[2:3]
	s_and_saveexec_b64 s[36:37], s[2:3]
	s_cbranch_execz .LBB871_460
; %bb.455:
	v_mul_lo_u32 v8, v10, s20
	v_mul_lo_u32 v9, v17, s21
	v_mad_u64_u32 v[6:7], s[2:3], v17, s20, 0
	v_add3_u32 v7, v7, v9, v8
	v_mul_lo_u32 v12, v11, s20
	v_mul_lo_u32 v13, v23, s21
	v_mad_u64_u32 v[8:9], s[2:3], v23, s20, 0
	v_add3_u32 v9, v9, v13, v12
	v_lshl_add_u64 v[6:7], v[6:7], 2, s[22:23]
	v_lshl_add_u64 v[8:9], v[8:9], 2, s[22:23]
	s_mov_b64 s[38:39], 0
	s_mov_b64 s[44:45], s[20:21]
                                        ; implicit-def: $sgpr40_sgpr41
                                        ; implicit-def: $sgpr42_sgpr43
                                        ; implicit-def: $sgpr2_sgpr3
                                        ; implicit-def: $sgpr46_sgpr47
	s_branch .LBB871_457
.LBB871_456:                            ;   in Loop: Header=BB871_457 Depth=1
	s_or_b64 exec, exec, s[50:51]
	s_and_b64 s[50:51], exec, s[42:43]
	s_or_b64 s[38:39], s[50:51], s[38:39]
	s_andn2_b64 s[46:47], s[46:47], exec
	s_and_b64 s[48:49], s[48:49], exec
	s_or_b64 s[46:47], s[46:47], s[48:49]
	s_andn2_b64 s[40:41], s[40:41], exec
	s_and_b64 s[48:49], s[2:3], exec
	s_or_b64 s[40:41], s[40:41], s[48:49]
	s_andn2_b64 exec, exec, s[38:39]
	s_cbranch_execz .LBB871_459
.LBB871_457:                            ; =>This Inner Loop Header: Depth=1
	global_load_dword v12, v[6:7], off
	global_load_dword v13, v[8:9], off
	s_andn2_b64 s[50:51], s[2:3], exec
	s_or_b64 s[42:43], s[42:43], exec
	s_waitcnt vmcnt(0)
	v_cmp_ngt_f32_e64 s[2:3], v12, v13
	v_cmp_lt_f32_e32 vcc, v12, v13
	s_and_b64 s[48:49], s[2:3], s[46:47]
	s_or_b64 s[48:49], vcc, s[48:49]
	s_xor_b64 s[52:53], vcc, s[2:3]
	s_and_b64 s[2:3], s[48:49], exec
	s_or_b64 s[2:3], s[50:51], s[2:3]
	s_and_saveexec_b64 s[50:51], s[52:53]
	s_cbranch_execz .LBB871_456
; %bb.458:                              ;   in Loop: Header=BB871_457 Depth=1
	s_add_u32 s44, s44, -1
	s_addc_u32 s45, s45, -1
	s_cmp_eq_u64 s[44:45], 0
	s_cselect_b64 s[46:47], -1, 0
	s_andn2_b64 s[42:43], s[42:43], exec
	s_and_b64 s[46:47], s[46:47], exec
	v_lshl_add_u64 v[6:7], v[6:7], 0, 4
	v_lshl_add_u64 v[8:9], v[8:9], 0, 4
	s_andn2_b64 s[2:3], s[2:3], exec
	s_or_b64 s[42:43], s[42:43], s[46:47]
                                        ; implicit-def: $sgpr46_sgpr47
	s_branch .LBB871_456
.LBB871_459:
	s_or_b64 exec, exec, s[38:39]
	s_xor_b64 s[2:3], s[40:41], -1
	s_andn2_b64 s[30:31], s[30:31], exec
	s_and_b64 s[2:3], s[2:3], exec
	s_or_b64 s[30:31], s[30:31], s[2:3]
.LBB871_460:
	s_or_b64 exec, exec, s[36:37]
	s_orn2_b64 s[30:31], s[30:31], exec
.LBB871_461:
	s_or_b64 exec, exec, s[34:35]
	v_cndmask_b32_e64 v6, v34, v35, s[30:31]
	v_cndmask_b32_e64 v7, v37, v36, s[30:31]
	v_add_u32_e32 v8, 1, v6
	v_add_u32_e32 v6, -1, v7
	v_min_u32_e32 v6, v8, v6
	v_lshl_add_u32 v6, v6, 3, v33
	ds_read_b64 v[6:7], v6
	v_cndmask_b32_e64 v40, v8, v34, s[30:31]
	v_cndmask_b32_e64 v41, v35, v8, s[30:31]
	v_cmp_lt_u32_e32 vcc, v40, v37
	s_mov_b64 s[36:37], -1
	s_waitcnt lgkmcnt(0)
	v_cndmask_b32_e64 v12, v7, v10, s[30:31]
	v_cndmask_b32_e64 v24, v6, v17, s[30:31]
	v_cndmask_b32_e64 v13, v11, v7, s[30:31]
	v_cndmask_b32_e64 v25, v23, v6, s[30:31]
	s_mov_b64 s[34:35], -1
	s_and_saveexec_b64 s[38:39], vcc
	s_cbranch_execz .LBB871_469
; %bb.462:
	v_cmp_lt_u32_e64 s[34:35], v41, v36
	s_xor_b64 s[2:3], s[10:11], -1
	s_and_b64 s[2:3], s[34:35], s[2:3]
	s_and_saveexec_b64 s[40:41], s[2:3]
	s_cbranch_execz .LBB871_468
; %bb.463:
	v_mul_lo_u32 v8, v12, s20
	v_mul_lo_u32 v9, v24, s21
	v_mad_u64_u32 v[6:7], s[2:3], v24, s20, 0
	v_add3_u32 v7, v7, v9, v8
	v_mul_lo_u32 v34, v13, s20
	v_mul_lo_u32 v35, v25, s21
	v_mad_u64_u32 v[8:9], s[2:3], v25, s20, 0
	v_add3_u32 v9, v9, v35, v34
	v_lshl_add_u64 v[6:7], v[6:7], 2, s[22:23]
	v_lshl_add_u64 v[8:9], v[8:9], 2, s[22:23]
	s_mov_b64 s[42:43], 0
	s_mov_b64 s[48:49], s[20:21]
                                        ; implicit-def: $sgpr44_sgpr45
                                        ; implicit-def: $sgpr46_sgpr47
                                        ; implicit-def: $sgpr2_sgpr3
                                        ; implicit-def: $sgpr50_sgpr51
	s_branch .LBB871_465
.LBB871_464:                            ;   in Loop: Header=BB871_465 Depth=1
	s_or_b64 exec, exec, s[54:55]
	s_and_b64 s[54:55], exec, s[46:47]
	s_or_b64 s[42:43], s[54:55], s[42:43]
	s_andn2_b64 s[50:51], s[50:51], exec
	s_and_b64 s[52:53], s[52:53], exec
	s_or_b64 s[50:51], s[50:51], s[52:53]
	s_andn2_b64 s[44:45], s[44:45], exec
	s_and_b64 s[52:53], s[2:3], exec
	s_or_b64 s[44:45], s[44:45], s[52:53]
	s_andn2_b64 exec, exec, s[42:43]
	s_cbranch_execz .LBB871_467
.LBB871_465:                            ; =>This Inner Loop Header: Depth=1
	global_load_dword v34, v[6:7], off
	global_load_dword v35, v[8:9], off
	s_andn2_b64 s[54:55], s[2:3], exec
	s_or_b64 s[46:47], s[46:47], exec
	s_waitcnt vmcnt(0)
	v_cmp_ngt_f32_e64 s[2:3], v34, v35
	v_cmp_lt_f32_e32 vcc, v34, v35
	s_and_b64 s[52:53], s[2:3], s[50:51]
	s_or_b64 s[52:53], vcc, s[52:53]
	s_xor_b64 s[56:57], vcc, s[2:3]
	s_and_b64 s[2:3], s[52:53], exec
	s_or_b64 s[2:3], s[54:55], s[2:3]
	s_and_saveexec_b64 s[54:55], s[56:57]
	s_cbranch_execz .LBB871_464
; %bb.466:                              ;   in Loop: Header=BB871_465 Depth=1
	s_add_u32 s48, s48, -1
	s_addc_u32 s49, s49, -1
	s_cmp_eq_u64 s[48:49], 0
	s_cselect_b64 s[50:51], -1, 0
	s_andn2_b64 s[46:47], s[46:47], exec
	s_and_b64 s[50:51], s[50:51], exec
	v_lshl_add_u64 v[6:7], v[6:7], 0, 4
	v_lshl_add_u64 v[8:9], v[8:9], 0, 4
	s_andn2_b64 s[2:3], s[2:3], exec
	s_or_b64 s[46:47], s[46:47], s[50:51]
                                        ; implicit-def: $sgpr50_sgpr51
	s_branch .LBB871_464
.LBB871_467:
	s_or_b64 exec, exec, s[42:43]
	s_xor_b64 s[2:3], s[44:45], -1
	s_andn2_b64 s[34:35], s[34:35], exec
	s_and_b64 s[2:3], s[2:3], exec
	s_or_b64 s[34:35], s[34:35], s[2:3]
.LBB871_468:
	s_or_b64 exec, exec, s[40:41]
	s_orn2_b64 s[34:35], s[34:35], exec
.LBB871_469:
	s_or_b64 exec, exec, s[38:39]
	v_cndmask_b32_e64 v6, v40, v41, s[34:35]
	v_cndmask_b32_e64 v7, v37, v36, s[34:35]
	v_add_u32_e32 v8, 1, v6
	v_add_u32_e32 v6, -1, v7
	v_min_u32_e32 v6, v8, v6
	v_lshl_add_u32 v6, v6, 3, v33
	ds_read_b64 v[6:7], v6
	v_cndmask_b32_e64 v44, v8, v40, s[34:35]
	v_cndmask_b32_e64 v45, v41, v8, s[34:35]
	v_cmp_lt_u32_e32 vcc, v44, v37
	s_waitcnt lgkmcnt(0)
	v_cndmask_b32_e64 v34, v7, v12, s[34:35]
	v_cndmask_b32_e64 v35, v6, v24, s[34:35]
	v_cndmask_b32_e64 v38, v13, v7, s[34:35]
	v_cndmask_b32_e64 v39, v25, v6, s[34:35]
	s_and_saveexec_b64 s[38:39], vcc
	s_cbranch_execz .LBB871_477
; %bb.470:
	v_cmp_lt_u32_e64 s[36:37], v45, v36
	s_xor_b64 s[2:3], s[10:11], -1
	s_and_b64 s[2:3], s[36:37], s[2:3]
	s_and_saveexec_b64 s[40:41], s[2:3]
	s_cbranch_execz .LBB871_476
; %bb.471:
	v_mul_lo_u32 v8, v34, s20
	v_mul_lo_u32 v9, v35, s21
	v_mad_u64_u32 v[6:7], s[2:3], v35, s20, 0
	v_add3_u32 v7, v7, v9, v8
	v_mul_lo_u32 v40, v38, s20
	v_mul_lo_u32 v41, v39, s21
	v_mad_u64_u32 v[8:9], s[2:3], v39, s20, 0
	v_add3_u32 v9, v9, v41, v40
	v_lshl_add_u64 v[6:7], v[6:7], 2, s[22:23]
	v_lshl_add_u64 v[8:9], v[8:9], 2, s[22:23]
	s_mov_b64 s[42:43], 0
	s_mov_b64 s[48:49], s[20:21]
                                        ; implicit-def: $sgpr44_sgpr45
                                        ; implicit-def: $sgpr46_sgpr47
                                        ; implicit-def: $sgpr2_sgpr3
                                        ; implicit-def: $sgpr50_sgpr51
	s_branch .LBB871_473
.LBB871_472:                            ;   in Loop: Header=BB871_473 Depth=1
	s_or_b64 exec, exec, s[54:55]
	s_and_b64 s[54:55], exec, s[46:47]
	s_or_b64 s[42:43], s[54:55], s[42:43]
	s_andn2_b64 s[50:51], s[50:51], exec
	s_and_b64 s[52:53], s[52:53], exec
	s_or_b64 s[50:51], s[50:51], s[52:53]
	s_andn2_b64 s[44:45], s[44:45], exec
	s_and_b64 s[52:53], s[2:3], exec
	s_or_b64 s[44:45], s[44:45], s[52:53]
	s_andn2_b64 exec, exec, s[42:43]
	s_cbranch_execz .LBB871_475
.LBB871_473:                            ; =>This Inner Loop Header: Depth=1
	global_load_dword v40, v[6:7], off
	global_load_dword v41, v[8:9], off
	s_andn2_b64 s[54:55], s[2:3], exec
	s_or_b64 s[46:47], s[46:47], exec
	s_waitcnt vmcnt(0)
	v_cmp_ngt_f32_e64 s[2:3], v40, v41
	v_cmp_lt_f32_e32 vcc, v40, v41
	s_and_b64 s[52:53], s[2:3], s[50:51]
	s_or_b64 s[52:53], vcc, s[52:53]
	s_xor_b64 s[56:57], vcc, s[2:3]
	s_and_b64 s[2:3], s[52:53], exec
	s_or_b64 s[2:3], s[54:55], s[2:3]
	s_and_saveexec_b64 s[54:55], s[56:57]
	s_cbranch_execz .LBB871_472
; %bb.474:                              ;   in Loop: Header=BB871_473 Depth=1
	s_add_u32 s48, s48, -1
	s_addc_u32 s49, s49, -1
	s_cmp_eq_u64 s[48:49], 0
	s_cselect_b64 s[50:51], -1, 0
	s_andn2_b64 s[46:47], s[46:47], exec
	s_and_b64 s[50:51], s[50:51], exec
	v_lshl_add_u64 v[6:7], v[6:7], 0, 4
	v_lshl_add_u64 v[8:9], v[8:9], 0, 4
	s_andn2_b64 s[2:3], s[2:3], exec
	s_or_b64 s[46:47], s[46:47], s[50:51]
                                        ; implicit-def: $sgpr50_sgpr51
	s_branch .LBB871_472
.LBB871_475:
	s_or_b64 exec, exec, s[42:43]
	s_xor_b64 s[2:3], s[44:45], -1
	s_andn2_b64 s[36:37], s[36:37], exec
	s_and_b64 s[2:3], s[2:3], exec
	s_or_b64 s[36:37], s[36:37], s[2:3]
.LBB871_476:
	s_or_b64 exec, exec, s[40:41]
	s_orn2_b64 s[36:37], s[36:37], exec
.LBB871_477:
	s_or_b64 exec, exec, s[38:39]
	v_cndmask_b32_e64 v6, v44, v45, s[36:37]
	v_cndmask_b32_e64 v7, v37, v36, s[36:37]
	v_add_u32_e32 v8, 1, v6
	v_add_u32_e32 v6, -1, v7
	v_min_u32_e32 v6, v8, v6
	v_lshl_add_u32 v6, v6, 3, v33
	ds_read_b64 v[6:7], v6
	v_cndmask_b32_e64 v46, v8, v44, s[36:37]
	v_cndmask_b32_e64 v50, v45, v8, s[36:37]
	v_cmp_lt_u32_e32 vcc, v46, v37
	s_mov_b64 s[38:39], -1
	s_waitcnt lgkmcnt(0)
	v_cndmask_b32_e64 v40, v7, v34, s[36:37]
	v_cndmask_b32_e64 v41, v6, v35, s[36:37]
	;; [unrolled: 1-line block ×4, first 2 shown]
	s_mov_b64 s[40:41], -1
	s_and_saveexec_b64 s[42:43], vcc
	s_cbranch_execz .LBB871_485
; %bb.478:
	v_cmp_lt_u32_e64 s[40:41], v50, v36
	s_xor_b64 s[2:3], s[10:11], -1
	s_and_b64 s[2:3], s[40:41], s[2:3]
	s_and_saveexec_b64 s[44:45], s[2:3]
	s_cbranch_execz .LBB871_484
; %bb.479:
	v_mul_lo_u32 v8, v40, s20
	v_mul_lo_u32 v9, v41, s21
	v_mad_u64_u32 v[6:7], s[2:3], v41, s20, 0
	v_add3_u32 v7, v7, v9, v8
	v_mul_lo_u32 v44, v42, s20
	v_mul_lo_u32 v45, v43, s21
	v_mad_u64_u32 v[8:9], s[2:3], v43, s20, 0
	v_add3_u32 v9, v9, v45, v44
	v_lshl_add_u64 v[6:7], v[6:7], 2, s[22:23]
	v_lshl_add_u64 v[8:9], v[8:9], 2, s[22:23]
	s_mov_b64 s[46:47], 0
	s_mov_b64 s[52:53], s[20:21]
                                        ; implicit-def: $sgpr48_sgpr49
                                        ; implicit-def: $sgpr50_sgpr51
                                        ; implicit-def: $sgpr2_sgpr3
                                        ; implicit-def: $sgpr54_sgpr55
	s_branch .LBB871_481
.LBB871_480:                            ;   in Loop: Header=BB871_481 Depth=1
	s_or_b64 exec, exec, s[58:59]
	s_and_b64 s[58:59], exec, s[50:51]
	s_or_b64 s[46:47], s[58:59], s[46:47]
	s_andn2_b64 s[54:55], s[54:55], exec
	s_and_b64 s[56:57], s[56:57], exec
	s_or_b64 s[54:55], s[54:55], s[56:57]
	s_andn2_b64 s[48:49], s[48:49], exec
	s_and_b64 s[56:57], s[2:3], exec
	s_or_b64 s[48:49], s[48:49], s[56:57]
	s_andn2_b64 exec, exec, s[46:47]
	s_cbranch_execz .LBB871_483
.LBB871_481:                            ; =>This Inner Loop Header: Depth=1
	global_load_dword v44, v[6:7], off
	global_load_dword v45, v[8:9], off
	s_andn2_b64 s[58:59], s[2:3], exec
	s_or_b64 s[50:51], s[50:51], exec
	s_waitcnt vmcnt(0)
	v_cmp_ngt_f32_e64 s[2:3], v44, v45
	v_cmp_lt_f32_e32 vcc, v44, v45
	s_and_b64 s[56:57], s[2:3], s[54:55]
	s_or_b64 s[56:57], vcc, s[56:57]
	s_xor_b64 s[60:61], vcc, s[2:3]
	s_and_b64 s[2:3], s[56:57], exec
	s_or_b64 s[2:3], s[58:59], s[2:3]
	s_and_saveexec_b64 s[58:59], s[60:61]
	s_cbranch_execz .LBB871_480
; %bb.482:                              ;   in Loop: Header=BB871_481 Depth=1
	s_add_u32 s52, s52, -1
	s_addc_u32 s53, s53, -1
	s_cmp_eq_u64 s[52:53], 0
	s_cselect_b64 s[54:55], -1, 0
	s_andn2_b64 s[50:51], s[50:51], exec
	s_and_b64 s[54:55], s[54:55], exec
	v_lshl_add_u64 v[6:7], v[6:7], 0, 4
	v_lshl_add_u64 v[8:9], v[8:9], 0, 4
	s_andn2_b64 s[2:3], s[2:3], exec
	s_or_b64 s[50:51], s[50:51], s[54:55]
                                        ; implicit-def: $sgpr54_sgpr55
	s_branch .LBB871_480
.LBB871_483:
	s_or_b64 exec, exec, s[46:47]
	s_xor_b64 s[2:3], s[48:49], -1
	s_andn2_b64 s[40:41], s[40:41], exec
	s_and_b64 s[2:3], s[2:3], exec
	s_or_b64 s[40:41], s[40:41], s[2:3]
.LBB871_484:
	s_or_b64 exec, exec, s[44:45]
	s_orn2_b64 s[40:41], s[40:41], exec
.LBB871_485:
	s_or_b64 exec, exec, s[42:43]
	v_cndmask_b32_e64 v6, v46, v50, s[40:41]
	v_cndmask_b32_e64 v7, v37, v36, s[40:41]
	v_add_u32_e32 v8, 1, v6
	v_add_u32_e32 v6, -1, v7
	v_min_u32_e32 v6, v8, v6
	v_lshl_add_u32 v6, v6, 3, v33
	ds_read_b64 v[6:7], v6
	v_cndmask_b32_e64 v47, v8, v46, s[40:41]
	v_cndmask_b32_e64 v46, v50, v8, s[40:41]
	v_cmp_lt_u32_e32 vcc, v47, v37
	s_waitcnt lgkmcnt(0)
	v_cndmask_b32_e64 v44, v7, v40, s[40:41]
	v_cndmask_b32_e64 v45, v6, v41, s[40:41]
	;; [unrolled: 1-line block ×4, first 2 shown]
	s_and_saveexec_b64 s[42:43], vcc
	s_cbranch_execz .LBB871_493
; %bb.486:
	v_cmp_lt_u32_e64 s[38:39], v46, v36
	s_xor_b64 s[2:3], s[10:11], -1
	s_and_b64 s[2:3], s[38:39], s[2:3]
	s_and_saveexec_b64 s[44:45], s[2:3]
	s_cbranch_execz .LBB871_492
; %bb.487:
	v_mul_lo_u32 v8, v44, s20
	v_mul_lo_u32 v9, v45, s21
	v_mad_u64_u32 v[6:7], s[2:3], v45, s20, 0
	v_add3_u32 v7, v7, v9, v8
	v_mul_lo_u32 v50, v48, s20
	v_mul_lo_u32 v51, v49, s21
	v_mad_u64_u32 v[8:9], s[2:3], v49, s20, 0
	v_add3_u32 v9, v9, v51, v50
	v_lshl_add_u64 v[6:7], v[6:7], 2, s[22:23]
	v_lshl_add_u64 v[8:9], v[8:9], 2, s[22:23]
	s_mov_b64 s[46:47], 0
	s_mov_b64 s[52:53], s[20:21]
                                        ; implicit-def: $sgpr48_sgpr49
                                        ; implicit-def: $sgpr50_sgpr51
                                        ; implicit-def: $sgpr2_sgpr3
                                        ; implicit-def: $sgpr54_sgpr55
	s_branch .LBB871_489
.LBB871_488:                            ;   in Loop: Header=BB871_489 Depth=1
	s_or_b64 exec, exec, s[58:59]
	s_and_b64 s[58:59], exec, s[50:51]
	s_or_b64 s[46:47], s[58:59], s[46:47]
	s_andn2_b64 s[54:55], s[54:55], exec
	s_and_b64 s[56:57], s[56:57], exec
	s_or_b64 s[54:55], s[54:55], s[56:57]
	s_andn2_b64 s[48:49], s[48:49], exec
	s_and_b64 s[56:57], s[2:3], exec
	s_or_b64 s[48:49], s[48:49], s[56:57]
	s_andn2_b64 exec, exec, s[46:47]
	s_cbranch_execz .LBB871_491
.LBB871_489:                            ; =>This Inner Loop Header: Depth=1
	global_load_dword v50, v[6:7], off
	global_load_dword v51, v[8:9], off
	s_andn2_b64 s[58:59], s[2:3], exec
	s_or_b64 s[50:51], s[50:51], exec
	s_waitcnt vmcnt(0)
	v_cmp_ngt_f32_e64 s[2:3], v50, v51
	v_cmp_lt_f32_e32 vcc, v50, v51
	s_and_b64 s[56:57], s[2:3], s[54:55]
	s_or_b64 s[56:57], vcc, s[56:57]
	s_xor_b64 s[60:61], vcc, s[2:3]
	s_and_b64 s[2:3], s[56:57], exec
	s_or_b64 s[2:3], s[58:59], s[2:3]
	s_and_saveexec_b64 s[58:59], s[60:61]
	s_cbranch_execz .LBB871_488
; %bb.490:                              ;   in Loop: Header=BB871_489 Depth=1
	s_add_u32 s52, s52, -1
	s_addc_u32 s53, s53, -1
	s_cmp_eq_u64 s[52:53], 0
	s_cselect_b64 s[54:55], -1, 0
	s_andn2_b64 s[50:51], s[50:51], exec
	s_and_b64 s[54:55], s[54:55], exec
	v_lshl_add_u64 v[6:7], v[6:7], 0, 4
	v_lshl_add_u64 v[8:9], v[8:9], 0, 4
	s_andn2_b64 s[2:3], s[2:3], exec
	s_or_b64 s[50:51], s[50:51], s[54:55]
                                        ; implicit-def: $sgpr54_sgpr55
	s_branch .LBB871_488
.LBB871_491:
	s_or_b64 exec, exec, s[46:47]
	s_xor_b64 s[2:3], s[48:49], -1
	s_andn2_b64 s[38:39], s[38:39], exec
	s_and_b64 s[2:3], s[2:3], exec
	s_or_b64 s[38:39], s[38:39], s[2:3]
.LBB871_492:
	s_or_b64 exec, exec, s[44:45]
	s_orn2_b64 s[38:39], s[38:39], exec
.LBB871_493:
	s_or_b64 exec, exec, s[42:43]
	v_cndmask_b32_e64 v11, v10, v11, s[30:31]
	v_cndmask_b32_e64 v10, v17, v23, s[30:31]
	;; [unrolled: 1-line block ×8, first 2 shown]
	v_add_u32_e32 v24, 1, v14
	v_add_u32_e32 v14, -1, v15
	v_min_u32_e32 v14, v24, v14
	v_lshl_add_u32 v14, v14, 3, v33
	ds_read_b64 v[22:23], v14
	v_cndmask_b32_e64 v25, v24, v47, s[38:39]
	v_cndmask_b32_e64 v9, v40, v42, s[40:41]
	v_cndmask_b32_e64 v8, v41, v43, s[40:41]
	v_cndmask_b32_e64 v7, v34, v38, s[36:37]
	v_cndmask_b32_e64 v6, v35, v39, s[36:37]
	v_cndmask_b32_e64 v15, v5, v3, s[4:5]
	v_cndmask_b32_e64 v14, v4, v2, s[4:5]
	v_cndmask_b32_e64 v3, v44, v48, s[38:39]
	v_cndmask_b32_e64 v2, v45, v49, s[38:39]
	s_waitcnt lgkmcnt(0)
	v_cndmask_b32_e64 v5, v48, v23, s[38:39]
	v_cndmask_b32_e64 v4, v49, v22, s[38:39]
	v_cmp_lt_u32_e32 vcc, v25, v37
	s_and_saveexec_b64 s[4:5], vcc
	s_cbranch_execz .LBB871_501
; %bb.494:
	v_cndmask_b32_e64 v34, v22, v45, s[38:39]
	v_cndmask_b32_e64 v22, v46, v24, s[38:39]
	;; [unrolled: 1-line block ×3, first 2 shown]
	v_cmp_ge_u32_e32 vcc, v22, v36
	s_nor_b64 s[2:3], vcc, s[10:11]
	s_nop 0
	v_cndmask_b32_e32 v23, v5, v33, vcc
	v_cndmask_b32_e32 v22, v4, v34, vcc
	s_and_saveexec_b64 s[26:27], s[2:3]
	s_cbranch_execz .LBB871_500
; %bb.495:
	v_mul_lo_u32 v24, v33, s20
	v_mul_lo_u32 v25, v34, s21
	v_mad_u64_u32 v[22:23], s[2:3], v34, s20, 0
	v_add3_u32 v23, v23, v25, v24
	v_mul_lo_u32 v35, v5, s20
	v_mul_lo_u32 v36, v4, s21
	v_mad_u64_u32 v[24:25], s[2:3], v4, s20, 0
	v_add3_u32 v25, v25, v36, v35
	v_lshl_add_u64 v[22:23], v[22:23], 2, s[22:23]
	v_lshl_add_u64 v[24:25], v[24:25], 2, s[22:23]
	s_mov_b64 s[30:31], 0
	s_mov_b64 s[38:39], s[20:21]
                                        ; implicit-def: $sgpr34_sgpr35
                                        ; implicit-def: $sgpr36_sgpr37
                                        ; implicit-def: $sgpr2_sgpr3
                                        ; implicit-def: $sgpr40_sgpr41
	s_branch .LBB871_497
.LBB871_496:                            ;   in Loop: Header=BB871_497 Depth=1
	s_or_b64 exec, exec, s[44:45]
	s_and_b64 s[44:45], exec, s[36:37]
	s_or_b64 s[30:31], s[44:45], s[30:31]
	s_andn2_b64 s[40:41], s[40:41], exec
	s_and_b64 s[42:43], s[42:43], exec
	s_or_b64 s[40:41], s[40:41], s[42:43]
	s_andn2_b64 s[34:35], s[34:35], exec
	s_and_b64 s[42:43], s[2:3], exec
	s_or_b64 s[34:35], s[34:35], s[42:43]
	s_andn2_b64 exec, exec, s[30:31]
	s_cbranch_execz .LBB871_499
.LBB871_497:                            ; =>This Inner Loop Header: Depth=1
	global_load_dword v35, v[22:23], off
	global_load_dword v36, v[24:25], off
	s_andn2_b64 s[44:45], s[2:3], exec
	s_or_b64 s[36:37], s[36:37], exec
	s_waitcnt vmcnt(0)
	v_cmp_ngt_f32_e64 s[2:3], v35, v36
	v_cmp_lt_f32_e32 vcc, v35, v36
	s_and_b64 s[42:43], s[2:3], s[40:41]
	s_or_b64 s[42:43], vcc, s[42:43]
	s_xor_b64 s[46:47], vcc, s[2:3]
	s_and_b64 s[2:3], s[42:43], exec
	s_or_b64 s[2:3], s[44:45], s[2:3]
	s_and_saveexec_b64 s[44:45], s[46:47]
	s_cbranch_execz .LBB871_496
; %bb.498:                              ;   in Loop: Header=BB871_497 Depth=1
	s_add_u32 s38, s38, -1
	s_addc_u32 s39, s39, -1
	s_cmp_eq_u64 s[38:39], 0
	s_cselect_b64 s[40:41], -1, 0
	s_andn2_b64 s[36:37], s[36:37], exec
	s_and_b64 s[40:41], s[40:41], exec
	v_lshl_add_u64 v[22:23], v[22:23], 0, 4
	v_lshl_add_u64 v[24:25], v[24:25], 0, 4
	s_andn2_b64 s[2:3], s[2:3], exec
	s_or_b64 s[36:37], s[36:37], s[40:41]
                                        ; implicit-def: $sgpr40_sgpr41
	s_branch .LBB871_496
.LBB871_499:
	s_or_b64 exec, exec, s[30:31]
	v_cndmask_b32_e64 v23, v5, v33, s[34:35]
	v_cndmask_b32_e64 v22, v4, v34, s[34:35]
.LBB871_500:
	s_or_b64 exec, exec, s[26:27]
	v_mov_b64_e32 v[4:5], v[22:23]
.LBB871_501:
	s_or_b64 exec, exec, s[4:5]
.LBB871_502:
	s_or_b64 exec, exec, s[12:13]
	v_lshlrev_b32_e32 v33, 3, v20
	s_lshl_b64 s[12:13], s[20:21], 2
	s_movk_i32 s9, 0x80
	; wave barrier
	s_waitcnt lgkmcnt(0)
	s_barrier
.LBB871_503:                            ; =>This Loop Header: Depth=1
                                        ;     Child Loop BB871_507 Depth 2
                                        ;       Child Loop BB871_510 Depth 3
                                        ;     Child Loop BB871_521 Depth 2
                                        ;     Child Loop BB871_528 Depth 2
                                        ;     Child Loop BB871_536 Depth 2
                                        ;     Child Loop BB871_544 Depth 2
                                        ;     Child Loop BB871_552 Depth 2
                                        ;     Child Loop BB871_560 Depth 2
                                        ;     Child Loop BB871_568 Depth 2
                                        ;     Child Loop BB871_576 Depth 2
	s_lshl_b32 s15, s9, 1
	s_sub_i32 s3, 0, s15
	v_and_b32_e32 v38, s3, v20
	v_add_u32_e32 v22, s9, v38
	v_min_u32_e32 v34, 0x800, v22
	s_add_i32 s2, s15, -1
	v_add_u32_e32 v22, s9, v34
	v_min_u32_e32 v35, 0x800, v22
	v_and_b32_e32 v22, s2, v20
	v_min_u32_e32 v39, 0x800, v22
	v_sub_u32_e32 v22, v34, v38
	v_sub_u32_e32 v23, v35, v34
	v_sub_u32_e64 v37, v39, v23 clamp
	v_min_u32_e32 v40, v39, v22
	v_lshlrev_b32_e32 v36, 3, v38
	v_cmp_lt_u32_e32 vcc, v37, v40
	ds_write_b128 v33, v[14:17]
	ds_write_b128 v33, v[10:13] offset:16
	ds_write_b128 v33, v[6:9] offset:32
	;; [unrolled: 1-line block ×3, first 2 shown]
	s_waitcnt lgkmcnt(0)
	s_barrier
	s_and_saveexec_b64 s[4:5], vcc
	s_cbranch_execz .LBB871_513
; %bb.504:                              ;   in Loop: Header=BB871_503 Depth=1
	v_lshlrev_b32_e32 v22, 3, v39
	v_lshl_add_u32 v41, v34, 3, v22
	s_mov_b64 s[26:27], 0
	s_branch .LBB871_507
.LBB871_505:                            ;   in Loop: Header=BB871_507 Depth=2
	s_or_b64 exec, exec, s[34:35]
.LBB871_506:                            ;   in Loop: Header=BB871_507 Depth=2
	v_add_u32_e32 v22, 1, v42
	v_cndmask_b32_e64 v40, v40, v42, s[30:31]
	v_cndmask_b32_e64 v37, v22, v37, s[30:31]
	v_cmp_ge_u32_e32 vcc, v37, v40
	s_or_b64 s[26:27], vcc, s[26:27]
	s_andn2_b64 exec, exec, s[26:27]
	s_cbranch_execz .LBB871_512
.LBB871_507:                            ;   Parent Loop BB871_503 Depth=1
                                        ; =>  This Loop Header: Depth=2
                                        ;       Child Loop BB871_510 Depth 3
	v_add_u32_e32 v22, v40, v37
	v_lshrrev_b32_e32 v42, 1, v22
	s_and_b64 vcc, exec, s[0:1]
	s_mov_b64 s[30:31], 0
	s_cbranch_vccnz .LBB871_506
; %bb.508:                              ;   in Loop: Header=BB871_507 Depth=2
	v_not_b32_e32 v22, v42
	v_lshl_add_u32 v22, v22, 3, v41
	ds_read_b64 v[22:23], v22
	v_lshl_add_u32 v43, v42, 3, v36
	ds_read_b64 v[44:45], v43
	v_mov_b64_e32 v[24:25], s[22:23]
	s_mov_b64 s[34:35], 0
	s_waitcnt lgkmcnt(1)
	v_mul_lo_u32 v43, s12, v23
	v_mul_lo_u32 v46, s13, v22
	v_mad_u64_u32 v[22:23], s[2:3], s12, v22, v[24:25]
	v_add3_u32 v23, v46, v23, v43
	s_waitcnt lgkmcnt(0)
	v_mul_lo_u32 v43, s12, v45
	v_mul_lo_u32 v45, s13, v44
	v_mad_u64_u32 v[24:25], s[2:3], s12, v44, v[24:25]
	v_add3_u32 v25, v45, v25, v43
	s_mov_b64 s[38:39], s[20:21]
                                        ; implicit-def: $sgpr30_sgpr31
                                        ; implicit-def: $sgpr36_sgpr37
                                        ; implicit-def: $sgpr2_sgpr3
                                        ; implicit-def: $sgpr40_sgpr41
	s_branch .LBB871_510
.LBB871_509:                            ;   in Loop: Header=BB871_510 Depth=3
	s_or_b64 exec, exec, s[44:45]
	s_and_b64 s[44:45], exec, s[36:37]
	s_or_b64 s[34:35], s[44:45], s[34:35]
	s_andn2_b64 s[40:41], s[40:41], exec
	s_and_b64 s[42:43], s[42:43], exec
	s_or_b64 s[40:41], s[40:41], s[42:43]
	s_andn2_b64 s[30:31], s[30:31], exec
	s_and_b64 s[42:43], s[2:3], exec
	s_or_b64 s[30:31], s[30:31], s[42:43]
	s_andn2_b64 exec, exec, s[34:35]
	s_cbranch_execz .LBB871_505
.LBB871_510:                            ;   Parent Loop BB871_503 Depth=1
                                        ;     Parent Loop BB871_507 Depth=2
                                        ; =>    This Inner Loop Header: Depth=3
	global_load_dword v43, v[22:23], off
	global_load_dword v44, v[24:25], off
	s_andn2_b64 s[44:45], s[2:3], exec
	s_or_b64 s[36:37], s[36:37], exec
	s_waitcnt vmcnt(0)
	v_cmp_ngt_f32_e64 s[2:3], v43, v44
	v_cmp_lt_f32_e32 vcc, v43, v44
	s_and_b64 s[42:43], s[2:3], s[40:41]
	s_or_b64 s[42:43], vcc, s[42:43]
	s_xor_b64 s[46:47], vcc, s[2:3]
	s_and_b64 s[2:3], s[42:43], exec
	s_or_b64 s[2:3], s[44:45], s[2:3]
	s_and_saveexec_b64 s[44:45], s[46:47]
	s_cbranch_execz .LBB871_509
; %bb.511:                              ;   in Loop: Header=BB871_510 Depth=3
	s_add_u32 s38, s38, -1
	s_addc_u32 s39, s39, -1
	s_cmp_eq_u64 s[38:39], 0
	s_cselect_b64 s[40:41], -1, 0
	s_andn2_b64 s[36:37], s[36:37], exec
	s_and_b64 s[40:41], s[40:41], exec
	v_lshl_add_u64 v[22:23], v[22:23], 0, 4
	v_lshl_add_u64 v[24:25], v[24:25], 0, 4
	s_andn2_b64 s[2:3], s[2:3], exec
	s_or_b64 s[36:37], s[36:37], s[40:41]
                                        ; implicit-def: $sgpr40_sgpr41
	s_branch .LBB871_509
.LBB871_512:                            ;   in Loop: Header=BB871_503 Depth=1
	s_or_b64 exec, exec, s[26:27]
.LBB871_513:                            ;   in Loop: Header=BB871_503 Depth=1
	s_or_b64 exec, exec, s[4:5]
	v_sub_u32_e32 v22, v39, v37
	v_add_u32_e32 v24, v37, v38
	v_add_u32_e32 v25, v22, v34
	v_cmp_le_u32_e32 vcc, v24, v34
	v_cmp_le_u32_e64 s[2:3], v25, v35
	s_or_b64 s[2:3], vcc, s[2:3]
	s_and_saveexec_b64 s[26:27], s[2:3]
	s_cbranch_execz .LBB871_581
; %bb.514:                              ;   in Loop: Header=BB871_503 Depth=1
	v_cmp_ge_u32_e32 vcc, v24, v34
	v_cmp_lt_u32_e64 s[2:3], v24, v34
                                        ; implicit-def: $vgpr2_vgpr3
	s_and_saveexec_b64 s[4:5], s[2:3]
; %bb.515:                              ;   in Loop: Header=BB871_503 Depth=1
	v_lshl_add_u32 v2, v37, 3, v36
	ds_read_b64 v[2:3], v2
; %bb.516:                              ;   in Loop: Header=BB871_503 Depth=1
	s_or_b64 exec, exec, s[4:5]
	v_cmp_ge_u32_e64 s[2:3], v25, v35
	v_cmp_lt_u32_e64 s[4:5], v25, v35
                                        ; implicit-def: $vgpr14_vgpr15
	s_and_saveexec_b64 s[30:31], s[4:5]
; %bb.517:                              ;   in Loop: Header=BB871_503 Depth=1
	v_lshlrev_b32_e32 v4, 3, v25
	ds_read_b64 v[14:15], v4
; %bb.518:                              ;   in Loop: Header=BB871_503 Depth=1
	s_or_b64 exec, exec, s[30:31]
	s_or_b64 s[4:5], vcc, s[2:3]
	s_nor_b64 s[34:35], s[4:5], s[10:11]
	s_xor_b64 s[4:5], vcc, -1
	s_or_b64 s[4:5], s[2:3], s[4:5]
	s_and_saveexec_b64 s[30:31], s[34:35]
	s_cbranch_execz .LBB871_524
; %bb.519:                              ;   in Loop: Header=BB871_503 Depth=1
	v_mov_b64_e32 v[6:7], s[22:23]
	s_waitcnt lgkmcnt(0)
	v_mad_u64_u32 v[4:5], s[2:3], s12, v14, v[6:7]
	v_mul_lo_u32 v8, s12, v15
	v_mul_lo_u32 v9, s13, v14
	v_add3_u32 v5, v9, v5, v8
	v_mad_u64_u32 v[6:7], s[2:3], s12, v2, v[6:7]
	v_mul_lo_u32 v8, s12, v3
	v_mul_lo_u32 v9, s13, v2
	v_add3_u32 v7, v9, v7, v8
	s_mov_b64 s[34:35], 0
	s_mov_b64 s[40:41], s[20:21]
                                        ; implicit-def: $sgpr36_sgpr37
                                        ; implicit-def: $sgpr38_sgpr39
                                        ; implicit-def: $sgpr2_sgpr3
                                        ; implicit-def: $sgpr42_sgpr43
	s_branch .LBB871_521
.LBB871_520:                            ;   in Loop: Header=BB871_521 Depth=2
	s_or_b64 exec, exec, s[46:47]
	s_and_b64 s[46:47], exec, s[38:39]
	s_or_b64 s[34:35], s[46:47], s[34:35]
	s_andn2_b64 s[42:43], s[42:43], exec
	s_and_b64 s[44:45], s[44:45], exec
	s_or_b64 s[42:43], s[42:43], s[44:45]
	s_andn2_b64 s[36:37], s[36:37], exec
	s_and_b64 s[44:45], s[2:3], exec
	s_or_b64 s[36:37], s[36:37], s[44:45]
	s_andn2_b64 exec, exec, s[34:35]
	s_cbranch_execz .LBB871_523
.LBB871_521:                            ;   Parent Loop BB871_503 Depth=1
                                        ; =>  This Inner Loop Header: Depth=2
	global_load_dword v8, v[4:5], off
	global_load_dword v9, v[6:7], off
	s_andn2_b64 s[46:47], s[2:3], exec
	s_or_b64 s[38:39], s[38:39], exec
	s_waitcnt vmcnt(0)
	v_cmp_ngt_f32_e64 s[2:3], v8, v9
	v_cmp_lt_f32_e32 vcc, v8, v9
	s_and_b64 s[44:45], s[2:3], s[42:43]
	s_or_b64 s[44:45], vcc, s[44:45]
	s_xor_b64 s[48:49], vcc, s[2:3]
	s_and_b64 s[2:3], s[44:45], exec
	s_or_b64 s[2:3], s[46:47], s[2:3]
	s_and_saveexec_b64 s[46:47], s[48:49]
	s_cbranch_execz .LBB871_520
; %bb.522:                              ;   in Loop: Header=BB871_521 Depth=2
	s_add_u32 s40, s40, -1
	s_addc_u32 s41, s41, -1
	s_cmp_eq_u64 s[40:41], 0
	s_cselect_b64 s[42:43], -1, 0
	s_andn2_b64 s[38:39], s[38:39], exec
	s_and_b64 s[42:43], s[42:43], exec
	v_lshl_add_u64 v[4:5], v[4:5], 0, 4
	v_lshl_add_u64 v[6:7], v[6:7], 0, 4
	s_andn2_b64 s[2:3], s[2:3], exec
	s_or_b64 s[38:39], s[38:39], s[42:43]
                                        ; implicit-def: $sgpr42_sgpr43
	s_branch .LBB871_520
.LBB871_523:                            ;   in Loop: Header=BB871_503 Depth=1
	s_or_b64 exec, exec, s[34:35]
	s_xor_b64 s[2:3], s[36:37], -1
	s_andn2_b64 s[4:5], s[4:5], exec
	s_and_b64 s[2:3], s[2:3], exec
	s_or_b64 s[4:5], s[4:5], s[2:3]
.LBB871_524:                            ;   in Loop: Header=BB871_503 Depth=1
	s_or_b64 exec, exec, s[30:31]
	v_cndmask_b32_e64 v4, v25, v24, s[4:5]
	v_cndmask_b32_e64 v5, v35, v34, s[4:5]
	v_add_u32_e32 v6, 1, v4
	v_add_u32_e32 v4, -1, v5
	v_min_u32_e32 v4, v6, v4
	v_lshlrev_b32_e32 v4, 3, v4
	ds_read_b64 v[4:5], v4
	v_cndmask_b32_e64 v8, v6, v25, s[4:5]
	v_cndmask_b32_e64 v9, v24, v6, s[4:5]
	v_cmp_lt_u32_e32 vcc, v8, v35
	s_mov_b64 s[34:35], -1
	s_waitcnt lgkmcnt(0)
	v_cndmask_b32_e64 v16, v5, v15, s[4:5]
	v_cndmask_b32_e64 v22, v4, v14, s[4:5]
	;; [unrolled: 1-line block ×4, first 2 shown]
	s_mov_b64 s[30:31], -1
	s_and_saveexec_b64 s[36:37], vcc
	s_cbranch_execz .LBB871_532
; %bb.525:                              ;   in Loop: Header=BB871_503 Depth=1
	v_cmp_lt_u32_e64 s[30:31], v9, v34
	s_xor_b64 s[2:3], s[10:11], -1
	s_and_b64 s[2:3], s[30:31], s[2:3]
	s_and_saveexec_b64 s[38:39], s[2:3]
	s_cbranch_execz .LBB871_531
; %bb.526:                              ;   in Loop: Header=BB871_503 Depth=1
	v_mov_b64_e32 v[6:7], s[22:23]
	v_mad_u64_u32 v[4:5], s[2:3], s12, v22, v[6:7]
	v_mul_lo_u32 v10, s12, v16
	v_mul_lo_u32 v11, s13, v22
	v_add3_u32 v5, v11, v5, v10
	v_mad_u64_u32 v[6:7], s[2:3], s12, v23, v[6:7]
	v_mul_lo_u32 v10, s12, v17
	v_mul_lo_u32 v11, s13, v23
	v_add3_u32 v7, v11, v7, v10
	s_mov_b64 s[40:41], 0
	s_mov_b64 s[46:47], s[20:21]
                                        ; implicit-def: $sgpr42_sgpr43
                                        ; implicit-def: $sgpr44_sgpr45
                                        ; implicit-def: $sgpr2_sgpr3
                                        ; implicit-def: $sgpr48_sgpr49
	s_branch .LBB871_528
.LBB871_527:                            ;   in Loop: Header=BB871_528 Depth=2
	s_or_b64 exec, exec, s[52:53]
	s_and_b64 s[52:53], exec, s[44:45]
	s_or_b64 s[40:41], s[52:53], s[40:41]
	s_andn2_b64 s[48:49], s[48:49], exec
	s_and_b64 s[50:51], s[50:51], exec
	s_or_b64 s[48:49], s[48:49], s[50:51]
	s_andn2_b64 s[42:43], s[42:43], exec
	s_and_b64 s[50:51], s[2:3], exec
	s_or_b64 s[42:43], s[42:43], s[50:51]
	s_andn2_b64 exec, exec, s[40:41]
	s_cbranch_execz .LBB871_530
.LBB871_528:                            ;   Parent Loop BB871_503 Depth=1
                                        ; =>  This Inner Loop Header: Depth=2
	global_load_dword v10, v[4:5], off
	global_load_dword v11, v[6:7], off
	s_andn2_b64 s[52:53], s[2:3], exec
	s_or_b64 s[44:45], s[44:45], exec
	s_waitcnt vmcnt(0)
	v_cmp_ngt_f32_e64 s[2:3], v10, v11
	v_cmp_lt_f32_e32 vcc, v10, v11
	s_and_b64 s[50:51], s[2:3], s[48:49]
	s_or_b64 s[50:51], vcc, s[50:51]
	s_xor_b64 s[54:55], vcc, s[2:3]
	s_and_b64 s[2:3], s[50:51], exec
	s_or_b64 s[2:3], s[52:53], s[2:3]
	s_and_saveexec_b64 s[52:53], s[54:55]
	s_cbranch_execz .LBB871_527
; %bb.529:                              ;   in Loop: Header=BB871_528 Depth=2
	s_add_u32 s46, s46, -1
	s_addc_u32 s47, s47, -1
	s_cmp_eq_u64 s[46:47], 0
	s_cselect_b64 s[48:49], -1, 0
	s_andn2_b64 s[44:45], s[44:45], exec
	s_and_b64 s[48:49], s[48:49], exec
	v_lshl_add_u64 v[4:5], v[4:5], 0, 4
	v_lshl_add_u64 v[6:7], v[6:7], 0, 4
	s_andn2_b64 s[2:3], s[2:3], exec
	s_or_b64 s[44:45], s[44:45], s[48:49]
                                        ; implicit-def: $sgpr48_sgpr49
	s_branch .LBB871_527
.LBB871_530:                            ;   in Loop: Header=BB871_503 Depth=1
	s_or_b64 exec, exec, s[40:41]
	s_xor_b64 s[2:3], s[42:43], -1
	s_andn2_b64 s[30:31], s[30:31], exec
	s_and_b64 s[2:3], s[2:3], exec
	s_or_b64 s[30:31], s[30:31], s[2:3]
.LBB871_531:                            ;   in Loop: Header=BB871_503 Depth=1
	s_or_b64 exec, exec, s[38:39]
	s_orn2_b64 s[30:31], s[30:31], exec
.LBB871_532:                            ;   in Loop: Header=BB871_503 Depth=1
	s_or_b64 exec, exec, s[36:37]
	v_cndmask_b32_e64 v4, v8, v9, s[30:31]
	v_cndmask_b32_e64 v5, v35, v34, s[30:31]
	v_add_u32_e32 v6, 1, v4
	v_add_u32_e32 v4, -1, v5
	v_min_u32_e32 v4, v6, v4
	v_lshlrev_b32_e32 v4, 3, v4
	ds_read_b64 v[4:5], v4
	v_cndmask_b32_e64 v8, v6, v8, s[30:31]
	v_cndmask_b32_e64 v9, v9, v6, s[30:31]
	v_cmp_lt_u32_e32 vcc, v8, v35
	s_waitcnt lgkmcnt(0)
	v_cndmask_b32_e64 v10, v5, v16, s[30:31]
	v_cndmask_b32_e64 v24, v4, v22, s[30:31]
	;; [unrolled: 1-line block ×4, first 2 shown]
	s_and_saveexec_b64 s[36:37], vcc
	s_cbranch_execz .LBB871_540
; %bb.533:                              ;   in Loop: Header=BB871_503 Depth=1
	v_cmp_lt_u32_e64 s[34:35], v9, v34
	s_xor_b64 s[2:3], s[10:11], -1
	s_and_b64 s[2:3], s[34:35], s[2:3]
	s_and_saveexec_b64 s[38:39], s[2:3]
	s_cbranch_execz .LBB871_539
; %bb.534:                              ;   in Loop: Header=BB871_503 Depth=1
	v_mov_b64_e32 v[6:7], s[22:23]
	v_mad_u64_u32 v[4:5], s[2:3], s12, v24, v[6:7]
	v_mul_lo_u32 v12, s12, v10
	v_mul_lo_u32 v13, s13, v24
	v_add3_u32 v5, v13, v5, v12
	v_mad_u64_u32 v[6:7], s[2:3], s12, v25, v[6:7]
	v_mul_lo_u32 v12, s12, v11
	v_mul_lo_u32 v13, s13, v25
	v_add3_u32 v7, v13, v7, v12
	s_mov_b64 s[40:41], 0
	s_mov_b64 s[46:47], s[20:21]
                                        ; implicit-def: $sgpr42_sgpr43
                                        ; implicit-def: $sgpr44_sgpr45
                                        ; implicit-def: $sgpr2_sgpr3
                                        ; implicit-def: $sgpr48_sgpr49
	s_branch .LBB871_536
.LBB871_535:                            ;   in Loop: Header=BB871_536 Depth=2
	s_or_b64 exec, exec, s[52:53]
	s_and_b64 s[52:53], exec, s[44:45]
	s_or_b64 s[40:41], s[52:53], s[40:41]
	s_andn2_b64 s[48:49], s[48:49], exec
	s_and_b64 s[50:51], s[50:51], exec
	s_or_b64 s[48:49], s[48:49], s[50:51]
	s_andn2_b64 s[42:43], s[42:43], exec
	s_and_b64 s[50:51], s[2:3], exec
	s_or_b64 s[42:43], s[42:43], s[50:51]
	s_andn2_b64 exec, exec, s[40:41]
	s_cbranch_execz .LBB871_538
.LBB871_536:                            ;   Parent Loop BB871_503 Depth=1
                                        ; =>  This Inner Loop Header: Depth=2
	global_load_dword v12, v[4:5], off
	global_load_dword v13, v[6:7], off
	s_andn2_b64 s[52:53], s[2:3], exec
	s_or_b64 s[44:45], s[44:45], exec
	s_waitcnt vmcnt(0)
	v_cmp_ngt_f32_e64 s[2:3], v12, v13
	v_cmp_lt_f32_e32 vcc, v12, v13
	s_and_b64 s[50:51], s[2:3], s[48:49]
	s_or_b64 s[50:51], vcc, s[50:51]
	s_xor_b64 s[54:55], vcc, s[2:3]
	s_and_b64 s[2:3], s[50:51], exec
	s_or_b64 s[2:3], s[52:53], s[2:3]
	s_and_saveexec_b64 s[52:53], s[54:55]
	s_cbranch_execz .LBB871_535
; %bb.537:                              ;   in Loop: Header=BB871_536 Depth=2
	s_add_u32 s46, s46, -1
	s_addc_u32 s47, s47, -1
	s_cmp_eq_u64 s[46:47], 0
	s_cselect_b64 s[48:49], -1, 0
	s_andn2_b64 s[44:45], s[44:45], exec
	s_and_b64 s[48:49], s[48:49], exec
	v_lshl_add_u64 v[4:5], v[4:5], 0, 4
	v_lshl_add_u64 v[6:7], v[6:7], 0, 4
	s_andn2_b64 s[2:3], s[2:3], exec
	s_or_b64 s[44:45], s[44:45], s[48:49]
                                        ; implicit-def: $sgpr48_sgpr49
	s_branch .LBB871_535
.LBB871_538:                            ;   in Loop: Header=BB871_503 Depth=1
	s_or_b64 exec, exec, s[40:41]
	s_xor_b64 s[2:3], s[42:43], -1
	s_andn2_b64 s[34:35], s[34:35], exec
	s_and_b64 s[2:3], s[2:3], exec
	s_or_b64 s[34:35], s[34:35], s[2:3]
.LBB871_539:                            ;   in Loop: Header=BB871_503 Depth=1
	s_or_b64 exec, exec, s[38:39]
	s_orn2_b64 s[34:35], s[34:35], exec
.LBB871_540:                            ;   in Loop: Header=BB871_503 Depth=1
	s_or_b64 exec, exec, s[36:37]
	v_cndmask_b32_e64 v4, v8, v9, s[34:35]
	v_cndmask_b32_e64 v5, v35, v34, s[34:35]
	v_add_u32_e32 v6, 1, v4
	v_add_u32_e32 v4, -1, v5
	v_min_u32_e32 v4, v6, v4
	v_lshlrev_b32_e32 v4, 3, v4
	ds_read_b64 v[4:5], v4
	v_cndmask_b32_e64 v8, v6, v8, s[34:35]
	v_cndmask_b32_e64 v9, v9, v6, s[34:35]
	v_cmp_lt_u32_e32 vcc, v8, v35
	s_mov_b64 s[38:39], -1
	s_waitcnt lgkmcnt(0)
	v_cndmask_b32_e64 v12, v5, v10, s[34:35]
	v_cndmask_b32_e64 v36, v4, v24, s[34:35]
	;; [unrolled: 1-line block ×4, first 2 shown]
	s_mov_b64 s[36:37], -1
	s_and_saveexec_b64 s[40:41], vcc
	s_cbranch_execz .LBB871_548
; %bb.541:                              ;   in Loop: Header=BB871_503 Depth=1
	v_cmp_lt_u32_e64 s[36:37], v9, v34
	s_xor_b64 s[2:3], s[10:11], -1
	s_and_b64 s[2:3], s[36:37], s[2:3]
	s_and_saveexec_b64 s[42:43], s[2:3]
	s_cbranch_execz .LBB871_547
; %bb.542:                              ;   in Loop: Header=BB871_503 Depth=1
	v_mov_b64_e32 v[6:7], s[22:23]
	v_mad_u64_u32 v[4:5], s[2:3], s12, v36, v[6:7]
	v_mul_lo_u32 v38, s12, v12
	v_mul_lo_u32 v39, s13, v36
	v_add3_u32 v5, v39, v5, v38
	v_mad_u64_u32 v[6:7], s[2:3], s12, v37, v[6:7]
	v_mul_lo_u32 v38, s12, v13
	v_mul_lo_u32 v39, s13, v37
	v_add3_u32 v7, v39, v7, v38
	s_mov_b64 s[44:45], 0
	s_mov_b64 s[50:51], s[20:21]
                                        ; implicit-def: $sgpr46_sgpr47
                                        ; implicit-def: $sgpr48_sgpr49
                                        ; implicit-def: $sgpr2_sgpr3
                                        ; implicit-def: $sgpr52_sgpr53
	s_branch .LBB871_544
.LBB871_543:                            ;   in Loop: Header=BB871_544 Depth=2
	s_or_b64 exec, exec, s[56:57]
	s_and_b64 s[56:57], exec, s[48:49]
	s_or_b64 s[44:45], s[56:57], s[44:45]
	s_andn2_b64 s[52:53], s[52:53], exec
	s_and_b64 s[54:55], s[54:55], exec
	s_or_b64 s[52:53], s[52:53], s[54:55]
	s_andn2_b64 s[46:47], s[46:47], exec
	s_and_b64 s[54:55], s[2:3], exec
	s_or_b64 s[46:47], s[46:47], s[54:55]
	s_andn2_b64 exec, exec, s[44:45]
	s_cbranch_execz .LBB871_546
.LBB871_544:                            ;   Parent Loop BB871_503 Depth=1
                                        ; =>  This Inner Loop Header: Depth=2
	global_load_dword v38, v[4:5], off
	global_load_dword v39, v[6:7], off
	s_andn2_b64 s[56:57], s[2:3], exec
	s_or_b64 s[48:49], s[48:49], exec
	s_waitcnt vmcnt(0)
	v_cmp_ngt_f32_e64 s[2:3], v38, v39
	v_cmp_lt_f32_e32 vcc, v38, v39
	s_and_b64 s[54:55], s[2:3], s[52:53]
	s_or_b64 s[54:55], vcc, s[54:55]
	s_xor_b64 s[58:59], vcc, s[2:3]
	s_and_b64 s[2:3], s[54:55], exec
	s_or_b64 s[2:3], s[56:57], s[2:3]
	s_and_saveexec_b64 s[56:57], s[58:59]
	s_cbranch_execz .LBB871_543
; %bb.545:                              ;   in Loop: Header=BB871_544 Depth=2
	s_add_u32 s50, s50, -1
	s_addc_u32 s51, s51, -1
	s_cmp_eq_u64 s[50:51], 0
	s_cselect_b64 s[52:53], -1, 0
	s_andn2_b64 s[48:49], s[48:49], exec
	s_and_b64 s[52:53], s[52:53], exec
	v_lshl_add_u64 v[4:5], v[4:5], 0, 4
	v_lshl_add_u64 v[6:7], v[6:7], 0, 4
	s_andn2_b64 s[2:3], s[2:3], exec
	s_or_b64 s[48:49], s[48:49], s[52:53]
                                        ; implicit-def: $sgpr52_sgpr53
	s_branch .LBB871_543
.LBB871_546:                            ;   in Loop: Header=BB871_503 Depth=1
	s_or_b64 exec, exec, s[44:45]
	s_xor_b64 s[2:3], s[46:47], -1
	s_andn2_b64 s[36:37], s[36:37], exec
	s_and_b64 s[2:3], s[2:3], exec
	s_or_b64 s[36:37], s[36:37], s[2:3]
.LBB871_547:                            ;   in Loop: Header=BB871_503 Depth=1
	s_or_b64 exec, exec, s[42:43]
	s_orn2_b64 s[36:37], s[36:37], exec
.LBB871_548:                            ;   in Loop: Header=BB871_503 Depth=1
	s_or_b64 exec, exec, s[40:41]
	v_cndmask_b32_e64 v4, v8, v9, s[36:37]
	v_cndmask_b32_e64 v5, v35, v34, s[36:37]
	v_add_u32_e32 v6, 1, v4
	v_add_u32_e32 v4, -1, v5
	v_min_u32_e32 v4, v6, v4
	v_lshlrev_b32_e32 v4, 3, v4
	ds_read_b64 v[4:5], v4
	v_cndmask_b32_e64 v8, v6, v8, s[36:37]
	v_cndmask_b32_e64 v9, v9, v6, s[36:37]
	v_cmp_lt_u32_e32 vcc, v8, v35
	s_waitcnt lgkmcnt(0)
	v_cndmask_b32_e64 v38, v5, v12, s[36:37]
	v_cndmask_b32_e64 v39, v4, v36, s[36:37]
	;; [unrolled: 1-line block ×4, first 2 shown]
	s_and_saveexec_b64 s[40:41], vcc
	s_cbranch_execz .LBB871_556
; %bb.549:                              ;   in Loop: Header=BB871_503 Depth=1
	v_cmp_lt_u32_e64 s[38:39], v9, v34
	s_xor_b64 s[2:3], s[10:11], -1
	s_and_b64 s[2:3], s[38:39], s[2:3]
	s_and_saveexec_b64 s[42:43], s[2:3]
	s_cbranch_execz .LBB871_555
; %bb.550:                              ;   in Loop: Header=BB871_503 Depth=1
	v_mov_b64_e32 v[6:7], s[22:23]
	v_mad_u64_u32 v[4:5], s[2:3], s12, v39, v[6:7]
	v_mul_lo_u32 v42, s12, v38
	v_mul_lo_u32 v43, s13, v39
	v_add3_u32 v5, v43, v5, v42
	v_mad_u64_u32 v[6:7], s[2:3], s12, v41, v[6:7]
	v_mul_lo_u32 v42, s12, v40
	v_mul_lo_u32 v43, s13, v41
	v_add3_u32 v7, v43, v7, v42
	s_mov_b64 s[44:45], 0
	s_mov_b64 s[50:51], s[20:21]
                                        ; implicit-def: $sgpr46_sgpr47
                                        ; implicit-def: $sgpr48_sgpr49
                                        ; implicit-def: $sgpr2_sgpr3
                                        ; implicit-def: $sgpr52_sgpr53
	s_branch .LBB871_552
.LBB871_551:                            ;   in Loop: Header=BB871_552 Depth=2
	s_or_b64 exec, exec, s[56:57]
	s_and_b64 s[56:57], exec, s[48:49]
	s_or_b64 s[44:45], s[56:57], s[44:45]
	s_andn2_b64 s[52:53], s[52:53], exec
	s_and_b64 s[54:55], s[54:55], exec
	s_or_b64 s[52:53], s[52:53], s[54:55]
	s_andn2_b64 s[46:47], s[46:47], exec
	s_and_b64 s[54:55], s[2:3], exec
	s_or_b64 s[46:47], s[46:47], s[54:55]
	s_andn2_b64 exec, exec, s[44:45]
	s_cbranch_execz .LBB871_554
.LBB871_552:                            ;   Parent Loop BB871_503 Depth=1
                                        ; =>  This Inner Loop Header: Depth=2
	global_load_dword v42, v[4:5], off
	global_load_dword v43, v[6:7], off
	s_andn2_b64 s[56:57], s[2:3], exec
	s_or_b64 s[48:49], s[48:49], exec
	s_waitcnt vmcnt(0)
	v_cmp_ngt_f32_e64 s[2:3], v42, v43
	v_cmp_lt_f32_e32 vcc, v42, v43
	s_and_b64 s[54:55], s[2:3], s[52:53]
	s_or_b64 s[54:55], vcc, s[54:55]
	s_xor_b64 s[58:59], vcc, s[2:3]
	s_and_b64 s[2:3], s[54:55], exec
	s_or_b64 s[2:3], s[56:57], s[2:3]
	s_and_saveexec_b64 s[56:57], s[58:59]
	s_cbranch_execz .LBB871_551
; %bb.553:                              ;   in Loop: Header=BB871_552 Depth=2
	s_add_u32 s50, s50, -1
	s_addc_u32 s51, s51, -1
	s_cmp_eq_u64 s[50:51], 0
	s_cselect_b64 s[52:53], -1, 0
	s_andn2_b64 s[48:49], s[48:49], exec
	s_and_b64 s[52:53], s[52:53], exec
	v_lshl_add_u64 v[4:5], v[4:5], 0, 4
	v_lshl_add_u64 v[6:7], v[6:7], 0, 4
	s_andn2_b64 s[2:3], s[2:3], exec
	s_or_b64 s[48:49], s[48:49], s[52:53]
                                        ; implicit-def: $sgpr52_sgpr53
	s_branch .LBB871_551
.LBB871_554:                            ;   in Loop: Header=BB871_503 Depth=1
	s_or_b64 exec, exec, s[44:45]
	s_xor_b64 s[2:3], s[46:47], -1
	s_andn2_b64 s[38:39], s[38:39], exec
	s_and_b64 s[2:3], s[2:3], exec
	s_or_b64 s[38:39], s[38:39], s[2:3]
.LBB871_555:                            ;   in Loop: Header=BB871_503 Depth=1
	s_or_b64 exec, exec, s[42:43]
	s_orn2_b64 s[38:39], s[38:39], exec
.LBB871_556:                            ;   in Loop: Header=BB871_503 Depth=1
	s_or_b64 exec, exec, s[40:41]
	v_cndmask_b32_e64 v4, v8, v9, s[38:39]
	v_cndmask_b32_e64 v5, v35, v34, s[38:39]
	v_add_u32_e32 v6, 1, v4
	v_add_u32_e32 v4, -1, v5
	v_min_u32_e32 v4, v6, v4
	v_lshlrev_b32_e32 v4, 3, v4
	ds_read_b64 v[4:5], v4
	v_cndmask_b32_e64 v8, v6, v8, s[38:39]
	v_cndmask_b32_e64 v9, v9, v6, s[38:39]
	v_cmp_lt_u32_e32 vcc, v8, v35
	s_mov_b64 s[40:41], -1
	s_waitcnt lgkmcnt(0)
	v_cndmask_b32_e64 v42, v5, v38, s[38:39]
	v_cndmask_b32_e64 v43, v4, v39, s[38:39]
	;; [unrolled: 1-line block ×4, first 2 shown]
	s_mov_b64 s[42:43], -1
	s_and_saveexec_b64 s[44:45], vcc
	s_cbranch_execz .LBB871_564
; %bb.557:                              ;   in Loop: Header=BB871_503 Depth=1
	v_cmp_lt_u32_e64 s[42:43], v9, v34
	s_xor_b64 s[2:3], s[10:11], -1
	s_and_b64 s[2:3], s[42:43], s[2:3]
	s_and_saveexec_b64 s[46:47], s[2:3]
	s_cbranch_execz .LBB871_563
; %bb.558:                              ;   in Loop: Header=BB871_503 Depth=1
	v_mov_b64_e32 v[6:7], s[22:23]
	v_mad_u64_u32 v[4:5], s[2:3], s12, v43, v[6:7]
	v_mul_lo_u32 v46, s12, v42
	v_mul_lo_u32 v47, s13, v43
	v_add3_u32 v5, v47, v5, v46
	v_mad_u64_u32 v[6:7], s[2:3], s12, v45, v[6:7]
	v_mul_lo_u32 v46, s12, v44
	v_mul_lo_u32 v47, s13, v45
	v_add3_u32 v7, v47, v7, v46
	s_mov_b64 s[48:49], 0
	s_mov_b64 s[54:55], s[20:21]
                                        ; implicit-def: $sgpr50_sgpr51
                                        ; implicit-def: $sgpr52_sgpr53
                                        ; implicit-def: $sgpr2_sgpr3
                                        ; implicit-def: $sgpr56_sgpr57
	s_branch .LBB871_560
.LBB871_559:                            ;   in Loop: Header=BB871_560 Depth=2
	s_or_b64 exec, exec, s[60:61]
	s_and_b64 s[60:61], exec, s[52:53]
	s_or_b64 s[48:49], s[60:61], s[48:49]
	s_andn2_b64 s[56:57], s[56:57], exec
	s_and_b64 s[58:59], s[58:59], exec
	s_or_b64 s[56:57], s[56:57], s[58:59]
	s_andn2_b64 s[50:51], s[50:51], exec
	s_and_b64 s[58:59], s[2:3], exec
	s_or_b64 s[50:51], s[50:51], s[58:59]
	s_andn2_b64 exec, exec, s[48:49]
	s_cbranch_execz .LBB871_562
.LBB871_560:                            ;   Parent Loop BB871_503 Depth=1
                                        ; =>  This Inner Loop Header: Depth=2
	global_load_dword v46, v[4:5], off
	global_load_dword v47, v[6:7], off
	s_andn2_b64 s[60:61], s[2:3], exec
	s_or_b64 s[52:53], s[52:53], exec
	s_waitcnt vmcnt(0)
	v_cmp_ngt_f32_e64 s[2:3], v46, v47
	v_cmp_lt_f32_e32 vcc, v46, v47
	s_and_b64 s[58:59], s[2:3], s[56:57]
	s_or_b64 s[58:59], vcc, s[58:59]
	s_xor_b64 s[62:63], vcc, s[2:3]
	s_and_b64 s[2:3], s[58:59], exec
	s_or_b64 s[2:3], s[60:61], s[2:3]
	s_and_saveexec_b64 s[60:61], s[62:63]
	s_cbranch_execz .LBB871_559
; %bb.561:                              ;   in Loop: Header=BB871_560 Depth=2
	s_add_u32 s54, s54, -1
	s_addc_u32 s55, s55, -1
	s_cmp_eq_u64 s[54:55], 0
	s_cselect_b64 s[56:57], -1, 0
	s_andn2_b64 s[52:53], s[52:53], exec
	s_and_b64 s[56:57], s[56:57], exec
	v_lshl_add_u64 v[4:5], v[4:5], 0, 4
	v_lshl_add_u64 v[6:7], v[6:7], 0, 4
	s_andn2_b64 s[2:3], s[2:3], exec
	s_or_b64 s[52:53], s[52:53], s[56:57]
                                        ; implicit-def: $sgpr56_sgpr57
	s_branch .LBB871_559
.LBB871_562:                            ;   in Loop: Header=BB871_503 Depth=1
	s_or_b64 exec, exec, s[48:49]
	s_xor_b64 s[2:3], s[50:51], -1
	s_andn2_b64 s[42:43], s[42:43], exec
	s_and_b64 s[2:3], s[2:3], exec
	s_or_b64 s[42:43], s[42:43], s[2:3]
.LBB871_563:                            ;   in Loop: Header=BB871_503 Depth=1
	s_or_b64 exec, exec, s[46:47]
	s_orn2_b64 s[42:43], s[42:43], exec
.LBB871_564:                            ;   in Loop: Header=BB871_503 Depth=1
	s_or_b64 exec, exec, s[44:45]
	v_cndmask_b32_e64 v4, v8, v9, s[42:43]
	v_cndmask_b32_e64 v5, v35, v34, s[42:43]
	v_add_u32_e32 v6, 1, v4
	v_add_u32_e32 v4, -1, v5
	v_min_u32_e32 v4, v6, v4
	v_lshlrev_b32_e32 v4, 3, v4
	ds_read_b64 v[4:5], v4
	v_cndmask_b32_e64 v50, v6, v8, s[42:43]
	v_cndmask_b32_e64 v8, v9, v6, s[42:43]
	v_cmp_lt_u32_e32 vcc, v50, v35
	s_waitcnt lgkmcnt(0)
	v_cndmask_b32_e64 v46, v5, v42, s[42:43]
	v_cndmask_b32_e64 v47, v4, v43, s[42:43]
	;; [unrolled: 1-line block ×4, first 2 shown]
	s_and_saveexec_b64 s[44:45], vcc
	s_cbranch_execz .LBB871_572
; %bb.565:                              ;   in Loop: Header=BB871_503 Depth=1
	v_cmp_lt_u32_e64 s[40:41], v8, v34
	s_xor_b64 s[2:3], s[10:11], -1
	s_and_b64 s[2:3], s[40:41], s[2:3]
	s_and_saveexec_b64 s[46:47], s[2:3]
	s_cbranch_execz .LBB871_571
; %bb.566:                              ;   in Loop: Header=BB871_503 Depth=1
	v_mov_b64_e32 v[6:7], s[22:23]
	v_mad_u64_u32 v[4:5], s[2:3], s12, v47, v[6:7]
	v_mul_lo_u32 v9, s12, v46
	v_mul_lo_u32 v51, s13, v47
	v_add3_u32 v5, v51, v5, v9
	v_mad_u64_u32 v[6:7], s[2:3], s12, v49, v[6:7]
	v_mul_lo_u32 v9, s12, v48
	v_mul_lo_u32 v51, s13, v49
	v_add3_u32 v7, v51, v7, v9
	s_mov_b64 s[48:49], 0
	s_mov_b64 s[54:55], s[20:21]
                                        ; implicit-def: $sgpr50_sgpr51
                                        ; implicit-def: $sgpr52_sgpr53
                                        ; implicit-def: $sgpr2_sgpr3
                                        ; implicit-def: $sgpr56_sgpr57
	s_branch .LBB871_568
.LBB871_567:                            ;   in Loop: Header=BB871_568 Depth=2
	s_or_b64 exec, exec, s[60:61]
	s_and_b64 s[60:61], exec, s[52:53]
	s_or_b64 s[48:49], s[60:61], s[48:49]
	s_andn2_b64 s[56:57], s[56:57], exec
	s_and_b64 s[58:59], s[58:59], exec
	s_or_b64 s[56:57], s[56:57], s[58:59]
	s_andn2_b64 s[50:51], s[50:51], exec
	s_and_b64 s[58:59], s[2:3], exec
	s_or_b64 s[50:51], s[50:51], s[58:59]
	s_andn2_b64 exec, exec, s[48:49]
	s_cbranch_execz .LBB871_570
.LBB871_568:                            ;   Parent Loop BB871_503 Depth=1
                                        ; =>  This Inner Loop Header: Depth=2
	global_load_dword v9, v[4:5], off
	global_load_dword v51, v[6:7], off
	s_andn2_b64 s[60:61], s[2:3], exec
	s_or_b64 s[52:53], s[52:53], exec
	s_waitcnt vmcnt(0)
	v_cmp_ngt_f32_e64 s[2:3], v9, v51
	v_cmp_lt_f32_e32 vcc, v9, v51
	s_and_b64 s[58:59], s[2:3], s[56:57]
	s_or_b64 s[58:59], vcc, s[58:59]
	s_xor_b64 s[62:63], vcc, s[2:3]
	s_and_b64 s[2:3], s[58:59], exec
	s_or_b64 s[2:3], s[60:61], s[2:3]
	s_and_saveexec_b64 s[60:61], s[62:63]
	s_cbranch_execz .LBB871_567
; %bb.569:                              ;   in Loop: Header=BB871_568 Depth=2
	s_add_u32 s54, s54, -1
	s_addc_u32 s55, s55, -1
	s_cmp_eq_u64 s[54:55], 0
	s_cselect_b64 s[56:57], -1, 0
	s_andn2_b64 s[52:53], s[52:53], exec
	s_and_b64 s[56:57], s[56:57], exec
	v_lshl_add_u64 v[4:5], v[4:5], 0, 4
	v_lshl_add_u64 v[6:7], v[6:7], 0, 4
	s_andn2_b64 s[2:3], s[2:3], exec
	s_or_b64 s[52:53], s[52:53], s[56:57]
                                        ; implicit-def: $sgpr56_sgpr57
	s_branch .LBB871_567
.LBB871_570:                            ;   in Loop: Header=BB871_503 Depth=1
	s_or_b64 exec, exec, s[48:49]
	s_xor_b64 s[2:3], s[50:51], -1
	s_andn2_b64 s[40:41], s[40:41], exec
	s_and_b64 s[2:3], s[2:3], exec
	s_or_b64 s[40:41], s[40:41], s[2:3]
.LBB871_571:                            ;   in Loop: Header=BB871_503 Depth=1
	s_or_b64 exec, exec, s[46:47]
	s_orn2_b64 s[40:41], s[40:41], exec
.LBB871_572:                            ;   in Loop: Header=BB871_503 Depth=1
	s_or_b64 exec, exec, s[44:45]
	v_cndmask_b32_e64 v4, v50, v8, s[40:41]
	v_cndmask_b32_e64 v5, v35, v34, s[40:41]
	v_add_u32_e32 v9, 1, v4
	v_add_u32_e32 v4, -1, v5
	v_min_u32_e32 v4, v9, v4
	v_lshlrev_b32_e32 v4, 3, v4
	ds_read_b64 v[6:7], v4
	v_cndmask_b32_e64 v50, v9, v50, s[40:41]
	v_cmp_lt_u32_e32 vcc, v50, v35
	s_waitcnt lgkmcnt(0)
	v_cndmask_b32_e64 v5, v48, v7, s[40:41]
	v_cndmask_b32_e64 v4, v49, v6, s[40:41]
	s_and_saveexec_b64 s[44:45], vcc
	s_cbranch_execz .LBB871_580
; %bb.573:                              ;   in Loop: Header=BB871_503 Depth=1
	v_cndmask_b32_e64 v50, v6, v47, s[40:41]
	v_cndmask_b32_e64 v6, v8, v9, s[40:41]
	;; [unrolled: 1-line block ×3, first 2 shown]
	v_cmp_ge_u32_e32 vcc, v6, v34
	s_nor_b64 s[2:3], vcc, s[10:11]
	s_nop 0
	v_cndmask_b32_e32 v7, v5, v35, vcc
	v_cndmask_b32_e32 v6, v4, v50, vcc
	s_and_saveexec_b64 s[46:47], s[2:3]
	s_cbranch_execz .LBB871_579
; %bb.574:                              ;   in Loop: Header=BB871_503 Depth=1
	v_mov_b64_e32 v[8:9], s[22:23]
	v_mad_u64_u32 v[6:7], s[2:3], s12, v50, v[8:9]
	v_mul_lo_u32 v34, s12, v35
	v_mul_lo_u32 v51, s13, v50
	v_add3_u32 v7, v51, v7, v34
	v_mad_u64_u32 v[8:9], s[2:3], s12, v4, v[8:9]
	v_mul_lo_u32 v34, s12, v5
	v_mul_lo_u32 v51, s13, v4
	v_add3_u32 v9, v51, v9, v34
	s_mov_b64 s[48:49], 0
	s_mov_b64 s[54:55], s[20:21]
                                        ; implicit-def: $sgpr50_sgpr51
                                        ; implicit-def: $sgpr52_sgpr53
                                        ; implicit-def: $sgpr2_sgpr3
                                        ; implicit-def: $sgpr56_sgpr57
	s_branch .LBB871_576
.LBB871_575:                            ;   in Loop: Header=BB871_576 Depth=2
	s_or_b64 exec, exec, s[60:61]
	s_and_b64 s[60:61], exec, s[52:53]
	s_or_b64 s[48:49], s[60:61], s[48:49]
	s_andn2_b64 s[56:57], s[56:57], exec
	s_and_b64 s[58:59], s[58:59], exec
	s_or_b64 s[56:57], s[56:57], s[58:59]
	s_andn2_b64 s[50:51], s[50:51], exec
	s_and_b64 s[58:59], s[2:3], exec
	s_or_b64 s[50:51], s[50:51], s[58:59]
	s_andn2_b64 exec, exec, s[48:49]
	s_cbranch_execz .LBB871_578
.LBB871_576:                            ;   Parent Loop BB871_503 Depth=1
                                        ; =>  This Inner Loop Header: Depth=2
	global_load_dword v34, v[6:7], off
	global_load_dword v51, v[8:9], off
	s_andn2_b64 s[60:61], s[2:3], exec
	s_or_b64 s[52:53], s[52:53], exec
	s_waitcnt vmcnt(0)
	v_cmp_ngt_f32_e64 s[2:3], v34, v51
	v_cmp_lt_f32_e32 vcc, v34, v51
	s_and_b64 s[58:59], s[2:3], s[56:57]
	s_or_b64 s[58:59], vcc, s[58:59]
	s_xor_b64 s[62:63], vcc, s[2:3]
	s_and_b64 s[2:3], s[58:59], exec
	s_or_b64 s[2:3], s[60:61], s[2:3]
	s_and_saveexec_b64 s[60:61], s[62:63]
	s_cbranch_execz .LBB871_575
; %bb.577:                              ;   in Loop: Header=BB871_576 Depth=2
	s_add_u32 s54, s54, -1
	s_addc_u32 s55, s55, -1
	s_cmp_eq_u64 s[54:55], 0
	s_cselect_b64 s[56:57], -1, 0
	s_andn2_b64 s[52:53], s[52:53], exec
	s_and_b64 s[56:57], s[56:57], exec
	v_lshl_add_u64 v[6:7], v[6:7], 0, 4
	v_lshl_add_u64 v[8:9], v[8:9], 0, 4
	s_andn2_b64 s[2:3], s[2:3], exec
	s_or_b64 s[52:53], s[52:53], s[56:57]
                                        ; implicit-def: $sgpr56_sgpr57
	s_branch .LBB871_575
.LBB871_578:                            ;   in Loop: Header=BB871_503 Depth=1
	s_or_b64 exec, exec, s[48:49]
	v_cndmask_b32_e64 v7, v5, v35, s[50:51]
	v_cndmask_b32_e64 v6, v4, v50, s[50:51]
.LBB871_579:                            ;   in Loop: Header=BB871_503 Depth=1
	s_or_b64 exec, exec, s[46:47]
	v_mov_b64_e32 v[4:5], v[6:7]
.LBB871_580:                            ;   in Loop: Header=BB871_503 Depth=1
	s_or_b64 exec, exec, s[44:45]
	v_cndmask_b32_e64 v9, v42, v44, s[42:43]
	v_cndmask_b32_e64 v8, v43, v45, s[42:43]
	;; [unrolled: 1-line block ×14, first 2 shown]
.LBB871_581:                            ;   in Loop: Header=BB871_503 Depth=1
	s_or_b64 exec, exec, s[26:27]
	s_cmpk_lt_u32 s9, 0x400
	s_barrier
	s_cbranch_scc0 .LBB871_583
; %bb.582:                              ;   in Loop: Header=BB871_503 Depth=1
	s_mov_b32 s9, s15
	s_branch .LBB871_503
.LBB871_583:
	s_barrier
	ds_write2_b64 v32, v[14:15], v[16:17] offset1:1
	ds_write2_b64 v32, v[10:11], v[12:13] offset0:2 offset1:3
	ds_write2_b64 v32, v[6:7], v[8:9] offset0:4 offset1:5
	;; [unrolled: 1-line block ×3, first 2 shown]
	s_waitcnt lgkmcnt(0)
	s_barrier
	ds_read_b64 v[2:3], v1
	ds_read_b64 v[4:5], v21 offset:2048
	ds_read_b64 v[6:7], v26 offset:4096
	;; [unrolled: 1-line block ×7, first 2 shown]
	v_mov_b32_e32 v21, 0
	v_lshl_add_u64 v[22:23], s[24:25], 0, v[20:21]
	s_movk_i32 s0, 0x1000
	s_waitcnt lgkmcnt(7)
	global_store_dwordx2 v20, v[2:3], s[24:25]
	s_waitcnt lgkmcnt(6)
	global_store_dwordx2 v20, v[4:5], s[24:25] offset:2048
	v_add_co_u32_e32 v2, vcc, s0, v22
	s_nop 1
	v_addc_co_u32_e32 v3, vcc, 0, v23, vcc
	s_waitcnt lgkmcnt(5)
	global_store_dwordx2 v[2:3], v[6:7], off
	s_waitcnt lgkmcnt(4)
	global_store_dwordx2 v[2:3], v[8:9], off offset:2048
	v_add_co_u32_e32 v2, vcc, 0x2000, v22
	s_mov_b64 s[26:27], -1
	s_nop 0
	v_addc_co_u32_e32 v3, vcc, 0, v23, vcc
	s_waitcnt lgkmcnt(3)
	global_store_dwordx2 v[2:3], v[10:11], off
	s_waitcnt lgkmcnt(2)
	global_store_dwordx2 v[2:3], v[12:13], off offset:2048
	v_add_co_u32_e32 v2, vcc, 0x3000, v22
	s_nop 1
	v_addc_co_u32_e32 v3, vcc, 0, v23, vcc
	s_waitcnt lgkmcnt(1)
	global_store_dwordx2 v[2:3], v[16:17], off
	s_branch .LBB871_1226
.LBB871_584:
	s_lshl_b64 s[0:1], s[6:7], 11
	s_sub_i32 s33, s8, s0
	v_cmp_gt_u32_e64 s[0:1], s33, v18
	v_lshlrev_b32_e32 v20, 3, v18
                                        ; implicit-def: $vgpr8_vgpr9
	s_and_saveexec_b64 s[2:3], s[0:1]
	s_cbranch_execz .LBB871_586
; %bb.585:
	global_load_dwordx2 v[8:9], v20, s[28:29]
.LBB871_586:
	s_or_b64 exec, exec, s[2:3]
	v_add_u32_e32 v1, 0x100, v18
	v_cmp_gt_u32_e64 s[2:3], s33, v1
                                        ; implicit-def: $vgpr10_vgpr11
	s_and_saveexec_b64 s[4:5], s[2:3]
	s_cbranch_execz .LBB871_588
; %bb.587:
	global_load_dwordx2 v[10:11], v20, s[28:29] offset:2048
.LBB871_588:
	s_or_b64 exec, exec, s[4:5]
	v_add_u32_e32 v2, 0x200, v18
	v_cmp_gt_u32_e64 s[4:5], s33, v2
                                        ; implicit-def: $vgpr12_vgpr13
	s_and_saveexec_b64 s[6:7], s[4:5]
	s_cbranch_execz .LBB871_590
; %bb.589:
	v_lshlrev_b32_e32 v3, 3, v2
	global_load_dwordx2 v[12:13], v3, s[28:29]
.LBB871_590:
	s_or_b64 exec, exec, s[6:7]
	v_add_u32_e32 v3, 0x300, v18
	v_cmp_gt_u32_e64 s[6:7], s33, v3
                                        ; implicit-def: $vgpr14_vgpr15
	s_and_saveexec_b64 s[8:9], s[6:7]
	s_cbranch_execz .LBB871_592
; %bb.591:
	v_lshlrev_b32_e32 v4, 3, v3
	s_waitcnt lgkmcnt(0)
	global_load_dwordx2 v[14:15], v4, s[28:29]
.LBB871_592:
	s_or_b64 exec, exec, s[8:9]
	v_or_b32_e32 v4, 0x400, v18
	v_cmp_gt_u32_e64 s[8:9], s33, v4
                                        ; implicit-def: $vgpr16_vgpr17
	s_and_saveexec_b64 s[10:11], s[8:9]
	s_cbranch_execz .LBB871_594
; %bb.593:
	v_lshlrev_b32_e32 v5, 3, v4
	global_load_dwordx2 v[16:17], v5, s[28:29]
.LBB871_594:
	s_or_b64 exec, exec, s[10:11]
	v_add_u32_e32 v5, 0x500, v18
	v_cmp_gt_u32_e64 s[10:11], s33, v5
                                        ; implicit-def: $vgpr22_vgpr23
	s_and_saveexec_b64 s[12:13], s[10:11]
	s_cbranch_execz .LBB871_596
; %bb.595:
	v_lshlrev_b32_e32 v6, 3, v5
	global_load_dwordx2 v[22:23], v6, s[28:29]
.LBB871_596:
	s_or_b64 exec, exec, s[12:13]
	v_add_u32_e32 v6, 0x600, v18
	v_cmp_gt_u32_e64 s[12:13], s33, v6
                                        ; implicit-def: $vgpr30_vgpr31
	s_and_saveexec_b64 s[26:27], s[12:13]
	s_cbranch_execz .LBB871_598
; %bb.597:
	v_lshlrev_b32_e32 v7, 3, v6
	global_load_dwordx2 v[30:31], v7, s[28:29]
.LBB871_598:
	s_or_b64 exec, exec, s[26:27]
	v_add_u32_e32 v7, 0x700, v18
	v_cmp_gt_u32_e64 s[26:27], s33, v7
                                        ; implicit-def: $vgpr32_vgpr33
	s_and_saveexec_b64 s[30:31], s[26:27]
	s_cbranch_execz .LBB871_600
; %bb.599:
	v_lshlrev_b32_e32 v19, 3, v7
	global_load_dwordx2 v[32:33], v19, s[28:29]
.LBB871_600:
	s_or_b64 exec, exec, s[30:31]
	v_lshrrev_b32_e32 v1, 2, v1
	v_and_b32_e32 v1, 0x1f8, v1
	v_add_u32_e32 v21, v1, v20
	v_lshrrev_b32_e32 v1, 2, v2
	v_and_b32_e32 v1, 0x1f8, v1
	v_add_u32_e32 v24, v1, v20
	;; [unrolled: 3-line block ×6, first 2 shown]
	v_lshrrev_b32_e32 v1, 2, v7
	v_and_b32_e32 v1, 0x3f8, v1
	v_lshrrev_b32_e32 v19, 2, v18
	v_add_u32_e32 v29, v1, v20
	v_lshlrev_b32_e32 v1, 1, v18
	v_and_b32_e32 v19, 0xf8, v19
	v_and_b32_e32 v1, 0x7f8, v1
	v_add_u32_e32 v19, v19, v20
	s_waitcnt vmcnt(0)
	ds_write_b64 v28, v[30:31] offset:12288
	v_lshl_add_u32 v30, v18, 6, v1
	ds_write_b64 v19, v[8:9]
	ds_write_b64 v21, v[10:11] offset:2048
	ds_write_b64 v24, v[12:13] offset:4096
	s_waitcnt lgkmcnt(4)
	ds_write_b64 v25, v[14:15] offset:6144
	ds_write_b64 v26, v[16:17] offset:8192
	;; [unrolled: 1-line block ×4, first 2 shown]
	s_waitcnt lgkmcnt(0)
	s_barrier
	ds_read2_b64 v[14:17], v30 offset1:1
	ds_read2_b64 v[10:13], v30 offset0:2 offset1:3
	ds_read2_b64 v[6:9], v30 offset0:4 offset1:5
	;; [unrolled: 1-line block ×3, first 2 shown]
	s_waitcnt lgkmcnt(0)
	s_barrier
	s_load_dword s15, s[16:17], 0xc
	v_mov_b32_e32 v1, 0
	v_bfe_u32 v22, v0, 10, 10
	v_bfe_u32 v0, v0, 20, 10
	v_cmp_lt_i64_e64 s[28:29], s[20:21], 1
	s_waitcnt lgkmcnt(0)
	s_lshr_b32 s19, s15, 16
	s_cmp_lt_u32 s14, s18
	s_cselect_b32 s14, 12, 18
	s_add_u32 s14, s16, s14
	s_addc_u32 s15, s17, 0
	global_load_ushort v1, v1, s[14:15]
	v_mad_u32_u24 v0, v0, s19, v22
	v_cmp_gt_i64_e64 s[18:19], s[20:21], 0
	s_mov_b64 s[34:35], 0
	s_waitcnt vmcnt(0)
	v_mul_lo_u32 v0, v0, v1
	v_add_lshl_u32 v31, v0, v18, 3
	v_sub_u32_e64 v32, s33, v31 clamp
	v_cmp_lt_u32_e32 vcc, 1, v32
	s_and_b64 s[16:17], vcc, s[18:19]
	s_and_saveexec_b64 s[30:31], s[16:17]
	s_cbranch_execz .LBB871_608
; %bb.601:
	v_mul_lo_u32 v22, v17, s20
	v_mul_lo_u32 v23, v16, s21
	v_mad_u64_u32 v[0:1], s[14:15], v16, s20, 0
	v_add3_u32 v1, v1, v23, v22
	v_mul_lo_u32 v33, v15, s20
	v_mul_lo_u32 v34, v14, s21
	v_mad_u64_u32 v[22:23], s[14:15], v14, s20, 0
	v_add3_u32 v23, v23, v34, v33
	v_lshl_add_u64 v[0:1], v[0:1], 2, s[22:23]
	v_lshl_add_u64 v[22:23], v[22:23], 2, s[22:23]
	s_mov_b64 s[46:47], s[20:21]
                                        ; implicit-def: $sgpr36_sgpr37
                                        ; implicit-def: $sgpr38_sgpr39
                                        ; implicit-def: $sgpr42_sgpr43
                                        ; implicit-def: $sgpr40_sgpr41
                                        ; implicit-def: $sgpr44_sgpr45
	s_branch .LBB871_603
.LBB871_602:                            ;   in Loop: Header=BB871_603 Depth=1
	s_or_b64 exec, exec, s[48:49]
	s_and_b64 s[14:15], s[14:15], s[44:45]
	s_or_b64 s[14:15], vcc, s[14:15]
	s_and_b64 s[48:49], exec, s[42:43]
	s_or_b64 s[34:35], s[48:49], s[34:35]
	s_andn2_b64 s[44:45], s[44:45], exec
	s_and_b64 s[14:15], s[14:15], exec
	s_andn2_b64 s[38:39], s[38:39], exec
	s_and_b64 s[48:49], s[40:41], exec
	s_andn2_b64 s[36:37], s[36:37], exec
	s_or_b64 s[44:45], s[44:45], s[14:15]
	s_or_b64 s[38:39], s[38:39], s[48:49]
	;; [unrolled: 1-line block ×3, first 2 shown]
	s_andn2_b64 exec, exec, s[34:35]
	s_cbranch_execz .LBB871_605
.LBB871_603:                            ; =>This Inner Loop Header: Depth=1
	global_load_dword v33, v[0:1], off
	global_load_dword v34, v[22:23], off
	s_or_b64 s[40:41], s[40:41], exec
	s_or_b64 s[42:43], s[42:43], exec
	s_waitcnt vmcnt(0)
	v_cmp_lt_f32_e32 vcc, v33, v34
	v_cmp_ngt_f32_e64 s[14:15], v33, v34
	s_xor_b64 s[50:51], vcc, s[14:15]
	s_and_saveexec_b64 s[48:49], s[50:51]
	s_cbranch_execz .LBB871_602
; %bb.604:                              ;   in Loop: Header=BB871_603 Depth=1
	s_add_u32 s46, s46, -1
	s_addc_u32 s47, s47, -1
	s_cmp_eq_u64 s[46:47], 0
	s_cselect_b64 s[50:51], -1, 0
	s_andn2_b64 s[42:43], s[42:43], exec
	s_and_b64 s[50:51], s[50:51], exec
	v_lshl_add_u64 v[0:1], v[0:1], 0, 4
	v_lshl_add_u64 v[22:23], v[22:23], 0, 4
	s_andn2_b64 s[40:41], s[40:41], exec
	s_or_b64 s[42:43], s[42:43], s[50:51]
	s_branch .LBB871_602
.LBB871_605:
	s_or_b64 exec, exec, s[34:35]
	s_and_saveexec_b64 s[14:15], s[38:39]
	s_xor_b64 s[14:15], exec, s[14:15]
; %bb.606:
	v_cndmask_b32_e64 v1, v17, v15, s[36:37]
	v_cndmask_b32_e64 v0, v16, v14, s[36:37]
	;; [unrolled: 1-line block ×4, first 2 shown]
	v_mov_b64_e32 v[16:17], v[0:1]
; %bb.607:
	s_or_b64 exec, exec, s[14:15]
.LBB871_608:
	s_or_b64 exec, exec, s[30:31]
	v_cmp_lt_u32_e32 vcc, 3, v32
	s_xor_b64 s[30:31], s[28:29], -1
	s_and_b64 s[34:35], vcc, s[30:31]
	s_and_saveexec_b64 s[36:37], s[34:35]
	s_cbranch_execz .LBB871_616
; %bb.609:
	v_mul_lo_u32 v22, v13, s20
	v_mul_lo_u32 v23, v12, s21
	v_mad_u64_u32 v[0:1], s[14:15], v12, s20, 0
	v_add3_u32 v1, v1, v23, v22
	v_mul_lo_u32 v33, v11, s20
	v_mul_lo_u32 v34, v10, s21
	v_mad_u64_u32 v[22:23], s[14:15], v10, s20, 0
	v_add3_u32 v23, v23, v34, v33
	v_lshl_add_u64 v[0:1], v[0:1], 2, s[22:23]
	v_lshl_add_u64 v[22:23], v[22:23], 2, s[22:23]
	s_mov_b64 s[40:41], 0
	s_mov_b64 s[50:51], s[20:21]
                                        ; implicit-def: $sgpr38_sgpr39
                                        ; implicit-def: $sgpr42_sgpr43
                                        ; implicit-def: $sgpr46_sgpr47
                                        ; implicit-def: $sgpr44_sgpr45
                                        ; implicit-def: $sgpr48_sgpr49
	s_branch .LBB871_611
.LBB871_610:                            ;   in Loop: Header=BB871_611 Depth=1
	s_or_b64 exec, exec, s[52:53]
	s_and_b64 s[14:15], s[14:15], s[48:49]
	s_or_b64 s[14:15], vcc, s[14:15]
	s_and_b64 s[52:53], exec, s[46:47]
	s_or_b64 s[40:41], s[52:53], s[40:41]
	s_andn2_b64 s[48:49], s[48:49], exec
	s_and_b64 s[14:15], s[14:15], exec
	s_andn2_b64 s[42:43], s[42:43], exec
	s_and_b64 s[52:53], s[44:45], exec
	s_andn2_b64 s[38:39], s[38:39], exec
	s_or_b64 s[48:49], s[48:49], s[14:15]
	s_or_b64 s[42:43], s[42:43], s[52:53]
	;; [unrolled: 1-line block ×3, first 2 shown]
	s_andn2_b64 exec, exec, s[40:41]
	s_cbranch_execz .LBB871_613
.LBB871_611:                            ; =>This Inner Loop Header: Depth=1
	global_load_dword v33, v[0:1], off
	global_load_dword v34, v[22:23], off
	s_or_b64 s[44:45], s[44:45], exec
	s_or_b64 s[46:47], s[46:47], exec
	s_waitcnt vmcnt(0)
	v_cmp_lt_f32_e32 vcc, v33, v34
	v_cmp_ngt_f32_e64 s[14:15], v33, v34
	s_xor_b64 s[54:55], vcc, s[14:15]
	s_and_saveexec_b64 s[52:53], s[54:55]
	s_cbranch_execz .LBB871_610
; %bb.612:                              ;   in Loop: Header=BB871_611 Depth=1
	s_add_u32 s50, s50, -1
	s_addc_u32 s51, s51, -1
	s_cmp_eq_u64 s[50:51], 0
	s_cselect_b64 s[54:55], -1, 0
	s_andn2_b64 s[46:47], s[46:47], exec
	s_and_b64 s[54:55], s[54:55], exec
	v_lshl_add_u64 v[0:1], v[0:1], 0, 4
	v_lshl_add_u64 v[22:23], v[22:23], 0, 4
	s_andn2_b64 s[44:45], s[44:45], exec
	s_or_b64 s[46:47], s[46:47], s[54:55]
	s_branch .LBB871_610
.LBB871_613:
	s_or_b64 exec, exec, s[40:41]
	s_and_saveexec_b64 s[14:15], s[42:43]
	s_xor_b64 s[14:15], exec, s[14:15]
; %bb.614:
	v_cndmask_b32_e64 v1, v11, v13, s[38:39]
	v_cndmask_b32_e64 v0, v10, v12, s[38:39]
	;; [unrolled: 1-line block ×4, first 2 shown]
	v_mov_b64_e32 v[10:11], v[0:1]
; %bb.615:
	s_or_b64 exec, exec, s[14:15]
.LBB871_616:
	s_or_b64 exec, exec, s[36:37]
	v_cmp_lt_u32_e32 vcc, 5, v32
	s_and_b64 s[36:37], vcc, s[30:31]
	s_and_saveexec_b64 s[38:39], s[36:37]
	s_cbranch_execz .LBB871_624
; %bb.617:
	v_mul_lo_u32 v22, v9, s20
	v_mul_lo_u32 v23, v8, s21
	v_mad_u64_u32 v[0:1], s[14:15], v8, s20, 0
	v_add3_u32 v1, v1, v23, v22
	v_mul_lo_u32 v33, v7, s20
	v_mul_lo_u32 v34, v6, s21
	v_mad_u64_u32 v[22:23], s[14:15], v6, s20, 0
	v_add3_u32 v23, v23, v34, v33
	v_lshl_add_u64 v[0:1], v[0:1], 2, s[22:23]
	v_lshl_add_u64 v[22:23], v[22:23], 2, s[22:23]
	s_mov_b64 s[42:43], 0
	s_mov_b64 s[52:53], s[20:21]
                                        ; implicit-def: $sgpr40_sgpr41
                                        ; implicit-def: $sgpr44_sgpr45
                                        ; implicit-def: $sgpr48_sgpr49
                                        ; implicit-def: $sgpr46_sgpr47
                                        ; implicit-def: $sgpr50_sgpr51
	s_branch .LBB871_619
.LBB871_618:                            ;   in Loop: Header=BB871_619 Depth=1
	s_or_b64 exec, exec, s[54:55]
	s_and_b64 s[14:15], s[14:15], s[50:51]
	s_or_b64 s[14:15], vcc, s[14:15]
	s_and_b64 s[54:55], exec, s[48:49]
	s_or_b64 s[42:43], s[54:55], s[42:43]
	s_andn2_b64 s[50:51], s[50:51], exec
	s_and_b64 s[14:15], s[14:15], exec
	s_andn2_b64 s[44:45], s[44:45], exec
	s_and_b64 s[54:55], s[46:47], exec
	s_andn2_b64 s[40:41], s[40:41], exec
	s_or_b64 s[50:51], s[50:51], s[14:15]
	s_or_b64 s[44:45], s[44:45], s[54:55]
	;; [unrolled: 1-line block ×3, first 2 shown]
	s_andn2_b64 exec, exec, s[42:43]
	s_cbranch_execz .LBB871_621
.LBB871_619:                            ; =>This Inner Loop Header: Depth=1
	global_load_dword v33, v[0:1], off
	global_load_dword v34, v[22:23], off
	s_or_b64 s[46:47], s[46:47], exec
	s_or_b64 s[48:49], s[48:49], exec
	s_waitcnt vmcnt(0)
	v_cmp_lt_f32_e32 vcc, v33, v34
	v_cmp_ngt_f32_e64 s[14:15], v33, v34
	s_xor_b64 s[56:57], vcc, s[14:15]
	s_and_saveexec_b64 s[54:55], s[56:57]
	s_cbranch_execz .LBB871_618
; %bb.620:                              ;   in Loop: Header=BB871_619 Depth=1
	s_add_u32 s52, s52, -1
	s_addc_u32 s53, s53, -1
	s_cmp_eq_u64 s[52:53], 0
	s_cselect_b64 s[56:57], -1, 0
	s_andn2_b64 s[48:49], s[48:49], exec
	s_and_b64 s[56:57], s[56:57], exec
	v_lshl_add_u64 v[0:1], v[0:1], 0, 4
	v_lshl_add_u64 v[22:23], v[22:23], 0, 4
	s_andn2_b64 s[46:47], s[46:47], exec
	s_or_b64 s[48:49], s[48:49], s[56:57]
	s_branch .LBB871_618
.LBB871_621:
	s_or_b64 exec, exec, s[42:43]
	s_and_saveexec_b64 s[14:15], s[44:45]
	s_xor_b64 s[14:15], exec, s[14:15]
; %bb.622:
	v_cndmask_b32_e64 v1, v7, v9, s[40:41]
	v_cndmask_b32_e64 v0, v6, v8, s[40:41]
	;; [unrolled: 1-line block ×4, first 2 shown]
	v_mov_b64_e32 v[6:7], v[0:1]
; %bb.623:
	s_or_b64 exec, exec, s[14:15]
.LBB871_624:
	s_or_b64 exec, exec, s[38:39]
	v_cmp_lt_u32_e32 vcc, 7, v32
	s_and_b64 s[38:39], vcc, s[30:31]
	s_and_saveexec_b64 s[40:41], s[38:39]
	s_cbranch_execz .LBB871_632
; %bb.625:
	v_mul_lo_u32 v22, v5, s20
	v_mul_lo_u32 v23, v4, s21
	v_mad_u64_u32 v[0:1], s[14:15], v4, s20, 0
	v_add3_u32 v1, v1, v23, v22
	v_mul_lo_u32 v33, v3, s20
	v_mul_lo_u32 v34, v2, s21
	v_mad_u64_u32 v[22:23], s[14:15], v2, s20, 0
	v_add3_u32 v23, v23, v34, v33
	v_lshl_add_u64 v[0:1], v[0:1], 2, s[22:23]
	v_lshl_add_u64 v[22:23], v[22:23], 2, s[22:23]
	s_mov_b64 s[44:45], 0
	s_mov_b64 s[54:55], s[20:21]
                                        ; implicit-def: $sgpr42_sgpr43
                                        ; implicit-def: $sgpr46_sgpr47
                                        ; implicit-def: $sgpr50_sgpr51
                                        ; implicit-def: $sgpr48_sgpr49
                                        ; implicit-def: $sgpr52_sgpr53
	s_branch .LBB871_627
.LBB871_626:                            ;   in Loop: Header=BB871_627 Depth=1
	s_or_b64 exec, exec, s[56:57]
	s_and_b64 s[14:15], s[14:15], s[52:53]
	s_or_b64 s[14:15], vcc, s[14:15]
	s_and_b64 s[56:57], exec, s[50:51]
	s_or_b64 s[44:45], s[56:57], s[44:45]
	s_andn2_b64 s[52:53], s[52:53], exec
	s_and_b64 s[14:15], s[14:15], exec
	s_andn2_b64 s[46:47], s[46:47], exec
	s_and_b64 s[56:57], s[48:49], exec
	s_andn2_b64 s[42:43], s[42:43], exec
	s_or_b64 s[52:53], s[52:53], s[14:15]
	s_or_b64 s[46:47], s[46:47], s[56:57]
	;; [unrolled: 1-line block ×3, first 2 shown]
	s_andn2_b64 exec, exec, s[44:45]
	s_cbranch_execz .LBB871_629
.LBB871_627:                            ; =>This Inner Loop Header: Depth=1
	global_load_dword v33, v[0:1], off
	global_load_dword v34, v[22:23], off
	s_or_b64 s[48:49], s[48:49], exec
	s_or_b64 s[50:51], s[50:51], exec
	s_waitcnt vmcnt(0)
	v_cmp_lt_f32_e32 vcc, v33, v34
	v_cmp_ngt_f32_e64 s[14:15], v33, v34
	s_xor_b64 s[58:59], vcc, s[14:15]
	s_and_saveexec_b64 s[56:57], s[58:59]
	s_cbranch_execz .LBB871_626
; %bb.628:                              ;   in Loop: Header=BB871_627 Depth=1
	s_add_u32 s54, s54, -1
	s_addc_u32 s55, s55, -1
	s_cmp_eq_u64 s[54:55], 0
	s_cselect_b64 s[58:59], -1, 0
	s_andn2_b64 s[50:51], s[50:51], exec
	s_and_b64 s[58:59], s[58:59], exec
	v_lshl_add_u64 v[0:1], v[0:1], 0, 4
	v_lshl_add_u64 v[22:23], v[22:23], 0, 4
	s_andn2_b64 s[48:49], s[48:49], exec
	s_or_b64 s[50:51], s[50:51], s[58:59]
	s_branch .LBB871_626
.LBB871_629:
	s_or_b64 exec, exec, s[44:45]
	s_and_saveexec_b64 s[14:15], s[46:47]
	s_xor_b64 s[14:15], exec, s[14:15]
; %bb.630:
	v_cndmask_b32_e64 v1, v3, v5, s[42:43]
	v_cndmask_b32_e64 v0, v2, v4, s[42:43]
	;; [unrolled: 1-line block ×4, first 2 shown]
	v_mov_b64_e32 v[2:3], v[0:1]
; %bb.631:
	s_or_b64 exec, exec, s[14:15]
.LBB871_632:
	s_or_b64 exec, exec, s[40:41]
	v_cmp_lt_u32_e32 vcc, 2, v32
	s_and_b64 s[40:41], vcc, s[30:31]
	s_and_saveexec_b64 s[14:15], s[40:41]
	s_xor_b64 s[42:43], exec, s[14:15]
	s_cbranch_execz .LBB871_640
; %bb.633:
	v_mul_lo_u32 v22, v11, s20
	v_mul_lo_u32 v23, v10, s21
	v_mad_u64_u32 v[0:1], s[14:15], v10, s20, 0
	v_add3_u32 v1, v1, v23, v22
	v_mul_lo_u32 v33, v17, s20
	v_mul_lo_u32 v34, v16, s21
	v_mad_u64_u32 v[22:23], s[14:15], v16, s20, 0
	v_add3_u32 v23, v23, v34, v33
	v_lshl_add_u64 v[0:1], v[0:1], 2, s[22:23]
	v_lshl_add_u64 v[22:23], v[22:23], 2, s[22:23]
	s_mov_b64 s[46:47], 0
	s_mov_b64 s[56:57], s[20:21]
                                        ; implicit-def: $sgpr44_sgpr45
                                        ; implicit-def: $sgpr48_sgpr49
                                        ; implicit-def: $sgpr52_sgpr53
                                        ; implicit-def: $sgpr50_sgpr51
                                        ; implicit-def: $sgpr54_sgpr55
	s_branch .LBB871_635
.LBB871_634:                            ;   in Loop: Header=BB871_635 Depth=1
	s_or_b64 exec, exec, s[58:59]
	s_and_b64 s[14:15], s[14:15], s[54:55]
	s_or_b64 s[14:15], vcc, s[14:15]
	s_and_b64 s[58:59], exec, s[52:53]
	s_or_b64 s[46:47], s[58:59], s[46:47]
	s_andn2_b64 s[54:55], s[54:55], exec
	s_and_b64 s[14:15], s[14:15], exec
	s_andn2_b64 s[48:49], s[48:49], exec
	s_and_b64 s[58:59], s[50:51], exec
	s_andn2_b64 s[44:45], s[44:45], exec
	s_or_b64 s[54:55], s[54:55], s[14:15]
	s_or_b64 s[48:49], s[48:49], s[58:59]
	;; [unrolled: 1-line block ×3, first 2 shown]
	s_andn2_b64 exec, exec, s[46:47]
	s_cbranch_execz .LBB871_637
.LBB871_635:                            ; =>This Inner Loop Header: Depth=1
	global_load_dword v33, v[0:1], off
	global_load_dword v34, v[22:23], off
	s_or_b64 s[50:51], s[50:51], exec
	s_or_b64 s[52:53], s[52:53], exec
	s_waitcnt vmcnt(0)
	v_cmp_lt_f32_e32 vcc, v33, v34
	v_cmp_ngt_f32_e64 s[14:15], v33, v34
	s_xor_b64 s[60:61], vcc, s[14:15]
	s_and_saveexec_b64 s[58:59], s[60:61]
	s_cbranch_execz .LBB871_634
; %bb.636:                              ;   in Loop: Header=BB871_635 Depth=1
	s_add_u32 s56, s56, -1
	s_addc_u32 s57, s57, -1
	s_cmp_eq_u64 s[56:57], 0
	s_cselect_b64 s[60:61], -1, 0
	s_andn2_b64 s[52:53], s[52:53], exec
	s_and_b64 s[60:61], s[60:61], exec
	v_lshl_add_u64 v[0:1], v[0:1], 0, 4
	v_lshl_add_u64 v[22:23], v[22:23], 0, 4
	s_andn2_b64 s[50:51], s[50:51], exec
	s_or_b64 s[52:53], s[52:53], s[60:61]
	s_branch .LBB871_634
.LBB871_637:
	s_or_b64 exec, exec, s[46:47]
	s_and_saveexec_b64 s[14:15], s[48:49]
	s_xor_b64 s[14:15], exec, s[14:15]
; %bb.638:
	v_cndmask_b32_e64 v1, v17, v11, s[44:45]
	v_cndmask_b32_e64 v0, v16, v10, s[44:45]
	;; [unrolled: 1-line block ×4, first 2 shown]
	v_mov_b64_e32 v[16:17], v[0:1]
; %bb.639:
	s_or_b64 exec, exec, s[14:15]
.LBB871_640:
	s_or_b64 exec, exec, s[42:43]
	v_cmp_lt_u32_e32 vcc, 4, v32
	s_and_b64 s[42:43], vcc, s[30:31]
	s_and_saveexec_b64 s[44:45], s[42:43]
	s_cbranch_execz .LBB871_648
; %bb.641:
	v_mul_lo_u32 v22, v7, s20
	v_mul_lo_u32 v23, v6, s21
	v_mad_u64_u32 v[0:1], s[14:15], v6, s20, 0
	v_add3_u32 v1, v1, v23, v22
	v_mul_lo_u32 v33, v13, s20
	v_mul_lo_u32 v34, v12, s21
	v_mad_u64_u32 v[22:23], s[14:15], v12, s20, 0
	v_add3_u32 v23, v23, v34, v33
	v_lshl_add_u64 v[0:1], v[0:1], 2, s[22:23]
	v_lshl_add_u64 v[22:23], v[22:23], 2, s[22:23]
	s_mov_b64 s[48:49], 0
	s_mov_b64 s[58:59], s[20:21]
                                        ; implicit-def: $sgpr46_sgpr47
                                        ; implicit-def: $sgpr50_sgpr51
                                        ; implicit-def: $sgpr54_sgpr55
                                        ; implicit-def: $sgpr52_sgpr53
                                        ; implicit-def: $sgpr56_sgpr57
	s_branch .LBB871_643
.LBB871_642:                            ;   in Loop: Header=BB871_643 Depth=1
	s_or_b64 exec, exec, s[60:61]
	s_and_b64 s[14:15], s[14:15], s[56:57]
	s_or_b64 s[14:15], vcc, s[14:15]
	s_and_b64 s[60:61], exec, s[54:55]
	s_or_b64 s[48:49], s[60:61], s[48:49]
	s_andn2_b64 s[56:57], s[56:57], exec
	s_and_b64 s[14:15], s[14:15], exec
	s_andn2_b64 s[50:51], s[50:51], exec
	s_and_b64 s[60:61], s[52:53], exec
	s_andn2_b64 s[46:47], s[46:47], exec
	s_or_b64 s[56:57], s[56:57], s[14:15]
	s_or_b64 s[50:51], s[50:51], s[60:61]
	;; [unrolled: 1-line block ×3, first 2 shown]
	s_andn2_b64 exec, exec, s[48:49]
	s_cbranch_execz .LBB871_645
.LBB871_643:                            ; =>This Inner Loop Header: Depth=1
	global_load_dword v33, v[0:1], off
	global_load_dword v34, v[22:23], off
	s_or_b64 s[52:53], s[52:53], exec
	s_or_b64 s[54:55], s[54:55], exec
	s_waitcnt vmcnt(0)
	v_cmp_lt_f32_e32 vcc, v33, v34
	v_cmp_ngt_f32_e64 s[14:15], v33, v34
	s_xor_b64 s[62:63], vcc, s[14:15]
	s_and_saveexec_b64 s[60:61], s[62:63]
	s_cbranch_execz .LBB871_642
; %bb.644:                              ;   in Loop: Header=BB871_643 Depth=1
	s_add_u32 s58, s58, -1
	s_addc_u32 s59, s59, -1
	s_cmp_eq_u64 s[58:59], 0
	s_cselect_b64 s[62:63], -1, 0
	s_andn2_b64 s[54:55], s[54:55], exec
	s_and_b64 s[62:63], s[62:63], exec
	v_lshl_add_u64 v[0:1], v[0:1], 0, 4
	v_lshl_add_u64 v[22:23], v[22:23], 0, 4
	s_andn2_b64 s[52:53], s[52:53], exec
	s_or_b64 s[54:55], s[54:55], s[62:63]
	s_branch .LBB871_642
.LBB871_645:
	s_or_b64 exec, exec, s[48:49]
	s_and_saveexec_b64 s[14:15], s[50:51]
	s_xor_b64 s[14:15], exec, s[14:15]
; %bb.646:
	v_cndmask_b32_e64 v1, v13, v7, s[46:47]
	v_cndmask_b32_e64 v0, v12, v6, s[46:47]
	;; [unrolled: 1-line block ×4, first 2 shown]
	v_mov_b64_e32 v[12:13], v[0:1]
; %bb.647:
	s_or_b64 exec, exec, s[14:15]
.LBB871_648:
	s_or_b64 exec, exec, s[44:45]
	v_cmp_lt_u32_e32 vcc, 6, v32
	s_and_b64 s[44:45], vcc, s[30:31]
	s_and_saveexec_b64 s[46:47], s[44:45]
	s_cbranch_execnz .LBB871_670
; %bb.649:
	s_or_b64 exec, exec, s[46:47]
	s_and_saveexec_b64 s[46:47], s[16:17]
	s_cbranch_execnz .LBB871_677
.LBB871_650:
	s_or_b64 exec, exec, s[46:47]
	s_and_saveexec_b64 s[46:47], s[34:35]
	s_cbranch_execnz .LBB871_684
.LBB871_651:
	s_or_b64 exec, exec, s[46:47]
	s_and_saveexec_b64 s[46:47], s[36:37]
	s_cbranch_execnz .LBB871_691
.LBB871_652:
	s_or_b64 exec, exec, s[46:47]
	s_and_saveexec_b64 s[46:47], s[38:39]
	s_cbranch_execnz .LBB871_698
.LBB871_653:
	s_or_b64 exec, exec, s[46:47]
	s_and_saveexec_b64 s[46:47], s[40:41]
	s_cbranch_execnz .LBB871_705
.LBB871_654:
	s_or_b64 exec, exec, s[46:47]
	s_and_saveexec_b64 s[46:47], s[42:43]
	s_cbranch_execnz .LBB871_712
.LBB871_655:
	s_or_b64 exec, exec, s[46:47]
	s_and_saveexec_b64 s[46:47], s[44:45]
	s_cbranch_execnz .LBB871_719
.LBB871_656:
	s_or_b64 exec, exec, s[46:47]
	s_and_saveexec_b64 s[46:47], s[16:17]
	s_cbranch_execnz .LBB871_726
.LBB871_657:
	s_or_b64 exec, exec, s[46:47]
	s_and_saveexec_b64 s[46:47], s[34:35]
	s_cbranch_execnz .LBB871_733
.LBB871_658:
	s_or_b64 exec, exec, s[46:47]
	s_and_saveexec_b64 s[46:47], s[36:37]
	s_cbranch_execnz .LBB871_740
.LBB871_659:
	s_or_b64 exec, exec, s[46:47]
	s_and_saveexec_b64 s[46:47], s[38:39]
	s_cbranch_execnz .LBB871_747
.LBB871_660:
	s_or_b64 exec, exec, s[46:47]
	s_and_saveexec_b64 s[46:47], s[40:41]
	s_cbranch_execnz .LBB871_754
.LBB871_661:
	s_or_b64 exec, exec, s[46:47]
	s_and_saveexec_b64 s[46:47], s[42:43]
	s_cbranch_execnz .LBB871_761
.LBB871_662:
	s_or_b64 exec, exec, s[46:47]
	s_and_saveexec_b64 s[46:47], s[44:45]
	s_cbranch_execnz .LBB871_768
.LBB871_663:
	s_or_b64 exec, exec, s[46:47]
	s_and_saveexec_b64 s[46:47], s[16:17]
	s_cbranch_execnz .LBB871_775
.LBB871_664:
	s_or_b64 exec, exec, s[46:47]
	s_and_saveexec_b64 s[16:17], s[34:35]
	s_cbranch_execnz .LBB871_782
.LBB871_665:
	s_or_b64 exec, exec, s[16:17]
	s_and_saveexec_b64 s[16:17], s[36:37]
	s_cbranch_execnz .LBB871_789
.LBB871_666:
	s_or_b64 exec, exec, s[16:17]
	s_and_saveexec_b64 s[16:17], s[38:39]
	s_cbranch_execnz .LBB871_796
.LBB871_667:
	s_or_b64 exec, exec, s[16:17]
	s_and_saveexec_b64 s[16:17], s[40:41]
	s_cbranch_execnz .LBB871_803
.LBB871_668:
	s_or_b64 exec, exec, s[16:17]
	s_and_saveexec_b64 s[16:17], s[42:43]
	s_cbranch_execnz .LBB871_810
.LBB871_669:
	s_or_b64 exec, exec, s[16:17]
	s_and_saveexec_b64 s[16:17], s[44:45]
	s_cbranch_execnz .LBB871_817
	s_branch .LBB871_824
.LBB871_670:
	v_mul_lo_u32 v22, v3, s20
	v_mul_lo_u32 v23, v2, s21
	v_mad_u64_u32 v[0:1], s[14:15], v2, s20, 0
	v_add3_u32 v1, v1, v23, v22
	v_mul_lo_u32 v32, v9, s20
	v_mul_lo_u32 v33, v8, s21
	v_mad_u64_u32 v[22:23], s[14:15], v8, s20, 0
	v_add3_u32 v23, v23, v33, v32
	v_lshl_add_u64 v[0:1], v[0:1], 2, s[22:23]
	v_lshl_add_u64 v[22:23], v[22:23], 2, s[22:23]
	s_mov_b64 s[50:51], 0
	s_mov_b64 s[60:61], s[20:21]
                                        ; implicit-def: $sgpr48_sgpr49
                                        ; implicit-def: $sgpr52_sgpr53
                                        ; implicit-def: $sgpr56_sgpr57
                                        ; implicit-def: $sgpr54_sgpr55
                                        ; implicit-def: $sgpr58_sgpr59
	s_branch .LBB871_672
.LBB871_671:                            ;   in Loop: Header=BB871_672 Depth=1
	s_or_b64 exec, exec, s[62:63]
	s_and_b64 s[14:15], s[14:15], s[58:59]
	s_or_b64 s[14:15], vcc, s[14:15]
	s_and_b64 s[62:63], exec, s[56:57]
	s_or_b64 s[50:51], s[62:63], s[50:51]
	s_andn2_b64 s[58:59], s[58:59], exec
	s_and_b64 s[14:15], s[14:15], exec
	s_andn2_b64 s[52:53], s[52:53], exec
	s_and_b64 s[62:63], s[54:55], exec
	s_andn2_b64 s[48:49], s[48:49], exec
	s_or_b64 s[58:59], s[58:59], s[14:15]
	s_or_b64 s[52:53], s[52:53], s[62:63]
	;; [unrolled: 1-line block ×3, first 2 shown]
	s_andn2_b64 exec, exec, s[50:51]
	s_cbranch_execz .LBB871_674
.LBB871_672:                            ; =>This Inner Loop Header: Depth=1
	global_load_dword v32, v[0:1], off
	global_load_dword v33, v[22:23], off
	s_or_b64 s[54:55], s[54:55], exec
	s_or_b64 s[56:57], s[56:57], exec
	s_waitcnt vmcnt(0)
	v_cmp_lt_f32_e32 vcc, v32, v33
	v_cmp_ngt_f32_e64 s[14:15], v32, v33
	s_xor_b64 s[64:65], vcc, s[14:15]
	s_and_saveexec_b64 s[62:63], s[64:65]
	s_cbranch_execz .LBB871_671
; %bb.673:                              ;   in Loop: Header=BB871_672 Depth=1
	s_add_u32 s60, s60, -1
	s_addc_u32 s61, s61, -1
	s_cmp_eq_u64 s[60:61], 0
	s_cselect_b64 s[64:65], -1, 0
	s_andn2_b64 s[56:57], s[56:57], exec
	s_and_b64 s[64:65], s[64:65], exec
	v_lshl_add_u64 v[0:1], v[0:1], 0, 4
	v_lshl_add_u64 v[22:23], v[22:23], 0, 4
	s_andn2_b64 s[54:55], s[54:55], exec
	s_or_b64 s[56:57], s[56:57], s[64:65]
	s_branch .LBB871_671
.LBB871_674:
	s_or_b64 exec, exec, s[50:51]
	s_and_saveexec_b64 s[14:15], s[52:53]
	s_xor_b64 s[14:15], exec, s[14:15]
; %bb.675:
	v_cndmask_b32_e64 v1, v9, v3, s[48:49]
	v_cndmask_b32_e64 v0, v8, v2, s[48:49]
	;; [unrolled: 1-line block ×4, first 2 shown]
	v_mov_b64_e32 v[8:9], v[0:1]
; %bb.676:
	s_or_b64 exec, exec, s[14:15]
	s_or_b64 exec, exec, s[46:47]
	s_and_saveexec_b64 s[46:47], s[16:17]
	s_cbranch_execz .LBB871_650
.LBB871_677:
	v_mul_lo_u32 v22, v17, s20
	v_mul_lo_u32 v23, v16, s21
	v_mad_u64_u32 v[0:1], s[14:15], v16, s20, 0
	v_add3_u32 v1, v1, v23, v22
	v_mul_lo_u32 v32, v15, s20
	v_mul_lo_u32 v33, v14, s21
	v_mad_u64_u32 v[22:23], s[14:15], v14, s20, 0
	v_add3_u32 v23, v23, v33, v32
	v_lshl_add_u64 v[0:1], v[0:1], 2, s[22:23]
	v_lshl_add_u64 v[22:23], v[22:23], 2, s[22:23]
	s_mov_b64 s[50:51], 0
	s_mov_b64 s[60:61], s[20:21]
                                        ; implicit-def: $sgpr48_sgpr49
                                        ; implicit-def: $sgpr52_sgpr53
                                        ; implicit-def: $sgpr56_sgpr57
                                        ; implicit-def: $sgpr54_sgpr55
                                        ; implicit-def: $sgpr58_sgpr59
	s_branch .LBB871_679
.LBB871_678:                            ;   in Loop: Header=BB871_679 Depth=1
	s_or_b64 exec, exec, s[62:63]
	s_and_b64 s[14:15], s[14:15], s[58:59]
	s_or_b64 s[14:15], vcc, s[14:15]
	s_and_b64 s[62:63], exec, s[56:57]
	s_or_b64 s[50:51], s[62:63], s[50:51]
	s_andn2_b64 s[58:59], s[58:59], exec
	s_and_b64 s[14:15], s[14:15], exec
	s_andn2_b64 s[52:53], s[52:53], exec
	s_and_b64 s[62:63], s[54:55], exec
	s_andn2_b64 s[48:49], s[48:49], exec
	s_or_b64 s[58:59], s[58:59], s[14:15]
	s_or_b64 s[52:53], s[52:53], s[62:63]
	;; [unrolled: 1-line block ×3, first 2 shown]
	s_andn2_b64 exec, exec, s[50:51]
	s_cbranch_execz .LBB871_681
.LBB871_679:                            ; =>This Inner Loop Header: Depth=1
	global_load_dword v32, v[0:1], off
	global_load_dword v33, v[22:23], off
	s_or_b64 s[54:55], s[54:55], exec
	s_or_b64 s[56:57], s[56:57], exec
	s_waitcnt vmcnt(0)
	v_cmp_lt_f32_e32 vcc, v32, v33
	v_cmp_ngt_f32_e64 s[14:15], v32, v33
	s_xor_b64 s[64:65], vcc, s[14:15]
	s_and_saveexec_b64 s[62:63], s[64:65]
	s_cbranch_execz .LBB871_678
; %bb.680:                              ;   in Loop: Header=BB871_679 Depth=1
	s_add_u32 s60, s60, -1
	s_addc_u32 s61, s61, -1
	s_cmp_eq_u64 s[60:61], 0
	s_cselect_b64 s[64:65], -1, 0
	s_andn2_b64 s[56:57], s[56:57], exec
	s_and_b64 s[64:65], s[64:65], exec
	v_lshl_add_u64 v[0:1], v[0:1], 0, 4
	v_lshl_add_u64 v[22:23], v[22:23], 0, 4
	s_andn2_b64 s[54:55], s[54:55], exec
	s_or_b64 s[56:57], s[56:57], s[64:65]
	s_branch .LBB871_678
.LBB871_681:
	s_or_b64 exec, exec, s[50:51]
	s_and_saveexec_b64 s[14:15], s[52:53]
	s_xor_b64 s[14:15], exec, s[14:15]
; %bb.682:
	v_cndmask_b32_e64 v1, v17, v15, s[48:49]
	v_cndmask_b32_e64 v0, v16, v14, s[48:49]
	;; [unrolled: 1-line block ×4, first 2 shown]
	v_mov_b64_e32 v[16:17], v[0:1]
; %bb.683:
	s_or_b64 exec, exec, s[14:15]
	s_or_b64 exec, exec, s[46:47]
	s_and_saveexec_b64 s[46:47], s[34:35]
	s_cbranch_execz .LBB871_651
.LBB871_684:
	v_mul_lo_u32 v22, v13, s20
	v_mul_lo_u32 v23, v12, s21
	v_mad_u64_u32 v[0:1], s[14:15], v12, s20, 0
	v_add3_u32 v1, v1, v23, v22
	v_mul_lo_u32 v32, v11, s20
	v_mul_lo_u32 v33, v10, s21
	v_mad_u64_u32 v[22:23], s[14:15], v10, s20, 0
	v_add3_u32 v23, v23, v33, v32
	v_lshl_add_u64 v[0:1], v[0:1], 2, s[22:23]
	v_lshl_add_u64 v[22:23], v[22:23], 2, s[22:23]
	s_mov_b64 s[50:51], 0
	s_mov_b64 s[60:61], s[20:21]
                                        ; implicit-def: $sgpr48_sgpr49
                                        ; implicit-def: $sgpr52_sgpr53
                                        ; implicit-def: $sgpr56_sgpr57
                                        ; implicit-def: $sgpr54_sgpr55
                                        ; implicit-def: $sgpr58_sgpr59
	s_branch .LBB871_686
.LBB871_685:                            ;   in Loop: Header=BB871_686 Depth=1
	s_or_b64 exec, exec, s[62:63]
	s_and_b64 s[14:15], s[14:15], s[58:59]
	s_or_b64 s[14:15], vcc, s[14:15]
	s_and_b64 s[62:63], exec, s[56:57]
	s_or_b64 s[50:51], s[62:63], s[50:51]
	s_andn2_b64 s[58:59], s[58:59], exec
	s_and_b64 s[14:15], s[14:15], exec
	s_andn2_b64 s[52:53], s[52:53], exec
	s_and_b64 s[62:63], s[54:55], exec
	s_andn2_b64 s[48:49], s[48:49], exec
	s_or_b64 s[58:59], s[58:59], s[14:15]
	s_or_b64 s[52:53], s[52:53], s[62:63]
	;; [unrolled: 1-line block ×3, first 2 shown]
	s_andn2_b64 exec, exec, s[50:51]
	s_cbranch_execz .LBB871_688
.LBB871_686:                            ; =>This Inner Loop Header: Depth=1
	global_load_dword v32, v[0:1], off
	global_load_dword v33, v[22:23], off
	s_or_b64 s[54:55], s[54:55], exec
	s_or_b64 s[56:57], s[56:57], exec
	s_waitcnt vmcnt(0)
	v_cmp_lt_f32_e32 vcc, v32, v33
	v_cmp_ngt_f32_e64 s[14:15], v32, v33
	s_xor_b64 s[64:65], vcc, s[14:15]
	s_and_saveexec_b64 s[62:63], s[64:65]
	s_cbranch_execz .LBB871_685
; %bb.687:                              ;   in Loop: Header=BB871_686 Depth=1
	s_add_u32 s60, s60, -1
	s_addc_u32 s61, s61, -1
	s_cmp_eq_u64 s[60:61], 0
	s_cselect_b64 s[64:65], -1, 0
	s_andn2_b64 s[56:57], s[56:57], exec
	s_and_b64 s[64:65], s[64:65], exec
	v_lshl_add_u64 v[0:1], v[0:1], 0, 4
	v_lshl_add_u64 v[22:23], v[22:23], 0, 4
	s_andn2_b64 s[54:55], s[54:55], exec
	s_or_b64 s[56:57], s[56:57], s[64:65]
	s_branch .LBB871_685
.LBB871_688:
	s_or_b64 exec, exec, s[50:51]
	s_and_saveexec_b64 s[14:15], s[52:53]
	s_xor_b64 s[14:15], exec, s[14:15]
; %bb.689:
	v_cndmask_b32_e64 v1, v11, v13, s[48:49]
	v_cndmask_b32_e64 v0, v10, v12, s[48:49]
	;; [unrolled: 1-line block ×4, first 2 shown]
	v_mov_b64_e32 v[10:11], v[0:1]
; %bb.690:
	s_or_b64 exec, exec, s[14:15]
	s_or_b64 exec, exec, s[46:47]
	s_and_saveexec_b64 s[46:47], s[36:37]
	s_cbranch_execz .LBB871_652
.LBB871_691:
	v_mul_lo_u32 v22, v9, s20
	v_mul_lo_u32 v23, v8, s21
	v_mad_u64_u32 v[0:1], s[14:15], v8, s20, 0
	v_add3_u32 v1, v1, v23, v22
	v_mul_lo_u32 v32, v7, s20
	v_mul_lo_u32 v33, v6, s21
	v_mad_u64_u32 v[22:23], s[14:15], v6, s20, 0
	v_add3_u32 v23, v23, v33, v32
	v_lshl_add_u64 v[0:1], v[0:1], 2, s[22:23]
	v_lshl_add_u64 v[22:23], v[22:23], 2, s[22:23]
	s_mov_b64 s[50:51], 0
	s_mov_b64 s[60:61], s[20:21]
                                        ; implicit-def: $sgpr48_sgpr49
                                        ; implicit-def: $sgpr52_sgpr53
                                        ; implicit-def: $sgpr56_sgpr57
                                        ; implicit-def: $sgpr54_sgpr55
                                        ; implicit-def: $sgpr58_sgpr59
	s_branch .LBB871_693
.LBB871_692:                            ;   in Loop: Header=BB871_693 Depth=1
	s_or_b64 exec, exec, s[62:63]
	s_and_b64 s[14:15], s[14:15], s[58:59]
	s_or_b64 s[14:15], vcc, s[14:15]
	s_and_b64 s[62:63], exec, s[56:57]
	s_or_b64 s[50:51], s[62:63], s[50:51]
	s_andn2_b64 s[58:59], s[58:59], exec
	s_and_b64 s[14:15], s[14:15], exec
	s_andn2_b64 s[52:53], s[52:53], exec
	s_and_b64 s[62:63], s[54:55], exec
	s_andn2_b64 s[48:49], s[48:49], exec
	s_or_b64 s[58:59], s[58:59], s[14:15]
	s_or_b64 s[52:53], s[52:53], s[62:63]
	;; [unrolled: 1-line block ×3, first 2 shown]
	s_andn2_b64 exec, exec, s[50:51]
	s_cbranch_execz .LBB871_695
.LBB871_693:                            ; =>This Inner Loop Header: Depth=1
	global_load_dword v32, v[0:1], off
	global_load_dword v33, v[22:23], off
	s_or_b64 s[54:55], s[54:55], exec
	s_or_b64 s[56:57], s[56:57], exec
	s_waitcnt vmcnt(0)
	v_cmp_lt_f32_e32 vcc, v32, v33
	v_cmp_ngt_f32_e64 s[14:15], v32, v33
	s_xor_b64 s[64:65], vcc, s[14:15]
	s_and_saveexec_b64 s[62:63], s[64:65]
	s_cbranch_execz .LBB871_692
; %bb.694:                              ;   in Loop: Header=BB871_693 Depth=1
	s_add_u32 s60, s60, -1
	s_addc_u32 s61, s61, -1
	s_cmp_eq_u64 s[60:61], 0
	s_cselect_b64 s[64:65], -1, 0
	s_andn2_b64 s[56:57], s[56:57], exec
	s_and_b64 s[64:65], s[64:65], exec
	v_lshl_add_u64 v[0:1], v[0:1], 0, 4
	v_lshl_add_u64 v[22:23], v[22:23], 0, 4
	s_andn2_b64 s[54:55], s[54:55], exec
	s_or_b64 s[56:57], s[56:57], s[64:65]
	s_branch .LBB871_692
.LBB871_695:
	s_or_b64 exec, exec, s[50:51]
	s_and_saveexec_b64 s[14:15], s[52:53]
	s_xor_b64 s[14:15], exec, s[14:15]
; %bb.696:
	v_cndmask_b32_e64 v1, v7, v9, s[48:49]
	v_cndmask_b32_e64 v0, v6, v8, s[48:49]
	;; [unrolled: 1-line block ×4, first 2 shown]
	v_mov_b64_e32 v[6:7], v[0:1]
; %bb.697:
	s_or_b64 exec, exec, s[14:15]
	s_or_b64 exec, exec, s[46:47]
	s_and_saveexec_b64 s[46:47], s[38:39]
	s_cbranch_execz .LBB871_653
.LBB871_698:
	v_mul_lo_u32 v22, v5, s20
	v_mul_lo_u32 v23, v4, s21
	v_mad_u64_u32 v[0:1], s[14:15], v4, s20, 0
	v_add3_u32 v1, v1, v23, v22
	v_mul_lo_u32 v32, v3, s20
	v_mul_lo_u32 v33, v2, s21
	v_mad_u64_u32 v[22:23], s[14:15], v2, s20, 0
	v_add3_u32 v23, v23, v33, v32
	v_lshl_add_u64 v[0:1], v[0:1], 2, s[22:23]
	v_lshl_add_u64 v[22:23], v[22:23], 2, s[22:23]
	s_mov_b64 s[50:51], 0
	s_mov_b64 s[60:61], s[20:21]
                                        ; implicit-def: $sgpr48_sgpr49
                                        ; implicit-def: $sgpr52_sgpr53
                                        ; implicit-def: $sgpr56_sgpr57
                                        ; implicit-def: $sgpr54_sgpr55
                                        ; implicit-def: $sgpr58_sgpr59
	s_branch .LBB871_700
.LBB871_699:                            ;   in Loop: Header=BB871_700 Depth=1
	s_or_b64 exec, exec, s[62:63]
	s_and_b64 s[14:15], s[14:15], s[58:59]
	s_or_b64 s[14:15], vcc, s[14:15]
	s_and_b64 s[62:63], exec, s[56:57]
	s_or_b64 s[50:51], s[62:63], s[50:51]
	s_andn2_b64 s[58:59], s[58:59], exec
	s_and_b64 s[14:15], s[14:15], exec
	s_andn2_b64 s[52:53], s[52:53], exec
	s_and_b64 s[62:63], s[54:55], exec
	s_andn2_b64 s[48:49], s[48:49], exec
	s_or_b64 s[58:59], s[58:59], s[14:15]
	s_or_b64 s[52:53], s[52:53], s[62:63]
	;; [unrolled: 1-line block ×3, first 2 shown]
	s_andn2_b64 exec, exec, s[50:51]
	s_cbranch_execz .LBB871_702
.LBB871_700:                            ; =>This Inner Loop Header: Depth=1
	global_load_dword v32, v[0:1], off
	global_load_dword v33, v[22:23], off
	s_or_b64 s[54:55], s[54:55], exec
	s_or_b64 s[56:57], s[56:57], exec
	s_waitcnt vmcnt(0)
	v_cmp_lt_f32_e32 vcc, v32, v33
	v_cmp_ngt_f32_e64 s[14:15], v32, v33
	s_xor_b64 s[64:65], vcc, s[14:15]
	s_and_saveexec_b64 s[62:63], s[64:65]
	s_cbranch_execz .LBB871_699
; %bb.701:                              ;   in Loop: Header=BB871_700 Depth=1
	s_add_u32 s60, s60, -1
	s_addc_u32 s61, s61, -1
	s_cmp_eq_u64 s[60:61], 0
	s_cselect_b64 s[64:65], -1, 0
	s_andn2_b64 s[56:57], s[56:57], exec
	s_and_b64 s[64:65], s[64:65], exec
	v_lshl_add_u64 v[0:1], v[0:1], 0, 4
	v_lshl_add_u64 v[22:23], v[22:23], 0, 4
	s_andn2_b64 s[54:55], s[54:55], exec
	s_or_b64 s[56:57], s[56:57], s[64:65]
	s_branch .LBB871_699
.LBB871_702:
	s_or_b64 exec, exec, s[50:51]
	s_and_saveexec_b64 s[14:15], s[52:53]
	s_xor_b64 s[14:15], exec, s[14:15]
; %bb.703:
	v_cndmask_b32_e64 v1, v3, v5, s[48:49]
	v_cndmask_b32_e64 v0, v2, v4, s[48:49]
	;; [unrolled: 1-line block ×4, first 2 shown]
	v_mov_b64_e32 v[2:3], v[0:1]
; %bb.704:
	s_or_b64 exec, exec, s[14:15]
	s_or_b64 exec, exec, s[46:47]
	s_and_saveexec_b64 s[46:47], s[40:41]
	s_cbranch_execz .LBB871_654
.LBB871_705:
	v_mul_lo_u32 v22, v11, s20
	v_mul_lo_u32 v23, v10, s21
	v_mad_u64_u32 v[0:1], s[14:15], v10, s20, 0
	v_add3_u32 v1, v1, v23, v22
	v_mul_lo_u32 v32, v17, s20
	v_mul_lo_u32 v33, v16, s21
	v_mad_u64_u32 v[22:23], s[14:15], v16, s20, 0
	v_add3_u32 v23, v23, v33, v32
	v_lshl_add_u64 v[0:1], v[0:1], 2, s[22:23]
	v_lshl_add_u64 v[22:23], v[22:23], 2, s[22:23]
	s_mov_b64 s[50:51], 0
	s_mov_b64 s[60:61], s[20:21]
                                        ; implicit-def: $sgpr48_sgpr49
                                        ; implicit-def: $sgpr52_sgpr53
                                        ; implicit-def: $sgpr56_sgpr57
                                        ; implicit-def: $sgpr54_sgpr55
                                        ; implicit-def: $sgpr58_sgpr59
	s_branch .LBB871_707
.LBB871_706:                            ;   in Loop: Header=BB871_707 Depth=1
	s_or_b64 exec, exec, s[62:63]
	s_and_b64 s[14:15], s[14:15], s[58:59]
	s_or_b64 s[14:15], vcc, s[14:15]
	s_and_b64 s[62:63], exec, s[56:57]
	s_or_b64 s[50:51], s[62:63], s[50:51]
	s_andn2_b64 s[58:59], s[58:59], exec
	s_and_b64 s[14:15], s[14:15], exec
	s_andn2_b64 s[52:53], s[52:53], exec
	s_and_b64 s[62:63], s[54:55], exec
	s_andn2_b64 s[48:49], s[48:49], exec
	s_or_b64 s[58:59], s[58:59], s[14:15]
	s_or_b64 s[52:53], s[52:53], s[62:63]
	;; [unrolled: 1-line block ×3, first 2 shown]
	s_andn2_b64 exec, exec, s[50:51]
	s_cbranch_execz .LBB871_709
.LBB871_707:                            ; =>This Inner Loop Header: Depth=1
	global_load_dword v32, v[0:1], off
	global_load_dword v33, v[22:23], off
	s_or_b64 s[54:55], s[54:55], exec
	s_or_b64 s[56:57], s[56:57], exec
	s_waitcnt vmcnt(0)
	v_cmp_lt_f32_e32 vcc, v32, v33
	v_cmp_ngt_f32_e64 s[14:15], v32, v33
	s_xor_b64 s[64:65], vcc, s[14:15]
	s_and_saveexec_b64 s[62:63], s[64:65]
	s_cbranch_execz .LBB871_706
; %bb.708:                              ;   in Loop: Header=BB871_707 Depth=1
	s_add_u32 s60, s60, -1
	s_addc_u32 s61, s61, -1
	s_cmp_eq_u64 s[60:61], 0
	s_cselect_b64 s[64:65], -1, 0
	s_andn2_b64 s[56:57], s[56:57], exec
	s_and_b64 s[64:65], s[64:65], exec
	v_lshl_add_u64 v[0:1], v[0:1], 0, 4
	v_lshl_add_u64 v[22:23], v[22:23], 0, 4
	s_andn2_b64 s[54:55], s[54:55], exec
	s_or_b64 s[56:57], s[56:57], s[64:65]
	s_branch .LBB871_706
.LBB871_709:
	s_or_b64 exec, exec, s[50:51]
	s_and_saveexec_b64 s[14:15], s[52:53]
	s_xor_b64 s[14:15], exec, s[14:15]
; %bb.710:
	v_cndmask_b32_e64 v1, v17, v11, s[48:49]
	v_cndmask_b32_e64 v0, v16, v10, s[48:49]
	;; [unrolled: 1-line block ×4, first 2 shown]
	v_mov_b64_e32 v[16:17], v[0:1]
; %bb.711:
	s_or_b64 exec, exec, s[14:15]
	s_or_b64 exec, exec, s[46:47]
	s_and_saveexec_b64 s[46:47], s[42:43]
	s_cbranch_execz .LBB871_655
.LBB871_712:
	v_mul_lo_u32 v22, v7, s20
	v_mul_lo_u32 v23, v6, s21
	v_mad_u64_u32 v[0:1], s[14:15], v6, s20, 0
	v_add3_u32 v1, v1, v23, v22
	v_mul_lo_u32 v32, v13, s20
	v_mul_lo_u32 v33, v12, s21
	v_mad_u64_u32 v[22:23], s[14:15], v12, s20, 0
	v_add3_u32 v23, v23, v33, v32
	v_lshl_add_u64 v[0:1], v[0:1], 2, s[22:23]
	v_lshl_add_u64 v[22:23], v[22:23], 2, s[22:23]
	s_mov_b64 s[50:51], 0
	s_mov_b64 s[60:61], s[20:21]
                                        ; implicit-def: $sgpr48_sgpr49
                                        ; implicit-def: $sgpr52_sgpr53
                                        ; implicit-def: $sgpr56_sgpr57
                                        ; implicit-def: $sgpr54_sgpr55
                                        ; implicit-def: $sgpr58_sgpr59
	s_branch .LBB871_714
.LBB871_713:                            ;   in Loop: Header=BB871_714 Depth=1
	s_or_b64 exec, exec, s[62:63]
	s_and_b64 s[14:15], s[14:15], s[58:59]
	s_or_b64 s[14:15], vcc, s[14:15]
	s_and_b64 s[62:63], exec, s[56:57]
	s_or_b64 s[50:51], s[62:63], s[50:51]
	s_andn2_b64 s[58:59], s[58:59], exec
	s_and_b64 s[14:15], s[14:15], exec
	s_andn2_b64 s[52:53], s[52:53], exec
	s_and_b64 s[62:63], s[54:55], exec
	s_andn2_b64 s[48:49], s[48:49], exec
	s_or_b64 s[58:59], s[58:59], s[14:15]
	s_or_b64 s[52:53], s[52:53], s[62:63]
	;; [unrolled: 1-line block ×3, first 2 shown]
	s_andn2_b64 exec, exec, s[50:51]
	s_cbranch_execz .LBB871_716
.LBB871_714:                            ; =>This Inner Loop Header: Depth=1
	global_load_dword v32, v[0:1], off
	global_load_dword v33, v[22:23], off
	s_or_b64 s[54:55], s[54:55], exec
	s_or_b64 s[56:57], s[56:57], exec
	s_waitcnt vmcnt(0)
	v_cmp_lt_f32_e32 vcc, v32, v33
	v_cmp_ngt_f32_e64 s[14:15], v32, v33
	s_xor_b64 s[64:65], vcc, s[14:15]
	s_and_saveexec_b64 s[62:63], s[64:65]
	s_cbranch_execz .LBB871_713
; %bb.715:                              ;   in Loop: Header=BB871_714 Depth=1
	s_add_u32 s60, s60, -1
	s_addc_u32 s61, s61, -1
	s_cmp_eq_u64 s[60:61], 0
	s_cselect_b64 s[64:65], -1, 0
	s_andn2_b64 s[56:57], s[56:57], exec
	s_and_b64 s[64:65], s[64:65], exec
	v_lshl_add_u64 v[0:1], v[0:1], 0, 4
	v_lshl_add_u64 v[22:23], v[22:23], 0, 4
	s_andn2_b64 s[54:55], s[54:55], exec
	s_or_b64 s[56:57], s[56:57], s[64:65]
	s_branch .LBB871_713
.LBB871_716:
	s_or_b64 exec, exec, s[50:51]
	s_and_saveexec_b64 s[14:15], s[52:53]
	s_xor_b64 s[14:15], exec, s[14:15]
; %bb.717:
	v_cndmask_b32_e64 v1, v13, v7, s[48:49]
	v_cndmask_b32_e64 v0, v12, v6, s[48:49]
	;; [unrolled: 1-line block ×4, first 2 shown]
	v_mov_b64_e32 v[12:13], v[0:1]
; %bb.718:
	s_or_b64 exec, exec, s[14:15]
	s_or_b64 exec, exec, s[46:47]
	s_and_saveexec_b64 s[46:47], s[44:45]
	s_cbranch_execz .LBB871_656
.LBB871_719:
	v_mul_lo_u32 v22, v3, s20
	v_mul_lo_u32 v23, v2, s21
	v_mad_u64_u32 v[0:1], s[14:15], v2, s20, 0
	v_add3_u32 v1, v1, v23, v22
	v_mul_lo_u32 v32, v9, s20
	v_mul_lo_u32 v33, v8, s21
	v_mad_u64_u32 v[22:23], s[14:15], v8, s20, 0
	v_add3_u32 v23, v23, v33, v32
	v_lshl_add_u64 v[0:1], v[0:1], 2, s[22:23]
	v_lshl_add_u64 v[22:23], v[22:23], 2, s[22:23]
	s_mov_b64 s[50:51], 0
	s_mov_b64 s[60:61], s[20:21]
                                        ; implicit-def: $sgpr48_sgpr49
                                        ; implicit-def: $sgpr52_sgpr53
                                        ; implicit-def: $sgpr56_sgpr57
                                        ; implicit-def: $sgpr54_sgpr55
                                        ; implicit-def: $sgpr58_sgpr59
	s_branch .LBB871_721
.LBB871_720:                            ;   in Loop: Header=BB871_721 Depth=1
	s_or_b64 exec, exec, s[62:63]
	s_and_b64 s[14:15], s[14:15], s[58:59]
	s_or_b64 s[14:15], vcc, s[14:15]
	s_and_b64 s[62:63], exec, s[56:57]
	s_or_b64 s[50:51], s[62:63], s[50:51]
	s_andn2_b64 s[58:59], s[58:59], exec
	s_and_b64 s[14:15], s[14:15], exec
	s_andn2_b64 s[52:53], s[52:53], exec
	s_and_b64 s[62:63], s[54:55], exec
	s_andn2_b64 s[48:49], s[48:49], exec
	s_or_b64 s[58:59], s[58:59], s[14:15]
	s_or_b64 s[52:53], s[52:53], s[62:63]
	;; [unrolled: 1-line block ×3, first 2 shown]
	s_andn2_b64 exec, exec, s[50:51]
	s_cbranch_execz .LBB871_723
.LBB871_721:                            ; =>This Inner Loop Header: Depth=1
	global_load_dword v32, v[0:1], off
	global_load_dword v33, v[22:23], off
	s_or_b64 s[54:55], s[54:55], exec
	s_or_b64 s[56:57], s[56:57], exec
	s_waitcnt vmcnt(0)
	v_cmp_lt_f32_e32 vcc, v32, v33
	v_cmp_ngt_f32_e64 s[14:15], v32, v33
	s_xor_b64 s[64:65], vcc, s[14:15]
	s_and_saveexec_b64 s[62:63], s[64:65]
	s_cbranch_execz .LBB871_720
; %bb.722:                              ;   in Loop: Header=BB871_721 Depth=1
	s_add_u32 s60, s60, -1
	s_addc_u32 s61, s61, -1
	s_cmp_eq_u64 s[60:61], 0
	s_cselect_b64 s[64:65], -1, 0
	s_andn2_b64 s[56:57], s[56:57], exec
	s_and_b64 s[64:65], s[64:65], exec
	v_lshl_add_u64 v[0:1], v[0:1], 0, 4
	v_lshl_add_u64 v[22:23], v[22:23], 0, 4
	s_andn2_b64 s[54:55], s[54:55], exec
	s_or_b64 s[56:57], s[56:57], s[64:65]
	s_branch .LBB871_720
.LBB871_723:
	s_or_b64 exec, exec, s[50:51]
	s_and_saveexec_b64 s[14:15], s[52:53]
	s_xor_b64 s[14:15], exec, s[14:15]
; %bb.724:
	v_cndmask_b32_e64 v1, v9, v3, s[48:49]
	v_cndmask_b32_e64 v0, v8, v2, s[48:49]
	;; [unrolled: 1-line block ×4, first 2 shown]
	v_mov_b64_e32 v[8:9], v[0:1]
; %bb.725:
	s_or_b64 exec, exec, s[14:15]
	s_or_b64 exec, exec, s[46:47]
	s_and_saveexec_b64 s[46:47], s[16:17]
	s_cbranch_execz .LBB871_657
.LBB871_726:
	v_mul_lo_u32 v22, v17, s20
	v_mul_lo_u32 v23, v16, s21
	v_mad_u64_u32 v[0:1], s[14:15], v16, s20, 0
	v_add3_u32 v1, v1, v23, v22
	v_mul_lo_u32 v32, v15, s20
	v_mul_lo_u32 v33, v14, s21
	v_mad_u64_u32 v[22:23], s[14:15], v14, s20, 0
	v_add3_u32 v23, v23, v33, v32
	v_lshl_add_u64 v[0:1], v[0:1], 2, s[22:23]
	v_lshl_add_u64 v[22:23], v[22:23], 2, s[22:23]
	s_mov_b64 s[50:51], 0
	s_mov_b64 s[60:61], s[20:21]
                                        ; implicit-def: $sgpr48_sgpr49
                                        ; implicit-def: $sgpr52_sgpr53
                                        ; implicit-def: $sgpr56_sgpr57
                                        ; implicit-def: $sgpr54_sgpr55
                                        ; implicit-def: $sgpr58_sgpr59
	s_branch .LBB871_728
.LBB871_727:                            ;   in Loop: Header=BB871_728 Depth=1
	s_or_b64 exec, exec, s[62:63]
	s_and_b64 s[14:15], s[14:15], s[58:59]
	s_or_b64 s[14:15], vcc, s[14:15]
	s_and_b64 s[62:63], exec, s[56:57]
	s_or_b64 s[50:51], s[62:63], s[50:51]
	s_andn2_b64 s[58:59], s[58:59], exec
	s_and_b64 s[14:15], s[14:15], exec
	s_andn2_b64 s[52:53], s[52:53], exec
	s_and_b64 s[62:63], s[54:55], exec
	s_andn2_b64 s[48:49], s[48:49], exec
	s_or_b64 s[58:59], s[58:59], s[14:15]
	s_or_b64 s[52:53], s[52:53], s[62:63]
	;; [unrolled: 1-line block ×3, first 2 shown]
	s_andn2_b64 exec, exec, s[50:51]
	s_cbranch_execz .LBB871_730
.LBB871_728:                            ; =>This Inner Loop Header: Depth=1
	global_load_dword v32, v[0:1], off
	global_load_dword v33, v[22:23], off
	s_or_b64 s[54:55], s[54:55], exec
	s_or_b64 s[56:57], s[56:57], exec
	s_waitcnt vmcnt(0)
	v_cmp_lt_f32_e32 vcc, v32, v33
	v_cmp_ngt_f32_e64 s[14:15], v32, v33
	s_xor_b64 s[64:65], vcc, s[14:15]
	s_and_saveexec_b64 s[62:63], s[64:65]
	s_cbranch_execz .LBB871_727
; %bb.729:                              ;   in Loop: Header=BB871_728 Depth=1
	s_add_u32 s60, s60, -1
	s_addc_u32 s61, s61, -1
	s_cmp_eq_u64 s[60:61], 0
	s_cselect_b64 s[64:65], -1, 0
	s_andn2_b64 s[56:57], s[56:57], exec
	s_and_b64 s[64:65], s[64:65], exec
	v_lshl_add_u64 v[0:1], v[0:1], 0, 4
	v_lshl_add_u64 v[22:23], v[22:23], 0, 4
	s_andn2_b64 s[54:55], s[54:55], exec
	s_or_b64 s[56:57], s[56:57], s[64:65]
	s_branch .LBB871_727
.LBB871_730:
	s_or_b64 exec, exec, s[50:51]
	s_and_saveexec_b64 s[14:15], s[52:53]
	s_xor_b64 s[14:15], exec, s[14:15]
; %bb.731:
	v_cndmask_b32_e64 v1, v17, v15, s[48:49]
	v_cndmask_b32_e64 v0, v16, v14, s[48:49]
	;; [unrolled: 1-line block ×4, first 2 shown]
	v_mov_b64_e32 v[16:17], v[0:1]
; %bb.732:
	s_or_b64 exec, exec, s[14:15]
	s_or_b64 exec, exec, s[46:47]
	s_and_saveexec_b64 s[46:47], s[34:35]
	s_cbranch_execz .LBB871_658
.LBB871_733:
	v_mul_lo_u32 v22, v13, s20
	v_mul_lo_u32 v23, v12, s21
	v_mad_u64_u32 v[0:1], s[14:15], v12, s20, 0
	v_add3_u32 v1, v1, v23, v22
	v_mul_lo_u32 v32, v11, s20
	v_mul_lo_u32 v33, v10, s21
	v_mad_u64_u32 v[22:23], s[14:15], v10, s20, 0
	v_add3_u32 v23, v23, v33, v32
	v_lshl_add_u64 v[0:1], v[0:1], 2, s[22:23]
	v_lshl_add_u64 v[22:23], v[22:23], 2, s[22:23]
	s_mov_b64 s[50:51], 0
	s_mov_b64 s[60:61], s[20:21]
                                        ; implicit-def: $sgpr48_sgpr49
                                        ; implicit-def: $sgpr52_sgpr53
                                        ; implicit-def: $sgpr56_sgpr57
                                        ; implicit-def: $sgpr54_sgpr55
                                        ; implicit-def: $sgpr58_sgpr59
	s_branch .LBB871_735
.LBB871_734:                            ;   in Loop: Header=BB871_735 Depth=1
	s_or_b64 exec, exec, s[62:63]
	s_and_b64 s[14:15], s[14:15], s[58:59]
	s_or_b64 s[14:15], vcc, s[14:15]
	s_and_b64 s[62:63], exec, s[56:57]
	s_or_b64 s[50:51], s[62:63], s[50:51]
	s_andn2_b64 s[58:59], s[58:59], exec
	s_and_b64 s[14:15], s[14:15], exec
	s_andn2_b64 s[52:53], s[52:53], exec
	s_and_b64 s[62:63], s[54:55], exec
	s_andn2_b64 s[48:49], s[48:49], exec
	s_or_b64 s[58:59], s[58:59], s[14:15]
	s_or_b64 s[52:53], s[52:53], s[62:63]
	;; [unrolled: 1-line block ×3, first 2 shown]
	s_andn2_b64 exec, exec, s[50:51]
	s_cbranch_execz .LBB871_737
.LBB871_735:                            ; =>This Inner Loop Header: Depth=1
	global_load_dword v32, v[0:1], off
	global_load_dword v33, v[22:23], off
	s_or_b64 s[54:55], s[54:55], exec
	s_or_b64 s[56:57], s[56:57], exec
	s_waitcnt vmcnt(0)
	v_cmp_lt_f32_e32 vcc, v32, v33
	v_cmp_ngt_f32_e64 s[14:15], v32, v33
	s_xor_b64 s[64:65], vcc, s[14:15]
	s_and_saveexec_b64 s[62:63], s[64:65]
	s_cbranch_execz .LBB871_734
; %bb.736:                              ;   in Loop: Header=BB871_735 Depth=1
	s_add_u32 s60, s60, -1
	s_addc_u32 s61, s61, -1
	s_cmp_eq_u64 s[60:61], 0
	s_cselect_b64 s[64:65], -1, 0
	s_andn2_b64 s[56:57], s[56:57], exec
	s_and_b64 s[64:65], s[64:65], exec
	v_lshl_add_u64 v[0:1], v[0:1], 0, 4
	v_lshl_add_u64 v[22:23], v[22:23], 0, 4
	s_andn2_b64 s[54:55], s[54:55], exec
	s_or_b64 s[56:57], s[56:57], s[64:65]
	s_branch .LBB871_734
.LBB871_737:
	s_or_b64 exec, exec, s[50:51]
	s_and_saveexec_b64 s[14:15], s[52:53]
	s_xor_b64 s[14:15], exec, s[14:15]
; %bb.738:
	v_cndmask_b32_e64 v1, v11, v13, s[48:49]
	v_cndmask_b32_e64 v0, v10, v12, s[48:49]
	;; [unrolled: 1-line block ×4, first 2 shown]
	v_mov_b64_e32 v[10:11], v[0:1]
; %bb.739:
	s_or_b64 exec, exec, s[14:15]
	s_or_b64 exec, exec, s[46:47]
	s_and_saveexec_b64 s[46:47], s[36:37]
	s_cbranch_execz .LBB871_659
.LBB871_740:
	v_mul_lo_u32 v22, v9, s20
	v_mul_lo_u32 v23, v8, s21
	v_mad_u64_u32 v[0:1], s[14:15], v8, s20, 0
	v_add3_u32 v1, v1, v23, v22
	v_mul_lo_u32 v32, v7, s20
	v_mul_lo_u32 v33, v6, s21
	v_mad_u64_u32 v[22:23], s[14:15], v6, s20, 0
	v_add3_u32 v23, v23, v33, v32
	v_lshl_add_u64 v[0:1], v[0:1], 2, s[22:23]
	v_lshl_add_u64 v[22:23], v[22:23], 2, s[22:23]
	s_mov_b64 s[50:51], 0
	s_mov_b64 s[60:61], s[20:21]
                                        ; implicit-def: $sgpr48_sgpr49
                                        ; implicit-def: $sgpr52_sgpr53
                                        ; implicit-def: $sgpr56_sgpr57
                                        ; implicit-def: $sgpr54_sgpr55
                                        ; implicit-def: $sgpr58_sgpr59
	s_branch .LBB871_742
.LBB871_741:                            ;   in Loop: Header=BB871_742 Depth=1
	s_or_b64 exec, exec, s[62:63]
	s_and_b64 s[14:15], s[14:15], s[58:59]
	s_or_b64 s[14:15], vcc, s[14:15]
	s_and_b64 s[62:63], exec, s[56:57]
	s_or_b64 s[50:51], s[62:63], s[50:51]
	s_andn2_b64 s[58:59], s[58:59], exec
	s_and_b64 s[14:15], s[14:15], exec
	s_andn2_b64 s[52:53], s[52:53], exec
	s_and_b64 s[62:63], s[54:55], exec
	s_andn2_b64 s[48:49], s[48:49], exec
	s_or_b64 s[58:59], s[58:59], s[14:15]
	s_or_b64 s[52:53], s[52:53], s[62:63]
	s_or_b64 s[48:49], s[48:49], s[14:15]
	s_andn2_b64 exec, exec, s[50:51]
	s_cbranch_execz .LBB871_744
.LBB871_742:                            ; =>This Inner Loop Header: Depth=1
	global_load_dword v32, v[0:1], off
	global_load_dword v33, v[22:23], off
	s_or_b64 s[54:55], s[54:55], exec
	s_or_b64 s[56:57], s[56:57], exec
	s_waitcnt vmcnt(0)
	v_cmp_lt_f32_e32 vcc, v32, v33
	v_cmp_ngt_f32_e64 s[14:15], v32, v33
	s_xor_b64 s[64:65], vcc, s[14:15]
	s_and_saveexec_b64 s[62:63], s[64:65]
	s_cbranch_execz .LBB871_741
; %bb.743:                              ;   in Loop: Header=BB871_742 Depth=1
	s_add_u32 s60, s60, -1
	s_addc_u32 s61, s61, -1
	s_cmp_eq_u64 s[60:61], 0
	s_cselect_b64 s[64:65], -1, 0
	s_andn2_b64 s[56:57], s[56:57], exec
	s_and_b64 s[64:65], s[64:65], exec
	v_lshl_add_u64 v[0:1], v[0:1], 0, 4
	v_lshl_add_u64 v[22:23], v[22:23], 0, 4
	s_andn2_b64 s[54:55], s[54:55], exec
	s_or_b64 s[56:57], s[56:57], s[64:65]
	s_branch .LBB871_741
.LBB871_744:
	s_or_b64 exec, exec, s[50:51]
	s_and_saveexec_b64 s[14:15], s[52:53]
	s_xor_b64 s[14:15], exec, s[14:15]
; %bb.745:
	v_cndmask_b32_e64 v1, v7, v9, s[48:49]
	v_cndmask_b32_e64 v0, v6, v8, s[48:49]
	v_cndmask_b32_e64 v9, v9, v7, s[48:49]
	v_cndmask_b32_e64 v8, v8, v6, s[48:49]
	v_mov_b64_e32 v[6:7], v[0:1]
; %bb.746:
	s_or_b64 exec, exec, s[14:15]
	s_or_b64 exec, exec, s[46:47]
	s_and_saveexec_b64 s[46:47], s[38:39]
	s_cbranch_execz .LBB871_660
.LBB871_747:
	v_mul_lo_u32 v22, v5, s20
	v_mul_lo_u32 v23, v4, s21
	v_mad_u64_u32 v[0:1], s[14:15], v4, s20, 0
	v_add3_u32 v1, v1, v23, v22
	v_mul_lo_u32 v32, v3, s20
	v_mul_lo_u32 v33, v2, s21
	v_mad_u64_u32 v[22:23], s[14:15], v2, s20, 0
	v_add3_u32 v23, v23, v33, v32
	v_lshl_add_u64 v[0:1], v[0:1], 2, s[22:23]
	v_lshl_add_u64 v[22:23], v[22:23], 2, s[22:23]
	s_mov_b64 s[50:51], 0
	s_mov_b64 s[60:61], s[20:21]
                                        ; implicit-def: $sgpr48_sgpr49
                                        ; implicit-def: $sgpr52_sgpr53
                                        ; implicit-def: $sgpr56_sgpr57
                                        ; implicit-def: $sgpr54_sgpr55
                                        ; implicit-def: $sgpr58_sgpr59
	s_branch .LBB871_749
.LBB871_748:                            ;   in Loop: Header=BB871_749 Depth=1
	s_or_b64 exec, exec, s[62:63]
	s_and_b64 s[14:15], s[14:15], s[58:59]
	s_or_b64 s[14:15], vcc, s[14:15]
	s_and_b64 s[62:63], exec, s[56:57]
	s_or_b64 s[50:51], s[62:63], s[50:51]
	s_andn2_b64 s[58:59], s[58:59], exec
	s_and_b64 s[14:15], s[14:15], exec
	s_andn2_b64 s[52:53], s[52:53], exec
	s_and_b64 s[62:63], s[54:55], exec
	s_andn2_b64 s[48:49], s[48:49], exec
	s_or_b64 s[58:59], s[58:59], s[14:15]
	s_or_b64 s[52:53], s[52:53], s[62:63]
	;; [unrolled: 1-line block ×3, first 2 shown]
	s_andn2_b64 exec, exec, s[50:51]
	s_cbranch_execz .LBB871_751
.LBB871_749:                            ; =>This Inner Loop Header: Depth=1
	global_load_dword v32, v[0:1], off
	global_load_dword v33, v[22:23], off
	s_or_b64 s[54:55], s[54:55], exec
	s_or_b64 s[56:57], s[56:57], exec
	s_waitcnt vmcnt(0)
	v_cmp_lt_f32_e32 vcc, v32, v33
	v_cmp_ngt_f32_e64 s[14:15], v32, v33
	s_xor_b64 s[64:65], vcc, s[14:15]
	s_and_saveexec_b64 s[62:63], s[64:65]
	s_cbranch_execz .LBB871_748
; %bb.750:                              ;   in Loop: Header=BB871_749 Depth=1
	s_add_u32 s60, s60, -1
	s_addc_u32 s61, s61, -1
	s_cmp_eq_u64 s[60:61], 0
	s_cselect_b64 s[64:65], -1, 0
	s_andn2_b64 s[56:57], s[56:57], exec
	s_and_b64 s[64:65], s[64:65], exec
	v_lshl_add_u64 v[0:1], v[0:1], 0, 4
	v_lshl_add_u64 v[22:23], v[22:23], 0, 4
	s_andn2_b64 s[54:55], s[54:55], exec
	s_or_b64 s[56:57], s[56:57], s[64:65]
	s_branch .LBB871_748
.LBB871_751:
	s_or_b64 exec, exec, s[50:51]
	s_and_saveexec_b64 s[14:15], s[52:53]
	s_xor_b64 s[14:15], exec, s[14:15]
; %bb.752:
	v_cndmask_b32_e64 v1, v3, v5, s[48:49]
	v_cndmask_b32_e64 v0, v2, v4, s[48:49]
	;; [unrolled: 1-line block ×4, first 2 shown]
	v_mov_b64_e32 v[2:3], v[0:1]
; %bb.753:
	s_or_b64 exec, exec, s[14:15]
	s_or_b64 exec, exec, s[46:47]
	s_and_saveexec_b64 s[46:47], s[40:41]
	s_cbranch_execz .LBB871_661
.LBB871_754:
	v_mul_lo_u32 v22, v11, s20
	v_mul_lo_u32 v23, v10, s21
	v_mad_u64_u32 v[0:1], s[14:15], v10, s20, 0
	v_add3_u32 v1, v1, v23, v22
	v_mul_lo_u32 v32, v17, s20
	v_mul_lo_u32 v33, v16, s21
	v_mad_u64_u32 v[22:23], s[14:15], v16, s20, 0
	v_add3_u32 v23, v23, v33, v32
	v_lshl_add_u64 v[0:1], v[0:1], 2, s[22:23]
	v_lshl_add_u64 v[22:23], v[22:23], 2, s[22:23]
	s_mov_b64 s[50:51], 0
	s_mov_b64 s[60:61], s[20:21]
                                        ; implicit-def: $sgpr48_sgpr49
                                        ; implicit-def: $sgpr52_sgpr53
                                        ; implicit-def: $sgpr56_sgpr57
                                        ; implicit-def: $sgpr54_sgpr55
                                        ; implicit-def: $sgpr58_sgpr59
	s_branch .LBB871_756
.LBB871_755:                            ;   in Loop: Header=BB871_756 Depth=1
	s_or_b64 exec, exec, s[62:63]
	s_and_b64 s[14:15], s[14:15], s[58:59]
	s_or_b64 s[14:15], vcc, s[14:15]
	s_and_b64 s[62:63], exec, s[56:57]
	s_or_b64 s[50:51], s[62:63], s[50:51]
	s_andn2_b64 s[58:59], s[58:59], exec
	s_and_b64 s[14:15], s[14:15], exec
	s_andn2_b64 s[52:53], s[52:53], exec
	s_and_b64 s[62:63], s[54:55], exec
	s_andn2_b64 s[48:49], s[48:49], exec
	s_or_b64 s[58:59], s[58:59], s[14:15]
	s_or_b64 s[52:53], s[52:53], s[62:63]
	;; [unrolled: 1-line block ×3, first 2 shown]
	s_andn2_b64 exec, exec, s[50:51]
	s_cbranch_execz .LBB871_758
.LBB871_756:                            ; =>This Inner Loop Header: Depth=1
	global_load_dword v32, v[0:1], off
	global_load_dword v33, v[22:23], off
	s_or_b64 s[54:55], s[54:55], exec
	s_or_b64 s[56:57], s[56:57], exec
	s_waitcnt vmcnt(0)
	v_cmp_lt_f32_e32 vcc, v32, v33
	v_cmp_ngt_f32_e64 s[14:15], v32, v33
	s_xor_b64 s[64:65], vcc, s[14:15]
	s_and_saveexec_b64 s[62:63], s[64:65]
	s_cbranch_execz .LBB871_755
; %bb.757:                              ;   in Loop: Header=BB871_756 Depth=1
	s_add_u32 s60, s60, -1
	s_addc_u32 s61, s61, -1
	s_cmp_eq_u64 s[60:61], 0
	s_cselect_b64 s[64:65], -1, 0
	s_andn2_b64 s[56:57], s[56:57], exec
	s_and_b64 s[64:65], s[64:65], exec
	v_lshl_add_u64 v[0:1], v[0:1], 0, 4
	v_lshl_add_u64 v[22:23], v[22:23], 0, 4
	s_andn2_b64 s[54:55], s[54:55], exec
	s_or_b64 s[56:57], s[56:57], s[64:65]
	s_branch .LBB871_755
.LBB871_758:
	s_or_b64 exec, exec, s[50:51]
	s_and_saveexec_b64 s[14:15], s[52:53]
	s_xor_b64 s[14:15], exec, s[14:15]
; %bb.759:
	v_cndmask_b32_e64 v1, v17, v11, s[48:49]
	v_cndmask_b32_e64 v0, v16, v10, s[48:49]
	;; [unrolled: 1-line block ×4, first 2 shown]
	v_mov_b64_e32 v[16:17], v[0:1]
; %bb.760:
	s_or_b64 exec, exec, s[14:15]
	s_or_b64 exec, exec, s[46:47]
	s_and_saveexec_b64 s[46:47], s[42:43]
	s_cbranch_execz .LBB871_662
.LBB871_761:
	v_mul_lo_u32 v22, v7, s20
	v_mul_lo_u32 v23, v6, s21
	v_mad_u64_u32 v[0:1], s[14:15], v6, s20, 0
	v_add3_u32 v1, v1, v23, v22
	v_mul_lo_u32 v32, v13, s20
	v_mul_lo_u32 v33, v12, s21
	v_mad_u64_u32 v[22:23], s[14:15], v12, s20, 0
	v_add3_u32 v23, v23, v33, v32
	v_lshl_add_u64 v[0:1], v[0:1], 2, s[22:23]
	v_lshl_add_u64 v[22:23], v[22:23], 2, s[22:23]
	s_mov_b64 s[50:51], 0
	s_mov_b64 s[60:61], s[20:21]
                                        ; implicit-def: $sgpr48_sgpr49
                                        ; implicit-def: $sgpr52_sgpr53
                                        ; implicit-def: $sgpr56_sgpr57
                                        ; implicit-def: $sgpr54_sgpr55
                                        ; implicit-def: $sgpr58_sgpr59
	s_branch .LBB871_763
.LBB871_762:                            ;   in Loop: Header=BB871_763 Depth=1
	s_or_b64 exec, exec, s[62:63]
	s_and_b64 s[14:15], s[14:15], s[58:59]
	s_or_b64 s[14:15], vcc, s[14:15]
	s_and_b64 s[62:63], exec, s[56:57]
	s_or_b64 s[50:51], s[62:63], s[50:51]
	s_andn2_b64 s[58:59], s[58:59], exec
	s_and_b64 s[14:15], s[14:15], exec
	s_andn2_b64 s[52:53], s[52:53], exec
	s_and_b64 s[62:63], s[54:55], exec
	s_andn2_b64 s[48:49], s[48:49], exec
	s_or_b64 s[58:59], s[58:59], s[14:15]
	s_or_b64 s[52:53], s[52:53], s[62:63]
	;; [unrolled: 1-line block ×3, first 2 shown]
	s_andn2_b64 exec, exec, s[50:51]
	s_cbranch_execz .LBB871_765
.LBB871_763:                            ; =>This Inner Loop Header: Depth=1
	global_load_dword v32, v[0:1], off
	global_load_dword v33, v[22:23], off
	s_or_b64 s[54:55], s[54:55], exec
	s_or_b64 s[56:57], s[56:57], exec
	s_waitcnt vmcnt(0)
	v_cmp_lt_f32_e32 vcc, v32, v33
	v_cmp_ngt_f32_e64 s[14:15], v32, v33
	s_xor_b64 s[64:65], vcc, s[14:15]
	s_and_saveexec_b64 s[62:63], s[64:65]
	s_cbranch_execz .LBB871_762
; %bb.764:                              ;   in Loop: Header=BB871_763 Depth=1
	s_add_u32 s60, s60, -1
	s_addc_u32 s61, s61, -1
	s_cmp_eq_u64 s[60:61], 0
	s_cselect_b64 s[64:65], -1, 0
	s_andn2_b64 s[56:57], s[56:57], exec
	s_and_b64 s[64:65], s[64:65], exec
	v_lshl_add_u64 v[0:1], v[0:1], 0, 4
	v_lshl_add_u64 v[22:23], v[22:23], 0, 4
	s_andn2_b64 s[54:55], s[54:55], exec
	s_or_b64 s[56:57], s[56:57], s[64:65]
	s_branch .LBB871_762
.LBB871_765:
	s_or_b64 exec, exec, s[50:51]
	s_and_saveexec_b64 s[14:15], s[52:53]
	s_xor_b64 s[14:15], exec, s[14:15]
; %bb.766:
	v_cndmask_b32_e64 v1, v13, v7, s[48:49]
	v_cndmask_b32_e64 v0, v12, v6, s[48:49]
	;; [unrolled: 1-line block ×4, first 2 shown]
	v_mov_b64_e32 v[12:13], v[0:1]
; %bb.767:
	s_or_b64 exec, exec, s[14:15]
	s_or_b64 exec, exec, s[46:47]
	s_and_saveexec_b64 s[46:47], s[44:45]
	s_cbranch_execz .LBB871_663
.LBB871_768:
	v_mul_lo_u32 v22, v3, s20
	v_mul_lo_u32 v23, v2, s21
	v_mad_u64_u32 v[0:1], s[14:15], v2, s20, 0
	v_add3_u32 v1, v1, v23, v22
	v_mul_lo_u32 v32, v9, s20
	v_mul_lo_u32 v33, v8, s21
	v_mad_u64_u32 v[22:23], s[14:15], v8, s20, 0
	v_add3_u32 v23, v23, v33, v32
	v_lshl_add_u64 v[0:1], v[0:1], 2, s[22:23]
	v_lshl_add_u64 v[22:23], v[22:23], 2, s[22:23]
	s_mov_b64 s[50:51], 0
	s_mov_b64 s[60:61], s[20:21]
                                        ; implicit-def: $sgpr48_sgpr49
                                        ; implicit-def: $sgpr52_sgpr53
                                        ; implicit-def: $sgpr56_sgpr57
                                        ; implicit-def: $sgpr54_sgpr55
                                        ; implicit-def: $sgpr58_sgpr59
	s_branch .LBB871_770
.LBB871_769:                            ;   in Loop: Header=BB871_770 Depth=1
	s_or_b64 exec, exec, s[62:63]
	s_and_b64 s[14:15], s[14:15], s[58:59]
	s_or_b64 s[14:15], vcc, s[14:15]
	s_and_b64 s[62:63], exec, s[56:57]
	s_or_b64 s[50:51], s[62:63], s[50:51]
	s_andn2_b64 s[58:59], s[58:59], exec
	s_and_b64 s[14:15], s[14:15], exec
	s_andn2_b64 s[52:53], s[52:53], exec
	s_and_b64 s[62:63], s[54:55], exec
	s_andn2_b64 s[48:49], s[48:49], exec
	s_or_b64 s[58:59], s[58:59], s[14:15]
	s_or_b64 s[52:53], s[52:53], s[62:63]
	;; [unrolled: 1-line block ×3, first 2 shown]
	s_andn2_b64 exec, exec, s[50:51]
	s_cbranch_execz .LBB871_772
.LBB871_770:                            ; =>This Inner Loop Header: Depth=1
	global_load_dword v32, v[0:1], off
	global_load_dword v33, v[22:23], off
	s_or_b64 s[54:55], s[54:55], exec
	s_or_b64 s[56:57], s[56:57], exec
	s_waitcnt vmcnt(0)
	v_cmp_lt_f32_e32 vcc, v32, v33
	v_cmp_ngt_f32_e64 s[14:15], v32, v33
	s_xor_b64 s[64:65], vcc, s[14:15]
	s_and_saveexec_b64 s[62:63], s[64:65]
	s_cbranch_execz .LBB871_769
; %bb.771:                              ;   in Loop: Header=BB871_770 Depth=1
	s_add_u32 s60, s60, -1
	s_addc_u32 s61, s61, -1
	s_cmp_eq_u64 s[60:61], 0
	s_cselect_b64 s[64:65], -1, 0
	s_andn2_b64 s[56:57], s[56:57], exec
	s_and_b64 s[64:65], s[64:65], exec
	v_lshl_add_u64 v[0:1], v[0:1], 0, 4
	v_lshl_add_u64 v[22:23], v[22:23], 0, 4
	s_andn2_b64 s[54:55], s[54:55], exec
	s_or_b64 s[56:57], s[56:57], s[64:65]
	s_branch .LBB871_769
.LBB871_772:
	s_or_b64 exec, exec, s[50:51]
	s_and_saveexec_b64 s[14:15], s[52:53]
	s_xor_b64 s[14:15], exec, s[14:15]
; %bb.773:
	v_cndmask_b32_e64 v1, v9, v3, s[48:49]
	v_cndmask_b32_e64 v0, v8, v2, s[48:49]
	v_cndmask_b32_e64 v3, v3, v9, s[48:49]
	v_cndmask_b32_e64 v2, v2, v8, s[48:49]
	v_mov_b64_e32 v[8:9], v[0:1]
; %bb.774:
	s_or_b64 exec, exec, s[14:15]
	s_or_b64 exec, exec, s[46:47]
	s_and_saveexec_b64 s[46:47], s[16:17]
	s_cbranch_execz .LBB871_664
.LBB871_775:
	v_mul_lo_u32 v22, v17, s20
	v_mul_lo_u32 v23, v16, s21
	v_mad_u64_u32 v[0:1], s[14:15], v16, s20, 0
	v_add3_u32 v1, v1, v23, v22
	v_mul_lo_u32 v32, v15, s20
	v_mul_lo_u32 v33, v14, s21
	v_mad_u64_u32 v[22:23], s[14:15], v14, s20, 0
	v_add3_u32 v23, v23, v33, v32
	v_lshl_add_u64 v[0:1], v[0:1], 2, s[22:23]
	v_lshl_add_u64 v[22:23], v[22:23], 2, s[22:23]
	s_mov_b64 s[48:49], 0
	s_mov_b64 s[58:59], s[20:21]
                                        ; implicit-def: $sgpr16_sgpr17
                                        ; implicit-def: $sgpr50_sgpr51
                                        ; implicit-def: $sgpr54_sgpr55
                                        ; implicit-def: $sgpr52_sgpr53
                                        ; implicit-def: $sgpr56_sgpr57
	s_branch .LBB871_777
.LBB871_776:                            ;   in Loop: Header=BB871_777 Depth=1
	s_or_b64 exec, exec, s[60:61]
	s_and_b64 s[14:15], s[14:15], s[56:57]
	s_or_b64 s[14:15], vcc, s[14:15]
	s_and_b64 s[60:61], exec, s[54:55]
	s_or_b64 s[48:49], s[60:61], s[48:49]
	s_andn2_b64 s[56:57], s[56:57], exec
	s_and_b64 s[14:15], s[14:15], exec
	s_andn2_b64 s[50:51], s[50:51], exec
	s_and_b64 s[60:61], s[52:53], exec
	s_andn2_b64 s[16:17], s[16:17], exec
	s_or_b64 s[56:57], s[56:57], s[14:15]
	s_or_b64 s[50:51], s[50:51], s[60:61]
	;; [unrolled: 1-line block ×3, first 2 shown]
	s_andn2_b64 exec, exec, s[48:49]
	s_cbranch_execz .LBB871_779
.LBB871_777:                            ; =>This Inner Loop Header: Depth=1
	global_load_dword v32, v[0:1], off
	global_load_dword v33, v[22:23], off
	s_or_b64 s[52:53], s[52:53], exec
	s_or_b64 s[54:55], s[54:55], exec
	s_waitcnt vmcnt(0)
	v_cmp_lt_f32_e32 vcc, v32, v33
	v_cmp_ngt_f32_e64 s[14:15], v32, v33
	s_xor_b64 s[62:63], vcc, s[14:15]
	s_and_saveexec_b64 s[60:61], s[62:63]
	s_cbranch_execz .LBB871_776
; %bb.778:                              ;   in Loop: Header=BB871_777 Depth=1
	s_add_u32 s58, s58, -1
	s_addc_u32 s59, s59, -1
	s_cmp_eq_u64 s[58:59], 0
	s_cselect_b64 s[62:63], -1, 0
	s_andn2_b64 s[54:55], s[54:55], exec
	s_and_b64 s[62:63], s[62:63], exec
	v_lshl_add_u64 v[0:1], v[0:1], 0, 4
	v_lshl_add_u64 v[22:23], v[22:23], 0, 4
	s_andn2_b64 s[52:53], s[52:53], exec
	s_or_b64 s[54:55], s[54:55], s[62:63]
	s_branch .LBB871_776
.LBB871_779:
	s_or_b64 exec, exec, s[48:49]
	s_and_saveexec_b64 s[14:15], s[50:51]
	s_xor_b64 s[14:15], exec, s[14:15]
; %bb.780:
	v_cndmask_b32_e64 v1, v17, v15, s[16:17]
	v_cndmask_b32_e64 v0, v16, v14, s[16:17]
	;; [unrolled: 1-line block ×4, first 2 shown]
	v_mov_b64_e32 v[16:17], v[0:1]
; %bb.781:
	s_or_b64 exec, exec, s[14:15]
	s_or_b64 exec, exec, s[46:47]
	s_and_saveexec_b64 s[16:17], s[34:35]
	s_cbranch_execz .LBB871_665
.LBB871_782:
	v_mul_lo_u32 v22, v13, s20
	v_mul_lo_u32 v23, v12, s21
	v_mad_u64_u32 v[0:1], s[14:15], v12, s20, 0
	v_add3_u32 v1, v1, v23, v22
	v_mul_lo_u32 v32, v11, s20
	v_mul_lo_u32 v33, v10, s21
	v_mad_u64_u32 v[22:23], s[14:15], v10, s20, 0
	v_add3_u32 v23, v23, v33, v32
	v_lshl_add_u64 v[0:1], v[0:1], 2, s[22:23]
	v_lshl_add_u64 v[22:23], v[22:23], 2, s[22:23]
	s_mov_b64 s[46:47], 0
	s_mov_b64 s[56:57], s[20:21]
                                        ; implicit-def: $sgpr34_sgpr35
                                        ; implicit-def: $sgpr48_sgpr49
                                        ; implicit-def: $sgpr52_sgpr53
                                        ; implicit-def: $sgpr50_sgpr51
                                        ; implicit-def: $sgpr54_sgpr55
	s_branch .LBB871_784
.LBB871_783:                            ;   in Loop: Header=BB871_784 Depth=1
	s_or_b64 exec, exec, s[58:59]
	s_and_b64 s[14:15], s[14:15], s[54:55]
	s_or_b64 s[14:15], vcc, s[14:15]
	s_and_b64 s[58:59], exec, s[52:53]
	s_or_b64 s[46:47], s[58:59], s[46:47]
	s_andn2_b64 s[54:55], s[54:55], exec
	s_and_b64 s[14:15], s[14:15], exec
	s_andn2_b64 s[48:49], s[48:49], exec
	s_and_b64 s[58:59], s[50:51], exec
	s_andn2_b64 s[34:35], s[34:35], exec
	s_or_b64 s[54:55], s[54:55], s[14:15]
	s_or_b64 s[48:49], s[48:49], s[58:59]
	;; [unrolled: 1-line block ×3, first 2 shown]
	s_andn2_b64 exec, exec, s[46:47]
	s_cbranch_execz .LBB871_786
.LBB871_784:                            ; =>This Inner Loop Header: Depth=1
	global_load_dword v32, v[0:1], off
	global_load_dword v33, v[22:23], off
	s_or_b64 s[50:51], s[50:51], exec
	s_or_b64 s[52:53], s[52:53], exec
	s_waitcnt vmcnt(0)
	v_cmp_lt_f32_e32 vcc, v32, v33
	v_cmp_ngt_f32_e64 s[14:15], v32, v33
	s_xor_b64 s[60:61], vcc, s[14:15]
	s_and_saveexec_b64 s[58:59], s[60:61]
	s_cbranch_execz .LBB871_783
; %bb.785:                              ;   in Loop: Header=BB871_784 Depth=1
	s_add_u32 s56, s56, -1
	s_addc_u32 s57, s57, -1
	s_cmp_eq_u64 s[56:57], 0
	s_cselect_b64 s[60:61], -1, 0
	s_andn2_b64 s[52:53], s[52:53], exec
	s_and_b64 s[60:61], s[60:61], exec
	v_lshl_add_u64 v[0:1], v[0:1], 0, 4
	v_lshl_add_u64 v[22:23], v[22:23], 0, 4
	s_andn2_b64 s[50:51], s[50:51], exec
	s_or_b64 s[52:53], s[52:53], s[60:61]
	s_branch .LBB871_783
.LBB871_786:
	s_or_b64 exec, exec, s[46:47]
	s_and_saveexec_b64 s[14:15], s[48:49]
	s_xor_b64 s[14:15], exec, s[14:15]
; %bb.787:
	v_cndmask_b32_e64 v1, v11, v13, s[34:35]
	v_cndmask_b32_e64 v0, v10, v12, s[34:35]
	;; [unrolled: 1-line block ×4, first 2 shown]
	v_mov_b64_e32 v[10:11], v[0:1]
; %bb.788:
	s_or_b64 exec, exec, s[14:15]
	s_or_b64 exec, exec, s[16:17]
	s_and_saveexec_b64 s[16:17], s[36:37]
	s_cbranch_execz .LBB871_666
.LBB871_789:
	v_mul_lo_u32 v22, v9, s20
	v_mul_lo_u32 v23, v8, s21
	v_mad_u64_u32 v[0:1], s[14:15], v8, s20, 0
	v_add3_u32 v1, v1, v23, v22
	v_mul_lo_u32 v32, v7, s20
	v_mul_lo_u32 v33, v6, s21
	v_mad_u64_u32 v[22:23], s[14:15], v6, s20, 0
	v_add3_u32 v23, v23, v33, v32
	v_lshl_add_u64 v[0:1], v[0:1], 2, s[22:23]
	v_lshl_add_u64 v[22:23], v[22:23], 2, s[22:23]
	s_mov_b64 s[36:37], 0
	s_mov_b64 s[54:55], s[20:21]
                                        ; implicit-def: $sgpr34_sgpr35
                                        ; implicit-def: $sgpr46_sgpr47
                                        ; implicit-def: $sgpr50_sgpr51
                                        ; implicit-def: $sgpr48_sgpr49
                                        ; implicit-def: $sgpr52_sgpr53
	s_branch .LBB871_791
.LBB871_790:                            ;   in Loop: Header=BB871_791 Depth=1
	s_or_b64 exec, exec, s[56:57]
	s_and_b64 s[14:15], s[14:15], s[52:53]
	s_or_b64 s[14:15], vcc, s[14:15]
	s_and_b64 s[56:57], exec, s[50:51]
	s_or_b64 s[36:37], s[56:57], s[36:37]
	s_andn2_b64 s[52:53], s[52:53], exec
	s_and_b64 s[14:15], s[14:15], exec
	s_andn2_b64 s[46:47], s[46:47], exec
	s_and_b64 s[56:57], s[48:49], exec
	s_andn2_b64 s[34:35], s[34:35], exec
	s_or_b64 s[52:53], s[52:53], s[14:15]
	s_or_b64 s[46:47], s[46:47], s[56:57]
	;; [unrolled: 1-line block ×3, first 2 shown]
	s_andn2_b64 exec, exec, s[36:37]
	s_cbranch_execz .LBB871_793
.LBB871_791:                            ; =>This Inner Loop Header: Depth=1
	global_load_dword v32, v[0:1], off
	global_load_dword v33, v[22:23], off
	s_or_b64 s[48:49], s[48:49], exec
	s_or_b64 s[50:51], s[50:51], exec
	s_waitcnt vmcnt(0)
	v_cmp_lt_f32_e32 vcc, v32, v33
	v_cmp_ngt_f32_e64 s[14:15], v32, v33
	s_xor_b64 s[58:59], vcc, s[14:15]
	s_and_saveexec_b64 s[56:57], s[58:59]
	s_cbranch_execz .LBB871_790
; %bb.792:                              ;   in Loop: Header=BB871_791 Depth=1
	s_add_u32 s54, s54, -1
	s_addc_u32 s55, s55, -1
	s_cmp_eq_u64 s[54:55], 0
	s_cselect_b64 s[58:59], -1, 0
	s_andn2_b64 s[50:51], s[50:51], exec
	s_and_b64 s[58:59], s[58:59], exec
	v_lshl_add_u64 v[0:1], v[0:1], 0, 4
	v_lshl_add_u64 v[22:23], v[22:23], 0, 4
	s_andn2_b64 s[48:49], s[48:49], exec
	s_or_b64 s[50:51], s[50:51], s[58:59]
	s_branch .LBB871_790
.LBB871_793:
	s_or_b64 exec, exec, s[36:37]
	s_and_saveexec_b64 s[14:15], s[46:47]
	s_xor_b64 s[14:15], exec, s[14:15]
; %bb.794:
	v_cndmask_b32_e64 v1, v7, v9, s[34:35]
	v_cndmask_b32_e64 v0, v6, v8, s[34:35]
	v_cndmask_b32_e64 v9, v9, v7, s[34:35]
	v_cndmask_b32_e64 v8, v8, v6, s[34:35]
	v_mov_b64_e32 v[6:7], v[0:1]
; %bb.795:
	s_or_b64 exec, exec, s[14:15]
	s_or_b64 exec, exec, s[16:17]
	s_and_saveexec_b64 s[16:17], s[38:39]
	s_cbranch_execz .LBB871_667
.LBB871_796:
	v_mul_lo_u32 v22, v5, s20
	v_mul_lo_u32 v23, v4, s21
	v_mad_u64_u32 v[0:1], s[14:15], v4, s20, 0
	v_add3_u32 v1, v1, v23, v22
	v_mul_lo_u32 v32, v3, s20
	v_mul_lo_u32 v33, v2, s21
	v_mad_u64_u32 v[22:23], s[14:15], v2, s20, 0
	v_add3_u32 v23, v23, v33, v32
	v_lshl_add_u64 v[0:1], v[0:1], 2, s[22:23]
	v_lshl_add_u64 v[22:23], v[22:23], 2, s[22:23]
	s_mov_b64 s[36:37], 0
	s_mov_b64 s[52:53], s[20:21]
                                        ; implicit-def: $sgpr34_sgpr35
                                        ; implicit-def: $sgpr38_sgpr39
                                        ; implicit-def: $sgpr48_sgpr49
                                        ; implicit-def: $sgpr46_sgpr47
                                        ; implicit-def: $sgpr50_sgpr51
	s_branch .LBB871_798
.LBB871_797:                            ;   in Loop: Header=BB871_798 Depth=1
	s_or_b64 exec, exec, s[54:55]
	s_and_b64 s[14:15], s[14:15], s[50:51]
	s_or_b64 s[14:15], vcc, s[14:15]
	s_and_b64 s[54:55], exec, s[48:49]
	s_or_b64 s[36:37], s[54:55], s[36:37]
	s_andn2_b64 s[50:51], s[50:51], exec
	s_and_b64 s[14:15], s[14:15], exec
	s_andn2_b64 s[38:39], s[38:39], exec
	s_and_b64 s[54:55], s[46:47], exec
	s_andn2_b64 s[34:35], s[34:35], exec
	s_or_b64 s[50:51], s[50:51], s[14:15]
	s_or_b64 s[38:39], s[38:39], s[54:55]
	;; [unrolled: 1-line block ×3, first 2 shown]
	s_andn2_b64 exec, exec, s[36:37]
	s_cbranch_execz .LBB871_800
.LBB871_798:                            ; =>This Inner Loop Header: Depth=1
	global_load_dword v32, v[0:1], off
	global_load_dword v33, v[22:23], off
	s_or_b64 s[46:47], s[46:47], exec
	s_or_b64 s[48:49], s[48:49], exec
	s_waitcnt vmcnt(0)
	v_cmp_lt_f32_e32 vcc, v32, v33
	v_cmp_ngt_f32_e64 s[14:15], v32, v33
	s_xor_b64 s[56:57], vcc, s[14:15]
	s_and_saveexec_b64 s[54:55], s[56:57]
	s_cbranch_execz .LBB871_797
; %bb.799:                              ;   in Loop: Header=BB871_798 Depth=1
	s_add_u32 s52, s52, -1
	s_addc_u32 s53, s53, -1
	s_cmp_eq_u64 s[52:53], 0
	s_cselect_b64 s[56:57], -1, 0
	s_andn2_b64 s[48:49], s[48:49], exec
	s_and_b64 s[56:57], s[56:57], exec
	v_lshl_add_u64 v[0:1], v[0:1], 0, 4
	v_lshl_add_u64 v[22:23], v[22:23], 0, 4
	s_andn2_b64 s[46:47], s[46:47], exec
	s_or_b64 s[48:49], s[48:49], s[56:57]
	s_branch .LBB871_797
.LBB871_800:
	s_or_b64 exec, exec, s[36:37]
	s_and_saveexec_b64 s[14:15], s[38:39]
	s_xor_b64 s[14:15], exec, s[14:15]
; %bb.801:
	v_cndmask_b32_e64 v1, v3, v5, s[34:35]
	v_cndmask_b32_e64 v0, v2, v4, s[34:35]
	;; [unrolled: 1-line block ×4, first 2 shown]
	v_mov_b64_e32 v[2:3], v[0:1]
; %bb.802:
	s_or_b64 exec, exec, s[14:15]
	s_or_b64 exec, exec, s[16:17]
	s_and_saveexec_b64 s[16:17], s[40:41]
	s_cbranch_execz .LBB871_668
.LBB871_803:
	v_mul_lo_u32 v22, v11, s20
	v_mul_lo_u32 v23, v10, s21
	v_mad_u64_u32 v[0:1], s[14:15], v10, s20, 0
	v_add3_u32 v1, v1, v23, v22
	v_mul_lo_u32 v32, v17, s20
	v_mul_lo_u32 v33, v16, s21
	v_mad_u64_u32 v[22:23], s[14:15], v16, s20, 0
	v_add3_u32 v23, v23, v33, v32
	v_lshl_add_u64 v[0:1], v[0:1], 2, s[22:23]
	v_lshl_add_u64 v[22:23], v[22:23], 2, s[22:23]
	s_mov_b64 s[36:37], 0
	s_mov_b64 s[50:51], s[20:21]
                                        ; implicit-def: $sgpr34_sgpr35
                                        ; implicit-def: $sgpr38_sgpr39
                                        ; implicit-def: $sgpr46_sgpr47
                                        ; implicit-def: $sgpr40_sgpr41
                                        ; implicit-def: $sgpr48_sgpr49
	s_branch .LBB871_805
.LBB871_804:                            ;   in Loop: Header=BB871_805 Depth=1
	s_or_b64 exec, exec, s[52:53]
	s_and_b64 s[14:15], s[14:15], s[48:49]
	s_or_b64 s[14:15], vcc, s[14:15]
	s_and_b64 s[52:53], exec, s[46:47]
	s_or_b64 s[36:37], s[52:53], s[36:37]
	s_andn2_b64 s[48:49], s[48:49], exec
	s_and_b64 s[14:15], s[14:15], exec
	s_andn2_b64 s[38:39], s[38:39], exec
	s_and_b64 s[52:53], s[40:41], exec
	s_andn2_b64 s[34:35], s[34:35], exec
	s_or_b64 s[48:49], s[48:49], s[14:15]
	s_or_b64 s[38:39], s[38:39], s[52:53]
	;; [unrolled: 1-line block ×3, first 2 shown]
	s_andn2_b64 exec, exec, s[36:37]
	s_cbranch_execz .LBB871_807
.LBB871_805:                            ; =>This Inner Loop Header: Depth=1
	global_load_dword v32, v[0:1], off
	global_load_dword v33, v[22:23], off
	s_or_b64 s[40:41], s[40:41], exec
	s_or_b64 s[46:47], s[46:47], exec
	s_waitcnt vmcnt(0)
	v_cmp_lt_f32_e32 vcc, v32, v33
	v_cmp_ngt_f32_e64 s[14:15], v32, v33
	s_xor_b64 s[54:55], vcc, s[14:15]
	s_and_saveexec_b64 s[52:53], s[54:55]
	s_cbranch_execz .LBB871_804
; %bb.806:                              ;   in Loop: Header=BB871_805 Depth=1
	s_add_u32 s50, s50, -1
	s_addc_u32 s51, s51, -1
	s_cmp_eq_u64 s[50:51], 0
	s_cselect_b64 s[54:55], -1, 0
	s_andn2_b64 s[46:47], s[46:47], exec
	s_and_b64 s[54:55], s[54:55], exec
	v_lshl_add_u64 v[0:1], v[0:1], 0, 4
	v_lshl_add_u64 v[22:23], v[22:23], 0, 4
	s_andn2_b64 s[40:41], s[40:41], exec
	s_or_b64 s[46:47], s[46:47], s[54:55]
	s_branch .LBB871_804
.LBB871_807:
	s_or_b64 exec, exec, s[36:37]
	s_and_saveexec_b64 s[14:15], s[38:39]
	s_xor_b64 s[14:15], exec, s[14:15]
; %bb.808:
	v_cndmask_b32_e64 v1, v17, v11, s[34:35]
	v_cndmask_b32_e64 v0, v16, v10, s[34:35]
	;; [unrolled: 1-line block ×4, first 2 shown]
	v_mov_b64_e32 v[16:17], v[0:1]
; %bb.809:
	s_or_b64 exec, exec, s[14:15]
	s_or_b64 exec, exec, s[16:17]
	s_and_saveexec_b64 s[16:17], s[42:43]
	s_cbranch_execz .LBB871_669
.LBB871_810:
	v_mul_lo_u32 v22, v7, s20
	v_mul_lo_u32 v23, v6, s21
	v_mad_u64_u32 v[0:1], s[14:15], v6, s20, 0
	v_add3_u32 v1, v1, v23, v22
	v_mul_lo_u32 v32, v13, s20
	v_mul_lo_u32 v33, v12, s21
	v_mad_u64_u32 v[22:23], s[14:15], v12, s20, 0
	v_add3_u32 v23, v23, v33, v32
	v_lshl_add_u64 v[0:1], v[0:1], 2, s[22:23]
	v_lshl_add_u64 v[22:23], v[22:23], 2, s[22:23]
	s_mov_b64 s[36:37], 0
	s_mov_b64 s[48:49], s[20:21]
                                        ; implicit-def: $sgpr34_sgpr35
                                        ; implicit-def: $sgpr38_sgpr39
                                        ; implicit-def: $sgpr42_sgpr43
                                        ; implicit-def: $sgpr40_sgpr41
                                        ; implicit-def: $sgpr46_sgpr47
	s_branch .LBB871_812
.LBB871_811:                            ;   in Loop: Header=BB871_812 Depth=1
	s_or_b64 exec, exec, s[50:51]
	s_and_b64 s[14:15], s[14:15], s[46:47]
	s_or_b64 s[14:15], vcc, s[14:15]
	s_and_b64 s[50:51], exec, s[42:43]
	s_or_b64 s[36:37], s[50:51], s[36:37]
	s_andn2_b64 s[46:47], s[46:47], exec
	s_and_b64 s[14:15], s[14:15], exec
	s_andn2_b64 s[38:39], s[38:39], exec
	s_and_b64 s[50:51], s[40:41], exec
	s_andn2_b64 s[34:35], s[34:35], exec
	s_or_b64 s[46:47], s[46:47], s[14:15]
	s_or_b64 s[38:39], s[38:39], s[50:51]
	;; [unrolled: 1-line block ×3, first 2 shown]
	s_andn2_b64 exec, exec, s[36:37]
	s_cbranch_execz .LBB871_814
.LBB871_812:                            ; =>This Inner Loop Header: Depth=1
	global_load_dword v32, v[0:1], off
	global_load_dword v33, v[22:23], off
	s_or_b64 s[40:41], s[40:41], exec
	s_or_b64 s[42:43], s[42:43], exec
	s_waitcnt vmcnt(0)
	v_cmp_lt_f32_e32 vcc, v32, v33
	v_cmp_ngt_f32_e64 s[14:15], v32, v33
	s_xor_b64 s[52:53], vcc, s[14:15]
	s_and_saveexec_b64 s[50:51], s[52:53]
	s_cbranch_execz .LBB871_811
; %bb.813:                              ;   in Loop: Header=BB871_812 Depth=1
	s_add_u32 s48, s48, -1
	s_addc_u32 s49, s49, -1
	s_cmp_eq_u64 s[48:49], 0
	s_cselect_b64 s[52:53], -1, 0
	s_andn2_b64 s[42:43], s[42:43], exec
	s_and_b64 s[52:53], s[52:53], exec
	v_lshl_add_u64 v[0:1], v[0:1], 0, 4
	v_lshl_add_u64 v[22:23], v[22:23], 0, 4
	s_andn2_b64 s[40:41], s[40:41], exec
	s_or_b64 s[42:43], s[42:43], s[52:53]
	s_branch .LBB871_811
.LBB871_814:
	s_or_b64 exec, exec, s[36:37]
	s_and_saveexec_b64 s[14:15], s[38:39]
	s_xor_b64 s[14:15], exec, s[14:15]
; %bb.815:
	v_cndmask_b32_e64 v1, v13, v7, s[34:35]
	v_cndmask_b32_e64 v0, v12, v6, s[34:35]
	;; [unrolled: 1-line block ×4, first 2 shown]
	v_mov_b64_e32 v[12:13], v[0:1]
; %bb.816:
	s_or_b64 exec, exec, s[14:15]
	s_or_b64 exec, exec, s[16:17]
	s_and_saveexec_b64 s[16:17], s[44:45]
	s_cbranch_execz .LBB871_824
.LBB871_817:
	v_mul_lo_u32 v22, v3, s20
	v_mul_lo_u32 v23, v2, s21
	v_mad_u64_u32 v[0:1], s[14:15], v2, s20, 0
	v_add3_u32 v1, v1, v23, v22
	v_mul_lo_u32 v32, v9, s20
	v_mul_lo_u32 v33, v8, s21
	v_mad_u64_u32 v[22:23], s[14:15], v8, s20, 0
	v_add3_u32 v23, v23, v33, v32
	v_lshl_add_u64 v[0:1], v[0:1], 2, s[22:23]
	v_lshl_add_u64 v[22:23], v[22:23], 2, s[22:23]
	s_mov_b64 s[36:37], 0
	s_mov_b64 s[46:47], s[20:21]
                                        ; implicit-def: $sgpr34_sgpr35
                                        ; implicit-def: $sgpr38_sgpr39
                                        ; implicit-def: $sgpr42_sgpr43
                                        ; implicit-def: $sgpr40_sgpr41
                                        ; implicit-def: $sgpr44_sgpr45
	s_branch .LBB871_819
.LBB871_818:                            ;   in Loop: Header=BB871_819 Depth=1
	s_or_b64 exec, exec, s[48:49]
	s_and_b64 s[14:15], s[14:15], s[44:45]
	s_or_b64 s[14:15], vcc, s[14:15]
	s_and_b64 s[48:49], exec, s[42:43]
	s_or_b64 s[36:37], s[48:49], s[36:37]
	s_andn2_b64 s[44:45], s[44:45], exec
	s_and_b64 s[14:15], s[14:15], exec
	s_andn2_b64 s[38:39], s[38:39], exec
	s_and_b64 s[48:49], s[40:41], exec
	s_andn2_b64 s[34:35], s[34:35], exec
	s_or_b64 s[44:45], s[44:45], s[14:15]
	s_or_b64 s[38:39], s[38:39], s[48:49]
	;; [unrolled: 1-line block ×3, first 2 shown]
	s_andn2_b64 exec, exec, s[36:37]
	s_cbranch_execz .LBB871_821
.LBB871_819:                            ; =>This Inner Loop Header: Depth=1
	global_load_dword v32, v[0:1], off
	global_load_dword v33, v[22:23], off
	s_or_b64 s[40:41], s[40:41], exec
	s_or_b64 s[42:43], s[42:43], exec
	s_waitcnt vmcnt(0)
	v_cmp_lt_f32_e32 vcc, v32, v33
	v_cmp_ngt_f32_e64 s[14:15], v32, v33
	s_xor_b64 s[50:51], vcc, s[14:15]
	s_and_saveexec_b64 s[48:49], s[50:51]
	s_cbranch_execz .LBB871_818
; %bb.820:                              ;   in Loop: Header=BB871_819 Depth=1
	s_add_u32 s46, s46, -1
	s_addc_u32 s47, s47, -1
	s_cmp_eq_u64 s[46:47], 0
	s_cselect_b64 s[50:51], -1, 0
	s_andn2_b64 s[42:43], s[42:43], exec
	s_and_b64 s[50:51], s[50:51], exec
	v_lshl_add_u64 v[0:1], v[0:1], 0, 4
	v_lshl_add_u64 v[22:23], v[22:23], 0, 4
	s_andn2_b64 s[40:41], s[40:41], exec
	s_or_b64 s[42:43], s[42:43], s[50:51]
	s_branch .LBB871_818
.LBB871_821:
	s_or_b64 exec, exec, s[36:37]
	s_and_saveexec_b64 s[14:15], s[38:39]
	s_xor_b64 s[14:15], exec, s[14:15]
; %bb.822:
	v_cndmask_b32_e64 v1, v9, v3, s[34:35]
	v_cndmask_b32_e64 v0, v8, v2, s[34:35]
	;; [unrolled: 1-line block ×4, first 2 shown]
	v_mov_b64_e32 v[8:9], v[0:1]
; %bb.823:
	s_or_b64 exec, exec, s[14:15]
.LBB871_824:
	s_or_b64 exec, exec, s[16:17]
	v_mbcnt_lo_u32_b32 v0, -1, 0
	v_mbcnt_hi_u32_b32 v0, -1, v0
	v_and_b32_e32 v1, 0xfffffe00, v31
	v_lshlrev_b32_e32 v31, 3, v1
	v_lshlrev_b32_e32 v33, 3, v0
	v_sub_u32_e64 v32, s33, v1 clamp
	v_lshl_add_u32 v34, v0, 6, v31
	v_or_b32_e32 v0, 8, v33
	v_min_u32_e32 v35, v32, v0
	v_add_u32_e32 v0, 8, v35
	v_and_b32_e32 v39, 0x3f0, v33
	v_min_u32_e32 v36, v32, v0
	v_and_b32_e32 v0, 8, v33
	v_min_u32_e32 v40, v32, v0
	v_sub_u32_e32 v0, v35, v39
	v_sub_u32_e32 v1, v36, v35
	v_sub_u32_e64 v38, v40, v1 clamp
	v_min_u32_e32 v41, v40, v0
	v_lshl_add_u32 v37, v39, 3, v31
	v_cmp_lt_u32_e32 vcc, v38, v41
	ds_write_b128 v34, v[14:17]
	ds_write_b128 v34, v[10:13] offset:16
	ds_write_b128 v34, v[6:9] offset:32
	ds_write_b128 v34, v[2:5] offset:48
	; wave barrier
	s_and_saveexec_b64 s[34:35], vcc
	s_cbranch_execz .LBB871_834
; %bb.825:
	v_lshlrev_b32_e32 v0, 3, v35
	v_lshlrev_b32_e32 v1, 3, v40
	v_add3_u32 v42, v31, v0, v1
	v_cndmask_b32_e64 v0, 0, 1, s[18:19]
	s_lshl_b64 s[38:39], s[20:21], 2
	s_mov_b64 s[36:37], 0
	v_cmp_ne_u32_e64 s[14:15], 1, v0
	s_branch .LBB871_828
.LBB871_826:                            ;   in Loop: Header=BB871_828 Depth=1
	s_or_b64 exec, exec, s[42:43]
.LBB871_827:                            ;   in Loop: Header=BB871_828 Depth=1
	v_add_u32_e32 v0, 1, v43
	v_cndmask_b32_e64 v41, v41, v43, s[40:41]
	v_cndmask_b32_e64 v38, v0, v38, s[40:41]
	v_cmp_ge_u32_e32 vcc, v38, v41
	s_or_b64 s[36:37], vcc, s[36:37]
	s_andn2_b64 exec, exec, s[36:37]
	s_cbranch_execz .LBB871_833
.LBB871_828:                            ; =>This Loop Header: Depth=1
                                        ;     Child Loop BB871_831 Depth 2
	v_add_u32_e32 v0, v41, v38
	v_lshrrev_b32_e32 v43, 1, v0
	s_and_b64 vcc, exec, s[14:15]
	s_mov_b64 s[40:41], 0
	s_cbranch_vccnz .LBB871_827
; %bb.829:                              ;   in Loop: Header=BB871_828 Depth=1
	v_not_b32_e32 v0, v43
	v_lshl_add_u32 v0, v0, 3, v42
	ds_read_b64 v[0:1], v0
	v_lshl_add_u32 v44, v43, 3, v37
	ds_read_b64 v[44:45], v44
	v_mov_b64_e32 v[22:23], s[22:23]
	s_mov_b64 s[42:43], 0
	s_waitcnt lgkmcnt(1)
	v_mul_lo_u32 v46, s38, v1
	v_mul_lo_u32 v47, s39, v0
	v_mad_u64_u32 v[0:1], s[16:17], s38, v0, v[22:23]
	v_add3_u32 v1, v47, v1, v46
	s_waitcnt lgkmcnt(0)
	v_mul_lo_u32 v45, s38, v45
	v_mul_lo_u32 v46, s39, v44
	v_mad_u64_u32 v[22:23], s[16:17], s38, v44, v[22:23]
	v_add3_u32 v23, v46, v23, v45
	s_mov_b64 s[46:47], s[20:21]
                                        ; implicit-def: $sgpr40_sgpr41
                                        ; implicit-def: $sgpr44_sgpr45
                                        ; implicit-def: $sgpr16_sgpr17
                                        ; implicit-def: $sgpr48_sgpr49
	s_branch .LBB871_831
.LBB871_830:                            ;   in Loop: Header=BB871_831 Depth=2
	s_or_b64 exec, exec, s[52:53]
	s_and_b64 s[52:53], exec, s[44:45]
	s_or_b64 s[42:43], s[52:53], s[42:43]
	s_andn2_b64 s[48:49], s[48:49], exec
	s_and_b64 s[50:51], s[50:51], exec
	s_or_b64 s[48:49], s[48:49], s[50:51]
	s_andn2_b64 s[40:41], s[40:41], exec
	s_and_b64 s[50:51], s[16:17], exec
	s_or_b64 s[40:41], s[40:41], s[50:51]
	s_andn2_b64 exec, exec, s[42:43]
	s_cbranch_execz .LBB871_826
.LBB871_831:                            ;   Parent Loop BB871_828 Depth=1
                                        ; =>  This Inner Loop Header: Depth=2
	global_load_dword v44, v[0:1], off
	global_load_dword v45, v[22:23], off
	s_andn2_b64 s[52:53], s[16:17], exec
	s_or_b64 s[44:45], s[44:45], exec
	s_waitcnt vmcnt(0)
	v_cmp_ngt_f32_e64 s[16:17], v44, v45
	v_cmp_lt_f32_e32 vcc, v44, v45
	s_and_b64 s[50:51], s[16:17], s[48:49]
	s_or_b64 s[50:51], vcc, s[50:51]
	s_xor_b64 s[54:55], vcc, s[16:17]
	s_and_b64 s[16:17], s[50:51], exec
	s_or_b64 s[16:17], s[52:53], s[16:17]
	s_and_saveexec_b64 s[52:53], s[54:55]
	s_cbranch_execz .LBB871_830
; %bb.832:                              ;   in Loop: Header=BB871_831 Depth=2
	s_add_u32 s46, s46, -1
	s_addc_u32 s47, s47, -1
	s_cmp_eq_u64 s[46:47], 0
	s_cselect_b64 s[48:49], -1, 0
	s_andn2_b64 s[44:45], s[44:45], exec
	s_and_b64 s[48:49], s[48:49], exec
	v_lshl_add_u64 v[0:1], v[0:1], 0, 4
	v_lshl_add_u64 v[22:23], v[22:23], 0, 4
	s_andn2_b64 s[16:17], s[16:17], exec
	s_or_b64 s[44:45], s[44:45], s[48:49]
                                        ; implicit-def: $sgpr48_sgpr49
	s_branch .LBB871_830
.LBB871_833:
	s_or_b64 exec, exec, s[36:37]
.LBB871_834:
	s_or_b64 exec, exec, s[34:35]
	v_add_u32_e32 v0, v35, v40
	v_add_u32_e32 v23, v38, v39
	v_sub_u32_e32 v39, v0, v38
	v_cmp_le_u32_e32 vcc, v23, v35
	v_cmp_le_u32_e64 s[14:15], v39, v36
	s_or_b64 s[14:15], vcc, s[14:15]
	s_and_saveexec_b64 s[34:35], s[14:15]
	s_cbranch_execz .LBB871_902
; %bb.835:
	v_cmp_ge_u32_e32 vcc, v23, v35
	v_cmp_lt_u32_e64 s[14:15], v23, v35
                                        ; implicit-def: $vgpr0_vgpr1
	s_and_saveexec_b64 s[16:17], s[14:15]
; %bb.836:
	v_lshl_add_u32 v0, v38, 3, v37
	ds_read_b64 v[0:1], v0
; %bb.837:
	s_or_b64 exec, exec, s[16:17]
	v_cmp_ge_u32_e64 s[14:15], v39, v36
	v_cmp_lt_u32_e64 s[16:17], v39, v36
                                        ; implicit-def: $vgpr2_vgpr3
	s_and_saveexec_b64 s[36:37], s[16:17]
; %bb.838:
	v_lshl_add_u32 v2, v39, 3, v31
	ds_read_b64 v[2:3], v2
; %bb.839:
	s_or_b64 exec, exec, s[36:37]
	s_or_b64 s[16:17], vcc, s[14:15]
	s_nor_b64 s[38:39], s[16:17], s[28:29]
	s_xor_b64 s[16:17], vcc, -1
	s_or_b64 s[16:17], s[14:15], s[16:17]
	s_and_saveexec_b64 s[36:37], s[38:39]
	s_cbranch_execz .LBB871_845
; %bb.840:
	s_waitcnt lgkmcnt(0)
	v_mul_lo_u32 v6, v3, s20
	v_mul_lo_u32 v7, v2, s21
	v_mad_u64_u32 v[4:5], s[14:15], v2, s20, 0
	v_add3_u32 v5, v5, v7, v6
	v_mul_lo_u32 v8, v1, s20
	v_mul_lo_u32 v9, v0, s21
	v_mad_u64_u32 v[6:7], s[14:15], v0, s20, 0
	v_add3_u32 v7, v7, v9, v8
	v_lshl_add_u64 v[4:5], v[4:5], 2, s[22:23]
	v_lshl_add_u64 v[6:7], v[6:7], 2, s[22:23]
	s_mov_b64 s[38:39], 0
	s_mov_b64 s[44:45], s[20:21]
                                        ; implicit-def: $sgpr40_sgpr41
                                        ; implicit-def: $sgpr42_sgpr43
                                        ; implicit-def: $sgpr14_sgpr15
                                        ; implicit-def: $sgpr46_sgpr47
	s_branch .LBB871_842
.LBB871_841:                            ;   in Loop: Header=BB871_842 Depth=1
	s_or_b64 exec, exec, s[50:51]
	s_and_b64 s[50:51], exec, s[42:43]
	s_or_b64 s[38:39], s[50:51], s[38:39]
	s_andn2_b64 s[46:47], s[46:47], exec
	s_and_b64 s[48:49], s[48:49], exec
	s_or_b64 s[46:47], s[46:47], s[48:49]
	s_andn2_b64 s[40:41], s[40:41], exec
	s_and_b64 s[48:49], s[14:15], exec
	s_or_b64 s[40:41], s[40:41], s[48:49]
	s_andn2_b64 exec, exec, s[38:39]
	s_cbranch_execz .LBB871_844
.LBB871_842:                            ; =>This Inner Loop Header: Depth=1
	global_load_dword v8, v[4:5], off
	global_load_dword v9, v[6:7], off
	s_andn2_b64 s[50:51], s[14:15], exec
	s_or_b64 s[42:43], s[42:43], exec
	s_waitcnt vmcnt(0)
	v_cmp_ngt_f32_e64 s[14:15], v8, v9
	v_cmp_lt_f32_e32 vcc, v8, v9
	s_and_b64 s[48:49], s[14:15], s[46:47]
	s_or_b64 s[48:49], vcc, s[48:49]
	s_xor_b64 s[52:53], vcc, s[14:15]
	s_and_b64 s[14:15], s[48:49], exec
	s_or_b64 s[14:15], s[50:51], s[14:15]
	s_and_saveexec_b64 s[50:51], s[52:53]
	s_cbranch_execz .LBB871_841
; %bb.843:                              ;   in Loop: Header=BB871_842 Depth=1
	s_add_u32 s44, s44, -1
	s_addc_u32 s45, s45, -1
	s_cmp_eq_u64 s[44:45], 0
	s_cselect_b64 s[46:47], -1, 0
	s_andn2_b64 s[42:43], s[42:43], exec
	s_and_b64 s[46:47], s[46:47], exec
	v_lshl_add_u64 v[4:5], v[4:5], 0, 4
	v_lshl_add_u64 v[6:7], v[6:7], 0, 4
	s_andn2_b64 s[14:15], s[14:15], exec
	s_or_b64 s[42:43], s[42:43], s[46:47]
                                        ; implicit-def: $sgpr46_sgpr47
	s_branch .LBB871_841
.LBB871_844:
	s_or_b64 exec, exec, s[38:39]
	s_xor_b64 s[14:15], s[40:41], -1
	s_andn2_b64 s[16:17], s[16:17], exec
	s_and_b64 s[14:15], s[14:15], exec
	s_or_b64 s[16:17], s[16:17], s[14:15]
.LBB871_845:
	s_or_b64 exec, exec, s[36:37]
	v_cndmask_b32_e64 v4, v39, v23, s[16:17]
	v_cndmask_b32_e64 v5, v36, v35, s[16:17]
	v_add_u32_e32 v6, 1, v4
	v_add_u32_e32 v4, -1, v5
	v_min_u32_e32 v4, v6, v4
	v_lshl_add_u32 v4, v4, 3, v31
	ds_read_b64 v[4:5], v4
	v_cndmask_b32_e64 v8, v6, v39, s[16:17]
	v_cndmask_b32_e64 v9, v23, v6, s[16:17]
	v_cmp_lt_u32_e32 vcc, v8, v36
	s_mov_b64 s[38:39], -1
	s_waitcnt lgkmcnt(0)
	v_cndmask_b32_e64 v14, v5, v3, s[16:17]
	v_cndmask_b32_e64 v15, v4, v2, s[16:17]
	;; [unrolled: 1-line block ×4, first 2 shown]
	s_mov_b64 s[36:37], -1
	s_and_saveexec_b64 s[40:41], vcc
	s_cbranch_execz .LBB871_853
; %bb.846:
	v_cmp_lt_u32_e64 s[36:37], v9, v35
	s_and_b64 s[14:15], s[36:37], s[30:31]
	s_and_saveexec_b64 s[42:43], s[14:15]
	s_cbranch_execz .LBB871_852
; %bb.847:
	v_mul_lo_u32 v6, v14, s20
	v_mul_lo_u32 v7, v15, s21
	v_mad_u64_u32 v[4:5], s[14:15], v15, s20, 0
	v_add3_u32 v5, v5, v7, v6
	v_mul_lo_u32 v10, v16, s20
	v_mul_lo_u32 v11, v22, s21
	v_mad_u64_u32 v[6:7], s[14:15], v22, s20, 0
	v_add3_u32 v7, v7, v11, v10
	v_lshl_add_u64 v[4:5], v[4:5], 2, s[22:23]
	v_lshl_add_u64 v[6:7], v[6:7], 2, s[22:23]
	s_mov_b64 s[44:45], 0
	s_mov_b64 s[50:51], s[20:21]
                                        ; implicit-def: $sgpr46_sgpr47
                                        ; implicit-def: $sgpr48_sgpr49
                                        ; implicit-def: $sgpr14_sgpr15
                                        ; implicit-def: $sgpr52_sgpr53
	s_branch .LBB871_849
.LBB871_848:                            ;   in Loop: Header=BB871_849 Depth=1
	s_or_b64 exec, exec, s[56:57]
	s_and_b64 s[56:57], exec, s[48:49]
	s_or_b64 s[44:45], s[56:57], s[44:45]
	s_andn2_b64 s[52:53], s[52:53], exec
	s_and_b64 s[54:55], s[54:55], exec
	s_or_b64 s[52:53], s[52:53], s[54:55]
	s_andn2_b64 s[46:47], s[46:47], exec
	s_and_b64 s[54:55], s[14:15], exec
	s_or_b64 s[46:47], s[46:47], s[54:55]
	s_andn2_b64 exec, exec, s[44:45]
	s_cbranch_execz .LBB871_851
.LBB871_849:                            ; =>This Inner Loop Header: Depth=1
	global_load_dword v10, v[4:5], off
	global_load_dword v11, v[6:7], off
	s_andn2_b64 s[56:57], s[14:15], exec
	s_or_b64 s[48:49], s[48:49], exec
	s_waitcnt vmcnt(0)
	v_cmp_ngt_f32_e64 s[14:15], v10, v11
	v_cmp_lt_f32_e32 vcc, v10, v11
	s_and_b64 s[54:55], s[14:15], s[52:53]
	s_or_b64 s[54:55], vcc, s[54:55]
	s_xor_b64 s[58:59], vcc, s[14:15]
	s_and_b64 s[14:15], s[54:55], exec
	s_or_b64 s[14:15], s[56:57], s[14:15]
	s_and_saveexec_b64 s[56:57], s[58:59]
	s_cbranch_execz .LBB871_848
; %bb.850:                              ;   in Loop: Header=BB871_849 Depth=1
	s_add_u32 s50, s50, -1
	s_addc_u32 s51, s51, -1
	s_cmp_eq_u64 s[50:51], 0
	s_cselect_b64 s[52:53], -1, 0
	s_andn2_b64 s[48:49], s[48:49], exec
	s_and_b64 s[52:53], s[52:53], exec
	v_lshl_add_u64 v[4:5], v[4:5], 0, 4
	v_lshl_add_u64 v[6:7], v[6:7], 0, 4
	s_andn2_b64 s[14:15], s[14:15], exec
	s_or_b64 s[48:49], s[48:49], s[52:53]
                                        ; implicit-def: $sgpr52_sgpr53
	s_branch .LBB871_848
.LBB871_851:
	s_or_b64 exec, exec, s[44:45]
	s_xor_b64 s[14:15], s[46:47], -1
	s_andn2_b64 s[36:37], s[36:37], exec
	s_and_b64 s[14:15], s[14:15], exec
	s_or_b64 s[36:37], s[36:37], s[14:15]
.LBB871_852:
	s_or_b64 exec, exec, s[42:43]
	s_orn2_b64 s[36:37], s[36:37], exec
.LBB871_853:
	s_or_b64 exec, exec, s[40:41]
	v_cndmask_b32_e64 v4, v8, v9, s[36:37]
	v_cndmask_b32_e64 v5, v36, v35, s[36:37]
	v_add_u32_e32 v6, 1, v4
	v_add_u32_e32 v4, -1, v5
	v_min_u32_e32 v4, v6, v4
	v_lshl_add_u32 v4, v4, 3, v31
	ds_read_b64 v[4:5], v4
	v_cndmask_b32_e64 v8, v6, v8, s[36:37]
	v_cndmask_b32_e64 v9, v9, v6, s[36:37]
	v_cmp_lt_u32_e32 vcc, v8, v36
	s_waitcnt lgkmcnt(0)
	v_cndmask_b32_e64 v10, v5, v14, s[36:37]
	v_cndmask_b32_e64 v17, v4, v15, s[36:37]
	;; [unrolled: 1-line block ×4, first 2 shown]
	s_and_saveexec_b64 s[40:41], vcc
	s_cbranch_execz .LBB871_861
; %bb.854:
	v_cmp_lt_u32_e64 s[38:39], v9, v35
	s_and_b64 s[14:15], s[38:39], s[30:31]
	s_and_saveexec_b64 s[42:43], s[14:15]
	s_cbranch_execz .LBB871_860
; %bb.855:
	v_mul_lo_u32 v6, v10, s20
	v_mul_lo_u32 v7, v17, s21
	v_mad_u64_u32 v[4:5], s[14:15], v17, s20, 0
	v_add3_u32 v5, v5, v7, v6
	v_mul_lo_u32 v12, v11, s20
	v_mul_lo_u32 v13, v23, s21
	v_mad_u64_u32 v[6:7], s[14:15], v23, s20, 0
	v_add3_u32 v7, v7, v13, v12
	v_lshl_add_u64 v[4:5], v[4:5], 2, s[22:23]
	v_lshl_add_u64 v[6:7], v[6:7], 2, s[22:23]
	s_mov_b64 s[44:45], 0
	s_mov_b64 s[50:51], s[20:21]
                                        ; implicit-def: $sgpr46_sgpr47
                                        ; implicit-def: $sgpr48_sgpr49
                                        ; implicit-def: $sgpr14_sgpr15
                                        ; implicit-def: $sgpr52_sgpr53
	s_branch .LBB871_857
.LBB871_856:                            ;   in Loop: Header=BB871_857 Depth=1
	s_or_b64 exec, exec, s[56:57]
	s_and_b64 s[56:57], exec, s[48:49]
	s_or_b64 s[44:45], s[56:57], s[44:45]
	s_andn2_b64 s[52:53], s[52:53], exec
	s_and_b64 s[54:55], s[54:55], exec
	s_or_b64 s[52:53], s[52:53], s[54:55]
	s_andn2_b64 s[46:47], s[46:47], exec
	s_and_b64 s[54:55], s[14:15], exec
	s_or_b64 s[46:47], s[46:47], s[54:55]
	s_andn2_b64 exec, exec, s[44:45]
	s_cbranch_execz .LBB871_859
.LBB871_857:                            ; =>This Inner Loop Header: Depth=1
	global_load_dword v12, v[4:5], off
	global_load_dword v13, v[6:7], off
	s_andn2_b64 s[56:57], s[14:15], exec
	s_or_b64 s[48:49], s[48:49], exec
	s_waitcnt vmcnt(0)
	v_cmp_ngt_f32_e64 s[14:15], v12, v13
	v_cmp_lt_f32_e32 vcc, v12, v13
	s_and_b64 s[54:55], s[14:15], s[52:53]
	s_or_b64 s[54:55], vcc, s[54:55]
	s_xor_b64 s[58:59], vcc, s[14:15]
	s_and_b64 s[14:15], s[54:55], exec
	s_or_b64 s[14:15], s[56:57], s[14:15]
	s_and_saveexec_b64 s[56:57], s[58:59]
	s_cbranch_execz .LBB871_856
; %bb.858:                              ;   in Loop: Header=BB871_857 Depth=1
	s_add_u32 s50, s50, -1
	s_addc_u32 s51, s51, -1
	s_cmp_eq_u64 s[50:51], 0
	s_cselect_b64 s[52:53], -1, 0
	s_andn2_b64 s[48:49], s[48:49], exec
	s_and_b64 s[52:53], s[52:53], exec
	v_lshl_add_u64 v[4:5], v[4:5], 0, 4
	v_lshl_add_u64 v[6:7], v[6:7], 0, 4
	s_andn2_b64 s[14:15], s[14:15], exec
	s_or_b64 s[48:49], s[48:49], s[52:53]
                                        ; implicit-def: $sgpr52_sgpr53
	s_branch .LBB871_856
.LBB871_859:
	s_or_b64 exec, exec, s[44:45]
	s_xor_b64 s[14:15], s[46:47], -1
	s_andn2_b64 s[38:39], s[38:39], exec
	s_and_b64 s[14:15], s[14:15], exec
	s_or_b64 s[38:39], s[38:39], s[14:15]
.LBB871_860:
	s_or_b64 exec, exec, s[42:43]
	s_orn2_b64 s[38:39], s[38:39], exec
.LBB871_861:
	s_or_b64 exec, exec, s[40:41]
	v_cndmask_b32_e64 v4, v8, v9, s[38:39]
	v_cndmask_b32_e64 v5, v36, v35, s[38:39]
	v_add_u32_e32 v6, 1, v4
	v_add_u32_e32 v4, -1, v5
	v_min_u32_e32 v4, v6, v4
	v_lshl_add_u32 v4, v4, 3, v31
	ds_read_b64 v[4:5], v4
	v_cndmask_b32_e64 v8, v6, v8, s[38:39]
	v_cndmask_b32_e64 v9, v9, v6, s[38:39]
	v_cmp_lt_u32_e32 vcc, v8, v36
	s_mov_b64 s[42:43], -1
	s_waitcnt lgkmcnt(0)
	v_cndmask_b32_e64 v12, v5, v10, s[38:39]
	v_cndmask_b32_e64 v37, v4, v17, s[38:39]
	v_cndmask_b32_e64 v13, v11, v5, s[38:39]
	v_cndmask_b32_e64 v38, v23, v4, s[38:39]
	s_mov_b64 s[40:41], -1
	s_and_saveexec_b64 s[44:45], vcc
	s_cbranch_execz .LBB871_869
; %bb.862:
	v_cmp_lt_u32_e64 s[40:41], v9, v35
	s_and_b64 s[14:15], s[40:41], s[30:31]
	s_and_saveexec_b64 s[46:47], s[14:15]
	s_cbranch_execz .LBB871_868
; %bb.863:
	v_mul_lo_u32 v6, v12, s20
	v_mul_lo_u32 v7, v37, s21
	v_mad_u64_u32 v[4:5], s[14:15], v37, s20, 0
	v_add3_u32 v5, v5, v7, v6
	v_mul_lo_u32 v39, v13, s20
	v_mul_lo_u32 v40, v38, s21
	v_mad_u64_u32 v[6:7], s[14:15], v38, s20, 0
	v_add3_u32 v7, v7, v40, v39
	v_lshl_add_u64 v[4:5], v[4:5], 2, s[22:23]
	v_lshl_add_u64 v[6:7], v[6:7], 2, s[22:23]
	s_mov_b64 s[48:49], 0
	s_mov_b64 s[54:55], s[20:21]
                                        ; implicit-def: $sgpr50_sgpr51
                                        ; implicit-def: $sgpr52_sgpr53
                                        ; implicit-def: $sgpr14_sgpr15
                                        ; implicit-def: $sgpr56_sgpr57
	s_branch .LBB871_865
.LBB871_864:                            ;   in Loop: Header=BB871_865 Depth=1
	s_or_b64 exec, exec, s[60:61]
	s_and_b64 s[60:61], exec, s[52:53]
	s_or_b64 s[48:49], s[60:61], s[48:49]
	s_andn2_b64 s[56:57], s[56:57], exec
	s_and_b64 s[58:59], s[58:59], exec
	s_or_b64 s[56:57], s[56:57], s[58:59]
	s_andn2_b64 s[50:51], s[50:51], exec
	s_and_b64 s[58:59], s[14:15], exec
	s_or_b64 s[50:51], s[50:51], s[58:59]
	s_andn2_b64 exec, exec, s[48:49]
	s_cbranch_execz .LBB871_867
.LBB871_865:                            ; =>This Inner Loop Header: Depth=1
	global_load_dword v39, v[4:5], off
	global_load_dword v40, v[6:7], off
	s_andn2_b64 s[60:61], s[14:15], exec
	s_or_b64 s[52:53], s[52:53], exec
	s_waitcnt vmcnt(0)
	v_cmp_ngt_f32_e64 s[14:15], v39, v40
	v_cmp_lt_f32_e32 vcc, v39, v40
	s_and_b64 s[58:59], s[14:15], s[56:57]
	s_or_b64 s[58:59], vcc, s[58:59]
	s_xor_b64 s[62:63], vcc, s[14:15]
	s_and_b64 s[14:15], s[58:59], exec
	s_or_b64 s[14:15], s[60:61], s[14:15]
	s_and_saveexec_b64 s[60:61], s[62:63]
	s_cbranch_execz .LBB871_864
; %bb.866:                              ;   in Loop: Header=BB871_865 Depth=1
	s_add_u32 s54, s54, -1
	s_addc_u32 s55, s55, -1
	s_cmp_eq_u64 s[54:55], 0
	s_cselect_b64 s[56:57], -1, 0
	s_andn2_b64 s[52:53], s[52:53], exec
	s_and_b64 s[56:57], s[56:57], exec
	v_lshl_add_u64 v[4:5], v[4:5], 0, 4
	v_lshl_add_u64 v[6:7], v[6:7], 0, 4
	s_andn2_b64 s[14:15], s[14:15], exec
	s_or_b64 s[52:53], s[52:53], s[56:57]
                                        ; implicit-def: $sgpr56_sgpr57
	s_branch .LBB871_864
.LBB871_867:
	s_or_b64 exec, exec, s[48:49]
	s_xor_b64 s[14:15], s[50:51], -1
	s_andn2_b64 s[40:41], s[40:41], exec
	s_and_b64 s[14:15], s[14:15], exec
	s_or_b64 s[40:41], s[40:41], s[14:15]
.LBB871_868:
	s_or_b64 exec, exec, s[46:47]
	s_orn2_b64 s[40:41], s[40:41], exec
.LBB871_869:
	s_or_b64 exec, exec, s[44:45]
	v_cndmask_b32_e64 v4, v8, v9, s[40:41]
	v_cndmask_b32_e64 v5, v36, v35, s[40:41]
	v_add_u32_e32 v6, 1, v4
	v_add_u32_e32 v4, -1, v5
	v_min_u32_e32 v4, v6, v4
	v_lshl_add_u32 v4, v4, 3, v31
	ds_read_b64 v[4:5], v4
	v_cndmask_b32_e64 v45, v6, v8, s[40:41]
	v_cndmask_b32_e64 v46, v9, v6, s[40:41]
	v_cmp_lt_u32_e32 vcc, v45, v36
	s_waitcnt lgkmcnt(0)
	v_cndmask_b32_e64 v39, v5, v12, s[40:41]
	v_cndmask_b32_e64 v40, v4, v37, s[40:41]
	;; [unrolled: 1-line block ×4, first 2 shown]
	s_and_saveexec_b64 s[44:45], vcc
	s_cbranch_execz .LBB871_877
; %bb.870:
	v_cmp_lt_u32_e64 s[42:43], v46, v35
	s_and_b64 s[14:15], s[42:43], s[30:31]
	s_and_saveexec_b64 s[46:47], s[14:15]
	s_cbranch_execz .LBB871_876
; %bb.871:
	v_mul_lo_u32 v6, v39, s20
	v_mul_lo_u32 v7, v40, s21
	v_mad_u64_u32 v[4:5], s[14:15], v40, s20, 0
	v_add3_u32 v5, v5, v7, v6
	v_mul_lo_u32 v8, v41, s20
	v_mul_lo_u32 v9, v42, s21
	v_mad_u64_u32 v[6:7], s[14:15], v42, s20, 0
	v_add3_u32 v7, v7, v9, v8
	v_lshl_add_u64 v[4:5], v[4:5], 2, s[22:23]
	v_lshl_add_u64 v[6:7], v[6:7], 2, s[22:23]
	s_mov_b64 s[48:49], 0
	s_mov_b64 s[54:55], s[20:21]
                                        ; implicit-def: $sgpr50_sgpr51
                                        ; implicit-def: $sgpr52_sgpr53
                                        ; implicit-def: $sgpr14_sgpr15
                                        ; implicit-def: $sgpr56_sgpr57
	s_branch .LBB871_873
.LBB871_872:                            ;   in Loop: Header=BB871_873 Depth=1
	s_or_b64 exec, exec, s[60:61]
	s_and_b64 s[60:61], exec, s[52:53]
	s_or_b64 s[48:49], s[60:61], s[48:49]
	s_andn2_b64 s[56:57], s[56:57], exec
	s_and_b64 s[58:59], s[58:59], exec
	s_or_b64 s[56:57], s[56:57], s[58:59]
	s_andn2_b64 s[50:51], s[50:51], exec
	s_and_b64 s[58:59], s[14:15], exec
	s_or_b64 s[50:51], s[50:51], s[58:59]
	s_andn2_b64 exec, exec, s[48:49]
	s_cbranch_execz .LBB871_875
.LBB871_873:                            ; =>This Inner Loop Header: Depth=1
	global_load_dword v8, v[4:5], off
	global_load_dword v9, v[6:7], off
	s_andn2_b64 s[60:61], s[14:15], exec
	s_or_b64 s[52:53], s[52:53], exec
	s_waitcnt vmcnt(0)
	v_cmp_ngt_f32_e64 s[14:15], v8, v9
	v_cmp_lt_f32_e32 vcc, v8, v9
	s_and_b64 s[58:59], s[14:15], s[56:57]
	s_or_b64 s[58:59], vcc, s[58:59]
	s_xor_b64 s[62:63], vcc, s[14:15]
	s_and_b64 s[14:15], s[58:59], exec
	s_or_b64 s[14:15], s[60:61], s[14:15]
	s_and_saveexec_b64 s[60:61], s[62:63]
	s_cbranch_execz .LBB871_872
; %bb.874:                              ;   in Loop: Header=BB871_873 Depth=1
	s_add_u32 s54, s54, -1
	s_addc_u32 s55, s55, -1
	s_cmp_eq_u64 s[54:55], 0
	s_cselect_b64 s[56:57], -1, 0
	s_andn2_b64 s[52:53], s[52:53], exec
	s_and_b64 s[56:57], s[56:57], exec
	v_lshl_add_u64 v[4:5], v[4:5], 0, 4
	v_lshl_add_u64 v[6:7], v[6:7], 0, 4
	s_andn2_b64 s[14:15], s[14:15], exec
	s_or_b64 s[52:53], s[52:53], s[56:57]
                                        ; implicit-def: $sgpr56_sgpr57
	s_branch .LBB871_872
.LBB871_875:
	s_or_b64 exec, exec, s[48:49]
	s_xor_b64 s[14:15], s[50:51], -1
	s_andn2_b64 s[42:43], s[42:43], exec
	s_and_b64 s[14:15], s[14:15], exec
	s_or_b64 s[42:43], s[42:43], s[14:15]
.LBB871_876:
	s_or_b64 exec, exec, s[46:47]
	s_orn2_b64 s[42:43], s[42:43], exec
.LBB871_877:
	s_or_b64 exec, exec, s[44:45]
	v_cndmask_b32_e64 v4, v45, v46, s[42:43]
	v_cndmask_b32_e64 v5, v36, v35, s[42:43]
	v_add_u32_e32 v6, 1, v4
	v_add_u32_e32 v4, -1, v5
	v_min_u32_e32 v4, v6, v4
	v_lshl_add_u32 v4, v4, 3, v31
	ds_read_b64 v[4:5], v4
	v_cndmask_b32_e64 v47, v6, v45, s[42:43]
	v_cndmask_b32_e64 v51, v46, v6, s[42:43]
	v_cmp_lt_u32_e32 vcc, v47, v36
	s_mov_b64 s[44:45], -1
	s_waitcnt lgkmcnt(0)
	v_cndmask_b32_e64 v8, v5, v39, s[42:43]
	v_cndmask_b32_e64 v43, v4, v40, s[42:43]
	;; [unrolled: 1-line block ×4, first 2 shown]
	s_mov_b64 s[46:47], -1
	s_and_saveexec_b64 s[48:49], vcc
	s_cbranch_execz .LBB871_885
; %bb.878:
	v_cmp_lt_u32_e64 s[46:47], v51, v35
	s_and_b64 s[14:15], s[46:47], s[30:31]
	s_and_saveexec_b64 s[50:51], s[14:15]
	s_cbranch_execz .LBB871_884
; %bb.879:
	v_mul_lo_u32 v6, v8, s20
	v_mul_lo_u32 v7, v43, s21
	v_mad_u64_u32 v[4:5], s[14:15], v43, s20, 0
	v_add3_u32 v5, v5, v7, v6
	v_mul_lo_u32 v45, v9, s20
	v_mul_lo_u32 v46, v44, s21
	v_mad_u64_u32 v[6:7], s[14:15], v44, s20, 0
	v_add3_u32 v7, v7, v46, v45
	v_lshl_add_u64 v[4:5], v[4:5], 2, s[22:23]
	v_lshl_add_u64 v[6:7], v[6:7], 2, s[22:23]
	s_mov_b64 s[52:53], 0
	s_mov_b64 s[58:59], s[20:21]
                                        ; implicit-def: $sgpr54_sgpr55
                                        ; implicit-def: $sgpr56_sgpr57
                                        ; implicit-def: $sgpr14_sgpr15
                                        ; implicit-def: $sgpr60_sgpr61
	s_branch .LBB871_881
.LBB871_880:                            ;   in Loop: Header=BB871_881 Depth=1
	s_or_b64 exec, exec, s[64:65]
	s_and_b64 s[64:65], exec, s[56:57]
	s_or_b64 s[52:53], s[64:65], s[52:53]
	s_andn2_b64 s[60:61], s[60:61], exec
	s_and_b64 s[62:63], s[62:63], exec
	s_or_b64 s[60:61], s[60:61], s[62:63]
	s_andn2_b64 s[54:55], s[54:55], exec
	s_and_b64 s[62:63], s[14:15], exec
	s_or_b64 s[54:55], s[54:55], s[62:63]
	s_andn2_b64 exec, exec, s[52:53]
	s_cbranch_execz .LBB871_883
.LBB871_881:                            ; =>This Inner Loop Header: Depth=1
	global_load_dword v45, v[4:5], off
	global_load_dword v46, v[6:7], off
	s_andn2_b64 s[64:65], s[14:15], exec
	s_or_b64 s[56:57], s[56:57], exec
	s_waitcnt vmcnt(0)
	v_cmp_ngt_f32_e64 s[14:15], v45, v46
	v_cmp_lt_f32_e32 vcc, v45, v46
	s_and_b64 s[62:63], s[14:15], s[60:61]
	s_or_b64 s[62:63], vcc, s[62:63]
	s_xor_b64 s[66:67], vcc, s[14:15]
	s_and_b64 s[14:15], s[62:63], exec
	s_or_b64 s[14:15], s[64:65], s[14:15]
	s_and_saveexec_b64 s[64:65], s[66:67]
	s_cbranch_execz .LBB871_880
; %bb.882:                              ;   in Loop: Header=BB871_881 Depth=1
	s_add_u32 s58, s58, -1
	s_addc_u32 s59, s59, -1
	s_cmp_eq_u64 s[58:59], 0
	s_cselect_b64 s[60:61], -1, 0
	s_andn2_b64 s[56:57], s[56:57], exec
	s_and_b64 s[60:61], s[60:61], exec
	v_lshl_add_u64 v[4:5], v[4:5], 0, 4
	v_lshl_add_u64 v[6:7], v[6:7], 0, 4
	s_andn2_b64 s[14:15], s[14:15], exec
	s_or_b64 s[56:57], s[56:57], s[60:61]
                                        ; implicit-def: $sgpr60_sgpr61
	s_branch .LBB871_880
.LBB871_883:
	s_or_b64 exec, exec, s[52:53]
	s_xor_b64 s[14:15], s[54:55], -1
	s_andn2_b64 s[46:47], s[46:47], exec
	s_and_b64 s[14:15], s[14:15], exec
	s_or_b64 s[46:47], s[46:47], s[14:15]
.LBB871_884:
	s_or_b64 exec, exec, s[50:51]
	s_orn2_b64 s[46:47], s[46:47], exec
.LBB871_885:
	s_or_b64 exec, exec, s[48:49]
	v_cndmask_b32_e64 v4, v47, v51, s[46:47]
	v_cndmask_b32_e64 v5, v36, v35, s[46:47]
	v_add_u32_e32 v6, 1, v4
	v_add_u32_e32 v4, -1, v5
	v_min_u32_e32 v4, v6, v4
	v_lshl_add_u32 v4, v4, 3, v31
	ds_read_b64 v[4:5], v4
	v_cndmask_b32_e64 v48, v6, v47, s[46:47]
	v_cndmask_b32_e64 v47, v51, v6, s[46:47]
	v_cmp_lt_u32_e32 vcc, v48, v36
	s_waitcnt lgkmcnt(0)
	v_cndmask_b32_e64 v45, v5, v8, s[46:47]
	v_cndmask_b32_e64 v46, v4, v43, s[46:47]
	;; [unrolled: 1-line block ×4, first 2 shown]
	s_and_saveexec_b64 s[48:49], vcc
	s_cbranch_execz .LBB871_893
; %bb.886:
	v_cmp_lt_u32_e64 s[44:45], v47, v35
	s_and_b64 s[14:15], s[44:45], s[30:31]
	s_and_saveexec_b64 s[50:51], s[14:15]
	s_cbranch_execz .LBB871_892
; %bb.887:
	v_mul_lo_u32 v6, v45, s20
	v_mul_lo_u32 v7, v46, s21
	v_mad_u64_u32 v[4:5], s[14:15], v46, s20, 0
	v_add3_u32 v5, v5, v7, v6
	v_mul_lo_u32 v51, v49, s20
	v_mul_lo_u32 v52, v50, s21
	v_mad_u64_u32 v[6:7], s[14:15], v50, s20, 0
	v_add3_u32 v7, v7, v52, v51
	v_lshl_add_u64 v[4:5], v[4:5], 2, s[22:23]
	v_lshl_add_u64 v[6:7], v[6:7], 2, s[22:23]
	s_mov_b64 s[52:53], 0
	s_mov_b64 s[58:59], s[20:21]
                                        ; implicit-def: $sgpr54_sgpr55
                                        ; implicit-def: $sgpr56_sgpr57
                                        ; implicit-def: $sgpr14_sgpr15
                                        ; implicit-def: $sgpr60_sgpr61
	s_branch .LBB871_889
.LBB871_888:                            ;   in Loop: Header=BB871_889 Depth=1
	s_or_b64 exec, exec, s[64:65]
	s_and_b64 s[64:65], exec, s[56:57]
	s_or_b64 s[52:53], s[64:65], s[52:53]
	s_andn2_b64 s[60:61], s[60:61], exec
	s_and_b64 s[62:63], s[62:63], exec
	s_or_b64 s[60:61], s[60:61], s[62:63]
	s_andn2_b64 s[54:55], s[54:55], exec
	s_and_b64 s[62:63], s[14:15], exec
	s_or_b64 s[54:55], s[54:55], s[62:63]
	s_andn2_b64 exec, exec, s[52:53]
	s_cbranch_execz .LBB871_891
.LBB871_889:                            ; =>This Inner Loop Header: Depth=1
	global_load_dword v51, v[4:5], off
	global_load_dword v52, v[6:7], off
	s_andn2_b64 s[64:65], s[14:15], exec
	s_or_b64 s[56:57], s[56:57], exec
	s_waitcnt vmcnt(0)
	v_cmp_ngt_f32_e64 s[14:15], v51, v52
	v_cmp_lt_f32_e32 vcc, v51, v52
	s_and_b64 s[62:63], s[14:15], s[60:61]
	s_or_b64 s[62:63], vcc, s[62:63]
	s_xor_b64 s[66:67], vcc, s[14:15]
	s_and_b64 s[14:15], s[62:63], exec
	s_or_b64 s[14:15], s[64:65], s[14:15]
	s_and_saveexec_b64 s[64:65], s[66:67]
	s_cbranch_execz .LBB871_888
; %bb.890:                              ;   in Loop: Header=BB871_889 Depth=1
	s_add_u32 s58, s58, -1
	s_addc_u32 s59, s59, -1
	s_cmp_eq_u64 s[58:59], 0
	s_cselect_b64 s[60:61], -1, 0
	s_andn2_b64 s[56:57], s[56:57], exec
	s_and_b64 s[60:61], s[60:61], exec
	v_lshl_add_u64 v[4:5], v[4:5], 0, 4
	v_lshl_add_u64 v[6:7], v[6:7], 0, 4
	s_andn2_b64 s[14:15], s[14:15], exec
	s_or_b64 s[56:57], s[56:57], s[60:61]
                                        ; implicit-def: $sgpr60_sgpr61
	s_branch .LBB871_888
.LBB871_891:
	s_or_b64 exec, exec, s[52:53]
	s_xor_b64 s[14:15], s[54:55], -1
	s_andn2_b64 s[44:45], s[44:45], exec
	s_and_b64 s[14:15], s[14:15], exec
	s_or_b64 s[44:45], s[44:45], s[14:15]
.LBB871_892:
	s_or_b64 exec, exec, s[50:51]
	s_orn2_b64 s[44:45], s[44:45], exec
.LBB871_893:
	s_or_b64 exec, exec, s[48:49]
	v_cndmask_b32_e64 v4, v48, v47, s[44:45]
	v_cndmask_b32_e64 v5, v36, v35, s[44:45]
	v_cndmask_b32_e64 v13, v12, v13, s[40:41]
	v_cndmask_b32_e64 v12, v37, v38, s[40:41]
	v_add_u32_e32 v38, 1, v4
	v_add_u32_e32 v4, -1, v5
	v_min_u32_e32 v4, v38, v4
	v_lshl_add_u32 v4, v4, 3, v31
	v_cndmask_b32_e64 v11, v10, v11, s[38:39]
	v_cndmask_b32_e64 v10, v17, v23, s[38:39]
	;; [unrolled: 1-line block ×4, first 2 shown]
	ds_read_b64 v[22:23], v4
	v_cndmask_b32_e64 v14, v2, v0, s[16:17]
	v_cndmask_b32_e64 v0, v38, v48, s[44:45]
	v_cndmask_b32_e64 v9, v8, v9, s[46:47]
	v_cndmask_b32_e64 v8, v43, v44, s[46:47]
	v_cndmask_b32_e64 v7, v39, v41, s[42:43]
	v_cndmask_b32_e64 v6, v40, v42, s[42:43]
	v_cndmask_b32_e64 v15, v3, v1, s[16:17]
	v_cndmask_b32_e64 v3, v45, v49, s[44:45]
	v_cndmask_b32_e64 v2, v46, v50, s[44:45]
	s_waitcnt lgkmcnt(0)
	v_cndmask_b32_e64 v5, v49, v23, s[44:45]
	v_cndmask_b32_e64 v4, v50, v22, s[44:45]
	v_cmp_lt_u32_e32 vcc, v0, v36
	s_and_saveexec_b64 s[16:17], vcc
	s_cbranch_execz .LBB871_901
; %bb.894:
	v_cndmask_b32_e64 v0, v47, v38, s[44:45]
	v_cndmask_b32_e64 v36, v23, v45, s[44:45]
	;; [unrolled: 1-line block ×3, first 2 shown]
	v_cmp_ge_u32_e32 vcc, v0, v35
	s_nor_b64 s[14:15], vcc, s[28:29]
	s_nop 0
	v_cndmask_b32_e32 v1, v5, v36, vcc
	v_cndmask_b32_e32 v0, v4, v37, vcc
	s_and_saveexec_b64 s[36:37], s[14:15]
	s_cbranch_execz .LBB871_900
; %bb.895:
	v_mul_lo_u32 v22, v36, s20
	v_mul_lo_u32 v23, v37, s21
	v_mad_u64_u32 v[0:1], s[14:15], v37, s20, 0
	v_add3_u32 v1, v1, v23, v22
	v_mul_lo_u32 v35, v5, s20
	v_mul_lo_u32 v38, v4, s21
	v_mad_u64_u32 v[22:23], s[14:15], v4, s20, 0
	v_add3_u32 v23, v23, v38, v35
	v_lshl_add_u64 v[0:1], v[0:1], 2, s[22:23]
	v_lshl_add_u64 v[22:23], v[22:23], 2, s[22:23]
	s_mov_b64 s[38:39], 0
	s_mov_b64 s[44:45], s[20:21]
                                        ; implicit-def: $sgpr40_sgpr41
                                        ; implicit-def: $sgpr42_sgpr43
                                        ; implicit-def: $sgpr14_sgpr15
                                        ; implicit-def: $sgpr46_sgpr47
	s_branch .LBB871_897
.LBB871_896:                            ;   in Loop: Header=BB871_897 Depth=1
	s_or_b64 exec, exec, s[50:51]
	s_and_b64 s[50:51], exec, s[42:43]
	s_or_b64 s[38:39], s[50:51], s[38:39]
	s_andn2_b64 s[46:47], s[46:47], exec
	s_and_b64 s[48:49], s[48:49], exec
	s_or_b64 s[46:47], s[46:47], s[48:49]
	s_andn2_b64 s[40:41], s[40:41], exec
	s_and_b64 s[48:49], s[14:15], exec
	s_or_b64 s[40:41], s[40:41], s[48:49]
	s_andn2_b64 exec, exec, s[38:39]
	s_cbranch_execz .LBB871_899
.LBB871_897:                            ; =>This Inner Loop Header: Depth=1
	global_load_dword v35, v[0:1], off
	global_load_dword v38, v[22:23], off
	s_andn2_b64 s[50:51], s[14:15], exec
	s_or_b64 s[42:43], s[42:43], exec
	s_waitcnt vmcnt(0)
	v_cmp_ngt_f32_e64 s[14:15], v35, v38
	v_cmp_lt_f32_e32 vcc, v35, v38
	s_and_b64 s[48:49], s[14:15], s[46:47]
	s_or_b64 s[48:49], vcc, s[48:49]
	s_xor_b64 s[52:53], vcc, s[14:15]
	s_and_b64 s[14:15], s[48:49], exec
	s_or_b64 s[14:15], s[50:51], s[14:15]
	s_and_saveexec_b64 s[50:51], s[52:53]
	s_cbranch_execz .LBB871_896
; %bb.898:                              ;   in Loop: Header=BB871_897 Depth=1
	s_add_u32 s44, s44, -1
	s_addc_u32 s45, s45, -1
	s_cmp_eq_u64 s[44:45], 0
	s_cselect_b64 s[46:47], -1, 0
	s_andn2_b64 s[42:43], s[42:43], exec
	s_and_b64 s[46:47], s[46:47], exec
	v_lshl_add_u64 v[0:1], v[0:1], 0, 4
	v_lshl_add_u64 v[22:23], v[22:23], 0, 4
	s_andn2_b64 s[14:15], s[14:15], exec
	s_or_b64 s[42:43], s[42:43], s[46:47]
                                        ; implicit-def: $sgpr46_sgpr47
	s_branch .LBB871_896
.LBB871_899:
	s_or_b64 exec, exec, s[38:39]
	v_cndmask_b32_e64 v1, v5, v36, s[40:41]
	v_cndmask_b32_e64 v0, v4, v37, s[40:41]
.LBB871_900:
	s_or_b64 exec, exec, s[36:37]
	v_mov_b64_e32 v[4:5], v[0:1]
.LBB871_901:
	s_or_b64 exec, exec, s[16:17]
.LBB871_902:
	s_or_b64 exec, exec, s[34:35]
	v_and_b32_e32 v39, 0x3e0, v33
	v_or_b32_e32 v0, 16, v39
	v_min_u32_e32 v35, v32, v0
	v_add_u32_e32 v0, 16, v35
	v_min_u32_e32 v36, v32, v0
	v_and_b32_e32 v0, 24, v33
	v_min_u32_e32 v40, v32, v0
	v_sub_u32_e32 v0, v35, v39
	v_sub_u32_e32 v1, v36, v35
	v_sub_u32_e64 v38, v40, v1 clamp
	v_min_u32_e32 v41, v40, v0
	v_lshl_add_u32 v37, v39, 3, v31
	v_cmp_lt_u32_e32 vcc, v38, v41
	; wave barrier
	ds_write_b128 v34, v[14:17]
	ds_write_b128 v34, v[10:13] offset:16
	ds_write_b128 v34, v[6:9] offset:32
	;; [unrolled: 1-line block ×3, first 2 shown]
	; wave barrier
	s_and_saveexec_b64 s[34:35], vcc
	s_cbranch_execz .LBB871_912
; %bb.903:
	v_lshlrev_b32_e32 v0, 3, v35
	v_lshlrev_b32_e32 v1, 3, v40
	v_add3_u32 v42, v31, v0, v1
	v_cndmask_b32_e64 v0, 0, 1, s[18:19]
	s_lshl_b64 s[38:39], s[20:21], 2
	s_mov_b64 s[36:37], 0
	v_cmp_ne_u32_e64 s[14:15], 1, v0
	s_branch .LBB871_906
.LBB871_904:                            ;   in Loop: Header=BB871_906 Depth=1
	s_or_b64 exec, exec, s[42:43]
.LBB871_905:                            ;   in Loop: Header=BB871_906 Depth=1
	v_add_u32_e32 v0, 1, v43
	v_cndmask_b32_e64 v41, v41, v43, s[40:41]
	v_cndmask_b32_e64 v38, v0, v38, s[40:41]
	v_cmp_ge_u32_e32 vcc, v38, v41
	s_or_b64 s[36:37], vcc, s[36:37]
	s_andn2_b64 exec, exec, s[36:37]
	s_cbranch_execz .LBB871_911
.LBB871_906:                            ; =>This Loop Header: Depth=1
                                        ;     Child Loop BB871_909 Depth 2
	v_add_u32_e32 v0, v41, v38
	v_lshrrev_b32_e32 v43, 1, v0
	s_and_b64 vcc, exec, s[14:15]
	s_mov_b64 s[40:41], 0
	s_cbranch_vccnz .LBB871_905
; %bb.907:                              ;   in Loop: Header=BB871_906 Depth=1
	v_not_b32_e32 v0, v43
	v_lshl_add_u32 v0, v0, 3, v42
	ds_read_b64 v[0:1], v0
	v_lshl_add_u32 v44, v43, 3, v37
	ds_read_b64 v[44:45], v44
	v_mov_b64_e32 v[22:23], s[22:23]
	s_mov_b64 s[42:43], 0
	s_waitcnt lgkmcnt(1)
	v_mul_lo_u32 v46, s38, v1
	v_mul_lo_u32 v47, s39, v0
	v_mad_u64_u32 v[0:1], s[16:17], s38, v0, v[22:23]
	v_add3_u32 v1, v47, v1, v46
	s_waitcnt lgkmcnt(0)
	v_mul_lo_u32 v45, s38, v45
	v_mul_lo_u32 v46, s39, v44
	v_mad_u64_u32 v[22:23], s[16:17], s38, v44, v[22:23]
	v_add3_u32 v23, v46, v23, v45
	s_mov_b64 s[46:47], s[20:21]
                                        ; implicit-def: $sgpr40_sgpr41
                                        ; implicit-def: $sgpr44_sgpr45
                                        ; implicit-def: $sgpr16_sgpr17
                                        ; implicit-def: $sgpr48_sgpr49
	s_branch .LBB871_909
.LBB871_908:                            ;   in Loop: Header=BB871_909 Depth=2
	s_or_b64 exec, exec, s[52:53]
	s_and_b64 s[52:53], exec, s[44:45]
	s_or_b64 s[42:43], s[52:53], s[42:43]
	s_andn2_b64 s[48:49], s[48:49], exec
	s_and_b64 s[50:51], s[50:51], exec
	s_or_b64 s[48:49], s[48:49], s[50:51]
	s_andn2_b64 s[40:41], s[40:41], exec
	s_and_b64 s[50:51], s[16:17], exec
	s_or_b64 s[40:41], s[40:41], s[50:51]
	s_andn2_b64 exec, exec, s[42:43]
	s_cbranch_execz .LBB871_904
.LBB871_909:                            ;   Parent Loop BB871_906 Depth=1
                                        ; =>  This Inner Loop Header: Depth=2
	global_load_dword v44, v[0:1], off
	global_load_dword v45, v[22:23], off
	s_andn2_b64 s[52:53], s[16:17], exec
	s_or_b64 s[44:45], s[44:45], exec
	s_waitcnt vmcnt(0)
	v_cmp_ngt_f32_e64 s[16:17], v44, v45
	v_cmp_lt_f32_e32 vcc, v44, v45
	s_and_b64 s[50:51], s[16:17], s[48:49]
	s_or_b64 s[50:51], vcc, s[50:51]
	s_xor_b64 s[54:55], vcc, s[16:17]
	s_and_b64 s[16:17], s[50:51], exec
	s_or_b64 s[16:17], s[52:53], s[16:17]
	s_and_saveexec_b64 s[52:53], s[54:55]
	s_cbranch_execz .LBB871_908
; %bb.910:                              ;   in Loop: Header=BB871_909 Depth=2
	s_add_u32 s46, s46, -1
	s_addc_u32 s47, s47, -1
	s_cmp_eq_u64 s[46:47], 0
	s_cselect_b64 s[48:49], -1, 0
	s_andn2_b64 s[44:45], s[44:45], exec
	s_and_b64 s[48:49], s[48:49], exec
	v_lshl_add_u64 v[0:1], v[0:1], 0, 4
	v_lshl_add_u64 v[22:23], v[22:23], 0, 4
	s_andn2_b64 s[16:17], s[16:17], exec
	s_or_b64 s[44:45], s[44:45], s[48:49]
                                        ; implicit-def: $sgpr48_sgpr49
	s_branch .LBB871_908
.LBB871_911:
	s_or_b64 exec, exec, s[36:37]
.LBB871_912:
	s_or_b64 exec, exec, s[34:35]
	v_add_u32_e32 v0, v35, v40
	v_add_u32_e32 v23, v38, v39
	v_sub_u32_e32 v39, v0, v38
	v_cmp_le_u32_e32 vcc, v23, v35
	v_cmp_le_u32_e64 s[14:15], v39, v36
	s_or_b64 s[14:15], vcc, s[14:15]
	s_and_saveexec_b64 s[34:35], s[14:15]
	s_cbranch_execz .LBB871_980
; %bb.913:
	v_cmp_ge_u32_e32 vcc, v23, v35
	v_cmp_lt_u32_e64 s[14:15], v23, v35
                                        ; implicit-def: $vgpr0_vgpr1
	s_and_saveexec_b64 s[16:17], s[14:15]
; %bb.914:
	v_lshl_add_u32 v0, v38, 3, v37
	ds_read_b64 v[0:1], v0
; %bb.915:
	s_or_b64 exec, exec, s[16:17]
	v_cmp_ge_u32_e64 s[14:15], v39, v36
	v_cmp_lt_u32_e64 s[16:17], v39, v36
                                        ; implicit-def: $vgpr2_vgpr3
	s_and_saveexec_b64 s[36:37], s[16:17]
; %bb.916:
	v_lshl_add_u32 v2, v39, 3, v31
	ds_read_b64 v[2:3], v2
; %bb.917:
	s_or_b64 exec, exec, s[36:37]
	s_or_b64 s[16:17], vcc, s[14:15]
	s_nor_b64 s[38:39], s[16:17], s[28:29]
	s_xor_b64 s[16:17], vcc, -1
	s_or_b64 s[16:17], s[14:15], s[16:17]
	s_and_saveexec_b64 s[36:37], s[38:39]
	s_cbranch_execz .LBB871_923
; %bb.918:
	s_waitcnt lgkmcnt(0)
	v_mul_lo_u32 v6, v3, s20
	v_mul_lo_u32 v7, v2, s21
	v_mad_u64_u32 v[4:5], s[14:15], v2, s20, 0
	v_add3_u32 v5, v5, v7, v6
	v_mul_lo_u32 v8, v1, s20
	v_mul_lo_u32 v9, v0, s21
	v_mad_u64_u32 v[6:7], s[14:15], v0, s20, 0
	v_add3_u32 v7, v7, v9, v8
	v_lshl_add_u64 v[4:5], v[4:5], 2, s[22:23]
	v_lshl_add_u64 v[6:7], v[6:7], 2, s[22:23]
	s_mov_b64 s[38:39], 0
	s_mov_b64 s[44:45], s[20:21]
                                        ; implicit-def: $sgpr40_sgpr41
                                        ; implicit-def: $sgpr42_sgpr43
                                        ; implicit-def: $sgpr14_sgpr15
                                        ; implicit-def: $sgpr46_sgpr47
	s_branch .LBB871_920
.LBB871_919:                            ;   in Loop: Header=BB871_920 Depth=1
	s_or_b64 exec, exec, s[50:51]
	s_and_b64 s[50:51], exec, s[42:43]
	s_or_b64 s[38:39], s[50:51], s[38:39]
	s_andn2_b64 s[46:47], s[46:47], exec
	s_and_b64 s[48:49], s[48:49], exec
	s_or_b64 s[46:47], s[46:47], s[48:49]
	s_andn2_b64 s[40:41], s[40:41], exec
	s_and_b64 s[48:49], s[14:15], exec
	s_or_b64 s[40:41], s[40:41], s[48:49]
	s_andn2_b64 exec, exec, s[38:39]
	s_cbranch_execz .LBB871_922
.LBB871_920:                            ; =>This Inner Loop Header: Depth=1
	global_load_dword v8, v[4:5], off
	global_load_dword v9, v[6:7], off
	s_andn2_b64 s[50:51], s[14:15], exec
	s_or_b64 s[42:43], s[42:43], exec
	s_waitcnt vmcnt(0)
	v_cmp_ngt_f32_e64 s[14:15], v8, v9
	v_cmp_lt_f32_e32 vcc, v8, v9
	s_and_b64 s[48:49], s[14:15], s[46:47]
	s_or_b64 s[48:49], vcc, s[48:49]
	s_xor_b64 s[52:53], vcc, s[14:15]
	s_and_b64 s[14:15], s[48:49], exec
	s_or_b64 s[14:15], s[50:51], s[14:15]
	s_and_saveexec_b64 s[50:51], s[52:53]
	s_cbranch_execz .LBB871_919
; %bb.921:                              ;   in Loop: Header=BB871_920 Depth=1
	s_add_u32 s44, s44, -1
	s_addc_u32 s45, s45, -1
	s_cmp_eq_u64 s[44:45], 0
	s_cselect_b64 s[46:47], -1, 0
	s_andn2_b64 s[42:43], s[42:43], exec
	s_and_b64 s[46:47], s[46:47], exec
	v_lshl_add_u64 v[4:5], v[4:5], 0, 4
	v_lshl_add_u64 v[6:7], v[6:7], 0, 4
	s_andn2_b64 s[14:15], s[14:15], exec
	s_or_b64 s[42:43], s[42:43], s[46:47]
                                        ; implicit-def: $sgpr46_sgpr47
	s_branch .LBB871_919
.LBB871_922:
	s_or_b64 exec, exec, s[38:39]
	s_xor_b64 s[14:15], s[40:41], -1
	s_andn2_b64 s[16:17], s[16:17], exec
	s_and_b64 s[14:15], s[14:15], exec
	s_or_b64 s[16:17], s[16:17], s[14:15]
.LBB871_923:
	s_or_b64 exec, exec, s[36:37]
	v_cndmask_b32_e64 v4, v39, v23, s[16:17]
	v_cndmask_b32_e64 v5, v36, v35, s[16:17]
	v_add_u32_e32 v6, 1, v4
	v_add_u32_e32 v4, -1, v5
	v_min_u32_e32 v4, v6, v4
	v_lshl_add_u32 v4, v4, 3, v31
	ds_read_b64 v[4:5], v4
	v_cndmask_b32_e64 v8, v6, v39, s[16:17]
	v_cndmask_b32_e64 v9, v23, v6, s[16:17]
	v_cmp_lt_u32_e32 vcc, v8, v36
	s_mov_b64 s[38:39], -1
	s_waitcnt lgkmcnt(0)
	v_cndmask_b32_e64 v14, v5, v3, s[16:17]
	v_cndmask_b32_e64 v15, v4, v2, s[16:17]
	;; [unrolled: 1-line block ×4, first 2 shown]
	s_mov_b64 s[36:37], -1
	s_and_saveexec_b64 s[40:41], vcc
	s_cbranch_execz .LBB871_931
; %bb.924:
	v_cmp_lt_u32_e64 s[36:37], v9, v35
	s_and_b64 s[14:15], s[36:37], s[30:31]
	s_and_saveexec_b64 s[42:43], s[14:15]
	s_cbranch_execz .LBB871_930
; %bb.925:
	v_mul_lo_u32 v6, v14, s20
	v_mul_lo_u32 v7, v15, s21
	v_mad_u64_u32 v[4:5], s[14:15], v15, s20, 0
	v_add3_u32 v5, v5, v7, v6
	v_mul_lo_u32 v10, v16, s20
	v_mul_lo_u32 v11, v22, s21
	v_mad_u64_u32 v[6:7], s[14:15], v22, s20, 0
	v_add3_u32 v7, v7, v11, v10
	v_lshl_add_u64 v[4:5], v[4:5], 2, s[22:23]
	v_lshl_add_u64 v[6:7], v[6:7], 2, s[22:23]
	s_mov_b64 s[44:45], 0
	s_mov_b64 s[50:51], s[20:21]
                                        ; implicit-def: $sgpr46_sgpr47
                                        ; implicit-def: $sgpr48_sgpr49
                                        ; implicit-def: $sgpr14_sgpr15
                                        ; implicit-def: $sgpr52_sgpr53
	s_branch .LBB871_927
.LBB871_926:                            ;   in Loop: Header=BB871_927 Depth=1
	s_or_b64 exec, exec, s[56:57]
	s_and_b64 s[56:57], exec, s[48:49]
	s_or_b64 s[44:45], s[56:57], s[44:45]
	s_andn2_b64 s[52:53], s[52:53], exec
	s_and_b64 s[54:55], s[54:55], exec
	s_or_b64 s[52:53], s[52:53], s[54:55]
	s_andn2_b64 s[46:47], s[46:47], exec
	s_and_b64 s[54:55], s[14:15], exec
	s_or_b64 s[46:47], s[46:47], s[54:55]
	s_andn2_b64 exec, exec, s[44:45]
	s_cbranch_execz .LBB871_929
.LBB871_927:                            ; =>This Inner Loop Header: Depth=1
	global_load_dword v10, v[4:5], off
	global_load_dword v11, v[6:7], off
	s_andn2_b64 s[56:57], s[14:15], exec
	s_or_b64 s[48:49], s[48:49], exec
	s_waitcnt vmcnt(0)
	v_cmp_ngt_f32_e64 s[14:15], v10, v11
	v_cmp_lt_f32_e32 vcc, v10, v11
	s_and_b64 s[54:55], s[14:15], s[52:53]
	s_or_b64 s[54:55], vcc, s[54:55]
	s_xor_b64 s[58:59], vcc, s[14:15]
	s_and_b64 s[14:15], s[54:55], exec
	s_or_b64 s[14:15], s[56:57], s[14:15]
	s_and_saveexec_b64 s[56:57], s[58:59]
	s_cbranch_execz .LBB871_926
; %bb.928:                              ;   in Loop: Header=BB871_927 Depth=1
	s_add_u32 s50, s50, -1
	s_addc_u32 s51, s51, -1
	s_cmp_eq_u64 s[50:51], 0
	s_cselect_b64 s[52:53], -1, 0
	s_andn2_b64 s[48:49], s[48:49], exec
	s_and_b64 s[52:53], s[52:53], exec
	v_lshl_add_u64 v[4:5], v[4:5], 0, 4
	v_lshl_add_u64 v[6:7], v[6:7], 0, 4
	s_andn2_b64 s[14:15], s[14:15], exec
	s_or_b64 s[48:49], s[48:49], s[52:53]
                                        ; implicit-def: $sgpr52_sgpr53
	s_branch .LBB871_926
.LBB871_929:
	s_or_b64 exec, exec, s[44:45]
	s_xor_b64 s[14:15], s[46:47], -1
	s_andn2_b64 s[36:37], s[36:37], exec
	s_and_b64 s[14:15], s[14:15], exec
	s_or_b64 s[36:37], s[36:37], s[14:15]
.LBB871_930:
	s_or_b64 exec, exec, s[42:43]
	s_orn2_b64 s[36:37], s[36:37], exec
.LBB871_931:
	s_or_b64 exec, exec, s[40:41]
	v_cndmask_b32_e64 v4, v8, v9, s[36:37]
	v_cndmask_b32_e64 v5, v36, v35, s[36:37]
	v_add_u32_e32 v6, 1, v4
	v_add_u32_e32 v4, -1, v5
	v_min_u32_e32 v4, v6, v4
	v_lshl_add_u32 v4, v4, 3, v31
	ds_read_b64 v[4:5], v4
	v_cndmask_b32_e64 v8, v6, v8, s[36:37]
	v_cndmask_b32_e64 v9, v9, v6, s[36:37]
	v_cmp_lt_u32_e32 vcc, v8, v36
	s_waitcnt lgkmcnt(0)
	v_cndmask_b32_e64 v10, v5, v14, s[36:37]
	v_cndmask_b32_e64 v17, v4, v15, s[36:37]
	;; [unrolled: 1-line block ×4, first 2 shown]
	s_and_saveexec_b64 s[40:41], vcc
	s_cbranch_execz .LBB871_939
; %bb.932:
	v_cmp_lt_u32_e64 s[38:39], v9, v35
	s_and_b64 s[14:15], s[38:39], s[30:31]
	s_and_saveexec_b64 s[42:43], s[14:15]
	s_cbranch_execz .LBB871_938
; %bb.933:
	v_mul_lo_u32 v6, v10, s20
	v_mul_lo_u32 v7, v17, s21
	v_mad_u64_u32 v[4:5], s[14:15], v17, s20, 0
	v_add3_u32 v5, v5, v7, v6
	v_mul_lo_u32 v12, v11, s20
	v_mul_lo_u32 v13, v23, s21
	v_mad_u64_u32 v[6:7], s[14:15], v23, s20, 0
	v_add3_u32 v7, v7, v13, v12
	v_lshl_add_u64 v[4:5], v[4:5], 2, s[22:23]
	v_lshl_add_u64 v[6:7], v[6:7], 2, s[22:23]
	s_mov_b64 s[44:45], 0
	s_mov_b64 s[50:51], s[20:21]
                                        ; implicit-def: $sgpr46_sgpr47
                                        ; implicit-def: $sgpr48_sgpr49
                                        ; implicit-def: $sgpr14_sgpr15
                                        ; implicit-def: $sgpr52_sgpr53
	s_branch .LBB871_935
.LBB871_934:                            ;   in Loop: Header=BB871_935 Depth=1
	s_or_b64 exec, exec, s[56:57]
	s_and_b64 s[56:57], exec, s[48:49]
	s_or_b64 s[44:45], s[56:57], s[44:45]
	s_andn2_b64 s[52:53], s[52:53], exec
	s_and_b64 s[54:55], s[54:55], exec
	s_or_b64 s[52:53], s[52:53], s[54:55]
	s_andn2_b64 s[46:47], s[46:47], exec
	s_and_b64 s[54:55], s[14:15], exec
	s_or_b64 s[46:47], s[46:47], s[54:55]
	s_andn2_b64 exec, exec, s[44:45]
	s_cbranch_execz .LBB871_937
.LBB871_935:                            ; =>This Inner Loop Header: Depth=1
	global_load_dword v12, v[4:5], off
	global_load_dword v13, v[6:7], off
	s_andn2_b64 s[56:57], s[14:15], exec
	s_or_b64 s[48:49], s[48:49], exec
	s_waitcnt vmcnt(0)
	v_cmp_ngt_f32_e64 s[14:15], v12, v13
	v_cmp_lt_f32_e32 vcc, v12, v13
	s_and_b64 s[54:55], s[14:15], s[52:53]
	s_or_b64 s[54:55], vcc, s[54:55]
	s_xor_b64 s[58:59], vcc, s[14:15]
	s_and_b64 s[14:15], s[54:55], exec
	s_or_b64 s[14:15], s[56:57], s[14:15]
	s_and_saveexec_b64 s[56:57], s[58:59]
	s_cbranch_execz .LBB871_934
; %bb.936:                              ;   in Loop: Header=BB871_935 Depth=1
	s_add_u32 s50, s50, -1
	s_addc_u32 s51, s51, -1
	s_cmp_eq_u64 s[50:51], 0
	s_cselect_b64 s[52:53], -1, 0
	s_andn2_b64 s[48:49], s[48:49], exec
	s_and_b64 s[52:53], s[52:53], exec
	v_lshl_add_u64 v[4:5], v[4:5], 0, 4
	v_lshl_add_u64 v[6:7], v[6:7], 0, 4
	s_andn2_b64 s[14:15], s[14:15], exec
	s_or_b64 s[48:49], s[48:49], s[52:53]
                                        ; implicit-def: $sgpr52_sgpr53
	s_branch .LBB871_934
.LBB871_937:
	s_or_b64 exec, exec, s[44:45]
	s_xor_b64 s[14:15], s[46:47], -1
	s_andn2_b64 s[38:39], s[38:39], exec
	s_and_b64 s[14:15], s[14:15], exec
	s_or_b64 s[38:39], s[38:39], s[14:15]
.LBB871_938:
	s_or_b64 exec, exec, s[42:43]
	s_orn2_b64 s[38:39], s[38:39], exec
.LBB871_939:
	s_or_b64 exec, exec, s[40:41]
	v_cndmask_b32_e64 v4, v8, v9, s[38:39]
	v_cndmask_b32_e64 v5, v36, v35, s[38:39]
	v_add_u32_e32 v6, 1, v4
	v_add_u32_e32 v4, -1, v5
	v_min_u32_e32 v4, v6, v4
	v_lshl_add_u32 v4, v4, 3, v31
	ds_read_b64 v[4:5], v4
	v_cndmask_b32_e64 v8, v6, v8, s[38:39]
	v_cndmask_b32_e64 v9, v9, v6, s[38:39]
	v_cmp_lt_u32_e32 vcc, v8, v36
	s_mov_b64 s[42:43], -1
	s_waitcnt lgkmcnt(0)
	v_cndmask_b32_e64 v12, v5, v10, s[38:39]
	v_cndmask_b32_e64 v37, v4, v17, s[38:39]
	;; [unrolled: 1-line block ×4, first 2 shown]
	s_mov_b64 s[40:41], -1
	s_and_saveexec_b64 s[44:45], vcc
	s_cbranch_execz .LBB871_947
; %bb.940:
	v_cmp_lt_u32_e64 s[40:41], v9, v35
	s_and_b64 s[14:15], s[40:41], s[30:31]
	s_and_saveexec_b64 s[46:47], s[14:15]
	s_cbranch_execz .LBB871_946
; %bb.941:
	v_mul_lo_u32 v6, v12, s20
	v_mul_lo_u32 v7, v37, s21
	v_mad_u64_u32 v[4:5], s[14:15], v37, s20, 0
	v_add3_u32 v5, v5, v7, v6
	v_mul_lo_u32 v39, v13, s20
	v_mul_lo_u32 v40, v38, s21
	v_mad_u64_u32 v[6:7], s[14:15], v38, s20, 0
	v_add3_u32 v7, v7, v40, v39
	v_lshl_add_u64 v[4:5], v[4:5], 2, s[22:23]
	v_lshl_add_u64 v[6:7], v[6:7], 2, s[22:23]
	s_mov_b64 s[48:49], 0
	s_mov_b64 s[54:55], s[20:21]
                                        ; implicit-def: $sgpr50_sgpr51
                                        ; implicit-def: $sgpr52_sgpr53
                                        ; implicit-def: $sgpr14_sgpr15
                                        ; implicit-def: $sgpr56_sgpr57
	s_branch .LBB871_943
.LBB871_942:                            ;   in Loop: Header=BB871_943 Depth=1
	s_or_b64 exec, exec, s[60:61]
	s_and_b64 s[60:61], exec, s[52:53]
	s_or_b64 s[48:49], s[60:61], s[48:49]
	s_andn2_b64 s[56:57], s[56:57], exec
	s_and_b64 s[58:59], s[58:59], exec
	s_or_b64 s[56:57], s[56:57], s[58:59]
	s_andn2_b64 s[50:51], s[50:51], exec
	s_and_b64 s[58:59], s[14:15], exec
	s_or_b64 s[50:51], s[50:51], s[58:59]
	s_andn2_b64 exec, exec, s[48:49]
	s_cbranch_execz .LBB871_945
.LBB871_943:                            ; =>This Inner Loop Header: Depth=1
	global_load_dword v39, v[4:5], off
	global_load_dword v40, v[6:7], off
	s_andn2_b64 s[60:61], s[14:15], exec
	s_or_b64 s[52:53], s[52:53], exec
	s_waitcnt vmcnt(0)
	v_cmp_ngt_f32_e64 s[14:15], v39, v40
	v_cmp_lt_f32_e32 vcc, v39, v40
	s_and_b64 s[58:59], s[14:15], s[56:57]
	s_or_b64 s[58:59], vcc, s[58:59]
	s_xor_b64 s[62:63], vcc, s[14:15]
	s_and_b64 s[14:15], s[58:59], exec
	s_or_b64 s[14:15], s[60:61], s[14:15]
	s_and_saveexec_b64 s[60:61], s[62:63]
	s_cbranch_execz .LBB871_942
; %bb.944:                              ;   in Loop: Header=BB871_943 Depth=1
	s_add_u32 s54, s54, -1
	s_addc_u32 s55, s55, -1
	s_cmp_eq_u64 s[54:55], 0
	s_cselect_b64 s[56:57], -1, 0
	s_andn2_b64 s[52:53], s[52:53], exec
	s_and_b64 s[56:57], s[56:57], exec
	v_lshl_add_u64 v[4:5], v[4:5], 0, 4
	v_lshl_add_u64 v[6:7], v[6:7], 0, 4
	s_andn2_b64 s[14:15], s[14:15], exec
	s_or_b64 s[52:53], s[52:53], s[56:57]
                                        ; implicit-def: $sgpr56_sgpr57
	s_branch .LBB871_942
.LBB871_945:
	s_or_b64 exec, exec, s[48:49]
	s_xor_b64 s[14:15], s[50:51], -1
	s_andn2_b64 s[40:41], s[40:41], exec
	s_and_b64 s[14:15], s[14:15], exec
	s_or_b64 s[40:41], s[40:41], s[14:15]
.LBB871_946:
	s_or_b64 exec, exec, s[46:47]
	s_orn2_b64 s[40:41], s[40:41], exec
.LBB871_947:
	s_or_b64 exec, exec, s[44:45]
	v_cndmask_b32_e64 v4, v8, v9, s[40:41]
	v_cndmask_b32_e64 v5, v36, v35, s[40:41]
	v_add_u32_e32 v6, 1, v4
	v_add_u32_e32 v4, -1, v5
	v_min_u32_e32 v4, v6, v4
	v_lshl_add_u32 v4, v4, 3, v31
	ds_read_b64 v[4:5], v4
	v_cndmask_b32_e64 v45, v6, v8, s[40:41]
	v_cndmask_b32_e64 v46, v9, v6, s[40:41]
	v_cmp_lt_u32_e32 vcc, v45, v36
	s_waitcnt lgkmcnt(0)
	v_cndmask_b32_e64 v39, v5, v12, s[40:41]
	v_cndmask_b32_e64 v40, v4, v37, s[40:41]
	v_cndmask_b32_e64 v41, v13, v5, s[40:41]
	v_cndmask_b32_e64 v42, v38, v4, s[40:41]
	s_and_saveexec_b64 s[44:45], vcc
	s_cbranch_execz .LBB871_955
; %bb.948:
	v_cmp_lt_u32_e64 s[42:43], v46, v35
	s_and_b64 s[14:15], s[42:43], s[30:31]
	s_and_saveexec_b64 s[46:47], s[14:15]
	s_cbranch_execz .LBB871_954
; %bb.949:
	v_mul_lo_u32 v6, v39, s20
	v_mul_lo_u32 v7, v40, s21
	v_mad_u64_u32 v[4:5], s[14:15], v40, s20, 0
	v_add3_u32 v5, v5, v7, v6
	v_mul_lo_u32 v8, v41, s20
	v_mul_lo_u32 v9, v42, s21
	v_mad_u64_u32 v[6:7], s[14:15], v42, s20, 0
	v_add3_u32 v7, v7, v9, v8
	v_lshl_add_u64 v[4:5], v[4:5], 2, s[22:23]
	v_lshl_add_u64 v[6:7], v[6:7], 2, s[22:23]
	s_mov_b64 s[48:49], 0
	s_mov_b64 s[54:55], s[20:21]
                                        ; implicit-def: $sgpr50_sgpr51
                                        ; implicit-def: $sgpr52_sgpr53
                                        ; implicit-def: $sgpr14_sgpr15
                                        ; implicit-def: $sgpr56_sgpr57
	s_branch .LBB871_951
.LBB871_950:                            ;   in Loop: Header=BB871_951 Depth=1
	s_or_b64 exec, exec, s[60:61]
	s_and_b64 s[60:61], exec, s[52:53]
	s_or_b64 s[48:49], s[60:61], s[48:49]
	s_andn2_b64 s[56:57], s[56:57], exec
	s_and_b64 s[58:59], s[58:59], exec
	s_or_b64 s[56:57], s[56:57], s[58:59]
	s_andn2_b64 s[50:51], s[50:51], exec
	s_and_b64 s[58:59], s[14:15], exec
	s_or_b64 s[50:51], s[50:51], s[58:59]
	s_andn2_b64 exec, exec, s[48:49]
	s_cbranch_execz .LBB871_953
.LBB871_951:                            ; =>This Inner Loop Header: Depth=1
	global_load_dword v8, v[4:5], off
	global_load_dword v9, v[6:7], off
	s_andn2_b64 s[60:61], s[14:15], exec
	s_or_b64 s[52:53], s[52:53], exec
	s_waitcnt vmcnt(0)
	v_cmp_ngt_f32_e64 s[14:15], v8, v9
	v_cmp_lt_f32_e32 vcc, v8, v9
	s_and_b64 s[58:59], s[14:15], s[56:57]
	s_or_b64 s[58:59], vcc, s[58:59]
	s_xor_b64 s[62:63], vcc, s[14:15]
	s_and_b64 s[14:15], s[58:59], exec
	s_or_b64 s[14:15], s[60:61], s[14:15]
	s_and_saveexec_b64 s[60:61], s[62:63]
	s_cbranch_execz .LBB871_950
; %bb.952:                              ;   in Loop: Header=BB871_951 Depth=1
	s_add_u32 s54, s54, -1
	s_addc_u32 s55, s55, -1
	s_cmp_eq_u64 s[54:55], 0
	s_cselect_b64 s[56:57], -1, 0
	s_andn2_b64 s[52:53], s[52:53], exec
	s_and_b64 s[56:57], s[56:57], exec
	v_lshl_add_u64 v[4:5], v[4:5], 0, 4
	v_lshl_add_u64 v[6:7], v[6:7], 0, 4
	s_andn2_b64 s[14:15], s[14:15], exec
	s_or_b64 s[52:53], s[52:53], s[56:57]
                                        ; implicit-def: $sgpr56_sgpr57
	s_branch .LBB871_950
.LBB871_953:
	s_or_b64 exec, exec, s[48:49]
	s_xor_b64 s[14:15], s[50:51], -1
	s_andn2_b64 s[42:43], s[42:43], exec
	s_and_b64 s[14:15], s[14:15], exec
	s_or_b64 s[42:43], s[42:43], s[14:15]
.LBB871_954:
	s_or_b64 exec, exec, s[46:47]
	s_orn2_b64 s[42:43], s[42:43], exec
.LBB871_955:
	s_or_b64 exec, exec, s[44:45]
	v_cndmask_b32_e64 v4, v45, v46, s[42:43]
	v_cndmask_b32_e64 v5, v36, v35, s[42:43]
	v_add_u32_e32 v6, 1, v4
	v_add_u32_e32 v4, -1, v5
	v_min_u32_e32 v4, v6, v4
	v_lshl_add_u32 v4, v4, 3, v31
	ds_read_b64 v[4:5], v4
	v_cndmask_b32_e64 v47, v6, v45, s[42:43]
	v_cndmask_b32_e64 v51, v46, v6, s[42:43]
	v_cmp_lt_u32_e32 vcc, v47, v36
	s_mov_b64 s[44:45], -1
	s_waitcnt lgkmcnt(0)
	v_cndmask_b32_e64 v8, v5, v39, s[42:43]
	v_cndmask_b32_e64 v43, v4, v40, s[42:43]
	v_cndmask_b32_e64 v9, v41, v5, s[42:43]
	v_cndmask_b32_e64 v44, v42, v4, s[42:43]
	s_mov_b64 s[46:47], -1
	s_and_saveexec_b64 s[48:49], vcc
	s_cbranch_execz .LBB871_963
; %bb.956:
	v_cmp_lt_u32_e64 s[46:47], v51, v35
	s_and_b64 s[14:15], s[46:47], s[30:31]
	s_and_saveexec_b64 s[50:51], s[14:15]
	s_cbranch_execz .LBB871_962
; %bb.957:
	v_mul_lo_u32 v6, v8, s20
	v_mul_lo_u32 v7, v43, s21
	v_mad_u64_u32 v[4:5], s[14:15], v43, s20, 0
	v_add3_u32 v5, v5, v7, v6
	v_mul_lo_u32 v45, v9, s20
	v_mul_lo_u32 v46, v44, s21
	v_mad_u64_u32 v[6:7], s[14:15], v44, s20, 0
	v_add3_u32 v7, v7, v46, v45
	v_lshl_add_u64 v[4:5], v[4:5], 2, s[22:23]
	v_lshl_add_u64 v[6:7], v[6:7], 2, s[22:23]
	s_mov_b64 s[52:53], 0
	s_mov_b64 s[58:59], s[20:21]
                                        ; implicit-def: $sgpr54_sgpr55
                                        ; implicit-def: $sgpr56_sgpr57
                                        ; implicit-def: $sgpr14_sgpr15
                                        ; implicit-def: $sgpr60_sgpr61
	s_branch .LBB871_959
.LBB871_958:                            ;   in Loop: Header=BB871_959 Depth=1
	s_or_b64 exec, exec, s[64:65]
	s_and_b64 s[64:65], exec, s[56:57]
	s_or_b64 s[52:53], s[64:65], s[52:53]
	s_andn2_b64 s[60:61], s[60:61], exec
	s_and_b64 s[62:63], s[62:63], exec
	s_or_b64 s[60:61], s[60:61], s[62:63]
	s_andn2_b64 s[54:55], s[54:55], exec
	s_and_b64 s[62:63], s[14:15], exec
	s_or_b64 s[54:55], s[54:55], s[62:63]
	s_andn2_b64 exec, exec, s[52:53]
	s_cbranch_execz .LBB871_961
.LBB871_959:                            ; =>This Inner Loop Header: Depth=1
	global_load_dword v45, v[4:5], off
	global_load_dword v46, v[6:7], off
	s_andn2_b64 s[64:65], s[14:15], exec
	s_or_b64 s[56:57], s[56:57], exec
	s_waitcnt vmcnt(0)
	v_cmp_ngt_f32_e64 s[14:15], v45, v46
	v_cmp_lt_f32_e32 vcc, v45, v46
	s_and_b64 s[62:63], s[14:15], s[60:61]
	s_or_b64 s[62:63], vcc, s[62:63]
	s_xor_b64 s[66:67], vcc, s[14:15]
	s_and_b64 s[14:15], s[62:63], exec
	s_or_b64 s[14:15], s[64:65], s[14:15]
	s_and_saveexec_b64 s[64:65], s[66:67]
	s_cbranch_execz .LBB871_958
; %bb.960:                              ;   in Loop: Header=BB871_959 Depth=1
	s_add_u32 s58, s58, -1
	s_addc_u32 s59, s59, -1
	s_cmp_eq_u64 s[58:59], 0
	s_cselect_b64 s[60:61], -1, 0
	s_andn2_b64 s[56:57], s[56:57], exec
	s_and_b64 s[60:61], s[60:61], exec
	v_lshl_add_u64 v[4:5], v[4:5], 0, 4
	v_lshl_add_u64 v[6:7], v[6:7], 0, 4
	s_andn2_b64 s[14:15], s[14:15], exec
	s_or_b64 s[56:57], s[56:57], s[60:61]
                                        ; implicit-def: $sgpr60_sgpr61
	s_branch .LBB871_958
.LBB871_961:
	s_or_b64 exec, exec, s[52:53]
	s_xor_b64 s[14:15], s[54:55], -1
	s_andn2_b64 s[46:47], s[46:47], exec
	s_and_b64 s[14:15], s[14:15], exec
	s_or_b64 s[46:47], s[46:47], s[14:15]
.LBB871_962:
	s_or_b64 exec, exec, s[50:51]
	s_orn2_b64 s[46:47], s[46:47], exec
.LBB871_963:
	s_or_b64 exec, exec, s[48:49]
	v_cndmask_b32_e64 v4, v47, v51, s[46:47]
	v_cndmask_b32_e64 v5, v36, v35, s[46:47]
	v_add_u32_e32 v6, 1, v4
	v_add_u32_e32 v4, -1, v5
	v_min_u32_e32 v4, v6, v4
	v_lshl_add_u32 v4, v4, 3, v31
	ds_read_b64 v[4:5], v4
	v_cndmask_b32_e64 v48, v6, v47, s[46:47]
	v_cndmask_b32_e64 v47, v51, v6, s[46:47]
	v_cmp_lt_u32_e32 vcc, v48, v36
	s_waitcnt lgkmcnt(0)
	v_cndmask_b32_e64 v45, v5, v8, s[46:47]
	v_cndmask_b32_e64 v46, v4, v43, s[46:47]
	;; [unrolled: 1-line block ×4, first 2 shown]
	s_and_saveexec_b64 s[48:49], vcc
	s_cbranch_execz .LBB871_971
; %bb.964:
	v_cmp_lt_u32_e64 s[44:45], v47, v35
	s_and_b64 s[14:15], s[44:45], s[30:31]
	s_and_saveexec_b64 s[50:51], s[14:15]
	s_cbranch_execz .LBB871_970
; %bb.965:
	v_mul_lo_u32 v6, v45, s20
	v_mul_lo_u32 v7, v46, s21
	v_mad_u64_u32 v[4:5], s[14:15], v46, s20, 0
	v_add3_u32 v5, v5, v7, v6
	v_mul_lo_u32 v51, v49, s20
	v_mul_lo_u32 v52, v50, s21
	v_mad_u64_u32 v[6:7], s[14:15], v50, s20, 0
	v_add3_u32 v7, v7, v52, v51
	v_lshl_add_u64 v[4:5], v[4:5], 2, s[22:23]
	v_lshl_add_u64 v[6:7], v[6:7], 2, s[22:23]
	s_mov_b64 s[52:53], 0
	s_mov_b64 s[58:59], s[20:21]
                                        ; implicit-def: $sgpr54_sgpr55
                                        ; implicit-def: $sgpr56_sgpr57
                                        ; implicit-def: $sgpr14_sgpr15
                                        ; implicit-def: $sgpr60_sgpr61
	s_branch .LBB871_967
.LBB871_966:                            ;   in Loop: Header=BB871_967 Depth=1
	s_or_b64 exec, exec, s[64:65]
	s_and_b64 s[64:65], exec, s[56:57]
	s_or_b64 s[52:53], s[64:65], s[52:53]
	s_andn2_b64 s[60:61], s[60:61], exec
	s_and_b64 s[62:63], s[62:63], exec
	s_or_b64 s[60:61], s[60:61], s[62:63]
	s_andn2_b64 s[54:55], s[54:55], exec
	s_and_b64 s[62:63], s[14:15], exec
	s_or_b64 s[54:55], s[54:55], s[62:63]
	s_andn2_b64 exec, exec, s[52:53]
	s_cbranch_execz .LBB871_969
.LBB871_967:                            ; =>This Inner Loop Header: Depth=1
	global_load_dword v51, v[4:5], off
	global_load_dword v52, v[6:7], off
	s_andn2_b64 s[64:65], s[14:15], exec
	s_or_b64 s[56:57], s[56:57], exec
	s_waitcnt vmcnt(0)
	v_cmp_ngt_f32_e64 s[14:15], v51, v52
	v_cmp_lt_f32_e32 vcc, v51, v52
	s_and_b64 s[62:63], s[14:15], s[60:61]
	s_or_b64 s[62:63], vcc, s[62:63]
	s_xor_b64 s[66:67], vcc, s[14:15]
	s_and_b64 s[14:15], s[62:63], exec
	s_or_b64 s[14:15], s[64:65], s[14:15]
	s_and_saveexec_b64 s[64:65], s[66:67]
	s_cbranch_execz .LBB871_966
; %bb.968:                              ;   in Loop: Header=BB871_967 Depth=1
	s_add_u32 s58, s58, -1
	s_addc_u32 s59, s59, -1
	s_cmp_eq_u64 s[58:59], 0
	s_cselect_b64 s[60:61], -1, 0
	s_andn2_b64 s[56:57], s[56:57], exec
	s_and_b64 s[60:61], s[60:61], exec
	v_lshl_add_u64 v[4:5], v[4:5], 0, 4
	v_lshl_add_u64 v[6:7], v[6:7], 0, 4
	s_andn2_b64 s[14:15], s[14:15], exec
	s_or_b64 s[56:57], s[56:57], s[60:61]
                                        ; implicit-def: $sgpr60_sgpr61
	s_branch .LBB871_966
.LBB871_969:
	s_or_b64 exec, exec, s[52:53]
	s_xor_b64 s[14:15], s[54:55], -1
	s_andn2_b64 s[44:45], s[44:45], exec
	s_and_b64 s[14:15], s[14:15], exec
	s_or_b64 s[44:45], s[44:45], s[14:15]
.LBB871_970:
	s_or_b64 exec, exec, s[50:51]
	s_orn2_b64 s[44:45], s[44:45], exec
.LBB871_971:
	s_or_b64 exec, exec, s[48:49]
	v_cndmask_b32_e64 v4, v48, v47, s[44:45]
	v_cndmask_b32_e64 v5, v36, v35, s[44:45]
	;; [unrolled: 1-line block ×4, first 2 shown]
	v_add_u32_e32 v38, 1, v4
	v_add_u32_e32 v4, -1, v5
	v_min_u32_e32 v4, v38, v4
	v_lshl_add_u32 v4, v4, 3, v31
	v_cndmask_b32_e64 v11, v10, v11, s[38:39]
	v_cndmask_b32_e64 v10, v17, v23, s[38:39]
	;; [unrolled: 1-line block ×4, first 2 shown]
	ds_read_b64 v[22:23], v4
	v_cndmask_b32_e64 v14, v2, v0, s[16:17]
	v_cndmask_b32_e64 v0, v38, v48, s[44:45]
	;; [unrolled: 1-line block ×9, first 2 shown]
	s_waitcnt lgkmcnt(0)
	v_cndmask_b32_e64 v5, v49, v23, s[44:45]
	v_cndmask_b32_e64 v4, v50, v22, s[44:45]
	v_cmp_lt_u32_e32 vcc, v0, v36
	s_and_saveexec_b64 s[16:17], vcc
	s_cbranch_execz .LBB871_979
; %bb.972:
	v_cndmask_b32_e64 v0, v47, v38, s[44:45]
	v_cndmask_b32_e64 v36, v23, v45, s[44:45]
	;; [unrolled: 1-line block ×3, first 2 shown]
	v_cmp_ge_u32_e32 vcc, v0, v35
	s_nor_b64 s[14:15], vcc, s[28:29]
	s_nop 0
	v_cndmask_b32_e32 v1, v5, v36, vcc
	v_cndmask_b32_e32 v0, v4, v37, vcc
	s_and_saveexec_b64 s[36:37], s[14:15]
	s_cbranch_execz .LBB871_978
; %bb.973:
	v_mul_lo_u32 v22, v36, s20
	v_mul_lo_u32 v23, v37, s21
	v_mad_u64_u32 v[0:1], s[14:15], v37, s20, 0
	v_add3_u32 v1, v1, v23, v22
	v_mul_lo_u32 v35, v5, s20
	v_mul_lo_u32 v38, v4, s21
	v_mad_u64_u32 v[22:23], s[14:15], v4, s20, 0
	v_add3_u32 v23, v23, v38, v35
	v_lshl_add_u64 v[0:1], v[0:1], 2, s[22:23]
	v_lshl_add_u64 v[22:23], v[22:23], 2, s[22:23]
	s_mov_b64 s[38:39], 0
	s_mov_b64 s[44:45], s[20:21]
                                        ; implicit-def: $sgpr40_sgpr41
                                        ; implicit-def: $sgpr42_sgpr43
                                        ; implicit-def: $sgpr14_sgpr15
                                        ; implicit-def: $sgpr46_sgpr47
	s_branch .LBB871_975
.LBB871_974:                            ;   in Loop: Header=BB871_975 Depth=1
	s_or_b64 exec, exec, s[50:51]
	s_and_b64 s[50:51], exec, s[42:43]
	s_or_b64 s[38:39], s[50:51], s[38:39]
	s_andn2_b64 s[46:47], s[46:47], exec
	s_and_b64 s[48:49], s[48:49], exec
	s_or_b64 s[46:47], s[46:47], s[48:49]
	s_andn2_b64 s[40:41], s[40:41], exec
	s_and_b64 s[48:49], s[14:15], exec
	s_or_b64 s[40:41], s[40:41], s[48:49]
	s_andn2_b64 exec, exec, s[38:39]
	s_cbranch_execz .LBB871_977
.LBB871_975:                            ; =>This Inner Loop Header: Depth=1
	global_load_dword v35, v[0:1], off
	global_load_dword v38, v[22:23], off
	s_andn2_b64 s[50:51], s[14:15], exec
	s_or_b64 s[42:43], s[42:43], exec
	s_waitcnt vmcnt(0)
	v_cmp_ngt_f32_e64 s[14:15], v35, v38
	v_cmp_lt_f32_e32 vcc, v35, v38
	s_and_b64 s[48:49], s[14:15], s[46:47]
	s_or_b64 s[48:49], vcc, s[48:49]
	s_xor_b64 s[52:53], vcc, s[14:15]
	s_and_b64 s[14:15], s[48:49], exec
	s_or_b64 s[14:15], s[50:51], s[14:15]
	s_and_saveexec_b64 s[50:51], s[52:53]
	s_cbranch_execz .LBB871_974
; %bb.976:                              ;   in Loop: Header=BB871_975 Depth=1
	s_add_u32 s44, s44, -1
	s_addc_u32 s45, s45, -1
	s_cmp_eq_u64 s[44:45], 0
	s_cselect_b64 s[46:47], -1, 0
	s_andn2_b64 s[42:43], s[42:43], exec
	s_and_b64 s[46:47], s[46:47], exec
	v_lshl_add_u64 v[0:1], v[0:1], 0, 4
	v_lshl_add_u64 v[22:23], v[22:23], 0, 4
	s_andn2_b64 s[14:15], s[14:15], exec
	s_or_b64 s[42:43], s[42:43], s[46:47]
                                        ; implicit-def: $sgpr46_sgpr47
	s_branch .LBB871_974
.LBB871_977:
	s_or_b64 exec, exec, s[38:39]
	v_cndmask_b32_e64 v1, v5, v36, s[40:41]
	v_cndmask_b32_e64 v0, v4, v37, s[40:41]
.LBB871_978:
	s_or_b64 exec, exec, s[36:37]
	v_mov_b64_e32 v[4:5], v[0:1]
.LBB871_979:
	s_or_b64 exec, exec, s[16:17]
.LBB871_980:
	s_or_b64 exec, exec, s[34:35]
	v_and_b32_e32 v39, 0x3c0, v33
	v_or_b32_e32 v0, 32, v39
	v_min_u32_e32 v35, v32, v0
	v_add_u32_e32 v0, 32, v35
	v_min_u32_e32 v36, v32, v0
	v_and_b32_e32 v0, 56, v33
	v_min_u32_e32 v40, v32, v0
	v_sub_u32_e32 v0, v35, v39
	v_sub_u32_e32 v1, v36, v35
	v_sub_u32_e64 v38, v40, v1 clamp
	v_min_u32_e32 v41, v40, v0
	v_lshl_add_u32 v37, v39, 3, v31
	v_cmp_lt_u32_e32 vcc, v38, v41
	; wave barrier
	ds_write_b128 v34, v[14:17]
	ds_write_b128 v34, v[10:13] offset:16
	ds_write_b128 v34, v[6:9] offset:32
	;; [unrolled: 1-line block ×3, first 2 shown]
	; wave barrier
	s_and_saveexec_b64 s[34:35], vcc
	s_cbranch_execz .LBB871_990
; %bb.981:
	v_lshlrev_b32_e32 v0, 3, v35
	v_lshlrev_b32_e32 v1, 3, v40
	v_add3_u32 v42, v31, v0, v1
	v_cndmask_b32_e64 v0, 0, 1, s[18:19]
	s_lshl_b64 s[38:39], s[20:21], 2
	s_mov_b64 s[36:37], 0
	v_cmp_ne_u32_e64 s[14:15], 1, v0
	s_branch .LBB871_984
.LBB871_982:                            ;   in Loop: Header=BB871_984 Depth=1
	s_or_b64 exec, exec, s[42:43]
.LBB871_983:                            ;   in Loop: Header=BB871_984 Depth=1
	v_add_u32_e32 v0, 1, v43
	v_cndmask_b32_e64 v41, v41, v43, s[40:41]
	v_cndmask_b32_e64 v38, v0, v38, s[40:41]
	v_cmp_ge_u32_e32 vcc, v38, v41
	s_or_b64 s[36:37], vcc, s[36:37]
	s_andn2_b64 exec, exec, s[36:37]
	s_cbranch_execz .LBB871_989
.LBB871_984:                            ; =>This Loop Header: Depth=1
                                        ;     Child Loop BB871_987 Depth 2
	v_add_u32_e32 v0, v41, v38
	v_lshrrev_b32_e32 v43, 1, v0
	s_and_b64 vcc, exec, s[14:15]
	s_mov_b64 s[40:41], 0
	s_cbranch_vccnz .LBB871_983
; %bb.985:                              ;   in Loop: Header=BB871_984 Depth=1
	v_not_b32_e32 v0, v43
	v_lshl_add_u32 v0, v0, 3, v42
	ds_read_b64 v[0:1], v0
	v_lshl_add_u32 v44, v43, 3, v37
	ds_read_b64 v[44:45], v44
	v_mov_b64_e32 v[22:23], s[22:23]
	s_mov_b64 s[42:43], 0
	s_waitcnt lgkmcnt(1)
	v_mul_lo_u32 v46, s38, v1
	v_mul_lo_u32 v47, s39, v0
	v_mad_u64_u32 v[0:1], s[16:17], s38, v0, v[22:23]
	v_add3_u32 v1, v47, v1, v46
	s_waitcnt lgkmcnt(0)
	v_mul_lo_u32 v45, s38, v45
	v_mul_lo_u32 v46, s39, v44
	v_mad_u64_u32 v[22:23], s[16:17], s38, v44, v[22:23]
	v_add3_u32 v23, v46, v23, v45
	s_mov_b64 s[46:47], s[20:21]
                                        ; implicit-def: $sgpr40_sgpr41
                                        ; implicit-def: $sgpr44_sgpr45
                                        ; implicit-def: $sgpr16_sgpr17
                                        ; implicit-def: $sgpr48_sgpr49
	s_branch .LBB871_987
.LBB871_986:                            ;   in Loop: Header=BB871_987 Depth=2
	s_or_b64 exec, exec, s[52:53]
	s_and_b64 s[52:53], exec, s[44:45]
	s_or_b64 s[42:43], s[52:53], s[42:43]
	s_andn2_b64 s[48:49], s[48:49], exec
	s_and_b64 s[50:51], s[50:51], exec
	s_or_b64 s[48:49], s[48:49], s[50:51]
	s_andn2_b64 s[40:41], s[40:41], exec
	s_and_b64 s[50:51], s[16:17], exec
	s_or_b64 s[40:41], s[40:41], s[50:51]
	s_andn2_b64 exec, exec, s[42:43]
	s_cbranch_execz .LBB871_982
.LBB871_987:                            ;   Parent Loop BB871_984 Depth=1
                                        ; =>  This Inner Loop Header: Depth=2
	global_load_dword v44, v[0:1], off
	global_load_dword v45, v[22:23], off
	s_andn2_b64 s[52:53], s[16:17], exec
	s_or_b64 s[44:45], s[44:45], exec
	s_waitcnt vmcnt(0)
	v_cmp_ngt_f32_e64 s[16:17], v44, v45
	v_cmp_lt_f32_e32 vcc, v44, v45
	s_and_b64 s[50:51], s[16:17], s[48:49]
	s_or_b64 s[50:51], vcc, s[50:51]
	s_xor_b64 s[54:55], vcc, s[16:17]
	s_and_b64 s[16:17], s[50:51], exec
	s_or_b64 s[16:17], s[52:53], s[16:17]
	s_and_saveexec_b64 s[52:53], s[54:55]
	s_cbranch_execz .LBB871_986
; %bb.988:                              ;   in Loop: Header=BB871_987 Depth=2
	s_add_u32 s46, s46, -1
	s_addc_u32 s47, s47, -1
	s_cmp_eq_u64 s[46:47], 0
	s_cselect_b64 s[48:49], -1, 0
	s_andn2_b64 s[44:45], s[44:45], exec
	s_and_b64 s[48:49], s[48:49], exec
	v_lshl_add_u64 v[0:1], v[0:1], 0, 4
	v_lshl_add_u64 v[22:23], v[22:23], 0, 4
	s_andn2_b64 s[16:17], s[16:17], exec
	s_or_b64 s[44:45], s[44:45], s[48:49]
                                        ; implicit-def: $sgpr48_sgpr49
	s_branch .LBB871_986
.LBB871_989:
	s_or_b64 exec, exec, s[36:37]
.LBB871_990:
	s_or_b64 exec, exec, s[34:35]
	v_add_u32_e32 v0, v35, v40
	v_add_u32_e32 v23, v38, v39
	v_sub_u32_e32 v39, v0, v38
	v_cmp_le_u32_e32 vcc, v23, v35
	v_cmp_le_u32_e64 s[14:15], v39, v36
	s_or_b64 s[14:15], vcc, s[14:15]
	s_and_saveexec_b64 s[34:35], s[14:15]
	s_cbranch_execz .LBB871_1058
; %bb.991:
	v_cmp_ge_u32_e32 vcc, v23, v35
	v_cmp_lt_u32_e64 s[14:15], v23, v35
                                        ; implicit-def: $vgpr0_vgpr1
	s_and_saveexec_b64 s[16:17], s[14:15]
; %bb.992:
	v_lshl_add_u32 v0, v38, 3, v37
	ds_read_b64 v[0:1], v0
; %bb.993:
	s_or_b64 exec, exec, s[16:17]
	v_cmp_ge_u32_e64 s[14:15], v39, v36
	v_cmp_lt_u32_e64 s[16:17], v39, v36
                                        ; implicit-def: $vgpr2_vgpr3
	s_and_saveexec_b64 s[36:37], s[16:17]
; %bb.994:
	v_lshl_add_u32 v2, v39, 3, v31
	ds_read_b64 v[2:3], v2
; %bb.995:
	s_or_b64 exec, exec, s[36:37]
	s_or_b64 s[16:17], vcc, s[14:15]
	s_nor_b64 s[38:39], s[16:17], s[28:29]
	s_xor_b64 s[16:17], vcc, -1
	s_or_b64 s[16:17], s[14:15], s[16:17]
	s_and_saveexec_b64 s[36:37], s[38:39]
	s_cbranch_execz .LBB871_1001
; %bb.996:
	s_waitcnt lgkmcnt(0)
	v_mul_lo_u32 v6, v3, s20
	v_mul_lo_u32 v7, v2, s21
	v_mad_u64_u32 v[4:5], s[14:15], v2, s20, 0
	v_add3_u32 v5, v5, v7, v6
	v_mul_lo_u32 v8, v1, s20
	v_mul_lo_u32 v9, v0, s21
	v_mad_u64_u32 v[6:7], s[14:15], v0, s20, 0
	v_add3_u32 v7, v7, v9, v8
	v_lshl_add_u64 v[4:5], v[4:5], 2, s[22:23]
	v_lshl_add_u64 v[6:7], v[6:7], 2, s[22:23]
	s_mov_b64 s[38:39], 0
	s_mov_b64 s[44:45], s[20:21]
                                        ; implicit-def: $sgpr40_sgpr41
                                        ; implicit-def: $sgpr42_sgpr43
                                        ; implicit-def: $sgpr14_sgpr15
                                        ; implicit-def: $sgpr46_sgpr47
	s_branch .LBB871_998
.LBB871_997:                            ;   in Loop: Header=BB871_998 Depth=1
	s_or_b64 exec, exec, s[50:51]
	s_and_b64 s[50:51], exec, s[42:43]
	s_or_b64 s[38:39], s[50:51], s[38:39]
	s_andn2_b64 s[46:47], s[46:47], exec
	s_and_b64 s[48:49], s[48:49], exec
	s_or_b64 s[46:47], s[46:47], s[48:49]
	s_andn2_b64 s[40:41], s[40:41], exec
	s_and_b64 s[48:49], s[14:15], exec
	s_or_b64 s[40:41], s[40:41], s[48:49]
	s_andn2_b64 exec, exec, s[38:39]
	s_cbranch_execz .LBB871_1000
.LBB871_998:                            ; =>This Inner Loop Header: Depth=1
	global_load_dword v8, v[4:5], off
	global_load_dword v9, v[6:7], off
	s_andn2_b64 s[50:51], s[14:15], exec
	s_or_b64 s[42:43], s[42:43], exec
	s_waitcnt vmcnt(0)
	v_cmp_ngt_f32_e64 s[14:15], v8, v9
	v_cmp_lt_f32_e32 vcc, v8, v9
	s_and_b64 s[48:49], s[14:15], s[46:47]
	s_or_b64 s[48:49], vcc, s[48:49]
	s_xor_b64 s[52:53], vcc, s[14:15]
	s_and_b64 s[14:15], s[48:49], exec
	s_or_b64 s[14:15], s[50:51], s[14:15]
	s_and_saveexec_b64 s[50:51], s[52:53]
	s_cbranch_execz .LBB871_997
; %bb.999:                              ;   in Loop: Header=BB871_998 Depth=1
	s_add_u32 s44, s44, -1
	s_addc_u32 s45, s45, -1
	s_cmp_eq_u64 s[44:45], 0
	s_cselect_b64 s[46:47], -1, 0
	s_andn2_b64 s[42:43], s[42:43], exec
	s_and_b64 s[46:47], s[46:47], exec
	v_lshl_add_u64 v[4:5], v[4:5], 0, 4
	v_lshl_add_u64 v[6:7], v[6:7], 0, 4
	s_andn2_b64 s[14:15], s[14:15], exec
	s_or_b64 s[42:43], s[42:43], s[46:47]
                                        ; implicit-def: $sgpr46_sgpr47
	s_branch .LBB871_997
.LBB871_1000:
	s_or_b64 exec, exec, s[38:39]
	s_xor_b64 s[14:15], s[40:41], -1
	s_andn2_b64 s[16:17], s[16:17], exec
	s_and_b64 s[14:15], s[14:15], exec
	s_or_b64 s[16:17], s[16:17], s[14:15]
.LBB871_1001:
	s_or_b64 exec, exec, s[36:37]
	v_cndmask_b32_e64 v4, v39, v23, s[16:17]
	v_cndmask_b32_e64 v5, v36, v35, s[16:17]
	v_add_u32_e32 v6, 1, v4
	v_add_u32_e32 v4, -1, v5
	v_min_u32_e32 v4, v6, v4
	v_lshl_add_u32 v4, v4, 3, v31
	ds_read_b64 v[4:5], v4
	v_cndmask_b32_e64 v8, v6, v39, s[16:17]
	v_cndmask_b32_e64 v9, v23, v6, s[16:17]
	v_cmp_lt_u32_e32 vcc, v8, v36
	s_mov_b64 s[38:39], -1
	s_waitcnt lgkmcnt(0)
	v_cndmask_b32_e64 v14, v5, v3, s[16:17]
	v_cndmask_b32_e64 v15, v4, v2, s[16:17]
	v_cndmask_b32_e64 v16, v1, v5, s[16:17]
	v_cndmask_b32_e64 v22, v0, v4, s[16:17]
	s_mov_b64 s[36:37], -1
	s_and_saveexec_b64 s[40:41], vcc
	s_cbranch_execz .LBB871_1009
; %bb.1002:
	v_cmp_lt_u32_e64 s[36:37], v9, v35
	s_and_b64 s[14:15], s[36:37], s[30:31]
	s_and_saveexec_b64 s[42:43], s[14:15]
	s_cbranch_execz .LBB871_1008
; %bb.1003:
	v_mul_lo_u32 v6, v14, s20
	v_mul_lo_u32 v7, v15, s21
	v_mad_u64_u32 v[4:5], s[14:15], v15, s20, 0
	v_add3_u32 v5, v5, v7, v6
	v_mul_lo_u32 v10, v16, s20
	v_mul_lo_u32 v11, v22, s21
	v_mad_u64_u32 v[6:7], s[14:15], v22, s20, 0
	v_add3_u32 v7, v7, v11, v10
	v_lshl_add_u64 v[4:5], v[4:5], 2, s[22:23]
	v_lshl_add_u64 v[6:7], v[6:7], 2, s[22:23]
	s_mov_b64 s[44:45], 0
	s_mov_b64 s[50:51], s[20:21]
                                        ; implicit-def: $sgpr46_sgpr47
                                        ; implicit-def: $sgpr48_sgpr49
                                        ; implicit-def: $sgpr14_sgpr15
                                        ; implicit-def: $sgpr52_sgpr53
	s_branch .LBB871_1005
.LBB871_1004:                           ;   in Loop: Header=BB871_1005 Depth=1
	s_or_b64 exec, exec, s[56:57]
	s_and_b64 s[56:57], exec, s[48:49]
	s_or_b64 s[44:45], s[56:57], s[44:45]
	s_andn2_b64 s[52:53], s[52:53], exec
	s_and_b64 s[54:55], s[54:55], exec
	s_or_b64 s[52:53], s[52:53], s[54:55]
	s_andn2_b64 s[46:47], s[46:47], exec
	s_and_b64 s[54:55], s[14:15], exec
	s_or_b64 s[46:47], s[46:47], s[54:55]
	s_andn2_b64 exec, exec, s[44:45]
	s_cbranch_execz .LBB871_1007
.LBB871_1005:                           ; =>This Inner Loop Header: Depth=1
	global_load_dword v10, v[4:5], off
	global_load_dword v11, v[6:7], off
	s_andn2_b64 s[56:57], s[14:15], exec
	s_or_b64 s[48:49], s[48:49], exec
	s_waitcnt vmcnt(0)
	v_cmp_ngt_f32_e64 s[14:15], v10, v11
	v_cmp_lt_f32_e32 vcc, v10, v11
	s_and_b64 s[54:55], s[14:15], s[52:53]
	s_or_b64 s[54:55], vcc, s[54:55]
	s_xor_b64 s[58:59], vcc, s[14:15]
	s_and_b64 s[14:15], s[54:55], exec
	s_or_b64 s[14:15], s[56:57], s[14:15]
	s_and_saveexec_b64 s[56:57], s[58:59]
	s_cbranch_execz .LBB871_1004
; %bb.1006:                             ;   in Loop: Header=BB871_1005 Depth=1
	s_add_u32 s50, s50, -1
	s_addc_u32 s51, s51, -1
	s_cmp_eq_u64 s[50:51], 0
	s_cselect_b64 s[52:53], -1, 0
	s_andn2_b64 s[48:49], s[48:49], exec
	s_and_b64 s[52:53], s[52:53], exec
	v_lshl_add_u64 v[4:5], v[4:5], 0, 4
	v_lshl_add_u64 v[6:7], v[6:7], 0, 4
	s_andn2_b64 s[14:15], s[14:15], exec
	s_or_b64 s[48:49], s[48:49], s[52:53]
                                        ; implicit-def: $sgpr52_sgpr53
	s_branch .LBB871_1004
.LBB871_1007:
	s_or_b64 exec, exec, s[44:45]
	s_xor_b64 s[14:15], s[46:47], -1
	s_andn2_b64 s[36:37], s[36:37], exec
	s_and_b64 s[14:15], s[14:15], exec
	s_or_b64 s[36:37], s[36:37], s[14:15]
.LBB871_1008:
	s_or_b64 exec, exec, s[42:43]
	s_orn2_b64 s[36:37], s[36:37], exec
.LBB871_1009:
	s_or_b64 exec, exec, s[40:41]
	v_cndmask_b32_e64 v4, v8, v9, s[36:37]
	v_cndmask_b32_e64 v5, v36, v35, s[36:37]
	v_add_u32_e32 v6, 1, v4
	v_add_u32_e32 v4, -1, v5
	v_min_u32_e32 v4, v6, v4
	v_lshl_add_u32 v4, v4, 3, v31
	ds_read_b64 v[4:5], v4
	v_cndmask_b32_e64 v8, v6, v8, s[36:37]
	v_cndmask_b32_e64 v9, v9, v6, s[36:37]
	v_cmp_lt_u32_e32 vcc, v8, v36
	s_waitcnt lgkmcnt(0)
	v_cndmask_b32_e64 v10, v5, v14, s[36:37]
	v_cndmask_b32_e64 v17, v4, v15, s[36:37]
	;; [unrolled: 1-line block ×4, first 2 shown]
	s_and_saveexec_b64 s[40:41], vcc
	s_cbranch_execz .LBB871_1017
; %bb.1010:
	v_cmp_lt_u32_e64 s[38:39], v9, v35
	s_and_b64 s[14:15], s[38:39], s[30:31]
	s_and_saveexec_b64 s[42:43], s[14:15]
	s_cbranch_execz .LBB871_1016
; %bb.1011:
	v_mul_lo_u32 v6, v10, s20
	v_mul_lo_u32 v7, v17, s21
	v_mad_u64_u32 v[4:5], s[14:15], v17, s20, 0
	v_add3_u32 v5, v5, v7, v6
	v_mul_lo_u32 v12, v11, s20
	v_mul_lo_u32 v13, v23, s21
	v_mad_u64_u32 v[6:7], s[14:15], v23, s20, 0
	v_add3_u32 v7, v7, v13, v12
	v_lshl_add_u64 v[4:5], v[4:5], 2, s[22:23]
	v_lshl_add_u64 v[6:7], v[6:7], 2, s[22:23]
	s_mov_b64 s[44:45], 0
	s_mov_b64 s[50:51], s[20:21]
                                        ; implicit-def: $sgpr46_sgpr47
                                        ; implicit-def: $sgpr48_sgpr49
                                        ; implicit-def: $sgpr14_sgpr15
                                        ; implicit-def: $sgpr52_sgpr53
	s_branch .LBB871_1013
.LBB871_1012:                           ;   in Loop: Header=BB871_1013 Depth=1
	s_or_b64 exec, exec, s[56:57]
	s_and_b64 s[56:57], exec, s[48:49]
	s_or_b64 s[44:45], s[56:57], s[44:45]
	s_andn2_b64 s[52:53], s[52:53], exec
	s_and_b64 s[54:55], s[54:55], exec
	s_or_b64 s[52:53], s[52:53], s[54:55]
	s_andn2_b64 s[46:47], s[46:47], exec
	s_and_b64 s[54:55], s[14:15], exec
	s_or_b64 s[46:47], s[46:47], s[54:55]
	s_andn2_b64 exec, exec, s[44:45]
	s_cbranch_execz .LBB871_1015
.LBB871_1013:                           ; =>This Inner Loop Header: Depth=1
	global_load_dword v12, v[4:5], off
	global_load_dword v13, v[6:7], off
	s_andn2_b64 s[56:57], s[14:15], exec
	s_or_b64 s[48:49], s[48:49], exec
	s_waitcnt vmcnt(0)
	v_cmp_ngt_f32_e64 s[14:15], v12, v13
	v_cmp_lt_f32_e32 vcc, v12, v13
	s_and_b64 s[54:55], s[14:15], s[52:53]
	s_or_b64 s[54:55], vcc, s[54:55]
	s_xor_b64 s[58:59], vcc, s[14:15]
	s_and_b64 s[14:15], s[54:55], exec
	s_or_b64 s[14:15], s[56:57], s[14:15]
	s_and_saveexec_b64 s[56:57], s[58:59]
	s_cbranch_execz .LBB871_1012
; %bb.1014:                             ;   in Loop: Header=BB871_1013 Depth=1
	s_add_u32 s50, s50, -1
	s_addc_u32 s51, s51, -1
	s_cmp_eq_u64 s[50:51], 0
	s_cselect_b64 s[52:53], -1, 0
	s_andn2_b64 s[48:49], s[48:49], exec
	s_and_b64 s[52:53], s[52:53], exec
	v_lshl_add_u64 v[4:5], v[4:5], 0, 4
	v_lshl_add_u64 v[6:7], v[6:7], 0, 4
	s_andn2_b64 s[14:15], s[14:15], exec
	s_or_b64 s[48:49], s[48:49], s[52:53]
                                        ; implicit-def: $sgpr52_sgpr53
	s_branch .LBB871_1012
.LBB871_1015:
	s_or_b64 exec, exec, s[44:45]
	s_xor_b64 s[14:15], s[46:47], -1
	s_andn2_b64 s[38:39], s[38:39], exec
	s_and_b64 s[14:15], s[14:15], exec
	s_or_b64 s[38:39], s[38:39], s[14:15]
.LBB871_1016:
	s_or_b64 exec, exec, s[42:43]
	s_orn2_b64 s[38:39], s[38:39], exec
.LBB871_1017:
	s_or_b64 exec, exec, s[40:41]
	v_cndmask_b32_e64 v4, v8, v9, s[38:39]
	v_cndmask_b32_e64 v5, v36, v35, s[38:39]
	v_add_u32_e32 v6, 1, v4
	v_add_u32_e32 v4, -1, v5
	v_min_u32_e32 v4, v6, v4
	v_lshl_add_u32 v4, v4, 3, v31
	ds_read_b64 v[4:5], v4
	v_cndmask_b32_e64 v8, v6, v8, s[38:39]
	v_cndmask_b32_e64 v9, v9, v6, s[38:39]
	v_cmp_lt_u32_e32 vcc, v8, v36
	s_mov_b64 s[42:43], -1
	s_waitcnt lgkmcnt(0)
	v_cndmask_b32_e64 v12, v5, v10, s[38:39]
	v_cndmask_b32_e64 v37, v4, v17, s[38:39]
	;; [unrolled: 1-line block ×4, first 2 shown]
	s_mov_b64 s[40:41], -1
	s_and_saveexec_b64 s[44:45], vcc
	s_cbranch_execz .LBB871_1025
; %bb.1018:
	v_cmp_lt_u32_e64 s[40:41], v9, v35
	s_and_b64 s[14:15], s[40:41], s[30:31]
	s_and_saveexec_b64 s[46:47], s[14:15]
	s_cbranch_execz .LBB871_1024
; %bb.1019:
	v_mul_lo_u32 v6, v12, s20
	v_mul_lo_u32 v7, v37, s21
	v_mad_u64_u32 v[4:5], s[14:15], v37, s20, 0
	v_add3_u32 v5, v5, v7, v6
	v_mul_lo_u32 v39, v13, s20
	v_mul_lo_u32 v40, v38, s21
	v_mad_u64_u32 v[6:7], s[14:15], v38, s20, 0
	v_add3_u32 v7, v7, v40, v39
	v_lshl_add_u64 v[4:5], v[4:5], 2, s[22:23]
	v_lshl_add_u64 v[6:7], v[6:7], 2, s[22:23]
	s_mov_b64 s[48:49], 0
	s_mov_b64 s[54:55], s[20:21]
                                        ; implicit-def: $sgpr50_sgpr51
                                        ; implicit-def: $sgpr52_sgpr53
                                        ; implicit-def: $sgpr14_sgpr15
                                        ; implicit-def: $sgpr56_sgpr57
	s_branch .LBB871_1021
.LBB871_1020:                           ;   in Loop: Header=BB871_1021 Depth=1
	s_or_b64 exec, exec, s[60:61]
	s_and_b64 s[60:61], exec, s[52:53]
	s_or_b64 s[48:49], s[60:61], s[48:49]
	s_andn2_b64 s[56:57], s[56:57], exec
	s_and_b64 s[58:59], s[58:59], exec
	s_or_b64 s[56:57], s[56:57], s[58:59]
	s_andn2_b64 s[50:51], s[50:51], exec
	s_and_b64 s[58:59], s[14:15], exec
	s_or_b64 s[50:51], s[50:51], s[58:59]
	s_andn2_b64 exec, exec, s[48:49]
	s_cbranch_execz .LBB871_1023
.LBB871_1021:                           ; =>This Inner Loop Header: Depth=1
	global_load_dword v39, v[4:5], off
	global_load_dword v40, v[6:7], off
	s_andn2_b64 s[60:61], s[14:15], exec
	s_or_b64 s[52:53], s[52:53], exec
	s_waitcnt vmcnt(0)
	v_cmp_ngt_f32_e64 s[14:15], v39, v40
	v_cmp_lt_f32_e32 vcc, v39, v40
	s_and_b64 s[58:59], s[14:15], s[56:57]
	s_or_b64 s[58:59], vcc, s[58:59]
	s_xor_b64 s[62:63], vcc, s[14:15]
	s_and_b64 s[14:15], s[58:59], exec
	s_or_b64 s[14:15], s[60:61], s[14:15]
	s_and_saveexec_b64 s[60:61], s[62:63]
	s_cbranch_execz .LBB871_1020
; %bb.1022:                             ;   in Loop: Header=BB871_1021 Depth=1
	s_add_u32 s54, s54, -1
	s_addc_u32 s55, s55, -1
	s_cmp_eq_u64 s[54:55], 0
	s_cselect_b64 s[56:57], -1, 0
	s_andn2_b64 s[52:53], s[52:53], exec
	s_and_b64 s[56:57], s[56:57], exec
	v_lshl_add_u64 v[4:5], v[4:5], 0, 4
	v_lshl_add_u64 v[6:7], v[6:7], 0, 4
	s_andn2_b64 s[14:15], s[14:15], exec
	s_or_b64 s[52:53], s[52:53], s[56:57]
                                        ; implicit-def: $sgpr56_sgpr57
	s_branch .LBB871_1020
.LBB871_1023:
	s_or_b64 exec, exec, s[48:49]
	s_xor_b64 s[14:15], s[50:51], -1
	s_andn2_b64 s[40:41], s[40:41], exec
	s_and_b64 s[14:15], s[14:15], exec
	s_or_b64 s[40:41], s[40:41], s[14:15]
.LBB871_1024:
	s_or_b64 exec, exec, s[46:47]
	s_orn2_b64 s[40:41], s[40:41], exec
.LBB871_1025:
	s_or_b64 exec, exec, s[44:45]
	v_cndmask_b32_e64 v4, v8, v9, s[40:41]
	v_cndmask_b32_e64 v5, v36, v35, s[40:41]
	v_add_u32_e32 v6, 1, v4
	v_add_u32_e32 v4, -1, v5
	v_min_u32_e32 v4, v6, v4
	v_lshl_add_u32 v4, v4, 3, v31
	ds_read_b64 v[4:5], v4
	v_cndmask_b32_e64 v45, v6, v8, s[40:41]
	v_cndmask_b32_e64 v46, v9, v6, s[40:41]
	v_cmp_lt_u32_e32 vcc, v45, v36
	s_waitcnt lgkmcnt(0)
	v_cndmask_b32_e64 v39, v5, v12, s[40:41]
	v_cndmask_b32_e64 v40, v4, v37, s[40:41]
	v_cndmask_b32_e64 v41, v13, v5, s[40:41]
	v_cndmask_b32_e64 v42, v38, v4, s[40:41]
	s_and_saveexec_b64 s[44:45], vcc
	s_cbranch_execz .LBB871_1033
; %bb.1026:
	v_cmp_lt_u32_e64 s[42:43], v46, v35
	s_and_b64 s[14:15], s[42:43], s[30:31]
	s_and_saveexec_b64 s[46:47], s[14:15]
	s_cbranch_execz .LBB871_1032
; %bb.1027:
	v_mul_lo_u32 v6, v39, s20
	v_mul_lo_u32 v7, v40, s21
	v_mad_u64_u32 v[4:5], s[14:15], v40, s20, 0
	v_add3_u32 v5, v5, v7, v6
	v_mul_lo_u32 v8, v41, s20
	v_mul_lo_u32 v9, v42, s21
	v_mad_u64_u32 v[6:7], s[14:15], v42, s20, 0
	v_add3_u32 v7, v7, v9, v8
	v_lshl_add_u64 v[4:5], v[4:5], 2, s[22:23]
	v_lshl_add_u64 v[6:7], v[6:7], 2, s[22:23]
	s_mov_b64 s[48:49], 0
	s_mov_b64 s[54:55], s[20:21]
                                        ; implicit-def: $sgpr50_sgpr51
                                        ; implicit-def: $sgpr52_sgpr53
                                        ; implicit-def: $sgpr14_sgpr15
                                        ; implicit-def: $sgpr56_sgpr57
	s_branch .LBB871_1029
.LBB871_1028:                           ;   in Loop: Header=BB871_1029 Depth=1
	s_or_b64 exec, exec, s[60:61]
	s_and_b64 s[60:61], exec, s[52:53]
	s_or_b64 s[48:49], s[60:61], s[48:49]
	s_andn2_b64 s[56:57], s[56:57], exec
	s_and_b64 s[58:59], s[58:59], exec
	s_or_b64 s[56:57], s[56:57], s[58:59]
	s_andn2_b64 s[50:51], s[50:51], exec
	s_and_b64 s[58:59], s[14:15], exec
	s_or_b64 s[50:51], s[50:51], s[58:59]
	s_andn2_b64 exec, exec, s[48:49]
	s_cbranch_execz .LBB871_1031
.LBB871_1029:                           ; =>This Inner Loop Header: Depth=1
	global_load_dword v8, v[4:5], off
	global_load_dword v9, v[6:7], off
	s_andn2_b64 s[60:61], s[14:15], exec
	s_or_b64 s[52:53], s[52:53], exec
	s_waitcnt vmcnt(0)
	v_cmp_ngt_f32_e64 s[14:15], v8, v9
	v_cmp_lt_f32_e32 vcc, v8, v9
	s_and_b64 s[58:59], s[14:15], s[56:57]
	s_or_b64 s[58:59], vcc, s[58:59]
	s_xor_b64 s[62:63], vcc, s[14:15]
	s_and_b64 s[14:15], s[58:59], exec
	s_or_b64 s[14:15], s[60:61], s[14:15]
	s_and_saveexec_b64 s[60:61], s[62:63]
	s_cbranch_execz .LBB871_1028
; %bb.1030:                             ;   in Loop: Header=BB871_1029 Depth=1
	s_add_u32 s54, s54, -1
	s_addc_u32 s55, s55, -1
	s_cmp_eq_u64 s[54:55], 0
	s_cselect_b64 s[56:57], -1, 0
	s_andn2_b64 s[52:53], s[52:53], exec
	s_and_b64 s[56:57], s[56:57], exec
	v_lshl_add_u64 v[4:5], v[4:5], 0, 4
	v_lshl_add_u64 v[6:7], v[6:7], 0, 4
	s_andn2_b64 s[14:15], s[14:15], exec
	s_or_b64 s[52:53], s[52:53], s[56:57]
                                        ; implicit-def: $sgpr56_sgpr57
	s_branch .LBB871_1028
.LBB871_1031:
	s_or_b64 exec, exec, s[48:49]
	s_xor_b64 s[14:15], s[50:51], -1
	s_andn2_b64 s[42:43], s[42:43], exec
	s_and_b64 s[14:15], s[14:15], exec
	s_or_b64 s[42:43], s[42:43], s[14:15]
.LBB871_1032:
	s_or_b64 exec, exec, s[46:47]
	s_orn2_b64 s[42:43], s[42:43], exec
.LBB871_1033:
	s_or_b64 exec, exec, s[44:45]
	v_cndmask_b32_e64 v4, v45, v46, s[42:43]
	v_cndmask_b32_e64 v5, v36, v35, s[42:43]
	v_add_u32_e32 v6, 1, v4
	v_add_u32_e32 v4, -1, v5
	v_min_u32_e32 v4, v6, v4
	v_lshl_add_u32 v4, v4, 3, v31
	ds_read_b64 v[4:5], v4
	v_cndmask_b32_e64 v47, v6, v45, s[42:43]
	v_cndmask_b32_e64 v51, v46, v6, s[42:43]
	v_cmp_lt_u32_e32 vcc, v47, v36
	s_mov_b64 s[44:45], -1
	s_waitcnt lgkmcnt(0)
	v_cndmask_b32_e64 v8, v5, v39, s[42:43]
	v_cndmask_b32_e64 v43, v4, v40, s[42:43]
	v_cndmask_b32_e64 v9, v41, v5, s[42:43]
	v_cndmask_b32_e64 v44, v42, v4, s[42:43]
	s_mov_b64 s[46:47], -1
	s_and_saveexec_b64 s[48:49], vcc
	s_cbranch_execz .LBB871_1041
; %bb.1034:
	v_cmp_lt_u32_e64 s[46:47], v51, v35
	s_and_b64 s[14:15], s[46:47], s[30:31]
	s_and_saveexec_b64 s[50:51], s[14:15]
	s_cbranch_execz .LBB871_1040
; %bb.1035:
	v_mul_lo_u32 v6, v8, s20
	v_mul_lo_u32 v7, v43, s21
	v_mad_u64_u32 v[4:5], s[14:15], v43, s20, 0
	v_add3_u32 v5, v5, v7, v6
	v_mul_lo_u32 v45, v9, s20
	v_mul_lo_u32 v46, v44, s21
	v_mad_u64_u32 v[6:7], s[14:15], v44, s20, 0
	v_add3_u32 v7, v7, v46, v45
	v_lshl_add_u64 v[4:5], v[4:5], 2, s[22:23]
	v_lshl_add_u64 v[6:7], v[6:7], 2, s[22:23]
	s_mov_b64 s[52:53], 0
	s_mov_b64 s[58:59], s[20:21]
                                        ; implicit-def: $sgpr54_sgpr55
                                        ; implicit-def: $sgpr56_sgpr57
                                        ; implicit-def: $sgpr14_sgpr15
                                        ; implicit-def: $sgpr60_sgpr61
	s_branch .LBB871_1037
.LBB871_1036:                           ;   in Loop: Header=BB871_1037 Depth=1
	s_or_b64 exec, exec, s[64:65]
	s_and_b64 s[64:65], exec, s[56:57]
	s_or_b64 s[52:53], s[64:65], s[52:53]
	s_andn2_b64 s[60:61], s[60:61], exec
	s_and_b64 s[62:63], s[62:63], exec
	s_or_b64 s[60:61], s[60:61], s[62:63]
	s_andn2_b64 s[54:55], s[54:55], exec
	s_and_b64 s[62:63], s[14:15], exec
	s_or_b64 s[54:55], s[54:55], s[62:63]
	s_andn2_b64 exec, exec, s[52:53]
	s_cbranch_execz .LBB871_1039
.LBB871_1037:                           ; =>This Inner Loop Header: Depth=1
	global_load_dword v45, v[4:5], off
	global_load_dword v46, v[6:7], off
	s_andn2_b64 s[64:65], s[14:15], exec
	s_or_b64 s[56:57], s[56:57], exec
	s_waitcnt vmcnt(0)
	v_cmp_ngt_f32_e64 s[14:15], v45, v46
	v_cmp_lt_f32_e32 vcc, v45, v46
	s_and_b64 s[62:63], s[14:15], s[60:61]
	s_or_b64 s[62:63], vcc, s[62:63]
	s_xor_b64 s[66:67], vcc, s[14:15]
	s_and_b64 s[14:15], s[62:63], exec
	s_or_b64 s[14:15], s[64:65], s[14:15]
	s_and_saveexec_b64 s[64:65], s[66:67]
	s_cbranch_execz .LBB871_1036
; %bb.1038:                             ;   in Loop: Header=BB871_1037 Depth=1
	s_add_u32 s58, s58, -1
	s_addc_u32 s59, s59, -1
	s_cmp_eq_u64 s[58:59], 0
	s_cselect_b64 s[60:61], -1, 0
	s_andn2_b64 s[56:57], s[56:57], exec
	s_and_b64 s[60:61], s[60:61], exec
	v_lshl_add_u64 v[4:5], v[4:5], 0, 4
	v_lshl_add_u64 v[6:7], v[6:7], 0, 4
	s_andn2_b64 s[14:15], s[14:15], exec
	s_or_b64 s[56:57], s[56:57], s[60:61]
                                        ; implicit-def: $sgpr60_sgpr61
	s_branch .LBB871_1036
.LBB871_1039:
	s_or_b64 exec, exec, s[52:53]
	s_xor_b64 s[14:15], s[54:55], -1
	s_andn2_b64 s[46:47], s[46:47], exec
	s_and_b64 s[14:15], s[14:15], exec
	s_or_b64 s[46:47], s[46:47], s[14:15]
.LBB871_1040:
	s_or_b64 exec, exec, s[50:51]
	s_orn2_b64 s[46:47], s[46:47], exec
.LBB871_1041:
	s_or_b64 exec, exec, s[48:49]
	v_cndmask_b32_e64 v4, v47, v51, s[46:47]
	v_cndmask_b32_e64 v5, v36, v35, s[46:47]
	v_add_u32_e32 v6, 1, v4
	v_add_u32_e32 v4, -1, v5
	v_min_u32_e32 v4, v6, v4
	v_lshl_add_u32 v4, v4, 3, v31
	ds_read_b64 v[4:5], v4
	v_cndmask_b32_e64 v48, v6, v47, s[46:47]
	v_cndmask_b32_e64 v47, v51, v6, s[46:47]
	v_cmp_lt_u32_e32 vcc, v48, v36
	s_waitcnt lgkmcnt(0)
	v_cndmask_b32_e64 v45, v5, v8, s[46:47]
	v_cndmask_b32_e64 v46, v4, v43, s[46:47]
	;; [unrolled: 1-line block ×4, first 2 shown]
	s_and_saveexec_b64 s[48:49], vcc
	s_cbranch_execz .LBB871_1049
; %bb.1042:
	v_cmp_lt_u32_e64 s[44:45], v47, v35
	s_and_b64 s[14:15], s[44:45], s[30:31]
	s_and_saveexec_b64 s[50:51], s[14:15]
	s_cbranch_execz .LBB871_1048
; %bb.1043:
	v_mul_lo_u32 v6, v45, s20
	v_mul_lo_u32 v7, v46, s21
	v_mad_u64_u32 v[4:5], s[14:15], v46, s20, 0
	v_add3_u32 v5, v5, v7, v6
	v_mul_lo_u32 v51, v49, s20
	v_mul_lo_u32 v52, v50, s21
	v_mad_u64_u32 v[6:7], s[14:15], v50, s20, 0
	v_add3_u32 v7, v7, v52, v51
	v_lshl_add_u64 v[4:5], v[4:5], 2, s[22:23]
	v_lshl_add_u64 v[6:7], v[6:7], 2, s[22:23]
	s_mov_b64 s[52:53], 0
	s_mov_b64 s[58:59], s[20:21]
                                        ; implicit-def: $sgpr54_sgpr55
                                        ; implicit-def: $sgpr56_sgpr57
                                        ; implicit-def: $sgpr14_sgpr15
                                        ; implicit-def: $sgpr60_sgpr61
	s_branch .LBB871_1045
.LBB871_1044:                           ;   in Loop: Header=BB871_1045 Depth=1
	s_or_b64 exec, exec, s[64:65]
	s_and_b64 s[64:65], exec, s[56:57]
	s_or_b64 s[52:53], s[64:65], s[52:53]
	s_andn2_b64 s[60:61], s[60:61], exec
	s_and_b64 s[62:63], s[62:63], exec
	s_or_b64 s[60:61], s[60:61], s[62:63]
	s_andn2_b64 s[54:55], s[54:55], exec
	s_and_b64 s[62:63], s[14:15], exec
	s_or_b64 s[54:55], s[54:55], s[62:63]
	s_andn2_b64 exec, exec, s[52:53]
	s_cbranch_execz .LBB871_1047
.LBB871_1045:                           ; =>This Inner Loop Header: Depth=1
	global_load_dword v51, v[4:5], off
	global_load_dword v52, v[6:7], off
	s_andn2_b64 s[64:65], s[14:15], exec
	s_or_b64 s[56:57], s[56:57], exec
	s_waitcnt vmcnt(0)
	v_cmp_ngt_f32_e64 s[14:15], v51, v52
	v_cmp_lt_f32_e32 vcc, v51, v52
	s_and_b64 s[62:63], s[14:15], s[60:61]
	s_or_b64 s[62:63], vcc, s[62:63]
	s_xor_b64 s[66:67], vcc, s[14:15]
	s_and_b64 s[14:15], s[62:63], exec
	s_or_b64 s[14:15], s[64:65], s[14:15]
	s_and_saveexec_b64 s[64:65], s[66:67]
	s_cbranch_execz .LBB871_1044
; %bb.1046:                             ;   in Loop: Header=BB871_1045 Depth=1
	s_add_u32 s58, s58, -1
	s_addc_u32 s59, s59, -1
	s_cmp_eq_u64 s[58:59], 0
	s_cselect_b64 s[60:61], -1, 0
	s_andn2_b64 s[56:57], s[56:57], exec
	s_and_b64 s[60:61], s[60:61], exec
	v_lshl_add_u64 v[4:5], v[4:5], 0, 4
	v_lshl_add_u64 v[6:7], v[6:7], 0, 4
	s_andn2_b64 s[14:15], s[14:15], exec
	s_or_b64 s[56:57], s[56:57], s[60:61]
                                        ; implicit-def: $sgpr60_sgpr61
	s_branch .LBB871_1044
.LBB871_1047:
	s_or_b64 exec, exec, s[52:53]
	s_xor_b64 s[14:15], s[54:55], -1
	s_andn2_b64 s[44:45], s[44:45], exec
	s_and_b64 s[14:15], s[14:15], exec
	s_or_b64 s[44:45], s[44:45], s[14:15]
.LBB871_1048:
	s_or_b64 exec, exec, s[50:51]
	s_orn2_b64 s[44:45], s[44:45], exec
.LBB871_1049:
	s_or_b64 exec, exec, s[48:49]
	v_cndmask_b32_e64 v4, v48, v47, s[44:45]
	v_cndmask_b32_e64 v5, v36, v35, s[44:45]
	;; [unrolled: 1-line block ×4, first 2 shown]
	v_add_u32_e32 v38, 1, v4
	v_add_u32_e32 v4, -1, v5
	v_min_u32_e32 v4, v38, v4
	v_lshl_add_u32 v4, v4, 3, v31
	v_cndmask_b32_e64 v11, v10, v11, s[38:39]
	v_cndmask_b32_e64 v10, v17, v23, s[38:39]
	v_cndmask_b32_e64 v17, v14, v16, s[36:37]
	v_cndmask_b32_e64 v16, v15, v22, s[36:37]
	ds_read_b64 v[22:23], v4
	v_cndmask_b32_e64 v14, v2, v0, s[16:17]
	v_cndmask_b32_e64 v0, v38, v48, s[44:45]
	;; [unrolled: 1-line block ×9, first 2 shown]
	s_waitcnt lgkmcnt(0)
	v_cndmask_b32_e64 v5, v49, v23, s[44:45]
	v_cndmask_b32_e64 v4, v50, v22, s[44:45]
	v_cmp_lt_u32_e32 vcc, v0, v36
	s_and_saveexec_b64 s[16:17], vcc
	s_cbranch_execz .LBB871_1057
; %bb.1050:
	v_cndmask_b32_e64 v0, v47, v38, s[44:45]
	v_cndmask_b32_e64 v36, v23, v45, s[44:45]
	;; [unrolled: 1-line block ×3, first 2 shown]
	v_cmp_ge_u32_e32 vcc, v0, v35
	s_nor_b64 s[14:15], vcc, s[28:29]
	s_nop 0
	v_cndmask_b32_e32 v1, v5, v36, vcc
	v_cndmask_b32_e32 v0, v4, v37, vcc
	s_and_saveexec_b64 s[36:37], s[14:15]
	s_cbranch_execz .LBB871_1056
; %bb.1051:
	v_mul_lo_u32 v22, v36, s20
	v_mul_lo_u32 v23, v37, s21
	v_mad_u64_u32 v[0:1], s[14:15], v37, s20, 0
	v_add3_u32 v1, v1, v23, v22
	v_mul_lo_u32 v35, v5, s20
	v_mul_lo_u32 v38, v4, s21
	v_mad_u64_u32 v[22:23], s[14:15], v4, s20, 0
	v_add3_u32 v23, v23, v38, v35
	v_lshl_add_u64 v[0:1], v[0:1], 2, s[22:23]
	v_lshl_add_u64 v[22:23], v[22:23], 2, s[22:23]
	s_mov_b64 s[38:39], 0
	s_mov_b64 s[44:45], s[20:21]
                                        ; implicit-def: $sgpr40_sgpr41
                                        ; implicit-def: $sgpr42_sgpr43
                                        ; implicit-def: $sgpr14_sgpr15
                                        ; implicit-def: $sgpr46_sgpr47
	s_branch .LBB871_1053
.LBB871_1052:                           ;   in Loop: Header=BB871_1053 Depth=1
	s_or_b64 exec, exec, s[50:51]
	s_and_b64 s[50:51], exec, s[42:43]
	s_or_b64 s[38:39], s[50:51], s[38:39]
	s_andn2_b64 s[46:47], s[46:47], exec
	s_and_b64 s[48:49], s[48:49], exec
	s_or_b64 s[46:47], s[46:47], s[48:49]
	s_andn2_b64 s[40:41], s[40:41], exec
	s_and_b64 s[48:49], s[14:15], exec
	s_or_b64 s[40:41], s[40:41], s[48:49]
	s_andn2_b64 exec, exec, s[38:39]
	s_cbranch_execz .LBB871_1055
.LBB871_1053:                           ; =>This Inner Loop Header: Depth=1
	global_load_dword v35, v[0:1], off
	global_load_dword v38, v[22:23], off
	s_andn2_b64 s[50:51], s[14:15], exec
	s_or_b64 s[42:43], s[42:43], exec
	s_waitcnt vmcnt(0)
	v_cmp_ngt_f32_e64 s[14:15], v35, v38
	v_cmp_lt_f32_e32 vcc, v35, v38
	s_and_b64 s[48:49], s[14:15], s[46:47]
	s_or_b64 s[48:49], vcc, s[48:49]
	s_xor_b64 s[52:53], vcc, s[14:15]
	s_and_b64 s[14:15], s[48:49], exec
	s_or_b64 s[14:15], s[50:51], s[14:15]
	s_and_saveexec_b64 s[50:51], s[52:53]
	s_cbranch_execz .LBB871_1052
; %bb.1054:                             ;   in Loop: Header=BB871_1053 Depth=1
	s_add_u32 s44, s44, -1
	s_addc_u32 s45, s45, -1
	s_cmp_eq_u64 s[44:45], 0
	s_cselect_b64 s[46:47], -1, 0
	s_andn2_b64 s[42:43], s[42:43], exec
	s_and_b64 s[46:47], s[46:47], exec
	v_lshl_add_u64 v[0:1], v[0:1], 0, 4
	v_lshl_add_u64 v[22:23], v[22:23], 0, 4
	s_andn2_b64 s[14:15], s[14:15], exec
	s_or_b64 s[42:43], s[42:43], s[46:47]
                                        ; implicit-def: $sgpr46_sgpr47
	s_branch .LBB871_1052
.LBB871_1055:
	s_or_b64 exec, exec, s[38:39]
	v_cndmask_b32_e64 v1, v5, v36, s[40:41]
	v_cndmask_b32_e64 v0, v4, v37, s[40:41]
.LBB871_1056:
	s_or_b64 exec, exec, s[36:37]
	v_mov_b64_e32 v[4:5], v[0:1]
.LBB871_1057:
	s_or_b64 exec, exec, s[16:17]
.LBB871_1058:
	s_or_b64 exec, exec, s[34:35]
	v_and_b32_e32 v36, 0x380, v33
	v_or_b32_e32 v0, 64, v36
	; wave barrier
	ds_write_b128 v34, v[14:17]
	ds_write_b128 v34, v[10:13] offset:16
	ds_write_b128 v34, v[6:9] offset:32
	;; [unrolled: 1-line block ×3, first 2 shown]
	v_min_u32_e32 v34, v32, v0
	v_add_u32_e32 v0, 64, v34
	v_min_u32_e32 v35, v32, v0
	v_and_b32_e32 v0, 0x78, v33
	v_min_u32_e32 v37, v32, v0
	v_sub_u32_e32 v0, v34, v36
	v_sub_u32_e32 v1, v35, v34
	v_sub_u32_e64 v33, v37, v1 clamp
	v_min_u32_e32 v38, v37, v0
	v_lshl_add_u32 v32, v36, 3, v31
	v_cmp_lt_u32_e32 vcc, v33, v38
	; wave barrier
	s_and_saveexec_b64 s[34:35], vcc
	s_cbranch_execz .LBB871_1068
; %bb.1059:
	v_lshlrev_b32_e32 v0, 3, v34
	v_lshlrev_b32_e32 v1, 3, v37
	v_add3_u32 v39, v31, v0, v1
	v_cndmask_b32_e64 v0, 0, 1, s[18:19]
	s_lshl_b64 s[38:39], s[20:21], 2
	s_mov_b64 s[36:37], 0
	v_cmp_ne_u32_e64 s[14:15], 1, v0
	s_branch .LBB871_1062
.LBB871_1060:                           ;   in Loop: Header=BB871_1062 Depth=1
	s_or_b64 exec, exec, s[42:43]
.LBB871_1061:                           ;   in Loop: Header=BB871_1062 Depth=1
	v_add_u32_e32 v0, 1, v40
	v_cndmask_b32_e64 v38, v38, v40, s[40:41]
	v_cndmask_b32_e64 v33, v0, v33, s[40:41]
	v_cmp_ge_u32_e32 vcc, v33, v38
	s_or_b64 s[36:37], vcc, s[36:37]
	s_andn2_b64 exec, exec, s[36:37]
	s_cbranch_execz .LBB871_1067
.LBB871_1062:                           ; =>This Loop Header: Depth=1
                                        ;     Child Loop BB871_1065 Depth 2
	v_add_u32_e32 v0, v38, v33
	v_lshrrev_b32_e32 v40, 1, v0
	s_and_b64 vcc, exec, s[14:15]
	s_mov_b64 s[40:41], 0
	s_cbranch_vccnz .LBB871_1061
; %bb.1063:                             ;   in Loop: Header=BB871_1062 Depth=1
	v_not_b32_e32 v0, v40
	v_lshl_add_u32 v0, v0, 3, v39
	ds_read_b64 v[0:1], v0
	v_lshl_add_u32 v41, v40, 3, v32
	ds_read_b64 v[42:43], v41
	v_mov_b64_e32 v[22:23], s[22:23]
	s_mov_b64 s[42:43], 0
	s_waitcnt lgkmcnt(1)
	v_mul_lo_u32 v41, s38, v1
	v_mul_lo_u32 v44, s39, v0
	v_mad_u64_u32 v[0:1], s[16:17], s38, v0, v[22:23]
	v_add3_u32 v1, v44, v1, v41
	s_waitcnt lgkmcnt(0)
	v_mul_lo_u32 v41, s38, v43
	v_mul_lo_u32 v43, s39, v42
	v_mad_u64_u32 v[22:23], s[16:17], s38, v42, v[22:23]
	v_add3_u32 v23, v43, v23, v41
	s_mov_b64 s[46:47], s[20:21]
                                        ; implicit-def: $sgpr40_sgpr41
                                        ; implicit-def: $sgpr44_sgpr45
                                        ; implicit-def: $sgpr16_sgpr17
                                        ; implicit-def: $sgpr48_sgpr49
	s_branch .LBB871_1065
.LBB871_1064:                           ;   in Loop: Header=BB871_1065 Depth=2
	s_or_b64 exec, exec, s[52:53]
	s_and_b64 s[52:53], exec, s[44:45]
	s_or_b64 s[42:43], s[52:53], s[42:43]
	s_andn2_b64 s[48:49], s[48:49], exec
	s_and_b64 s[50:51], s[50:51], exec
	s_or_b64 s[48:49], s[48:49], s[50:51]
	s_andn2_b64 s[40:41], s[40:41], exec
	s_and_b64 s[50:51], s[16:17], exec
	s_or_b64 s[40:41], s[40:41], s[50:51]
	s_andn2_b64 exec, exec, s[42:43]
	s_cbranch_execz .LBB871_1060
.LBB871_1065:                           ;   Parent Loop BB871_1062 Depth=1
                                        ; =>  This Inner Loop Header: Depth=2
	global_load_dword v41, v[0:1], off
	global_load_dword v42, v[22:23], off
	s_andn2_b64 s[52:53], s[16:17], exec
	s_or_b64 s[44:45], s[44:45], exec
	s_waitcnt vmcnt(0)
	v_cmp_ngt_f32_e64 s[16:17], v41, v42
	v_cmp_lt_f32_e32 vcc, v41, v42
	s_and_b64 s[50:51], s[16:17], s[48:49]
	s_or_b64 s[50:51], vcc, s[50:51]
	s_xor_b64 s[54:55], vcc, s[16:17]
	s_and_b64 s[16:17], s[50:51], exec
	s_or_b64 s[16:17], s[52:53], s[16:17]
	s_and_saveexec_b64 s[52:53], s[54:55]
	s_cbranch_execz .LBB871_1064
; %bb.1066:                             ;   in Loop: Header=BB871_1065 Depth=2
	s_add_u32 s46, s46, -1
	s_addc_u32 s47, s47, -1
	s_cmp_eq_u64 s[46:47], 0
	s_cselect_b64 s[48:49], -1, 0
	s_andn2_b64 s[44:45], s[44:45], exec
	s_and_b64 s[48:49], s[48:49], exec
	v_lshl_add_u64 v[0:1], v[0:1], 0, 4
	v_lshl_add_u64 v[22:23], v[22:23], 0, 4
	s_andn2_b64 s[16:17], s[16:17], exec
	s_or_b64 s[44:45], s[44:45], s[48:49]
                                        ; implicit-def: $sgpr48_sgpr49
	s_branch .LBB871_1064
.LBB871_1067:
	s_or_b64 exec, exec, s[36:37]
.LBB871_1068:
	s_or_b64 exec, exec, s[34:35]
	v_add_u32_e32 v0, v34, v37
	v_add_u32_e32 v23, v33, v36
	v_sub_u32_e32 v36, v0, v33
	v_cmp_le_u32_e32 vcc, v23, v34
	v_cmp_le_u32_e64 s[14:15], v36, v35
	s_or_b64 s[14:15], vcc, s[14:15]
	s_and_saveexec_b64 s[34:35], s[14:15]
	s_cbranch_execz .LBB871_1136
; %bb.1069:
	v_cmp_ge_u32_e32 vcc, v23, v34
	v_cmp_lt_u32_e64 s[14:15], v23, v34
                                        ; implicit-def: $vgpr0_vgpr1
	s_and_saveexec_b64 s[16:17], s[14:15]
; %bb.1070:
	v_lshl_add_u32 v0, v33, 3, v32
	ds_read_b64 v[0:1], v0
; %bb.1071:
	s_or_b64 exec, exec, s[16:17]
	v_cmp_ge_u32_e64 s[14:15], v36, v35
	v_cmp_lt_u32_e64 s[16:17], v36, v35
                                        ; implicit-def: $vgpr2_vgpr3
	s_and_saveexec_b64 s[36:37], s[16:17]
; %bb.1072:
	v_lshl_add_u32 v2, v36, 3, v31
	ds_read_b64 v[2:3], v2
; %bb.1073:
	s_or_b64 exec, exec, s[36:37]
	s_or_b64 s[16:17], vcc, s[14:15]
	s_nor_b64 s[38:39], s[16:17], s[28:29]
	s_xor_b64 s[16:17], vcc, -1
	s_or_b64 s[16:17], s[14:15], s[16:17]
	s_and_saveexec_b64 s[36:37], s[38:39]
	s_cbranch_execz .LBB871_1079
; %bb.1074:
	s_waitcnt lgkmcnt(0)
	v_mul_lo_u32 v6, v3, s20
	v_mul_lo_u32 v7, v2, s21
	v_mad_u64_u32 v[4:5], s[14:15], v2, s20, 0
	v_add3_u32 v5, v5, v7, v6
	v_mul_lo_u32 v8, v1, s20
	v_mul_lo_u32 v9, v0, s21
	v_mad_u64_u32 v[6:7], s[14:15], v0, s20, 0
	v_add3_u32 v7, v7, v9, v8
	v_lshl_add_u64 v[4:5], v[4:5], 2, s[22:23]
	v_lshl_add_u64 v[6:7], v[6:7], 2, s[22:23]
	s_mov_b64 s[38:39], 0
	s_mov_b64 s[44:45], s[20:21]
                                        ; implicit-def: $sgpr40_sgpr41
                                        ; implicit-def: $sgpr42_sgpr43
                                        ; implicit-def: $sgpr14_sgpr15
                                        ; implicit-def: $sgpr46_sgpr47
	s_branch .LBB871_1076
.LBB871_1075:                           ;   in Loop: Header=BB871_1076 Depth=1
	s_or_b64 exec, exec, s[50:51]
	s_and_b64 s[50:51], exec, s[42:43]
	s_or_b64 s[38:39], s[50:51], s[38:39]
	s_andn2_b64 s[46:47], s[46:47], exec
	s_and_b64 s[48:49], s[48:49], exec
	s_or_b64 s[46:47], s[46:47], s[48:49]
	s_andn2_b64 s[40:41], s[40:41], exec
	s_and_b64 s[48:49], s[14:15], exec
	s_or_b64 s[40:41], s[40:41], s[48:49]
	s_andn2_b64 exec, exec, s[38:39]
	s_cbranch_execz .LBB871_1078
.LBB871_1076:                           ; =>This Inner Loop Header: Depth=1
	global_load_dword v8, v[4:5], off
	global_load_dword v9, v[6:7], off
	s_andn2_b64 s[50:51], s[14:15], exec
	s_or_b64 s[42:43], s[42:43], exec
	s_waitcnt vmcnt(0)
	v_cmp_ngt_f32_e64 s[14:15], v8, v9
	v_cmp_lt_f32_e32 vcc, v8, v9
	s_and_b64 s[48:49], s[14:15], s[46:47]
	s_or_b64 s[48:49], vcc, s[48:49]
	s_xor_b64 s[52:53], vcc, s[14:15]
	s_and_b64 s[14:15], s[48:49], exec
	s_or_b64 s[14:15], s[50:51], s[14:15]
	s_and_saveexec_b64 s[50:51], s[52:53]
	s_cbranch_execz .LBB871_1075
; %bb.1077:                             ;   in Loop: Header=BB871_1076 Depth=1
	s_add_u32 s44, s44, -1
	s_addc_u32 s45, s45, -1
	s_cmp_eq_u64 s[44:45], 0
	s_cselect_b64 s[46:47], -1, 0
	s_andn2_b64 s[42:43], s[42:43], exec
	s_and_b64 s[46:47], s[46:47], exec
	v_lshl_add_u64 v[4:5], v[4:5], 0, 4
	v_lshl_add_u64 v[6:7], v[6:7], 0, 4
	s_andn2_b64 s[14:15], s[14:15], exec
	s_or_b64 s[42:43], s[42:43], s[46:47]
                                        ; implicit-def: $sgpr46_sgpr47
	s_branch .LBB871_1075
.LBB871_1078:
	s_or_b64 exec, exec, s[38:39]
	s_xor_b64 s[14:15], s[40:41], -1
	s_andn2_b64 s[16:17], s[16:17], exec
	s_and_b64 s[14:15], s[14:15], exec
	s_or_b64 s[16:17], s[16:17], s[14:15]
.LBB871_1079:
	s_or_b64 exec, exec, s[36:37]
	v_cndmask_b32_e64 v4, v36, v23, s[16:17]
	v_cndmask_b32_e64 v5, v35, v34, s[16:17]
	v_add_u32_e32 v6, 1, v4
	v_add_u32_e32 v4, -1, v5
	v_min_u32_e32 v4, v6, v4
	v_lshl_add_u32 v4, v4, 3, v31
	ds_read_b64 v[4:5], v4
	v_cndmask_b32_e64 v8, v6, v36, s[16:17]
	v_cndmask_b32_e64 v9, v23, v6, s[16:17]
	v_cmp_lt_u32_e32 vcc, v8, v35
	s_mov_b64 s[38:39], -1
	s_waitcnt lgkmcnt(0)
	v_cndmask_b32_e64 v14, v5, v3, s[16:17]
	v_cndmask_b32_e64 v15, v4, v2, s[16:17]
	;; [unrolled: 1-line block ×4, first 2 shown]
	s_mov_b64 s[36:37], -1
	s_and_saveexec_b64 s[40:41], vcc
	s_cbranch_execz .LBB871_1087
; %bb.1080:
	v_cmp_lt_u32_e64 s[36:37], v9, v34
	s_and_b64 s[14:15], s[36:37], s[30:31]
	s_and_saveexec_b64 s[42:43], s[14:15]
	s_cbranch_execz .LBB871_1086
; %bb.1081:
	v_mul_lo_u32 v6, v14, s20
	v_mul_lo_u32 v7, v15, s21
	v_mad_u64_u32 v[4:5], s[14:15], v15, s20, 0
	v_add3_u32 v5, v5, v7, v6
	v_mul_lo_u32 v10, v16, s20
	v_mul_lo_u32 v11, v22, s21
	v_mad_u64_u32 v[6:7], s[14:15], v22, s20, 0
	v_add3_u32 v7, v7, v11, v10
	v_lshl_add_u64 v[4:5], v[4:5], 2, s[22:23]
	v_lshl_add_u64 v[6:7], v[6:7], 2, s[22:23]
	s_mov_b64 s[44:45], 0
	s_mov_b64 s[50:51], s[20:21]
                                        ; implicit-def: $sgpr46_sgpr47
                                        ; implicit-def: $sgpr48_sgpr49
                                        ; implicit-def: $sgpr14_sgpr15
                                        ; implicit-def: $sgpr52_sgpr53
	s_branch .LBB871_1083
.LBB871_1082:                           ;   in Loop: Header=BB871_1083 Depth=1
	s_or_b64 exec, exec, s[56:57]
	s_and_b64 s[56:57], exec, s[48:49]
	s_or_b64 s[44:45], s[56:57], s[44:45]
	s_andn2_b64 s[52:53], s[52:53], exec
	s_and_b64 s[54:55], s[54:55], exec
	s_or_b64 s[52:53], s[52:53], s[54:55]
	s_andn2_b64 s[46:47], s[46:47], exec
	s_and_b64 s[54:55], s[14:15], exec
	s_or_b64 s[46:47], s[46:47], s[54:55]
	s_andn2_b64 exec, exec, s[44:45]
	s_cbranch_execz .LBB871_1085
.LBB871_1083:                           ; =>This Inner Loop Header: Depth=1
	global_load_dword v10, v[4:5], off
	global_load_dword v11, v[6:7], off
	s_andn2_b64 s[56:57], s[14:15], exec
	s_or_b64 s[48:49], s[48:49], exec
	s_waitcnt vmcnt(0)
	v_cmp_ngt_f32_e64 s[14:15], v10, v11
	v_cmp_lt_f32_e32 vcc, v10, v11
	s_and_b64 s[54:55], s[14:15], s[52:53]
	s_or_b64 s[54:55], vcc, s[54:55]
	s_xor_b64 s[58:59], vcc, s[14:15]
	s_and_b64 s[14:15], s[54:55], exec
	s_or_b64 s[14:15], s[56:57], s[14:15]
	s_and_saveexec_b64 s[56:57], s[58:59]
	s_cbranch_execz .LBB871_1082
; %bb.1084:                             ;   in Loop: Header=BB871_1083 Depth=1
	s_add_u32 s50, s50, -1
	s_addc_u32 s51, s51, -1
	s_cmp_eq_u64 s[50:51], 0
	s_cselect_b64 s[52:53], -1, 0
	s_andn2_b64 s[48:49], s[48:49], exec
	s_and_b64 s[52:53], s[52:53], exec
	v_lshl_add_u64 v[4:5], v[4:5], 0, 4
	v_lshl_add_u64 v[6:7], v[6:7], 0, 4
	s_andn2_b64 s[14:15], s[14:15], exec
	s_or_b64 s[48:49], s[48:49], s[52:53]
                                        ; implicit-def: $sgpr52_sgpr53
	s_branch .LBB871_1082
.LBB871_1085:
	s_or_b64 exec, exec, s[44:45]
	s_xor_b64 s[14:15], s[46:47], -1
	s_andn2_b64 s[36:37], s[36:37], exec
	s_and_b64 s[14:15], s[14:15], exec
	s_or_b64 s[36:37], s[36:37], s[14:15]
.LBB871_1086:
	s_or_b64 exec, exec, s[42:43]
	s_orn2_b64 s[36:37], s[36:37], exec
.LBB871_1087:
	s_or_b64 exec, exec, s[40:41]
	v_cndmask_b32_e64 v4, v8, v9, s[36:37]
	v_cndmask_b32_e64 v5, v35, v34, s[36:37]
	v_add_u32_e32 v6, 1, v4
	v_add_u32_e32 v4, -1, v5
	v_min_u32_e32 v4, v6, v4
	v_lshl_add_u32 v4, v4, 3, v31
	ds_read_b64 v[4:5], v4
	v_cndmask_b32_e64 v8, v6, v8, s[36:37]
	v_cndmask_b32_e64 v9, v9, v6, s[36:37]
	v_cmp_lt_u32_e32 vcc, v8, v35
	s_waitcnt lgkmcnt(0)
	v_cndmask_b32_e64 v10, v5, v14, s[36:37]
	v_cndmask_b32_e64 v17, v4, v15, s[36:37]
	;; [unrolled: 1-line block ×4, first 2 shown]
	s_and_saveexec_b64 s[40:41], vcc
	s_cbranch_execz .LBB871_1095
; %bb.1088:
	v_cmp_lt_u32_e64 s[38:39], v9, v34
	s_and_b64 s[14:15], s[38:39], s[30:31]
	s_and_saveexec_b64 s[42:43], s[14:15]
	s_cbranch_execz .LBB871_1094
; %bb.1089:
	v_mul_lo_u32 v6, v10, s20
	v_mul_lo_u32 v7, v17, s21
	v_mad_u64_u32 v[4:5], s[14:15], v17, s20, 0
	v_add3_u32 v5, v5, v7, v6
	v_mul_lo_u32 v12, v11, s20
	v_mul_lo_u32 v13, v23, s21
	v_mad_u64_u32 v[6:7], s[14:15], v23, s20, 0
	v_add3_u32 v7, v7, v13, v12
	v_lshl_add_u64 v[4:5], v[4:5], 2, s[22:23]
	v_lshl_add_u64 v[6:7], v[6:7], 2, s[22:23]
	s_mov_b64 s[44:45], 0
	s_mov_b64 s[50:51], s[20:21]
                                        ; implicit-def: $sgpr46_sgpr47
                                        ; implicit-def: $sgpr48_sgpr49
                                        ; implicit-def: $sgpr14_sgpr15
                                        ; implicit-def: $sgpr52_sgpr53
	s_branch .LBB871_1091
.LBB871_1090:                           ;   in Loop: Header=BB871_1091 Depth=1
	s_or_b64 exec, exec, s[56:57]
	s_and_b64 s[56:57], exec, s[48:49]
	s_or_b64 s[44:45], s[56:57], s[44:45]
	s_andn2_b64 s[52:53], s[52:53], exec
	s_and_b64 s[54:55], s[54:55], exec
	s_or_b64 s[52:53], s[52:53], s[54:55]
	s_andn2_b64 s[46:47], s[46:47], exec
	s_and_b64 s[54:55], s[14:15], exec
	s_or_b64 s[46:47], s[46:47], s[54:55]
	s_andn2_b64 exec, exec, s[44:45]
	s_cbranch_execz .LBB871_1093
.LBB871_1091:                           ; =>This Inner Loop Header: Depth=1
	global_load_dword v12, v[4:5], off
	global_load_dword v13, v[6:7], off
	s_andn2_b64 s[56:57], s[14:15], exec
	s_or_b64 s[48:49], s[48:49], exec
	s_waitcnt vmcnt(0)
	v_cmp_ngt_f32_e64 s[14:15], v12, v13
	v_cmp_lt_f32_e32 vcc, v12, v13
	s_and_b64 s[54:55], s[14:15], s[52:53]
	s_or_b64 s[54:55], vcc, s[54:55]
	s_xor_b64 s[58:59], vcc, s[14:15]
	s_and_b64 s[14:15], s[54:55], exec
	s_or_b64 s[14:15], s[56:57], s[14:15]
	s_and_saveexec_b64 s[56:57], s[58:59]
	s_cbranch_execz .LBB871_1090
; %bb.1092:                             ;   in Loop: Header=BB871_1091 Depth=1
	s_add_u32 s50, s50, -1
	s_addc_u32 s51, s51, -1
	s_cmp_eq_u64 s[50:51], 0
	s_cselect_b64 s[52:53], -1, 0
	s_andn2_b64 s[48:49], s[48:49], exec
	s_and_b64 s[52:53], s[52:53], exec
	v_lshl_add_u64 v[4:5], v[4:5], 0, 4
	v_lshl_add_u64 v[6:7], v[6:7], 0, 4
	s_andn2_b64 s[14:15], s[14:15], exec
	s_or_b64 s[48:49], s[48:49], s[52:53]
                                        ; implicit-def: $sgpr52_sgpr53
	s_branch .LBB871_1090
.LBB871_1093:
	s_or_b64 exec, exec, s[44:45]
	s_xor_b64 s[14:15], s[46:47], -1
	s_andn2_b64 s[38:39], s[38:39], exec
	s_and_b64 s[14:15], s[14:15], exec
	s_or_b64 s[38:39], s[38:39], s[14:15]
.LBB871_1094:
	s_or_b64 exec, exec, s[42:43]
	s_orn2_b64 s[38:39], s[38:39], exec
.LBB871_1095:
	s_or_b64 exec, exec, s[40:41]
	v_cndmask_b32_e64 v4, v8, v9, s[38:39]
	v_cndmask_b32_e64 v5, v35, v34, s[38:39]
	v_add_u32_e32 v6, 1, v4
	v_add_u32_e32 v4, -1, v5
	v_min_u32_e32 v4, v6, v4
	v_lshl_add_u32 v4, v4, 3, v31
	ds_read_b64 v[4:5], v4
	v_cndmask_b32_e64 v8, v6, v8, s[38:39]
	v_cndmask_b32_e64 v9, v9, v6, s[38:39]
	v_cmp_lt_u32_e32 vcc, v8, v35
	s_mov_b64 s[42:43], -1
	s_waitcnt lgkmcnt(0)
	v_cndmask_b32_e64 v12, v5, v10, s[38:39]
	v_cndmask_b32_e64 v32, v4, v17, s[38:39]
	;; [unrolled: 1-line block ×4, first 2 shown]
	s_mov_b64 s[40:41], -1
	s_and_saveexec_b64 s[44:45], vcc
	s_cbranch_execz .LBB871_1103
; %bb.1096:
	v_cmp_lt_u32_e64 s[40:41], v9, v34
	s_and_b64 s[14:15], s[40:41], s[30:31]
	s_and_saveexec_b64 s[46:47], s[14:15]
	s_cbranch_execz .LBB871_1102
; %bb.1097:
	v_mul_lo_u32 v6, v12, s20
	v_mul_lo_u32 v7, v32, s21
	v_mad_u64_u32 v[4:5], s[14:15], v32, s20, 0
	v_add3_u32 v5, v5, v7, v6
	v_mul_lo_u32 v36, v13, s20
	v_mul_lo_u32 v37, v33, s21
	v_mad_u64_u32 v[6:7], s[14:15], v33, s20, 0
	v_add3_u32 v7, v7, v37, v36
	v_lshl_add_u64 v[4:5], v[4:5], 2, s[22:23]
	v_lshl_add_u64 v[6:7], v[6:7], 2, s[22:23]
	s_mov_b64 s[48:49], 0
	s_mov_b64 s[54:55], s[20:21]
                                        ; implicit-def: $sgpr50_sgpr51
                                        ; implicit-def: $sgpr52_sgpr53
                                        ; implicit-def: $sgpr14_sgpr15
                                        ; implicit-def: $sgpr56_sgpr57
	s_branch .LBB871_1099
.LBB871_1098:                           ;   in Loop: Header=BB871_1099 Depth=1
	s_or_b64 exec, exec, s[60:61]
	s_and_b64 s[60:61], exec, s[52:53]
	s_or_b64 s[48:49], s[60:61], s[48:49]
	s_andn2_b64 s[56:57], s[56:57], exec
	s_and_b64 s[58:59], s[58:59], exec
	s_or_b64 s[56:57], s[56:57], s[58:59]
	s_andn2_b64 s[50:51], s[50:51], exec
	s_and_b64 s[58:59], s[14:15], exec
	s_or_b64 s[50:51], s[50:51], s[58:59]
	s_andn2_b64 exec, exec, s[48:49]
	s_cbranch_execz .LBB871_1101
.LBB871_1099:                           ; =>This Inner Loop Header: Depth=1
	global_load_dword v36, v[4:5], off
	global_load_dword v37, v[6:7], off
	s_andn2_b64 s[60:61], s[14:15], exec
	s_or_b64 s[52:53], s[52:53], exec
	s_waitcnt vmcnt(0)
	v_cmp_ngt_f32_e64 s[14:15], v36, v37
	v_cmp_lt_f32_e32 vcc, v36, v37
	s_and_b64 s[58:59], s[14:15], s[56:57]
	s_or_b64 s[58:59], vcc, s[58:59]
	s_xor_b64 s[62:63], vcc, s[14:15]
	s_and_b64 s[14:15], s[58:59], exec
	s_or_b64 s[14:15], s[60:61], s[14:15]
	s_and_saveexec_b64 s[60:61], s[62:63]
	s_cbranch_execz .LBB871_1098
; %bb.1100:                             ;   in Loop: Header=BB871_1099 Depth=1
	s_add_u32 s54, s54, -1
	s_addc_u32 s55, s55, -1
	s_cmp_eq_u64 s[54:55], 0
	s_cselect_b64 s[56:57], -1, 0
	s_andn2_b64 s[52:53], s[52:53], exec
	s_and_b64 s[56:57], s[56:57], exec
	v_lshl_add_u64 v[4:5], v[4:5], 0, 4
	v_lshl_add_u64 v[6:7], v[6:7], 0, 4
	s_andn2_b64 s[14:15], s[14:15], exec
	s_or_b64 s[52:53], s[52:53], s[56:57]
                                        ; implicit-def: $sgpr56_sgpr57
	s_branch .LBB871_1098
.LBB871_1101:
	s_or_b64 exec, exec, s[48:49]
	s_xor_b64 s[14:15], s[50:51], -1
	s_andn2_b64 s[40:41], s[40:41], exec
	s_and_b64 s[14:15], s[14:15], exec
	s_or_b64 s[40:41], s[40:41], s[14:15]
.LBB871_1102:
	s_or_b64 exec, exec, s[46:47]
	s_orn2_b64 s[40:41], s[40:41], exec
.LBB871_1103:
	s_or_b64 exec, exec, s[44:45]
	v_cndmask_b32_e64 v4, v8, v9, s[40:41]
	v_cndmask_b32_e64 v5, v35, v34, s[40:41]
	v_add_u32_e32 v6, 1, v4
	v_add_u32_e32 v4, -1, v5
	v_min_u32_e32 v4, v6, v4
	v_lshl_add_u32 v4, v4, 3, v31
	ds_read_b64 v[4:5], v4
	v_cndmask_b32_e64 v42, v6, v8, s[40:41]
	v_cndmask_b32_e64 v43, v9, v6, s[40:41]
	v_cmp_lt_u32_e32 vcc, v42, v35
	s_waitcnt lgkmcnt(0)
	v_cndmask_b32_e64 v36, v5, v12, s[40:41]
	v_cndmask_b32_e64 v37, v4, v32, s[40:41]
	;; [unrolled: 1-line block ×4, first 2 shown]
	s_and_saveexec_b64 s[44:45], vcc
	s_cbranch_execz .LBB871_1111
; %bb.1104:
	v_cmp_lt_u32_e64 s[42:43], v43, v34
	s_and_b64 s[14:15], s[42:43], s[30:31]
	s_and_saveexec_b64 s[46:47], s[14:15]
	s_cbranch_execz .LBB871_1110
; %bb.1105:
	v_mul_lo_u32 v6, v36, s20
	v_mul_lo_u32 v7, v37, s21
	v_mad_u64_u32 v[4:5], s[14:15], v37, s20, 0
	v_add3_u32 v5, v5, v7, v6
	v_mul_lo_u32 v8, v38, s20
	v_mul_lo_u32 v9, v39, s21
	v_mad_u64_u32 v[6:7], s[14:15], v39, s20, 0
	v_add3_u32 v7, v7, v9, v8
	v_lshl_add_u64 v[4:5], v[4:5], 2, s[22:23]
	v_lshl_add_u64 v[6:7], v[6:7], 2, s[22:23]
	s_mov_b64 s[48:49], 0
	s_mov_b64 s[54:55], s[20:21]
                                        ; implicit-def: $sgpr50_sgpr51
                                        ; implicit-def: $sgpr52_sgpr53
                                        ; implicit-def: $sgpr14_sgpr15
                                        ; implicit-def: $sgpr56_sgpr57
	s_branch .LBB871_1107
.LBB871_1106:                           ;   in Loop: Header=BB871_1107 Depth=1
	s_or_b64 exec, exec, s[60:61]
	s_and_b64 s[60:61], exec, s[52:53]
	s_or_b64 s[48:49], s[60:61], s[48:49]
	s_andn2_b64 s[56:57], s[56:57], exec
	s_and_b64 s[58:59], s[58:59], exec
	s_or_b64 s[56:57], s[56:57], s[58:59]
	s_andn2_b64 s[50:51], s[50:51], exec
	s_and_b64 s[58:59], s[14:15], exec
	s_or_b64 s[50:51], s[50:51], s[58:59]
	s_andn2_b64 exec, exec, s[48:49]
	s_cbranch_execz .LBB871_1109
.LBB871_1107:                           ; =>This Inner Loop Header: Depth=1
	global_load_dword v8, v[4:5], off
	global_load_dword v9, v[6:7], off
	s_andn2_b64 s[60:61], s[14:15], exec
	s_or_b64 s[52:53], s[52:53], exec
	s_waitcnt vmcnt(0)
	v_cmp_ngt_f32_e64 s[14:15], v8, v9
	v_cmp_lt_f32_e32 vcc, v8, v9
	s_and_b64 s[58:59], s[14:15], s[56:57]
	s_or_b64 s[58:59], vcc, s[58:59]
	s_xor_b64 s[62:63], vcc, s[14:15]
	s_and_b64 s[14:15], s[58:59], exec
	s_or_b64 s[14:15], s[60:61], s[14:15]
	s_and_saveexec_b64 s[60:61], s[62:63]
	s_cbranch_execz .LBB871_1106
; %bb.1108:                             ;   in Loop: Header=BB871_1107 Depth=1
	s_add_u32 s54, s54, -1
	s_addc_u32 s55, s55, -1
	s_cmp_eq_u64 s[54:55], 0
	s_cselect_b64 s[56:57], -1, 0
	s_andn2_b64 s[52:53], s[52:53], exec
	s_and_b64 s[56:57], s[56:57], exec
	v_lshl_add_u64 v[4:5], v[4:5], 0, 4
	v_lshl_add_u64 v[6:7], v[6:7], 0, 4
	s_andn2_b64 s[14:15], s[14:15], exec
	s_or_b64 s[52:53], s[52:53], s[56:57]
                                        ; implicit-def: $sgpr56_sgpr57
	s_branch .LBB871_1106
.LBB871_1109:
	s_or_b64 exec, exec, s[48:49]
	s_xor_b64 s[14:15], s[50:51], -1
	s_andn2_b64 s[42:43], s[42:43], exec
	s_and_b64 s[14:15], s[14:15], exec
	s_or_b64 s[42:43], s[42:43], s[14:15]
.LBB871_1110:
	s_or_b64 exec, exec, s[46:47]
	s_orn2_b64 s[42:43], s[42:43], exec
.LBB871_1111:
	s_or_b64 exec, exec, s[44:45]
	v_cndmask_b32_e64 v4, v42, v43, s[42:43]
	v_cndmask_b32_e64 v5, v35, v34, s[42:43]
	v_add_u32_e32 v6, 1, v4
	v_add_u32_e32 v4, -1, v5
	v_min_u32_e32 v4, v6, v4
	v_lshl_add_u32 v4, v4, 3, v31
	ds_read_b64 v[4:5], v4
	v_cndmask_b32_e64 v44, v6, v42, s[42:43]
	v_cndmask_b32_e64 v48, v43, v6, s[42:43]
	v_cmp_lt_u32_e32 vcc, v44, v35
	s_mov_b64 s[44:45], -1
	s_waitcnt lgkmcnt(0)
	v_cndmask_b32_e64 v8, v5, v36, s[42:43]
	v_cndmask_b32_e64 v40, v4, v37, s[42:43]
	;; [unrolled: 1-line block ×4, first 2 shown]
	s_mov_b64 s[46:47], -1
	s_and_saveexec_b64 s[48:49], vcc
	s_cbranch_execz .LBB871_1119
; %bb.1112:
	v_cmp_lt_u32_e64 s[46:47], v48, v34
	s_and_b64 s[14:15], s[46:47], s[30:31]
	s_and_saveexec_b64 s[50:51], s[14:15]
	s_cbranch_execz .LBB871_1118
; %bb.1113:
	v_mul_lo_u32 v6, v8, s20
	v_mul_lo_u32 v7, v40, s21
	v_mad_u64_u32 v[4:5], s[14:15], v40, s20, 0
	v_add3_u32 v5, v5, v7, v6
	v_mul_lo_u32 v42, v9, s20
	v_mul_lo_u32 v43, v41, s21
	v_mad_u64_u32 v[6:7], s[14:15], v41, s20, 0
	v_add3_u32 v7, v7, v43, v42
	v_lshl_add_u64 v[4:5], v[4:5], 2, s[22:23]
	v_lshl_add_u64 v[6:7], v[6:7], 2, s[22:23]
	s_mov_b64 s[52:53], 0
	s_mov_b64 s[58:59], s[20:21]
                                        ; implicit-def: $sgpr54_sgpr55
                                        ; implicit-def: $sgpr56_sgpr57
                                        ; implicit-def: $sgpr14_sgpr15
                                        ; implicit-def: $sgpr60_sgpr61
	s_branch .LBB871_1115
.LBB871_1114:                           ;   in Loop: Header=BB871_1115 Depth=1
	s_or_b64 exec, exec, s[64:65]
	s_and_b64 s[64:65], exec, s[56:57]
	s_or_b64 s[52:53], s[64:65], s[52:53]
	s_andn2_b64 s[60:61], s[60:61], exec
	s_and_b64 s[62:63], s[62:63], exec
	s_or_b64 s[60:61], s[60:61], s[62:63]
	s_andn2_b64 s[54:55], s[54:55], exec
	s_and_b64 s[62:63], s[14:15], exec
	s_or_b64 s[54:55], s[54:55], s[62:63]
	s_andn2_b64 exec, exec, s[52:53]
	s_cbranch_execz .LBB871_1117
.LBB871_1115:                           ; =>This Inner Loop Header: Depth=1
	global_load_dword v42, v[4:5], off
	global_load_dword v43, v[6:7], off
	s_andn2_b64 s[64:65], s[14:15], exec
	s_or_b64 s[56:57], s[56:57], exec
	s_waitcnt vmcnt(0)
	v_cmp_ngt_f32_e64 s[14:15], v42, v43
	v_cmp_lt_f32_e32 vcc, v42, v43
	s_and_b64 s[62:63], s[14:15], s[60:61]
	s_or_b64 s[62:63], vcc, s[62:63]
	s_xor_b64 s[66:67], vcc, s[14:15]
	s_and_b64 s[14:15], s[62:63], exec
	s_or_b64 s[14:15], s[64:65], s[14:15]
	s_and_saveexec_b64 s[64:65], s[66:67]
	s_cbranch_execz .LBB871_1114
; %bb.1116:                             ;   in Loop: Header=BB871_1115 Depth=1
	s_add_u32 s58, s58, -1
	s_addc_u32 s59, s59, -1
	s_cmp_eq_u64 s[58:59], 0
	s_cselect_b64 s[60:61], -1, 0
	s_andn2_b64 s[56:57], s[56:57], exec
	s_and_b64 s[60:61], s[60:61], exec
	v_lshl_add_u64 v[4:5], v[4:5], 0, 4
	v_lshl_add_u64 v[6:7], v[6:7], 0, 4
	s_andn2_b64 s[14:15], s[14:15], exec
	s_or_b64 s[56:57], s[56:57], s[60:61]
                                        ; implicit-def: $sgpr60_sgpr61
	s_branch .LBB871_1114
.LBB871_1117:
	s_or_b64 exec, exec, s[52:53]
	s_xor_b64 s[14:15], s[54:55], -1
	s_andn2_b64 s[46:47], s[46:47], exec
	s_and_b64 s[14:15], s[14:15], exec
	s_or_b64 s[46:47], s[46:47], s[14:15]
.LBB871_1118:
	s_or_b64 exec, exec, s[50:51]
	s_orn2_b64 s[46:47], s[46:47], exec
.LBB871_1119:
	s_or_b64 exec, exec, s[48:49]
	v_cndmask_b32_e64 v4, v44, v48, s[46:47]
	v_cndmask_b32_e64 v5, v35, v34, s[46:47]
	v_add_u32_e32 v6, 1, v4
	v_add_u32_e32 v4, -1, v5
	v_min_u32_e32 v4, v6, v4
	v_lshl_add_u32 v4, v4, 3, v31
	ds_read_b64 v[4:5], v4
	v_cndmask_b32_e64 v45, v6, v44, s[46:47]
	v_cndmask_b32_e64 v44, v48, v6, s[46:47]
	v_cmp_lt_u32_e32 vcc, v45, v35
	s_waitcnt lgkmcnt(0)
	v_cndmask_b32_e64 v42, v5, v8, s[46:47]
	v_cndmask_b32_e64 v43, v4, v40, s[46:47]
	;; [unrolled: 1-line block ×4, first 2 shown]
	s_and_saveexec_b64 s[48:49], vcc
	s_cbranch_execz .LBB871_1127
; %bb.1120:
	v_cmp_lt_u32_e64 s[44:45], v44, v34
	s_and_b64 s[14:15], s[44:45], s[30:31]
	s_and_saveexec_b64 s[50:51], s[14:15]
	s_cbranch_execz .LBB871_1126
; %bb.1121:
	v_mul_lo_u32 v6, v42, s20
	v_mul_lo_u32 v7, v43, s21
	v_mad_u64_u32 v[4:5], s[14:15], v43, s20, 0
	v_add3_u32 v5, v5, v7, v6
	v_mul_lo_u32 v48, v46, s20
	v_mul_lo_u32 v49, v47, s21
	v_mad_u64_u32 v[6:7], s[14:15], v47, s20, 0
	v_add3_u32 v7, v7, v49, v48
	v_lshl_add_u64 v[4:5], v[4:5], 2, s[22:23]
	v_lshl_add_u64 v[6:7], v[6:7], 2, s[22:23]
	s_mov_b64 s[52:53], 0
	s_mov_b64 s[58:59], s[20:21]
                                        ; implicit-def: $sgpr54_sgpr55
                                        ; implicit-def: $sgpr56_sgpr57
                                        ; implicit-def: $sgpr14_sgpr15
                                        ; implicit-def: $sgpr60_sgpr61
	s_branch .LBB871_1123
.LBB871_1122:                           ;   in Loop: Header=BB871_1123 Depth=1
	s_or_b64 exec, exec, s[64:65]
	s_and_b64 s[64:65], exec, s[56:57]
	s_or_b64 s[52:53], s[64:65], s[52:53]
	s_andn2_b64 s[60:61], s[60:61], exec
	s_and_b64 s[62:63], s[62:63], exec
	s_or_b64 s[60:61], s[60:61], s[62:63]
	s_andn2_b64 s[54:55], s[54:55], exec
	s_and_b64 s[62:63], s[14:15], exec
	s_or_b64 s[54:55], s[54:55], s[62:63]
	s_andn2_b64 exec, exec, s[52:53]
	s_cbranch_execz .LBB871_1125
.LBB871_1123:                           ; =>This Inner Loop Header: Depth=1
	global_load_dword v48, v[4:5], off
	global_load_dword v49, v[6:7], off
	s_andn2_b64 s[64:65], s[14:15], exec
	s_or_b64 s[56:57], s[56:57], exec
	s_waitcnt vmcnt(0)
	v_cmp_ngt_f32_e64 s[14:15], v48, v49
	v_cmp_lt_f32_e32 vcc, v48, v49
	s_and_b64 s[62:63], s[14:15], s[60:61]
	s_or_b64 s[62:63], vcc, s[62:63]
	s_xor_b64 s[66:67], vcc, s[14:15]
	s_and_b64 s[14:15], s[62:63], exec
	s_or_b64 s[14:15], s[64:65], s[14:15]
	s_and_saveexec_b64 s[64:65], s[66:67]
	s_cbranch_execz .LBB871_1122
; %bb.1124:                             ;   in Loop: Header=BB871_1123 Depth=1
	s_add_u32 s58, s58, -1
	s_addc_u32 s59, s59, -1
	s_cmp_eq_u64 s[58:59], 0
	s_cselect_b64 s[60:61], -1, 0
	s_andn2_b64 s[56:57], s[56:57], exec
	s_and_b64 s[60:61], s[60:61], exec
	v_lshl_add_u64 v[4:5], v[4:5], 0, 4
	v_lshl_add_u64 v[6:7], v[6:7], 0, 4
	s_andn2_b64 s[14:15], s[14:15], exec
	s_or_b64 s[56:57], s[56:57], s[60:61]
                                        ; implicit-def: $sgpr60_sgpr61
	s_branch .LBB871_1122
.LBB871_1125:
	s_or_b64 exec, exec, s[52:53]
	s_xor_b64 s[14:15], s[54:55], -1
	s_andn2_b64 s[44:45], s[44:45], exec
	s_and_b64 s[14:15], s[14:15], exec
	s_or_b64 s[44:45], s[44:45], s[14:15]
.LBB871_1126:
	s_or_b64 exec, exec, s[50:51]
	s_orn2_b64 s[44:45], s[44:45], exec
.LBB871_1127:
	s_or_b64 exec, exec, s[48:49]
	v_cndmask_b32_e64 v4, v45, v44, s[44:45]
	v_cndmask_b32_e64 v5, v35, v34, s[44:45]
	v_cndmask_b32_e64 v13, v12, v13, s[40:41]
	v_cndmask_b32_e64 v12, v32, v33, s[40:41]
	v_add_u32_e32 v33, 1, v4
	v_add_u32_e32 v4, -1, v5
	v_min_u32_e32 v4, v33, v4
	v_lshl_add_u32 v4, v4, 3, v31
	v_cndmask_b32_e64 v11, v10, v11, s[38:39]
	v_cndmask_b32_e64 v10, v17, v23, s[38:39]
	;; [unrolled: 1-line block ×4, first 2 shown]
	ds_read_b64 v[22:23], v4
	v_cndmask_b32_e64 v14, v2, v0, s[16:17]
	v_cndmask_b32_e64 v0, v33, v45, s[44:45]
	;; [unrolled: 1-line block ×9, first 2 shown]
	s_waitcnt lgkmcnt(0)
	v_cndmask_b32_e64 v5, v46, v23, s[44:45]
	v_cndmask_b32_e64 v4, v47, v22, s[44:45]
	v_cmp_lt_u32_e32 vcc, v0, v35
	s_and_saveexec_b64 s[16:17], vcc
	s_cbranch_execz .LBB871_1135
; %bb.1128:
	v_cndmask_b32_e64 v0, v44, v33, s[44:45]
	v_cndmask_b32_e64 v31, v23, v42, s[44:45]
	;; [unrolled: 1-line block ×3, first 2 shown]
	v_cmp_ge_u32_e32 vcc, v0, v34
	s_nor_b64 s[14:15], vcc, s[28:29]
	s_nop 0
	v_cndmask_b32_e32 v1, v5, v31, vcc
	v_cndmask_b32_e32 v0, v4, v32, vcc
	s_and_saveexec_b64 s[36:37], s[14:15]
	s_cbranch_execz .LBB871_1134
; %bb.1129:
	v_mul_lo_u32 v22, v31, s20
	v_mul_lo_u32 v23, v32, s21
	v_mad_u64_u32 v[0:1], s[14:15], v32, s20, 0
	v_add3_u32 v1, v1, v23, v22
	v_mul_lo_u32 v33, v5, s20
	v_mul_lo_u32 v34, v4, s21
	v_mad_u64_u32 v[22:23], s[14:15], v4, s20, 0
	v_add3_u32 v23, v23, v34, v33
	v_lshl_add_u64 v[0:1], v[0:1], 2, s[22:23]
	v_lshl_add_u64 v[22:23], v[22:23], 2, s[22:23]
	s_mov_b64 s[38:39], 0
	s_mov_b64 s[44:45], s[20:21]
                                        ; implicit-def: $sgpr40_sgpr41
                                        ; implicit-def: $sgpr42_sgpr43
                                        ; implicit-def: $sgpr14_sgpr15
                                        ; implicit-def: $sgpr46_sgpr47
	s_branch .LBB871_1131
.LBB871_1130:                           ;   in Loop: Header=BB871_1131 Depth=1
	s_or_b64 exec, exec, s[50:51]
	s_and_b64 s[50:51], exec, s[42:43]
	s_or_b64 s[38:39], s[50:51], s[38:39]
	s_andn2_b64 s[46:47], s[46:47], exec
	s_and_b64 s[48:49], s[48:49], exec
	s_or_b64 s[46:47], s[46:47], s[48:49]
	s_andn2_b64 s[40:41], s[40:41], exec
	s_and_b64 s[48:49], s[14:15], exec
	s_or_b64 s[40:41], s[40:41], s[48:49]
	s_andn2_b64 exec, exec, s[38:39]
	s_cbranch_execz .LBB871_1133
.LBB871_1131:                           ; =>This Inner Loop Header: Depth=1
	global_load_dword v33, v[0:1], off
	global_load_dword v34, v[22:23], off
	s_andn2_b64 s[50:51], s[14:15], exec
	s_or_b64 s[42:43], s[42:43], exec
	s_waitcnt vmcnt(0)
	v_cmp_ngt_f32_e64 s[14:15], v33, v34
	v_cmp_lt_f32_e32 vcc, v33, v34
	s_and_b64 s[48:49], s[14:15], s[46:47]
	s_or_b64 s[48:49], vcc, s[48:49]
	s_xor_b64 s[52:53], vcc, s[14:15]
	s_and_b64 s[14:15], s[48:49], exec
	s_or_b64 s[14:15], s[50:51], s[14:15]
	s_and_saveexec_b64 s[50:51], s[52:53]
	s_cbranch_execz .LBB871_1130
; %bb.1132:                             ;   in Loop: Header=BB871_1131 Depth=1
	s_add_u32 s44, s44, -1
	s_addc_u32 s45, s45, -1
	s_cmp_eq_u64 s[44:45], 0
	s_cselect_b64 s[46:47], -1, 0
	s_andn2_b64 s[42:43], s[42:43], exec
	s_and_b64 s[46:47], s[46:47], exec
	v_lshl_add_u64 v[0:1], v[0:1], 0, 4
	v_lshl_add_u64 v[22:23], v[22:23], 0, 4
	s_andn2_b64 s[14:15], s[14:15], exec
	s_or_b64 s[42:43], s[42:43], s[46:47]
                                        ; implicit-def: $sgpr46_sgpr47
	s_branch .LBB871_1130
.LBB871_1133:
	s_or_b64 exec, exec, s[38:39]
	v_cndmask_b32_e64 v1, v5, v31, s[40:41]
	v_cndmask_b32_e64 v0, v4, v32, s[40:41]
.LBB871_1134:
	s_or_b64 exec, exec, s[36:37]
	v_mov_b64_e32 v[4:5], v[0:1]
.LBB871_1135:
	s_or_b64 exec, exec, s[16:17]
.LBB871_1136:
	s_or_b64 exec, exec, s[34:35]
	s_cmpk_lt_u32 s33, 0x81
	; wave barrier
	s_waitcnt lgkmcnt(0)
	s_barrier
	s_cbranch_scc1 .LBB871_1217
; %bb.1137:
	v_cndmask_b32_e64 v0, 0, 1, s[18:19]
	v_lshlrev_b32_e32 v31, 3, v20
	s_lshl_b64 s[34:35], s[20:21], 2
	s_movk_i32 s68, 0x80
	v_cmp_ne_u32_e64 s[14:15], 1, v0
	s_branch .LBB871_1142
.LBB871_1138:                           ;   in Loop: Header=BB871_1142 Depth=1
	s_or_b64 exec, exec, s[54:55]
	v_cndmask_b32_e64 v7, v5, v33, s[56:57]
	v_cndmask_b32_e64 v6, v4, v48, s[56:57]
.LBB871_1139:                           ;   in Loop: Header=BB871_1142 Depth=1
	s_or_b64 exec, exec, s[52:53]
	v_mov_b64_e32 v[4:5], v[6:7]
.LBB871_1140:                           ;   in Loop: Header=BB871_1142 Depth=1
	s_or_b64 exec, exec, s[50:51]
	v_cndmask_b32_e64 v9, v40, v42, s[48:49]
	v_cndmask_b32_e64 v8, v41, v43, s[48:49]
	;; [unrolled: 1-line block ×14, first 2 shown]
.LBB871_1141:                           ;   in Loop: Header=BB871_1142 Depth=1
	s_or_b64 exec, exec, s[36:37]
	s_cmp_lt_u32 s68, s33
	s_barrier
	s_cbranch_scc0 .LBB871_1217
.LBB871_1142:                           ; =>This Loop Header: Depth=1
                                        ;     Child Loop BB871_1146 Depth 2
                                        ;       Child Loop BB871_1149 Depth 3
                                        ;     Child Loop BB871_1160 Depth 2
                                        ;     Child Loop BB871_1167 Depth 2
	;; [unrolled: 1-line block ×8, first 2 shown]
	s_mov_b32 s16, s68
	s_lshl_b32 s68, s68, 1
	s_sub_i32 s18, 0, s68
	v_and_b32_e32 v36, s18, v20
	v_add_u32_e32 v0, s16, v36
	v_min_u32_e32 v32, s33, v0
	s_add_i32 s17, s68, -1
	v_add_u32_e32 v0, s16, v32
	v_min_u32_e32 v33, s33, v0
	v_and_b32_e32 v0, s17, v20
	v_min_u32_e32 v37, s33, v0
	v_sub_u32_e32 v0, v32, v36
	v_sub_u32_e32 v1, v33, v32
	v_sub_u32_e64 v35, v37, v1 clamp
	v_min_u32_e32 v38, v37, v0
	v_lshlrev_b32_e32 v34, 3, v36
	v_cmp_lt_u32_e32 vcc, v35, v38
	ds_write_b128 v31, v[14:17]
	ds_write_b128 v31, v[10:13] offset:16
	ds_write_b128 v31, v[6:9] offset:32
	;; [unrolled: 1-line block ×3, first 2 shown]
	s_waitcnt lgkmcnt(0)
	s_barrier
	s_and_saveexec_b64 s[18:19], vcc
	s_cbranch_execz .LBB871_1152
; %bb.1143:                             ;   in Loop: Header=BB871_1142 Depth=1
	v_lshlrev_b32_e32 v0, 3, v37
	v_lshl_add_u32 v39, v32, 3, v0
	s_mov_b64 s[36:37], 0
	s_branch .LBB871_1146
.LBB871_1144:                           ;   in Loop: Header=BB871_1146 Depth=2
	s_or_b64 exec, exec, s[40:41]
.LBB871_1145:                           ;   in Loop: Header=BB871_1146 Depth=2
	v_add_u32_e32 v0, 1, v40
	v_cndmask_b32_e64 v38, v38, v40, s[38:39]
	v_cndmask_b32_e64 v35, v0, v35, s[38:39]
	v_cmp_ge_u32_e32 vcc, v35, v38
	s_or_b64 s[36:37], vcc, s[36:37]
	s_andn2_b64 exec, exec, s[36:37]
	s_cbranch_execz .LBB871_1151
.LBB871_1146:                           ;   Parent Loop BB871_1142 Depth=1
                                        ; =>  This Loop Header: Depth=2
                                        ;       Child Loop BB871_1149 Depth 3
	v_add_u32_e32 v0, v38, v35
	v_lshrrev_b32_e32 v40, 1, v0
	s_and_b64 vcc, exec, s[14:15]
	s_mov_b64 s[38:39], 0
	s_cbranch_vccnz .LBB871_1145
; %bb.1147:                             ;   in Loop: Header=BB871_1146 Depth=2
	v_not_b32_e32 v0, v40
	v_lshl_add_u32 v0, v0, 3, v39
	ds_read_b64 v[0:1], v0
	v_lshl_add_u32 v41, v40, 3, v34
	ds_read_b64 v[42:43], v41
	v_mov_b64_e32 v[22:23], s[22:23]
	s_mov_b64 s[40:41], 0
	s_waitcnt lgkmcnt(1)
	v_mul_lo_u32 v41, s34, v1
	v_mul_lo_u32 v44, s35, v0
	v_mad_u64_u32 v[0:1], s[16:17], s34, v0, v[22:23]
	v_add3_u32 v1, v44, v1, v41
	s_waitcnt lgkmcnt(0)
	v_mul_lo_u32 v41, s34, v43
	v_mul_lo_u32 v43, s35, v42
	v_mad_u64_u32 v[22:23], s[16:17], s34, v42, v[22:23]
	v_add3_u32 v23, v43, v23, v41
	s_mov_b64 s[44:45], s[20:21]
                                        ; implicit-def: $sgpr38_sgpr39
                                        ; implicit-def: $sgpr42_sgpr43
                                        ; implicit-def: $sgpr16_sgpr17
                                        ; implicit-def: $sgpr46_sgpr47
	s_branch .LBB871_1149
.LBB871_1148:                           ;   in Loop: Header=BB871_1149 Depth=3
	s_or_b64 exec, exec, s[50:51]
	s_and_b64 s[50:51], exec, s[42:43]
	s_or_b64 s[40:41], s[50:51], s[40:41]
	s_andn2_b64 s[46:47], s[46:47], exec
	s_and_b64 s[48:49], s[48:49], exec
	s_or_b64 s[46:47], s[46:47], s[48:49]
	s_andn2_b64 s[38:39], s[38:39], exec
	s_and_b64 s[48:49], s[16:17], exec
	s_or_b64 s[38:39], s[38:39], s[48:49]
	s_andn2_b64 exec, exec, s[40:41]
	s_cbranch_execz .LBB871_1144
.LBB871_1149:                           ;   Parent Loop BB871_1142 Depth=1
                                        ;     Parent Loop BB871_1146 Depth=2
                                        ; =>    This Inner Loop Header: Depth=3
	global_load_dword v41, v[0:1], off
	global_load_dword v42, v[22:23], off
	s_andn2_b64 s[50:51], s[16:17], exec
	s_or_b64 s[42:43], s[42:43], exec
	s_waitcnt vmcnt(0)
	v_cmp_ngt_f32_e64 s[16:17], v41, v42
	v_cmp_lt_f32_e32 vcc, v41, v42
	s_and_b64 s[48:49], s[16:17], s[46:47]
	s_or_b64 s[48:49], vcc, s[48:49]
	s_xor_b64 s[52:53], vcc, s[16:17]
	s_and_b64 s[16:17], s[48:49], exec
	s_or_b64 s[16:17], s[50:51], s[16:17]
	s_and_saveexec_b64 s[50:51], s[52:53]
	s_cbranch_execz .LBB871_1148
; %bb.1150:                             ;   in Loop: Header=BB871_1149 Depth=3
	s_add_u32 s44, s44, -1
	s_addc_u32 s45, s45, -1
	s_cmp_eq_u64 s[44:45], 0
	s_cselect_b64 s[46:47], -1, 0
	s_andn2_b64 s[42:43], s[42:43], exec
	s_and_b64 s[46:47], s[46:47], exec
	v_lshl_add_u64 v[0:1], v[0:1], 0, 4
	v_lshl_add_u64 v[22:23], v[22:23], 0, 4
	s_andn2_b64 s[16:17], s[16:17], exec
	s_or_b64 s[42:43], s[42:43], s[46:47]
                                        ; implicit-def: $sgpr46_sgpr47
	s_branch .LBB871_1148
.LBB871_1151:                           ;   in Loop: Header=BB871_1142 Depth=1
	s_or_b64 exec, exec, s[36:37]
.LBB871_1152:                           ;   in Loop: Header=BB871_1142 Depth=1
	s_or_b64 exec, exec, s[18:19]
	v_sub_u32_e32 v0, v37, v35
	v_add_u32_e32 v23, v35, v36
	v_add_u32_e32 v36, v0, v32
	v_cmp_le_u32_e32 vcc, v23, v32
	v_cmp_le_u32_e64 s[16:17], v36, v33
	s_or_b64 s[16:17], vcc, s[16:17]
	s_and_saveexec_b64 s[36:37], s[16:17]
	s_cbranch_execz .LBB871_1141
; %bb.1153:                             ;   in Loop: Header=BB871_1142 Depth=1
	v_cmp_ge_u32_e32 vcc, v23, v32
	v_cmp_lt_u32_e64 s[16:17], v23, v32
                                        ; implicit-def: $vgpr0_vgpr1
	s_and_saveexec_b64 s[18:19], s[16:17]
; %bb.1154:                             ;   in Loop: Header=BB871_1142 Depth=1
	v_lshl_add_u32 v0, v35, 3, v34
	ds_read_b64 v[0:1], v0
; %bb.1155:                             ;   in Loop: Header=BB871_1142 Depth=1
	s_or_b64 exec, exec, s[18:19]
	v_cmp_ge_u32_e64 s[16:17], v36, v33
	v_cmp_lt_u32_e64 s[18:19], v36, v33
                                        ; implicit-def: $vgpr2_vgpr3
	s_and_saveexec_b64 s[38:39], s[18:19]
; %bb.1156:                             ;   in Loop: Header=BB871_1142 Depth=1
	v_lshlrev_b32_e32 v2, 3, v36
	ds_read_b64 v[2:3], v2
; %bb.1157:                             ;   in Loop: Header=BB871_1142 Depth=1
	s_or_b64 exec, exec, s[38:39]
	s_or_b64 s[18:19], vcc, s[16:17]
	s_nor_b64 s[40:41], s[18:19], s[28:29]
	s_xor_b64 s[18:19], vcc, -1
	s_or_b64 s[18:19], s[16:17], s[18:19]
	s_and_saveexec_b64 s[38:39], s[40:41]
	s_cbranch_execz .LBB871_1163
; %bb.1158:                             ;   in Loop: Header=BB871_1142 Depth=1
	v_mov_b64_e32 v[6:7], s[22:23]
	s_waitcnt lgkmcnt(0)
	v_mad_u64_u32 v[4:5], s[16:17], s34, v2, v[6:7]
	v_mul_lo_u32 v8, s34, v3
	v_mul_lo_u32 v9, s35, v2
	v_add3_u32 v5, v9, v5, v8
	v_mad_u64_u32 v[6:7], s[16:17], s34, v0, v[6:7]
	v_mul_lo_u32 v8, s34, v1
	v_mul_lo_u32 v9, s35, v0
	v_add3_u32 v7, v9, v7, v8
	s_mov_b64 s[40:41], 0
	s_mov_b64 s[46:47], s[20:21]
                                        ; implicit-def: $sgpr42_sgpr43
                                        ; implicit-def: $sgpr44_sgpr45
                                        ; implicit-def: $sgpr16_sgpr17
                                        ; implicit-def: $sgpr48_sgpr49
	s_branch .LBB871_1160
.LBB871_1159:                           ;   in Loop: Header=BB871_1160 Depth=2
	s_or_b64 exec, exec, s[52:53]
	s_and_b64 s[52:53], exec, s[44:45]
	s_or_b64 s[40:41], s[52:53], s[40:41]
	s_andn2_b64 s[48:49], s[48:49], exec
	s_and_b64 s[50:51], s[50:51], exec
	s_or_b64 s[48:49], s[48:49], s[50:51]
	s_andn2_b64 s[42:43], s[42:43], exec
	s_and_b64 s[50:51], s[16:17], exec
	s_or_b64 s[42:43], s[42:43], s[50:51]
	s_andn2_b64 exec, exec, s[40:41]
	s_cbranch_execz .LBB871_1162
.LBB871_1160:                           ;   Parent Loop BB871_1142 Depth=1
                                        ; =>  This Inner Loop Header: Depth=2
	global_load_dword v8, v[4:5], off
	global_load_dword v9, v[6:7], off
	s_andn2_b64 s[52:53], s[16:17], exec
	s_or_b64 s[44:45], s[44:45], exec
	s_waitcnt vmcnt(0)
	v_cmp_ngt_f32_e64 s[16:17], v8, v9
	v_cmp_lt_f32_e32 vcc, v8, v9
	s_and_b64 s[50:51], s[16:17], s[48:49]
	s_or_b64 s[50:51], vcc, s[50:51]
	s_xor_b64 s[54:55], vcc, s[16:17]
	s_and_b64 s[16:17], s[50:51], exec
	s_or_b64 s[16:17], s[52:53], s[16:17]
	s_and_saveexec_b64 s[52:53], s[54:55]
	s_cbranch_execz .LBB871_1159
; %bb.1161:                             ;   in Loop: Header=BB871_1160 Depth=2
	s_add_u32 s46, s46, -1
	s_addc_u32 s47, s47, -1
	s_cmp_eq_u64 s[46:47], 0
	s_cselect_b64 s[48:49], -1, 0
	s_andn2_b64 s[44:45], s[44:45], exec
	s_and_b64 s[48:49], s[48:49], exec
	v_lshl_add_u64 v[4:5], v[4:5], 0, 4
	v_lshl_add_u64 v[6:7], v[6:7], 0, 4
	s_andn2_b64 s[16:17], s[16:17], exec
	s_or_b64 s[44:45], s[44:45], s[48:49]
                                        ; implicit-def: $sgpr48_sgpr49
	s_branch .LBB871_1159
.LBB871_1162:                           ;   in Loop: Header=BB871_1142 Depth=1
	s_or_b64 exec, exec, s[40:41]
	s_xor_b64 s[16:17], s[42:43], -1
	s_andn2_b64 s[18:19], s[18:19], exec
	s_and_b64 s[16:17], s[16:17], exec
	s_or_b64 s[18:19], s[18:19], s[16:17]
.LBB871_1163:                           ;   in Loop: Header=BB871_1142 Depth=1
	s_or_b64 exec, exec, s[38:39]
	v_cndmask_b32_e64 v4, v36, v23, s[18:19]
	v_cndmask_b32_e64 v5, v33, v32, s[18:19]
	v_add_u32_e32 v6, 1, v4
	v_add_u32_e32 v4, -1, v5
	v_min_u32_e32 v4, v6, v4
	v_lshlrev_b32_e32 v4, 3, v4
	ds_read_b64 v[4:5], v4
	v_cndmask_b32_e64 v8, v6, v36, s[18:19]
	v_cndmask_b32_e64 v9, v23, v6, s[18:19]
	v_cmp_lt_u32_e32 vcc, v8, v33
	s_mov_b64 s[40:41], -1
	s_waitcnt lgkmcnt(0)
	v_cndmask_b32_e64 v14, v5, v3, s[18:19]
	v_cndmask_b32_e64 v15, v4, v2, s[18:19]
	v_cndmask_b32_e64 v16, v1, v5, s[18:19]
	v_cndmask_b32_e64 v22, v0, v4, s[18:19]
	s_mov_b64 s[38:39], -1
	s_and_saveexec_b64 s[42:43], vcc
	s_cbranch_execz .LBB871_1171
; %bb.1164:                             ;   in Loop: Header=BB871_1142 Depth=1
	v_cmp_lt_u32_e64 s[38:39], v9, v32
	s_and_b64 s[16:17], s[38:39], s[30:31]
	s_and_saveexec_b64 s[44:45], s[16:17]
	s_cbranch_execz .LBB871_1170
; %bb.1165:                             ;   in Loop: Header=BB871_1142 Depth=1
	v_mov_b64_e32 v[6:7], s[22:23]
	v_mad_u64_u32 v[4:5], s[16:17], s34, v15, v[6:7]
	v_mul_lo_u32 v10, s34, v14
	v_mul_lo_u32 v11, s35, v15
	v_add3_u32 v5, v11, v5, v10
	v_mad_u64_u32 v[6:7], s[16:17], s34, v22, v[6:7]
	v_mul_lo_u32 v10, s34, v16
	v_mul_lo_u32 v11, s35, v22
	v_add3_u32 v7, v11, v7, v10
	s_mov_b64 s[46:47], 0
	s_mov_b64 s[52:53], s[20:21]
                                        ; implicit-def: $sgpr48_sgpr49
                                        ; implicit-def: $sgpr50_sgpr51
                                        ; implicit-def: $sgpr16_sgpr17
                                        ; implicit-def: $sgpr54_sgpr55
	s_branch .LBB871_1167
.LBB871_1166:                           ;   in Loop: Header=BB871_1167 Depth=2
	s_or_b64 exec, exec, s[58:59]
	s_and_b64 s[58:59], exec, s[50:51]
	s_or_b64 s[46:47], s[58:59], s[46:47]
	s_andn2_b64 s[54:55], s[54:55], exec
	s_and_b64 s[56:57], s[56:57], exec
	s_or_b64 s[54:55], s[54:55], s[56:57]
	s_andn2_b64 s[48:49], s[48:49], exec
	s_and_b64 s[56:57], s[16:17], exec
	s_or_b64 s[48:49], s[48:49], s[56:57]
	s_andn2_b64 exec, exec, s[46:47]
	s_cbranch_execz .LBB871_1169
.LBB871_1167:                           ;   Parent Loop BB871_1142 Depth=1
                                        ; =>  This Inner Loop Header: Depth=2
	global_load_dword v10, v[4:5], off
	global_load_dword v11, v[6:7], off
	s_andn2_b64 s[58:59], s[16:17], exec
	s_or_b64 s[50:51], s[50:51], exec
	s_waitcnt vmcnt(0)
	v_cmp_ngt_f32_e64 s[16:17], v10, v11
	v_cmp_lt_f32_e32 vcc, v10, v11
	s_and_b64 s[56:57], s[16:17], s[54:55]
	s_or_b64 s[56:57], vcc, s[56:57]
	s_xor_b64 s[60:61], vcc, s[16:17]
	s_and_b64 s[16:17], s[56:57], exec
	s_or_b64 s[16:17], s[58:59], s[16:17]
	s_and_saveexec_b64 s[58:59], s[60:61]
	s_cbranch_execz .LBB871_1166
; %bb.1168:                             ;   in Loop: Header=BB871_1167 Depth=2
	s_add_u32 s52, s52, -1
	s_addc_u32 s53, s53, -1
	s_cmp_eq_u64 s[52:53], 0
	s_cselect_b64 s[54:55], -1, 0
	s_andn2_b64 s[50:51], s[50:51], exec
	s_and_b64 s[54:55], s[54:55], exec
	v_lshl_add_u64 v[4:5], v[4:5], 0, 4
	v_lshl_add_u64 v[6:7], v[6:7], 0, 4
	s_andn2_b64 s[16:17], s[16:17], exec
	s_or_b64 s[50:51], s[50:51], s[54:55]
                                        ; implicit-def: $sgpr54_sgpr55
	s_branch .LBB871_1166
.LBB871_1169:                           ;   in Loop: Header=BB871_1142 Depth=1
	s_or_b64 exec, exec, s[46:47]
	s_xor_b64 s[16:17], s[48:49], -1
	s_andn2_b64 s[38:39], s[38:39], exec
	s_and_b64 s[16:17], s[16:17], exec
	s_or_b64 s[38:39], s[38:39], s[16:17]
.LBB871_1170:                           ;   in Loop: Header=BB871_1142 Depth=1
	s_or_b64 exec, exec, s[44:45]
	s_orn2_b64 s[38:39], s[38:39], exec
.LBB871_1171:                           ;   in Loop: Header=BB871_1142 Depth=1
	s_or_b64 exec, exec, s[42:43]
	v_cndmask_b32_e64 v4, v8, v9, s[38:39]
	v_cndmask_b32_e64 v5, v33, v32, s[38:39]
	v_add_u32_e32 v6, 1, v4
	v_add_u32_e32 v4, -1, v5
	v_min_u32_e32 v4, v6, v4
	v_lshlrev_b32_e32 v4, 3, v4
	ds_read_b64 v[4:5], v4
	v_cndmask_b32_e64 v8, v6, v8, s[38:39]
	v_cndmask_b32_e64 v9, v9, v6, s[38:39]
	v_cmp_lt_u32_e32 vcc, v8, v33
	s_waitcnt lgkmcnt(0)
	v_cndmask_b32_e64 v10, v5, v14, s[38:39]
	v_cndmask_b32_e64 v17, v4, v15, s[38:39]
	;; [unrolled: 1-line block ×4, first 2 shown]
	s_and_saveexec_b64 s[42:43], vcc
	s_cbranch_execz .LBB871_1179
; %bb.1172:                             ;   in Loop: Header=BB871_1142 Depth=1
	v_cmp_lt_u32_e64 s[40:41], v9, v32
	s_and_b64 s[16:17], s[40:41], s[30:31]
	s_and_saveexec_b64 s[44:45], s[16:17]
	s_cbranch_execz .LBB871_1178
; %bb.1173:                             ;   in Loop: Header=BB871_1142 Depth=1
	v_mov_b64_e32 v[6:7], s[22:23]
	v_mad_u64_u32 v[4:5], s[16:17], s34, v17, v[6:7]
	v_mul_lo_u32 v12, s34, v10
	v_mul_lo_u32 v13, s35, v17
	v_add3_u32 v5, v13, v5, v12
	v_mad_u64_u32 v[6:7], s[16:17], s34, v23, v[6:7]
	v_mul_lo_u32 v12, s34, v11
	v_mul_lo_u32 v13, s35, v23
	v_add3_u32 v7, v13, v7, v12
	s_mov_b64 s[46:47], 0
	s_mov_b64 s[52:53], s[20:21]
                                        ; implicit-def: $sgpr48_sgpr49
                                        ; implicit-def: $sgpr50_sgpr51
                                        ; implicit-def: $sgpr16_sgpr17
                                        ; implicit-def: $sgpr54_sgpr55
	s_branch .LBB871_1175
.LBB871_1174:                           ;   in Loop: Header=BB871_1175 Depth=2
	s_or_b64 exec, exec, s[58:59]
	s_and_b64 s[58:59], exec, s[50:51]
	s_or_b64 s[46:47], s[58:59], s[46:47]
	s_andn2_b64 s[54:55], s[54:55], exec
	s_and_b64 s[56:57], s[56:57], exec
	s_or_b64 s[54:55], s[54:55], s[56:57]
	s_andn2_b64 s[48:49], s[48:49], exec
	s_and_b64 s[56:57], s[16:17], exec
	s_or_b64 s[48:49], s[48:49], s[56:57]
	s_andn2_b64 exec, exec, s[46:47]
	s_cbranch_execz .LBB871_1177
.LBB871_1175:                           ;   Parent Loop BB871_1142 Depth=1
                                        ; =>  This Inner Loop Header: Depth=2
	global_load_dword v12, v[4:5], off
	global_load_dword v13, v[6:7], off
	s_andn2_b64 s[58:59], s[16:17], exec
	s_or_b64 s[50:51], s[50:51], exec
	s_waitcnt vmcnt(0)
	v_cmp_ngt_f32_e64 s[16:17], v12, v13
	v_cmp_lt_f32_e32 vcc, v12, v13
	s_and_b64 s[56:57], s[16:17], s[54:55]
	s_or_b64 s[56:57], vcc, s[56:57]
	s_xor_b64 s[60:61], vcc, s[16:17]
	s_and_b64 s[16:17], s[56:57], exec
	s_or_b64 s[16:17], s[58:59], s[16:17]
	s_and_saveexec_b64 s[58:59], s[60:61]
	s_cbranch_execz .LBB871_1174
; %bb.1176:                             ;   in Loop: Header=BB871_1175 Depth=2
	s_add_u32 s52, s52, -1
	s_addc_u32 s53, s53, -1
	s_cmp_eq_u64 s[52:53], 0
	s_cselect_b64 s[54:55], -1, 0
	s_andn2_b64 s[50:51], s[50:51], exec
	s_and_b64 s[54:55], s[54:55], exec
	v_lshl_add_u64 v[4:5], v[4:5], 0, 4
	v_lshl_add_u64 v[6:7], v[6:7], 0, 4
	s_andn2_b64 s[16:17], s[16:17], exec
	s_or_b64 s[50:51], s[50:51], s[54:55]
                                        ; implicit-def: $sgpr54_sgpr55
	s_branch .LBB871_1174
.LBB871_1177:                           ;   in Loop: Header=BB871_1142 Depth=1
	s_or_b64 exec, exec, s[46:47]
	s_xor_b64 s[16:17], s[48:49], -1
	s_andn2_b64 s[40:41], s[40:41], exec
	s_and_b64 s[16:17], s[16:17], exec
	s_or_b64 s[40:41], s[40:41], s[16:17]
.LBB871_1178:                           ;   in Loop: Header=BB871_1142 Depth=1
	s_or_b64 exec, exec, s[44:45]
	s_orn2_b64 s[40:41], s[40:41], exec
.LBB871_1179:                           ;   in Loop: Header=BB871_1142 Depth=1
	s_or_b64 exec, exec, s[42:43]
	v_cndmask_b32_e64 v4, v8, v9, s[40:41]
	v_cndmask_b32_e64 v5, v33, v32, s[40:41]
	v_add_u32_e32 v6, 1, v4
	v_add_u32_e32 v4, -1, v5
	v_min_u32_e32 v4, v6, v4
	v_lshlrev_b32_e32 v4, 3, v4
	ds_read_b64 v[4:5], v4
	v_cndmask_b32_e64 v8, v6, v8, s[40:41]
	v_cndmask_b32_e64 v9, v9, v6, s[40:41]
	v_cmp_lt_u32_e32 vcc, v8, v33
	s_mov_b64 s[44:45], -1
	s_waitcnt lgkmcnt(0)
	v_cndmask_b32_e64 v12, v5, v10, s[40:41]
	v_cndmask_b32_e64 v34, v4, v17, s[40:41]
	;; [unrolled: 1-line block ×4, first 2 shown]
	s_mov_b64 s[42:43], -1
	s_and_saveexec_b64 s[46:47], vcc
	s_cbranch_execz .LBB871_1187
; %bb.1180:                             ;   in Loop: Header=BB871_1142 Depth=1
	v_cmp_lt_u32_e64 s[42:43], v9, v32
	s_and_b64 s[16:17], s[42:43], s[30:31]
	s_and_saveexec_b64 s[48:49], s[16:17]
	s_cbranch_execz .LBB871_1186
; %bb.1181:                             ;   in Loop: Header=BB871_1142 Depth=1
	v_mov_b64_e32 v[6:7], s[22:23]
	v_mad_u64_u32 v[4:5], s[16:17], s34, v34, v[6:7]
	v_mul_lo_u32 v36, s34, v12
	v_mul_lo_u32 v37, s35, v34
	v_add3_u32 v5, v37, v5, v36
	v_mad_u64_u32 v[6:7], s[16:17], s34, v35, v[6:7]
	v_mul_lo_u32 v36, s34, v13
	v_mul_lo_u32 v37, s35, v35
	v_add3_u32 v7, v37, v7, v36
	s_mov_b64 s[50:51], 0
	s_mov_b64 s[56:57], s[20:21]
                                        ; implicit-def: $sgpr52_sgpr53
                                        ; implicit-def: $sgpr54_sgpr55
                                        ; implicit-def: $sgpr16_sgpr17
                                        ; implicit-def: $sgpr58_sgpr59
	s_branch .LBB871_1183
.LBB871_1182:                           ;   in Loop: Header=BB871_1183 Depth=2
	s_or_b64 exec, exec, s[62:63]
	s_and_b64 s[62:63], exec, s[54:55]
	s_or_b64 s[50:51], s[62:63], s[50:51]
	s_andn2_b64 s[58:59], s[58:59], exec
	s_and_b64 s[60:61], s[60:61], exec
	s_or_b64 s[58:59], s[58:59], s[60:61]
	s_andn2_b64 s[52:53], s[52:53], exec
	s_and_b64 s[60:61], s[16:17], exec
	s_or_b64 s[52:53], s[52:53], s[60:61]
	s_andn2_b64 exec, exec, s[50:51]
	s_cbranch_execz .LBB871_1185
.LBB871_1183:                           ;   Parent Loop BB871_1142 Depth=1
                                        ; =>  This Inner Loop Header: Depth=2
	global_load_dword v36, v[4:5], off
	global_load_dword v37, v[6:7], off
	s_andn2_b64 s[62:63], s[16:17], exec
	s_or_b64 s[54:55], s[54:55], exec
	s_waitcnt vmcnt(0)
	v_cmp_ngt_f32_e64 s[16:17], v36, v37
	v_cmp_lt_f32_e32 vcc, v36, v37
	s_and_b64 s[60:61], s[16:17], s[58:59]
	s_or_b64 s[60:61], vcc, s[60:61]
	s_xor_b64 s[64:65], vcc, s[16:17]
	s_and_b64 s[16:17], s[60:61], exec
	s_or_b64 s[16:17], s[62:63], s[16:17]
	s_and_saveexec_b64 s[62:63], s[64:65]
	s_cbranch_execz .LBB871_1182
; %bb.1184:                             ;   in Loop: Header=BB871_1183 Depth=2
	s_add_u32 s56, s56, -1
	s_addc_u32 s57, s57, -1
	s_cmp_eq_u64 s[56:57], 0
	s_cselect_b64 s[58:59], -1, 0
	s_andn2_b64 s[54:55], s[54:55], exec
	s_and_b64 s[58:59], s[58:59], exec
	v_lshl_add_u64 v[4:5], v[4:5], 0, 4
	v_lshl_add_u64 v[6:7], v[6:7], 0, 4
	s_andn2_b64 s[16:17], s[16:17], exec
	s_or_b64 s[54:55], s[54:55], s[58:59]
                                        ; implicit-def: $sgpr58_sgpr59
	s_branch .LBB871_1182
.LBB871_1185:                           ;   in Loop: Header=BB871_1142 Depth=1
	s_or_b64 exec, exec, s[50:51]
	s_xor_b64 s[16:17], s[52:53], -1
	s_andn2_b64 s[42:43], s[42:43], exec
	s_and_b64 s[16:17], s[16:17], exec
	s_or_b64 s[42:43], s[42:43], s[16:17]
.LBB871_1186:                           ;   in Loop: Header=BB871_1142 Depth=1
	s_or_b64 exec, exec, s[48:49]
	s_orn2_b64 s[42:43], s[42:43], exec
.LBB871_1187:                           ;   in Loop: Header=BB871_1142 Depth=1
	s_or_b64 exec, exec, s[46:47]
	v_cndmask_b32_e64 v4, v8, v9, s[42:43]
	v_cndmask_b32_e64 v5, v33, v32, s[42:43]
	v_add_u32_e32 v6, 1, v4
	v_add_u32_e32 v4, -1, v5
	v_min_u32_e32 v4, v6, v4
	v_lshlrev_b32_e32 v4, 3, v4
	ds_read_b64 v[4:5], v4
	v_cndmask_b32_e64 v8, v6, v8, s[42:43]
	v_cndmask_b32_e64 v9, v9, v6, s[42:43]
	v_cmp_lt_u32_e32 vcc, v8, v33
	s_waitcnt lgkmcnt(0)
	v_cndmask_b32_e64 v36, v5, v12, s[42:43]
	v_cndmask_b32_e64 v37, v4, v34, s[42:43]
	;; [unrolled: 1-line block ×4, first 2 shown]
	s_and_saveexec_b64 s[46:47], vcc
	s_cbranch_execz .LBB871_1195
; %bb.1188:                             ;   in Loop: Header=BB871_1142 Depth=1
	v_cmp_lt_u32_e64 s[44:45], v9, v32
	s_and_b64 s[16:17], s[44:45], s[30:31]
	s_and_saveexec_b64 s[48:49], s[16:17]
	s_cbranch_execz .LBB871_1194
; %bb.1189:                             ;   in Loop: Header=BB871_1142 Depth=1
	v_mov_b64_e32 v[6:7], s[22:23]
	v_mad_u64_u32 v[4:5], s[16:17], s34, v37, v[6:7]
	v_mul_lo_u32 v40, s34, v36
	v_mul_lo_u32 v41, s35, v37
	v_add3_u32 v5, v41, v5, v40
	v_mad_u64_u32 v[6:7], s[16:17], s34, v39, v[6:7]
	v_mul_lo_u32 v40, s34, v38
	v_mul_lo_u32 v41, s35, v39
	v_add3_u32 v7, v41, v7, v40
	s_mov_b64 s[50:51], 0
	s_mov_b64 s[56:57], s[20:21]
                                        ; implicit-def: $sgpr52_sgpr53
                                        ; implicit-def: $sgpr54_sgpr55
                                        ; implicit-def: $sgpr16_sgpr17
                                        ; implicit-def: $sgpr58_sgpr59
	s_branch .LBB871_1191
.LBB871_1190:                           ;   in Loop: Header=BB871_1191 Depth=2
	s_or_b64 exec, exec, s[62:63]
	s_and_b64 s[62:63], exec, s[54:55]
	s_or_b64 s[50:51], s[62:63], s[50:51]
	s_andn2_b64 s[58:59], s[58:59], exec
	s_and_b64 s[60:61], s[60:61], exec
	s_or_b64 s[58:59], s[58:59], s[60:61]
	s_andn2_b64 s[52:53], s[52:53], exec
	s_and_b64 s[60:61], s[16:17], exec
	s_or_b64 s[52:53], s[52:53], s[60:61]
	s_andn2_b64 exec, exec, s[50:51]
	s_cbranch_execz .LBB871_1193
.LBB871_1191:                           ;   Parent Loop BB871_1142 Depth=1
                                        ; =>  This Inner Loop Header: Depth=2
	global_load_dword v40, v[4:5], off
	global_load_dword v41, v[6:7], off
	s_andn2_b64 s[62:63], s[16:17], exec
	s_or_b64 s[54:55], s[54:55], exec
	s_waitcnt vmcnt(0)
	v_cmp_ngt_f32_e64 s[16:17], v40, v41
	v_cmp_lt_f32_e32 vcc, v40, v41
	s_and_b64 s[60:61], s[16:17], s[58:59]
	s_or_b64 s[60:61], vcc, s[60:61]
	s_xor_b64 s[64:65], vcc, s[16:17]
	s_and_b64 s[16:17], s[60:61], exec
	s_or_b64 s[16:17], s[62:63], s[16:17]
	s_and_saveexec_b64 s[62:63], s[64:65]
	s_cbranch_execz .LBB871_1190
; %bb.1192:                             ;   in Loop: Header=BB871_1191 Depth=2
	s_add_u32 s56, s56, -1
	s_addc_u32 s57, s57, -1
	s_cmp_eq_u64 s[56:57], 0
	s_cselect_b64 s[58:59], -1, 0
	s_andn2_b64 s[54:55], s[54:55], exec
	s_and_b64 s[58:59], s[58:59], exec
	v_lshl_add_u64 v[4:5], v[4:5], 0, 4
	v_lshl_add_u64 v[6:7], v[6:7], 0, 4
	s_andn2_b64 s[16:17], s[16:17], exec
	s_or_b64 s[54:55], s[54:55], s[58:59]
                                        ; implicit-def: $sgpr58_sgpr59
	s_branch .LBB871_1190
.LBB871_1193:                           ;   in Loop: Header=BB871_1142 Depth=1
	s_or_b64 exec, exec, s[50:51]
	s_xor_b64 s[16:17], s[52:53], -1
	s_andn2_b64 s[44:45], s[44:45], exec
	s_and_b64 s[16:17], s[16:17], exec
	s_or_b64 s[44:45], s[44:45], s[16:17]
.LBB871_1194:                           ;   in Loop: Header=BB871_1142 Depth=1
	s_or_b64 exec, exec, s[48:49]
	s_orn2_b64 s[44:45], s[44:45], exec
.LBB871_1195:                           ;   in Loop: Header=BB871_1142 Depth=1
	s_or_b64 exec, exec, s[46:47]
	v_cndmask_b32_e64 v4, v8, v9, s[44:45]
	v_cndmask_b32_e64 v5, v33, v32, s[44:45]
	v_add_u32_e32 v6, 1, v4
	v_add_u32_e32 v4, -1, v5
	v_min_u32_e32 v4, v6, v4
	v_lshlrev_b32_e32 v4, 3, v4
	ds_read_b64 v[4:5], v4
	v_cndmask_b32_e64 v8, v6, v8, s[44:45]
	v_cndmask_b32_e64 v9, v9, v6, s[44:45]
	v_cmp_lt_u32_e32 vcc, v8, v33
	s_mov_b64 s[46:47], -1
	s_waitcnt lgkmcnt(0)
	v_cndmask_b32_e64 v40, v5, v36, s[44:45]
	v_cndmask_b32_e64 v41, v4, v37, s[44:45]
	;; [unrolled: 1-line block ×4, first 2 shown]
	s_mov_b64 s[48:49], -1
	s_and_saveexec_b64 s[50:51], vcc
	s_cbranch_execz .LBB871_1203
; %bb.1196:                             ;   in Loop: Header=BB871_1142 Depth=1
	v_cmp_lt_u32_e64 s[48:49], v9, v32
	s_and_b64 s[16:17], s[48:49], s[30:31]
	s_and_saveexec_b64 s[52:53], s[16:17]
	s_cbranch_execz .LBB871_1202
; %bb.1197:                             ;   in Loop: Header=BB871_1142 Depth=1
	v_mov_b64_e32 v[6:7], s[22:23]
	v_mad_u64_u32 v[4:5], s[16:17], s34, v41, v[6:7]
	v_mul_lo_u32 v44, s34, v40
	v_mul_lo_u32 v45, s35, v41
	v_add3_u32 v5, v45, v5, v44
	v_mad_u64_u32 v[6:7], s[16:17], s34, v43, v[6:7]
	v_mul_lo_u32 v44, s34, v42
	v_mul_lo_u32 v45, s35, v43
	v_add3_u32 v7, v45, v7, v44
	s_mov_b64 s[54:55], 0
	s_mov_b64 s[60:61], s[20:21]
                                        ; implicit-def: $sgpr56_sgpr57
                                        ; implicit-def: $sgpr58_sgpr59
                                        ; implicit-def: $sgpr16_sgpr17
                                        ; implicit-def: $sgpr62_sgpr63
	s_branch .LBB871_1199
.LBB871_1198:                           ;   in Loop: Header=BB871_1199 Depth=2
	s_or_b64 exec, exec, s[66:67]
	s_and_b64 s[66:67], exec, s[58:59]
	s_or_b64 s[54:55], s[66:67], s[54:55]
	s_andn2_b64 s[62:63], s[62:63], exec
	s_and_b64 s[64:65], s[64:65], exec
	s_or_b64 s[62:63], s[62:63], s[64:65]
	s_andn2_b64 s[56:57], s[56:57], exec
	s_and_b64 s[64:65], s[16:17], exec
	s_or_b64 s[56:57], s[56:57], s[64:65]
	s_andn2_b64 exec, exec, s[54:55]
	s_cbranch_execz .LBB871_1201
.LBB871_1199:                           ;   Parent Loop BB871_1142 Depth=1
                                        ; =>  This Inner Loop Header: Depth=2
	global_load_dword v44, v[4:5], off
	global_load_dword v45, v[6:7], off
	s_andn2_b64 s[66:67], s[16:17], exec
	s_or_b64 s[58:59], s[58:59], exec
	s_waitcnt vmcnt(0)
	v_cmp_ngt_f32_e64 s[16:17], v44, v45
	v_cmp_lt_f32_e32 vcc, v44, v45
	s_and_b64 s[64:65], s[16:17], s[62:63]
	s_or_b64 s[64:65], vcc, s[64:65]
	s_xor_b64 s[70:71], vcc, s[16:17]
	s_and_b64 s[16:17], s[64:65], exec
	s_or_b64 s[16:17], s[66:67], s[16:17]
	s_and_saveexec_b64 s[66:67], s[70:71]
	s_cbranch_execz .LBB871_1198
; %bb.1200:                             ;   in Loop: Header=BB871_1199 Depth=2
	s_add_u32 s60, s60, -1
	s_addc_u32 s61, s61, -1
	s_cmp_eq_u64 s[60:61], 0
	s_cselect_b64 s[62:63], -1, 0
	s_andn2_b64 s[58:59], s[58:59], exec
	s_and_b64 s[62:63], s[62:63], exec
	v_lshl_add_u64 v[4:5], v[4:5], 0, 4
	v_lshl_add_u64 v[6:7], v[6:7], 0, 4
	s_andn2_b64 s[16:17], s[16:17], exec
	s_or_b64 s[58:59], s[58:59], s[62:63]
                                        ; implicit-def: $sgpr62_sgpr63
	s_branch .LBB871_1198
.LBB871_1201:                           ;   in Loop: Header=BB871_1142 Depth=1
	s_or_b64 exec, exec, s[54:55]
	s_xor_b64 s[16:17], s[56:57], -1
	s_andn2_b64 s[48:49], s[48:49], exec
	s_and_b64 s[16:17], s[16:17], exec
	s_or_b64 s[48:49], s[48:49], s[16:17]
.LBB871_1202:                           ;   in Loop: Header=BB871_1142 Depth=1
	s_or_b64 exec, exec, s[52:53]
	s_orn2_b64 s[48:49], s[48:49], exec
.LBB871_1203:                           ;   in Loop: Header=BB871_1142 Depth=1
	s_or_b64 exec, exec, s[50:51]
	v_cndmask_b32_e64 v4, v8, v9, s[48:49]
	v_cndmask_b32_e64 v5, v33, v32, s[48:49]
	v_add_u32_e32 v6, 1, v4
	v_add_u32_e32 v4, -1, v5
	v_min_u32_e32 v4, v6, v4
	v_lshlrev_b32_e32 v4, 3, v4
	ds_read_b64 v[4:5], v4
	v_cndmask_b32_e64 v48, v6, v8, s[48:49]
	v_cndmask_b32_e64 v8, v9, v6, s[48:49]
	v_cmp_lt_u32_e32 vcc, v48, v33
	s_waitcnt lgkmcnt(0)
	v_cndmask_b32_e64 v44, v5, v40, s[48:49]
	v_cndmask_b32_e64 v45, v4, v41, s[48:49]
	;; [unrolled: 1-line block ×4, first 2 shown]
	s_and_saveexec_b64 s[50:51], vcc
	s_cbranch_execz .LBB871_1211
; %bb.1204:                             ;   in Loop: Header=BB871_1142 Depth=1
	v_cmp_lt_u32_e64 s[46:47], v8, v32
	s_and_b64 s[16:17], s[46:47], s[30:31]
	s_and_saveexec_b64 s[52:53], s[16:17]
	s_cbranch_execz .LBB871_1210
; %bb.1205:                             ;   in Loop: Header=BB871_1142 Depth=1
	v_mov_b64_e32 v[6:7], s[22:23]
	v_mad_u64_u32 v[4:5], s[16:17], s34, v45, v[6:7]
	v_mul_lo_u32 v9, s34, v44
	v_mul_lo_u32 v49, s35, v45
	v_add3_u32 v5, v49, v5, v9
	v_mad_u64_u32 v[6:7], s[16:17], s34, v47, v[6:7]
	v_mul_lo_u32 v9, s34, v46
	v_mul_lo_u32 v49, s35, v47
	v_add3_u32 v7, v49, v7, v9
	s_mov_b64 s[54:55], 0
	s_mov_b64 s[60:61], s[20:21]
                                        ; implicit-def: $sgpr56_sgpr57
                                        ; implicit-def: $sgpr58_sgpr59
                                        ; implicit-def: $sgpr16_sgpr17
                                        ; implicit-def: $sgpr62_sgpr63
	s_branch .LBB871_1207
.LBB871_1206:                           ;   in Loop: Header=BB871_1207 Depth=2
	s_or_b64 exec, exec, s[66:67]
	s_and_b64 s[66:67], exec, s[58:59]
	s_or_b64 s[54:55], s[66:67], s[54:55]
	s_andn2_b64 s[62:63], s[62:63], exec
	s_and_b64 s[64:65], s[64:65], exec
	s_or_b64 s[62:63], s[62:63], s[64:65]
	s_andn2_b64 s[56:57], s[56:57], exec
	s_and_b64 s[64:65], s[16:17], exec
	s_or_b64 s[56:57], s[56:57], s[64:65]
	s_andn2_b64 exec, exec, s[54:55]
	s_cbranch_execz .LBB871_1209
.LBB871_1207:                           ;   Parent Loop BB871_1142 Depth=1
                                        ; =>  This Inner Loop Header: Depth=2
	global_load_dword v9, v[4:5], off
	global_load_dword v49, v[6:7], off
	s_andn2_b64 s[66:67], s[16:17], exec
	s_or_b64 s[58:59], s[58:59], exec
	s_waitcnt vmcnt(0)
	v_cmp_ngt_f32_e64 s[16:17], v9, v49
	v_cmp_lt_f32_e32 vcc, v9, v49
	s_and_b64 s[64:65], s[16:17], s[62:63]
	s_or_b64 s[64:65], vcc, s[64:65]
	s_xor_b64 s[70:71], vcc, s[16:17]
	s_and_b64 s[16:17], s[64:65], exec
	s_or_b64 s[16:17], s[66:67], s[16:17]
	s_and_saveexec_b64 s[66:67], s[70:71]
	s_cbranch_execz .LBB871_1206
; %bb.1208:                             ;   in Loop: Header=BB871_1207 Depth=2
	s_add_u32 s60, s60, -1
	s_addc_u32 s61, s61, -1
	s_cmp_eq_u64 s[60:61], 0
	s_cselect_b64 s[62:63], -1, 0
	s_andn2_b64 s[58:59], s[58:59], exec
	s_and_b64 s[62:63], s[62:63], exec
	v_lshl_add_u64 v[4:5], v[4:5], 0, 4
	v_lshl_add_u64 v[6:7], v[6:7], 0, 4
	s_andn2_b64 s[16:17], s[16:17], exec
	s_or_b64 s[58:59], s[58:59], s[62:63]
                                        ; implicit-def: $sgpr62_sgpr63
	s_branch .LBB871_1206
.LBB871_1209:                           ;   in Loop: Header=BB871_1142 Depth=1
	s_or_b64 exec, exec, s[54:55]
	s_xor_b64 s[16:17], s[56:57], -1
	s_andn2_b64 s[46:47], s[46:47], exec
	s_and_b64 s[16:17], s[16:17], exec
	s_or_b64 s[46:47], s[46:47], s[16:17]
.LBB871_1210:                           ;   in Loop: Header=BB871_1142 Depth=1
	s_or_b64 exec, exec, s[52:53]
	s_orn2_b64 s[46:47], s[46:47], exec
.LBB871_1211:                           ;   in Loop: Header=BB871_1142 Depth=1
	s_or_b64 exec, exec, s[50:51]
	v_cndmask_b32_e64 v4, v48, v8, s[46:47]
	v_cndmask_b32_e64 v5, v33, v32, s[46:47]
	v_add_u32_e32 v9, 1, v4
	v_add_u32_e32 v4, -1, v5
	v_min_u32_e32 v4, v9, v4
	v_lshlrev_b32_e32 v4, 3, v4
	ds_read_b64 v[6:7], v4
	v_cndmask_b32_e64 v48, v9, v48, s[46:47]
	v_cmp_lt_u32_e32 vcc, v48, v33
	s_waitcnt lgkmcnt(0)
	v_cndmask_b32_e64 v5, v46, v7, s[46:47]
	v_cndmask_b32_e64 v4, v47, v6, s[46:47]
	s_and_saveexec_b64 s[50:51], vcc
	s_cbranch_execz .LBB871_1140
; %bb.1212:                             ;   in Loop: Header=BB871_1142 Depth=1
	v_cndmask_b32_e64 v48, v6, v45, s[46:47]
	v_cndmask_b32_e64 v6, v8, v9, s[46:47]
	;; [unrolled: 1-line block ×3, first 2 shown]
	v_cmp_ge_u32_e32 vcc, v6, v32
	s_nor_b64 s[16:17], vcc, s[28:29]
	s_nop 0
	v_cndmask_b32_e32 v7, v5, v33, vcc
	v_cndmask_b32_e32 v6, v4, v48, vcc
	s_and_saveexec_b64 s[52:53], s[16:17]
	s_cbranch_execz .LBB871_1139
; %bb.1213:                             ;   in Loop: Header=BB871_1142 Depth=1
	v_mov_b64_e32 v[8:9], s[22:23]
	v_mad_u64_u32 v[6:7], s[16:17], s34, v48, v[8:9]
	v_mul_lo_u32 v32, s34, v33
	v_mul_lo_u32 v49, s35, v48
	v_add3_u32 v7, v49, v7, v32
	v_mad_u64_u32 v[8:9], s[16:17], s34, v4, v[8:9]
	v_mul_lo_u32 v32, s34, v5
	v_mul_lo_u32 v49, s35, v4
	v_add3_u32 v9, v49, v9, v32
	s_mov_b64 s[54:55], 0
	s_mov_b64 s[60:61], s[20:21]
                                        ; implicit-def: $sgpr56_sgpr57
                                        ; implicit-def: $sgpr58_sgpr59
                                        ; implicit-def: $sgpr16_sgpr17
                                        ; implicit-def: $sgpr62_sgpr63
	s_branch .LBB871_1215
.LBB871_1214:                           ;   in Loop: Header=BB871_1215 Depth=2
	s_or_b64 exec, exec, s[66:67]
	s_and_b64 s[66:67], exec, s[58:59]
	s_or_b64 s[54:55], s[66:67], s[54:55]
	s_andn2_b64 s[62:63], s[62:63], exec
	s_and_b64 s[64:65], s[64:65], exec
	s_or_b64 s[62:63], s[62:63], s[64:65]
	s_andn2_b64 s[56:57], s[56:57], exec
	s_and_b64 s[64:65], s[16:17], exec
	s_or_b64 s[56:57], s[56:57], s[64:65]
	s_andn2_b64 exec, exec, s[54:55]
	s_cbranch_execz .LBB871_1138
.LBB871_1215:                           ;   Parent Loop BB871_1142 Depth=1
                                        ; =>  This Inner Loop Header: Depth=2
	global_load_dword v32, v[6:7], off
	global_load_dword v49, v[8:9], off
	s_andn2_b64 s[66:67], s[16:17], exec
	s_or_b64 s[58:59], s[58:59], exec
	s_waitcnt vmcnt(0)
	v_cmp_ngt_f32_e64 s[16:17], v32, v49
	v_cmp_lt_f32_e32 vcc, v32, v49
	s_and_b64 s[64:65], s[16:17], s[62:63]
	s_or_b64 s[64:65], vcc, s[64:65]
	s_xor_b64 s[70:71], vcc, s[16:17]
	s_and_b64 s[16:17], s[64:65], exec
	s_or_b64 s[16:17], s[66:67], s[16:17]
	s_and_saveexec_b64 s[66:67], s[70:71]
	s_cbranch_execz .LBB871_1214
; %bb.1216:                             ;   in Loop: Header=BB871_1215 Depth=2
	s_add_u32 s60, s60, -1
	s_addc_u32 s61, s61, -1
	s_cmp_eq_u64 s[60:61], 0
	s_cselect_b64 s[62:63], -1, 0
	s_andn2_b64 s[58:59], s[58:59], exec
	s_and_b64 s[62:63], s[62:63], exec
	v_lshl_add_u64 v[6:7], v[6:7], 0, 4
	v_lshl_add_u64 v[8:9], v[8:9], 0, 4
	s_andn2_b64 s[16:17], s[16:17], exec
	s_or_b64 s[58:59], s[58:59], s[62:63]
                                        ; implicit-def: $sgpr62_sgpr63
	s_branch .LBB871_1214
.LBB871_1217:
	s_barrier
	ds_write2_b64 v30, v[14:15], v[16:17] offset1:1
	ds_write2_b64 v30, v[10:11], v[12:13] offset0:2 offset1:3
	ds_write2_b64 v30, v[6:7], v[8:9] offset0:4 offset1:5
	;; [unrolled: 1-line block ×3, first 2 shown]
	s_waitcnt lgkmcnt(0)
	s_barrier
	ds_read_b64 v[12:13], v21 offset:2048
	ds_read_b64 v[10:11], v24 offset:4096
	;; [unrolled: 1-line block ×7, first 2 shown]
	v_mov_b32_e32 v21, 0
	v_lshl_add_u64 v[2:3], s[24:25], 0, v[20:21]
	s_and_saveexec_b64 s[14:15], s[0:1]
	s_cbranch_execnz .LBB871_1229
; %bb.1218:
	s_or_b64 exec, exec, s[14:15]
	s_and_saveexec_b64 s[0:1], s[2:3]
	s_cbranch_execnz .LBB871_1230
.LBB871_1219:
	s_or_b64 exec, exec, s[0:1]
	s_and_saveexec_b64 s[0:1], s[4:5]
	s_cbranch_execnz .LBB871_1231
.LBB871_1220:
	s_or_b64 exec, exec, s[0:1]
	s_and_saveexec_b64 s[0:1], s[6:7]
	s_cbranch_execnz .LBB871_1232
.LBB871_1221:
	s_or_b64 exec, exec, s[0:1]
	s_and_saveexec_b64 s[0:1], s[8:9]
	s_cbranch_execnz .LBB871_1233
.LBB871_1222:
	s_or_b64 exec, exec, s[0:1]
	s_and_saveexec_b64 s[0:1], s[10:11]
	s_cbranch_execnz .LBB871_1234
.LBB871_1223:
	s_or_b64 exec, exec, s[0:1]
	s_and_saveexec_b64 s[0:1], s[12:13]
	s_cbranch_execz .LBB871_1225
.LBB871_1224:
	v_add_co_u32_e32 v2, vcc, 0x3000, v2
	s_nop 1
	v_addc_co_u32_e32 v3, vcc, 0, v3, vcc
	s_waitcnt lgkmcnt(1)
	global_store_dwordx2 v[2:3], v[0:1], off
.LBB871_1225:
	s_or_b64 exec, exec, s[0:1]
	v_mov_b32_e32 v19, v21
.LBB871_1226:
	s_and_saveexec_b64 s[0:1], s[26:27]
	s_cbranch_execz .LBB871_1228
; %bb.1227:
	s_waitcnt lgkmcnt(1)
	v_lshl_add_u64 v[0:1], v[18:19], 3, s[24:25]
	v_add_co_u32_e32 v0, vcc, 0x3000, v0
	s_nop 1
	v_addc_co_u32_e32 v1, vcc, 0, v1, vcc
	s_waitcnt lgkmcnt(0)
	global_store_dwordx2 v[0:1], v[14:15], off offset:2048
.LBB871_1228:
	s_endpgm
.LBB871_1229:
	ds_read_b64 v[16:17], v19
	s_waitcnt lgkmcnt(0)
	global_store_dwordx2 v[2:3], v[16:17], off
	s_or_b64 exec, exec, s[14:15]
	s_and_saveexec_b64 s[0:1], s[2:3]
	s_cbranch_execz .LBB871_1219
.LBB871_1230:
	s_waitcnt lgkmcnt(6)
	global_store_dwordx2 v[2:3], v[12:13], off offset:2048
	s_or_b64 exec, exec, s[0:1]
	s_and_saveexec_b64 s[0:1], s[4:5]
	s_cbranch_execz .LBB871_1220
.LBB871_1231:
	s_waitcnt lgkmcnt(6)
	v_add_co_u32_e32 v12, vcc, 0x1000, v2
	s_nop 1
	v_addc_co_u32_e32 v13, vcc, 0, v3, vcc
	s_waitcnt lgkmcnt(5)
	global_store_dwordx2 v[12:13], v[10:11], off
	s_or_b64 exec, exec, s[0:1]
	s_and_saveexec_b64 s[0:1], s[6:7]
	s_cbranch_execz .LBB871_1221
.LBB871_1232:
	s_waitcnt lgkmcnt(5)
	v_add_co_u32_e32 v10, vcc, 0x1000, v2
	s_nop 1
	v_addc_co_u32_e32 v11, vcc, 0, v3, vcc
	s_waitcnt lgkmcnt(4)
	global_store_dwordx2 v[10:11], v[8:9], off offset:2048
	s_or_b64 exec, exec, s[0:1]
	s_and_saveexec_b64 s[0:1], s[8:9]
	s_cbranch_execz .LBB871_1222
.LBB871_1233:
	s_waitcnt lgkmcnt(4)
	v_add_co_u32_e32 v8, vcc, 0x2000, v2
	s_nop 1
	v_addc_co_u32_e32 v9, vcc, 0, v3, vcc
	s_waitcnt lgkmcnt(3)
	global_store_dwordx2 v[8:9], v[6:7], off
	s_or_b64 exec, exec, s[0:1]
	s_and_saveexec_b64 s[0:1], s[10:11]
	s_cbranch_execz .LBB871_1223
.LBB871_1234:
	s_waitcnt lgkmcnt(3)
	v_add_co_u32_e32 v6, vcc, 0x2000, v2
	s_nop 1
	v_addc_co_u32_e32 v7, vcc, 0, v3, vcc
	s_waitcnt lgkmcnt(2)
	global_store_dwordx2 v[6:7], v[4:5], off offset:2048
	s_or_b64 exec, exec, s[0:1]
	s_and_saveexec_b64 s[0:1], s[12:13]
	s_cbranch_execnz .LBB871_1224
	s_branch .LBB871_1225
	.section	.rodata,"a",@progbits
	.p2align	6, 0x0
	.amdhsa_kernel _ZN7rocprim17ROCPRIM_400000_NS6detail17trampoline_kernelINS0_14default_configENS1_37merge_sort_block_sort_config_selectorIlNS0_10empty_typeEEEZNS1_21merge_sort_block_sortIS3_PlS8_PS5_S9_ZN2at6native12_GLOBAL__N_124unique_dim_cuda_templateIfEESt5tupleIJNSA_6TensorESF_SF_EERKSF_lbbbEUlllE_EE10hipError_tT0_T1_T2_T3_mRjT4_P12ihipStream_tbNS1_7vsmem_tEEUlT_E_NS1_11comp_targetILNS1_3genE0ELNS1_11target_archE4294967295ELNS1_3gpuE0ELNS1_3repE0EEENS1_30default_config_static_selectorELNS0_4arch9wavefront6targetE1EEEvSM_
		.amdhsa_group_segment_fixed_size 16896
		.amdhsa_private_segment_fixed_size 0
		.amdhsa_kernarg_size 328
		.amdhsa_user_sgpr_count 2
		.amdhsa_user_sgpr_dispatch_ptr 0
		.amdhsa_user_sgpr_queue_ptr 0
		.amdhsa_user_sgpr_kernarg_segment_ptr 1
		.amdhsa_user_sgpr_dispatch_id 0
		.amdhsa_user_sgpr_kernarg_preload_length 0
		.amdhsa_user_sgpr_kernarg_preload_offset 0
		.amdhsa_user_sgpr_private_segment_size 0
		.amdhsa_uses_dynamic_stack 0
		.amdhsa_enable_private_segment 0
		.amdhsa_system_sgpr_workgroup_id_x 1
		.amdhsa_system_sgpr_workgroup_id_y 1
		.amdhsa_system_sgpr_workgroup_id_z 1
		.amdhsa_system_sgpr_workgroup_info 0
		.amdhsa_system_vgpr_workitem_id 2
		.amdhsa_next_free_vgpr 55
		.amdhsa_next_free_sgpr 72
		.amdhsa_accum_offset 56
		.amdhsa_reserve_vcc 1
		.amdhsa_float_round_mode_32 0
		.amdhsa_float_round_mode_16_64 0
		.amdhsa_float_denorm_mode_32 3
		.amdhsa_float_denorm_mode_16_64 3
		.amdhsa_dx10_clamp 1
		.amdhsa_ieee_mode 1
		.amdhsa_fp16_overflow 0
		.amdhsa_tg_split 0
		.amdhsa_exception_fp_ieee_invalid_op 0
		.amdhsa_exception_fp_denorm_src 0
		.amdhsa_exception_fp_ieee_div_zero 0
		.amdhsa_exception_fp_ieee_overflow 0
		.amdhsa_exception_fp_ieee_underflow 0
		.amdhsa_exception_fp_ieee_inexact 0
		.amdhsa_exception_int_div_zero 0
	.end_amdhsa_kernel
	.section	.text._ZN7rocprim17ROCPRIM_400000_NS6detail17trampoline_kernelINS0_14default_configENS1_37merge_sort_block_sort_config_selectorIlNS0_10empty_typeEEEZNS1_21merge_sort_block_sortIS3_PlS8_PS5_S9_ZN2at6native12_GLOBAL__N_124unique_dim_cuda_templateIfEESt5tupleIJNSA_6TensorESF_SF_EERKSF_lbbbEUlllE_EE10hipError_tT0_T1_T2_T3_mRjT4_P12ihipStream_tbNS1_7vsmem_tEEUlT_E_NS1_11comp_targetILNS1_3genE0ELNS1_11target_archE4294967295ELNS1_3gpuE0ELNS1_3repE0EEENS1_30default_config_static_selectorELNS0_4arch9wavefront6targetE1EEEvSM_,"axG",@progbits,_ZN7rocprim17ROCPRIM_400000_NS6detail17trampoline_kernelINS0_14default_configENS1_37merge_sort_block_sort_config_selectorIlNS0_10empty_typeEEEZNS1_21merge_sort_block_sortIS3_PlS8_PS5_S9_ZN2at6native12_GLOBAL__N_124unique_dim_cuda_templateIfEESt5tupleIJNSA_6TensorESF_SF_EERKSF_lbbbEUlllE_EE10hipError_tT0_T1_T2_T3_mRjT4_P12ihipStream_tbNS1_7vsmem_tEEUlT_E_NS1_11comp_targetILNS1_3genE0ELNS1_11target_archE4294967295ELNS1_3gpuE0ELNS1_3repE0EEENS1_30default_config_static_selectorELNS0_4arch9wavefront6targetE1EEEvSM_,comdat
.Lfunc_end871:
	.size	_ZN7rocprim17ROCPRIM_400000_NS6detail17trampoline_kernelINS0_14default_configENS1_37merge_sort_block_sort_config_selectorIlNS0_10empty_typeEEEZNS1_21merge_sort_block_sortIS3_PlS8_PS5_S9_ZN2at6native12_GLOBAL__N_124unique_dim_cuda_templateIfEESt5tupleIJNSA_6TensorESF_SF_EERKSF_lbbbEUlllE_EE10hipError_tT0_T1_T2_T3_mRjT4_P12ihipStream_tbNS1_7vsmem_tEEUlT_E_NS1_11comp_targetILNS1_3genE0ELNS1_11target_archE4294967295ELNS1_3gpuE0ELNS1_3repE0EEENS1_30default_config_static_selectorELNS0_4arch9wavefront6targetE1EEEvSM_, .Lfunc_end871-_ZN7rocprim17ROCPRIM_400000_NS6detail17trampoline_kernelINS0_14default_configENS1_37merge_sort_block_sort_config_selectorIlNS0_10empty_typeEEEZNS1_21merge_sort_block_sortIS3_PlS8_PS5_S9_ZN2at6native12_GLOBAL__N_124unique_dim_cuda_templateIfEESt5tupleIJNSA_6TensorESF_SF_EERKSF_lbbbEUlllE_EE10hipError_tT0_T1_T2_T3_mRjT4_P12ihipStream_tbNS1_7vsmem_tEEUlT_E_NS1_11comp_targetILNS1_3genE0ELNS1_11target_archE4294967295ELNS1_3gpuE0ELNS1_3repE0EEENS1_30default_config_static_selectorELNS0_4arch9wavefront6targetE1EEEvSM_
                                        ; -- End function
	.set _ZN7rocprim17ROCPRIM_400000_NS6detail17trampoline_kernelINS0_14default_configENS1_37merge_sort_block_sort_config_selectorIlNS0_10empty_typeEEEZNS1_21merge_sort_block_sortIS3_PlS8_PS5_S9_ZN2at6native12_GLOBAL__N_124unique_dim_cuda_templateIfEESt5tupleIJNSA_6TensorESF_SF_EERKSF_lbbbEUlllE_EE10hipError_tT0_T1_T2_T3_mRjT4_P12ihipStream_tbNS1_7vsmem_tEEUlT_E_NS1_11comp_targetILNS1_3genE0ELNS1_11target_archE4294967295ELNS1_3gpuE0ELNS1_3repE0EEENS1_30default_config_static_selectorELNS0_4arch9wavefront6targetE1EEEvSM_.num_vgpr, 55
	.set _ZN7rocprim17ROCPRIM_400000_NS6detail17trampoline_kernelINS0_14default_configENS1_37merge_sort_block_sort_config_selectorIlNS0_10empty_typeEEEZNS1_21merge_sort_block_sortIS3_PlS8_PS5_S9_ZN2at6native12_GLOBAL__N_124unique_dim_cuda_templateIfEESt5tupleIJNSA_6TensorESF_SF_EERKSF_lbbbEUlllE_EE10hipError_tT0_T1_T2_T3_mRjT4_P12ihipStream_tbNS1_7vsmem_tEEUlT_E_NS1_11comp_targetILNS1_3genE0ELNS1_11target_archE4294967295ELNS1_3gpuE0ELNS1_3repE0EEENS1_30default_config_static_selectorELNS0_4arch9wavefront6targetE1EEEvSM_.num_agpr, 0
	.set _ZN7rocprim17ROCPRIM_400000_NS6detail17trampoline_kernelINS0_14default_configENS1_37merge_sort_block_sort_config_selectorIlNS0_10empty_typeEEEZNS1_21merge_sort_block_sortIS3_PlS8_PS5_S9_ZN2at6native12_GLOBAL__N_124unique_dim_cuda_templateIfEESt5tupleIJNSA_6TensorESF_SF_EERKSF_lbbbEUlllE_EE10hipError_tT0_T1_T2_T3_mRjT4_P12ihipStream_tbNS1_7vsmem_tEEUlT_E_NS1_11comp_targetILNS1_3genE0ELNS1_11target_archE4294967295ELNS1_3gpuE0ELNS1_3repE0EEENS1_30default_config_static_selectorELNS0_4arch9wavefront6targetE1EEEvSM_.numbered_sgpr, 72
	.set _ZN7rocprim17ROCPRIM_400000_NS6detail17trampoline_kernelINS0_14default_configENS1_37merge_sort_block_sort_config_selectorIlNS0_10empty_typeEEEZNS1_21merge_sort_block_sortIS3_PlS8_PS5_S9_ZN2at6native12_GLOBAL__N_124unique_dim_cuda_templateIfEESt5tupleIJNSA_6TensorESF_SF_EERKSF_lbbbEUlllE_EE10hipError_tT0_T1_T2_T3_mRjT4_P12ihipStream_tbNS1_7vsmem_tEEUlT_E_NS1_11comp_targetILNS1_3genE0ELNS1_11target_archE4294967295ELNS1_3gpuE0ELNS1_3repE0EEENS1_30default_config_static_selectorELNS0_4arch9wavefront6targetE1EEEvSM_.num_named_barrier, 0
	.set _ZN7rocprim17ROCPRIM_400000_NS6detail17trampoline_kernelINS0_14default_configENS1_37merge_sort_block_sort_config_selectorIlNS0_10empty_typeEEEZNS1_21merge_sort_block_sortIS3_PlS8_PS5_S9_ZN2at6native12_GLOBAL__N_124unique_dim_cuda_templateIfEESt5tupleIJNSA_6TensorESF_SF_EERKSF_lbbbEUlllE_EE10hipError_tT0_T1_T2_T3_mRjT4_P12ihipStream_tbNS1_7vsmem_tEEUlT_E_NS1_11comp_targetILNS1_3genE0ELNS1_11target_archE4294967295ELNS1_3gpuE0ELNS1_3repE0EEENS1_30default_config_static_selectorELNS0_4arch9wavefront6targetE1EEEvSM_.private_seg_size, 0
	.set _ZN7rocprim17ROCPRIM_400000_NS6detail17trampoline_kernelINS0_14default_configENS1_37merge_sort_block_sort_config_selectorIlNS0_10empty_typeEEEZNS1_21merge_sort_block_sortIS3_PlS8_PS5_S9_ZN2at6native12_GLOBAL__N_124unique_dim_cuda_templateIfEESt5tupleIJNSA_6TensorESF_SF_EERKSF_lbbbEUlllE_EE10hipError_tT0_T1_T2_T3_mRjT4_P12ihipStream_tbNS1_7vsmem_tEEUlT_E_NS1_11comp_targetILNS1_3genE0ELNS1_11target_archE4294967295ELNS1_3gpuE0ELNS1_3repE0EEENS1_30default_config_static_selectorELNS0_4arch9wavefront6targetE1EEEvSM_.uses_vcc, 1
	.set _ZN7rocprim17ROCPRIM_400000_NS6detail17trampoline_kernelINS0_14default_configENS1_37merge_sort_block_sort_config_selectorIlNS0_10empty_typeEEEZNS1_21merge_sort_block_sortIS3_PlS8_PS5_S9_ZN2at6native12_GLOBAL__N_124unique_dim_cuda_templateIfEESt5tupleIJNSA_6TensorESF_SF_EERKSF_lbbbEUlllE_EE10hipError_tT0_T1_T2_T3_mRjT4_P12ihipStream_tbNS1_7vsmem_tEEUlT_E_NS1_11comp_targetILNS1_3genE0ELNS1_11target_archE4294967295ELNS1_3gpuE0ELNS1_3repE0EEENS1_30default_config_static_selectorELNS0_4arch9wavefront6targetE1EEEvSM_.uses_flat_scratch, 0
	.set _ZN7rocprim17ROCPRIM_400000_NS6detail17trampoline_kernelINS0_14default_configENS1_37merge_sort_block_sort_config_selectorIlNS0_10empty_typeEEEZNS1_21merge_sort_block_sortIS3_PlS8_PS5_S9_ZN2at6native12_GLOBAL__N_124unique_dim_cuda_templateIfEESt5tupleIJNSA_6TensorESF_SF_EERKSF_lbbbEUlllE_EE10hipError_tT0_T1_T2_T3_mRjT4_P12ihipStream_tbNS1_7vsmem_tEEUlT_E_NS1_11comp_targetILNS1_3genE0ELNS1_11target_archE4294967295ELNS1_3gpuE0ELNS1_3repE0EEENS1_30default_config_static_selectorELNS0_4arch9wavefront6targetE1EEEvSM_.has_dyn_sized_stack, 0
	.set _ZN7rocprim17ROCPRIM_400000_NS6detail17trampoline_kernelINS0_14default_configENS1_37merge_sort_block_sort_config_selectorIlNS0_10empty_typeEEEZNS1_21merge_sort_block_sortIS3_PlS8_PS5_S9_ZN2at6native12_GLOBAL__N_124unique_dim_cuda_templateIfEESt5tupleIJNSA_6TensorESF_SF_EERKSF_lbbbEUlllE_EE10hipError_tT0_T1_T2_T3_mRjT4_P12ihipStream_tbNS1_7vsmem_tEEUlT_E_NS1_11comp_targetILNS1_3genE0ELNS1_11target_archE4294967295ELNS1_3gpuE0ELNS1_3repE0EEENS1_30default_config_static_selectorELNS0_4arch9wavefront6targetE1EEEvSM_.has_recursion, 0
	.set _ZN7rocprim17ROCPRIM_400000_NS6detail17trampoline_kernelINS0_14default_configENS1_37merge_sort_block_sort_config_selectorIlNS0_10empty_typeEEEZNS1_21merge_sort_block_sortIS3_PlS8_PS5_S9_ZN2at6native12_GLOBAL__N_124unique_dim_cuda_templateIfEESt5tupleIJNSA_6TensorESF_SF_EERKSF_lbbbEUlllE_EE10hipError_tT0_T1_T2_T3_mRjT4_P12ihipStream_tbNS1_7vsmem_tEEUlT_E_NS1_11comp_targetILNS1_3genE0ELNS1_11target_archE4294967295ELNS1_3gpuE0ELNS1_3repE0EEENS1_30default_config_static_selectorELNS0_4arch9wavefront6targetE1EEEvSM_.has_indirect_call, 0
	.section	.AMDGPU.csdata,"",@progbits
; Kernel info:
; codeLenInByte = 60044
; TotalNumSgprs: 78
; NumVgprs: 55
; NumAgprs: 0
; TotalNumVgprs: 55
; ScratchSize: 0
; MemoryBound: 0
; FloatMode: 240
; IeeeMode: 1
; LDSByteSize: 16896 bytes/workgroup (compile time only)
; SGPRBlocks: 9
; VGPRBlocks: 6
; NumSGPRsForWavesPerEU: 78
; NumVGPRsForWavesPerEU: 55
; AccumOffset: 56
; Occupancy: 8
; WaveLimiterHint : 1
; COMPUTE_PGM_RSRC2:SCRATCH_EN: 0
; COMPUTE_PGM_RSRC2:USER_SGPR: 2
; COMPUTE_PGM_RSRC2:TRAP_HANDLER: 0
; COMPUTE_PGM_RSRC2:TGID_X_EN: 1
; COMPUTE_PGM_RSRC2:TGID_Y_EN: 1
; COMPUTE_PGM_RSRC2:TGID_Z_EN: 1
; COMPUTE_PGM_RSRC2:TIDIG_COMP_CNT: 2
; COMPUTE_PGM_RSRC3_GFX90A:ACCUM_OFFSET: 13
; COMPUTE_PGM_RSRC3_GFX90A:TG_SPLIT: 0
	.section	.text._ZN7rocprim17ROCPRIM_400000_NS6detail17trampoline_kernelINS0_14default_configENS1_37merge_sort_block_sort_config_selectorIlNS0_10empty_typeEEEZNS1_21merge_sort_block_sortIS3_PlS8_PS5_S9_ZN2at6native12_GLOBAL__N_124unique_dim_cuda_templateIfEESt5tupleIJNSA_6TensorESF_SF_EERKSF_lbbbEUlllE_EE10hipError_tT0_T1_T2_T3_mRjT4_P12ihipStream_tbNS1_7vsmem_tEEUlT_E_NS1_11comp_targetILNS1_3genE5ELNS1_11target_archE942ELNS1_3gpuE9ELNS1_3repE0EEENS1_30default_config_static_selectorELNS0_4arch9wavefront6targetE1EEEvSM_,"axG",@progbits,_ZN7rocprim17ROCPRIM_400000_NS6detail17trampoline_kernelINS0_14default_configENS1_37merge_sort_block_sort_config_selectorIlNS0_10empty_typeEEEZNS1_21merge_sort_block_sortIS3_PlS8_PS5_S9_ZN2at6native12_GLOBAL__N_124unique_dim_cuda_templateIfEESt5tupleIJNSA_6TensorESF_SF_EERKSF_lbbbEUlllE_EE10hipError_tT0_T1_T2_T3_mRjT4_P12ihipStream_tbNS1_7vsmem_tEEUlT_E_NS1_11comp_targetILNS1_3genE5ELNS1_11target_archE942ELNS1_3gpuE9ELNS1_3repE0EEENS1_30default_config_static_selectorELNS0_4arch9wavefront6targetE1EEEvSM_,comdat
	.globl	_ZN7rocprim17ROCPRIM_400000_NS6detail17trampoline_kernelINS0_14default_configENS1_37merge_sort_block_sort_config_selectorIlNS0_10empty_typeEEEZNS1_21merge_sort_block_sortIS3_PlS8_PS5_S9_ZN2at6native12_GLOBAL__N_124unique_dim_cuda_templateIfEESt5tupleIJNSA_6TensorESF_SF_EERKSF_lbbbEUlllE_EE10hipError_tT0_T1_T2_T3_mRjT4_P12ihipStream_tbNS1_7vsmem_tEEUlT_E_NS1_11comp_targetILNS1_3genE5ELNS1_11target_archE942ELNS1_3gpuE9ELNS1_3repE0EEENS1_30default_config_static_selectorELNS0_4arch9wavefront6targetE1EEEvSM_ ; -- Begin function _ZN7rocprim17ROCPRIM_400000_NS6detail17trampoline_kernelINS0_14default_configENS1_37merge_sort_block_sort_config_selectorIlNS0_10empty_typeEEEZNS1_21merge_sort_block_sortIS3_PlS8_PS5_S9_ZN2at6native12_GLOBAL__N_124unique_dim_cuda_templateIfEESt5tupleIJNSA_6TensorESF_SF_EERKSF_lbbbEUlllE_EE10hipError_tT0_T1_T2_T3_mRjT4_P12ihipStream_tbNS1_7vsmem_tEEUlT_E_NS1_11comp_targetILNS1_3genE5ELNS1_11target_archE942ELNS1_3gpuE9ELNS1_3repE0EEENS1_30default_config_static_selectorELNS0_4arch9wavefront6targetE1EEEvSM_
	.p2align	8
	.type	_ZN7rocprim17ROCPRIM_400000_NS6detail17trampoline_kernelINS0_14default_configENS1_37merge_sort_block_sort_config_selectorIlNS0_10empty_typeEEEZNS1_21merge_sort_block_sortIS3_PlS8_PS5_S9_ZN2at6native12_GLOBAL__N_124unique_dim_cuda_templateIfEESt5tupleIJNSA_6TensorESF_SF_EERKSF_lbbbEUlllE_EE10hipError_tT0_T1_T2_T3_mRjT4_P12ihipStream_tbNS1_7vsmem_tEEUlT_E_NS1_11comp_targetILNS1_3genE5ELNS1_11target_archE942ELNS1_3gpuE9ELNS1_3repE0EEENS1_30default_config_static_selectorELNS0_4arch9wavefront6targetE1EEEvSM_,@function
_ZN7rocprim17ROCPRIM_400000_NS6detail17trampoline_kernelINS0_14default_configENS1_37merge_sort_block_sort_config_selectorIlNS0_10empty_typeEEEZNS1_21merge_sort_block_sortIS3_PlS8_PS5_S9_ZN2at6native12_GLOBAL__N_124unique_dim_cuda_templateIfEESt5tupleIJNSA_6TensorESF_SF_EERKSF_lbbbEUlllE_EE10hipError_tT0_T1_T2_T3_mRjT4_P12ihipStream_tbNS1_7vsmem_tEEUlT_E_NS1_11comp_targetILNS1_3genE5ELNS1_11target_archE942ELNS1_3gpuE9ELNS1_3repE0EEENS1_30default_config_static_selectorELNS0_4arch9wavefront6targetE1EEEvSM_: ; @_ZN7rocprim17ROCPRIM_400000_NS6detail17trampoline_kernelINS0_14default_configENS1_37merge_sort_block_sort_config_selectorIlNS0_10empty_typeEEEZNS1_21merge_sort_block_sortIS3_PlS8_PS5_S9_ZN2at6native12_GLOBAL__N_124unique_dim_cuda_templateIfEESt5tupleIJNSA_6TensorESF_SF_EERKSF_lbbbEUlllE_EE10hipError_tT0_T1_T2_T3_mRjT4_P12ihipStream_tbNS1_7vsmem_tEEUlT_E_NS1_11comp_targetILNS1_3genE5ELNS1_11target_archE942ELNS1_3gpuE9ELNS1_3repE0EEENS1_30default_config_static_selectorELNS0_4arch9wavefront6targetE1EEEvSM_
; %bb.0:
	.section	.rodata,"a",@progbits
	.p2align	6, 0x0
	.amdhsa_kernel _ZN7rocprim17ROCPRIM_400000_NS6detail17trampoline_kernelINS0_14default_configENS1_37merge_sort_block_sort_config_selectorIlNS0_10empty_typeEEEZNS1_21merge_sort_block_sortIS3_PlS8_PS5_S9_ZN2at6native12_GLOBAL__N_124unique_dim_cuda_templateIfEESt5tupleIJNSA_6TensorESF_SF_EERKSF_lbbbEUlllE_EE10hipError_tT0_T1_T2_T3_mRjT4_P12ihipStream_tbNS1_7vsmem_tEEUlT_E_NS1_11comp_targetILNS1_3genE5ELNS1_11target_archE942ELNS1_3gpuE9ELNS1_3repE0EEENS1_30default_config_static_selectorELNS0_4arch9wavefront6targetE1EEEvSM_
		.amdhsa_group_segment_fixed_size 0
		.amdhsa_private_segment_fixed_size 0
		.amdhsa_kernarg_size 72
		.amdhsa_user_sgpr_count 2
		.amdhsa_user_sgpr_dispatch_ptr 0
		.amdhsa_user_sgpr_queue_ptr 0
		.amdhsa_user_sgpr_kernarg_segment_ptr 1
		.amdhsa_user_sgpr_dispatch_id 0
		.amdhsa_user_sgpr_kernarg_preload_length 0
		.amdhsa_user_sgpr_kernarg_preload_offset 0
		.amdhsa_user_sgpr_private_segment_size 0
		.amdhsa_uses_dynamic_stack 0
		.amdhsa_enable_private_segment 0
		.amdhsa_system_sgpr_workgroup_id_x 1
		.amdhsa_system_sgpr_workgroup_id_y 0
		.amdhsa_system_sgpr_workgroup_id_z 0
		.amdhsa_system_sgpr_workgroup_info 0
		.amdhsa_system_vgpr_workitem_id 0
		.amdhsa_next_free_vgpr 1
		.amdhsa_next_free_sgpr 0
		.amdhsa_accum_offset 4
		.amdhsa_reserve_vcc 0
		.amdhsa_float_round_mode_32 0
		.amdhsa_float_round_mode_16_64 0
		.amdhsa_float_denorm_mode_32 3
		.amdhsa_float_denorm_mode_16_64 3
		.amdhsa_dx10_clamp 1
		.amdhsa_ieee_mode 1
		.amdhsa_fp16_overflow 0
		.amdhsa_tg_split 0
		.amdhsa_exception_fp_ieee_invalid_op 0
		.amdhsa_exception_fp_denorm_src 0
		.amdhsa_exception_fp_ieee_div_zero 0
		.amdhsa_exception_fp_ieee_overflow 0
		.amdhsa_exception_fp_ieee_underflow 0
		.amdhsa_exception_fp_ieee_inexact 0
		.amdhsa_exception_int_div_zero 0
	.end_amdhsa_kernel
	.section	.text._ZN7rocprim17ROCPRIM_400000_NS6detail17trampoline_kernelINS0_14default_configENS1_37merge_sort_block_sort_config_selectorIlNS0_10empty_typeEEEZNS1_21merge_sort_block_sortIS3_PlS8_PS5_S9_ZN2at6native12_GLOBAL__N_124unique_dim_cuda_templateIfEESt5tupleIJNSA_6TensorESF_SF_EERKSF_lbbbEUlllE_EE10hipError_tT0_T1_T2_T3_mRjT4_P12ihipStream_tbNS1_7vsmem_tEEUlT_E_NS1_11comp_targetILNS1_3genE5ELNS1_11target_archE942ELNS1_3gpuE9ELNS1_3repE0EEENS1_30default_config_static_selectorELNS0_4arch9wavefront6targetE1EEEvSM_,"axG",@progbits,_ZN7rocprim17ROCPRIM_400000_NS6detail17trampoline_kernelINS0_14default_configENS1_37merge_sort_block_sort_config_selectorIlNS0_10empty_typeEEEZNS1_21merge_sort_block_sortIS3_PlS8_PS5_S9_ZN2at6native12_GLOBAL__N_124unique_dim_cuda_templateIfEESt5tupleIJNSA_6TensorESF_SF_EERKSF_lbbbEUlllE_EE10hipError_tT0_T1_T2_T3_mRjT4_P12ihipStream_tbNS1_7vsmem_tEEUlT_E_NS1_11comp_targetILNS1_3genE5ELNS1_11target_archE942ELNS1_3gpuE9ELNS1_3repE0EEENS1_30default_config_static_selectorELNS0_4arch9wavefront6targetE1EEEvSM_,comdat
.Lfunc_end872:
	.size	_ZN7rocprim17ROCPRIM_400000_NS6detail17trampoline_kernelINS0_14default_configENS1_37merge_sort_block_sort_config_selectorIlNS0_10empty_typeEEEZNS1_21merge_sort_block_sortIS3_PlS8_PS5_S9_ZN2at6native12_GLOBAL__N_124unique_dim_cuda_templateIfEESt5tupleIJNSA_6TensorESF_SF_EERKSF_lbbbEUlllE_EE10hipError_tT0_T1_T2_T3_mRjT4_P12ihipStream_tbNS1_7vsmem_tEEUlT_E_NS1_11comp_targetILNS1_3genE5ELNS1_11target_archE942ELNS1_3gpuE9ELNS1_3repE0EEENS1_30default_config_static_selectorELNS0_4arch9wavefront6targetE1EEEvSM_, .Lfunc_end872-_ZN7rocprim17ROCPRIM_400000_NS6detail17trampoline_kernelINS0_14default_configENS1_37merge_sort_block_sort_config_selectorIlNS0_10empty_typeEEEZNS1_21merge_sort_block_sortIS3_PlS8_PS5_S9_ZN2at6native12_GLOBAL__N_124unique_dim_cuda_templateIfEESt5tupleIJNSA_6TensorESF_SF_EERKSF_lbbbEUlllE_EE10hipError_tT0_T1_T2_T3_mRjT4_P12ihipStream_tbNS1_7vsmem_tEEUlT_E_NS1_11comp_targetILNS1_3genE5ELNS1_11target_archE942ELNS1_3gpuE9ELNS1_3repE0EEENS1_30default_config_static_selectorELNS0_4arch9wavefront6targetE1EEEvSM_
                                        ; -- End function
	.set _ZN7rocprim17ROCPRIM_400000_NS6detail17trampoline_kernelINS0_14default_configENS1_37merge_sort_block_sort_config_selectorIlNS0_10empty_typeEEEZNS1_21merge_sort_block_sortIS3_PlS8_PS5_S9_ZN2at6native12_GLOBAL__N_124unique_dim_cuda_templateIfEESt5tupleIJNSA_6TensorESF_SF_EERKSF_lbbbEUlllE_EE10hipError_tT0_T1_T2_T3_mRjT4_P12ihipStream_tbNS1_7vsmem_tEEUlT_E_NS1_11comp_targetILNS1_3genE5ELNS1_11target_archE942ELNS1_3gpuE9ELNS1_3repE0EEENS1_30default_config_static_selectorELNS0_4arch9wavefront6targetE1EEEvSM_.num_vgpr, 0
	.set _ZN7rocprim17ROCPRIM_400000_NS6detail17trampoline_kernelINS0_14default_configENS1_37merge_sort_block_sort_config_selectorIlNS0_10empty_typeEEEZNS1_21merge_sort_block_sortIS3_PlS8_PS5_S9_ZN2at6native12_GLOBAL__N_124unique_dim_cuda_templateIfEESt5tupleIJNSA_6TensorESF_SF_EERKSF_lbbbEUlllE_EE10hipError_tT0_T1_T2_T3_mRjT4_P12ihipStream_tbNS1_7vsmem_tEEUlT_E_NS1_11comp_targetILNS1_3genE5ELNS1_11target_archE942ELNS1_3gpuE9ELNS1_3repE0EEENS1_30default_config_static_selectorELNS0_4arch9wavefront6targetE1EEEvSM_.num_agpr, 0
	.set _ZN7rocprim17ROCPRIM_400000_NS6detail17trampoline_kernelINS0_14default_configENS1_37merge_sort_block_sort_config_selectorIlNS0_10empty_typeEEEZNS1_21merge_sort_block_sortIS3_PlS8_PS5_S9_ZN2at6native12_GLOBAL__N_124unique_dim_cuda_templateIfEESt5tupleIJNSA_6TensorESF_SF_EERKSF_lbbbEUlllE_EE10hipError_tT0_T1_T2_T3_mRjT4_P12ihipStream_tbNS1_7vsmem_tEEUlT_E_NS1_11comp_targetILNS1_3genE5ELNS1_11target_archE942ELNS1_3gpuE9ELNS1_3repE0EEENS1_30default_config_static_selectorELNS0_4arch9wavefront6targetE1EEEvSM_.numbered_sgpr, 0
	.set _ZN7rocprim17ROCPRIM_400000_NS6detail17trampoline_kernelINS0_14default_configENS1_37merge_sort_block_sort_config_selectorIlNS0_10empty_typeEEEZNS1_21merge_sort_block_sortIS3_PlS8_PS5_S9_ZN2at6native12_GLOBAL__N_124unique_dim_cuda_templateIfEESt5tupleIJNSA_6TensorESF_SF_EERKSF_lbbbEUlllE_EE10hipError_tT0_T1_T2_T3_mRjT4_P12ihipStream_tbNS1_7vsmem_tEEUlT_E_NS1_11comp_targetILNS1_3genE5ELNS1_11target_archE942ELNS1_3gpuE9ELNS1_3repE0EEENS1_30default_config_static_selectorELNS0_4arch9wavefront6targetE1EEEvSM_.num_named_barrier, 0
	.set _ZN7rocprim17ROCPRIM_400000_NS6detail17trampoline_kernelINS0_14default_configENS1_37merge_sort_block_sort_config_selectorIlNS0_10empty_typeEEEZNS1_21merge_sort_block_sortIS3_PlS8_PS5_S9_ZN2at6native12_GLOBAL__N_124unique_dim_cuda_templateIfEESt5tupleIJNSA_6TensorESF_SF_EERKSF_lbbbEUlllE_EE10hipError_tT0_T1_T2_T3_mRjT4_P12ihipStream_tbNS1_7vsmem_tEEUlT_E_NS1_11comp_targetILNS1_3genE5ELNS1_11target_archE942ELNS1_3gpuE9ELNS1_3repE0EEENS1_30default_config_static_selectorELNS0_4arch9wavefront6targetE1EEEvSM_.private_seg_size, 0
	.set _ZN7rocprim17ROCPRIM_400000_NS6detail17trampoline_kernelINS0_14default_configENS1_37merge_sort_block_sort_config_selectorIlNS0_10empty_typeEEEZNS1_21merge_sort_block_sortIS3_PlS8_PS5_S9_ZN2at6native12_GLOBAL__N_124unique_dim_cuda_templateIfEESt5tupleIJNSA_6TensorESF_SF_EERKSF_lbbbEUlllE_EE10hipError_tT0_T1_T2_T3_mRjT4_P12ihipStream_tbNS1_7vsmem_tEEUlT_E_NS1_11comp_targetILNS1_3genE5ELNS1_11target_archE942ELNS1_3gpuE9ELNS1_3repE0EEENS1_30default_config_static_selectorELNS0_4arch9wavefront6targetE1EEEvSM_.uses_vcc, 0
	.set _ZN7rocprim17ROCPRIM_400000_NS6detail17trampoline_kernelINS0_14default_configENS1_37merge_sort_block_sort_config_selectorIlNS0_10empty_typeEEEZNS1_21merge_sort_block_sortIS3_PlS8_PS5_S9_ZN2at6native12_GLOBAL__N_124unique_dim_cuda_templateIfEESt5tupleIJNSA_6TensorESF_SF_EERKSF_lbbbEUlllE_EE10hipError_tT0_T1_T2_T3_mRjT4_P12ihipStream_tbNS1_7vsmem_tEEUlT_E_NS1_11comp_targetILNS1_3genE5ELNS1_11target_archE942ELNS1_3gpuE9ELNS1_3repE0EEENS1_30default_config_static_selectorELNS0_4arch9wavefront6targetE1EEEvSM_.uses_flat_scratch, 0
	.set _ZN7rocprim17ROCPRIM_400000_NS6detail17trampoline_kernelINS0_14default_configENS1_37merge_sort_block_sort_config_selectorIlNS0_10empty_typeEEEZNS1_21merge_sort_block_sortIS3_PlS8_PS5_S9_ZN2at6native12_GLOBAL__N_124unique_dim_cuda_templateIfEESt5tupleIJNSA_6TensorESF_SF_EERKSF_lbbbEUlllE_EE10hipError_tT0_T1_T2_T3_mRjT4_P12ihipStream_tbNS1_7vsmem_tEEUlT_E_NS1_11comp_targetILNS1_3genE5ELNS1_11target_archE942ELNS1_3gpuE9ELNS1_3repE0EEENS1_30default_config_static_selectorELNS0_4arch9wavefront6targetE1EEEvSM_.has_dyn_sized_stack, 0
	.set _ZN7rocprim17ROCPRIM_400000_NS6detail17trampoline_kernelINS0_14default_configENS1_37merge_sort_block_sort_config_selectorIlNS0_10empty_typeEEEZNS1_21merge_sort_block_sortIS3_PlS8_PS5_S9_ZN2at6native12_GLOBAL__N_124unique_dim_cuda_templateIfEESt5tupleIJNSA_6TensorESF_SF_EERKSF_lbbbEUlllE_EE10hipError_tT0_T1_T2_T3_mRjT4_P12ihipStream_tbNS1_7vsmem_tEEUlT_E_NS1_11comp_targetILNS1_3genE5ELNS1_11target_archE942ELNS1_3gpuE9ELNS1_3repE0EEENS1_30default_config_static_selectorELNS0_4arch9wavefront6targetE1EEEvSM_.has_recursion, 0
	.set _ZN7rocprim17ROCPRIM_400000_NS6detail17trampoline_kernelINS0_14default_configENS1_37merge_sort_block_sort_config_selectorIlNS0_10empty_typeEEEZNS1_21merge_sort_block_sortIS3_PlS8_PS5_S9_ZN2at6native12_GLOBAL__N_124unique_dim_cuda_templateIfEESt5tupleIJNSA_6TensorESF_SF_EERKSF_lbbbEUlllE_EE10hipError_tT0_T1_T2_T3_mRjT4_P12ihipStream_tbNS1_7vsmem_tEEUlT_E_NS1_11comp_targetILNS1_3genE5ELNS1_11target_archE942ELNS1_3gpuE9ELNS1_3repE0EEENS1_30default_config_static_selectorELNS0_4arch9wavefront6targetE1EEEvSM_.has_indirect_call, 0
	.section	.AMDGPU.csdata,"",@progbits
; Kernel info:
; codeLenInByte = 0
; TotalNumSgprs: 6
; NumVgprs: 0
; NumAgprs: 0
; TotalNumVgprs: 0
; ScratchSize: 0
; MemoryBound: 0
; FloatMode: 240
; IeeeMode: 1
; LDSByteSize: 0 bytes/workgroup (compile time only)
; SGPRBlocks: 0
; VGPRBlocks: 0
; NumSGPRsForWavesPerEU: 6
; NumVGPRsForWavesPerEU: 1
; AccumOffset: 4
; Occupancy: 8
; WaveLimiterHint : 0
; COMPUTE_PGM_RSRC2:SCRATCH_EN: 0
; COMPUTE_PGM_RSRC2:USER_SGPR: 2
; COMPUTE_PGM_RSRC2:TRAP_HANDLER: 0
; COMPUTE_PGM_RSRC2:TGID_X_EN: 1
; COMPUTE_PGM_RSRC2:TGID_Y_EN: 0
; COMPUTE_PGM_RSRC2:TGID_Z_EN: 0
; COMPUTE_PGM_RSRC2:TIDIG_COMP_CNT: 0
; COMPUTE_PGM_RSRC3_GFX90A:ACCUM_OFFSET: 0
; COMPUTE_PGM_RSRC3_GFX90A:TG_SPLIT: 0
	.section	.text._ZN7rocprim17ROCPRIM_400000_NS6detail17trampoline_kernelINS0_14default_configENS1_37merge_sort_block_sort_config_selectorIlNS0_10empty_typeEEEZNS1_21merge_sort_block_sortIS3_PlS8_PS5_S9_ZN2at6native12_GLOBAL__N_124unique_dim_cuda_templateIfEESt5tupleIJNSA_6TensorESF_SF_EERKSF_lbbbEUlllE_EE10hipError_tT0_T1_T2_T3_mRjT4_P12ihipStream_tbNS1_7vsmem_tEEUlT_E_NS1_11comp_targetILNS1_3genE4ELNS1_11target_archE910ELNS1_3gpuE8ELNS1_3repE0EEENS1_30default_config_static_selectorELNS0_4arch9wavefront6targetE1EEEvSM_,"axG",@progbits,_ZN7rocprim17ROCPRIM_400000_NS6detail17trampoline_kernelINS0_14default_configENS1_37merge_sort_block_sort_config_selectorIlNS0_10empty_typeEEEZNS1_21merge_sort_block_sortIS3_PlS8_PS5_S9_ZN2at6native12_GLOBAL__N_124unique_dim_cuda_templateIfEESt5tupleIJNSA_6TensorESF_SF_EERKSF_lbbbEUlllE_EE10hipError_tT0_T1_T2_T3_mRjT4_P12ihipStream_tbNS1_7vsmem_tEEUlT_E_NS1_11comp_targetILNS1_3genE4ELNS1_11target_archE910ELNS1_3gpuE8ELNS1_3repE0EEENS1_30default_config_static_selectorELNS0_4arch9wavefront6targetE1EEEvSM_,comdat
	.globl	_ZN7rocprim17ROCPRIM_400000_NS6detail17trampoline_kernelINS0_14default_configENS1_37merge_sort_block_sort_config_selectorIlNS0_10empty_typeEEEZNS1_21merge_sort_block_sortIS3_PlS8_PS5_S9_ZN2at6native12_GLOBAL__N_124unique_dim_cuda_templateIfEESt5tupleIJNSA_6TensorESF_SF_EERKSF_lbbbEUlllE_EE10hipError_tT0_T1_T2_T3_mRjT4_P12ihipStream_tbNS1_7vsmem_tEEUlT_E_NS1_11comp_targetILNS1_3genE4ELNS1_11target_archE910ELNS1_3gpuE8ELNS1_3repE0EEENS1_30default_config_static_selectorELNS0_4arch9wavefront6targetE1EEEvSM_ ; -- Begin function _ZN7rocprim17ROCPRIM_400000_NS6detail17trampoline_kernelINS0_14default_configENS1_37merge_sort_block_sort_config_selectorIlNS0_10empty_typeEEEZNS1_21merge_sort_block_sortIS3_PlS8_PS5_S9_ZN2at6native12_GLOBAL__N_124unique_dim_cuda_templateIfEESt5tupleIJNSA_6TensorESF_SF_EERKSF_lbbbEUlllE_EE10hipError_tT0_T1_T2_T3_mRjT4_P12ihipStream_tbNS1_7vsmem_tEEUlT_E_NS1_11comp_targetILNS1_3genE4ELNS1_11target_archE910ELNS1_3gpuE8ELNS1_3repE0EEENS1_30default_config_static_selectorELNS0_4arch9wavefront6targetE1EEEvSM_
	.p2align	8
	.type	_ZN7rocprim17ROCPRIM_400000_NS6detail17trampoline_kernelINS0_14default_configENS1_37merge_sort_block_sort_config_selectorIlNS0_10empty_typeEEEZNS1_21merge_sort_block_sortIS3_PlS8_PS5_S9_ZN2at6native12_GLOBAL__N_124unique_dim_cuda_templateIfEESt5tupleIJNSA_6TensorESF_SF_EERKSF_lbbbEUlllE_EE10hipError_tT0_T1_T2_T3_mRjT4_P12ihipStream_tbNS1_7vsmem_tEEUlT_E_NS1_11comp_targetILNS1_3genE4ELNS1_11target_archE910ELNS1_3gpuE8ELNS1_3repE0EEENS1_30default_config_static_selectorELNS0_4arch9wavefront6targetE1EEEvSM_,@function
_ZN7rocprim17ROCPRIM_400000_NS6detail17trampoline_kernelINS0_14default_configENS1_37merge_sort_block_sort_config_selectorIlNS0_10empty_typeEEEZNS1_21merge_sort_block_sortIS3_PlS8_PS5_S9_ZN2at6native12_GLOBAL__N_124unique_dim_cuda_templateIfEESt5tupleIJNSA_6TensorESF_SF_EERKSF_lbbbEUlllE_EE10hipError_tT0_T1_T2_T3_mRjT4_P12ihipStream_tbNS1_7vsmem_tEEUlT_E_NS1_11comp_targetILNS1_3genE4ELNS1_11target_archE910ELNS1_3gpuE8ELNS1_3repE0EEENS1_30default_config_static_selectorELNS0_4arch9wavefront6targetE1EEEvSM_: ; @_ZN7rocprim17ROCPRIM_400000_NS6detail17trampoline_kernelINS0_14default_configENS1_37merge_sort_block_sort_config_selectorIlNS0_10empty_typeEEEZNS1_21merge_sort_block_sortIS3_PlS8_PS5_S9_ZN2at6native12_GLOBAL__N_124unique_dim_cuda_templateIfEESt5tupleIJNSA_6TensorESF_SF_EERKSF_lbbbEUlllE_EE10hipError_tT0_T1_T2_T3_mRjT4_P12ihipStream_tbNS1_7vsmem_tEEUlT_E_NS1_11comp_targetILNS1_3genE4ELNS1_11target_archE910ELNS1_3gpuE8ELNS1_3repE0EEENS1_30default_config_static_selectorELNS0_4arch9wavefront6targetE1EEEvSM_
; %bb.0:
	.section	.rodata,"a",@progbits
	.p2align	6, 0x0
	.amdhsa_kernel _ZN7rocprim17ROCPRIM_400000_NS6detail17trampoline_kernelINS0_14default_configENS1_37merge_sort_block_sort_config_selectorIlNS0_10empty_typeEEEZNS1_21merge_sort_block_sortIS3_PlS8_PS5_S9_ZN2at6native12_GLOBAL__N_124unique_dim_cuda_templateIfEESt5tupleIJNSA_6TensorESF_SF_EERKSF_lbbbEUlllE_EE10hipError_tT0_T1_T2_T3_mRjT4_P12ihipStream_tbNS1_7vsmem_tEEUlT_E_NS1_11comp_targetILNS1_3genE4ELNS1_11target_archE910ELNS1_3gpuE8ELNS1_3repE0EEENS1_30default_config_static_selectorELNS0_4arch9wavefront6targetE1EEEvSM_
		.amdhsa_group_segment_fixed_size 0
		.amdhsa_private_segment_fixed_size 0
		.amdhsa_kernarg_size 72
		.amdhsa_user_sgpr_count 2
		.amdhsa_user_sgpr_dispatch_ptr 0
		.amdhsa_user_sgpr_queue_ptr 0
		.amdhsa_user_sgpr_kernarg_segment_ptr 1
		.amdhsa_user_sgpr_dispatch_id 0
		.amdhsa_user_sgpr_kernarg_preload_length 0
		.amdhsa_user_sgpr_kernarg_preload_offset 0
		.amdhsa_user_sgpr_private_segment_size 0
		.amdhsa_uses_dynamic_stack 0
		.amdhsa_enable_private_segment 0
		.amdhsa_system_sgpr_workgroup_id_x 1
		.amdhsa_system_sgpr_workgroup_id_y 0
		.amdhsa_system_sgpr_workgroup_id_z 0
		.amdhsa_system_sgpr_workgroup_info 0
		.amdhsa_system_vgpr_workitem_id 0
		.amdhsa_next_free_vgpr 1
		.amdhsa_next_free_sgpr 0
		.amdhsa_accum_offset 4
		.amdhsa_reserve_vcc 0
		.amdhsa_float_round_mode_32 0
		.amdhsa_float_round_mode_16_64 0
		.amdhsa_float_denorm_mode_32 3
		.amdhsa_float_denorm_mode_16_64 3
		.amdhsa_dx10_clamp 1
		.amdhsa_ieee_mode 1
		.amdhsa_fp16_overflow 0
		.amdhsa_tg_split 0
		.amdhsa_exception_fp_ieee_invalid_op 0
		.amdhsa_exception_fp_denorm_src 0
		.amdhsa_exception_fp_ieee_div_zero 0
		.amdhsa_exception_fp_ieee_overflow 0
		.amdhsa_exception_fp_ieee_underflow 0
		.amdhsa_exception_fp_ieee_inexact 0
		.amdhsa_exception_int_div_zero 0
	.end_amdhsa_kernel
	.section	.text._ZN7rocprim17ROCPRIM_400000_NS6detail17trampoline_kernelINS0_14default_configENS1_37merge_sort_block_sort_config_selectorIlNS0_10empty_typeEEEZNS1_21merge_sort_block_sortIS3_PlS8_PS5_S9_ZN2at6native12_GLOBAL__N_124unique_dim_cuda_templateIfEESt5tupleIJNSA_6TensorESF_SF_EERKSF_lbbbEUlllE_EE10hipError_tT0_T1_T2_T3_mRjT4_P12ihipStream_tbNS1_7vsmem_tEEUlT_E_NS1_11comp_targetILNS1_3genE4ELNS1_11target_archE910ELNS1_3gpuE8ELNS1_3repE0EEENS1_30default_config_static_selectorELNS0_4arch9wavefront6targetE1EEEvSM_,"axG",@progbits,_ZN7rocprim17ROCPRIM_400000_NS6detail17trampoline_kernelINS0_14default_configENS1_37merge_sort_block_sort_config_selectorIlNS0_10empty_typeEEEZNS1_21merge_sort_block_sortIS3_PlS8_PS5_S9_ZN2at6native12_GLOBAL__N_124unique_dim_cuda_templateIfEESt5tupleIJNSA_6TensorESF_SF_EERKSF_lbbbEUlllE_EE10hipError_tT0_T1_T2_T3_mRjT4_P12ihipStream_tbNS1_7vsmem_tEEUlT_E_NS1_11comp_targetILNS1_3genE4ELNS1_11target_archE910ELNS1_3gpuE8ELNS1_3repE0EEENS1_30default_config_static_selectorELNS0_4arch9wavefront6targetE1EEEvSM_,comdat
.Lfunc_end873:
	.size	_ZN7rocprim17ROCPRIM_400000_NS6detail17trampoline_kernelINS0_14default_configENS1_37merge_sort_block_sort_config_selectorIlNS0_10empty_typeEEEZNS1_21merge_sort_block_sortIS3_PlS8_PS5_S9_ZN2at6native12_GLOBAL__N_124unique_dim_cuda_templateIfEESt5tupleIJNSA_6TensorESF_SF_EERKSF_lbbbEUlllE_EE10hipError_tT0_T1_T2_T3_mRjT4_P12ihipStream_tbNS1_7vsmem_tEEUlT_E_NS1_11comp_targetILNS1_3genE4ELNS1_11target_archE910ELNS1_3gpuE8ELNS1_3repE0EEENS1_30default_config_static_selectorELNS0_4arch9wavefront6targetE1EEEvSM_, .Lfunc_end873-_ZN7rocprim17ROCPRIM_400000_NS6detail17trampoline_kernelINS0_14default_configENS1_37merge_sort_block_sort_config_selectorIlNS0_10empty_typeEEEZNS1_21merge_sort_block_sortIS3_PlS8_PS5_S9_ZN2at6native12_GLOBAL__N_124unique_dim_cuda_templateIfEESt5tupleIJNSA_6TensorESF_SF_EERKSF_lbbbEUlllE_EE10hipError_tT0_T1_T2_T3_mRjT4_P12ihipStream_tbNS1_7vsmem_tEEUlT_E_NS1_11comp_targetILNS1_3genE4ELNS1_11target_archE910ELNS1_3gpuE8ELNS1_3repE0EEENS1_30default_config_static_selectorELNS0_4arch9wavefront6targetE1EEEvSM_
                                        ; -- End function
	.set _ZN7rocprim17ROCPRIM_400000_NS6detail17trampoline_kernelINS0_14default_configENS1_37merge_sort_block_sort_config_selectorIlNS0_10empty_typeEEEZNS1_21merge_sort_block_sortIS3_PlS8_PS5_S9_ZN2at6native12_GLOBAL__N_124unique_dim_cuda_templateIfEESt5tupleIJNSA_6TensorESF_SF_EERKSF_lbbbEUlllE_EE10hipError_tT0_T1_T2_T3_mRjT4_P12ihipStream_tbNS1_7vsmem_tEEUlT_E_NS1_11comp_targetILNS1_3genE4ELNS1_11target_archE910ELNS1_3gpuE8ELNS1_3repE0EEENS1_30default_config_static_selectorELNS0_4arch9wavefront6targetE1EEEvSM_.num_vgpr, 0
	.set _ZN7rocprim17ROCPRIM_400000_NS6detail17trampoline_kernelINS0_14default_configENS1_37merge_sort_block_sort_config_selectorIlNS0_10empty_typeEEEZNS1_21merge_sort_block_sortIS3_PlS8_PS5_S9_ZN2at6native12_GLOBAL__N_124unique_dim_cuda_templateIfEESt5tupleIJNSA_6TensorESF_SF_EERKSF_lbbbEUlllE_EE10hipError_tT0_T1_T2_T3_mRjT4_P12ihipStream_tbNS1_7vsmem_tEEUlT_E_NS1_11comp_targetILNS1_3genE4ELNS1_11target_archE910ELNS1_3gpuE8ELNS1_3repE0EEENS1_30default_config_static_selectorELNS0_4arch9wavefront6targetE1EEEvSM_.num_agpr, 0
	.set _ZN7rocprim17ROCPRIM_400000_NS6detail17trampoline_kernelINS0_14default_configENS1_37merge_sort_block_sort_config_selectorIlNS0_10empty_typeEEEZNS1_21merge_sort_block_sortIS3_PlS8_PS5_S9_ZN2at6native12_GLOBAL__N_124unique_dim_cuda_templateIfEESt5tupleIJNSA_6TensorESF_SF_EERKSF_lbbbEUlllE_EE10hipError_tT0_T1_T2_T3_mRjT4_P12ihipStream_tbNS1_7vsmem_tEEUlT_E_NS1_11comp_targetILNS1_3genE4ELNS1_11target_archE910ELNS1_3gpuE8ELNS1_3repE0EEENS1_30default_config_static_selectorELNS0_4arch9wavefront6targetE1EEEvSM_.numbered_sgpr, 0
	.set _ZN7rocprim17ROCPRIM_400000_NS6detail17trampoline_kernelINS0_14default_configENS1_37merge_sort_block_sort_config_selectorIlNS0_10empty_typeEEEZNS1_21merge_sort_block_sortIS3_PlS8_PS5_S9_ZN2at6native12_GLOBAL__N_124unique_dim_cuda_templateIfEESt5tupleIJNSA_6TensorESF_SF_EERKSF_lbbbEUlllE_EE10hipError_tT0_T1_T2_T3_mRjT4_P12ihipStream_tbNS1_7vsmem_tEEUlT_E_NS1_11comp_targetILNS1_3genE4ELNS1_11target_archE910ELNS1_3gpuE8ELNS1_3repE0EEENS1_30default_config_static_selectorELNS0_4arch9wavefront6targetE1EEEvSM_.num_named_barrier, 0
	.set _ZN7rocprim17ROCPRIM_400000_NS6detail17trampoline_kernelINS0_14default_configENS1_37merge_sort_block_sort_config_selectorIlNS0_10empty_typeEEEZNS1_21merge_sort_block_sortIS3_PlS8_PS5_S9_ZN2at6native12_GLOBAL__N_124unique_dim_cuda_templateIfEESt5tupleIJNSA_6TensorESF_SF_EERKSF_lbbbEUlllE_EE10hipError_tT0_T1_T2_T3_mRjT4_P12ihipStream_tbNS1_7vsmem_tEEUlT_E_NS1_11comp_targetILNS1_3genE4ELNS1_11target_archE910ELNS1_3gpuE8ELNS1_3repE0EEENS1_30default_config_static_selectorELNS0_4arch9wavefront6targetE1EEEvSM_.private_seg_size, 0
	.set _ZN7rocprim17ROCPRIM_400000_NS6detail17trampoline_kernelINS0_14default_configENS1_37merge_sort_block_sort_config_selectorIlNS0_10empty_typeEEEZNS1_21merge_sort_block_sortIS3_PlS8_PS5_S9_ZN2at6native12_GLOBAL__N_124unique_dim_cuda_templateIfEESt5tupleIJNSA_6TensorESF_SF_EERKSF_lbbbEUlllE_EE10hipError_tT0_T1_T2_T3_mRjT4_P12ihipStream_tbNS1_7vsmem_tEEUlT_E_NS1_11comp_targetILNS1_3genE4ELNS1_11target_archE910ELNS1_3gpuE8ELNS1_3repE0EEENS1_30default_config_static_selectorELNS0_4arch9wavefront6targetE1EEEvSM_.uses_vcc, 0
	.set _ZN7rocprim17ROCPRIM_400000_NS6detail17trampoline_kernelINS0_14default_configENS1_37merge_sort_block_sort_config_selectorIlNS0_10empty_typeEEEZNS1_21merge_sort_block_sortIS3_PlS8_PS5_S9_ZN2at6native12_GLOBAL__N_124unique_dim_cuda_templateIfEESt5tupleIJNSA_6TensorESF_SF_EERKSF_lbbbEUlllE_EE10hipError_tT0_T1_T2_T3_mRjT4_P12ihipStream_tbNS1_7vsmem_tEEUlT_E_NS1_11comp_targetILNS1_3genE4ELNS1_11target_archE910ELNS1_3gpuE8ELNS1_3repE0EEENS1_30default_config_static_selectorELNS0_4arch9wavefront6targetE1EEEvSM_.uses_flat_scratch, 0
	.set _ZN7rocprim17ROCPRIM_400000_NS6detail17trampoline_kernelINS0_14default_configENS1_37merge_sort_block_sort_config_selectorIlNS0_10empty_typeEEEZNS1_21merge_sort_block_sortIS3_PlS8_PS5_S9_ZN2at6native12_GLOBAL__N_124unique_dim_cuda_templateIfEESt5tupleIJNSA_6TensorESF_SF_EERKSF_lbbbEUlllE_EE10hipError_tT0_T1_T2_T3_mRjT4_P12ihipStream_tbNS1_7vsmem_tEEUlT_E_NS1_11comp_targetILNS1_3genE4ELNS1_11target_archE910ELNS1_3gpuE8ELNS1_3repE0EEENS1_30default_config_static_selectorELNS0_4arch9wavefront6targetE1EEEvSM_.has_dyn_sized_stack, 0
	.set _ZN7rocprim17ROCPRIM_400000_NS6detail17trampoline_kernelINS0_14default_configENS1_37merge_sort_block_sort_config_selectorIlNS0_10empty_typeEEEZNS1_21merge_sort_block_sortIS3_PlS8_PS5_S9_ZN2at6native12_GLOBAL__N_124unique_dim_cuda_templateIfEESt5tupleIJNSA_6TensorESF_SF_EERKSF_lbbbEUlllE_EE10hipError_tT0_T1_T2_T3_mRjT4_P12ihipStream_tbNS1_7vsmem_tEEUlT_E_NS1_11comp_targetILNS1_3genE4ELNS1_11target_archE910ELNS1_3gpuE8ELNS1_3repE0EEENS1_30default_config_static_selectorELNS0_4arch9wavefront6targetE1EEEvSM_.has_recursion, 0
	.set _ZN7rocprim17ROCPRIM_400000_NS6detail17trampoline_kernelINS0_14default_configENS1_37merge_sort_block_sort_config_selectorIlNS0_10empty_typeEEEZNS1_21merge_sort_block_sortIS3_PlS8_PS5_S9_ZN2at6native12_GLOBAL__N_124unique_dim_cuda_templateIfEESt5tupleIJNSA_6TensorESF_SF_EERKSF_lbbbEUlllE_EE10hipError_tT0_T1_T2_T3_mRjT4_P12ihipStream_tbNS1_7vsmem_tEEUlT_E_NS1_11comp_targetILNS1_3genE4ELNS1_11target_archE910ELNS1_3gpuE8ELNS1_3repE0EEENS1_30default_config_static_selectorELNS0_4arch9wavefront6targetE1EEEvSM_.has_indirect_call, 0
	.section	.AMDGPU.csdata,"",@progbits
; Kernel info:
; codeLenInByte = 0
; TotalNumSgprs: 6
; NumVgprs: 0
; NumAgprs: 0
; TotalNumVgprs: 0
; ScratchSize: 0
; MemoryBound: 0
; FloatMode: 240
; IeeeMode: 1
; LDSByteSize: 0 bytes/workgroup (compile time only)
; SGPRBlocks: 0
; VGPRBlocks: 0
; NumSGPRsForWavesPerEU: 6
; NumVGPRsForWavesPerEU: 1
; AccumOffset: 4
; Occupancy: 8
; WaveLimiterHint : 0
; COMPUTE_PGM_RSRC2:SCRATCH_EN: 0
; COMPUTE_PGM_RSRC2:USER_SGPR: 2
; COMPUTE_PGM_RSRC2:TRAP_HANDLER: 0
; COMPUTE_PGM_RSRC2:TGID_X_EN: 1
; COMPUTE_PGM_RSRC2:TGID_Y_EN: 0
; COMPUTE_PGM_RSRC2:TGID_Z_EN: 0
; COMPUTE_PGM_RSRC2:TIDIG_COMP_CNT: 0
; COMPUTE_PGM_RSRC3_GFX90A:ACCUM_OFFSET: 0
; COMPUTE_PGM_RSRC3_GFX90A:TG_SPLIT: 0
	.section	.text._ZN7rocprim17ROCPRIM_400000_NS6detail17trampoline_kernelINS0_14default_configENS1_37merge_sort_block_sort_config_selectorIlNS0_10empty_typeEEEZNS1_21merge_sort_block_sortIS3_PlS8_PS5_S9_ZN2at6native12_GLOBAL__N_124unique_dim_cuda_templateIfEESt5tupleIJNSA_6TensorESF_SF_EERKSF_lbbbEUlllE_EE10hipError_tT0_T1_T2_T3_mRjT4_P12ihipStream_tbNS1_7vsmem_tEEUlT_E_NS1_11comp_targetILNS1_3genE3ELNS1_11target_archE908ELNS1_3gpuE7ELNS1_3repE0EEENS1_30default_config_static_selectorELNS0_4arch9wavefront6targetE1EEEvSM_,"axG",@progbits,_ZN7rocprim17ROCPRIM_400000_NS6detail17trampoline_kernelINS0_14default_configENS1_37merge_sort_block_sort_config_selectorIlNS0_10empty_typeEEEZNS1_21merge_sort_block_sortIS3_PlS8_PS5_S9_ZN2at6native12_GLOBAL__N_124unique_dim_cuda_templateIfEESt5tupleIJNSA_6TensorESF_SF_EERKSF_lbbbEUlllE_EE10hipError_tT0_T1_T2_T3_mRjT4_P12ihipStream_tbNS1_7vsmem_tEEUlT_E_NS1_11comp_targetILNS1_3genE3ELNS1_11target_archE908ELNS1_3gpuE7ELNS1_3repE0EEENS1_30default_config_static_selectorELNS0_4arch9wavefront6targetE1EEEvSM_,comdat
	.globl	_ZN7rocprim17ROCPRIM_400000_NS6detail17trampoline_kernelINS0_14default_configENS1_37merge_sort_block_sort_config_selectorIlNS0_10empty_typeEEEZNS1_21merge_sort_block_sortIS3_PlS8_PS5_S9_ZN2at6native12_GLOBAL__N_124unique_dim_cuda_templateIfEESt5tupleIJNSA_6TensorESF_SF_EERKSF_lbbbEUlllE_EE10hipError_tT0_T1_T2_T3_mRjT4_P12ihipStream_tbNS1_7vsmem_tEEUlT_E_NS1_11comp_targetILNS1_3genE3ELNS1_11target_archE908ELNS1_3gpuE7ELNS1_3repE0EEENS1_30default_config_static_selectorELNS0_4arch9wavefront6targetE1EEEvSM_ ; -- Begin function _ZN7rocprim17ROCPRIM_400000_NS6detail17trampoline_kernelINS0_14default_configENS1_37merge_sort_block_sort_config_selectorIlNS0_10empty_typeEEEZNS1_21merge_sort_block_sortIS3_PlS8_PS5_S9_ZN2at6native12_GLOBAL__N_124unique_dim_cuda_templateIfEESt5tupleIJNSA_6TensorESF_SF_EERKSF_lbbbEUlllE_EE10hipError_tT0_T1_T2_T3_mRjT4_P12ihipStream_tbNS1_7vsmem_tEEUlT_E_NS1_11comp_targetILNS1_3genE3ELNS1_11target_archE908ELNS1_3gpuE7ELNS1_3repE0EEENS1_30default_config_static_selectorELNS0_4arch9wavefront6targetE1EEEvSM_
	.p2align	8
	.type	_ZN7rocprim17ROCPRIM_400000_NS6detail17trampoline_kernelINS0_14default_configENS1_37merge_sort_block_sort_config_selectorIlNS0_10empty_typeEEEZNS1_21merge_sort_block_sortIS3_PlS8_PS5_S9_ZN2at6native12_GLOBAL__N_124unique_dim_cuda_templateIfEESt5tupleIJNSA_6TensorESF_SF_EERKSF_lbbbEUlllE_EE10hipError_tT0_T1_T2_T3_mRjT4_P12ihipStream_tbNS1_7vsmem_tEEUlT_E_NS1_11comp_targetILNS1_3genE3ELNS1_11target_archE908ELNS1_3gpuE7ELNS1_3repE0EEENS1_30default_config_static_selectorELNS0_4arch9wavefront6targetE1EEEvSM_,@function
_ZN7rocprim17ROCPRIM_400000_NS6detail17trampoline_kernelINS0_14default_configENS1_37merge_sort_block_sort_config_selectorIlNS0_10empty_typeEEEZNS1_21merge_sort_block_sortIS3_PlS8_PS5_S9_ZN2at6native12_GLOBAL__N_124unique_dim_cuda_templateIfEESt5tupleIJNSA_6TensorESF_SF_EERKSF_lbbbEUlllE_EE10hipError_tT0_T1_T2_T3_mRjT4_P12ihipStream_tbNS1_7vsmem_tEEUlT_E_NS1_11comp_targetILNS1_3genE3ELNS1_11target_archE908ELNS1_3gpuE7ELNS1_3repE0EEENS1_30default_config_static_selectorELNS0_4arch9wavefront6targetE1EEEvSM_: ; @_ZN7rocprim17ROCPRIM_400000_NS6detail17trampoline_kernelINS0_14default_configENS1_37merge_sort_block_sort_config_selectorIlNS0_10empty_typeEEEZNS1_21merge_sort_block_sortIS3_PlS8_PS5_S9_ZN2at6native12_GLOBAL__N_124unique_dim_cuda_templateIfEESt5tupleIJNSA_6TensorESF_SF_EERKSF_lbbbEUlllE_EE10hipError_tT0_T1_T2_T3_mRjT4_P12ihipStream_tbNS1_7vsmem_tEEUlT_E_NS1_11comp_targetILNS1_3genE3ELNS1_11target_archE908ELNS1_3gpuE7ELNS1_3repE0EEENS1_30default_config_static_selectorELNS0_4arch9wavefront6targetE1EEEvSM_
; %bb.0:
	.section	.rodata,"a",@progbits
	.p2align	6, 0x0
	.amdhsa_kernel _ZN7rocprim17ROCPRIM_400000_NS6detail17trampoline_kernelINS0_14default_configENS1_37merge_sort_block_sort_config_selectorIlNS0_10empty_typeEEEZNS1_21merge_sort_block_sortIS3_PlS8_PS5_S9_ZN2at6native12_GLOBAL__N_124unique_dim_cuda_templateIfEESt5tupleIJNSA_6TensorESF_SF_EERKSF_lbbbEUlllE_EE10hipError_tT0_T1_T2_T3_mRjT4_P12ihipStream_tbNS1_7vsmem_tEEUlT_E_NS1_11comp_targetILNS1_3genE3ELNS1_11target_archE908ELNS1_3gpuE7ELNS1_3repE0EEENS1_30default_config_static_selectorELNS0_4arch9wavefront6targetE1EEEvSM_
		.amdhsa_group_segment_fixed_size 0
		.amdhsa_private_segment_fixed_size 0
		.amdhsa_kernarg_size 72
		.amdhsa_user_sgpr_count 2
		.amdhsa_user_sgpr_dispatch_ptr 0
		.amdhsa_user_sgpr_queue_ptr 0
		.amdhsa_user_sgpr_kernarg_segment_ptr 1
		.amdhsa_user_sgpr_dispatch_id 0
		.amdhsa_user_sgpr_kernarg_preload_length 0
		.amdhsa_user_sgpr_kernarg_preload_offset 0
		.amdhsa_user_sgpr_private_segment_size 0
		.amdhsa_uses_dynamic_stack 0
		.amdhsa_enable_private_segment 0
		.amdhsa_system_sgpr_workgroup_id_x 1
		.amdhsa_system_sgpr_workgroup_id_y 0
		.amdhsa_system_sgpr_workgroup_id_z 0
		.amdhsa_system_sgpr_workgroup_info 0
		.amdhsa_system_vgpr_workitem_id 0
		.amdhsa_next_free_vgpr 1
		.amdhsa_next_free_sgpr 0
		.amdhsa_accum_offset 4
		.amdhsa_reserve_vcc 0
		.amdhsa_float_round_mode_32 0
		.amdhsa_float_round_mode_16_64 0
		.amdhsa_float_denorm_mode_32 3
		.amdhsa_float_denorm_mode_16_64 3
		.amdhsa_dx10_clamp 1
		.amdhsa_ieee_mode 1
		.amdhsa_fp16_overflow 0
		.amdhsa_tg_split 0
		.amdhsa_exception_fp_ieee_invalid_op 0
		.amdhsa_exception_fp_denorm_src 0
		.amdhsa_exception_fp_ieee_div_zero 0
		.amdhsa_exception_fp_ieee_overflow 0
		.amdhsa_exception_fp_ieee_underflow 0
		.amdhsa_exception_fp_ieee_inexact 0
		.amdhsa_exception_int_div_zero 0
	.end_amdhsa_kernel
	.section	.text._ZN7rocprim17ROCPRIM_400000_NS6detail17trampoline_kernelINS0_14default_configENS1_37merge_sort_block_sort_config_selectorIlNS0_10empty_typeEEEZNS1_21merge_sort_block_sortIS3_PlS8_PS5_S9_ZN2at6native12_GLOBAL__N_124unique_dim_cuda_templateIfEESt5tupleIJNSA_6TensorESF_SF_EERKSF_lbbbEUlllE_EE10hipError_tT0_T1_T2_T3_mRjT4_P12ihipStream_tbNS1_7vsmem_tEEUlT_E_NS1_11comp_targetILNS1_3genE3ELNS1_11target_archE908ELNS1_3gpuE7ELNS1_3repE0EEENS1_30default_config_static_selectorELNS0_4arch9wavefront6targetE1EEEvSM_,"axG",@progbits,_ZN7rocprim17ROCPRIM_400000_NS6detail17trampoline_kernelINS0_14default_configENS1_37merge_sort_block_sort_config_selectorIlNS0_10empty_typeEEEZNS1_21merge_sort_block_sortIS3_PlS8_PS5_S9_ZN2at6native12_GLOBAL__N_124unique_dim_cuda_templateIfEESt5tupleIJNSA_6TensorESF_SF_EERKSF_lbbbEUlllE_EE10hipError_tT0_T1_T2_T3_mRjT4_P12ihipStream_tbNS1_7vsmem_tEEUlT_E_NS1_11comp_targetILNS1_3genE3ELNS1_11target_archE908ELNS1_3gpuE7ELNS1_3repE0EEENS1_30default_config_static_selectorELNS0_4arch9wavefront6targetE1EEEvSM_,comdat
.Lfunc_end874:
	.size	_ZN7rocprim17ROCPRIM_400000_NS6detail17trampoline_kernelINS0_14default_configENS1_37merge_sort_block_sort_config_selectorIlNS0_10empty_typeEEEZNS1_21merge_sort_block_sortIS3_PlS8_PS5_S9_ZN2at6native12_GLOBAL__N_124unique_dim_cuda_templateIfEESt5tupleIJNSA_6TensorESF_SF_EERKSF_lbbbEUlllE_EE10hipError_tT0_T1_T2_T3_mRjT4_P12ihipStream_tbNS1_7vsmem_tEEUlT_E_NS1_11comp_targetILNS1_3genE3ELNS1_11target_archE908ELNS1_3gpuE7ELNS1_3repE0EEENS1_30default_config_static_selectorELNS0_4arch9wavefront6targetE1EEEvSM_, .Lfunc_end874-_ZN7rocprim17ROCPRIM_400000_NS6detail17trampoline_kernelINS0_14default_configENS1_37merge_sort_block_sort_config_selectorIlNS0_10empty_typeEEEZNS1_21merge_sort_block_sortIS3_PlS8_PS5_S9_ZN2at6native12_GLOBAL__N_124unique_dim_cuda_templateIfEESt5tupleIJNSA_6TensorESF_SF_EERKSF_lbbbEUlllE_EE10hipError_tT0_T1_T2_T3_mRjT4_P12ihipStream_tbNS1_7vsmem_tEEUlT_E_NS1_11comp_targetILNS1_3genE3ELNS1_11target_archE908ELNS1_3gpuE7ELNS1_3repE0EEENS1_30default_config_static_selectorELNS0_4arch9wavefront6targetE1EEEvSM_
                                        ; -- End function
	.set _ZN7rocprim17ROCPRIM_400000_NS6detail17trampoline_kernelINS0_14default_configENS1_37merge_sort_block_sort_config_selectorIlNS0_10empty_typeEEEZNS1_21merge_sort_block_sortIS3_PlS8_PS5_S9_ZN2at6native12_GLOBAL__N_124unique_dim_cuda_templateIfEESt5tupleIJNSA_6TensorESF_SF_EERKSF_lbbbEUlllE_EE10hipError_tT0_T1_T2_T3_mRjT4_P12ihipStream_tbNS1_7vsmem_tEEUlT_E_NS1_11comp_targetILNS1_3genE3ELNS1_11target_archE908ELNS1_3gpuE7ELNS1_3repE0EEENS1_30default_config_static_selectorELNS0_4arch9wavefront6targetE1EEEvSM_.num_vgpr, 0
	.set _ZN7rocprim17ROCPRIM_400000_NS6detail17trampoline_kernelINS0_14default_configENS1_37merge_sort_block_sort_config_selectorIlNS0_10empty_typeEEEZNS1_21merge_sort_block_sortIS3_PlS8_PS5_S9_ZN2at6native12_GLOBAL__N_124unique_dim_cuda_templateIfEESt5tupleIJNSA_6TensorESF_SF_EERKSF_lbbbEUlllE_EE10hipError_tT0_T1_T2_T3_mRjT4_P12ihipStream_tbNS1_7vsmem_tEEUlT_E_NS1_11comp_targetILNS1_3genE3ELNS1_11target_archE908ELNS1_3gpuE7ELNS1_3repE0EEENS1_30default_config_static_selectorELNS0_4arch9wavefront6targetE1EEEvSM_.num_agpr, 0
	.set _ZN7rocprim17ROCPRIM_400000_NS6detail17trampoline_kernelINS0_14default_configENS1_37merge_sort_block_sort_config_selectorIlNS0_10empty_typeEEEZNS1_21merge_sort_block_sortIS3_PlS8_PS5_S9_ZN2at6native12_GLOBAL__N_124unique_dim_cuda_templateIfEESt5tupleIJNSA_6TensorESF_SF_EERKSF_lbbbEUlllE_EE10hipError_tT0_T1_T2_T3_mRjT4_P12ihipStream_tbNS1_7vsmem_tEEUlT_E_NS1_11comp_targetILNS1_3genE3ELNS1_11target_archE908ELNS1_3gpuE7ELNS1_3repE0EEENS1_30default_config_static_selectorELNS0_4arch9wavefront6targetE1EEEvSM_.numbered_sgpr, 0
	.set _ZN7rocprim17ROCPRIM_400000_NS6detail17trampoline_kernelINS0_14default_configENS1_37merge_sort_block_sort_config_selectorIlNS0_10empty_typeEEEZNS1_21merge_sort_block_sortIS3_PlS8_PS5_S9_ZN2at6native12_GLOBAL__N_124unique_dim_cuda_templateIfEESt5tupleIJNSA_6TensorESF_SF_EERKSF_lbbbEUlllE_EE10hipError_tT0_T1_T2_T3_mRjT4_P12ihipStream_tbNS1_7vsmem_tEEUlT_E_NS1_11comp_targetILNS1_3genE3ELNS1_11target_archE908ELNS1_3gpuE7ELNS1_3repE0EEENS1_30default_config_static_selectorELNS0_4arch9wavefront6targetE1EEEvSM_.num_named_barrier, 0
	.set _ZN7rocprim17ROCPRIM_400000_NS6detail17trampoline_kernelINS0_14default_configENS1_37merge_sort_block_sort_config_selectorIlNS0_10empty_typeEEEZNS1_21merge_sort_block_sortIS3_PlS8_PS5_S9_ZN2at6native12_GLOBAL__N_124unique_dim_cuda_templateIfEESt5tupleIJNSA_6TensorESF_SF_EERKSF_lbbbEUlllE_EE10hipError_tT0_T1_T2_T3_mRjT4_P12ihipStream_tbNS1_7vsmem_tEEUlT_E_NS1_11comp_targetILNS1_3genE3ELNS1_11target_archE908ELNS1_3gpuE7ELNS1_3repE0EEENS1_30default_config_static_selectorELNS0_4arch9wavefront6targetE1EEEvSM_.private_seg_size, 0
	.set _ZN7rocprim17ROCPRIM_400000_NS6detail17trampoline_kernelINS0_14default_configENS1_37merge_sort_block_sort_config_selectorIlNS0_10empty_typeEEEZNS1_21merge_sort_block_sortIS3_PlS8_PS5_S9_ZN2at6native12_GLOBAL__N_124unique_dim_cuda_templateIfEESt5tupleIJNSA_6TensorESF_SF_EERKSF_lbbbEUlllE_EE10hipError_tT0_T1_T2_T3_mRjT4_P12ihipStream_tbNS1_7vsmem_tEEUlT_E_NS1_11comp_targetILNS1_3genE3ELNS1_11target_archE908ELNS1_3gpuE7ELNS1_3repE0EEENS1_30default_config_static_selectorELNS0_4arch9wavefront6targetE1EEEvSM_.uses_vcc, 0
	.set _ZN7rocprim17ROCPRIM_400000_NS6detail17trampoline_kernelINS0_14default_configENS1_37merge_sort_block_sort_config_selectorIlNS0_10empty_typeEEEZNS1_21merge_sort_block_sortIS3_PlS8_PS5_S9_ZN2at6native12_GLOBAL__N_124unique_dim_cuda_templateIfEESt5tupleIJNSA_6TensorESF_SF_EERKSF_lbbbEUlllE_EE10hipError_tT0_T1_T2_T3_mRjT4_P12ihipStream_tbNS1_7vsmem_tEEUlT_E_NS1_11comp_targetILNS1_3genE3ELNS1_11target_archE908ELNS1_3gpuE7ELNS1_3repE0EEENS1_30default_config_static_selectorELNS0_4arch9wavefront6targetE1EEEvSM_.uses_flat_scratch, 0
	.set _ZN7rocprim17ROCPRIM_400000_NS6detail17trampoline_kernelINS0_14default_configENS1_37merge_sort_block_sort_config_selectorIlNS0_10empty_typeEEEZNS1_21merge_sort_block_sortIS3_PlS8_PS5_S9_ZN2at6native12_GLOBAL__N_124unique_dim_cuda_templateIfEESt5tupleIJNSA_6TensorESF_SF_EERKSF_lbbbEUlllE_EE10hipError_tT0_T1_T2_T3_mRjT4_P12ihipStream_tbNS1_7vsmem_tEEUlT_E_NS1_11comp_targetILNS1_3genE3ELNS1_11target_archE908ELNS1_3gpuE7ELNS1_3repE0EEENS1_30default_config_static_selectorELNS0_4arch9wavefront6targetE1EEEvSM_.has_dyn_sized_stack, 0
	.set _ZN7rocprim17ROCPRIM_400000_NS6detail17trampoline_kernelINS0_14default_configENS1_37merge_sort_block_sort_config_selectorIlNS0_10empty_typeEEEZNS1_21merge_sort_block_sortIS3_PlS8_PS5_S9_ZN2at6native12_GLOBAL__N_124unique_dim_cuda_templateIfEESt5tupleIJNSA_6TensorESF_SF_EERKSF_lbbbEUlllE_EE10hipError_tT0_T1_T2_T3_mRjT4_P12ihipStream_tbNS1_7vsmem_tEEUlT_E_NS1_11comp_targetILNS1_3genE3ELNS1_11target_archE908ELNS1_3gpuE7ELNS1_3repE0EEENS1_30default_config_static_selectorELNS0_4arch9wavefront6targetE1EEEvSM_.has_recursion, 0
	.set _ZN7rocprim17ROCPRIM_400000_NS6detail17trampoline_kernelINS0_14default_configENS1_37merge_sort_block_sort_config_selectorIlNS0_10empty_typeEEEZNS1_21merge_sort_block_sortIS3_PlS8_PS5_S9_ZN2at6native12_GLOBAL__N_124unique_dim_cuda_templateIfEESt5tupleIJNSA_6TensorESF_SF_EERKSF_lbbbEUlllE_EE10hipError_tT0_T1_T2_T3_mRjT4_P12ihipStream_tbNS1_7vsmem_tEEUlT_E_NS1_11comp_targetILNS1_3genE3ELNS1_11target_archE908ELNS1_3gpuE7ELNS1_3repE0EEENS1_30default_config_static_selectorELNS0_4arch9wavefront6targetE1EEEvSM_.has_indirect_call, 0
	.section	.AMDGPU.csdata,"",@progbits
; Kernel info:
; codeLenInByte = 0
; TotalNumSgprs: 6
; NumVgprs: 0
; NumAgprs: 0
; TotalNumVgprs: 0
; ScratchSize: 0
; MemoryBound: 0
; FloatMode: 240
; IeeeMode: 1
; LDSByteSize: 0 bytes/workgroup (compile time only)
; SGPRBlocks: 0
; VGPRBlocks: 0
; NumSGPRsForWavesPerEU: 6
; NumVGPRsForWavesPerEU: 1
; AccumOffset: 4
; Occupancy: 8
; WaveLimiterHint : 0
; COMPUTE_PGM_RSRC2:SCRATCH_EN: 0
; COMPUTE_PGM_RSRC2:USER_SGPR: 2
; COMPUTE_PGM_RSRC2:TRAP_HANDLER: 0
; COMPUTE_PGM_RSRC2:TGID_X_EN: 1
; COMPUTE_PGM_RSRC2:TGID_Y_EN: 0
; COMPUTE_PGM_RSRC2:TGID_Z_EN: 0
; COMPUTE_PGM_RSRC2:TIDIG_COMP_CNT: 0
; COMPUTE_PGM_RSRC3_GFX90A:ACCUM_OFFSET: 0
; COMPUTE_PGM_RSRC3_GFX90A:TG_SPLIT: 0
	.section	.text._ZN7rocprim17ROCPRIM_400000_NS6detail17trampoline_kernelINS0_14default_configENS1_37merge_sort_block_sort_config_selectorIlNS0_10empty_typeEEEZNS1_21merge_sort_block_sortIS3_PlS8_PS5_S9_ZN2at6native12_GLOBAL__N_124unique_dim_cuda_templateIfEESt5tupleIJNSA_6TensorESF_SF_EERKSF_lbbbEUlllE_EE10hipError_tT0_T1_T2_T3_mRjT4_P12ihipStream_tbNS1_7vsmem_tEEUlT_E_NS1_11comp_targetILNS1_3genE2ELNS1_11target_archE906ELNS1_3gpuE6ELNS1_3repE0EEENS1_30default_config_static_selectorELNS0_4arch9wavefront6targetE1EEEvSM_,"axG",@progbits,_ZN7rocprim17ROCPRIM_400000_NS6detail17trampoline_kernelINS0_14default_configENS1_37merge_sort_block_sort_config_selectorIlNS0_10empty_typeEEEZNS1_21merge_sort_block_sortIS3_PlS8_PS5_S9_ZN2at6native12_GLOBAL__N_124unique_dim_cuda_templateIfEESt5tupleIJNSA_6TensorESF_SF_EERKSF_lbbbEUlllE_EE10hipError_tT0_T1_T2_T3_mRjT4_P12ihipStream_tbNS1_7vsmem_tEEUlT_E_NS1_11comp_targetILNS1_3genE2ELNS1_11target_archE906ELNS1_3gpuE6ELNS1_3repE0EEENS1_30default_config_static_selectorELNS0_4arch9wavefront6targetE1EEEvSM_,comdat
	.globl	_ZN7rocprim17ROCPRIM_400000_NS6detail17trampoline_kernelINS0_14default_configENS1_37merge_sort_block_sort_config_selectorIlNS0_10empty_typeEEEZNS1_21merge_sort_block_sortIS3_PlS8_PS5_S9_ZN2at6native12_GLOBAL__N_124unique_dim_cuda_templateIfEESt5tupleIJNSA_6TensorESF_SF_EERKSF_lbbbEUlllE_EE10hipError_tT0_T1_T2_T3_mRjT4_P12ihipStream_tbNS1_7vsmem_tEEUlT_E_NS1_11comp_targetILNS1_3genE2ELNS1_11target_archE906ELNS1_3gpuE6ELNS1_3repE0EEENS1_30default_config_static_selectorELNS0_4arch9wavefront6targetE1EEEvSM_ ; -- Begin function _ZN7rocprim17ROCPRIM_400000_NS6detail17trampoline_kernelINS0_14default_configENS1_37merge_sort_block_sort_config_selectorIlNS0_10empty_typeEEEZNS1_21merge_sort_block_sortIS3_PlS8_PS5_S9_ZN2at6native12_GLOBAL__N_124unique_dim_cuda_templateIfEESt5tupleIJNSA_6TensorESF_SF_EERKSF_lbbbEUlllE_EE10hipError_tT0_T1_T2_T3_mRjT4_P12ihipStream_tbNS1_7vsmem_tEEUlT_E_NS1_11comp_targetILNS1_3genE2ELNS1_11target_archE906ELNS1_3gpuE6ELNS1_3repE0EEENS1_30default_config_static_selectorELNS0_4arch9wavefront6targetE1EEEvSM_
	.p2align	8
	.type	_ZN7rocprim17ROCPRIM_400000_NS6detail17trampoline_kernelINS0_14default_configENS1_37merge_sort_block_sort_config_selectorIlNS0_10empty_typeEEEZNS1_21merge_sort_block_sortIS3_PlS8_PS5_S9_ZN2at6native12_GLOBAL__N_124unique_dim_cuda_templateIfEESt5tupleIJNSA_6TensorESF_SF_EERKSF_lbbbEUlllE_EE10hipError_tT0_T1_T2_T3_mRjT4_P12ihipStream_tbNS1_7vsmem_tEEUlT_E_NS1_11comp_targetILNS1_3genE2ELNS1_11target_archE906ELNS1_3gpuE6ELNS1_3repE0EEENS1_30default_config_static_selectorELNS0_4arch9wavefront6targetE1EEEvSM_,@function
_ZN7rocprim17ROCPRIM_400000_NS6detail17trampoline_kernelINS0_14default_configENS1_37merge_sort_block_sort_config_selectorIlNS0_10empty_typeEEEZNS1_21merge_sort_block_sortIS3_PlS8_PS5_S9_ZN2at6native12_GLOBAL__N_124unique_dim_cuda_templateIfEESt5tupleIJNSA_6TensorESF_SF_EERKSF_lbbbEUlllE_EE10hipError_tT0_T1_T2_T3_mRjT4_P12ihipStream_tbNS1_7vsmem_tEEUlT_E_NS1_11comp_targetILNS1_3genE2ELNS1_11target_archE906ELNS1_3gpuE6ELNS1_3repE0EEENS1_30default_config_static_selectorELNS0_4arch9wavefront6targetE1EEEvSM_: ; @_ZN7rocprim17ROCPRIM_400000_NS6detail17trampoline_kernelINS0_14default_configENS1_37merge_sort_block_sort_config_selectorIlNS0_10empty_typeEEEZNS1_21merge_sort_block_sortIS3_PlS8_PS5_S9_ZN2at6native12_GLOBAL__N_124unique_dim_cuda_templateIfEESt5tupleIJNSA_6TensorESF_SF_EERKSF_lbbbEUlllE_EE10hipError_tT0_T1_T2_T3_mRjT4_P12ihipStream_tbNS1_7vsmem_tEEUlT_E_NS1_11comp_targetILNS1_3genE2ELNS1_11target_archE906ELNS1_3gpuE6ELNS1_3repE0EEENS1_30default_config_static_selectorELNS0_4arch9wavefront6targetE1EEEvSM_
; %bb.0:
	.section	.rodata,"a",@progbits
	.p2align	6, 0x0
	.amdhsa_kernel _ZN7rocprim17ROCPRIM_400000_NS6detail17trampoline_kernelINS0_14default_configENS1_37merge_sort_block_sort_config_selectorIlNS0_10empty_typeEEEZNS1_21merge_sort_block_sortIS3_PlS8_PS5_S9_ZN2at6native12_GLOBAL__N_124unique_dim_cuda_templateIfEESt5tupleIJNSA_6TensorESF_SF_EERKSF_lbbbEUlllE_EE10hipError_tT0_T1_T2_T3_mRjT4_P12ihipStream_tbNS1_7vsmem_tEEUlT_E_NS1_11comp_targetILNS1_3genE2ELNS1_11target_archE906ELNS1_3gpuE6ELNS1_3repE0EEENS1_30default_config_static_selectorELNS0_4arch9wavefront6targetE1EEEvSM_
		.amdhsa_group_segment_fixed_size 0
		.amdhsa_private_segment_fixed_size 0
		.amdhsa_kernarg_size 72
		.amdhsa_user_sgpr_count 2
		.amdhsa_user_sgpr_dispatch_ptr 0
		.amdhsa_user_sgpr_queue_ptr 0
		.amdhsa_user_sgpr_kernarg_segment_ptr 1
		.amdhsa_user_sgpr_dispatch_id 0
		.amdhsa_user_sgpr_kernarg_preload_length 0
		.amdhsa_user_sgpr_kernarg_preload_offset 0
		.amdhsa_user_sgpr_private_segment_size 0
		.amdhsa_uses_dynamic_stack 0
		.amdhsa_enable_private_segment 0
		.amdhsa_system_sgpr_workgroup_id_x 1
		.amdhsa_system_sgpr_workgroup_id_y 0
		.amdhsa_system_sgpr_workgroup_id_z 0
		.amdhsa_system_sgpr_workgroup_info 0
		.amdhsa_system_vgpr_workitem_id 0
		.amdhsa_next_free_vgpr 1
		.amdhsa_next_free_sgpr 0
		.amdhsa_accum_offset 4
		.amdhsa_reserve_vcc 0
		.amdhsa_float_round_mode_32 0
		.amdhsa_float_round_mode_16_64 0
		.amdhsa_float_denorm_mode_32 3
		.amdhsa_float_denorm_mode_16_64 3
		.amdhsa_dx10_clamp 1
		.amdhsa_ieee_mode 1
		.amdhsa_fp16_overflow 0
		.amdhsa_tg_split 0
		.amdhsa_exception_fp_ieee_invalid_op 0
		.amdhsa_exception_fp_denorm_src 0
		.amdhsa_exception_fp_ieee_div_zero 0
		.amdhsa_exception_fp_ieee_overflow 0
		.amdhsa_exception_fp_ieee_underflow 0
		.amdhsa_exception_fp_ieee_inexact 0
		.amdhsa_exception_int_div_zero 0
	.end_amdhsa_kernel
	.section	.text._ZN7rocprim17ROCPRIM_400000_NS6detail17trampoline_kernelINS0_14default_configENS1_37merge_sort_block_sort_config_selectorIlNS0_10empty_typeEEEZNS1_21merge_sort_block_sortIS3_PlS8_PS5_S9_ZN2at6native12_GLOBAL__N_124unique_dim_cuda_templateIfEESt5tupleIJNSA_6TensorESF_SF_EERKSF_lbbbEUlllE_EE10hipError_tT0_T1_T2_T3_mRjT4_P12ihipStream_tbNS1_7vsmem_tEEUlT_E_NS1_11comp_targetILNS1_3genE2ELNS1_11target_archE906ELNS1_3gpuE6ELNS1_3repE0EEENS1_30default_config_static_selectorELNS0_4arch9wavefront6targetE1EEEvSM_,"axG",@progbits,_ZN7rocprim17ROCPRIM_400000_NS6detail17trampoline_kernelINS0_14default_configENS1_37merge_sort_block_sort_config_selectorIlNS0_10empty_typeEEEZNS1_21merge_sort_block_sortIS3_PlS8_PS5_S9_ZN2at6native12_GLOBAL__N_124unique_dim_cuda_templateIfEESt5tupleIJNSA_6TensorESF_SF_EERKSF_lbbbEUlllE_EE10hipError_tT0_T1_T2_T3_mRjT4_P12ihipStream_tbNS1_7vsmem_tEEUlT_E_NS1_11comp_targetILNS1_3genE2ELNS1_11target_archE906ELNS1_3gpuE6ELNS1_3repE0EEENS1_30default_config_static_selectorELNS0_4arch9wavefront6targetE1EEEvSM_,comdat
.Lfunc_end875:
	.size	_ZN7rocprim17ROCPRIM_400000_NS6detail17trampoline_kernelINS0_14default_configENS1_37merge_sort_block_sort_config_selectorIlNS0_10empty_typeEEEZNS1_21merge_sort_block_sortIS3_PlS8_PS5_S9_ZN2at6native12_GLOBAL__N_124unique_dim_cuda_templateIfEESt5tupleIJNSA_6TensorESF_SF_EERKSF_lbbbEUlllE_EE10hipError_tT0_T1_T2_T3_mRjT4_P12ihipStream_tbNS1_7vsmem_tEEUlT_E_NS1_11comp_targetILNS1_3genE2ELNS1_11target_archE906ELNS1_3gpuE6ELNS1_3repE0EEENS1_30default_config_static_selectorELNS0_4arch9wavefront6targetE1EEEvSM_, .Lfunc_end875-_ZN7rocprim17ROCPRIM_400000_NS6detail17trampoline_kernelINS0_14default_configENS1_37merge_sort_block_sort_config_selectorIlNS0_10empty_typeEEEZNS1_21merge_sort_block_sortIS3_PlS8_PS5_S9_ZN2at6native12_GLOBAL__N_124unique_dim_cuda_templateIfEESt5tupleIJNSA_6TensorESF_SF_EERKSF_lbbbEUlllE_EE10hipError_tT0_T1_T2_T3_mRjT4_P12ihipStream_tbNS1_7vsmem_tEEUlT_E_NS1_11comp_targetILNS1_3genE2ELNS1_11target_archE906ELNS1_3gpuE6ELNS1_3repE0EEENS1_30default_config_static_selectorELNS0_4arch9wavefront6targetE1EEEvSM_
                                        ; -- End function
	.set _ZN7rocprim17ROCPRIM_400000_NS6detail17trampoline_kernelINS0_14default_configENS1_37merge_sort_block_sort_config_selectorIlNS0_10empty_typeEEEZNS1_21merge_sort_block_sortIS3_PlS8_PS5_S9_ZN2at6native12_GLOBAL__N_124unique_dim_cuda_templateIfEESt5tupleIJNSA_6TensorESF_SF_EERKSF_lbbbEUlllE_EE10hipError_tT0_T1_T2_T3_mRjT4_P12ihipStream_tbNS1_7vsmem_tEEUlT_E_NS1_11comp_targetILNS1_3genE2ELNS1_11target_archE906ELNS1_3gpuE6ELNS1_3repE0EEENS1_30default_config_static_selectorELNS0_4arch9wavefront6targetE1EEEvSM_.num_vgpr, 0
	.set _ZN7rocprim17ROCPRIM_400000_NS6detail17trampoline_kernelINS0_14default_configENS1_37merge_sort_block_sort_config_selectorIlNS0_10empty_typeEEEZNS1_21merge_sort_block_sortIS3_PlS8_PS5_S9_ZN2at6native12_GLOBAL__N_124unique_dim_cuda_templateIfEESt5tupleIJNSA_6TensorESF_SF_EERKSF_lbbbEUlllE_EE10hipError_tT0_T1_T2_T3_mRjT4_P12ihipStream_tbNS1_7vsmem_tEEUlT_E_NS1_11comp_targetILNS1_3genE2ELNS1_11target_archE906ELNS1_3gpuE6ELNS1_3repE0EEENS1_30default_config_static_selectorELNS0_4arch9wavefront6targetE1EEEvSM_.num_agpr, 0
	.set _ZN7rocprim17ROCPRIM_400000_NS6detail17trampoline_kernelINS0_14default_configENS1_37merge_sort_block_sort_config_selectorIlNS0_10empty_typeEEEZNS1_21merge_sort_block_sortIS3_PlS8_PS5_S9_ZN2at6native12_GLOBAL__N_124unique_dim_cuda_templateIfEESt5tupleIJNSA_6TensorESF_SF_EERKSF_lbbbEUlllE_EE10hipError_tT0_T1_T2_T3_mRjT4_P12ihipStream_tbNS1_7vsmem_tEEUlT_E_NS1_11comp_targetILNS1_3genE2ELNS1_11target_archE906ELNS1_3gpuE6ELNS1_3repE0EEENS1_30default_config_static_selectorELNS0_4arch9wavefront6targetE1EEEvSM_.numbered_sgpr, 0
	.set _ZN7rocprim17ROCPRIM_400000_NS6detail17trampoline_kernelINS0_14default_configENS1_37merge_sort_block_sort_config_selectorIlNS0_10empty_typeEEEZNS1_21merge_sort_block_sortIS3_PlS8_PS5_S9_ZN2at6native12_GLOBAL__N_124unique_dim_cuda_templateIfEESt5tupleIJNSA_6TensorESF_SF_EERKSF_lbbbEUlllE_EE10hipError_tT0_T1_T2_T3_mRjT4_P12ihipStream_tbNS1_7vsmem_tEEUlT_E_NS1_11comp_targetILNS1_3genE2ELNS1_11target_archE906ELNS1_3gpuE6ELNS1_3repE0EEENS1_30default_config_static_selectorELNS0_4arch9wavefront6targetE1EEEvSM_.num_named_barrier, 0
	.set _ZN7rocprim17ROCPRIM_400000_NS6detail17trampoline_kernelINS0_14default_configENS1_37merge_sort_block_sort_config_selectorIlNS0_10empty_typeEEEZNS1_21merge_sort_block_sortIS3_PlS8_PS5_S9_ZN2at6native12_GLOBAL__N_124unique_dim_cuda_templateIfEESt5tupleIJNSA_6TensorESF_SF_EERKSF_lbbbEUlllE_EE10hipError_tT0_T1_T2_T3_mRjT4_P12ihipStream_tbNS1_7vsmem_tEEUlT_E_NS1_11comp_targetILNS1_3genE2ELNS1_11target_archE906ELNS1_3gpuE6ELNS1_3repE0EEENS1_30default_config_static_selectorELNS0_4arch9wavefront6targetE1EEEvSM_.private_seg_size, 0
	.set _ZN7rocprim17ROCPRIM_400000_NS6detail17trampoline_kernelINS0_14default_configENS1_37merge_sort_block_sort_config_selectorIlNS0_10empty_typeEEEZNS1_21merge_sort_block_sortIS3_PlS8_PS5_S9_ZN2at6native12_GLOBAL__N_124unique_dim_cuda_templateIfEESt5tupleIJNSA_6TensorESF_SF_EERKSF_lbbbEUlllE_EE10hipError_tT0_T1_T2_T3_mRjT4_P12ihipStream_tbNS1_7vsmem_tEEUlT_E_NS1_11comp_targetILNS1_3genE2ELNS1_11target_archE906ELNS1_3gpuE6ELNS1_3repE0EEENS1_30default_config_static_selectorELNS0_4arch9wavefront6targetE1EEEvSM_.uses_vcc, 0
	.set _ZN7rocprim17ROCPRIM_400000_NS6detail17trampoline_kernelINS0_14default_configENS1_37merge_sort_block_sort_config_selectorIlNS0_10empty_typeEEEZNS1_21merge_sort_block_sortIS3_PlS8_PS5_S9_ZN2at6native12_GLOBAL__N_124unique_dim_cuda_templateIfEESt5tupleIJNSA_6TensorESF_SF_EERKSF_lbbbEUlllE_EE10hipError_tT0_T1_T2_T3_mRjT4_P12ihipStream_tbNS1_7vsmem_tEEUlT_E_NS1_11comp_targetILNS1_3genE2ELNS1_11target_archE906ELNS1_3gpuE6ELNS1_3repE0EEENS1_30default_config_static_selectorELNS0_4arch9wavefront6targetE1EEEvSM_.uses_flat_scratch, 0
	.set _ZN7rocprim17ROCPRIM_400000_NS6detail17trampoline_kernelINS0_14default_configENS1_37merge_sort_block_sort_config_selectorIlNS0_10empty_typeEEEZNS1_21merge_sort_block_sortIS3_PlS8_PS5_S9_ZN2at6native12_GLOBAL__N_124unique_dim_cuda_templateIfEESt5tupleIJNSA_6TensorESF_SF_EERKSF_lbbbEUlllE_EE10hipError_tT0_T1_T2_T3_mRjT4_P12ihipStream_tbNS1_7vsmem_tEEUlT_E_NS1_11comp_targetILNS1_3genE2ELNS1_11target_archE906ELNS1_3gpuE6ELNS1_3repE0EEENS1_30default_config_static_selectorELNS0_4arch9wavefront6targetE1EEEvSM_.has_dyn_sized_stack, 0
	.set _ZN7rocprim17ROCPRIM_400000_NS6detail17trampoline_kernelINS0_14default_configENS1_37merge_sort_block_sort_config_selectorIlNS0_10empty_typeEEEZNS1_21merge_sort_block_sortIS3_PlS8_PS5_S9_ZN2at6native12_GLOBAL__N_124unique_dim_cuda_templateIfEESt5tupleIJNSA_6TensorESF_SF_EERKSF_lbbbEUlllE_EE10hipError_tT0_T1_T2_T3_mRjT4_P12ihipStream_tbNS1_7vsmem_tEEUlT_E_NS1_11comp_targetILNS1_3genE2ELNS1_11target_archE906ELNS1_3gpuE6ELNS1_3repE0EEENS1_30default_config_static_selectorELNS0_4arch9wavefront6targetE1EEEvSM_.has_recursion, 0
	.set _ZN7rocprim17ROCPRIM_400000_NS6detail17trampoline_kernelINS0_14default_configENS1_37merge_sort_block_sort_config_selectorIlNS0_10empty_typeEEEZNS1_21merge_sort_block_sortIS3_PlS8_PS5_S9_ZN2at6native12_GLOBAL__N_124unique_dim_cuda_templateIfEESt5tupleIJNSA_6TensorESF_SF_EERKSF_lbbbEUlllE_EE10hipError_tT0_T1_T2_T3_mRjT4_P12ihipStream_tbNS1_7vsmem_tEEUlT_E_NS1_11comp_targetILNS1_3genE2ELNS1_11target_archE906ELNS1_3gpuE6ELNS1_3repE0EEENS1_30default_config_static_selectorELNS0_4arch9wavefront6targetE1EEEvSM_.has_indirect_call, 0
	.section	.AMDGPU.csdata,"",@progbits
; Kernel info:
; codeLenInByte = 0
; TotalNumSgprs: 6
; NumVgprs: 0
; NumAgprs: 0
; TotalNumVgprs: 0
; ScratchSize: 0
; MemoryBound: 0
; FloatMode: 240
; IeeeMode: 1
; LDSByteSize: 0 bytes/workgroup (compile time only)
; SGPRBlocks: 0
; VGPRBlocks: 0
; NumSGPRsForWavesPerEU: 6
; NumVGPRsForWavesPerEU: 1
; AccumOffset: 4
; Occupancy: 8
; WaveLimiterHint : 0
; COMPUTE_PGM_RSRC2:SCRATCH_EN: 0
; COMPUTE_PGM_RSRC2:USER_SGPR: 2
; COMPUTE_PGM_RSRC2:TRAP_HANDLER: 0
; COMPUTE_PGM_RSRC2:TGID_X_EN: 1
; COMPUTE_PGM_RSRC2:TGID_Y_EN: 0
; COMPUTE_PGM_RSRC2:TGID_Z_EN: 0
; COMPUTE_PGM_RSRC2:TIDIG_COMP_CNT: 0
; COMPUTE_PGM_RSRC3_GFX90A:ACCUM_OFFSET: 0
; COMPUTE_PGM_RSRC3_GFX90A:TG_SPLIT: 0
	.section	.text._ZN7rocprim17ROCPRIM_400000_NS6detail17trampoline_kernelINS0_14default_configENS1_37merge_sort_block_sort_config_selectorIlNS0_10empty_typeEEEZNS1_21merge_sort_block_sortIS3_PlS8_PS5_S9_ZN2at6native12_GLOBAL__N_124unique_dim_cuda_templateIfEESt5tupleIJNSA_6TensorESF_SF_EERKSF_lbbbEUlllE_EE10hipError_tT0_T1_T2_T3_mRjT4_P12ihipStream_tbNS1_7vsmem_tEEUlT_E_NS1_11comp_targetILNS1_3genE10ELNS1_11target_archE1201ELNS1_3gpuE5ELNS1_3repE0EEENS1_30default_config_static_selectorELNS0_4arch9wavefront6targetE1EEEvSM_,"axG",@progbits,_ZN7rocprim17ROCPRIM_400000_NS6detail17trampoline_kernelINS0_14default_configENS1_37merge_sort_block_sort_config_selectorIlNS0_10empty_typeEEEZNS1_21merge_sort_block_sortIS3_PlS8_PS5_S9_ZN2at6native12_GLOBAL__N_124unique_dim_cuda_templateIfEESt5tupleIJNSA_6TensorESF_SF_EERKSF_lbbbEUlllE_EE10hipError_tT0_T1_T2_T3_mRjT4_P12ihipStream_tbNS1_7vsmem_tEEUlT_E_NS1_11comp_targetILNS1_3genE10ELNS1_11target_archE1201ELNS1_3gpuE5ELNS1_3repE0EEENS1_30default_config_static_selectorELNS0_4arch9wavefront6targetE1EEEvSM_,comdat
	.globl	_ZN7rocprim17ROCPRIM_400000_NS6detail17trampoline_kernelINS0_14default_configENS1_37merge_sort_block_sort_config_selectorIlNS0_10empty_typeEEEZNS1_21merge_sort_block_sortIS3_PlS8_PS5_S9_ZN2at6native12_GLOBAL__N_124unique_dim_cuda_templateIfEESt5tupleIJNSA_6TensorESF_SF_EERKSF_lbbbEUlllE_EE10hipError_tT0_T1_T2_T3_mRjT4_P12ihipStream_tbNS1_7vsmem_tEEUlT_E_NS1_11comp_targetILNS1_3genE10ELNS1_11target_archE1201ELNS1_3gpuE5ELNS1_3repE0EEENS1_30default_config_static_selectorELNS0_4arch9wavefront6targetE1EEEvSM_ ; -- Begin function _ZN7rocprim17ROCPRIM_400000_NS6detail17trampoline_kernelINS0_14default_configENS1_37merge_sort_block_sort_config_selectorIlNS0_10empty_typeEEEZNS1_21merge_sort_block_sortIS3_PlS8_PS5_S9_ZN2at6native12_GLOBAL__N_124unique_dim_cuda_templateIfEESt5tupleIJNSA_6TensorESF_SF_EERKSF_lbbbEUlllE_EE10hipError_tT0_T1_T2_T3_mRjT4_P12ihipStream_tbNS1_7vsmem_tEEUlT_E_NS1_11comp_targetILNS1_3genE10ELNS1_11target_archE1201ELNS1_3gpuE5ELNS1_3repE0EEENS1_30default_config_static_selectorELNS0_4arch9wavefront6targetE1EEEvSM_
	.p2align	8
	.type	_ZN7rocprim17ROCPRIM_400000_NS6detail17trampoline_kernelINS0_14default_configENS1_37merge_sort_block_sort_config_selectorIlNS0_10empty_typeEEEZNS1_21merge_sort_block_sortIS3_PlS8_PS5_S9_ZN2at6native12_GLOBAL__N_124unique_dim_cuda_templateIfEESt5tupleIJNSA_6TensorESF_SF_EERKSF_lbbbEUlllE_EE10hipError_tT0_T1_T2_T3_mRjT4_P12ihipStream_tbNS1_7vsmem_tEEUlT_E_NS1_11comp_targetILNS1_3genE10ELNS1_11target_archE1201ELNS1_3gpuE5ELNS1_3repE0EEENS1_30default_config_static_selectorELNS0_4arch9wavefront6targetE1EEEvSM_,@function
_ZN7rocprim17ROCPRIM_400000_NS6detail17trampoline_kernelINS0_14default_configENS1_37merge_sort_block_sort_config_selectorIlNS0_10empty_typeEEEZNS1_21merge_sort_block_sortIS3_PlS8_PS5_S9_ZN2at6native12_GLOBAL__N_124unique_dim_cuda_templateIfEESt5tupleIJNSA_6TensorESF_SF_EERKSF_lbbbEUlllE_EE10hipError_tT0_T1_T2_T3_mRjT4_P12ihipStream_tbNS1_7vsmem_tEEUlT_E_NS1_11comp_targetILNS1_3genE10ELNS1_11target_archE1201ELNS1_3gpuE5ELNS1_3repE0EEENS1_30default_config_static_selectorELNS0_4arch9wavefront6targetE1EEEvSM_: ; @_ZN7rocprim17ROCPRIM_400000_NS6detail17trampoline_kernelINS0_14default_configENS1_37merge_sort_block_sort_config_selectorIlNS0_10empty_typeEEEZNS1_21merge_sort_block_sortIS3_PlS8_PS5_S9_ZN2at6native12_GLOBAL__N_124unique_dim_cuda_templateIfEESt5tupleIJNSA_6TensorESF_SF_EERKSF_lbbbEUlllE_EE10hipError_tT0_T1_T2_T3_mRjT4_P12ihipStream_tbNS1_7vsmem_tEEUlT_E_NS1_11comp_targetILNS1_3genE10ELNS1_11target_archE1201ELNS1_3gpuE5ELNS1_3repE0EEENS1_30default_config_static_selectorELNS0_4arch9wavefront6targetE1EEEvSM_
; %bb.0:
	.section	.rodata,"a",@progbits
	.p2align	6, 0x0
	.amdhsa_kernel _ZN7rocprim17ROCPRIM_400000_NS6detail17trampoline_kernelINS0_14default_configENS1_37merge_sort_block_sort_config_selectorIlNS0_10empty_typeEEEZNS1_21merge_sort_block_sortIS3_PlS8_PS5_S9_ZN2at6native12_GLOBAL__N_124unique_dim_cuda_templateIfEESt5tupleIJNSA_6TensorESF_SF_EERKSF_lbbbEUlllE_EE10hipError_tT0_T1_T2_T3_mRjT4_P12ihipStream_tbNS1_7vsmem_tEEUlT_E_NS1_11comp_targetILNS1_3genE10ELNS1_11target_archE1201ELNS1_3gpuE5ELNS1_3repE0EEENS1_30default_config_static_selectorELNS0_4arch9wavefront6targetE1EEEvSM_
		.amdhsa_group_segment_fixed_size 0
		.amdhsa_private_segment_fixed_size 0
		.amdhsa_kernarg_size 72
		.amdhsa_user_sgpr_count 2
		.amdhsa_user_sgpr_dispatch_ptr 0
		.amdhsa_user_sgpr_queue_ptr 0
		.amdhsa_user_sgpr_kernarg_segment_ptr 1
		.amdhsa_user_sgpr_dispatch_id 0
		.amdhsa_user_sgpr_kernarg_preload_length 0
		.amdhsa_user_sgpr_kernarg_preload_offset 0
		.amdhsa_user_sgpr_private_segment_size 0
		.amdhsa_uses_dynamic_stack 0
		.amdhsa_enable_private_segment 0
		.amdhsa_system_sgpr_workgroup_id_x 1
		.amdhsa_system_sgpr_workgroup_id_y 0
		.amdhsa_system_sgpr_workgroup_id_z 0
		.amdhsa_system_sgpr_workgroup_info 0
		.amdhsa_system_vgpr_workitem_id 0
		.amdhsa_next_free_vgpr 1
		.amdhsa_next_free_sgpr 0
		.amdhsa_accum_offset 4
		.amdhsa_reserve_vcc 0
		.amdhsa_float_round_mode_32 0
		.amdhsa_float_round_mode_16_64 0
		.amdhsa_float_denorm_mode_32 3
		.amdhsa_float_denorm_mode_16_64 3
		.amdhsa_dx10_clamp 1
		.amdhsa_ieee_mode 1
		.amdhsa_fp16_overflow 0
		.amdhsa_tg_split 0
		.amdhsa_exception_fp_ieee_invalid_op 0
		.amdhsa_exception_fp_denorm_src 0
		.amdhsa_exception_fp_ieee_div_zero 0
		.amdhsa_exception_fp_ieee_overflow 0
		.amdhsa_exception_fp_ieee_underflow 0
		.amdhsa_exception_fp_ieee_inexact 0
		.amdhsa_exception_int_div_zero 0
	.end_amdhsa_kernel
	.section	.text._ZN7rocprim17ROCPRIM_400000_NS6detail17trampoline_kernelINS0_14default_configENS1_37merge_sort_block_sort_config_selectorIlNS0_10empty_typeEEEZNS1_21merge_sort_block_sortIS3_PlS8_PS5_S9_ZN2at6native12_GLOBAL__N_124unique_dim_cuda_templateIfEESt5tupleIJNSA_6TensorESF_SF_EERKSF_lbbbEUlllE_EE10hipError_tT0_T1_T2_T3_mRjT4_P12ihipStream_tbNS1_7vsmem_tEEUlT_E_NS1_11comp_targetILNS1_3genE10ELNS1_11target_archE1201ELNS1_3gpuE5ELNS1_3repE0EEENS1_30default_config_static_selectorELNS0_4arch9wavefront6targetE1EEEvSM_,"axG",@progbits,_ZN7rocprim17ROCPRIM_400000_NS6detail17trampoline_kernelINS0_14default_configENS1_37merge_sort_block_sort_config_selectorIlNS0_10empty_typeEEEZNS1_21merge_sort_block_sortIS3_PlS8_PS5_S9_ZN2at6native12_GLOBAL__N_124unique_dim_cuda_templateIfEESt5tupleIJNSA_6TensorESF_SF_EERKSF_lbbbEUlllE_EE10hipError_tT0_T1_T2_T3_mRjT4_P12ihipStream_tbNS1_7vsmem_tEEUlT_E_NS1_11comp_targetILNS1_3genE10ELNS1_11target_archE1201ELNS1_3gpuE5ELNS1_3repE0EEENS1_30default_config_static_selectorELNS0_4arch9wavefront6targetE1EEEvSM_,comdat
.Lfunc_end876:
	.size	_ZN7rocprim17ROCPRIM_400000_NS6detail17trampoline_kernelINS0_14default_configENS1_37merge_sort_block_sort_config_selectorIlNS0_10empty_typeEEEZNS1_21merge_sort_block_sortIS3_PlS8_PS5_S9_ZN2at6native12_GLOBAL__N_124unique_dim_cuda_templateIfEESt5tupleIJNSA_6TensorESF_SF_EERKSF_lbbbEUlllE_EE10hipError_tT0_T1_T2_T3_mRjT4_P12ihipStream_tbNS1_7vsmem_tEEUlT_E_NS1_11comp_targetILNS1_3genE10ELNS1_11target_archE1201ELNS1_3gpuE5ELNS1_3repE0EEENS1_30default_config_static_selectorELNS0_4arch9wavefront6targetE1EEEvSM_, .Lfunc_end876-_ZN7rocprim17ROCPRIM_400000_NS6detail17trampoline_kernelINS0_14default_configENS1_37merge_sort_block_sort_config_selectorIlNS0_10empty_typeEEEZNS1_21merge_sort_block_sortIS3_PlS8_PS5_S9_ZN2at6native12_GLOBAL__N_124unique_dim_cuda_templateIfEESt5tupleIJNSA_6TensorESF_SF_EERKSF_lbbbEUlllE_EE10hipError_tT0_T1_T2_T3_mRjT4_P12ihipStream_tbNS1_7vsmem_tEEUlT_E_NS1_11comp_targetILNS1_3genE10ELNS1_11target_archE1201ELNS1_3gpuE5ELNS1_3repE0EEENS1_30default_config_static_selectorELNS0_4arch9wavefront6targetE1EEEvSM_
                                        ; -- End function
	.set _ZN7rocprim17ROCPRIM_400000_NS6detail17trampoline_kernelINS0_14default_configENS1_37merge_sort_block_sort_config_selectorIlNS0_10empty_typeEEEZNS1_21merge_sort_block_sortIS3_PlS8_PS5_S9_ZN2at6native12_GLOBAL__N_124unique_dim_cuda_templateIfEESt5tupleIJNSA_6TensorESF_SF_EERKSF_lbbbEUlllE_EE10hipError_tT0_T1_T2_T3_mRjT4_P12ihipStream_tbNS1_7vsmem_tEEUlT_E_NS1_11comp_targetILNS1_3genE10ELNS1_11target_archE1201ELNS1_3gpuE5ELNS1_3repE0EEENS1_30default_config_static_selectorELNS0_4arch9wavefront6targetE1EEEvSM_.num_vgpr, 0
	.set _ZN7rocprim17ROCPRIM_400000_NS6detail17trampoline_kernelINS0_14default_configENS1_37merge_sort_block_sort_config_selectorIlNS0_10empty_typeEEEZNS1_21merge_sort_block_sortIS3_PlS8_PS5_S9_ZN2at6native12_GLOBAL__N_124unique_dim_cuda_templateIfEESt5tupleIJNSA_6TensorESF_SF_EERKSF_lbbbEUlllE_EE10hipError_tT0_T1_T2_T3_mRjT4_P12ihipStream_tbNS1_7vsmem_tEEUlT_E_NS1_11comp_targetILNS1_3genE10ELNS1_11target_archE1201ELNS1_3gpuE5ELNS1_3repE0EEENS1_30default_config_static_selectorELNS0_4arch9wavefront6targetE1EEEvSM_.num_agpr, 0
	.set _ZN7rocprim17ROCPRIM_400000_NS6detail17trampoline_kernelINS0_14default_configENS1_37merge_sort_block_sort_config_selectorIlNS0_10empty_typeEEEZNS1_21merge_sort_block_sortIS3_PlS8_PS5_S9_ZN2at6native12_GLOBAL__N_124unique_dim_cuda_templateIfEESt5tupleIJNSA_6TensorESF_SF_EERKSF_lbbbEUlllE_EE10hipError_tT0_T1_T2_T3_mRjT4_P12ihipStream_tbNS1_7vsmem_tEEUlT_E_NS1_11comp_targetILNS1_3genE10ELNS1_11target_archE1201ELNS1_3gpuE5ELNS1_3repE0EEENS1_30default_config_static_selectorELNS0_4arch9wavefront6targetE1EEEvSM_.numbered_sgpr, 0
	.set _ZN7rocprim17ROCPRIM_400000_NS6detail17trampoline_kernelINS0_14default_configENS1_37merge_sort_block_sort_config_selectorIlNS0_10empty_typeEEEZNS1_21merge_sort_block_sortIS3_PlS8_PS5_S9_ZN2at6native12_GLOBAL__N_124unique_dim_cuda_templateIfEESt5tupleIJNSA_6TensorESF_SF_EERKSF_lbbbEUlllE_EE10hipError_tT0_T1_T2_T3_mRjT4_P12ihipStream_tbNS1_7vsmem_tEEUlT_E_NS1_11comp_targetILNS1_3genE10ELNS1_11target_archE1201ELNS1_3gpuE5ELNS1_3repE0EEENS1_30default_config_static_selectorELNS0_4arch9wavefront6targetE1EEEvSM_.num_named_barrier, 0
	.set _ZN7rocprim17ROCPRIM_400000_NS6detail17trampoline_kernelINS0_14default_configENS1_37merge_sort_block_sort_config_selectorIlNS0_10empty_typeEEEZNS1_21merge_sort_block_sortIS3_PlS8_PS5_S9_ZN2at6native12_GLOBAL__N_124unique_dim_cuda_templateIfEESt5tupleIJNSA_6TensorESF_SF_EERKSF_lbbbEUlllE_EE10hipError_tT0_T1_T2_T3_mRjT4_P12ihipStream_tbNS1_7vsmem_tEEUlT_E_NS1_11comp_targetILNS1_3genE10ELNS1_11target_archE1201ELNS1_3gpuE5ELNS1_3repE0EEENS1_30default_config_static_selectorELNS0_4arch9wavefront6targetE1EEEvSM_.private_seg_size, 0
	.set _ZN7rocprim17ROCPRIM_400000_NS6detail17trampoline_kernelINS0_14default_configENS1_37merge_sort_block_sort_config_selectorIlNS0_10empty_typeEEEZNS1_21merge_sort_block_sortIS3_PlS8_PS5_S9_ZN2at6native12_GLOBAL__N_124unique_dim_cuda_templateIfEESt5tupleIJNSA_6TensorESF_SF_EERKSF_lbbbEUlllE_EE10hipError_tT0_T1_T2_T3_mRjT4_P12ihipStream_tbNS1_7vsmem_tEEUlT_E_NS1_11comp_targetILNS1_3genE10ELNS1_11target_archE1201ELNS1_3gpuE5ELNS1_3repE0EEENS1_30default_config_static_selectorELNS0_4arch9wavefront6targetE1EEEvSM_.uses_vcc, 0
	.set _ZN7rocprim17ROCPRIM_400000_NS6detail17trampoline_kernelINS0_14default_configENS1_37merge_sort_block_sort_config_selectorIlNS0_10empty_typeEEEZNS1_21merge_sort_block_sortIS3_PlS8_PS5_S9_ZN2at6native12_GLOBAL__N_124unique_dim_cuda_templateIfEESt5tupleIJNSA_6TensorESF_SF_EERKSF_lbbbEUlllE_EE10hipError_tT0_T1_T2_T3_mRjT4_P12ihipStream_tbNS1_7vsmem_tEEUlT_E_NS1_11comp_targetILNS1_3genE10ELNS1_11target_archE1201ELNS1_3gpuE5ELNS1_3repE0EEENS1_30default_config_static_selectorELNS0_4arch9wavefront6targetE1EEEvSM_.uses_flat_scratch, 0
	.set _ZN7rocprim17ROCPRIM_400000_NS6detail17trampoline_kernelINS0_14default_configENS1_37merge_sort_block_sort_config_selectorIlNS0_10empty_typeEEEZNS1_21merge_sort_block_sortIS3_PlS8_PS5_S9_ZN2at6native12_GLOBAL__N_124unique_dim_cuda_templateIfEESt5tupleIJNSA_6TensorESF_SF_EERKSF_lbbbEUlllE_EE10hipError_tT0_T1_T2_T3_mRjT4_P12ihipStream_tbNS1_7vsmem_tEEUlT_E_NS1_11comp_targetILNS1_3genE10ELNS1_11target_archE1201ELNS1_3gpuE5ELNS1_3repE0EEENS1_30default_config_static_selectorELNS0_4arch9wavefront6targetE1EEEvSM_.has_dyn_sized_stack, 0
	.set _ZN7rocprim17ROCPRIM_400000_NS6detail17trampoline_kernelINS0_14default_configENS1_37merge_sort_block_sort_config_selectorIlNS0_10empty_typeEEEZNS1_21merge_sort_block_sortIS3_PlS8_PS5_S9_ZN2at6native12_GLOBAL__N_124unique_dim_cuda_templateIfEESt5tupleIJNSA_6TensorESF_SF_EERKSF_lbbbEUlllE_EE10hipError_tT0_T1_T2_T3_mRjT4_P12ihipStream_tbNS1_7vsmem_tEEUlT_E_NS1_11comp_targetILNS1_3genE10ELNS1_11target_archE1201ELNS1_3gpuE5ELNS1_3repE0EEENS1_30default_config_static_selectorELNS0_4arch9wavefront6targetE1EEEvSM_.has_recursion, 0
	.set _ZN7rocprim17ROCPRIM_400000_NS6detail17trampoline_kernelINS0_14default_configENS1_37merge_sort_block_sort_config_selectorIlNS0_10empty_typeEEEZNS1_21merge_sort_block_sortIS3_PlS8_PS5_S9_ZN2at6native12_GLOBAL__N_124unique_dim_cuda_templateIfEESt5tupleIJNSA_6TensorESF_SF_EERKSF_lbbbEUlllE_EE10hipError_tT0_T1_T2_T3_mRjT4_P12ihipStream_tbNS1_7vsmem_tEEUlT_E_NS1_11comp_targetILNS1_3genE10ELNS1_11target_archE1201ELNS1_3gpuE5ELNS1_3repE0EEENS1_30default_config_static_selectorELNS0_4arch9wavefront6targetE1EEEvSM_.has_indirect_call, 0
	.section	.AMDGPU.csdata,"",@progbits
; Kernel info:
; codeLenInByte = 0
; TotalNumSgprs: 6
; NumVgprs: 0
; NumAgprs: 0
; TotalNumVgprs: 0
; ScratchSize: 0
; MemoryBound: 0
; FloatMode: 240
; IeeeMode: 1
; LDSByteSize: 0 bytes/workgroup (compile time only)
; SGPRBlocks: 0
; VGPRBlocks: 0
; NumSGPRsForWavesPerEU: 6
; NumVGPRsForWavesPerEU: 1
; AccumOffset: 4
; Occupancy: 8
; WaveLimiterHint : 0
; COMPUTE_PGM_RSRC2:SCRATCH_EN: 0
; COMPUTE_PGM_RSRC2:USER_SGPR: 2
; COMPUTE_PGM_RSRC2:TRAP_HANDLER: 0
; COMPUTE_PGM_RSRC2:TGID_X_EN: 1
; COMPUTE_PGM_RSRC2:TGID_Y_EN: 0
; COMPUTE_PGM_RSRC2:TGID_Z_EN: 0
; COMPUTE_PGM_RSRC2:TIDIG_COMP_CNT: 0
; COMPUTE_PGM_RSRC3_GFX90A:ACCUM_OFFSET: 0
; COMPUTE_PGM_RSRC3_GFX90A:TG_SPLIT: 0
	.section	.text._ZN7rocprim17ROCPRIM_400000_NS6detail17trampoline_kernelINS0_14default_configENS1_37merge_sort_block_sort_config_selectorIlNS0_10empty_typeEEEZNS1_21merge_sort_block_sortIS3_PlS8_PS5_S9_ZN2at6native12_GLOBAL__N_124unique_dim_cuda_templateIfEESt5tupleIJNSA_6TensorESF_SF_EERKSF_lbbbEUlllE_EE10hipError_tT0_T1_T2_T3_mRjT4_P12ihipStream_tbNS1_7vsmem_tEEUlT_E_NS1_11comp_targetILNS1_3genE10ELNS1_11target_archE1200ELNS1_3gpuE4ELNS1_3repE0EEENS1_30default_config_static_selectorELNS0_4arch9wavefront6targetE1EEEvSM_,"axG",@progbits,_ZN7rocprim17ROCPRIM_400000_NS6detail17trampoline_kernelINS0_14default_configENS1_37merge_sort_block_sort_config_selectorIlNS0_10empty_typeEEEZNS1_21merge_sort_block_sortIS3_PlS8_PS5_S9_ZN2at6native12_GLOBAL__N_124unique_dim_cuda_templateIfEESt5tupleIJNSA_6TensorESF_SF_EERKSF_lbbbEUlllE_EE10hipError_tT0_T1_T2_T3_mRjT4_P12ihipStream_tbNS1_7vsmem_tEEUlT_E_NS1_11comp_targetILNS1_3genE10ELNS1_11target_archE1200ELNS1_3gpuE4ELNS1_3repE0EEENS1_30default_config_static_selectorELNS0_4arch9wavefront6targetE1EEEvSM_,comdat
	.globl	_ZN7rocprim17ROCPRIM_400000_NS6detail17trampoline_kernelINS0_14default_configENS1_37merge_sort_block_sort_config_selectorIlNS0_10empty_typeEEEZNS1_21merge_sort_block_sortIS3_PlS8_PS5_S9_ZN2at6native12_GLOBAL__N_124unique_dim_cuda_templateIfEESt5tupleIJNSA_6TensorESF_SF_EERKSF_lbbbEUlllE_EE10hipError_tT0_T1_T2_T3_mRjT4_P12ihipStream_tbNS1_7vsmem_tEEUlT_E_NS1_11comp_targetILNS1_3genE10ELNS1_11target_archE1200ELNS1_3gpuE4ELNS1_3repE0EEENS1_30default_config_static_selectorELNS0_4arch9wavefront6targetE1EEEvSM_ ; -- Begin function _ZN7rocprim17ROCPRIM_400000_NS6detail17trampoline_kernelINS0_14default_configENS1_37merge_sort_block_sort_config_selectorIlNS0_10empty_typeEEEZNS1_21merge_sort_block_sortIS3_PlS8_PS5_S9_ZN2at6native12_GLOBAL__N_124unique_dim_cuda_templateIfEESt5tupleIJNSA_6TensorESF_SF_EERKSF_lbbbEUlllE_EE10hipError_tT0_T1_T2_T3_mRjT4_P12ihipStream_tbNS1_7vsmem_tEEUlT_E_NS1_11comp_targetILNS1_3genE10ELNS1_11target_archE1200ELNS1_3gpuE4ELNS1_3repE0EEENS1_30default_config_static_selectorELNS0_4arch9wavefront6targetE1EEEvSM_
	.p2align	8
	.type	_ZN7rocprim17ROCPRIM_400000_NS6detail17trampoline_kernelINS0_14default_configENS1_37merge_sort_block_sort_config_selectorIlNS0_10empty_typeEEEZNS1_21merge_sort_block_sortIS3_PlS8_PS5_S9_ZN2at6native12_GLOBAL__N_124unique_dim_cuda_templateIfEESt5tupleIJNSA_6TensorESF_SF_EERKSF_lbbbEUlllE_EE10hipError_tT0_T1_T2_T3_mRjT4_P12ihipStream_tbNS1_7vsmem_tEEUlT_E_NS1_11comp_targetILNS1_3genE10ELNS1_11target_archE1200ELNS1_3gpuE4ELNS1_3repE0EEENS1_30default_config_static_selectorELNS0_4arch9wavefront6targetE1EEEvSM_,@function
_ZN7rocprim17ROCPRIM_400000_NS6detail17trampoline_kernelINS0_14default_configENS1_37merge_sort_block_sort_config_selectorIlNS0_10empty_typeEEEZNS1_21merge_sort_block_sortIS3_PlS8_PS5_S9_ZN2at6native12_GLOBAL__N_124unique_dim_cuda_templateIfEESt5tupleIJNSA_6TensorESF_SF_EERKSF_lbbbEUlllE_EE10hipError_tT0_T1_T2_T3_mRjT4_P12ihipStream_tbNS1_7vsmem_tEEUlT_E_NS1_11comp_targetILNS1_3genE10ELNS1_11target_archE1200ELNS1_3gpuE4ELNS1_3repE0EEENS1_30default_config_static_selectorELNS0_4arch9wavefront6targetE1EEEvSM_: ; @_ZN7rocprim17ROCPRIM_400000_NS6detail17trampoline_kernelINS0_14default_configENS1_37merge_sort_block_sort_config_selectorIlNS0_10empty_typeEEEZNS1_21merge_sort_block_sortIS3_PlS8_PS5_S9_ZN2at6native12_GLOBAL__N_124unique_dim_cuda_templateIfEESt5tupleIJNSA_6TensorESF_SF_EERKSF_lbbbEUlllE_EE10hipError_tT0_T1_T2_T3_mRjT4_P12ihipStream_tbNS1_7vsmem_tEEUlT_E_NS1_11comp_targetILNS1_3genE10ELNS1_11target_archE1200ELNS1_3gpuE4ELNS1_3repE0EEENS1_30default_config_static_selectorELNS0_4arch9wavefront6targetE1EEEvSM_
; %bb.0:
	.section	.rodata,"a",@progbits
	.p2align	6, 0x0
	.amdhsa_kernel _ZN7rocprim17ROCPRIM_400000_NS6detail17trampoline_kernelINS0_14default_configENS1_37merge_sort_block_sort_config_selectorIlNS0_10empty_typeEEEZNS1_21merge_sort_block_sortIS3_PlS8_PS5_S9_ZN2at6native12_GLOBAL__N_124unique_dim_cuda_templateIfEESt5tupleIJNSA_6TensorESF_SF_EERKSF_lbbbEUlllE_EE10hipError_tT0_T1_T2_T3_mRjT4_P12ihipStream_tbNS1_7vsmem_tEEUlT_E_NS1_11comp_targetILNS1_3genE10ELNS1_11target_archE1200ELNS1_3gpuE4ELNS1_3repE0EEENS1_30default_config_static_selectorELNS0_4arch9wavefront6targetE1EEEvSM_
		.amdhsa_group_segment_fixed_size 0
		.amdhsa_private_segment_fixed_size 0
		.amdhsa_kernarg_size 72
		.amdhsa_user_sgpr_count 2
		.amdhsa_user_sgpr_dispatch_ptr 0
		.amdhsa_user_sgpr_queue_ptr 0
		.amdhsa_user_sgpr_kernarg_segment_ptr 1
		.amdhsa_user_sgpr_dispatch_id 0
		.amdhsa_user_sgpr_kernarg_preload_length 0
		.amdhsa_user_sgpr_kernarg_preload_offset 0
		.amdhsa_user_sgpr_private_segment_size 0
		.amdhsa_uses_dynamic_stack 0
		.amdhsa_enable_private_segment 0
		.amdhsa_system_sgpr_workgroup_id_x 1
		.amdhsa_system_sgpr_workgroup_id_y 0
		.amdhsa_system_sgpr_workgroup_id_z 0
		.amdhsa_system_sgpr_workgroup_info 0
		.amdhsa_system_vgpr_workitem_id 0
		.amdhsa_next_free_vgpr 1
		.amdhsa_next_free_sgpr 0
		.amdhsa_accum_offset 4
		.amdhsa_reserve_vcc 0
		.amdhsa_float_round_mode_32 0
		.amdhsa_float_round_mode_16_64 0
		.amdhsa_float_denorm_mode_32 3
		.amdhsa_float_denorm_mode_16_64 3
		.amdhsa_dx10_clamp 1
		.amdhsa_ieee_mode 1
		.amdhsa_fp16_overflow 0
		.amdhsa_tg_split 0
		.amdhsa_exception_fp_ieee_invalid_op 0
		.amdhsa_exception_fp_denorm_src 0
		.amdhsa_exception_fp_ieee_div_zero 0
		.amdhsa_exception_fp_ieee_overflow 0
		.amdhsa_exception_fp_ieee_underflow 0
		.amdhsa_exception_fp_ieee_inexact 0
		.amdhsa_exception_int_div_zero 0
	.end_amdhsa_kernel
	.section	.text._ZN7rocprim17ROCPRIM_400000_NS6detail17trampoline_kernelINS0_14default_configENS1_37merge_sort_block_sort_config_selectorIlNS0_10empty_typeEEEZNS1_21merge_sort_block_sortIS3_PlS8_PS5_S9_ZN2at6native12_GLOBAL__N_124unique_dim_cuda_templateIfEESt5tupleIJNSA_6TensorESF_SF_EERKSF_lbbbEUlllE_EE10hipError_tT0_T1_T2_T3_mRjT4_P12ihipStream_tbNS1_7vsmem_tEEUlT_E_NS1_11comp_targetILNS1_3genE10ELNS1_11target_archE1200ELNS1_3gpuE4ELNS1_3repE0EEENS1_30default_config_static_selectorELNS0_4arch9wavefront6targetE1EEEvSM_,"axG",@progbits,_ZN7rocprim17ROCPRIM_400000_NS6detail17trampoline_kernelINS0_14default_configENS1_37merge_sort_block_sort_config_selectorIlNS0_10empty_typeEEEZNS1_21merge_sort_block_sortIS3_PlS8_PS5_S9_ZN2at6native12_GLOBAL__N_124unique_dim_cuda_templateIfEESt5tupleIJNSA_6TensorESF_SF_EERKSF_lbbbEUlllE_EE10hipError_tT0_T1_T2_T3_mRjT4_P12ihipStream_tbNS1_7vsmem_tEEUlT_E_NS1_11comp_targetILNS1_3genE10ELNS1_11target_archE1200ELNS1_3gpuE4ELNS1_3repE0EEENS1_30default_config_static_selectorELNS0_4arch9wavefront6targetE1EEEvSM_,comdat
.Lfunc_end877:
	.size	_ZN7rocprim17ROCPRIM_400000_NS6detail17trampoline_kernelINS0_14default_configENS1_37merge_sort_block_sort_config_selectorIlNS0_10empty_typeEEEZNS1_21merge_sort_block_sortIS3_PlS8_PS5_S9_ZN2at6native12_GLOBAL__N_124unique_dim_cuda_templateIfEESt5tupleIJNSA_6TensorESF_SF_EERKSF_lbbbEUlllE_EE10hipError_tT0_T1_T2_T3_mRjT4_P12ihipStream_tbNS1_7vsmem_tEEUlT_E_NS1_11comp_targetILNS1_3genE10ELNS1_11target_archE1200ELNS1_3gpuE4ELNS1_3repE0EEENS1_30default_config_static_selectorELNS0_4arch9wavefront6targetE1EEEvSM_, .Lfunc_end877-_ZN7rocprim17ROCPRIM_400000_NS6detail17trampoline_kernelINS0_14default_configENS1_37merge_sort_block_sort_config_selectorIlNS0_10empty_typeEEEZNS1_21merge_sort_block_sortIS3_PlS8_PS5_S9_ZN2at6native12_GLOBAL__N_124unique_dim_cuda_templateIfEESt5tupleIJNSA_6TensorESF_SF_EERKSF_lbbbEUlllE_EE10hipError_tT0_T1_T2_T3_mRjT4_P12ihipStream_tbNS1_7vsmem_tEEUlT_E_NS1_11comp_targetILNS1_3genE10ELNS1_11target_archE1200ELNS1_3gpuE4ELNS1_3repE0EEENS1_30default_config_static_selectorELNS0_4arch9wavefront6targetE1EEEvSM_
                                        ; -- End function
	.set _ZN7rocprim17ROCPRIM_400000_NS6detail17trampoline_kernelINS0_14default_configENS1_37merge_sort_block_sort_config_selectorIlNS0_10empty_typeEEEZNS1_21merge_sort_block_sortIS3_PlS8_PS5_S9_ZN2at6native12_GLOBAL__N_124unique_dim_cuda_templateIfEESt5tupleIJNSA_6TensorESF_SF_EERKSF_lbbbEUlllE_EE10hipError_tT0_T1_T2_T3_mRjT4_P12ihipStream_tbNS1_7vsmem_tEEUlT_E_NS1_11comp_targetILNS1_3genE10ELNS1_11target_archE1200ELNS1_3gpuE4ELNS1_3repE0EEENS1_30default_config_static_selectorELNS0_4arch9wavefront6targetE1EEEvSM_.num_vgpr, 0
	.set _ZN7rocprim17ROCPRIM_400000_NS6detail17trampoline_kernelINS0_14default_configENS1_37merge_sort_block_sort_config_selectorIlNS0_10empty_typeEEEZNS1_21merge_sort_block_sortIS3_PlS8_PS5_S9_ZN2at6native12_GLOBAL__N_124unique_dim_cuda_templateIfEESt5tupleIJNSA_6TensorESF_SF_EERKSF_lbbbEUlllE_EE10hipError_tT0_T1_T2_T3_mRjT4_P12ihipStream_tbNS1_7vsmem_tEEUlT_E_NS1_11comp_targetILNS1_3genE10ELNS1_11target_archE1200ELNS1_3gpuE4ELNS1_3repE0EEENS1_30default_config_static_selectorELNS0_4arch9wavefront6targetE1EEEvSM_.num_agpr, 0
	.set _ZN7rocprim17ROCPRIM_400000_NS6detail17trampoline_kernelINS0_14default_configENS1_37merge_sort_block_sort_config_selectorIlNS0_10empty_typeEEEZNS1_21merge_sort_block_sortIS3_PlS8_PS5_S9_ZN2at6native12_GLOBAL__N_124unique_dim_cuda_templateIfEESt5tupleIJNSA_6TensorESF_SF_EERKSF_lbbbEUlllE_EE10hipError_tT0_T1_T2_T3_mRjT4_P12ihipStream_tbNS1_7vsmem_tEEUlT_E_NS1_11comp_targetILNS1_3genE10ELNS1_11target_archE1200ELNS1_3gpuE4ELNS1_3repE0EEENS1_30default_config_static_selectorELNS0_4arch9wavefront6targetE1EEEvSM_.numbered_sgpr, 0
	.set _ZN7rocprim17ROCPRIM_400000_NS6detail17trampoline_kernelINS0_14default_configENS1_37merge_sort_block_sort_config_selectorIlNS0_10empty_typeEEEZNS1_21merge_sort_block_sortIS3_PlS8_PS5_S9_ZN2at6native12_GLOBAL__N_124unique_dim_cuda_templateIfEESt5tupleIJNSA_6TensorESF_SF_EERKSF_lbbbEUlllE_EE10hipError_tT0_T1_T2_T3_mRjT4_P12ihipStream_tbNS1_7vsmem_tEEUlT_E_NS1_11comp_targetILNS1_3genE10ELNS1_11target_archE1200ELNS1_3gpuE4ELNS1_3repE0EEENS1_30default_config_static_selectorELNS0_4arch9wavefront6targetE1EEEvSM_.num_named_barrier, 0
	.set _ZN7rocprim17ROCPRIM_400000_NS6detail17trampoline_kernelINS0_14default_configENS1_37merge_sort_block_sort_config_selectorIlNS0_10empty_typeEEEZNS1_21merge_sort_block_sortIS3_PlS8_PS5_S9_ZN2at6native12_GLOBAL__N_124unique_dim_cuda_templateIfEESt5tupleIJNSA_6TensorESF_SF_EERKSF_lbbbEUlllE_EE10hipError_tT0_T1_T2_T3_mRjT4_P12ihipStream_tbNS1_7vsmem_tEEUlT_E_NS1_11comp_targetILNS1_3genE10ELNS1_11target_archE1200ELNS1_3gpuE4ELNS1_3repE0EEENS1_30default_config_static_selectorELNS0_4arch9wavefront6targetE1EEEvSM_.private_seg_size, 0
	.set _ZN7rocprim17ROCPRIM_400000_NS6detail17trampoline_kernelINS0_14default_configENS1_37merge_sort_block_sort_config_selectorIlNS0_10empty_typeEEEZNS1_21merge_sort_block_sortIS3_PlS8_PS5_S9_ZN2at6native12_GLOBAL__N_124unique_dim_cuda_templateIfEESt5tupleIJNSA_6TensorESF_SF_EERKSF_lbbbEUlllE_EE10hipError_tT0_T1_T2_T3_mRjT4_P12ihipStream_tbNS1_7vsmem_tEEUlT_E_NS1_11comp_targetILNS1_3genE10ELNS1_11target_archE1200ELNS1_3gpuE4ELNS1_3repE0EEENS1_30default_config_static_selectorELNS0_4arch9wavefront6targetE1EEEvSM_.uses_vcc, 0
	.set _ZN7rocprim17ROCPRIM_400000_NS6detail17trampoline_kernelINS0_14default_configENS1_37merge_sort_block_sort_config_selectorIlNS0_10empty_typeEEEZNS1_21merge_sort_block_sortIS3_PlS8_PS5_S9_ZN2at6native12_GLOBAL__N_124unique_dim_cuda_templateIfEESt5tupleIJNSA_6TensorESF_SF_EERKSF_lbbbEUlllE_EE10hipError_tT0_T1_T2_T3_mRjT4_P12ihipStream_tbNS1_7vsmem_tEEUlT_E_NS1_11comp_targetILNS1_3genE10ELNS1_11target_archE1200ELNS1_3gpuE4ELNS1_3repE0EEENS1_30default_config_static_selectorELNS0_4arch9wavefront6targetE1EEEvSM_.uses_flat_scratch, 0
	.set _ZN7rocprim17ROCPRIM_400000_NS6detail17trampoline_kernelINS0_14default_configENS1_37merge_sort_block_sort_config_selectorIlNS0_10empty_typeEEEZNS1_21merge_sort_block_sortIS3_PlS8_PS5_S9_ZN2at6native12_GLOBAL__N_124unique_dim_cuda_templateIfEESt5tupleIJNSA_6TensorESF_SF_EERKSF_lbbbEUlllE_EE10hipError_tT0_T1_T2_T3_mRjT4_P12ihipStream_tbNS1_7vsmem_tEEUlT_E_NS1_11comp_targetILNS1_3genE10ELNS1_11target_archE1200ELNS1_3gpuE4ELNS1_3repE0EEENS1_30default_config_static_selectorELNS0_4arch9wavefront6targetE1EEEvSM_.has_dyn_sized_stack, 0
	.set _ZN7rocprim17ROCPRIM_400000_NS6detail17trampoline_kernelINS0_14default_configENS1_37merge_sort_block_sort_config_selectorIlNS0_10empty_typeEEEZNS1_21merge_sort_block_sortIS3_PlS8_PS5_S9_ZN2at6native12_GLOBAL__N_124unique_dim_cuda_templateIfEESt5tupleIJNSA_6TensorESF_SF_EERKSF_lbbbEUlllE_EE10hipError_tT0_T1_T2_T3_mRjT4_P12ihipStream_tbNS1_7vsmem_tEEUlT_E_NS1_11comp_targetILNS1_3genE10ELNS1_11target_archE1200ELNS1_3gpuE4ELNS1_3repE0EEENS1_30default_config_static_selectorELNS0_4arch9wavefront6targetE1EEEvSM_.has_recursion, 0
	.set _ZN7rocprim17ROCPRIM_400000_NS6detail17trampoline_kernelINS0_14default_configENS1_37merge_sort_block_sort_config_selectorIlNS0_10empty_typeEEEZNS1_21merge_sort_block_sortIS3_PlS8_PS5_S9_ZN2at6native12_GLOBAL__N_124unique_dim_cuda_templateIfEESt5tupleIJNSA_6TensorESF_SF_EERKSF_lbbbEUlllE_EE10hipError_tT0_T1_T2_T3_mRjT4_P12ihipStream_tbNS1_7vsmem_tEEUlT_E_NS1_11comp_targetILNS1_3genE10ELNS1_11target_archE1200ELNS1_3gpuE4ELNS1_3repE0EEENS1_30default_config_static_selectorELNS0_4arch9wavefront6targetE1EEEvSM_.has_indirect_call, 0
	.section	.AMDGPU.csdata,"",@progbits
; Kernel info:
; codeLenInByte = 0
; TotalNumSgprs: 6
; NumVgprs: 0
; NumAgprs: 0
; TotalNumVgprs: 0
; ScratchSize: 0
; MemoryBound: 0
; FloatMode: 240
; IeeeMode: 1
; LDSByteSize: 0 bytes/workgroup (compile time only)
; SGPRBlocks: 0
; VGPRBlocks: 0
; NumSGPRsForWavesPerEU: 6
; NumVGPRsForWavesPerEU: 1
; AccumOffset: 4
; Occupancy: 8
; WaveLimiterHint : 0
; COMPUTE_PGM_RSRC2:SCRATCH_EN: 0
; COMPUTE_PGM_RSRC2:USER_SGPR: 2
; COMPUTE_PGM_RSRC2:TRAP_HANDLER: 0
; COMPUTE_PGM_RSRC2:TGID_X_EN: 1
; COMPUTE_PGM_RSRC2:TGID_Y_EN: 0
; COMPUTE_PGM_RSRC2:TGID_Z_EN: 0
; COMPUTE_PGM_RSRC2:TIDIG_COMP_CNT: 0
; COMPUTE_PGM_RSRC3_GFX90A:ACCUM_OFFSET: 0
; COMPUTE_PGM_RSRC3_GFX90A:TG_SPLIT: 0
	.section	.text._ZN7rocprim17ROCPRIM_400000_NS6detail17trampoline_kernelINS0_14default_configENS1_37merge_sort_block_sort_config_selectorIlNS0_10empty_typeEEEZNS1_21merge_sort_block_sortIS3_PlS8_PS5_S9_ZN2at6native12_GLOBAL__N_124unique_dim_cuda_templateIfEESt5tupleIJNSA_6TensorESF_SF_EERKSF_lbbbEUlllE_EE10hipError_tT0_T1_T2_T3_mRjT4_P12ihipStream_tbNS1_7vsmem_tEEUlT_E_NS1_11comp_targetILNS1_3genE9ELNS1_11target_archE1100ELNS1_3gpuE3ELNS1_3repE0EEENS1_30default_config_static_selectorELNS0_4arch9wavefront6targetE1EEEvSM_,"axG",@progbits,_ZN7rocprim17ROCPRIM_400000_NS6detail17trampoline_kernelINS0_14default_configENS1_37merge_sort_block_sort_config_selectorIlNS0_10empty_typeEEEZNS1_21merge_sort_block_sortIS3_PlS8_PS5_S9_ZN2at6native12_GLOBAL__N_124unique_dim_cuda_templateIfEESt5tupleIJNSA_6TensorESF_SF_EERKSF_lbbbEUlllE_EE10hipError_tT0_T1_T2_T3_mRjT4_P12ihipStream_tbNS1_7vsmem_tEEUlT_E_NS1_11comp_targetILNS1_3genE9ELNS1_11target_archE1100ELNS1_3gpuE3ELNS1_3repE0EEENS1_30default_config_static_selectorELNS0_4arch9wavefront6targetE1EEEvSM_,comdat
	.globl	_ZN7rocprim17ROCPRIM_400000_NS6detail17trampoline_kernelINS0_14default_configENS1_37merge_sort_block_sort_config_selectorIlNS0_10empty_typeEEEZNS1_21merge_sort_block_sortIS3_PlS8_PS5_S9_ZN2at6native12_GLOBAL__N_124unique_dim_cuda_templateIfEESt5tupleIJNSA_6TensorESF_SF_EERKSF_lbbbEUlllE_EE10hipError_tT0_T1_T2_T3_mRjT4_P12ihipStream_tbNS1_7vsmem_tEEUlT_E_NS1_11comp_targetILNS1_3genE9ELNS1_11target_archE1100ELNS1_3gpuE3ELNS1_3repE0EEENS1_30default_config_static_selectorELNS0_4arch9wavefront6targetE1EEEvSM_ ; -- Begin function _ZN7rocprim17ROCPRIM_400000_NS6detail17trampoline_kernelINS0_14default_configENS1_37merge_sort_block_sort_config_selectorIlNS0_10empty_typeEEEZNS1_21merge_sort_block_sortIS3_PlS8_PS5_S9_ZN2at6native12_GLOBAL__N_124unique_dim_cuda_templateIfEESt5tupleIJNSA_6TensorESF_SF_EERKSF_lbbbEUlllE_EE10hipError_tT0_T1_T2_T3_mRjT4_P12ihipStream_tbNS1_7vsmem_tEEUlT_E_NS1_11comp_targetILNS1_3genE9ELNS1_11target_archE1100ELNS1_3gpuE3ELNS1_3repE0EEENS1_30default_config_static_selectorELNS0_4arch9wavefront6targetE1EEEvSM_
	.p2align	8
	.type	_ZN7rocprim17ROCPRIM_400000_NS6detail17trampoline_kernelINS0_14default_configENS1_37merge_sort_block_sort_config_selectorIlNS0_10empty_typeEEEZNS1_21merge_sort_block_sortIS3_PlS8_PS5_S9_ZN2at6native12_GLOBAL__N_124unique_dim_cuda_templateIfEESt5tupleIJNSA_6TensorESF_SF_EERKSF_lbbbEUlllE_EE10hipError_tT0_T1_T2_T3_mRjT4_P12ihipStream_tbNS1_7vsmem_tEEUlT_E_NS1_11comp_targetILNS1_3genE9ELNS1_11target_archE1100ELNS1_3gpuE3ELNS1_3repE0EEENS1_30default_config_static_selectorELNS0_4arch9wavefront6targetE1EEEvSM_,@function
_ZN7rocprim17ROCPRIM_400000_NS6detail17trampoline_kernelINS0_14default_configENS1_37merge_sort_block_sort_config_selectorIlNS0_10empty_typeEEEZNS1_21merge_sort_block_sortIS3_PlS8_PS5_S9_ZN2at6native12_GLOBAL__N_124unique_dim_cuda_templateIfEESt5tupleIJNSA_6TensorESF_SF_EERKSF_lbbbEUlllE_EE10hipError_tT0_T1_T2_T3_mRjT4_P12ihipStream_tbNS1_7vsmem_tEEUlT_E_NS1_11comp_targetILNS1_3genE9ELNS1_11target_archE1100ELNS1_3gpuE3ELNS1_3repE0EEENS1_30default_config_static_selectorELNS0_4arch9wavefront6targetE1EEEvSM_: ; @_ZN7rocprim17ROCPRIM_400000_NS6detail17trampoline_kernelINS0_14default_configENS1_37merge_sort_block_sort_config_selectorIlNS0_10empty_typeEEEZNS1_21merge_sort_block_sortIS3_PlS8_PS5_S9_ZN2at6native12_GLOBAL__N_124unique_dim_cuda_templateIfEESt5tupleIJNSA_6TensorESF_SF_EERKSF_lbbbEUlllE_EE10hipError_tT0_T1_T2_T3_mRjT4_P12ihipStream_tbNS1_7vsmem_tEEUlT_E_NS1_11comp_targetILNS1_3genE9ELNS1_11target_archE1100ELNS1_3gpuE3ELNS1_3repE0EEENS1_30default_config_static_selectorELNS0_4arch9wavefront6targetE1EEEvSM_
; %bb.0:
	.section	.rodata,"a",@progbits
	.p2align	6, 0x0
	.amdhsa_kernel _ZN7rocprim17ROCPRIM_400000_NS6detail17trampoline_kernelINS0_14default_configENS1_37merge_sort_block_sort_config_selectorIlNS0_10empty_typeEEEZNS1_21merge_sort_block_sortIS3_PlS8_PS5_S9_ZN2at6native12_GLOBAL__N_124unique_dim_cuda_templateIfEESt5tupleIJNSA_6TensorESF_SF_EERKSF_lbbbEUlllE_EE10hipError_tT0_T1_T2_T3_mRjT4_P12ihipStream_tbNS1_7vsmem_tEEUlT_E_NS1_11comp_targetILNS1_3genE9ELNS1_11target_archE1100ELNS1_3gpuE3ELNS1_3repE0EEENS1_30default_config_static_selectorELNS0_4arch9wavefront6targetE1EEEvSM_
		.amdhsa_group_segment_fixed_size 0
		.amdhsa_private_segment_fixed_size 0
		.amdhsa_kernarg_size 72
		.amdhsa_user_sgpr_count 2
		.amdhsa_user_sgpr_dispatch_ptr 0
		.amdhsa_user_sgpr_queue_ptr 0
		.amdhsa_user_sgpr_kernarg_segment_ptr 1
		.amdhsa_user_sgpr_dispatch_id 0
		.amdhsa_user_sgpr_kernarg_preload_length 0
		.amdhsa_user_sgpr_kernarg_preload_offset 0
		.amdhsa_user_sgpr_private_segment_size 0
		.amdhsa_uses_dynamic_stack 0
		.amdhsa_enable_private_segment 0
		.amdhsa_system_sgpr_workgroup_id_x 1
		.amdhsa_system_sgpr_workgroup_id_y 0
		.amdhsa_system_sgpr_workgroup_id_z 0
		.amdhsa_system_sgpr_workgroup_info 0
		.amdhsa_system_vgpr_workitem_id 0
		.amdhsa_next_free_vgpr 1
		.amdhsa_next_free_sgpr 0
		.amdhsa_accum_offset 4
		.amdhsa_reserve_vcc 0
		.amdhsa_float_round_mode_32 0
		.amdhsa_float_round_mode_16_64 0
		.amdhsa_float_denorm_mode_32 3
		.amdhsa_float_denorm_mode_16_64 3
		.amdhsa_dx10_clamp 1
		.amdhsa_ieee_mode 1
		.amdhsa_fp16_overflow 0
		.amdhsa_tg_split 0
		.amdhsa_exception_fp_ieee_invalid_op 0
		.amdhsa_exception_fp_denorm_src 0
		.amdhsa_exception_fp_ieee_div_zero 0
		.amdhsa_exception_fp_ieee_overflow 0
		.amdhsa_exception_fp_ieee_underflow 0
		.amdhsa_exception_fp_ieee_inexact 0
		.amdhsa_exception_int_div_zero 0
	.end_amdhsa_kernel
	.section	.text._ZN7rocprim17ROCPRIM_400000_NS6detail17trampoline_kernelINS0_14default_configENS1_37merge_sort_block_sort_config_selectorIlNS0_10empty_typeEEEZNS1_21merge_sort_block_sortIS3_PlS8_PS5_S9_ZN2at6native12_GLOBAL__N_124unique_dim_cuda_templateIfEESt5tupleIJNSA_6TensorESF_SF_EERKSF_lbbbEUlllE_EE10hipError_tT0_T1_T2_T3_mRjT4_P12ihipStream_tbNS1_7vsmem_tEEUlT_E_NS1_11comp_targetILNS1_3genE9ELNS1_11target_archE1100ELNS1_3gpuE3ELNS1_3repE0EEENS1_30default_config_static_selectorELNS0_4arch9wavefront6targetE1EEEvSM_,"axG",@progbits,_ZN7rocprim17ROCPRIM_400000_NS6detail17trampoline_kernelINS0_14default_configENS1_37merge_sort_block_sort_config_selectorIlNS0_10empty_typeEEEZNS1_21merge_sort_block_sortIS3_PlS8_PS5_S9_ZN2at6native12_GLOBAL__N_124unique_dim_cuda_templateIfEESt5tupleIJNSA_6TensorESF_SF_EERKSF_lbbbEUlllE_EE10hipError_tT0_T1_T2_T3_mRjT4_P12ihipStream_tbNS1_7vsmem_tEEUlT_E_NS1_11comp_targetILNS1_3genE9ELNS1_11target_archE1100ELNS1_3gpuE3ELNS1_3repE0EEENS1_30default_config_static_selectorELNS0_4arch9wavefront6targetE1EEEvSM_,comdat
.Lfunc_end878:
	.size	_ZN7rocprim17ROCPRIM_400000_NS6detail17trampoline_kernelINS0_14default_configENS1_37merge_sort_block_sort_config_selectorIlNS0_10empty_typeEEEZNS1_21merge_sort_block_sortIS3_PlS8_PS5_S9_ZN2at6native12_GLOBAL__N_124unique_dim_cuda_templateIfEESt5tupleIJNSA_6TensorESF_SF_EERKSF_lbbbEUlllE_EE10hipError_tT0_T1_T2_T3_mRjT4_P12ihipStream_tbNS1_7vsmem_tEEUlT_E_NS1_11comp_targetILNS1_3genE9ELNS1_11target_archE1100ELNS1_3gpuE3ELNS1_3repE0EEENS1_30default_config_static_selectorELNS0_4arch9wavefront6targetE1EEEvSM_, .Lfunc_end878-_ZN7rocprim17ROCPRIM_400000_NS6detail17trampoline_kernelINS0_14default_configENS1_37merge_sort_block_sort_config_selectorIlNS0_10empty_typeEEEZNS1_21merge_sort_block_sortIS3_PlS8_PS5_S9_ZN2at6native12_GLOBAL__N_124unique_dim_cuda_templateIfEESt5tupleIJNSA_6TensorESF_SF_EERKSF_lbbbEUlllE_EE10hipError_tT0_T1_T2_T3_mRjT4_P12ihipStream_tbNS1_7vsmem_tEEUlT_E_NS1_11comp_targetILNS1_3genE9ELNS1_11target_archE1100ELNS1_3gpuE3ELNS1_3repE0EEENS1_30default_config_static_selectorELNS0_4arch9wavefront6targetE1EEEvSM_
                                        ; -- End function
	.set _ZN7rocprim17ROCPRIM_400000_NS6detail17trampoline_kernelINS0_14default_configENS1_37merge_sort_block_sort_config_selectorIlNS0_10empty_typeEEEZNS1_21merge_sort_block_sortIS3_PlS8_PS5_S9_ZN2at6native12_GLOBAL__N_124unique_dim_cuda_templateIfEESt5tupleIJNSA_6TensorESF_SF_EERKSF_lbbbEUlllE_EE10hipError_tT0_T1_T2_T3_mRjT4_P12ihipStream_tbNS1_7vsmem_tEEUlT_E_NS1_11comp_targetILNS1_3genE9ELNS1_11target_archE1100ELNS1_3gpuE3ELNS1_3repE0EEENS1_30default_config_static_selectorELNS0_4arch9wavefront6targetE1EEEvSM_.num_vgpr, 0
	.set _ZN7rocprim17ROCPRIM_400000_NS6detail17trampoline_kernelINS0_14default_configENS1_37merge_sort_block_sort_config_selectorIlNS0_10empty_typeEEEZNS1_21merge_sort_block_sortIS3_PlS8_PS5_S9_ZN2at6native12_GLOBAL__N_124unique_dim_cuda_templateIfEESt5tupleIJNSA_6TensorESF_SF_EERKSF_lbbbEUlllE_EE10hipError_tT0_T1_T2_T3_mRjT4_P12ihipStream_tbNS1_7vsmem_tEEUlT_E_NS1_11comp_targetILNS1_3genE9ELNS1_11target_archE1100ELNS1_3gpuE3ELNS1_3repE0EEENS1_30default_config_static_selectorELNS0_4arch9wavefront6targetE1EEEvSM_.num_agpr, 0
	.set _ZN7rocprim17ROCPRIM_400000_NS6detail17trampoline_kernelINS0_14default_configENS1_37merge_sort_block_sort_config_selectorIlNS0_10empty_typeEEEZNS1_21merge_sort_block_sortIS3_PlS8_PS5_S9_ZN2at6native12_GLOBAL__N_124unique_dim_cuda_templateIfEESt5tupleIJNSA_6TensorESF_SF_EERKSF_lbbbEUlllE_EE10hipError_tT0_T1_T2_T3_mRjT4_P12ihipStream_tbNS1_7vsmem_tEEUlT_E_NS1_11comp_targetILNS1_3genE9ELNS1_11target_archE1100ELNS1_3gpuE3ELNS1_3repE0EEENS1_30default_config_static_selectorELNS0_4arch9wavefront6targetE1EEEvSM_.numbered_sgpr, 0
	.set _ZN7rocprim17ROCPRIM_400000_NS6detail17trampoline_kernelINS0_14default_configENS1_37merge_sort_block_sort_config_selectorIlNS0_10empty_typeEEEZNS1_21merge_sort_block_sortIS3_PlS8_PS5_S9_ZN2at6native12_GLOBAL__N_124unique_dim_cuda_templateIfEESt5tupleIJNSA_6TensorESF_SF_EERKSF_lbbbEUlllE_EE10hipError_tT0_T1_T2_T3_mRjT4_P12ihipStream_tbNS1_7vsmem_tEEUlT_E_NS1_11comp_targetILNS1_3genE9ELNS1_11target_archE1100ELNS1_3gpuE3ELNS1_3repE0EEENS1_30default_config_static_selectorELNS0_4arch9wavefront6targetE1EEEvSM_.num_named_barrier, 0
	.set _ZN7rocprim17ROCPRIM_400000_NS6detail17trampoline_kernelINS0_14default_configENS1_37merge_sort_block_sort_config_selectorIlNS0_10empty_typeEEEZNS1_21merge_sort_block_sortIS3_PlS8_PS5_S9_ZN2at6native12_GLOBAL__N_124unique_dim_cuda_templateIfEESt5tupleIJNSA_6TensorESF_SF_EERKSF_lbbbEUlllE_EE10hipError_tT0_T1_T2_T3_mRjT4_P12ihipStream_tbNS1_7vsmem_tEEUlT_E_NS1_11comp_targetILNS1_3genE9ELNS1_11target_archE1100ELNS1_3gpuE3ELNS1_3repE0EEENS1_30default_config_static_selectorELNS0_4arch9wavefront6targetE1EEEvSM_.private_seg_size, 0
	.set _ZN7rocprim17ROCPRIM_400000_NS6detail17trampoline_kernelINS0_14default_configENS1_37merge_sort_block_sort_config_selectorIlNS0_10empty_typeEEEZNS1_21merge_sort_block_sortIS3_PlS8_PS5_S9_ZN2at6native12_GLOBAL__N_124unique_dim_cuda_templateIfEESt5tupleIJNSA_6TensorESF_SF_EERKSF_lbbbEUlllE_EE10hipError_tT0_T1_T2_T3_mRjT4_P12ihipStream_tbNS1_7vsmem_tEEUlT_E_NS1_11comp_targetILNS1_3genE9ELNS1_11target_archE1100ELNS1_3gpuE3ELNS1_3repE0EEENS1_30default_config_static_selectorELNS0_4arch9wavefront6targetE1EEEvSM_.uses_vcc, 0
	.set _ZN7rocprim17ROCPRIM_400000_NS6detail17trampoline_kernelINS0_14default_configENS1_37merge_sort_block_sort_config_selectorIlNS0_10empty_typeEEEZNS1_21merge_sort_block_sortIS3_PlS8_PS5_S9_ZN2at6native12_GLOBAL__N_124unique_dim_cuda_templateIfEESt5tupleIJNSA_6TensorESF_SF_EERKSF_lbbbEUlllE_EE10hipError_tT0_T1_T2_T3_mRjT4_P12ihipStream_tbNS1_7vsmem_tEEUlT_E_NS1_11comp_targetILNS1_3genE9ELNS1_11target_archE1100ELNS1_3gpuE3ELNS1_3repE0EEENS1_30default_config_static_selectorELNS0_4arch9wavefront6targetE1EEEvSM_.uses_flat_scratch, 0
	.set _ZN7rocprim17ROCPRIM_400000_NS6detail17trampoline_kernelINS0_14default_configENS1_37merge_sort_block_sort_config_selectorIlNS0_10empty_typeEEEZNS1_21merge_sort_block_sortIS3_PlS8_PS5_S9_ZN2at6native12_GLOBAL__N_124unique_dim_cuda_templateIfEESt5tupleIJNSA_6TensorESF_SF_EERKSF_lbbbEUlllE_EE10hipError_tT0_T1_T2_T3_mRjT4_P12ihipStream_tbNS1_7vsmem_tEEUlT_E_NS1_11comp_targetILNS1_3genE9ELNS1_11target_archE1100ELNS1_3gpuE3ELNS1_3repE0EEENS1_30default_config_static_selectorELNS0_4arch9wavefront6targetE1EEEvSM_.has_dyn_sized_stack, 0
	.set _ZN7rocprim17ROCPRIM_400000_NS6detail17trampoline_kernelINS0_14default_configENS1_37merge_sort_block_sort_config_selectorIlNS0_10empty_typeEEEZNS1_21merge_sort_block_sortIS3_PlS8_PS5_S9_ZN2at6native12_GLOBAL__N_124unique_dim_cuda_templateIfEESt5tupleIJNSA_6TensorESF_SF_EERKSF_lbbbEUlllE_EE10hipError_tT0_T1_T2_T3_mRjT4_P12ihipStream_tbNS1_7vsmem_tEEUlT_E_NS1_11comp_targetILNS1_3genE9ELNS1_11target_archE1100ELNS1_3gpuE3ELNS1_3repE0EEENS1_30default_config_static_selectorELNS0_4arch9wavefront6targetE1EEEvSM_.has_recursion, 0
	.set _ZN7rocprim17ROCPRIM_400000_NS6detail17trampoline_kernelINS0_14default_configENS1_37merge_sort_block_sort_config_selectorIlNS0_10empty_typeEEEZNS1_21merge_sort_block_sortIS3_PlS8_PS5_S9_ZN2at6native12_GLOBAL__N_124unique_dim_cuda_templateIfEESt5tupleIJNSA_6TensorESF_SF_EERKSF_lbbbEUlllE_EE10hipError_tT0_T1_T2_T3_mRjT4_P12ihipStream_tbNS1_7vsmem_tEEUlT_E_NS1_11comp_targetILNS1_3genE9ELNS1_11target_archE1100ELNS1_3gpuE3ELNS1_3repE0EEENS1_30default_config_static_selectorELNS0_4arch9wavefront6targetE1EEEvSM_.has_indirect_call, 0
	.section	.AMDGPU.csdata,"",@progbits
; Kernel info:
; codeLenInByte = 0
; TotalNumSgprs: 6
; NumVgprs: 0
; NumAgprs: 0
; TotalNumVgprs: 0
; ScratchSize: 0
; MemoryBound: 0
; FloatMode: 240
; IeeeMode: 1
; LDSByteSize: 0 bytes/workgroup (compile time only)
; SGPRBlocks: 0
; VGPRBlocks: 0
; NumSGPRsForWavesPerEU: 6
; NumVGPRsForWavesPerEU: 1
; AccumOffset: 4
; Occupancy: 8
; WaveLimiterHint : 0
; COMPUTE_PGM_RSRC2:SCRATCH_EN: 0
; COMPUTE_PGM_RSRC2:USER_SGPR: 2
; COMPUTE_PGM_RSRC2:TRAP_HANDLER: 0
; COMPUTE_PGM_RSRC2:TGID_X_EN: 1
; COMPUTE_PGM_RSRC2:TGID_Y_EN: 0
; COMPUTE_PGM_RSRC2:TGID_Z_EN: 0
; COMPUTE_PGM_RSRC2:TIDIG_COMP_CNT: 0
; COMPUTE_PGM_RSRC3_GFX90A:ACCUM_OFFSET: 0
; COMPUTE_PGM_RSRC3_GFX90A:TG_SPLIT: 0
	.section	.text._ZN7rocprim17ROCPRIM_400000_NS6detail17trampoline_kernelINS0_14default_configENS1_37merge_sort_block_sort_config_selectorIlNS0_10empty_typeEEEZNS1_21merge_sort_block_sortIS3_PlS8_PS5_S9_ZN2at6native12_GLOBAL__N_124unique_dim_cuda_templateIfEESt5tupleIJNSA_6TensorESF_SF_EERKSF_lbbbEUlllE_EE10hipError_tT0_T1_T2_T3_mRjT4_P12ihipStream_tbNS1_7vsmem_tEEUlT_E_NS1_11comp_targetILNS1_3genE8ELNS1_11target_archE1030ELNS1_3gpuE2ELNS1_3repE0EEENS1_30default_config_static_selectorELNS0_4arch9wavefront6targetE1EEEvSM_,"axG",@progbits,_ZN7rocprim17ROCPRIM_400000_NS6detail17trampoline_kernelINS0_14default_configENS1_37merge_sort_block_sort_config_selectorIlNS0_10empty_typeEEEZNS1_21merge_sort_block_sortIS3_PlS8_PS5_S9_ZN2at6native12_GLOBAL__N_124unique_dim_cuda_templateIfEESt5tupleIJNSA_6TensorESF_SF_EERKSF_lbbbEUlllE_EE10hipError_tT0_T1_T2_T3_mRjT4_P12ihipStream_tbNS1_7vsmem_tEEUlT_E_NS1_11comp_targetILNS1_3genE8ELNS1_11target_archE1030ELNS1_3gpuE2ELNS1_3repE0EEENS1_30default_config_static_selectorELNS0_4arch9wavefront6targetE1EEEvSM_,comdat
	.globl	_ZN7rocprim17ROCPRIM_400000_NS6detail17trampoline_kernelINS0_14default_configENS1_37merge_sort_block_sort_config_selectorIlNS0_10empty_typeEEEZNS1_21merge_sort_block_sortIS3_PlS8_PS5_S9_ZN2at6native12_GLOBAL__N_124unique_dim_cuda_templateIfEESt5tupleIJNSA_6TensorESF_SF_EERKSF_lbbbEUlllE_EE10hipError_tT0_T1_T2_T3_mRjT4_P12ihipStream_tbNS1_7vsmem_tEEUlT_E_NS1_11comp_targetILNS1_3genE8ELNS1_11target_archE1030ELNS1_3gpuE2ELNS1_3repE0EEENS1_30default_config_static_selectorELNS0_4arch9wavefront6targetE1EEEvSM_ ; -- Begin function _ZN7rocprim17ROCPRIM_400000_NS6detail17trampoline_kernelINS0_14default_configENS1_37merge_sort_block_sort_config_selectorIlNS0_10empty_typeEEEZNS1_21merge_sort_block_sortIS3_PlS8_PS5_S9_ZN2at6native12_GLOBAL__N_124unique_dim_cuda_templateIfEESt5tupleIJNSA_6TensorESF_SF_EERKSF_lbbbEUlllE_EE10hipError_tT0_T1_T2_T3_mRjT4_P12ihipStream_tbNS1_7vsmem_tEEUlT_E_NS1_11comp_targetILNS1_3genE8ELNS1_11target_archE1030ELNS1_3gpuE2ELNS1_3repE0EEENS1_30default_config_static_selectorELNS0_4arch9wavefront6targetE1EEEvSM_
	.p2align	8
	.type	_ZN7rocprim17ROCPRIM_400000_NS6detail17trampoline_kernelINS0_14default_configENS1_37merge_sort_block_sort_config_selectorIlNS0_10empty_typeEEEZNS1_21merge_sort_block_sortIS3_PlS8_PS5_S9_ZN2at6native12_GLOBAL__N_124unique_dim_cuda_templateIfEESt5tupleIJNSA_6TensorESF_SF_EERKSF_lbbbEUlllE_EE10hipError_tT0_T1_T2_T3_mRjT4_P12ihipStream_tbNS1_7vsmem_tEEUlT_E_NS1_11comp_targetILNS1_3genE8ELNS1_11target_archE1030ELNS1_3gpuE2ELNS1_3repE0EEENS1_30default_config_static_selectorELNS0_4arch9wavefront6targetE1EEEvSM_,@function
_ZN7rocprim17ROCPRIM_400000_NS6detail17trampoline_kernelINS0_14default_configENS1_37merge_sort_block_sort_config_selectorIlNS0_10empty_typeEEEZNS1_21merge_sort_block_sortIS3_PlS8_PS5_S9_ZN2at6native12_GLOBAL__N_124unique_dim_cuda_templateIfEESt5tupleIJNSA_6TensorESF_SF_EERKSF_lbbbEUlllE_EE10hipError_tT0_T1_T2_T3_mRjT4_P12ihipStream_tbNS1_7vsmem_tEEUlT_E_NS1_11comp_targetILNS1_3genE8ELNS1_11target_archE1030ELNS1_3gpuE2ELNS1_3repE0EEENS1_30default_config_static_selectorELNS0_4arch9wavefront6targetE1EEEvSM_: ; @_ZN7rocprim17ROCPRIM_400000_NS6detail17trampoline_kernelINS0_14default_configENS1_37merge_sort_block_sort_config_selectorIlNS0_10empty_typeEEEZNS1_21merge_sort_block_sortIS3_PlS8_PS5_S9_ZN2at6native12_GLOBAL__N_124unique_dim_cuda_templateIfEESt5tupleIJNSA_6TensorESF_SF_EERKSF_lbbbEUlllE_EE10hipError_tT0_T1_T2_T3_mRjT4_P12ihipStream_tbNS1_7vsmem_tEEUlT_E_NS1_11comp_targetILNS1_3genE8ELNS1_11target_archE1030ELNS1_3gpuE2ELNS1_3repE0EEENS1_30default_config_static_selectorELNS0_4arch9wavefront6targetE1EEEvSM_
; %bb.0:
	.section	.rodata,"a",@progbits
	.p2align	6, 0x0
	.amdhsa_kernel _ZN7rocprim17ROCPRIM_400000_NS6detail17trampoline_kernelINS0_14default_configENS1_37merge_sort_block_sort_config_selectorIlNS0_10empty_typeEEEZNS1_21merge_sort_block_sortIS3_PlS8_PS5_S9_ZN2at6native12_GLOBAL__N_124unique_dim_cuda_templateIfEESt5tupleIJNSA_6TensorESF_SF_EERKSF_lbbbEUlllE_EE10hipError_tT0_T1_T2_T3_mRjT4_P12ihipStream_tbNS1_7vsmem_tEEUlT_E_NS1_11comp_targetILNS1_3genE8ELNS1_11target_archE1030ELNS1_3gpuE2ELNS1_3repE0EEENS1_30default_config_static_selectorELNS0_4arch9wavefront6targetE1EEEvSM_
		.amdhsa_group_segment_fixed_size 0
		.amdhsa_private_segment_fixed_size 0
		.amdhsa_kernarg_size 72
		.amdhsa_user_sgpr_count 2
		.amdhsa_user_sgpr_dispatch_ptr 0
		.amdhsa_user_sgpr_queue_ptr 0
		.amdhsa_user_sgpr_kernarg_segment_ptr 1
		.amdhsa_user_sgpr_dispatch_id 0
		.amdhsa_user_sgpr_kernarg_preload_length 0
		.amdhsa_user_sgpr_kernarg_preload_offset 0
		.amdhsa_user_sgpr_private_segment_size 0
		.amdhsa_uses_dynamic_stack 0
		.amdhsa_enable_private_segment 0
		.amdhsa_system_sgpr_workgroup_id_x 1
		.amdhsa_system_sgpr_workgroup_id_y 0
		.amdhsa_system_sgpr_workgroup_id_z 0
		.amdhsa_system_sgpr_workgroup_info 0
		.amdhsa_system_vgpr_workitem_id 0
		.amdhsa_next_free_vgpr 1
		.amdhsa_next_free_sgpr 0
		.amdhsa_accum_offset 4
		.amdhsa_reserve_vcc 0
		.amdhsa_float_round_mode_32 0
		.amdhsa_float_round_mode_16_64 0
		.amdhsa_float_denorm_mode_32 3
		.amdhsa_float_denorm_mode_16_64 3
		.amdhsa_dx10_clamp 1
		.amdhsa_ieee_mode 1
		.amdhsa_fp16_overflow 0
		.amdhsa_tg_split 0
		.amdhsa_exception_fp_ieee_invalid_op 0
		.amdhsa_exception_fp_denorm_src 0
		.amdhsa_exception_fp_ieee_div_zero 0
		.amdhsa_exception_fp_ieee_overflow 0
		.amdhsa_exception_fp_ieee_underflow 0
		.amdhsa_exception_fp_ieee_inexact 0
		.amdhsa_exception_int_div_zero 0
	.end_amdhsa_kernel
	.section	.text._ZN7rocprim17ROCPRIM_400000_NS6detail17trampoline_kernelINS0_14default_configENS1_37merge_sort_block_sort_config_selectorIlNS0_10empty_typeEEEZNS1_21merge_sort_block_sortIS3_PlS8_PS5_S9_ZN2at6native12_GLOBAL__N_124unique_dim_cuda_templateIfEESt5tupleIJNSA_6TensorESF_SF_EERKSF_lbbbEUlllE_EE10hipError_tT0_T1_T2_T3_mRjT4_P12ihipStream_tbNS1_7vsmem_tEEUlT_E_NS1_11comp_targetILNS1_3genE8ELNS1_11target_archE1030ELNS1_3gpuE2ELNS1_3repE0EEENS1_30default_config_static_selectorELNS0_4arch9wavefront6targetE1EEEvSM_,"axG",@progbits,_ZN7rocprim17ROCPRIM_400000_NS6detail17trampoline_kernelINS0_14default_configENS1_37merge_sort_block_sort_config_selectorIlNS0_10empty_typeEEEZNS1_21merge_sort_block_sortIS3_PlS8_PS5_S9_ZN2at6native12_GLOBAL__N_124unique_dim_cuda_templateIfEESt5tupleIJNSA_6TensorESF_SF_EERKSF_lbbbEUlllE_EE10hipError_tT0_T1_T2_T3_mRjT4_P12ihipStream_tbNS1_7vsmem_tEEUlT_E_NS1_11comp_targetILNS1_3genE8ELNS1_11target_archE1030ELNS1_3gpuE2ELNS1_3repE0EEENS1_30default_config_static_selectorELNS0_4arch9wavefront6targetE1EEEvSM_,comdat
.Lfunc_end879:
	.size	_ZN7rocprim17ROCPRIM_400000_NS6detail17trampoline_kernelINS0_14default_configENS1_37merge_sort_block_sort_config_selectorIlNS0_10empty_typeEEEZNS1_21merge_sort_block_sortIS3_PlS8_PS5_S9_ZN2at6native12_GLOBAL__N_124unique_dim_cuda_templateIfEESt5tupleIJNSA_6TensorESF_SF_EERKSF_lbbbEUlllE_EE10hipError_tT0_T1_T2_T3_mRjT4_P12ihipStream_tbNS1_7vsmem_tEEUlT_E_NS1_11comp_targetILNS1_3genE8ELNS1_11target_archE1030ELNS1_3gpuE2ELNS1_3repE0EEENS1_30default_config_static_selectorELNS0_4arch9wavefront6targetE1EEEvSM_, .Lfunc_end879-_ZN7rocprim17ROCPRIM_400000_NS6detail17trampoline_kernelINS0_14default_configENS1_37merge_sort_block_sort_config_selectorIlNS0_10empty_typeEEEZNS1_21merge_sort_block_sortIS3_PlS8_PS5_S9_ZN2at6native12_GLOBAL__N_124unique_dim_cuda_templateIfEESt5tupleIJNSA_6TensorESF_SF_EERKSF_lbbbEUlllE_EE10hipError_tT0_T1_T2_T3_mRjT4_P12ihipStream_tbNS1_7vsmem_tEEUlT_E_NS1_11comp_targetILNS1_3genE8ELNS1_11target_archE1030ELNS1_3gpuE2ELNS1_3repE0EEENS1_30default_config_static_selectorELNS0_4arch9wavefront6targetE1EEEvSM_
                                        ; -- End function
	.set _ZN7rocprim17ROCPRIM_400000_NS6detail17trampoline_kernelINS0_14default_configENS1_37merge_sort_block_sort_config_selectorIlNS0_10empty_typeEEEZNS1_21merge_sort_block_sortIS3_PlS8_PS5_S9_ZN2at6native12_GLOBAL__N_124unique_dim_cuda_templateIfEESt5tupleIJNSA_6TensorESF_SF_EERKSF_lbbbEUlllE_EE10hipError_tT0_T1_T2_T3_mRjT4_P12ihipStream_tbNS1_7vsmem_tEEUlT_E_NS1_11comp_targetILNS1_3genE8ELNS1_11target_archE1030ELNS1_3gpuE2ELNS1_3repE0EEENS1_30default_config_static_selectorELNS0_4arch9wavefront6targetE1EEEvSM_.num_vgpr, 0
	.set _ZN7rocprim17ROCPRIM_400000_NS6detail17trampoline_kernelINS0_14default_configENS1_37merge_sort_block_sort_config_selectorIlNS0_10empty_typeEEEZNS1_21merge_sort_block_sortIS3_PlS8_PS5_S9_ZN2at6native12_GLOBAL__N_124unique_dim_cuda_templateIfEESt5tupleIJNSA_6TensorESF_SF_EERKSF_lbbbEUlllE_EE10hipError_tT0_T1_T2_T3_mRjT4_P12ihipStream_tbNS1_7vsmem_tEEUlT_E_NS1_11comp_targetILNS1_3genE8ELNS1_11target_archE1030ELNS1_3gpuE2ELNS1_3repE0EEENS1_30default_config_static_selectorELNS0_4arch9wavefront6targetE1EEEvSM_.num_agpr, 0
	.set _ZN7rocprim17ROCPRIM_400000_NS6detail17trampoline_kernelINS0_14default_configENS1_37merge_sort_block_sort_config_selectorIlNS0_10empty_typeEEEZNS1_21merge_sort_block_sortIS3_PlS8_PS5_S9_ZN2at6native12_GLOBAL__N_124unique_dim_cuda_templateIfEESt5tupleIJNSA_6TensorESF_SF_EERKSF_lbbbEUlllE_EE10hipError_tT0_T1_T2_T3_mRjT4_P12ihipStream_tbNS1_7vsmem_tEEUlT_E_NS1_11comp_targetILNS1_3genE8ELNS1_11target_archE1030ELNS1_3gpuE2ELNS1_3repE0EEENS1_30default_config_static_selectorELNS0_4arch9wavefront6targetE1EEEvSM_.numbered_sgpr, 0
	.set _ZN7rocprim17ROCPRIM_400000_NS6detail17trampoline_kernelINS0_14default_configENS1_37merge_sort_block_sort_config_selectorIlNS0_10empty_typeEEEZNS1_21merge_sort_block_sortIS3_PlS8_PS5_S9_ZN2at6native12_GLOBAL__N_124unique_dim_cuda_templateIfEESt5tupleIJNSA_6TensorESF_SF_EERKSF_lbbbEUlllE_EE10hipError_tT0_T1_T2_T3_mRjT4_P12ihipStream_tbNS1_7vsmem_tEEUlT_E_NS1_11comp_targetILNS1_3genE8ELNS1_11target_archE1030ELNS1_3gpuE2ELNS1_3repE0EEENS1_30default_config_static_selectorELNS0_4arch9wavefront6targetE1EEEvSM_.num_named_barrier, 0
	.set _ZN7rocprim17ROCPRIM_400000_NS6detail17trampoline_kernelINS0_14default_configENS1_37merge_sort_block_sort_config_selectorIlNS0_10empty_typeEEEZNS1_21merge_sort_block_sortIS3_PlS8_PS5_S9_ZN2at6native12_GLOBAL__N_124unique_dim_cuda_templateIfEESt5tupleIJNSA_6TensorESF_SF_EERKSF_lbbbEUlllE_EE10hipError_tT0_T1_T2_T3_mRjT4_P12ihipStream_tbNS1_7vsmem_tEEUlT_E_NS1_11comp_targetILNS1_3genE8ELNS1_11target_archE1030ELNS1_3gpuE2ELNS1_3repE0EEENS1_30default_config_static_selectorELNS0_4arch9wavefront6targetE1EEEvSM_.private_seg_size, 0
	.set _ZN7rocprim17ROCPRIM_400000_NS6detail17trampoline_kernelINS0_14default_configENS1_37merge_sort_block_sort_config_selectorIlNS0_10empty_typeEEEZNS1_21merge_sort_block_sortIS3_PlS8_PS5_S9_ZN2at6native12_GLOBAL__N_124unique_dim_cuda_templateIfEESt5tupleIJNSA_6TensorESF_SF_EERKSF_lbbbEUlllE_EE10hipError_tT0_T1_T2_T3_mRjT4_P12ihipStream_tbNS1_7vsmem_tEEUlT_E_NS1_11comp_targetILNS1_3genE8ELNS1_11target_archE1030ELNS1_3gpuE2ELNS1_3repE0EEENS1_30default_config_static_selectorELNS0_4arch9wavefront6targetE1EEEvSM_.uses_vcc, 0
	.set _ZN7rocprim17ROCPRIM_400000_NS6detail17trampoline_kernelINS0_14default_configENS1_37merge_sort_block_sort_config_selectorIlNS0_10empty_typeEEEZNS1_21merge_sort_block_sortIS3_PlS8_PS5_S9_ZN2at6native12_GLOBAL__N_124unique_dim_cuda_templateIfEESt5tupleIJNSA_6TensorESF_SF_EERKSF_lbbbEUlllE_EE10hipError_tT0_T1_T2_T3_mRjT4_P12ihipStream_tbNS1_7vsmem_tEEUlT_E_NS1_11comp_targetILNS1_3genE8ELNS1_11target_archE1030ELNS1_3gpuE2ELNS1_3repE0EEENS1_30default_config_static_selectorELNS0_4arch9wavefront6targetE1EEEvSM_.uses_flat_scratch, 0
	.set _ZN7rocprim17ROCPRIM_400000_NS6detail17trampoline_kernelINS0_14default_configENS1_37merge_sort_block_sort_config_selectorIlNS0_10empty_typeEEEZNS1_21merge_sort_block_sortIS3_PlS8_PS5_S9_ZN2at6native12_GLOBAL__N_124unique_dim_cuda_templateIfEESt5tupleIJNSA_6TensorESF_SF_EERKSF_lbbbEUlllE_EE10hipError_tT0_T1_T2_T3_mRjT4_P12ihipStream_tbNS1_7vsmem_tEEUlT_E_NS1_11comp_targetILNS1_3genE8ELNS1_11target_archE1030ELNS1_3gpuE2ELNS1_3repE0EEENS1_30default_config_static_selectorELNS0_4arch9wavefront6targetE1EEEvSM_.has_dyn_sized_stack, 0
	.set _ZN7rocprim17ROCPRIM_400000_NS6detail17trampoline_kernelINS0_14default_configENS1_37merge_sort_block_sort_config_selectorIlNS0_10empty_typeEEEZNS1_21merge_sort_block_sortIS3_PlS8_PS5_S9_ZN2at6native12_GLOBAL__N_124unique_dim_cuda_templateIfEESt5tupleIJNSA_6TensorESF_SF_EERKSF_lbbbEUlllE_EE10hipError_tT0_T1_T2_T3_mRjT4_P12ihipStream_tbNS1_7vsmem_tEEUlT_E_NS1_11comp_targetILNS1_3genE8ELNS1_11target_archE1030ELNS1_3gpuE2ELNS1_3repE0EEENS1_30default_config_static_selectorELNS0_4arch9wavefront6targetE1EEEvSM_.has_recursion, 0
	.set _ZN7rocprim17ROCPRIM_400000_NS6detail17trampoline_kernelINS0_14default_configENS1_37merge_sort_block_sort_config_selectorIlNS0_10empty_typeEEEZNS1_21merge_sort_block_sortIS3_PlS8_PS5_S9_ZN2at6native12_GLOBAL__N_124unique_dim_cuda_templateIfEESt5tupleIJNSA_6TensorESF_SF_EERKSF_lbbbEUlllE_EE10hipError_tT0_T1_T2_T3_mRjT4_P12ihipStream_tbNS1_7vsmem_tEEUlT_E_NS1_11comp_targetILNS1_3genE8ELNS1_11target_archE1030ELNS1_3gpuE2ELNS1_3repE0EEENS1_30default_config_static_selectorELNS0_4arch9wavefront6targetE1EEEvSM_.has_indirect_call, 0
	.section	.AMDGPU.csdata,"",@progbits
; Kernel info:
; codeLenInByte = 0
; TotalNumSgprs: 6
; NumVgprs: 0
; NumAgprs: 0
; TotalNumVgprs: 0
; ScratchSize: 0
; MemoryBound: 0
; FloatMode: 240
; IeeeMode: 1
; LDSByteSize: 0 bytes/workgroup (compile time only)
; SGPRBlocks: 0
; VGPRBlocks: 0
; NumSGPRsForWavesPerEU: 6
; NumVGPRsForWavesPerEU: 1
; AccumOffset: 4
; Occupancy: 8
; WaveLimiterHint : 0
; COMPUTE_PGM_RSRC2:SCRATCH_EN: 0
; COMPUTE_PGM_RSRC2:USER_SGPR: 2
; COMPUTE_PGM_RSRC2:TRAP_HANDLER: 0
; COMPUTE_PGM_RSRC2:TGID_X_EN: 1
; COMPUTE_PGM_RSRC2:TGID_Y_EN: 0
; COMPUTE_PGM_RSRC2:TGID_Z_EN: 0
; COMPUTE_PGM_RSRC2:TIDIG_COMP_CNT: 0
; COMPUTE_PGM_RSRC3_GFX90A:ACCUM_OFFSET: 0
; COMPUTE_PGM_RSRC3_GFX90A:TG_SPLIT: 0
	.section	.text._ZN7rocprim17ROCPRIM_400000_NS6detail17trampoline_kernelINS0_14default_configENS1_38merge_sort_block_merge_config_selectorIlNS0_10empty_typeEEEZZNS1_27merge_sort_block_merge_implIS3_PlPS5_mZN2at6native12_GLOBAL__N_124unique_dim_cuda_templateIfEESt5tupleIJNSA_6TensorESF_SF_EERKSF_lbbbEUlllE_EE10hipError_tT0_T1_T2_jT3_P12ihipStream_tbPNSt15iterator_traitsISL_E10value_typeEPNSR_ISM_E10value_typeEPSN_NS1_7vsmem_tEENKUlT_SL_SM_SN_E_clIS8_S8_S9_S9_EESK_S10_SL_SM_SN_EUlS10_E_NS1_11comp_targetILNS1_3genE0ELNS1_11target_archE4294967295ELNS1_3gpuE0ELNS1_3repE0EEENS1_48merge_mergepath_partition_config_static_selectorELNS0_4arch9wavefront6targetE1EEEvSM_,"axG",@progbits,_ZN7rocprim17ROCPRIM_400000_NS6detail17trampoline_kernelINS0_14default_configENS1_38merge_sort_block_merge_config_selectorIlNS0_10empty_typeEEEZZNS1_27merge_sort_block_merge_implIS3_PlPS5_mZN2at6native12_GLOBAL__N_124unique_dim_cuda_templateIfEESt5tupleIJNSA_6TensorESF_SF_EERKSF_lbbbEUlllE_EE10hipError_tT0_T1_T2_jT3_P12ihipStream_tbPNSt15iterator_traitsISL_E10value_typeEPNSR_ISM_E10value_typeEPSN_NS1_7vsmem_tEENKUlT_SL_SM_SN_E_clIS8_S8_S9_S9_EESK_S10_SL_SM_SN_EUlS10_E_NS1_11comp_targetILNS1_3genE0ELNS1_11target_archE4294967295ELNS1_3gpuE0ELNS1_3repE0EEENS1_48merge_mergepath_partition_config_static_selectorELNS0_4arch9wavefront6targetE1EEEvSM_,comdat
	.globl	_ZN7rocprim17ROCPRIM_400000_NS6detail17trampoline_kernelINS0_14default_configENS1_38merge_sort_block_merge_config_selectorIlNS0_10empty_typeEEEZZNS1_27merge_sort_block_merge_implIS3_PlPS5_mZN2at6native12_GLOBAL__N_124unique_dim_cuda_templateIfEESt5tupleIJNSA_6TensorESF_SF_EERKSF_lbbbEUlllE_EE10hipError_tT0_T1_T2_jT3_P12ihipStream_tbPNSt15iterator_traitsISL_E10value_typeEPNSR_ISM_E10value_typeEPSN_NS1_7vsmem_tEENKUlT_SL_SM_SN_E_clIS8_S8_S9_S9_EESK_S10_SL_SM_SN_EUlS10_E_NS1_11comp_targetILNS1_3genE0ELNS1_11target_archE4294967295ELNS1_3gpuE0ELNS1_3repE0EEENS1_48merge_mergepath_partition_config_static_selectorELNS0_4arch9wavefront6targetE1EEEvSM_ ; -- Begin function _ZN7rocprim17ROCPRIM_400000_NS6detail17trampoline_kernelINS0_14default_configENS1_38merge_sort_block_merge_config_selectorIlNS0_10empty_typeEEEZZNS1_27merge_sort_block_merge_implIS3_PlPS5_mZN2at6native12_GLOBAL__N_124unique_dim_cuda_templateIfEESt5tupleIJNSA_6TensorESF_SF_EERKSF_lbbbEUlllE_EE10hipError_tT0_T1_T2_jT3_P12ihipStream_tbPNSt15iterator_traitsISL_E10value_typeEPNSR_ISM_E10value_typeEPSN_NS1_7vsmem_tEENKUlT_SL_SM_SN_E_clIS8_S8_S9_S9_EESK_S10_SL_SM_SN_EUlS10_E_NS1_11comp_targetILNS1_3genE0ELNS1_11target_archE4294967295ELNS1_3gpuE0ELNS1_3repE0EEENS1_48merge_mergepath_partition_config_static_selectorELNS0_4arch9wavefront6targetE1EEEvSM_
	.p2align	8
	.type	_ZN7rocprim17ROCPRIM_400000_NS6detail17trampoline_kernelINS0_14default_configENS1_38merge_sort_block_merge_config_selectorIlNS0_10empty_typeEEEZZNS1_27merge_sort_block_merge_implIS3_PlPS5_mZN2at6native12_GLOBAL__N_124unique_dim_cuda_templateIfEESt5tupleIJNSA_6TensorESF_SF_EERKSF_lbbbEUlllE_EE10hipError_tT0_T1_T2_jT3_P12ihipStream_tbPNSt15iterator_traitsISL_E10value_typeEPNSR_ISM_E10value_typeEPSN_NS1_7vsmem_tEENKUlT_SL_SM_SN_E_clIS8_S8_S9_S9_EESK_S10_SL_SM_SN_EUlS10_E_NS1_11comp_targetILNS1_3genE0ELNS1_11target_archE4294967295ELNS1_3gpuE0ELNS1_3repE0EEENS1_48merge_mergepath_partition_config_static_selectorELNS0_4arch9wavefront6targetE1EEEvSM_,@function
_ZN7rocprim17ROCPRIM_400000_NS6detail17trampoline_kernelINS0_14default_configENS1_38merge_sort_block_merge_config_selectorIlNS0_10empty_typeEEEZZNS1_27merge_sort_block_merge_implIS3_PlPS5_mZN2at6native12_GLOBAL__N_124unique_dim_cuda_templateIfEESt5tupleIJNSA_6TensorESF_SF_EERKSF_lbbbEUlllE_EE10hipError_tT0_T1_T2_jT3_P12ihipStream_tbPNSt15iterator_traitsISL_E10value_typeEPNSR_ISM_E10value_typeEPSN_NS1_7vsmem_tEENKUlT_SL_SM_SN_E_clIS8_S8_S9_S9_EESK_S10_SL_SM_SN_EUlS10_E_NS1_11comp_targetILNS1_3genE0ELNS1_11target_archE4294967295ELNS1_3gpuE0ELNS1_3repE0EEENS1_48merge_mergepath_partition_config_static_selectorELNS0_4arch9wavefront6targetE1EEEvSM_: ; @_ZN7rocprim17ROCPRIM_400000_NS6detail17trampoline_kernelINS0_14default_configENS1_38merge_sort_block_merge_config_selectorIlNS0_10empty_typeEEEZZNS1_27merge_sort_block_merge_implIS3_PlPS5_mZN2at6native12_GLOBAL__N_124unique_dim_cuda_templateIfEESt5tupleIJNSA_6TensorESF_SF_EERKSF_lbbbEUlllE_EE10hipError_tT0_T1_T2_jT3_P12ihipStream_tbPNSt15iterator_traitsISL_E10value_typeEPNSR_ISM_E10value_typeEPSN_NS1_7vsmem_tEENKUlT_SL_SM_SN_E_clIS8_S8_S9_S9_EESK_S10_SL_SM_SN_EUlS10_E_NS1_11comp_targetILNS1_3genE0ELNS1_11target_archE4294967295ELNS1_3gpuE0ELNS1_3repE0EEENS1_48merge_mergepath_partition_config_static_selectorELNS0_4arch9wavefront6targetE1EEEvSM_
; %bb.0:
	s_load_dword s3, s[0:1], 0x0
	v_lshl_or_b32 v0, s2, 7, v0
	s_waitcnt lgkmcnt(0)
	v_cmp_gt_u32_e32 vcc, s3, v0
	s_and_saveexec_b64 s[2:3], vcc
	s_cbranch_execz .LBB880_12
; %bb.1:
	s_load_dwordx4 s[12:15], s[0:1], 0x8
	s_load_dwordx8 s[4:11], s[0:1], 0x18
	v_mov_b32_e32 v5, 0
	v_mov_b32_e32 v7, v5
	s_waitcnt lgkmcnt(0)
	s_lshr_b64 s[0:1], s[12:13], 9
	s_and_b32 s0, s0, -2
	s_add_i32 s1, s0, -1
	s_sub_i32 s0, 0, s0
	v_and_b32_e32 v4, s0, v0
	v_lshlrev_b64 v[8:9], 10, v[4:5]
	v_mov_b32_e32 v1, s15
	v_cmp_lt_u64_e32 vcc, s[14:15], v[8:9]
	v_mov_b32_e32 v4, s14
	v_and_b32_e32 v6, s1, v0
	v_cndmask_b32_e32 v3, v9, v1, vcc
	v_cndmask_b32_e32 v2, v8, v4, vcc
	v_lshl_add_u64 v[8:9], v[8:9], 0, s[12:13]
	v_cmp_lt_u64_e32 vcc, s[14:15], v[8:9]
	s_nop 1
	v_cndmask_b32_e32 v11, v9, v1, vcc
	v_cndmask_b32_e32 v10, v8, v4, vcc
	v_lshl_add_u64 v[8:9], v[10:11], 0, s[12:13]
	v_cmp_lt_u64_e32 vcc, s[14:15], v[8:9]
	s_nop 1
	v_cndmask_b32_e32 v14, v8, v4, vcc
	v_cndmask_b32_e32 v1, v9, v1, vcc
	v_sub_co_u32_e32 v8, vcc, v14, v2
	v_lshlrev_b64 v[4:5], 10, v[6:7]
	s_nop 0
	v_subb_co_u32_e32 v9, vcc, v1, v3, vcc
	v_cmp_lt_u64_e32 vcc, v[8:9], v[4:5]
	s_nop 1
	v_cndmask_b32_e32 v13, v5, v9, vcc
	v_cndmask_b32_e32 v12, v4, v8, vcc
	v_sub_co_u32_e32 v6, vcc, v10, v2
	s_nop 1
	v_subb_co_u32_e32 v7, vcc, v11, v3, vcc
	v_sub_co_u32_e32 v4, vcc, v10, v14
	s_nop 1
	v_subb_co_u32_e32 v5, vcc, v11, v1, vcc
	v_lshl_add_u64 v[4:5], v[12:13], 0, v[4:5]
	v_cmp_gt_u64_e32 vcc, v[4:5], v[12:13]
	s_nop 1
	v_cndmask_b32_e64 v5, v5, 0, vcc
	v_cndmask_b32_e64 v4, v4, 0, vcc
	v_cmp_lt_u64_e32 vcc, v[12:13], v[6:7]
	s_nop 1
	v_cndmask_b32_e32 v7, v7, v13, vcc
	v_cndmask_b32_e32 v6, v6, v12, vcc
	v_cmp_lt_u64_e32 vcc, v[4:5], v[6:7]
	s_and_saveexec_b64 s[12:13], vcc
	s_cbranch_execz .LBB880_11
; %bb.2:
	v_cmp_gt_i64_e64 s[0:1], s[6:7], 0
	v_lshl_add_u64 v[10:11], v[10:11], 3, s[4:5]
	v_lshl_add_u64 v[8:9], v[2:3], 3, s[4:5]
	v_cndmask_b32_e64 v1, 0, 1, s[0:1]
	s_mov_b64 s[4:5], 0
	v_lshl_add_u64 v[10:11], v[12:13], 3, v[10:11]
	s_lshl_b64 s[14:15], s[6:7], 2
	v_cmp_ne_u32_e64 s[0:1], 1, v1
	s_branch .LBB880_5
.LBB880_3:                              ;   in Loop: Header=BB880_5 Depth=1
	s_or_b64 exec, exec, s[18:19]
.LBB880_4:                              ;   in Loop: Header=BB880_5 Depth=1
	v_lshl_add_u64 v[14:15], v[12:13], 0, 1
	v_cndmask_b32_e64 v7, v7, v13, s[16:17]
	v_cndmask_b32_e64 v6, v6, v12, s[16:17]
	;; [unrolled: 1-line block ×4, first 2 shown]
	v_cmp_ge_u64_e32 vcc, v[4:5], v[6:7]
	s_or_b64 s[4:5], vcc, s[4:5]
	s_andn2_b64 exec, exec, s[4:5]
	s_cbranch_execz .LBB880_10
.LBB880_5:                              ; =>This Loop Header: Depth=1
                                        ;     Child Loop BB880_8 Depth 2
	v_lshl_add_u64 v[12:13], v[6:7], 0, v[4:5]
	v_lshrrev_b64 v[12:13], 1, v[12:13]
	s_and_b64 vcc, exec, s[0:1]
	s_mov_b64 s[16:17], 0
	s_cbranch_vccnz .LBB880_4
; %bb.6:                                ;   in Loop: Header=BB880_5 Depth=1
	v_not_b32_e32 v15, v13
	v_not_b32_e32 v14, v12
	v_lshl_add_u64 v[14:15], v[14:15], 3, v[10:11]
	v_lshl_add_u64 v[16:17], v[12:13], 3, v[8:9]
	global_load_dwordx2 v[14:15], v[14:15], off
	v_mov_b64_e32 v[18:19], s[8:9]
	global_load_dwordx2 v[16:17], v[16:17], off
	s_mov_b64 s[18:19], 0
                                        ; implicit-def: $sgpr16_sgpr17
                                        ; implicit-def: $sgpr20_sgpr21
                                        ; implicit-def: $sgpr2_sgpr3
                                        ; implicit-def: $sgpr24_sgpr25
	s_waitcnt vmcnt(1)
	v_mul_lo_u32 v1, s14, v15
	v_mul_lo_u32 v20, s15, v14
	v_mad_u64_u32 v[14:15], s[22:23], s14, v14, v[18:19]
	s_waitcnt vmcnt(0)
	v_mul_lo_u32 v21, s14, v17
	v_mul_lo_u32 v22, s15, v16
	v_mad_u64_u32 v[16:17], s[22:23], s14, v16, v[18:19]
	v_add3_u32 v15, v20, v15, v1
	v_add3_u32 v17, v22, v17, v21
	s_mov_b64 s[22:23], s[6:7]
	s_branch .LBB880_8
.LBB880_7:                              ;   in Loop: Header=BB880_8 Depth=2
	s_or_b64 exec, exec, s[28:29]
	s_and_b64 s[28:29], exec, s[20:21]
	s_or_b64 s[18:19], s[28:29], s[18:19]
	s_andn2_b64 s[24:25], s[24:25], exec
	s_and_b64 s[26:27], s[26:27], exec
	s_or_b64 s[24:25], s[24:25], s[26:27]
	s_andn2_b64 s[16:17], s[16:17], exec
	s_and_b64 s[26:27], s[2:3], exec
	s_or_b64 s[16:17], s[16:17], s[26:27]
	s_andn2_b64 exec, exec, s[18:19]
	s_cbranch_execz .LBB880_3
.LBB880_8:                              ;   Parent Loop BB880_5 Depth=1
                                        ; =>  This Inner Loop Header: Depth=2
	global_load_dword v1, v[14:15], off
	global_load_dword v18, v[16:17], off
	s_andn2_b64 s[28:29], s[2:3], exec
	s_or_b64 s[20:21], s[20:21], exec
	s_waitcnt vmcnt(0)
	v_cmp_ngt_f32_e64 s[2:3], v1, v18
	v_cmp_lt_f32_e32 vcc, v1, v18
	s_and_b64 s[26:27], s[2:3], s[24:25]
	s_or_b64 s[26:27], vcc, s[26:27]
	s_xor_b64 s[30:31], vcc, s[2:3]
	s_and_b64 s[2:3], s[26:27], exec
	s_or_b64 s[2:3], s[28:29], s[2:3]
	s_and_saveexec_b64 s[28:29], s[30:31]
	s_cbranch_execz .LBB880_7
; %bb.9:                                ;   in Loop: Header=BB880_8 Depth=2
	s_add_u32 s22, s22, -1
	s_addc_u32 s23, s23, -1
	s_cmp_eq_u64 s[22:23], 0
	s_cselect_b64 s[24:25], -1, 0
	s_andn2_b64 s[20:21], s[20:21], exec
	s_and_b64 s[24:25], s[24:25], exec
	v_lshl_add_u64 v[14:15], v[14:15], 0, 4
	v_lshl_add_u64 v[16:17], v[16:17], 0, 4
	s_andn2_b64 s[2:3], s[2:3], exec
	s_or_b64 s[20:21], s[20:21], s[24:25]
                                        ; implicit-def: $sgpr24_sgpr25
	s_branch .LBB880_7
.LBB880_10:
	s_or_b64 exec, exec, s[4:5]
.LBB880_11:
	s_or_b64 exec, exec, s[12:13]
	v_mov_b32_e32 v6, s10
	v_mov_b32_e32 v7, s11
	;; [unrolled: 1-line block ×3, first 2 shown]
	v_lshl_add_u64 v[2:3], v[4:5], 0, v[2:3]
	v_lshl_add_u64 v[0:1], v[0:1], 3, v[6:7]
	global_store_dwordx2 v[0:1], v[2:3], off
.LBB880_12:
	s_endpgm
	.section	.rodata,"a",@progbits
	.p2align	6, 0x0
	.amdhsa_kernel _ZN7rocprim17ROCPRIM_400000_NS6detail17trampoline_kernelINS0_14default_configENS1_38merge_sort_block_merge_config_selectorIlNS0_10empty_typeEEEZZNS1_27merge_sort_block_merge_implIS3_PlPS5_mZN2at6native12_GLOBAL__N_124unique_dim_cuda_templateIfEESt5tupleIJNSA_6TensorESF_SF_EERKSF_lbbbEUlllE_EE10hipError_tT0_T1_T2_jT3_P12ihipStream_tbPNSt15iterator_traitsISL_E10value_typeEPNSR_ISM_E10value_typeEPSN_NS1_7vsmem_tEENKUlT_SL_SM_SN_E_clIS8_S8_S9_S9_EESK_S10_SL_SM_SN_EUlS10_E_NS1_11comp_targetILNS1_3genE0ELNS1_11target_archE4294967295ELNS1_3gpuE0ELNS1_3repE0EEENS1_48merge_mergepath_partition_config_static_selectorELNS0_4arch9wavefront6targetE1EEEvSM_
		.amdhsa_group_segment_fixed_size 0
		.amdhsa_private_segment_fixed_size 0
		.amdhsa_kernarg_size 56
		.amdhsa_user_sgpr_count 2
		.amdhsa_user_sgpr_dispatch_ptr 0
		.amdhsa_user_sgpr_queue_ptr 0
		.amdhsa_user_sgpr_kernarg_segment_ptr 1
		.amdhsa_user_sgpr_dispatch_id 0
		.amdhsa_user_sgpr_kernarg_preload_length 0
		.amdhsa_user_sgpr_kernarg_preload_offset 0
		.amdhsa_user_sgpr_private_segment_size 0
		.amdhsa_uses_dynamic_stack 0
		.amdhsa_enable_private_segment 0
		.amdhsa_system_sgpr_workgroup_id_x 1
		.amdhsa_system_sgpr_workgroup_id_y 0
		.amdhsa_system_sgpr_workgroup_id_z 0
		.amdhsa_system_sgpr_workgroup_info 0
		.amdhsa_system_vgpr_workitem_id 0
		.amdhsa_next_free_vgpr 23
		.amdhsa_next_free_sgpr 32
		.amdhsa_accum_offset 24
		.amdhsa_reserve_vcc 1
		.amdhsa_float_round_mode_32 0
		.amdhsa_float_round_mode_16_64 0
		.amdhsa_float_denorm_mode_32 3
		.amdhsa_float_denorm_mode_16_64 3
		.amdhsa_dx10_clamp 1
		.amdhsa_ieee_mode 1
		.amdhsa_fp16_overflow 0
		.amdhsa_tg_split 0
		.amdhsa_exception_fp_ieee_invalid_op 0
		.amdhsa_exception_fp_denorm_src 0
		.amdhsa_exception_fp_ieee_div_zero 0
		.amdhsa_exception_fp_ieee_overflow 0
		.amdhsa_exception_fp_ieee_underflow 0
		.amdhsa_exception_fp_ieee_inexact 0
		.amdhsa_exception_int_div_zero 0
	.end_amdhsa_kernel
	.section	.text._ZN7rocprim17ROCPRIM_400000_NS6detail17trampoline_kernelINS0_14default_configENS1_38merge_sort_block_merge_config_selectorIlNS0_10empty_typeEEEZZNS1_27merge_sort_block_merge_implIS3_PlPS5_mZN2at6native12_GLOBAL__N_124unique_dim_cuda_templateIfEESt5tupleIJNSA_6TensorESF_SF_EERKSF_lbbbEUlllE_EE10hipError_tT0_T1_T2_jT3_P12ihipStream_tbPNSt15iterator_traitsISL_E10value_typeEPNSR_ISM_E10value_typeEPSN_NS1_7vsmem_tEENKUlT_SL_SM_SN_E_clIS8_S8_S9_S9_EESK_S10_SL_SM_SN_EUlS10_E_NS1_11comp_targetILNS1_3genE0ELNS1_11target_archE4294967295ELNS1_3gpuE0ELNS1_3repE0EEENS1_48merge_mergepath_partition_config_static_selectorELNS0_4arch9wavefront6targetE1EEEvSM_,"axG",@progbits,_ZN7rocprim17ROCPRIM_400000_NS6detail17trampoline_kernelINS0_14default_configENS1_38merge_sort_block_merge_config_selectorIlNS0_10empty_typeEEEZZNS1_27merge_sort_block_merge_implIS3_PlPS5_mZN2at6native12_GLOBAL__N_124unique_dim_cuda_templateIfEESt5tupleIJNSA_6TensorESF_SF_EERKSF_lbbbEUlllE_EE10hipError_tT0_T1_T2_jT3_P12ihipStream_tbPNSt15iterator_traitsISL_E10value_typeEPNSR_ISM_E10value_typeEPSN_NS1_7vsmem_tEENKUlT_SL_SM_SN_E_clIS8_S8_S9_S9_EESK_S10_SL_SM_SN_EUlS10_E_NS1_11comp_targetILNS1_3genE0ELNS1_11target_archE4294967295ELNS1_3gpuE0ELNS1_3repE0EEENS1_48merge_mergepath_partition_config_static_selectorELNS0_4arch9wavefront6targetE1EEEvSM_,comdat
.Lfunc_end880:
	.size	_ZN7rocprim17ROCPRIM_400000_NS6detail17trampoline_kernelINS0_14default_configENS1_38merge_sort_block_merge_config_selectorIlNS0_10empty_typeEEEZZNS1_27merge_sort_block_merge_implIS3_PlPS5_mZN2at6native12_GLOBAL__N_124unique_dim_cuda_templateIfEESt5tupleIJNSA_6TensorESF_SF_EERKSF_lbbbEUlllE_EE10hipError_tT0_T1_T2_jT3_P12ihipStream_tbPNSt15iterator_traitsISL_E10value_typeEPNSR_ISM_E10value_typeEPSN_NS1_7vsmem_tEENKUlT_SL_SM_SN_E_clIS8_S8_S9_S9_EESK_S10_SL_SM_SN_EUlS10_E_NS1_11comp_targetILNS1_3genE0ELNS1_11target_archE4294967295ELNS1_3gpuE0ELNS1_3repE0EEENS1_48merge_mergepath_partition_config_static_selectorELNS0_4arch9wavefront6targetE1EEEvSM_, .Lfunc_end880-_ZN7rocprim17ROCPRIM_400000_NS6detail17trampoline_kernelINS0_14default_configENS1_38merge_sort_block_merge_config_selectorIlNS0_10empty_typeEEEZZNS1_27merge_sort_block_merge_implIS3_PlPS5_mZN2at6native12_GLOBAL__N_124unique_dim_cuda_templateIfEESt5tupleIJNSA_6TensorESF_SF_EERKSF_lbbbEUlllE_EE10hipError_tT0_T1_T2_jT3_P12ihipStream_tbPNSt15iterator_traitsISL_E10value_typeEPNSR_ISM_E10value_typeEPSN_NS1_7vsmem_tEENKUlT_SL_SM_SN_E_clIS8_S8_S9_S9_EESK_S10_SL_SM_SN_EUlS10_E_NS1_11comp_targetILNS1_3genE0ELNS1_11target_archE4294967295ELNS1_3gpuE0ELNS1_3repE0EEENS1_48merge_mergepath_partition_config_static_selectorELNS0_4arch9wavefront6targetE1EEEvSM_
                                        ; -- End function
	.set _ZN7rocprim17ROCPRIM_400000_NS6detail17trampoline_kernelINS0_14default_configENS1_38merge_sort_block_merge_config_selectorIlNS0_10empty_typeEEEZZNS1_27merge_sort_block_merge_implIS3_PlPS5_mZN2at6native12_GLOBAL__N_124unique_dim_cuda_templateIfEESt5tupleIJNSA_6TensorESF_SF_EERKSF_lbbbEUlllE_EE10hipError_tT0_T1_T2_jT3_P12ihipStream_tbPNSt15iterator_traitsISL_E10value_typeEPNSR_ISM_E10value_typeEPSN_NS1_7vsmem_tEENKUlT_SL_SM_SN_E_clIS8_S8_S9_S9_EESK_S10_SL_SM_SN_EUlS10_E_NS1_11comp_targetILNS1_3genE0ELNS1_11target_archE4294967295ELNS1_3gpuE0ELNS1_3repE0EEENS1_48merge_mergepath_partition_config_static_selectorELNS0_4arch9wavefront6targetE1EEEvSM_.num_vgpr, 23
	.set _ZN7rocprim17ROCPRIM_400000_NS6detail17trampoline_kernelINS0_14default_configENS1_38merge_sort_block_merge_config_selectorIlNS0_10empty_typeEEEZZNS1_27merge_sort_block_merge_implIS3_PlPS5_mZN2at6native12_GLOBAL__N_124unique_dim_cuda_templateIfEESt5tupleIJNSA_6TensorESF_SF_EERKSF_lbbbEUlllE_EE10hipError_tT0_T1_T2_jT3_P12ihipStream_tbPNSt15iterator_traitsISL_E10value_typeEPNSR_ISM_E10value_typeEPSN_NS1_7vsmem_tEENKUlT_SL_SM_SN_E_clIS8_S8_S9_S9_EESK_S10_SL_SM_SN_EUlS10_E_NS1_11comp_targetILNS1_3genE0ELNS1_11target_archE4294967295ELNS1_3gpuE0ELNS1_3repE0EEENS1_48merge_mergepath_partition_config_static_selectorELNS0_4arch9wavefront6targetE1EEEvSM_.num_agpr, 0
	.set _ZN7rocprim17ROCPRIM_400000_NS6detail17trampoline_kernelINS0_14default_configENS1_38merge_sort_block_merge_config_selectorIlNS0_10empty_typeEEEZZNS1_27merge_sort_block_merge_implIS3_PlPS5_mZN2at6native12_GLOBAL__N_124unique_dim_cuda_templateIfEESt5tupleIJNSA_6TensorESF_SF_EERKSF_lbbbEUlllE_EE10hipError_tT0_T1_T2_jT3_P12ihipStream_tbPNSt15iterator_traitsISL_E10value_typeEPNSR_ISM_E10value_typeEPSN_NS1_7vsmem_tEENKUlT_SL_SM_SN_E_clIS8_S8_S9_S9_EESK_S10_SL_SM_SN_EUlS10_E_NS1_11comp_targetILNS1_3genE0ELNS1_11target_archE4294967295ELNS1_3gpuE0ELNS1_3repE0EEENS1_48merge_mergepath_partition_config_static_selectorELNS0_4arch9wavefront6targetE1EEEvSM_.numbered_sgpr, 32
	.set _ZN7rocprim17ROCPRIM_400000_NS6detail17trampoline_kernelINS0_14default_configENS1_38merge_sort_block_merge_config_selectorIlNS0_10empty_typeEEEZZNS1_27merge_sort_block_merge_implIS3_PlPS5_mZN2at6native12_GLOBAL__N_124unique_dim_cuda_templateIfEESt5tupleIJNSA_6TensorESF_SF_EERKSF_lbbbEUlllE_EE10hipError_tT0_T1_T2_jT3_P12ihipStream_tbPNSt15iterator_traitsISL_E10value_typeEPNSR_ISM_E10value_typeEPSN_NS1_7vsmem_tEENKUlT_SL_SM_SN_E_clIS8_S8_S9_S9_EESK_S10_SL_SM_SN_EUlS10_E_NS1_11comp_targetILNS1_3genE0ELNS1_11target_archE4294967295ELNS1_3gpuE0ELNS1_3repE0EEENS1_48merge_mergepath_partition_config_static_selectorELNS0_4arch9wavefront6targetE1EEEvSM_.num_named_barrier, 0
	.set _ZN7rocprim17ROCPRIM_400000_NS6detail17trampoline_kernelINS0_14default_configENS1_38merge_sort_block_merge_config_selectorIlNS0_10empty_typeEEEZZNS1_27merge_sort_block_merge_implIS3_PlPS5_mZN2at6native12_GLOBAL__N_124unique_dim_cuda_templateIfEESt5tupleIJNSA_6TensorESF_SF_EERKSF_lbbbEUlllE_EE10hipError_tT0_T1_T2_jT3_P12ihipStream_tbPNSt15iterator_traitsISL_E10value_typeEPNSR_ISM_E10value_typeEPSN_NS1_7vsmem_tEENKUlT_SL_SM_SN_E_clIS8_S8_S9_S9_EESK_S10_SL_SM_SN_EUlS10_E_NS1_11comp_targetILNS1_3genE0ELNS1_11target_archE4294967295ELNS1_3gpuE0ELNS1_3repE0EEENS1_48merge_mergepath_partition_config_static_selectorELNS0_4arch9wavefront6targetE1EEEvSM_.private_seg_size, 0
	.set _ZN7rocprim17ROCPRIM_400000_NS6detail17trampoline_kernelINS0_14default_configENS1_38merge_sort_block_merge_config_selectorIlNS0_10empty_typeEEEZZNS1_27merge_sort_block_merge_implIS3_PlPS5_mZN2at6native12_GLOBAL__N_124unique_dim_cuda_templateIfEESt5tupleIJNSA_6TensorESF_SF_EERKSF_lbbbEUlllE_EE10hipError_tT0_T1_T2_jT3_P12ihipStream_tbPNSt15iterator_traitsISL_E10value_typeEPNSR_ISM_E10value_typeEPSN_NS1_7vsmem_tEENKUlT_SL_SM_SN_E_clIS8_S8_S9_S9_EESK_S10_SL_SM_SN_EUlS10_E_NS1_11comp_targetILNS1_3genE0ELNS1_11target_archE4294967295ELNS1_3gpuE0ELNS1_3repE0EEENS1_48merge_mergepath_partition_config_static_selectorELNS0_4arch9wavefront6targetE1EEEvSM_.uses_vcc, 1
	.set _ZN7rocprim17ROCPRIM_400000_NS6detail17trampoline_kernelINS0_14default_configENS1_38merge_sort_block_merge_config_selectorIlNS0_10empty_typeEEEZZNS1_27merge_sort_block_merge_implIS3_PlPS5_mZN2at6native12_GLOBAL__N_124unique_dim_cuda_templateIfEESt5tupleIJNSA_6TensorESF_SF_EERKSF_lbbbEUlllE_EE10hipError_tT0_T1_T2_jT3_P12ihipStream_tbPNSt15iterator_traitsISL_E10value_typeEPNSR_ISM_E10value_typeEPSN_NS1_7vsmem_tEENKUlT_SL_SM_SN_E_clIS8_S8_S9_S9_EESK_S10_SL_SM_SN_EUlS10_E_NS1_11comp_targetILNS1_3genE0ELNS1_11target_archE4294967295ELNS1_3gpuE0ELNS1_3repE0EEENS1_48merge_mergepath_partition_config_static_selectorELNS0_4arch9wavefront6targetE1EEEvSM_.uses_flat_scratch, 0
	.set _ZN7rocprim17ROCPRIM_400000_NS6detail17trampoline_kernelINS0_14default_configENS1_38merge_sort_block_merge_config_selectorIlNS0_10empty_typeEEEZZNS1_27merge_sort_block_merge_implIS3_PlPS5_mZN2at6native12_GLOBAL__N_124unique_dim_cuda_templateIfEESt5tupleIJNSA_6TensorESF_SF_EERKSF_lbbbEUlllE_EE10hipError_tT0_T1_T2_jT3_P12ihipStream_tbPNSt15iterator_traitsISL_E10value_typeEPNSR_ISM_E10value_typeEPSN_NS1_7vsmem_tEENKUlT_SL_SM_SN_E_clIS8_S8_S9_S9_EESK_S10_SL_SM_SN_EUlS10_E_NS1_11comp_targetILNS1_3genE0ELNS1_11target_archE4294967295ELNS1_3gpuE0ELNS1_3repE0EEENS1_48merge_mergepath_partition_config_static_selectorELNS0_4arch9wavefront6targetE1EEEvSM_.has_dyn_sized_stack, 0
	.set _ZN7rocprim17ROCPRIM_400000_NS6detail17trampoline_kernelINS0_14default_configENS1_38merge_sort_block_merge_config_selectorIlNS0_10empty_typeEEEZZNS1_27merge_sort_block_merge_implIS3_PlPS5_mZN2at6native12_GLOBAL__N_124unique_dim_cuda_templateIfEESt5tupleIJNSA_6TensorESF_SF_EERKSF_lbbbEUlllE_EE10hipError_tT0_T1_T2_jT3_P12ihipStream_tbPNSt15iterator_traitsISL_E10value_typeEPNSR_ISM_E10value_typeEPSN_NS1_7vsmem_tEENKUlT_SL_SM_SN_E_clIS8_S8_S9_S9_EESK_S10_SL_SM_SN_EUlS10_E_NS1_11comp_targetILNS1_3genE0ELNS1_11target_archE4294967295ELNS1_3gpuE0ELNS1_3repE0EEENS1_48merge_mergepath_partition_config_static_selectorELNS0_4arch9wavefront6targetE1EEEvSM_.has_recursion, 0
	.set _ZN7rocprim17ROCPRIM_400000_NS6detail17trampoline_kernelINS0_14default_configENS1_38merge_sort_block_merge_config_selectorIlNS0_10empty_typeEEEZZNS1_27merge_sort_block_merge_implIS3_PlPS5_mZN2at6native12_GLOBAL__N_124unique_dim_cuda_templateIfEESt5tupleIJNSA_6TensorESF_SF_EERKSF_lbbbEUlllE_EE10hipError_tT0_T1_T2_jT3_P12ihipStream_tbPNSt15iterator_traitsISL_E10value_typeEPNSR_ISM_E10value_typeEPSN_NS1_7vsmem_tEENKUlT_SL_SM_SN_E_clIS8_S8_S9_S9_EESK_S10_SL_SM_SN_EUlS10_E_NS1_11comp_targetILNS1_3genE0ELNS1_11target_archE4294967295ELNS1_3gpuE0ELNS1_3repE0EEENS1_48merge_mergepath_partition_config_static_selectorELNS0_4arch9wavefront6targetE1EEEvSM_.has_indirect_call, 0
	.section	.AMDGPU.csdata,"",@progbits
; Kernel info:
; codeLenInByte = 768
; TotalNumSgprs: 38
; NumVgprs: 23
; NumAgprs: 0
; TotalNumVgprs: 23
; ScratchSize: 0
; MemoryBound: 0
; FloatMode: 240
; IeeeMode: 1
; LDSByteSize: 0 bytes/workgroup (compile time only)
; SGPRBlocks: 4
; VGPRBlocks: 2
; NumSGPRsForWavesPerEU: 38
; NumVGPRsForWavesPerEU: 23
; AccumOffset: 24
; Occupancy: 8
; WaveLimiterHint : 0
; COMPUTE_PGM_RSRC2:SCRATCH_EN: 0
; COMPUTE_PGM_RSRC2:USER_SGPR: 2
; COMPUTE_PGM_RSRC2:TRAP_HANDLER: 0
; COMPUTE_PGM_RSRC2:TGID_X_EN: 1
; COMPUTE_PGM_RSRC2:TGID_Y_EN: 0
; COMPUTE_PGM_RSRC2:TGID_Z_EN: 0
; COMPUTE_PGM_RSRC2:TIDIG_COMP_CNT: 0
; COMPUTE_PGM_RSRC3_GFX90A:ACCUM_OFFSET: 5
; COMPUTE_PGM_RSRC3_GFX90A:TG_SPLIT: 0
	.section	.text._ZN7rocprim17ROCPRIM_400000_NS6detail17trampoline_kernelINS0_14default_configENS1_38merge_sort_block_merge_config_selectorIlNS0_10empty_typeEEEZZNS1_27merge_sort_block_merge_implIS3_PlPS5_mZN2at6native12_GLOBAL__N_124unique_dim_cuda_templateIfEESt5tupleIJNSA_6TensorESF_SF_EERKSF_lbbbEUlllE_EE10hipError_tT0_T1_T2_jT3_P12ihipStream_tbPNSt15iterator_traitsISL_E10value_typeEPNSR_ISM_E10value_typeEPSN_NS1_7vsmem_tEENKUlT_SL_SM_SN_E_clIS8_S8_S9_S9_EESK_S10_SL_SM_SN_EUlS10_E_NS1_11comp_targetILNS1_3genE10ELNS1_11target_archE1201ELNS1_3gpuE5ELNS1_3repE0EEENS1_48merge_mergepath_partition_config_static_selectorELNS0_4arch9wavefront6targetE1EEEvSM_,"axG",@progbits,_ZN7rocprim17ROCPRIM_400000_NS6detail17trampoline_kernelINS0_14default_configENS1_38merge_sort_block_merge_config_selectorIlNS0_10empty_typeEEEZZNS1_27merge_sort_block_merge_implIS3_PlPS5_mZN2at6native12_GLOBAL__N_124unique_dim_cuda_templateIfEESt5tupleIJNSA_6TensorESF_SF_EERKSF_lbbbEUlllE_EE10hipError_tT0_T1_T2_jT3_P12ihipStream_tbPNSt15iterator_traitsISL_E10value_typeEPNSR_ISM_E10value_typeEPSN_NS1_7vsmem_tEENKUlT_SL_SM_SN_E_clIS8_S8_S9_S9_EESK_S10_SL_SM_SN_EUlS10_E_NS1_11comp_targetILNS1_3genE10ELNS1_11target_archE1201ELNS1_3gpuE5ELNS1_3repE0EEENS1_48merge_mergepath_partition_config_static_selectorELNS0_4arch9wavefront6targetE1EEEvSM_,comdat
	.globl	_ZN7rocprim17ROCPRIM_400000_NS6detail17trampoline_kernelINS0_14default_configENS1_38merge_sort_block_merge_config_selectorIlNS0_10empty_typeEEEZZNS1_27merge_sort_block_merge_implIS3_PlPS5_mZN2at6native12_GLOBAL__N_124unique_dim_cuda_templateIfEESt5tupleIJNSA_6TensorESF_SF_EERKSF_lbbbEUlllE_EE10hipError_tT0_T1_T2_jT3_P12ihipStream_tbPNSt15iterator_traitsISL_E10value_typeEPNSR_ISM_E10value_typeEPSN_NS1_7vsmem_tEENKUlT_SL_SM_SN_E_clIS8_S8_S9_S9_EESK_S10_SL_SM_SN_EUlS10_E_NS1_11comp_targetILNS1_3genE10ELNS1_11target_archE1201ELNS1_3gpuE5ELNS1_3repE0EEENS1_48merge_mergepath_partition_config_static_selectorELNS0_4arch9wavefront6targetE1EEEvSM_ ; -- Begin function _ZN7rocprim17ROCPRIM_400000_NS6detail17trampoline_kernelINS0_14default_configENS1_38merge_sort_block_merge_config_selectorIlNS0_10empty_typeEEEZZNS1_27merge_sort_block_merge_implIS3_PlPS5_mZN2at6native12_GLOBAL__N_124unique_dim_cuda_templateIfEESt5tupleIJNSA_6TensorESF_SF_EERKSF_lbbbEUlllE_EE10hipError_tT0_T1_T2_jT3_P12ihipStream_tbPNSt15iterator_traitsISL_E10value_typeEPNSR_ISM_E10value_typeEPSN_NS1_7vsmem_tEENKUlT_SL_SM_SN_E_clIS8_S8_S9_S9_EESK_S10_SL_SM_SN_EUlS10_E_NS1_11comp_targetILNS1_3genE10ELNS1_11target_archE1201ELNS1_3gpuE5ELNS1_3repE0EEENS1_48merge_mergepath_partition_config_static_selectorELNS0_4arch9wavefront6targetE1EEEvSM_
	.p2align	8
	.type	_ZN7rocprim17ROCPRIM_400000_NS6detail17trampoline_kernelINS0_14default_configENS1_38merge_sort_block_merge_config_selectorIlNS0_10empty_typeEEEZZNS1_27merge_sort_block_merge_implIS3_PlPS5_mZN2at6native12_GLOBAL__N_124unique_dim_cuda_templateIfEESt5tupleIJNSA_6TensorESF_SF_EERKSF_lbbbEUlllE_EE10hipError_tT0_T1_T2_jT3_P12ihipStream_tbPNSt15iterator_traitsISL_E10value_typeEPNSR_ISM_E10value_typeEPSN_NS1_7vsmem_tEENKUlT_SL_SM_SN_E_clIS8_S8_S9_S9_EESK_S10_SL_SM_SN_EUlS10_E_NS1_11comp_targetILNS1_3genE10ELNS1_11target_archE1201ELNS1_3gpuE5ELNS1_3repE0EEENS1_48merge_mergepath_partition_config_static_selectorELNS0_4arch9wavefront6targetE1EEEvSM_,@function
_ZN7rocprim17ROCPRIM_400000_NS6detail17trampoline_kernelINS0_14default_configENS1_38merge_sort_block_merge_config_selectorIlNS0_10empty_typeEEEZZNS1_27merge_sort_block_merge_implIS3_PlPS5_mZN2at6native12_GLOBAL__N_124unique_dim_cuda_templateIfEESt5tupleIJNSA_6TensorESF_SF_EERKSF_lbbbEUlllE_EE10hipError_tT0_T1_T2_jT3_P12ihipStream_tbPNSt15iterator_traitsISL_E10value_typeEPNSR_ISM_E10value_typeEPSN_NS1_7vsmem_tEENKUlT_SL_SM_SN_E_clIS8_S8_S9_S9_EESK_S10_SL_SM_SN_EUlS10_E_NS1_11comp_targetILNS1_3genE10ELNS1_11target_archE1201ELNS1_3gpuE5ELNS1_3repE0EEENS1_48merge_mergepath_partition_config_static_selectorELNS0_4arch9wavefront6targetE1EEEvSM_: ; @_ZN7rocprim17ROCPRIM_400000_NS6detail17trampoline_kernelINS0_14default_configENS1_38merge_sort_block_merge_config_selectorIlNS0_10empty_typeEEEZZNS1_27merge_sort_block_merge_implIS3_PlPS5_mZN2at6native12_GLOBAL__N_124unique_dim_cuda_templateIfEESt5tupleIJNSA_6TensorESF_SF_EERKSF_lbbbEUlllE_EE10hipError_tT0_T1_T2_jT3_P12ihipStream_tbPNSt15iterator_traitsISL_E10value_typeEPNSR_ISM_E10value_typeEPSN_NS1_7vsmem_tEENKUlT_SL_SM_SN_E_clIS8_S8_S9_S9_EESK_S10_SL_SM_SN_EUlS10_E_NS1_11comp_targetILNS1_3genE10ELNS1_11target_archE1201ELNS1_3gpuE5ELNS1_3repE0EEENS1_48merge_mergepath_partition_config_static_selectorELNS0_4arch9wavefront6targetE1EEEvSM_
; %bb.0:
	.section	.rodata,"a",@progbits
	.p2align	6, 0x0
	.amdhsa_kernel _ZN7rocprim17ROCPRIM_400000_NS6detail17trampoline_kernelINS0_14default_configENS1_38merge_sort_block_merge_config_selectorIlNS0_10empty_typeEEEZZNS1_27merge_sort_block_merge_implIS3_PlPS5_mZN2at6native12_GLOBAL__N_124unique_dim_cuda_templateIfEESt5tupleIJNSA_6TensorESF_SF_EERKSF_lbbbEUlllE_EE10hipError_tT0_T1_T2_jT3_P12ihipStream_tbPNSt15iterator_traitsISL_E10value_typeEPNSR_ISM_E10value_typeEPSN_NS1_7vsmem_tEENKUlT_SL_SM_SN_E_clIS8_S8_S9_S9_EESK_S10_SL_SM_SN_EUlS10_E_NS1_11comp_targetILNS1_3genE10ELNS1_11target_archE1201ELNS1_3gpuE5ELNS1_3repE0EEENS1_48merge_mergepath_partition_config_static_selectorELNS0_4arch9wavefront6targetE1EEEvSM_
		.amdhsa_group_segment_fixed_size 0
		.amdhsa_private_segment_fixed_size 0
		.amdhsa_kernarg_size 56
		.amdhsa_user_sgpr_count 2
		.amdhsa_user_sgpr_dispatch_ptr 0
		.amdhsa_user_sgpr_queue_ptr 0
		.amdhsa_user_sgpr_kernarg_segment_ptr 1
		.amdhsa_user_sgpr_dispatch_id 0
		.amdhsa_user_sgpr_kernarg_preload_length 0
		.amdhsa_user_sgpr_kernarg_preload_offset 0
		.amdhsa_user_sgpr_private_segment_size 0
		.amdhsa_uses_dynamic_stack 0
		.amdhsa_enable_private_segment 0
		.amdhsa_system_sgpr_workgroup_id_x 1
		.amdhsa_system_sgpr_workgroup_id_y 0
		.amdhsa_system_sgpr_workgroup_id_z 0
		.amdhsa_system_sgpr_workgroup_info 0
		.amdhsa_system_vgpr_workitem_id 0
		.amdhsa_next_free_vgpr 1
		.amdhsa_next_free_sgpr 0
		.amdhsa_accum_offset 4
		.amdhsa_reserve_vcc 0
		.amdhsa_float_round_mode_32 0
		.amdhsa_float_round_mode_16_64 0
		.amdhsa_float_denorm_mode_32 3
		.amdhsa_float_denorm_mode_16_64 3
		.amdhsa_dx10_clamp 1
		.amdhsa_ieee_mode 1
		.amdhsa_fp16_overflow 0
		.amdhsa_tg_split 0
		.amdhsa_exception_fp_ieee_invalid_op 0
		.amdhsa_exception_fp_denorm_src 0
		.amdhsa_exception_fp_ieee_div_zero 0
		.amdhsa_exception_fp_ieee_overflow 0
		.amdhsa_exception_fp_ieee_underflow 0
		.amdhsa_exception_fp_ieee_inexact 0
		.amdhsa_exception_int_div_zero 0
	.end_amdhsa_kernel
	.section	.text._ZN7rocprim17ROCPRIM_400000_NS6detail17trampoline_kernelINS0_14default_configENS1_38merge_sort_block_merge_config_selectorIlNS0_10empty_typeEEEZZNS1_27merge_sort_block_merge_implIS3_PlPS5_mZN2at6native12_GLOBAL__N_124unique_dim_cuda_templateIfEESt5tupleIJNSA_6TensorESF_SF_EERKSF_lbbbEUlllE_EE10hipError_tT0_T1_T2_jT3_P12ihipStream_tbPNSt15iterator_traitsISL_E10value_typeEPNSR_ISM_E10value_typeEPSN_NS1_7vsmem_tEENKUlT_SL_SM_SN_E_clIS8_S8_S9_S9_EESK_S10_SL_SM_SN_EUlS10_E_NS1_11comp_targetILNS1_3genE10ELNS1_11target_archE1201ELNS1_3gpuE5ELNS1_3repE0EEENS1_48merge_mergepath_partition_config_static_selectorELNS0_4arch9wavefront6targetE1EEEvSM_,"axG",@progbits,_ZN7rocprim17ROCPRIM_400000_NS6detail17trampoline_kernelINS0_14default_configENS1_38merge_sort_block_merge_config_selectorIlNS0_10empty_typeEEEZZNS1_27merge_sort_block_merge_implIS3_PlPS5_mZN2at6native12_GLOBAL__N_124unique_dim_cuda_templateIfEESt5tupleIJNSA_6TensorESF_SF_EERKSF_lbbbEUlllE_EE10hipError_tT0_T1_T2_jT3_P12ihipStream_tbPNSt15iterator_traitsISL_E10value_typeEPNSR_ISM_E10value_typeEPSN_NS1_7vsmem_tEENKUlT_SL_SM_SN_E_clIS8_S8_S9_S9_EESK_S10_SL_SM_SN_EUlS10_E_NS1_11comp_targetILNS1_3genE10ELNS1_11target_archE1201ELNS1_3gpuE5ELNS1_3repE0EEENS1_48merge_mergepath_partition_config_static_selectorELNS0_4arch9wavefront6targetE1EEEvSM_,comdat
.Lfunc_end881:
	.size	_ZN7rocprim17ROCPRIM_400000_NS6detail17trampoline_kernelINS0_14default_configENS1_38merge_sort_block_merge_config_selectorIlNS0_10empty_typeEEEZZNS1_27merge_sort_block_merge_implIS3_PlPS5_mZN2at6native12_GLOBAL__N_124unique_dim_cuda_templateIfEESt5tupleIJNSA_6TensorESF_SF_EERKSF_lbbbEUlllE_EE10hipError_tT0_T1_T2_jT3_P12ihipStream_tbPNSt15iterator_traitsISL_E10value_typeEPNSR_ISM_E10value_typeEPSN_NS1_7vsmem_tEENKUlT_SL_SM_SN_E_clIS8_S8_S9_S9_EESK_S10_SL_SM_SN_EUlS10_E_NS1_11comp_targetILNS1_3genE10ELNS1_11target_archE1201ELNS1_3gpuE5ELNS1_3repE0EEENS1_48merge_mergepath_partition_config_static_selectorELNS0_4arch9wavefront6targetE1EEEvSM_, .Lfunc_end881-_ZN7rocprim17ROCPRIM_400000_NS6detail17trampoline_kernelINS0_14default_configENS1_38merge_sort_block_merge_config_selectorIlNS0_10empty_typeEEEZZNS1_27merge_sort_block_merge_implIS3_PlPS5_mZN2at6native12_GLOBAL__N_124unique_dim_cuda_templateIfEESt5tupleIJNSA_6TensorESF_SF_EERKSF_lbbbEUlllE_EE10hipError_tT0_T1_T2_jT3_P12ihipStream_tbPNSt15iterator_traitsISL_E10value_typeEPNSR_ISM_E10value_typeEPSN_NS1_7vsmem_tEENKUlT_SL_SM_SN_E_clIS8_S8_S9_S9_EESK_S10_SL_SM_SN_EUlS10_E_NS1_11comp_targetILNS1_3genE10ELNS1_11target_archE1201ELNS1_3gpuE5ELNS1_3repE0EEENS1_48merge_mergepath_partition_config_static_selectorELNS0_4arch9wavefront6targetE1EEEvSM_
                                        ; -- End function
	.set _ZN7rocprim17ROCPRIM_400000_NS6detail17trampoline_kernelINS0_14default_configENS1_38merge_sort_block_merge_config_selectorIlNS0_10empty_typeEEEZZNS1_27merge_sort_block_merge_implIS3_PlPS5_mZN2at6native12_GLOBAL__N_124unique_dim_cuda_templateIfEESt5tupleIJNSA_6TensorESF_SF_EERKSF_lbbbEUlllE_EE10hipError_tT0_T1_T2_jT3_P12ihipStream_tbPNSt15iterator_traitsISL_E10value_typeEPNSR_ISM_E10value_typeEPSN_NS1_7vsmem_tEENKUlT_SL_SM_SN_E_clIS8_S8_S9_S9_EESK_S10_SL_SM_SN_EUlS10_E_NS1_11comp_targetILNS1_3genE10ELNS1_11target_archE1201ELNS1_3gpuE5ELNS1_3repE0EEENS1_48merge_mergepath_partition_config_static_selectorELNS0_4arch9wavefront6targetE1EEEvSM_.num_vgpr, 0
	.set _ZN7rocprim17ROCPRIM_400000_NS6detail17trampoline_kernelINS0_14default_configENS1_38merge_sort_block_merge_config_selectorIlNS0_10empty_typeEEEZZNS1_27merge_sort_block_merge_implIS3_PlPS5_mZN2at6native12_GLOBAL__N_124unique_dim_cuda_templateIfEESt5tupleIJNSA_6TensorESF_SF_EERKSF_lbbbEUlllE_EE10hipError_tT0_T1_T2_jT3_P12ihipStream_tbPNSt15iterator_traitsISL_E10value_typeEPNSR_ISM_E10value_typeEPSN_NS1_7vsmem_tEENKUlT_SL_SM_SN_E_clIS8_S8_S9_S9_EESK_S10_SL_SM_SN_EUlS10_E_NS1_11comp_targetILNS1_3genE10ELNS1_11target_archE1201ELNS1_3gpuE5ELNS1_3repE0EEENS1_48merge_mergepath_partition_config_static_selectorELNS0_4arch9wavefront6targetE1EEEvSM_.num_agpr, 0
	.set _ZN7rocprim17ROCPRIM_400000_NS6detail17trampoline_kernelINS0_14default_configENS1_38merge_sort_block_merge_config_selectorIlNS0_10empty_typeEEEZZNS1_27merge_sort_block_merge_implIS3_PlPS5_mZN2at6native12_GLOBAL__N_124unique_dim_cuda_templateIfEESt5tupleIJNSA_6TensorESF_SF_EERKSF_lbbbEUlllE_EE10hipError_tT0_T1_T2_jT3_P12ihipStream_tbPNSt15iterator_traitsISL_E10value_typeEPNSR_ISM_E10value_typeEPSN_NS1_7vsmem_tEENKUlT_SL_SM_SN_E_clIS8_S8_S9_S9_EESK_S10_SL_SM_SN_EUlS10_E_NS1_11comp_targetILNS1_3genE10ELNS1_11target_archE1201ELNS1_3gpuE5ELNS1_3repE0EEENS1_48merge_mergepath_partition_config_static_selectorELNS0_4arch9wavefront6targetE1EEEvSM_.numbered_sgpr, 0
	.set _ZN7rocprim17ROCPRIM_400000_NS6detail17trampoline_kernelINS0_14default_configENS1_38merge_sort_block_merge_config_selectorIlNS0_10empty_typeEEEZZNS1_27merge_sort_block_merge_implIS3_PlPS5_mZN2at6native12_GLOBAL__N_124unique_dim_cuda_templateIfEESt5tupleIJNSA_6TensorESF_SF_EERKSF_lbbbEUlllE_EE10hipError_tT0_T1_T2_jT3_P12ihipStream_tbPNSt15iterator_traitsISL_E10value_typeEPNSR_ISM_E10value_typeEPSN_NS1_7vsmem_tEENKUlT_SL_SM_SN_E_clIS8_S8_S9_S9_EESK_S10_SL_SM_SN_EUlS10_E_NS1_11comp_targetILNS1_3genE10ELNS1_11target_archE1201ELNS1_3gpuE5ELNS1_3repE0EEENS1_48merge_mergepath_partition_config_static_selectorELNS0_4arch9wavefront6targetE1EEEvSM_.num_named_barrier, 0
	.set _ZN7rocprim17ROCPRIM_400000_NS6detail17trampoline_kernelINS0_14default_configENS1_38merge_sort_block_merge_config_selectorIlNS0_10empty_typeEEEZZNS1_27merge_sort_block_merge_implIS3_PlPS5_mZN2at6native12_GLOBAL__N_124unique_dim_cuda_templateIfEESt5tupleIJNSA_6TensorESF_SF_EERKSF_lbbbEUlllE_EE10hipError_tT0_T1_T2_jT3_P12ihipStream_tbPNSt15iterator_traitsISL_E10value_typeEPNSR_ISM_E10value_typeEPSN_NS1_7vsmem_tEENKUlT_SL_SM_SN_E_clIS8_S8_S9_S9_EESK_S10_SL_SM_SN_EUlS10_E_NS1_11comp_targetILNS1_3genE10ELNS1_11target_archE1201ELNS1_3gpuE5ELNS1_3repE0EEENS1_48merge_mergepath_partition_config_static_selectorELNS0_4arch9wavefront6targetE1EEEvSM_.private_seg_size, 0
	.set _ZN7rocprim17ROCPRIM_400000_NS6detail17trampoline_kernelINS0_14default_configENS1_38merge_sort_block_merge_config_selectorIlNS0_10empty_typeEEEZZNS1_27merge_sort_block_merge_implIS3_PlPS5_mZN2at6native12_GLOBAL__N_124unique_dim_cuda_templateIfEESt5tupleIJNSA_6TensorESF_SF_EERKSF_lbbbEUlllE_EE10hipError_tT0_T1_T2_jT3_P12ihipStream_tbPNSt15iterator_traitsISL_E10value_typeEPNSR_ISM_E10value_typeEPSN_NS1_7vsmem_tEENKUlT_SL_SM_SN_E_clIS8_S8_S9_S9_EESK_S10_SL_SM_SN_EUlS10_E_NS1_11comp_targetILNS1_3genE10ELNS1_11target_archE1201ELNS1_3gpuE5ELNS1_3repE0EEENS1_48merge_mergepath_partition_config_static_selectorELNS0_4arch9wavefront6targetE1EEEvSM_.uses_vcc, 0
	.set _ZN7rocprim17ROCPRIM_400000_NS6detail17trampoline_kernelINS0_14default_configENS1_38merge_sort_block_merge_config_selectorIlNS0_10empty_typeEEEZZNS1_27merge_sort_block_merge_implIS3_PlPS5_mZN2at6native12_GLOBAL__N_124unique_dim_cuda_templateIfEESt5tupleIJNSA_6TensorESF_SF_EERKSF_lbbbEUlllE_EE10hipError_tT0_T1_T2_jT3_P12ihipStream_tbPNSt15iterator_traitsISL_E10value_typeEPNSR_ISM_E10value_typeEPSN_NS1_7vsmem_tEENKUlT_SL_SM_SN_E_clIS8_S8_S9_S9_EESK_S10_SL_SM_SN_EUlS10_E_NS1_11comp_targetILNS1_3genE10ELNS1_11target_archE1201ELNS1_3gpuE5ELNS1_3repE0EEENS1_48merge_mergepath_partition_config_static_selectorELNS0_4arch9wavefront6targetE1EEEvSM_.uses_flat_scratch, 0
	.set _ZN7rocprim17ROCPRIM_400000_NS6detail17trampoline_kernelINS0_14default_configENS1_38merge_sort_block_merge_config_selectorIlNS0_10empty_typeEEEZZNS1_27merge_sort_block_merge_implIS3_PlPS5_mZN2at6native12_GLOBAL__N_124unique_dim_cuda_templateIfEESt5tupleIJNSA_6TensorESF_SF_EERKSF_lbbbEUlllE_EE10hipError_tT0_T1_T2_jT3_P12ihipStream_tbPNSt15iterator_traitsISL_E10value_typeEPNSR_ISM_E10value_typeEPSN_NS1_7vsmem_tEENKUlT_SL_SM_SN_E_clIS8_S8_S9_S9_EESK_S10_SL_SM_SN_EUlS10_E_NS1_11comp_targetILNS1_3genE10ELNS1_11target_archE1201ELNS1_3gpuE5ELNS1_3repE0EEENS1_48merge_mergepath_partition_config_static_selectorELNS0_4arch9wavefront6targetE1EEEvSM_.has_dyn_sized_stack, 0
	.set _ZN7rocprim17ROCPRIM_400000_NS6detail17trampoline_kernelINS0_14default_configENS1_38merge_sort_block_merge_config_selectorIlNS0_10empty_typeEEEZZNS1_27merge_sort_block_merge_implIS3_PlPS5_mZN2at6native12_GLOBAL__N_124unique_dim_cuda_templateIfEESt5tupleIJNSA_6TensorESF_SF_EERKSF_lbbbEUlllE_EE10hipError_tT0_T1_T2_jT3_P12ihipStream_tbPNSt15iterator_traitsISL_E10value_typeEPNSR_ISM_E10value_typeEPSN_NS1_7vsmem_tEENKUlT_SL_SM_SN_E_clIS8_S8_S9_S9_EESK_S10_SL_SM_SN_EUlS10_E_NS1_11comp_targetILNS1_3genE10ELNS1_11target_archE1201ELNS1_3gpuE5ELNS1_3repE0EEENS1_48merge_mergepath_partition_config_static_selectorELNS0_4arch9wavefront6targetE1EEEvSM_.has_recursion, 0
	.set _ZN7rocprim17ROCPRIM_400000_NS6detail17trampoline_kernelINS0_14default_configENS1_38merge_sort_block_merge_config_selectorIlNS0_10empty_typeEEEZZNS1_27merge_sort_block_merge_implIS3_PlPS5_mZN2at6native12_GLOBAL__N_124unique_dim_cuda_templateIfEESt5tupleIJNSA_6TensorESF_SF_EERKSF_lbbbEUlllE_EE10hipError_tT0_T1_T2_jT3_P12ihipStream_tbPNSt15iterator_traitsISL_E10value_typeEPNSR_ISM_E10value_typeEPSN_NS1_7vsmem_tEENKUlT_SL_SM_SN_E_clIS8_S8_S9_S9_EESK_S10_SL_SM_SN_EUlS10_E_NS1_11comp_targetILNS1_3genE10ELNS1_11target_archE1201ELNS1_3gpuE5ELNS1_3repE0EEENS1_48merge_mergepath_partition_config_static_selectorELNS0_4arch9wavefront6targetE1EEEvSM_.has_indirect_call, 0
	.section	.AMDGPU.csdata,"",@progbits
; Kernel info:
; codeLenInByte = 0
; TotalNumSgprs: 6
; NumVgprs: 0
; NumAgprs: 0
; TotalNumVgprs: 0
; ScratchSize: 0
; MemoryBound: 0
; FloatMode: 240
; IeeeMode: 1
; LDSByteSize: 0 bytes/workgroup (compile time only)
; SGPRBlocks: 0
; VGPRBlocks: 0
; NumSGPRsForWavesPerEU: 6
; NumVGPRsForWavesPerEU: 1
; AccumOffset: 4
; Occupancy: 8
; WaveLimiterHint : 0
; COMPUTE_PGM_RSRC2:SCRATCH_EN: 0
; COMPUTE_PGM_RSRC2:USER_SGPR: 2
; COMPUTE_PGM_RSRC2:TRAP_HANDLER: 0
; COMPUTE_PGM_RSRC2:TGID_X_EN: 1
; COMPUTE_PGM_RSRC2:TGID_Y_EN: 0
; COMPUTE_PGM_RSRC2:TGID_Z_EN: 0
; COMPUTE_PGM_RSRC2:TIDIG_COMP_CNT: 0
; COMPUTE_PGM_RSRC3_GFX90A:ACCUM_OFFSET: 0
; COMPUTE_PGM_RSRC3_GFX90A:TG_SPLIT: 0
	.section	.text._ZN7rocprim17ROCPRIM_400000_NS6detail17trampoline_kernelINS0_14default_configENS1_38merge_sort_block_merge_config_selectorIlNS0_10empty_typeEEEZZNS1_27merge_sort_block_merge_implIS3_PlPS5_mZN2at6native12_GLOBAL__N_124unique_dim_cuda_templateIfEESt5tupleIJNSA_6TensorESF_SF_EERKSF_lbbbEUlllE_EE10hipError_tT0_T1_T2_jT3_P12ihipStream_tbPNSt15iterator_traitsISL_E10value_typeEPNSR_ISM_E10value_typeEPSN_NS1_7vsmem_tEENKUlT_SL_SM_SN_E_clIS8_S8_S9_S9_EESK_S10_SL_SM_SN_EUlS10_E_NS1_11comp_targetILNS1_3genE5ELNS1_11target_archE942ELNS1_3gpuE9ELNS1_3repE0EEENS1_48merge_mergepath_partition_config_static_selectorELNS0_4arch9wavefront6targetE1EEEvSM_,"axG",@progbits,_ZN7rocprim17ROCPRIM_400000_NS6detail17trampoline_kernelINS0_14default_configENS1_38merge_sort_block_merge_config_selectorIlNS0_10empty_typeEEEZZNS1_27merge_sort_block_merge_implIS3_PlPS5_mZN2at6native12_GLOBAL__N_124unique_dim_cuda_templateIfEESt5tupleIJNSA_6TensorESF_SF_EERKSF_lbbbEUlllE_EE10hipError_tT0_T1_T2_jT3_P12ihipStream_tbPNSt15iterator_traitsISL_E10value_typeEPNSR_ISM_E10value_typeEPSN_NS1_7vsmem_tEENKUlT_SL_SM_SN_E_clIS8_S8_S9_S9_EESK_S10_SL_SM_SN_EUlS10_E_NS1_11comp_targetILNS1_3genE5ELNS1_11target_archE942ELNS1_3gpuE9ELNS1_3repE0EEENS1_48merge_mergepath_partition_config_static_selectorELNS0_4arch9wavefront6targetE1EEEvSM_,comdat
	.globl	_ZN7rocprim17ROCPRIM_400000_NS6detail17trampoline_kernelINS0_14default_configENS1_38merge_sort_block_merge_config_selectorIlNS0_10empty_typeEEEZZNS1_27merge_sort_block_merge_implIS3_PlPS5_mZN2at6native12_GLOBAL__N_124unique_dim_cuda_templateIfEESt5tupleIJNSA_6TensorESF_SF_EERKSF_lbbbEUlllE_EE10hipError_tT0_T1_T2_jT3_P12ihipStream_tbPNSt15iterator_traitsISL_E10value_typeEPNSR_ISM_E10value_typeEPSN_NS1_7vsmem_tEENKUlT_SL_SM_SN_E_clIS8_S8_S9_S9_EESK_S10_SL_SM_SN_EUlS10_E_NS1_11comp_targetILNS1_3genE5ELNS1_11target_archE942ELNS1_3gpuE9ELNS1_3repE0EEENS1_48merge_mergepath_partition_config_static_selectorELNS0_4arch9wavefront6targetE1EEEvSM_ ; -- Begin function _ZN7rocprim17ROCPRIM_400000_NS6detail17trampoline_kernelINS0_14default_configENS1_38merge_sort_block_merge_config_selectorIlNS0_10empty_typeEEEZZNS1_27merge_sort_block_merge_implIS3_PlPS5_mZN2at6native12_GLOBAL__N_124unique_dim_cuda_templateIfEESt5tupleIJNSA_6TensorESF_SF_EERKSF_lbbbEUlllE_EE10hipError_tT0_T1_T2_jT3_P12ihipStream_tbPNSt15iterator_traitsISL_E10value_typeEPNSR_ISM_E10value_typeEPSN_NS1_7vsmem_tEENKUlT_SL_SM_SN_E_clIS8_S8_S9_S9_EESK_S10_SL_SM_SN_EUlS10_E_NS1_11comp_targetILNS1_3genE5ELNS1_11target_archE942ELNS1_3gpuE9ELNS1_3repE0EEENS1_48merge_mergepath_partition_config_static_selectorELNS0_4arch9wavefront6targetE1EEEvSM_
	.p2align	8
	.type	_ZN7rocprim17ROCPRIM_400000_NS6detail17trampoline_kernelINS0_14default_configENS1_38merge_sort_block_merge_config_selectorIlNS0_10empty_typeEEEZZNS1_27merge_sort_block_merge_implIS3_PlPS5_mZN2at6native12_GLOBAL__N_124unique_dim_cuda_templateIfEESt5tupleIJNSA_6TensorESF_SF_EERKSF_lbbbEUlllE_EE10hipError_tT0_T1_T2_jT3_P12ihipStream_tbPNSt15iterator_traitsISL_E10value_typeEPNSR_ISM_E10value_typeEPSN_NS1_7vsmem_tEENKUlT_SL_SM_SN_E_clIS8_S8_S9_S9_EESK_S10_SL_SM_SN_EUlS10_E_NS1_11comp_targetILNS1_3genE5ELNS1_11target_archE942ELNS1_3gpuE9ELNS1_3repE0EEENS1_48merge_mergepath_partition_config_static_selectorELNS0_4arch9wavefront6targetE1EEEvSM_,@function
_ZN7rocprim17ROCPRIM_400000_NS6detail17trampoline_kernelINS0_14default_configENS1_38merge_sort_block_merge_config_selectorIlNS0_10empty_typeEEEZZNS1_27merge_sort_block_merge_implIS3_PlPS5_mZN2at6native12_GLOBAL__N_124unique_dim_cuda_templateIfEESt5tupleIJNSA_6TensorESF_SF_EERKSF_lbbbEUlllE_EE10hipError_tT0_T1_T2_jT3_P12ihipStream_tbPNSt15iterator_traitsISL_E10value_typeEPNSR_ISM_E10value_typeEPSN_NS1_7vsmem_tEENKUlT_SL_SM_SN_E_clIS8_S8_S9_S9_EESK_S10_SL_SM_SN_EUlS10_E_NS1_11comp_targetILNS1_3genE5ELNS1_11target_archE942ELNS1_3gpuE9ELNS1_3repE0EEENS1_48merge_mergepath_partition_config_static_selectorELNS0_4arch9wavefront6targetE1EEEvSM_: ; @_ZN7rocprim17ROCPRIM_400000_NS6detail17trampoline_kernelINS0_14default_configENS1_38merge_sort_block_merge_config_selectorIlNS0_10empty_typeEEEZZNS1_27merge_sort_block_merge_implIS3_PlPS5_mZN2at6native12_GLOBAL__N_124unique_dim_cuda_templateIfEESt5tupleIJNSA_6TensorESF_SF_EERKSF_lbbbEUlllE_EE10hipError_tT0_T1_T2_jT3_P12ihipStream_tbPNSt15iterator_traitsISL_E10value_typeEPNSR_ISM_E10value_typeEPSN_NS1_7vsmem_tEENKUlT_SL_SM_SN_E_clIS8_S8_S9_S9_EESK_S10_SL_SM_SN_EUlS10_E_NS1_11comp_targetILNS1_3genE5ELNS1_11target_archE942ELNS1_3gpuE9ELNS1_3repE0EEENS1_48merge_mergepath_partition_config_static_selectorELNS0_4arch9wavefront6targetE1EEEvSM_
; %bb.0:
	.section	.rodata,"a",@progbits
	.p2align	6, 0x0
	.amdhsa_kernel _ZN7rocprim17ROCPRIM_400000_NS6detail17trampoline_kernelINS0_14default_configENS1_38merge_sort_block_merge_config_selectorIlNS0_10empty_typeEEEZZNS1_27merge_sort_block_merge_implIS3_PlPS5_mZN2at6native12_GLOBAL__N_124unique_dim_cuda_templateIfEESt5tupleIJNSA_6TensorESF_SF_EERKSF_lbbbEUlllE_EE10hipError_tT0_T1_T2_jT3_P12ihipStream_tbPNSt15iterator_traitsISL_E10value_typeEPNSR_ISM_E10value_typeEPSN_NS1_7vsmem_tEENKUlT_SL_SM_SN_E_clIS8_S8_S9_S9_EESK_S10_SL_SM_SN_EUlS10_E_NS1_11comp_targetILNS1_3genE5ELNS1_11target_archE942ELNS1_3gpuE9ELNS1_3repE0EEENS1_48merge_mergepath_partition_config_static_selectorELNS0_4arch9wavefront6targetE1EEEvSM_
		.amdhsa_group_segment_fixed_size 0
		.amdhsa_private_segment_fixed_size 0
		.amdhsa_kernarg_size 56
		.amdhsa_user_sgpr_count 2
		.amdhsa_user_sgpr_dispatch_ptr 0
		.amdhsa_user_sgpr_queue_ptr 0
		.amdhsa_user_sgpr_kernarg_segment_ptr 1
		.amdhsa_user_sgpr_dispatch_id 0
		.amdhsa_user_sgpr_kernarg_preload_length 0
		.amdhsa_user_sgpr_kernarg_preload_offset 0
		.amdhsa_user_sgpr_private_segment_size 0
		.amdhsa_uses_dynamic_stack 0
		.amdhsa_enable_private_segment 0
		.amdhsa_system_sgpr_workgroup_id_x 1
		.amdhsa_system_sgpr_workgroup_id_y 0
		.amdhsa_system_sgpr_workgroup_id_z 0
		.amdhsa_system_sgpr_workgroup_info 0
		.amdhsa_system_vgpr_workitem_id 0
		.amdhsa_next_free_vgpr 1
		.amdhsa_next_free_sgpr 0
		.amdhsa_accum_offset 4
		.amdhsa_reserve_vcc 0
		.amdhsa_float_round_mode_32 0
		.amdhsa_float_round_mode_16_64 0
		.amdhsa_float_denorm_mode_32 3
		.amdhsa_float_denorm_mode_16_64 3
		.amdhsa_dx10_clamp 1
		.amdhsa_ieee_mode 1
		.amdhsa_fp16_overflow 0
		.amdhsa_tg_split 0
		.amdhsa_exception_fp_ieee_invalid_op 0
		.amdhsa_exception_fp_denorm_src 0
		.amdhsa_exception_fp_ieee_div_zero 0
		.amdhsa_exception_fp_ieee_overflow 0
		.amdhsa_exception_fp_ieee_underflow 0
		.amdhsa_exception_fp_ieee_inexact 0
		.amdhsa_exception_int_div_zero 0
	.end_amdhsa_kernel
	.section	.text._ZN7rocprim17ROCPRIM_400000_NS6detail17trampoline_kernelINS0_14default_configENS1_38merge_sort_block_merge_config_selectorIlNS0_10empty_typeEEEZZNS1_27merge_sort_block_merge_implIS3_PlPS5_mZN2at6native12_GLOBAL__N_124unique_dim_cuda_templateIfEESt5tupleIJNSA_6TensorESF_SF_EERKSF_lbbbEUlllE_EE10hipError_tT0_T1_T2_jT3_P12ihipStream_tbPNSt15iterator_traitsISL_E10value_typeEPNSR_ISM_E10value_typeEPSN_NS1_7vsmem_tEENKUlT_SL_SM_SN_E_clIS8_S8_S9_S9_EESK_S10_SL_SM_SN_EUlS10_E_NS1_11comp_targetILNS1_3genE5ELNS1_11target_archE942ELNS1_3gpuE9ELNS1_3repE0EEENS1_48merge_mergepath_partition_config_static_selectorELNS0_4arch9wavefront6targetE1EEEvSM_,"axG",@progbits,_ZN7rocprim17ROCPRIM_400000_NS6detail17trampoline_kernelINS0_14default_configENS1_38merge_sort_block_merge_config_selectorIlNS0_10empty_typeEEEZZNS1_27merge_sort_block_merge_implIS3_PlPS5_mZN2at6native12_GLOBAL__N_124unique_dim_cuda_templateIfEESt5tupleIJNSA_6TensorESF_SF_EERKSF_lbbbEUlllE_EE10hipError_tT0_T1_T2_jT3_P12ihipStream_tbPNSt15iterator_traitsISL_E10value_typeEPNSR_ISM_E10value_typeEPSN_NS1_7vsmem_tEENKUlT_SL_SM_SN_E_clIS8_S8_S9_S9_EESK_S10_SL_SM_SN_EUlS10_E_NS1_11comp_targetILNS1_3genE5ELNS1_11target_archE942ELNS1_3gpuE9ELNS1_3repE0EEENS1_48merge_mergepath_partition_config_static_selectorELNS0_4arch9wavefront6targetE1EEEvSM_,comdat
.Lfunc_end882:
	.size	_ZN7rocprim17ROCPRIM_400000_NS6detail17trampoline_kernelINS0_14default_configENS1_38merge_sort_block_merge_config_selectorIlNS0_10empty_typeEEEZZNS1_27merge_sort_block_merge_implIS3_PlPS5_mZN2at6native12_GLOBAL__N_124unique_dim_cuda_templateIfEESt5tupleIJNSA_6TensorESF_SF_EERKSF_lbbbEUlllE_EE10hipError_tT0_T1_T2_jT3_P12ihipStream_tbPNSt15iterator_traitsISL_E10value_typeEPNSR_ISM_E10value_typeEPSN_NS1_7vsmem_tEENKUlT_SL_SM_SN_E_clIS8_S8_S9_S9_EESK_S10_SL_SM_SN_EUlS10_E_NS1_11comp_targetILNS1_3genE5ELNS1_11target_archE942ELNS1_3gpuE9ELNS1_3repE0EEENS1_48merge_mergepath_partition_config_static_selectorELNS0_4arch9wavefront6targetE1EEEvSM_, .Lfunc_end882-_ZN7rocprim17ROCPRIM_400000_NS6detail17trampoline_kernelINS0_14default_configENS1_38merge_sort_block_merge_config_selectorIlNS0_10empty_typeEEEZZNS1_27merge_sort_block_merge_implIS3_PlPS5_mZN2at6native12_GLOBAL__N_124unique_dim_cuda_templateIfEESt5tupleIJNSA_6TensorESF_SF_EERKSF_lbbbEUlllE_EE10hipError_tT0_T1_T2_jT3_P12ihipStream_tbPNSt15iterator_traitsISL_E10value_typeEPNSR_ISM_E10value_typeEPSN_NS1_7vsmem_tEENKUlT_SL_SM_SN_E_clIS8_S8_S9_S9_EESK_S10_SL_SM_SN_EUlS10_E_NS1_11comp_targetILNS1_3genE5ELNS1_11target_archE942ELNS1_3gpuE9ELNS1_3repE0EEENS1_48merge_mergepath_partition_config_static_selectorELNS0_4arch9wavefront6targetE1EEEvSM_
                                        ; -- End function
	.set _ZN7rocprim17ROCPRIM_400000_NS6detail17trampoline_kernelINS0_14default_configENS1_38merge_sort_block_merge_config_selectorIlNS0_10empty_typeEEEZZNS1_27merge_sort_block_merge_implIS3_PlPS5_mZN2at6native12_GLOBAL__N_124unique_dim_cuda_templateIfEESt5tupleIJNSA_6TensorESF_SF_EERKSF_lbbbEUlllE_EE10hipError_tT0_T1_T2_jT3_P12ihipStream_tbPNSt15iterator_traitsISL_E10value_typeEPNSR_ISM_E10value_typeEPSN_NS1_7vsmem_tEENKUlT_SL_SM_SN_E_clIS8_S8_S9_S9_EESK_S10_SL_SM_SN_EUlS10_E_NS1_11comp_targetILNS1_3genE5ELNS1_11target_archE942ELNS1_3gpuE9ELNS1_3repE0EEENS1_48merge_mergepath_partition_config_static_selectorELNS0_4arch9wavefront6targetE1EEEvSM_.num_vgpr, 0
	.set _ZN7rocprim17ROCPRIM_400000_NS6detail17trampoline_kernelINS0_14default_configENS1_38merge_sort_block_merge_config_selectorIlNS0_10empty_typeEEEZZNS1_27merge_sort_block_merge_implIS3_PlPS5_mZN2at6native12_GLOBAL__N_124unique_dim_cuda_templateIfEESt5tupleIJNSA_6TensorESF_SF_EERKSF_lbbbEUlllE_EE10hipError_tT0_T1_T2_jT3_P12ihipStream_tbPNSt15iterator_traitsISL_E10value_typeEPNSR_ISM_E10value_typeEPSN_NS1_7vsmem_tEENKUlT_SL_SM_SN_E_clIS8_S8_S9_S9_EESK_S10_SL_SM_SN_EUlS10_E_NS1_11comp_targetILNS1_3genE5ELNS1_11target_archE942ELNS1_3gpuE9ELNS1_3repE0EEENS1_48merge_mergepath_partition_config_static_selectorELNS0_4arch9wavefront6targetE1EEEvSM_.num_agpr, 0
	.set _ZN7rocprim17ROCPRIM_400000_NS6detail17trampoline_kernelINS0_14default_configENS1_38merge_sort_block_merge_config_selectorIlNS0_10empty_typeEEEZZNS1_27merge_sort_block_merge_implIS3_PlPS5_mZN2at6native12_GLOBAL__N_124unique_dim_cuda_templateIfEESt5tupleIJNSA_6TensorESF_SF_EERKSF_lbbbEUlllE_EE10hipError_tT0_T1_T2_jT3_P12ihipStream_tbPNSt15iterator_traitsISL_E10value_typeEPNSR_ISM_E10value_typeEPSN_NS1_7vsmem_tEENKUlT_SL_SM_SN_E_clIS8_S8_S9_S9_EESK_S10_SL_SM_SN_EUlS10_E_NS1_11comp_targetILNS1_3genE5ELNS1_11target_archE942ELNS1_3gpuE9ELNS1_3repE0EEENS1_48merge_mergepath_partition_config_static_selectorELNS0_4arch9wavefront6targetE1EEEvSM_.numbered_sgpr, 0
	.set _ZN7rocprim17ROCPRIM_400000_NS6detail17trampoline_kernelINS0_14default_configENS1_38merge_sort_block_merge_config_selectorIlNS0_10empty_typeEEEZZNS1_27merge_sort_block_merge_implIS3_PlPS5_mZN2at6native12_GLOBAL__N_124unique_dim_cuda_templateIfEESt5tupleIJNSA_6TensorESF_SF_EERKSF_lbbbEUlllE_EE10hipError_tT0_T1_T2_jT3_P12ihipStream_tbPNSt15iterator_traitsISL_E10value_typeEPNSR_ISM_E10value_typeEPSN_NS1_7vsmem_tEENKUlT_SL_SM_SN_E_clIS8_S8_S9_S9_EESK_S10_SL_SM_SN_EUlS10_E_NS1_11comp_targetILNS1_3genE5ELNS1_11target_archE942ELNS1_3gpuE9ELNS1_3repE0EEENS1_48merge_mergepath_partition_config_static_selectorELNS0_4arch9wavefront6targetE1EEEvSM_.num_named_barrier, 0
	.set _ZN7rocprim17ROCPRIM_400000_NS6detail17trampoline_kernelINS0_14default_configENS1_38merge_sort_block_merge_config_selectorIlNS0_10empty_typeEEEZZNS1_27merge_sort_block_merge_implIS3_PlPS5_mZN2at6native12_GLOBAL__N_124unique_dim_cuda_templateIfEESt5tupleIJNSA_6TensorESF_SF_EERKSF_lbbbEUlllE_EE10hipError_tT0_T1_T2_jT3_P12ihipStream_tbPNSt15iterator_traitsISL_E10value_typeEPNSR_ISM_E10value_typeEPSN_NS1_7vsmem_tEENKUlT_SL_SM_SN_E_clIS8_S8_S9_S9_EESK_S10_SL_SM_SN_EUlS10_E_NS1_11comp_targetILNS1_3genE5ELNS1_11target_archE942ELNS1_3gpuE9ELNS1_3repE0EEENS1_48merge_mergepath_partition_config_static_selectorELNS0_4arch9wavefront6targetE1EEEvSM_.private_seg_size, 0
	.set _ZN7rocprim17ROCPRIM_400000_NS6detail17trampoline_kernelINS0_14default_configENS1_38merge_sort_block_merge_config_selectorIlNS0_10empty_typeEEEZZNS1_27merge_sort_block_merge_implIS3_PlPS5_mZN2at6native12_GLOBAL__N_124unique_dim_cuda_templateIfEESt5tupleIJNSA_6TensorESF_SF_EERKSF_lbbbEUlllE_EE10hipError_tT0_T1_T2_jT3_P12ihipStream_tbPNSt15iterator_traitsISL_E10value_typeEPNSR_ISM_E10value_typeEPSN_NS1_7vsmem_tEENKUlT_SL_SM_SN_E_clIS8_S8_S9_S9_EESK_S10_SL_SM_SN_EUlS10_E_NS1_11comp_targetILNS1_3genE5ELNS1_11target_archE942ELNS1_3gpuE9ELNS1_3repE0EEENS1_48merge_mergepath_partition_config_static_selectorELNS0_4arch9wavefront6targetE1EEEvSM_.uses_vcc, 0
	.set _ZN7rocprim17ROCPRIM_400000_NS6detail17trampoline_kernelINS0_14default_configENS1_38merge_sort_block_merge_config_selectorIlNS0_10empty_typeEEEZZNS1_27merge_sort_block_merge_implIS3_PlPS5_mZN2at6native12_GLOBAL__N_124unique_dim_cuda_templateIfEESt5tupleIJNSA_6TensorESF_SF_EERKSF_lbbbEUlllE_EE10hipError_tT0_T1_T2_jT3_P12ihipStream_tbPNSt15iterator_traitsISL_E10value_typeEPNSR_ISM_E10value_typeEPSN_NS1_7vsmem_tEENKUlT_SL_SM_SN_E_clIS8_S8_S9_S9_EESK_S10_SL_SM_SN_EUlS10_E_NS1_11comp_targetILNS1_3genE5ELNS1_11target_archE942ELNS1_3gpuE9ELNS1_3repE0EEENS1_48merge_mergepath_partition_config_static_selectorELNS0_4arch9wavefront6targetE1EEEvSM_.uses_flat_scratch, 0
	.set _ZN7rocprim17ROCPRIM_400000_NS6detail17trampoline_kernelINS0_14default_configENS1_38merge_sort_block_merge_config_selectorIlNS0_10empty_typeEEEZZNS1_27merge_sort_block_merge_implIS3_PlPS5_mZN2at6native12_GLOBAL__N_124unique_dim_cuda_templateIfEESt5tupleIJNSA_6TensorESF_SF_EERKSF_lbbbEUlllE_EE10hipError_tT0_T1_T2_jT3_P12ihipStream_tbPNSt15iterator_traitsISL_E10value_typeEPNSR_ISM_E10value_typeEPSN_NS1_7vsmem_tEENKUlT_SL_SM_SN_E_clIS8_S8_S9_S9_EESK_S10_SL_SM_SN_EUlS10_E_NS1_11comp_targetILNS1_3genE5ELNS1_11target_archE942ELNS1_3gpuE9ELNS1_3repE0EEENS1_48merge_mergepath_partition_config_static_selectorELNS0_4arch9wavefront6targetE1EEEvSM_.has_dyn_sized_stack, 0
	.set _ZN7rocprim17ROCPRIM_400000_NS6detail17trampoline_kernelINS0_14default_configENS1_38merge_sort_block_merge_config_selectorIlNS0_10empty_typeEEEZZNS1_27merge_sort_block_merge_implIS3_PlPS5_mZN2at6native12_GLOBAL__N_124unique_dim_cuda_templateIfEESt5tupleIJNSA_6TensorESF_SF_EERKSF_lbbbEUlllE_EE10hipError_tT0_T1_T2_jT3_P12ihipStream_tbPNSt15iterator_traitsISL_E10value_typeEPNSR_ISM_E10value_typeEPSN_NS1_7vsmem_tEENKUlT_SL_SM_SN_E_clIS8_S8_S9_S9_EESK_S10_SL_SM_SN_EUlS10_E_NS1_11comp_targetILNS1_3genE5ELNS1_11target_archE942ELNS1_3gpuE9ELNS1_3repE0EEENS1_48merge_mergepath_partition_config_static_selectorELNS0_4arch9wavefront6targetE1EEEvSM_.has_recursion, 0
	.set _ZN7rocprim17ROCPRIM_400000_NS6detail17trampoline_kernelINS0_14default_configENS1_38merge_sort_block_merge_config_selectorIlNS0_10empty_typeEEEZZNS1_27merge_sort_block_merge_implIS3_PlPS5_mZN2at6native12_GLOBAL__N_124unique_dim_cuda_templateIfEESt5tupleIJNSA_6TensorESF_SF_EERKSF_lbbbEUlllE_EE10hipError_tT0_T1_T2_jT3_P12ihipStream_tbPNSt15iterator_traitsISL_E10value_typeEPNSR_ISM_E10value_typeEPSN_NS1_7vsmem_tEENKUlT_SL_SM_SN_E_clIS8_S8_S9_S9_EESK_S10_SL_SM_SN_EUlS10_E_NS1_11comp_targetILNS1_3genE5ELNS1_11target_archE942ELNS1_3gpuE9ELNS1_3repE0EEENS1_48merge_mergepath_partition_config_static_selectorELNS0_4arch9wavefront6targetE1EEEvSM_.has_indirect_call, 0
	.section	.AMDGPU.csdata,"",@progbits
; Kernel info:
; codeLenInByte = 0
; TotalNumSgprs: 6
; NumVgprs: 0
; NumAgprs: 0
; TotalNumVgprs: 0
; ScratchSize: 0
; MemoryBound: 0
; FloatMode: 240
; IeeeMode: 1
; LDSByteSize: 0 bytes/workgroup (compile time only)
; SGPRBlocks: 0
; VGPRBlocks: 0
; NumSGPRsForWavesPerEU: 6
; NumVGPRsForWavesPerEU: 1
; AccumOffset: 4
; Occupancy: 8
; WaveLimiterHint : 0
; COMPUTE_PGM_RSRC2:SCRATCH_EN: 0
; COMPUTE_PGM_RSRC2:USER_SGPR: 2
; COMPUTE_PGM_RSRC2:TRAP_HANDLER: 0
; COMPUTE_PGM_RSRC2:TGID_X_EN: 1
; COMPUTE_PGM_RSRC2:TGID_Y_EN: 0
; COMPUTE_PGM_RSRC2:TGID_Z_EN: 0
; COMPUTE_PGM_RSRC2:TIDIG_COMP_CNT: 0
; COMPUTE_PGM_RSRC3_GFX90A:ACCUM_OFFSET: 0
; COMPUTE_PGM_RSRC3_GFX90A:TG_SPLIT: 0
	.section	.text._ZN7rocprim17ROCPRIM_400000_NS6detail17trampoline_kernelINS0_14default_configENS1_38merge_sort_block_merge_config_selectorIlNS0_10empty_typeEEEZZNS1_27merge_sort_block_merge_implIS3_PlPS5_mZN2at6native12_GLOBAL__N_124unique_dim_cuda_templateIfEESt5tupleIJNSA_6TensorESF_SF_EERKSF_lbbbEUlllE_EE10hipError_tT0_T1_T2_jT3_P12ihipStream_tbPNSt15iterator_traitsISL_E10value_typeEPNSR_ISM_E10value_typeEPSN_NS1_7vsmem_tEENKUlT_SL_SM_SN_E_clIS8_S8_S9_S9_EESK_S10_SL_SM_SN_EUlS10_E_NS1_11comp_targetILNS1_3genE4ELNS1_11target_archE910ELNS1_3gpuE8ELNS1_3repE0EEENS1_48merge_mergepath_partition_config_static_selectorELNS0_4arch9wavefront6targetE1EEEvSM_,"axG",@progbits,_ZN7rocprim17ROCPRIM_400000_NS6detail17trampoline_kernelINS0_14default_configENS1_38merge_sort_block_merge_config_selectorIlNS0_10empty_typeEEEZZNS1_27merge_sort_block_merge_implIS3_PlPS5_mZN2at6native12_GLOBAL__N_124unique_dim_cuda_templateIfEESt5tupleIJNSA_6TensorESF_SF_EERKSF_lbbbEUlllE_EE10hipError_tT0_T1_T2_jT3_P12ihipStream_tbPNSt15iterator_traitsISL_E10value_typeEPNSR_ISM_E10value_typeEPSN_NS1_7vsmem_tEENKUlT_SL_SM_SN_E_clIS8_S8_S9_S9_EESK_S10_SL_SM_SN_EUlS10_E_NS1_11comp_targetILNS1_3genE4ELNS1_11target_archE910ELNS1_3gpuE8ELNS1_3repE0EEENS1_48merge_mergepath_partition_config_static_selectorELNS0_4arch9wavefront6targetE1EEEvSM_,comdat
	.globl	_ZN7rocprim17ROCPRIM_400000_NS6detail17trampoline_kernelINS0_14default_configENS1_38merge_sort_block_merge_config_selectorIlNS0_10empty_typeEEEZZNS1_27merge_sort_block_merge_implIS3_PlPS5_mZN2at6native12_GLOBAL__N_124unique_dim_cuda_templateIfEESt5tupleIJNSA_6TensorESF_SF_EERKSF_lbbbEUlllE_EE10hipError_tT0_T1_T2_jT3_P12ihipStream_tbPNSt15iterator_traitsISL_E10value_typeEPNSR_ISM_E10value_typeEPSN_NS1_7vsmem_tEENKUlT_SL_SM_SN_E_clIS8_S8_S9_S9_EESK_S10_SL_SM_SN_EUlS10_E_NS1_11comp_targetILNS1_3genE4ELNS1_11target_archE910ELNS1_3gpuE8ELNS1_3repE0EEENS1_48merge_mergepath_partition_config_static_selectorELNS0_4arch9wavefront6targetE1EEEvSM_ ; -- Begin function _ZN7rocprim17ROCPRIM_400000_NS6detail17trampoline_kernelINS0_14default_configENS1_38merge_sort_block_merge_config_selectorIlNS0_10empty_typeEEEZZNS1_27merge_sort_block_merge_implIS3_PlPS5_mZN2at6native12_GLOBAL__N_124unique_dim_cuda_templateIfEESt5tupleIJNSA_6TensorESF_SF_EERKSF_lbbbEUlllE_EE10hipError_tT0_T1_T2_jT3_P12ihipStream_tbPNSt15iterator_traitsISL_E10value_typeEPNSR_ISM_E10value_typeEPSN_NS1_7vsmem_tEENKUlT_SL_SM_SN_E_clIS8_S8_S9_S9_EESK_S10_SL_SM_SN_EUlS10_E_NS1_11comp_targetILNS1_3genE4ELNS1_11target_archE910ELNS1_3gpuE8ELNS1_3repE0EEENS1_48merge_mergepath_partition_config_static_selectorELNS0_4arch9wavefront6targetE1EEEvSM_
	.p2align	8
	.type	_ZN7rocprim17ROCPRIM_400000_NS6detail17trampoline_kernelINS0_14default_configENS1_38merge_sort_block_merge_config_selectorIlNS0_10empty_typeEEEZZNS1_27merge_sort_block_merge_implIS3_PlPS5_mZN2at6native12_GLOBAL__N_124unique_dim_cuda_templateIfEESt5tupleIJNSA_6TensorESF_SF_EERKSF_lbbbEUlllE_EE10hipError_tT0_T1_T2_jT3_P12ihipStream_tbPNSt15iterator_traitsISL_E10value_typeEPNSR_ISM_E10value_typeEPSN_NS1_7vsmem_tEENKUlT_SL_SM_SN_E_clIS8_S8_S9_S9_EESK_S10_SL_SM_SN_EUlS10_E_NS1_11comp_targetILNS1_3genE4ELNS1_11target_archE910ELNS1_3gpuE8ELNS1_3repE0EEENS1_48merge_mergepath_partition_config_static_selectorELNS0_4arch9wavefront6targetE1EEEvSM_,@function
_ZN7rocprim17ROCPRIM_400000_NS6detail17trampoline_kernelINS0_14default_configENS1_38merge_sort_block_merge_config_selectorIlNS0_10empty_typeEEEZZNS1_27merge_sort_block_merge_implIS3_PlPS5_mZN2at6native12_GLOBAL__N_124unique_dim_cuda_templateIfEESt5tupleIJNSA_6TensorESF_SF_EERKSF_lbbbEUlllE_EE10hipError_tT0_T1_T2_jT3_P12ihipStream_tbPNSt15iterator_traitsISL_E10value_typeEPNSR_ISM_E10value_typeEPSN_NS1_7vsmem_tEENKUlT_SL_SM_SN_E_clIS8_S8_S9_S9_EESK_S10_SL_SM_SN_EUlS10_E_NS1_11comp_targetILNS1_3genE4ELNS1_11target_archE910ELNS1_3gpuE8ELNS1_3repE0EEENS1_48merge_mergepath_partition_config_static_selectorELNS0_4arch9wavefront6targetE1EEEvSM_: ; @_ZN7rocprim17ROCPRIM_400000_NS6detail17trampoline_kernelINS0_14default_configENS1_38merge_sort_block_merge_config_selectorIlNS0_10empty_typeEEEZZNS1_27merge_sort_block_merge_implIS3_PlPS5_mZN2at6native12_GLOBAL__N_124unique_dim_cuda_templateIfEESt5tupleIJNSA_6TensorESF_SF_EERKSF_lbbbEUlllE_EE10hipError_tT0_T1_T2_jT3_P12ihipStream_tbPNSt15iterator_traitsISL_E10value_typeEPNSR_ISM_E10value_typeEPSN_NS1_7vsmem_tEENKUlT_SL_SM_SN_E_clIS8_S8_S9_S9_EESK_S10_SL_SM_SN_EUlS10_E_NS1_11comp_targetILNS1_3genE4ELNS1_11target_archE910ELNS1_3gpuE8ELNS1_3repE0EEENS1_48merge_mergepath_partition_config_static_selectorELNS0_4arch9wavefront6targetE1EEEvSM_
; %bb.0:
	.section	.rodata,"a",@progbits
	.p2align	6, 0x0
	.amdhsa_kernel _ZN7rocprim17ROCPRIM_400000_NS6detail17trampoline_kernelINS0_14default_configENS1_38merge_sort_block_merge_config_selectorIlNS0_10empty_typeEEEZZNS1_27merge_sort_block_merge_implIS3_PlPS5_mZN2at6native12_GLOBAL__N_124unique_dim_cuda_templateIfEESt5tupleIJNSA_6TensorESF_SF_EERKSF_lbbbEUlllE_EE10hipError_tT0_T1_T2_jT3_P12ihipStream_tbPNSt15iterator_traitsISL_E10value_typeEPNSR_ISM_E10value_typeEPSN_NS1_7vsmem_tEENKUlT_SL_SM_SN_E_clIS8_S8_S9_S9_EESK_S10_SL_SM_SN_EUlS10_E_NS1_11comp_targetILNS1_3genE4ELNS1_11target_archE910ELNS1_3gpuE8ELNS1_3repE0EEENS1_48merge_mergepath_partition_config_static_selectorELNS0_4arch9wavefront6targetE1EEEvSM_
		.amdhsa_group_segment_fixed_size 0
		.amdhsa_private_segment_fixed_size 0
		.amdhsa_kernarg_size 56
		.amdhsa_user_sgpr_count 2
		.amdhsa_user_sgpr_dispatch_ptr 0
		.amdhsa_user_sgpr_queue_ptr 0
		.amdhsa_user_sgpr_kernarg_segment_ptr 1
		.amdhsa_user_sgpr_dispatch_id 0
		.amdhsa_user_sgpr_kernarg_preload_length 0
		.amdhsa_user_sgpr_kernarg_preload_offset 0
		.amdhsa_user_sgpr_private_segment_size 0
		.amdhsa_uses_dynamic_stack 0
		.amdhsa_enable_private_segment 0
		.amdhsa_system_sgpr_workgroup_id_x 1
		.amdhsa_system_sgpr_workgroup_id_y 0
		.amdhsa_system_sgpr_workgroup_id_z 0
		.amdhsa_system_sgpr_workgroup_info 0
		.amdhsa_system_vgpr_workitem_id 0
		.amdhsa_next_free_vgpr 1
		.amdhsa_next_free_sgpr 0
		.amdhsa_accum_offset 4
		.amdhsa_reserve_vcc 0
		.amdhsa_float_round_mode_32 0
		.amdhsa_float_round_mode_16_64 0
		.amdhsa_float_denorm_mode_32 3
		.amdhsa_float_denorm_mode_16_64 3
		.amdhsa_dx10_clamp 1
		.amdhsa_ieee_mode 1
		.amdhsa_fp16_overflow 0
		.amdhsa_tg_split 0
		.amdhsa_exception_fp_ieee_invalid_op 0
		.amdhsa_exception_fp_denorm_src 0
		.amdhsa_exception_fp_ieee_div_zero 0
		.amdhsa_exception_fp_ieee_overflow 0
		.amdhsa_exception_fp_ieee_underflow 0
		.amdhsa_exception_fp_ieee_inexact 0
		.amdhsa_exception_int_div_zero 0
	.end_amdhsa_kernel
	.section	.text._ZN7rocprim17ROCPRIM_400000_NS6detail17trampoline_kernelINS0_14default_configENS1_38merge_sort_block_merge_config_selectorIlNS0_10empty_typeEEEZZNS1_27merge_sort_block_merge_implIS3_PlPS5_mZN2at6native12_GLOBAL__N_124unique_dim_cuda_templateIfEESt5tupleIJNSA_6TensorESF_SF_EERKSF_lbbbEUlllE_EE10hipError_tT0_T1_T2_jT3_P12ihipStream_tbPNSt15iterator_traitsISL_E10value_typeEPNSR_ISM_E10value_typeEPSN_NS1_7vsmem_tEENKUlT_SL_SM_SN_E_clIS8_S8_S9_S9_EESK_S10_SL_SM_SN_EUlS10_E_NS1_11comp_targetILNS1_3genE4ELNS1_11target_archE910ELNS1_3gpuE8ELNS1_3repE0EEENS1_48merge_mergepath_partition_config_static_selectorELNS0_4arch9wavefront6targetE1EEEvSM_,"axG",@progbits,_ZN7rocprim17ROCPRIM_400000_NS6detail17trampoline_kernelINS0_14default_configENS1_38merge_sort_block_merge_config_selectorIlNS0_10empty_typeEEEZZNS1_27merge_sort_block_merge_implIS3_PlPS5_mZN2at6native12_GLOBAL__N_124unique_dim_cuda_templateIfEESt5tupleIJNSA_6TensorESF_SF_EERKSF_lbbbEUlllE_EE10hipError_tT0_T1_T2_jT3_P12ihipStream_tbPNSt15iterator_traitsISL_E10value_typeEPNSR_ISM_E10value_typeEPSN_NS1_7vsmem_tEENKUlT_SL_SM_SN_E_clIS8_S8_S9_S9_EESK_S10_SL_SM_SN_EUlS10_E_NS1_11comp_targetILNS1_3genE4ELNS1_11target_archE910ELNS1_3gpuE8ELNS1_3repE0EEENS1_48merge_mergepath_partition_config_static_selectorELNS0_4arch9wavefront6targetE1EEEvSM_,comdat
.Lfunc_end883:
	.size	_ZN7rocprim17ROCPRIM_400000_NS6detail17trampoline_kernelINS0_14default_configENS1_38merge_sort_block_merge_config_selectorIlNS0_10empty_typeEEEZZNS1_27merge_sort_block_merge_implIS3_PlPS5_mZN2at6native12_GLOBAL__N_124unique_dim_cuda_templateIfEESt5tupleIJNSA_6TensorESF_SF_EERKSF_lbbbEUlllE_EE10hipError_tT0_T1_T2_jT3_P12ihipStream_tbPNSt15iterator_traitsISL_E10value_typeEPNSR_ISM_E10value_typeEPSN_NS1_7vsmem_tEENKUlT_SL_SM_SN_E_clIS8_S8_S9_S9_EESK_S10_SL_SM_SN_EUlS10_E_NS1_11comp_targetILNS1_3genE4ELNS1_11target_archE910ELNS1_3gpuE8ELNS1_3repE0EEENS1_48merge_mergepath_partition_config_static_selectorELNS0_4arch9wavefront6targetE1EEEvSM_, .Lfunc_end883-_ZN7rocprim17ROCPRIM_400000_NS6detail17trampoline_kernelINS0_14default_configENS1_38merge_sort_block_merge_config_selectorIlNS0_10empty_typeEEEZZNS1_27merge_sort_block_merge_implIS3_PlPS5_mZN2at6native12_GLOBAL__N_124unique_dim_cuda_templateIfEESt5tupleIJNSA_6TensorESF_SF_EERKSF_lbbbEUlllE_EE10hipError_tT0_T1_T2_jT3_P12ihipStream_tbPNSt15iterator_traitsISL_E10value_typeEPNSR_ISM_E10value_typeEPSN_NS1_7vsmem_tEENKUlT_SL_SM_SN_E_clIS8_S8_S9_S9_EESK_S10_SL_SM_SN_EUlS10_E_NS1_11comp_targetILNS1_3genE4ELNS1_11target_archE910ELNS1_3gpuE8ELNS1_3repE0EEENS1_48merge_mergepath_partition_config_static_selectorELNS0_4arch9wavefront6targetE1EEEvSM_
                                        ; -- End function
	.set _ZN7rocprim17ROCPRIM_400000_NS6detail17trampoline_kernelINS0_14default_configENS1_38merge_sort_block_merge_config_selectorIlNS0_10empty_typeEEEZZNS1_27merge_sort_block_merge_implIS3_PlPS5_mZN2at6native12_GLOBAL__N_124unique_dim_cuda_templateIfEESt5tupleIJNSA_6TensorESF_SF_EERKSF_lbbbEUlllE_EE10hipError_tT0_T1_T2_jT3_P12ihipStream_tbPNSt15iterator_traitsISL_E10value_typeEPNSR_ISM_E10value_typeEPSN_NS1_7vsmem_tEENKUlT_SL_SM_SN_E_clIS8_S8_S9_S9_EESK_S10_SL_SM_SN_EUlS10_E_NS1_11comp_targetILNS1_3genE4ELNS1_11target_archE910ELNS1_3gpuE8ELNS1_3repE0EEENS1_48merge_mergepath_partition_config_static_selectorELNS0_4arch9wavefront6targetE1EEEvSM_.num_vgpr, 0
	.set _ZN7rocprim17ROCPRIM_400000_NS6detail17trampoline_kernelINS0_14default_configENS1_38merge_sort_block_merge_config_selectorIlNS0_10empty_typeEEEZZNS1_27merge_sort_block_merge_implIS3_PlPS5_mZN2at6native12_GLOBAL__N_124unique_dim_cuda_templateIfEESt5tupleIJNSA_6TensorESF_SF_EERKSF_lbbbEUlllE_EE10hipError_tT0_T1_T2_jT3_P12ihipStream_tbPNSt15iterator_traitsISL_E10value_typeEPNSR_ISM_E10value_typeEPSN_NS1_7vsmem_tEENKUlT_SL_SM_SN_E_clIS8_S8_S9_S9_EESK_S10_SL_SM_SN_EUlS10_E_NS1_11comp_targetILNS1_3genE4ELNS1_11target_archE910ELNS1_3gpuE8ELNS1_3repE0EEENS1_48merge_mergepath_partition_config_static_selectorELNS0_4arch9wavefront6targetE1EEEvSM_.num_agpr, 0
	.set _ZN7rocprim17ROCPRIM_400000_NS6detail17trampoline_kernelINS0_14default_configENS1_38merge_sort_block_merge_config_selectorIlNS0_10empty_typeEEEZZNS1_27merge_sort_block_merge_implIS3_PlPS5_mZN2at6native12_GLOBAL__N_124unique_dim_cuda_templateIfEESt5tupleIJNSA_6TensorESF_SF_EERKSF_lbbbEUlllE_EE10hipError_tT0_T1_T2_jT3_P12ihipStream_tbPNSt15iterator_traitsISL_E10value_typeEPNSR_ISM_E10value_typeEPSN_NS1_7vsmem_tEENKUlT_SL_SM_SN_E_clIS8_S8_S9_S9_EESK_S10_SL_SM_SN_EUlS10_E_NS1_11comp_targetILNS1_3genE4ELNS1_11target_archE910ELNS1_3gpuE8ELNS1_3repE0EEENS1_48merge_mergepath_partition_config_static_selectorELNS0_4arch9wavefront6targetE1EEEvSM_.numbered_sgpr, 0
	.set _ZN7rocprim17ROCPRIM_400000_NS6detail17trampoline_kernelINS0_14default_configENS1_38merge_sort_block_merge_config_selectorIlNS0_10empty_typeEEEZZNS1_27merge_sort_block_merge_implIS3_PlPS5_mZN2at6native12_GLOBAL__N_124unique_dim_cuda_templateIfEESt5tupleIJNSA_6TensorESF_SF_EERKSF_lbbbEUlllE_EE10hipError_tT0_T1_T2_jT3_P12ihipStream_tbPNSt15iterator_traitsISL_E10value_typeEPNSR_ISM_E10value_typeEPSN_NS1_7vsmem_tEENKUlT_SL_SM_SN_E_clIS8_S8_S9_S9_EESK_S10_SL_SM_SN_EUlS10_E_NS1_11comp_targetILNS1_3genE4ELNS1_11target_archE910ELNS1_3gpuE8ELNS1_3repE0EEENS1_48merge_mergepath_partition_config_static_selectorELNS0_4arch9wavefront6targetE1EEEvSM_.num_named_barrier, 0
	.set _ZN7rocprim17ROCPRIM_400000_NS6detail17trampoline_kernelINS0_14default_configENS1_38merge_sort_block_merge_config_selectorIlNS0_10empty_typeEEEZZNS1_27merge_sort_block_merge_implIS3_PlPS5_mZN2at6native12_GLOBAL__N_124unique_dim_cuda_templateIfEESt5tupleIJNSA_6TensorESF_SF_EERKSF_lbbbEUlllE_EE10hipError_tT0_T1_T2_jT3_P12ihipStream_tbPNSt15iterator_traitsISL_E10value_typeEPNSR_ISM_E10value_typeEPSN_NS1_7vsmem_tEENKUlT_SL_SM_SN_E_clIS8_S8_S9_S9_EESK_S10_SL_SM_SN_EUlS10_E_NS1_11comp_targetILNS1_3genE4ELNS1_11target_archE910ELNS1_3gpuE8ELNS1_3repE0EEENS1_48merge_mergepath_partition_config_static_selectorELNS0_4arch9wavefront6targetE1EEEvSM_.private_seg_size, 0
	.set _ZN7rocprim17ROCPRIM_400000_NS6detail17trampoline_kernelINS0_14default_configENS1_38merge_sort_block_merge_config_selectorIlNS0_10empty_typeEEEZZNS1_27merge_sort_block_merge_implIS3_PlPS5_mZN2at6native12_GLOBAL__N_124unique_dim_cuda_templateIfEESt5tupleIJNSA_6TensorESF_SF_EERKSF_lbbbEUlllE_EE10hipError_tT0_T1_T2_jT3_P12ihipStream_tbPNSt15iterator_traitsISL_E10value_typeEPNSR_ISM_E10value_typeEPSN_NS1_7vsmem_tEENKUlT_SL_SM_SN_E_clIS8_S8_S9_S9_EESK_S10_SL_SM_SN_EUlS10_E_NS1_11comp_targetILNS1_3genE4ELNS1_11target_archE910ELNS1_3gpuE8ELNS1_3repE0EEENS1_48merge_mergepath_partition_config_static_selectorELNS0_4arch9wavefront6targetE1EEEvSM_.uses_vcc, 0
	.set _ZN7rocprim17ROCPRIM_400000_NS6detail17trampoline_kernelINS0_14default_configENS1_38merge_sort_block_merge_config_selectorIlNS0_10empty_typeEEEZZNS1_27merge_sort_block_merge_implIS3_PlPS5_mZN2at6native12_GLOBAL__N_124unique_dim_cuda_templateIfEESt5tupleIJNSA_6TensorESF_SF_EERKSF_lbbbEUlllE_EE10hipError_tT0_T1_T2_jT3_P12ihipStream_tbPNSt15iterator_traitsISL_E10value_typeEPNSR_ISM_E10value_typeEPSN_NS1_7vsmem_tEENKUlT_SL_SM_SN_E_clIS8_S8_S9_S9_EESK_S10_SL_SM_SN_EUlS10_E_NS1_11comp_targetILNS1_3genE4ELNS1_11target_archE910ELNS1_3gpuE8ELNS1_3repE0EEENS1_48merge_mergepath_partition_config_static_selectorELNS0_4arch9wavefront6targetE1EEEvSM_.uses_flat_scratch, 0
	.set _ZN7rocprim17ROCPRIM_400000_NS6detail17trampoline_kernelINS0_14default_configENS1_38merge_sort_block_merge_config_selectorIlNS0_10empty_typeEEEZZNS1_27merge_sort_block_merge_implIS3_PlPS5_mZN2at6native12_GLOBAL__N_124unique_dim_cuda_templateIfEESt5tupleIJNSA_6TensorESF_SF_EERKSF_lbbbEUlllE_EE10hipError_tT0_T1_T2_jT3_P12ihipStream_tbPNSt15iterator_traitsISL_E10value_typeEPNSR_ISM_E10value_typeEPSN_NS1_7vsmem_tEENKUlT_SL_SM_SN_E_clIS8_S8_S9_S9_EESK_S10_SL_SM_SN_EUlS10_E_NS1_11comp_targetILNS1_3genE4ELNS1_11target_archE910ELNS1_3gpuE8ELNS1_3repE0EEENS1_48merge_mergepath_partition_config_static_selectorELNS0_4arch9wavefront6targetE1EEEvSM_.has_dyn_sized_stack, 0
	.set _ZN7rocprim17ROCPRIM_400000_NS6detail17trampoline_kernelINS0_14default_configENS1_38merge_sort_block_merge_config_selectorIlNS0_10empty_typeEEEZZNS1_27merge_sort_block_merge_implIS3_PlPS5_mZN2at6native12_GLOBAL__N_124unique_dim_cuda_templateIfEESt5tupleIJNSA_6TensorESF_SF_EERKSF_lbbbEUlllE_EE10hipError_tT0_T1_T2_jT3_P12ihipStream_tbPNSt15iterator_traitsISL_E10value_typeEPNSR_ISM_E10value_typeEPSN_NS1_7vsmem_tEENKUlT_SL_SM_SN_E_clIS8_S8_S9_S9_EESK_S10_SL_SM_SN_EUlS10_E_NS1_11comp_targetILNS1_3genE4ELNS1_11target_archE910ELNS1_3gpuE8ELNS1_3repE0EEENS1_48merge_mergepath_partition_config_static_selectorELNS0_4arch9wavefront6targetE1EEEvSM_.has_recursion, 0
	.set _ZN7rocprim17ROCPRIM_400000_NS6detail17trampoline_kernelINS0_14default_configENS1_38merge_sort_block_merge_config_selectorIlNS0_10empty_typeEEEZZNS1_27merge_sort_block_merge_implIS3_PlPS5_mZN2at6native12_GLOBAL__N_124unique_dim_cuda_templateIfEESt5tupleIJNSA_6TensorESF_SF_EERKSF_lbbbEUlllE_EE10hipError_tT0_T1_T2_jT3_P12ihipStream_tbPNSt15iterator_traitsISL_E10value_typeEPNSR_ISM_E10value_typeEPSN_NS1_7vsmem_tEENKUlT_SL_SM_SN_E_clIS8_S8_S9_S9_EESK_S10_SL_SM_SN_EUlS10_E_NS1_11comp_targetILNS1_3genE4ELNS1_11target_archE910ELNS1_3gpuE8ELNS1_3repE0EEENS1_48merge_mergepath_partition_config_static_selectorELNS0_4arch9wavefront6targetE1EEEvSM_.has_indirect_call, 0
	.section	.AMDGPU.csdata,"",@progbits
; Kernel info:
; codeLenInByte = 0
; TotalNumSgprs: 6
; NumVgprs: 0
; NumAgprs: 0
; TotalNumVgprs: 0
; ScratchSize: 0
; MemoryBound: 0
; FloatMode: 240
; IeeeMode: 1
; LDSByteSize: 0 bytes/workgroup (compile time only)
; SGPRBlocks: 0
; VGPRBlocks: 0
; NumSGPRsForWavesPerEU: 6
; NumVGPRsForWavesPerEU: 1
; AccumOffset: 4
; Occupancy: 8
; WaveLimiterHint : 0
; COMPUTE_PGM_RSRC2:SCRATCH_EN: 0
; COMPUTE_PGM_RSRC2:USER_SGPR: 2
; COMPUTE_PGM_RSRC2:TRAP_HANDLER: 0
; COMPUTE_PGM_RSRC2:TGID_X_EN: 1
; COMPUTE_PGM_RSRC2:TGID_Y_EN: 0
; COMPUTE_PGM_RSRC2:TGID_Z_EN: 0
; COMPUTE_PGM_RSRC2:TIDIG_COMP_CNT: 0
; COMPUTE_PGM_RSRC3_GFX90A:ACCUM_OFFSET: 0
; COMPUTE_PGM_RSRC3_GFX90A:TG_SPLIT: 0
	.section	.text._ZN7rocprim17ROCPRIM_400000_NS6detail17trampoline_kernelINS0_14default_configENS1_38merge_sort_block_merge_config_selectorIlNS0_10empty_typeEEEZZNS1_27merge_sort_block_merge_implIS3_PlPS5_mZN2at6native12_GLOBAL__N_124unique_dim_cuda_templateIfEESt5tupleIJNSA_6TensorESF_SF_EERKSF_lbbbEUlllE_EE10hipError_tT0_T1_T2_jT3_P12ihipStream_tbPNSt15iterator_traitsISL_E10value_typeEPNSR_ISM_E10value_typeEPSN_NS1_7vsmem_tEENKUlT_SL_SM_SN_E_clIS8_S8_S9_S9_EESK_S10_SL_SM_SN_EUlS10_E_NS1_11comp_targetILNS1_3genE3ELNS1_11target_archE908ELNS1_3gpuE7ELNS1_3repE0EEENS1_48merge_mergepath_partition_config_static_selectorELNS0_4arch9wavefront6targetE1EEEvSM_,"axG",@progbits,_ZN7rocprim17ROCPRIM_400000_NS6detail17trampoline_kernelINS0_14default_configENS1_38merge_sort_block_merge_config_selectorIlNS0_10empty_typeEEEZZNS1_27merge_sort_block_merge_implIS3_PlPS5_mZN2at6native12_GLOBAL__N_124unique_dim_cuda_templateIfEESt5tupleIJNSA_6TensorESF_SF_EERKSF_lbbbEUlllE_EE10hipError_tT0_T1_T2_jT3_P12ihipStream_tbPNSt15iterator_traitsISL_E10value_typeEPNSR_ISM_E10value_typeEPSN_NS1_7vsmem_tEENKUlT_SL_SM_SN_E_clIS8_S8_S9_S9_EESK_S10_SL_SM_SN_EUlS10_E_NS1_11comp_targetILNS1_3genE3ELNS1_11target_archE908ELNS1_3gpuE7ELNS1_3repE0EEENS1_48merge_mergepath_partition_config_static_selectorELNS0_4arch9wavefront6targetE1EEEvSM_,comdat
	.globl	_ZN7rocprim17ROCPRIM_400000_NS6detail17trampoline_kernelINS0_14default_configENS1_38merge_sort_block_merge_config_selectorIlNS0_10empty_typeEEEZZNS1_27merge_sort_block_merge_implIS3_PlPS5_mZN2at6native12_GLOBAL__N_124unique_dim_cuda_templateIfEESt5tupleIJNSA_6TensorESF_SF_EERKSF_lbbbEUlllE_EE10hipError_tT0_T1_T2_jT3_P12ihipStream_tbPNSt15iterator_traitsISL_E10value_typeEPNSR_ISM_E10value_typeEPSN_NS1_7vsmem_tEENKUlT_SL_SM_SN_E_clIS8_S8_S9_S9_EESK_S10_SL_SM_SN_EUlS10_E_NS1_11comp_targetILNS1_3genE3ELNS1_11target_archE908ELNS1_3gpuE7ELNS1_3repE0EEENS1_48merge_mergepath_partition_config_static_selectorELNS0_4arch9wavefront6targetE1EEEvSM_ ; -- Begin function _ZN7rocprim17ROCPRIM_400000_NS6detail17trampoline_kernelINS0_14default_configENS1_38merge_sort_block_merge_config_selectorIlNS0_10empty_typeEEEZZNS1_27merge_sort_block_merge_implIS3_PlPS5_mZN2at6native12_GLOBAL__N_124unique_dim_cuda_templateIfEESt5tupleIJNSA_6TensorESF_SF_EERKSF_lbbbEUlllE_EE10hipError_tT0_T1_T2_jT3_P12ihipStream_tbPNSt15iterator_traitsISL_E10value_typeEPNSR_ISM_E10value_typeEPSN_NS1_7vsmem_tEENKUlT_SL_SM_SN_E_clIS8_S8_S9_S9_EESK_S10_SL_SM_SN_EUlS10_E_NS1_11comp_targetILNS1_3genE3ELNS1_11target_archE908ELNS1_3gpuE7ELNS1_3repE0EEENS1_48merge_mergepath_partition_config_static_selectorELNS0_4arch9wavefront6targetE1EEEvSM_
	.p2align	8
	.type	_ZN7rocprim17ROCPRIM_400000_NS6detail17trampoline_kernelINS0_14default_configENS1_38merge_sort_block_merge_config_selectorIlNS0_10empty_typeEEEZZNS1_27merge_sort_block_merge_implIS3_PlPS5_mZN2at6native12_GLOBAL__N_124unique_dim_cuda_templateIfEESt5tupleIJNSA_6TensorESF_SF_EERKSF_lbbbEUlllE_EE10hipError_tT0_T1_T2_jT3_P12ihipStream_tbPNSt15iterator_traitsISL_E10value_typeEPNSR_ISM_E10value_typeEPSN_NS1_7vsmem_tEENKUlT_SL_SM_SN_E_clIS8_S8_S9_S9_EESK_S10_SL_SM_SN_EUlS10_E_NS1_11comp_targetILNS1_3genE3ELNS1_11target_archE908ELNS1_3gpuE7ELNS1_3repE0EEENS1_48merge_mergepath_partition_config_static_selectorELNS0_4arch9wavefront6targetE1EEEvSM_,@function
_ZN7rocprim17ROCPRIM_400000_NS6detail17trampoline_kernelINS0_14default_configENS1_38merge_sort_block_merge_config_selectorIlNS0_10empty_typeEEEZZNS1_27merge_sort_block_merge_implIS3_PlPS5_mZN2at6native12_GLOBAL__N_124unique_dim_cuda_templateIfEESt5tupleIJNSA_6TensorESF_SF_EERKSF_lbbbEUlllE_EE10hipError_tT0_T1_T2_jT3_P12ihipStream_tbPNSt15iterator_traitsISL_E10value_typeEPNSR_ISM_E10value_typeEPSN_NS1_7vsmem_tEENKUlT_SL_SM_SN_E_clIS8_S8_S9_S9_EESK_S10_SL_SM_SN_EUlS10_E_NS1_11comp_targetILNS1_3genE3ELNS1_11target_archE908ELNS1_3gpuE7ELNS1_3repE0EEENS1_48merge_mergepath_partition_config_static_selectorELNS0_4arch9wavefront6targetE1EEEvSM_: ; @_ZN7rocprim17ROCPRIM_400000_NS6detail17trampoline_kernelINS0_14default_configENS1_38merge_sort_block_merge_config_selectorIlNS0_10empty_typeEEEZZNS1_27merge_sort_block_merge_implIS3_PlPS5_mZN2at6native12_GLOBAL__N_124unique_dim_cuda_templateIfEESt5tupleIJNSA_6TensorESF_SF_EERKSF_lbbbEUlllE_EE10hipError_tT0_T1_T2_jT3_P12ihipStream_tbPNSt15iterator_traitsISL_E10value_typeEPNSR_ISM_E10value_typeEPSN_NS1_7vsmem_tEENKUlT_SL_SM_SN_E_clIS8_S8_S9_S9_EESK_S10_SL_SM_SN_EUlS10_E_NS1_11comp_targetILNS1_3genE3ELNS1_11target_archE908ELNS1_3gpuE7ELNS1_3repE0EEENS1_48merge_mergepath_partition_config_static_selectorELNS0_4arch9wavefront6targetE1EEEvSM_
; %bb.0:
	.section	.rodata,"a",@progbits
	.p2align	6, 0x0
	.amdhsa_kernel _ZN7rocprim17ROCPRIM_400000_NS6detail17trampoline_kernelINS0_14default_configENS1_38merge_sort_block_merge_config_selectorIlNS0_10empty_typeEEEZZNS1_27merge_sort_block_merge_implIS3_PlPS5_mZN2at6native12_GLOBAL__N_124unique_dim_cuda_templateIfEESt5tupleIJNSA_6TensorESF_SF_EERKSF_lbbbEUlllE_EE10hipError_tT0_T1_T2_jT3_P12ihipStream_tbPNSt15iterator_traitsISL_E10value_typeEPNSR_ISM_E10value_typeEPSN_NS1_7vsmem_tEENKUlT_SL_SM_SN_E_clIS8_S8_S9_S9_EESK_S10_SL_SM_SN_EUlS10_E_NS1_11comp_targetILNS1_3genE3ELNS1_11target_archE908ELNS1_3gpuE7ELNS1_3repE0EEENS1_48merge_mergepath_partition_config_static_selectorELNS0_4arch9wavefront6targetE1EEEvSM_
		.amdhsa_group_segment_fixed_size 0
		.amdhsa_private_segment_fixed_size 0
		.amdhsa_kernarg_size 56
		.amdhsa_user_sgpr_count 2
		.amdhsa_user_sgpr_dispatch_ptr 0
		.amdhsa_user_sgpr_queue_ptr 0
		.amdhsa_user_sgpr_kernarg_segment_ptr 1
		.amdhsa_user_sgpr_dispatch_id 0
		.amdhsa_user_sgpr_kernarg_preload_length 0
		.amdhsa_user_sgpr_kernarg_preload_offset 0
		.amdhsa_user_sgpr_private_segment_size 0
		.amdhsa_uses_dynamic_stack 0
		.amdhsa_enable_private_segment 0
		.amdhsa_system_sgpr_workgroup_id_x 1
		.amdhsa_system_sgpr_workgroup_id_y 0
		.amdhsa_system_sgpr_workgroup_id_z 0
		.amdhsa_system_sgpr_workgroup_info 0
		.amdhsa_system_vgpr_workitem_id 0
		.amdhsa_next_free_vgpr 1
		.amdhsa_next_free_sgpr 0
		.amdhsa_accum_offset 4
		.amdhsa_reserve_vcc 0
		.amdhsa_float_round_mode_32 0
		.amdhsa_float_round_mode_16_64 0
		.amdhsa_float_denorm_mode_32 3
		.amdhsa_float_denorm_mode_16_64 3
		.amdhsa_dx10_clamp 1
		.amdhsa_ieee_mode 1
		.amdhsa_fp16_overflow 0
		.amdhsa_tg_split 0
		.amdhsa_exception_fp_ieee_invalid_op 0
		.amdhsa_exception_fp_denorm_src 0
		.amdhsa_exception_fp_ieee_div_zero 0
		.amdhsa_exception_fp_ieee_overflow 0
		.amdhsa_exception_fp_ieee_underflow 0
		.amdhsa_exception_fp_ieee_inexact 0
		.amdhsa_exception_int_div_zero 0
	.end_amdhsa_kernel
	.section	.text._ZN7rocprim17ROCPRIM_400000_NS6detail17trampoline_kernelINS0_14default_configENS1_38merge_sort_block_merge_config_selectorIlNS0_10empty_typeEEEZZNS1_27merge_sort_block_merge_implIS3_PlPS5_mZN2at6native12_GLOBAL__N_124unique_dim_cuda_templateIfEESt5tupleIJNSA_6TensorESF_SF_EERKSF_lbbbEUlllE_EE10hipError_tT0_T1_T2_jT3_P12ihipStream_tbPNSt15iterator_traitsISL_E10value_typeEPNSR_ISM_E10value_typeEPSN_NS1_7vsmem_tEENKUlT_SL_SM_SN_E_clIS8_S8_S9_S9_EESK_S10_SL_SM_SN_EUlS10_E_NS1_11comp_targetILNS1_3genE3ELNS1_11target_archE908ELNS1_3gpuE7ELNS1_3repE0EEENS1_48merge_mergepath_partition_config_static_selectorELNS0_4arch9wavefront6targetE1EEEvSM_,"axG",@progbits,_ZN7rocprim17ROCPRIM_400000_NS6detail17trampoline_kernelINS0_14default_configENS1_38merge_sort_block_merge_config_selectorIlNS0_10empty_typeEEEZZNS1_27merge_sort_block_merge_implIS3_PlPS5_mZN2at6native12_GLOBAL__N_124unique_dim_cuda_templateIfEESt5tupleIJNSA_6TensorESF_SF_EERKSF_lbbbEUlllE_EE10hipError_tT0_T1_T2_jT3_P12ihipStream_tbPNSt15iterator_traitsISL_E10value_typeEPNSR_ISM_E10value_typeEPSN_NS1_7vsmem_tEENKUlT_SL_SM_SN_E_clIS8_S8_S9_S9_EESK_S10_SL_SM_SN_EUlS10_E_NS1_11comp_targetILNS1_3genE3ELNS1_11target_archE908ELNS1_3gpuE7ELNS1_3repE0EEENS1_48merge_mergepath_partition_config_static_selectorELNS0_4arch9wavefront6targetE1EEEvSM_,comdat
.Lfunc_end884:
	.size	_ZN7rocprim17ROCPRIM_400000_NS6detail17trampoline_kernelINS0_14default_configENS1_38merge_sort_block_merge_config_selectorIlNS0_10empty_typeEEEZZNS1_27merge_sort_block_merge_implIS3_PlPS5_mZN2at6native12_GLOBAL__N_124unique_dim_cuda_templateIfEESt5tupleIJNSA_6TensorESF_SF_EERKSF_lbbbEUlllE_EE10hipError_tT0_T1_T2_jT3_P12ihipStream_tbPNSt15iterator_traitsISL_E10value_typeEPNSR_ISM_E10value_typeEPSN_NS1_7vsmem_tEENKUlT_SL_SM_SN_E_clIS8_S8_S9_S9_EESK_S10_SL_SM_SN_EUlS10_E_NS1_11comp_targetILNS1_3genE3ELNS1_11target_archE908ELNS1_3gpuE7ELNS1_3repE0EEENS1_48merge_mergepath_partition_config_static_selectorELNS0_4arch9wavefront6targetE1EEEvSM_, .Lfunc_end884-_ZN7rocprim17ROCPRIM_400000_NS6detail17trampoline_kernelINS0_14default_configENS1_38merge_sort_block_merge_config_selectorIlNS0_10empty_typeEEEZZNS1_27merge_sort_block_merge_implIS3_PlPS5_mZN2at6native12_GLOBAL__N_124unique_dim_cuda_templateIfEESt5tupleIJNSA_6TensorESF_SF_EERKSF_lbbbEUlllE_EE10hipError_tT0_T1_T2_jT3_P12ihipStream_tbPNSt15iterator_traitsISL_E10value_typeEPNSR_ISM_E10value_typeEPSN_NS1_7vsmem_tEENKUlT_SL_SM_SN_E_clIS8_S8_S9_S9_EESK_S10_SL_SM_SN_EUlS10_E_NS1_11comp_targetILNS1_3genE3ELNS1_11target_archE908ELNS1_3gpuE7ELNS1_3repE0EEENS1_48merge_mergepath_partition_config_static_selectorELNS0_4arch9wavefront6targetE1EEEvSM_
                                        ; -- End function
	.set _ZN7rocprim17ROCPRIM_400000_NS6detail17trampoline_kernelINS0_14default_configENS1_38merge_sort_block_merge_config_selectorIlNS0_10empty_typeEEEZZNS1_27merge_sort_block_merge_implIS3_PlPS5_mZN2at6native12_GLOBAL__N_124unique_dim_cuda_templateIfEESt5tupleIJNSA_6TensorESF_SF_EERKSF_lbbbEUlllE_EE10hipError_tT0_T1_T2_jT3_P12ihipStream_tbPNSt15iterator_traitsISL_E10value_typeEPNSR_ISM_E10value_typeEPSN_NS1_7vsmem_tEENKUlT_SL_SM_SN_E_clIS8_S8_S9_S9_EESK_S10_SL_SM_SN_EUlS10_E_NS1_11comp_targetILNS1_3genE3ELNS1_11target_archE908ELNS1_3gpuE7ELNS1_3repE0EEENS1_48merge_mergepath_partition_config_static_selectorELNS0_4arch9wavefront6targetE1EEEvSM_.num_vgpr, 0
	.set _ZN7rocprim17ROCPRIM_400000_NS6detail17trampoline_kernelINS0_14default_configENS1_38merge_sort_block_merge_config_selectorIlNS0_10empty_typeEEEZZNS1_27merge_sort_block_merge_implIS3_PlPS5_mZN2at6native12_GLOBAL__N_124unique_dim_cuda_templateIfEESt5tupleIJNSA_6TensorESF_SF_EERKSF_lbbbEUlllE_EE10hipError_tT0_T1_T2_jT3_P12ihipStream_tbPNSt15iterator_traitsISL_E10value_typeEPNSR_ISM_E10value_typeEPSN_NS1_7vsmem_tEENKUlT_SL_SM_SN_E_clIS8_S8_S9_S9_EESK_S10_SL_SM_SN_EUlS10_E_NS1_11comp_targetILNS1_3genE3ELNS1_11target_archE908ELNS1_3gpuE7ELNS1_3repE0EEENS1_48merge_mergepath_partition_config_static_selectorELNS0_4arch9wavefront6targetE1EEEvSM_.num_agpr, 0
	.set _ZN7rocprim17ROCPRIM_400000_NS6detail17trampoline_kernelINS0_14default_configENS1_38merge_sort_block_merge_config_selectorIlNS0_10empty_typeEEEZZNS1_27merge_sort_block_merge_implIS3_PlPS5_mZN2at6native12_GLOBAL__N_124unique_dim_cuda_templateIfEESt5tupleIJNSA_6TensorESF_SF_EERKSF_lbbbEUlllE_EE10hipError_tT0_T1_T2_jT3_P12ihipStream_tbPNSt15iterator_traitsISL_E10value_typeEPNSR_ISM_E10value_typeEPSN_NS1_7vsmem_tEENKUlT_SL_SM_SN_E_clIS8_S8_S9_S9_EESK_S10_SL_SM_SN_EUlS10_E_NS1_11comp_targetILNS1_3genE3ELNS1_11target_archE908ELNS1_3gpuE7ELNS1_3repE0EEENS1_48merge_mergepath_partition_config_static_selectorELNS0_4arch9wavefront6targetE1EEEvSM_.numbered_sgpr, 0
	.set _ZN7rocprim17ROCPRIM_400000_NS6detail17trampoline_kernelINS0_14default_configENS1_38merge_sort_block_merge_config_selectorIlNS0_10empty_typeEEEZZNS1_27merge_sort_block_merge_implIS3_PlPS5_mZN2at6native12_GLOBAL__N_124unique_dim_cuda_templateIfEESt5tupleIJNSA_6TensorESF_SF_EERKSF_lbbbEUlllE_EE10hipError_tT0_T1_T2_jT3_P12ihipStream_tbPNSt15iterator_traitsISL_E10value_typeEPNSR_ISM_E10value_typeEPSN_NS1_7vsmem_tEENKUlT_SL_SM_SN_E_clIS8_S8_S9_S9_EESK_S10_SL_SM_SN_EUlS10_E_NS1_11comp_targetILNS1_3genE3ELNS1_11target_archE908ELNS1_3gpuE7ELNS1_3repE0EEENS1_48merge_mergepath_partition_config_static_selectorELNS0_4arch9wavefront6targetE1EEEvSM_.num_named_barrier, 0
	.set _ZN7rocprim17ROCPRIM_400000_NS6detail17trampoline_kernelINS0_14default_configENS1_38merge_sort_block_merge_config_selectorIlNS0_10empty_typeEEEZZNS1_27merge_sort_block_merge_implIS3_PlPS5_mZN2at6native12_GLOBAL__N_124unique_dim_cuda_templateIfEESt5tupleIJNSA_6TensorESF_SF_EERKSF_lbbbEUlllE_EE10hipError_tT0_T1_T2_jT3_P12ihipStream_tbPNSt15iterator_traitsISL_E10value_typeEPNSR_ISM_E10value_typeEPSN_NS1_7vsmem_tEENKUlT_SL_SM_SN_E_clIS8_S8_S9_S9_EESK_S10_SL_SM_SN_EUlS10_E_NS1_11comp_targetILNS1_3genE3ELNS1_11target_archE908ELNS1_3gpuE7ELNS1_3repE0EEENS1_48merge_mergepath_partition_config_static_selectorELNS0_4arch9wavefront6targetE1EEEvSM_.private_seg_size, 0
	.set _ZN7rocprim17ROCPRIM_400000_NS6detail17trampoline_kernelINS0_14default_configENS1_38merge_sort_block_merge_config_selectorIlNS0_10empty_typeEEEZZNS1_27merge_sort_block_merge_implIS3_PlPS5_mZN2at6native12_GLOBAL__N_124unique_dim_cuda_templateIfEESt5tupleIJNSA_6TensorESF_SF_EERKSF_lbbbEUlllE_EE10hipError_tT0_T1_T2_jT3_P12ihipStream_tbPNSt15iterator_traitsISL_E10value_typeEPNSR_ISM_E10value_typeEPSN_NS1_7vsmem_tEENKUlT_SL_SM_SN_E_clIS8_S8_S9_S9_EESK_S10_SL_SM_SN_EUlS10_E_NS1_11comp_targetILNS1_3genE3ELNS1_11target_archE908ELNS1_3gpuE7ELNS1_3repE0EEENS1_48merge_mergepath_partition_config_static_selectorELNS0_4arch9wavefront6targetE1EEEvSM_.uses_vcc, 0
	.set _ZN7rocprim17ROCPRIM_400000_NS6detail17trampoline_kernelINS0_14default_configENS1_38merge_sort_block_merge_config_selectorIlNS0_10empty_typeEEEZZNS1_27merge_sort_block_merge_implIS3_PlPS5_mZN2at6native12_GLOBAL__N_124unique_dim_cuda_templateIfEESt5tupleIJNSA_6TensorESF_SF_EERKSF_lbbbEUlllE_EE10hipError_tT0_T1_T2_jT3_P12ihipStream_tbPNSt15iterator_traitsISL_E10value_typeEPNSR_ISM_E10value_typeEPSN_NS1_7vsmem_tEENKUlT_SL_SM_SN_E_clIS8_S8_S9_S9_EESK_S10_SL_SM_SN_EUlS10_E_NS1_11comp_targetILNS1_3genE3ELNS1_11target_archE908ELNS1_3gpuE7ELNS1_3repE0EEENS1_48merge_mergepath_partition_config_static_selectorELNS0_4arch9wavefront6targetE1EEEvSM_.uses_flat_scratch, 0
	.set _ZN7rocprim17ROCPRIM_400000_NS6detail17trampoline_kernelINS0_14default_configENS1_38merge_sort_block_merge_config_selectorIlNS0_10empty_typeEEEZZNS1_27merge_sort_block_merge_implIS3_PlPS5_mZN2at6native12_GLOBAL__N_124unique_dim_cuda_templateIfEESt5tupleIJNSA_6TensorESF_SF_EERKSF_lbbbEUlllE_EE10hipError_tT0_T1_T2_jT3_P12ihipStream_tbPNSt15iterator_traitsISL_E10value_typeEPNSR_ISM_E10value_typeEPSN_NS1_7vsmem_tEENKUlT_SL_SM_SN_E_clIS8_S8_S9_S9_EESK_S10_SL_SM_SN_EUlS10_E_NS1_11comp_targetILNS1_3genE3ELNS1_11target_archE908ELNS1_3gpuE7ELNS1_3repE0EEENS1_48merge_mergepath_partition_config_static_selectorELNS0_4arch9wavefront6targetE1EEEvSM_.has_dyn_sized_stack, 0
	.set _ZN7rocprim17ROCPRIM_400000_NS6detail17trampoline_kernelINS0_14default_configENS1_38merge_sort_block_merge_config_selectorIlNS0_10empty_typeEEEZZNS1_27merge_sort_block_merge_implIS3_PlPS5_mZN2at6native12_GLOBAL__N_124unique_dim_cuda_templateIfEESt5tupleIJNSA_6TensorESF_SF_EERKSF_lbbbEUlllE_EE10hipError_tT0_T1_T2_jT3_P12ihipStream_tbPNSt15iterator_traitsISL_E10value_typeEPNSR_ISM_E10value_typeEPSN_NS1_7vsmem_tEENKUlT_SL_SM_SN_E_clIS8_S8_S9_S9_EESK_S10_SL_SM_SN_EUlS10_E_NS1_11comp_targetILNS1_3genE3ELNS1_11target_archE908ELNS1_3gpuE7ELNS1_3repE0EEENS1_48merge_mergepath_partition_config_static_selectorELNS0_4arch9wavefront6targetE1EEEvSM_.has_recursion, 0
	.set _ZN7rocprim17ROCPRIM_400000_NS6detail17trampoline_kernelINS0_14default_configENS1_38merge_sort_block_merge_config_selectorIlNS0_10empty_typeEEEZZNS1_27merge_sort_block_merge_implIS3_PlPS5_mZN2at6native12_GLOBAL__N_124unique_dim_cuda_templateIfEESt5tupleIJNSA_6TensorESF_SF_EERKSF_lbbbEUlllE_EE10hipError_tT0_T1_T2_jT3_P12ihipStream_tbPNSt15iterator_traitsISL_E10value_typeEPNSR_ISM_E10value_typeEPSN_NS1_7vsmem_tEENKUlT_SL_SM_SN_E_clIS8_S8_S9_S9_EESK_S10_SL_SM_SN_EUlS10_E_NS1_11comp_targetILNS1_3genE3ELNS1_11target_archE908ELNS1_3gpuE7ELNS1_3repE0EEENS1_48merge_mergepath_partition_config_static_selectorELNS0_4arch9wavefront6targetE1EEEvSM_.has_indirect_call, 0
	.section	.AMDGPU.csdata,"",@progbits
; Kernel info:
; codeLenInByte = 0
; TotalNumSgprs: 6
; NumVgprs: 0
; NumAgprs: 0
; TotalNumVgprs: 0
; ScratchSize: 0
; MemoryBound: 0
; FloatMode: 240
; IeeeMode: 1
; LDSByteSize: 0 bytes/workgroup (compile time only)
; SGPRBlocks: 0
; VGPRBlocks: 0
; NumSGPRsForWavesPerEU: 6
; NumVGPRsForWavesPerEU: 1
; AccumOffset: 4
; Occupancy: 8
; WaveLimiterHint : 0
; COMPUTE_PGM_RSRC2:SCRATCH_EN: 0
; COMPUTE_PGM_RSRC2:USER_SGPR: 2
; COMPUTE_PGM_RSRC2:TRAP_HANDLER: 0
; COMPUTE_PGM_RSRC2:TGID_X_EN: 1
; COMPUTE_PGM_RSRC2:TGID_Y_EN: 0
; COMPUTE_PGM_RSRC2:TGID_Z_EN: 0
; COMPUTE_PGM_RSRC2:TIDIG_COMP_CNT: 0
; COMPUTE_PGM_RSRC3_GFX90A:ACCUM_OFFSET: 0
; COMPUTE_PGM_RSRC3_GFX90A:TG_SPLIT: 0
	.section	.text._ZN7rocprim17ROCPRIM_400000_NS6detail17trampoline_kernelINS0_14default_configENS1_38merge_sort_block_merge_config_selectorIlNS0_10empty_typeEEEZZNS1_27merge_sort_block_merge_implIS3_PlPS5_mZN2at6native12_GLOBAL__N_124unique_dim_cuda_templateIfEESt5tupleIJNSA_6TensorESF_SF_EERKSF_lbbbEUlllE_EE10hipError_tT0_T1_T2_jT3_P12ihipStream_tbPNSt15iterator_traitsISL_E10value_typeEPNSR_ISM_E10value_typeEPSN_NS1_7vsmem_tEENKUlT_SL_SM_SN_E_clIS8_S8_S9_S9_EESK_S10_SL_SM_SN_EUlS10_E_NS1_11comp_targetILNS1_3genE2ELNS1_11target_archE906ELNS1_3gpuE6ELNS1_3repE0EEENS1_48merge_mergepath_partition_config_static_selectorELNS0_4arch9wavefront6targetE1EEEvSM_,"axG",@progbits,_ZN7rocprim17ROCPRIM_400000_NS6detail17trampoline_kernelINS0_14default_configENS1_38merge_sort_block_merge_config_selectorIlNS0_10empty_typeEEEZZNS1_27merge_sort_block_merge_implIS3_PlPS5_mZN2at6native12_GLOBAL__N_124unique_dim_cuda_templateIfEESt5tupleIJNSA_6TensorESF_SF_EERKSF_lbbbEUlllE_EE10hipError_tT0_T1_T2_jT3_P12ihipStream_tbPNSt15iterator_traitsISL_E10value_typeEPNSR_ISM_E10value_typeEPSN_NS1_7vsmem_tEENKUlT_SL_SM_SN_E_clIS8_S8_S9_S9_EESK_S10_SL_SM_SN_EUlS10_E_NS1_11comp_targetILNS1_3genE2ELNS1_11target_archE906ELNS1_3gpuE6ELNS1_3repE0EEENS1_48merge_mergepath_partition_config_static_selectorELNS0_4arch9wavefront6targetE1EEEvSM_,comdat
	.globl	_ZN7rocprim17ROCPRIM_400000_NS6detail17trampoline_kernelINS0_14default_configENS1_38merge_sort_block_merge_config_selectorIlNS0_10empty_typeEEEZZNS1_27merge_sort_block_merge_implIS3_PlPS5_mZN2at6native12_GLOBAL__N_124unique_dim_cuda_templateIfEESt5tupleIJNSA_6TensorESF_SF_EERKSF_lbbbEUlllE_EE10hipError_tT0_T1_T2_jT3_P12ihipStream_tbPNSt15iterator_traitsISL_E10value_typeEPNSR_ISM_E10value_typeEPSN_NS1_7vsmem_tEENKUlT_SL_SM_SN_E_clIS8_S8_S9_S9_EESK_S10_SL_SM_SN_EUlS10_E_NS1_11comp_targetILNS1_3genE2ELNS1_11target_archE906ELNS1_3gpuE6ELNS1_3repE0EEENS1_48merge_mergepath_partition_config_static_selectorELNS0_4arch9wavefront6targetE1EEEvSM_ ; -- Begin function _ZN7rocprim17ROCPRIM_400000_NS6detail17trampoline_kernelINS0_14default_configENS1_38merge_sort_block_merge_config_selectorIlNS0_10empty_typeEEEZZNS1_27merge_sort_block_merge_implIS3_PlPS5_mZN2at6native12_GLOBAL__N_124unique_dim_cuda_templateIfEESt5tupleIJNSA_6TensorESF_SF_EERKSF_lbbbEUlllE_EE10hipError_tT0_T1_T2_jT3_P12ihipStream_tbPNSt15iterator_traitsISL_E10value_typeEPNSR_ISM_E10value_typeEPSN_NS1_7vsmem_tEENKUlT_SL_SM_SN_E_clIS8_S8_S9_S9_EESK_S10_SL_SM_SN_EUlS10_E_NS1_11comp_targetILNS1_3genE2ELNS1_11target_archE906ELNS1_3gpuE6ELNS1_3repE0EEENS1_48merge_mergepath_partition_config_static_selectorELNS0_4arch9wavefront6targetE1EEEvSM_
	.p2align	8
	.type	_ZN7rocprim17ROCPRIM_400000_NS6detail17trampoline_kernelINS0_14default_configENS1_38merge_sort_block_merge_config_selectorIlNS0_10empty_typeEEEZZNS1_27merge_sort_block_merge_implIS3_PlPS5_mZN2at6native12_GLOBAL__N_124unique_dim_cuda_templateIfEESt5tupleIJNSA_6TensorESF_SF_EERKSF_lbbbEUlllE_EE10hipError_tT0_T1_T2_jT3_P12ihipStream_tbPNSt15iterator_traitsISL_E10value_typeEPNSR_ISM_E10value_typeEPSN_NS1_7vsmem_tEENKUlT_SL_SM_SN_E_clIS8_S8_S9_S9_EESK_S10_SL_SM_SN_EUlS10_E_NS1_11comp_targetILNS1_3genE2ELNS1_11target_archE906ELNS1_3gpuE6ELNS1_3repE0EEENS1_48merge_mergepath_partition_config_static_selectorELNS0_4arch9wavefront6targetE1EEEvSM_,@function
_ZN7rocprim17ROCPRIM_400000_NS6detail17trampoline_kernelINS0_14default_configENS1_38merge_sort_block_merge_config_selectorIlNS0_10empty_typeEEEZZNS1_27merge_sort_block_merge_implIS3_PlPS5_mZN2at6native12_GLOBAL__N_124unique_dim_cuda_templateIfEESt5tupleIJNSA_6TensorESF_SF_EERKSF_lbbbEUlllE_EE10hipError_tT0_T1_T2_jT3_P12ihipStream_tbPNSt15iterator_traitsISL_E10value_typeEPNSR_ISM_E10value_typeEPSN_NS1_7vsmem_tEENKUlT_SL_SM_SN_E_clIS8_S8_S9_S9_EESK_S10_SL_SM_SN_EUlS10_E_NS1_11comp_targetILNS1_3genE2ELNS1_11target_archE906ELNS1_3gpuE6ELNS1_3repE0EEENS1_48merge_mergepath_partition_config_static_selectorELNS0_4arch9wavefront6targetE1EEEvSM_: ; @_ZN7rocprim17ROCPRIM_400000_NS6detail17trampoline_kernelINS0_14default_configENS1_38merge_sort_block_merge_config_selectorIlNS0_10empty_typeEEEZZNS1_27merge_sort_block_merge_implIS3_PlPS5_mZN2at6native12_GLOBAL__N_124unique_dim_cuda_templateIfEESt5tupleIJNSA_6TensorESF_SF_EERKSF_lbbbEUlllE_EE10hipError_tT0_T1_T2_jT3_P12ihipStream_tbPNSt15iterator_traitsISL_E10value_typeEPNSR_ISM_E10value_typeEPSN_NS1_7vsmem_tEENKUlT_SL_SM_SN_E_clIS8_S8_S9_S9_EESK_S10_SL_SM_SN_EUlS10_E_NS1_11comp_targetILNS1_3genE2ELNS1_11target_archE906ELNS1_3gpuE6ELNS1_3repE0EEENS1_48merge_mergepath_partition_config_static_selectorELNS0_4arch9wavefront6targetE1EEEvSM_
; %bb.0:
	.section	.rodata,"a",@progbits
	.p2align	6, 0x0
	.amdhsa_kernel _ZN7rocprim17ROCPRIM_400000_NS6detail17trampoline_kernelINS0_14default_configENS1_38merge_sort_block_merge_config_selectorIlNS0_10empty_typeEEEZZNS1_27merge_sort_block_merge_implIS3_PlPS5_mZN2at6native12_GLOBAL__N_124unique_dim_cuda_templateIfEESt5tupleIJNSA_6TensorESF_SF_EERKSF_lbbbEUlllE_EE10hipError_tT0_T1_T2_jT3_P12ihipStream_tbPNSt15iterator_traitsISL_E10value_typeEPNSR_ISM_E10value_typeEPSN_NS1_7vsmem_tEENKUlT_SL_SM_SN_E_clIS8_S8_S9_S9_EESK_S10_SL_SM_SN_EUlS10_E_NS1_11comp_targetILNS1_3genE2ELNS1_11target_archE906ELNS1_3gpuE6ELNS1_3repE0EEENS1_48merge_mergepath_partition_config_static_selectorELNS0_4arch9wavefront6targetE1EEEvSM_
		.amdhsa_group_segment_fixed_size 0
		.amdhsa_private_segment_fixed_size 0
		.amdhsa_kernarg_size 56
		.amdhsa_user_sgpr_count 2
		.amdhsa_user_sgpr_dispatch_ptr 0
		.amdhsa_user_sgpr_queue_ptr 0
		.amdhsa_user_sgpr_kernarg_segment_ptr 1
		.amdhsa_user_sgpr_dispatch_id 0
		.amdhsa_user_sgpr_kernarg_preload_length 0
		.amdhsa_user_sgpr_kernarg_preload_offset 0
		.amdhsa_user_sgpr_private_segment_size 0
		.amdhsa_uses_dynamic_stack 0
		.amdhsa_enable_private_segment 0
		.amdhsa_system_sgpr_workgroup_id_x 1
		.amdhsa_system_sgpr_workgroup_id_y 0
		.amdhsa_system_sgpr_workgroup_id_z 0
		.amdhsa_system_sgpr_workgroup_info 0
		.amdhsa_system_vgpr_workitem_id 0
		.amdhsa_next_free_vgpr 1
		.amdhsa_next_free_sgpr 0
		.amdhsa_accum_offset 4
		.amdhsa_reserve_vcc 0
		.amdhsa_float_round_mode_32 0
		.amdhsa_float_round_mode_16_64 0
		.amdhsa_float_denorm_mode_32 3
		.amdhsa_float_denorm_mode_16_64 3
		.amdhsa_dx10_clamp 1
		.amdhsa_ieee_mode 1
		.amdhsa_fp16_overflow 0
		.amdhsa_tg_split 0
		.amdhsa_exception_fp_ieee_invalid_op 0
		.amdhsa_exception_fp_denorm_src 0
		.amdhsa_exception_fp_ieee_div_zero 0
		.amdhsa_exception_fp_ieee_overflow 0
		.amdhsa_exception_fp_ieee_underflow 0
		.amdhsa_exception_fp_ieee_inexact 0
		.amdhsa_exception_int_div_zero 0
	.end_amdhsa_kernel
	.section	.text._ZN7rocprim17ROCPRIM_400000_NS6detail17trampoline_kernelINS0_14default_configENS1_38merge_sort_block_merge_config_selectorIlNS0_10empty_typeEEEZZNS1_27merge_sort_block_merge_implIS3_PlPS5_mZN2at6native12_GLOBAL__N_124unique_dim_cuda_templateIfEESt5tupleIJNSA_6TensorESF_SF_EERKSF_lbbbEUlllE_EE10hipError_tT0_T1_T2_jT3_P12ihipStream_tbPNSt15iterator_traitsISL_E10value_typeEPNSR_ISM_E10value_typeEPSN_NS1_7vsmem_tEENKUlT_SL_SM_SN_E_clIS8_S8_S9_S9_EESK_S10_SL_SM_SN_EUlS10_E_NS1_11comp_targetILNS1_3genE2ELNS1_11target_archE906ELNS1_3gpuE6ELNS1_3repE0EEENS1_48merge_mergepath_partition_config_static_selectorELNS0_4arch9wavefront6targetE1EEEvSM_,"axG",@progbits,_ZN7rocprim17ROCPRIM_400000_NS6detail17trampoline_kernelINS0_14default_configENS1_38merge_sort_block_merge_config_selectorIlNS0_10empty_typeEEEZZNS1_27merge_sort_block_merge_implIS3_PlPS5_mZN2at6native12_GLOBAL__N_124unique_dim_cuda_templateIfEESt5tupleIJNSA_6TensorESF_SF_EERKSF_lbbbEUlllE_EE10hipError_tT0_T1_T2_jT3_P12ihipStream_tbPNSt15iterator_traitsISL_E10value_typeEPNSR_ISM_E10value_typeEPSN_NS1_7vsmem_tEENKUlT_SL_SM_SN_E_clIS8_S8_S9_S9_EESK_S10_SL_SM_SN_EUlS10_E_NS1_11comp_targetILNS1_3genE2ELNS1_11target_archE906ELNS1_3gpuE6ELNS1_3repE0EEENS1_48merge_mergepath_partition_config_static_selectorELNS0_4arch9wavefront6targetE1EEEvSM_,comdat
.Lfunc_end885:
	.size	_ZN7rocprim17ROCPRIM_400000_NS6detail17trampoline_kernelINS0_14default_configENS1_38merge_sort_block_merge_config_selectorIlNS0_10empty_typeEEEZZNS1_27merge_sort_block_merge_implIS3_PlPS5_mZN2at6native12_GLOBAL__N_124unique_dim_cuda_templateIfEESt5tupleIJNSA_6TensorESF_SF_EERKSF_lbbbEUlllE_EE10hipError_tT0_T1_T2_jT3_P12ihipStream_tbPNSt15iterator_traitsISL_E10value_typeEPNSR_ISM_E10value_typeEPSN_NS1_7vsmem_tEENKUlT_SL_SM_SN_E_clIS8_S8_S9_S9_EESK_S10_SL_SM_SN_EUlS10_E_NS1_11comp_targetILNS1_3genE2ELNS1_11target_archE906ELNS1_3gpuE6ELNS1_3repE0EEENS1_48merge_mergepath_partition_config_static_selectorELNS0_4arch9wavefront6targetE1EEEvSM_, .Lfunc_end885-_ZN7rocprim17ROCPRIM_400000_NS6detail17trampoline_kernelINS0_14default_configENS1_38merge_sort_block_merge_config_selectorIlNS0_10empty_typeEEEZZNS1_27merge_sort_block_merge_implIS3_PlPS5_mZN2at6native12_GLOBAL__N_124unique_dim_cuda_templateIfEESt5tupleIJNSA_6TensorESF_SF_EERKSF_lbbbEUlllE_EE10hipError_tT0_T1_T2_jT3_P12ihipStream_tbPNSt15iterator_traitsISL_E10value_typeEPNSR_ISM_E10value_typeEPSN_NS1_7vsmem_tEENKUlT_SL_SM_SN_E_clIS8_S8_S9_S9_EESK_S10_SL_SM_SN_EUlS10_E_NS1_11comp_targetILNS1_3genE2ELNS1_11target_archE906ELNS1_3gpuE6ELNS1_3repE0EEENS1_48merge_mergepath_partition_config_static_selectorELNS0_4arch9wavefront6targetE1EEEvSM_
                                        ; -- End function
	.set _ZN7rocprim17ROCPRIM_400000_NS6detail17trampoline_kernelINS0_14default_configENS1_38merge_sort_block_merge_config_selectorIlNS0_10empty_typeEEEZZNS1_27merge_sort_block_merge_implIS3_PlPS5_mZN2at6native12_GLOBAL__N_124unique_dim_cuda_templateIfEESt5tupleIJNSA_6TensorESF_SF_EERKSF_lbbbEUlllE_EE10hipError_tT0_T1_T2_jT3_P12ihipStream_tbPNSt15iterator_traitsISL_E10value_typeEPNSR_ISM_E10value_typeEPSN_NS1_7vsmem_tEENKUlT_SL_SM_SN_E_clIS8_S8_S9_S9_EESK_S10_SL_SM_SN_EUlS10_E_NS1_11comp_targetILNS1_3genE2ELNS1_11target_archE906ELNS1_3gpuE6ELNS1_3repE0EEENS1_48merge_mergepath_partition_config_static_selectorELNS0_4arch9wavefront6targetE1EEEvSM_.num_vgpr, 0
	.set _ZN7rocprim17ROCPRIM_400000_NS6detail17trampoline_kernelINS0_14default_configENS1_38merge_sort_block_merge_config_selectorIlNS0_10empty_typeEEEZZNS1_27merge_sort_block_merge_implIS3_PlPS5_mZN2at6native12_GLOBAL__N_124unique_dim_cuda_templateIfEESt5tupleIJNSA_6TensorESF_SF_EERKSF_lbbbEUlllE_EE10hipError_tT0_T1_T2_jT3_P12ihipStream_tbPNSt15iterator_traitsISL_E10value_typeEPNSR_ISM_E10value_typeEPSN_NS1_7vsmem_tEENKUlT_SL_SM_SN_E_clIS8_S8_S9_S9_EESK_S10_SL_SM_SN_EUlS10_E_NS1_11comp_targetILNS1_3genE2ELNS1_11target_archE906ELNS1_3gpuE6ELNS1_3repE0EEENS1_48merge_mergepath_partition_config_static_selectorELNS0_4arch9wavefront6targetE1EEEvSM_.num_agpr, 0
	.set _ZN7rocprim17ROCPRIM_400000_NS6detail17trampoline_kernelINS0_14default_configENS1_38merge_sort_block_merge_config_selectorIlNS0_10empty_typeEEEZZNS1_27merge_sort_block_merge_implIS3_PlPS5_mZN2at6native12_GLOBAL__N_124unique_dim_cuda_templateIfEESt5tupleIJNSA_6TensorESF_SF_EERKSF_lbbbEUlllE_EE10hipError_tT0_T1_T2_jT3_P12ihipStream_tbPNSt15iterator_traitsISL_E10value_typeEPNSR_ISM_E10value_typeEPSN_NS1_7vsmem_tEENKUlT_SL_SM_SN_E_clIS8_S8_S9_S9_EESK_S10_SL_SM_SN_EUlS10_E_NS1_11comp_targetILNS1_3genE2ELNS1_11target_archE906ELNS1_3gpuE6ELNS1_3repE0EEENS1_48merge_mergepath_partition_config_static_selectorELNS0_4arch9wavefront6targetE1EEEvSM_.numbered_sgpr, 0
	.set _ZN7rocprim17ROCPRIM_400000_NS6detail17trampoline_kernelINS0_14default_configENS1_38merge_sort_block_merge_config_selectorIlNS0_10empty_typeEEEZZNS1_27merge_sort_block_merge_implIS3_PlPS5_mZN2at6native12_GLOBAL__N_124unique_dim_cuda_templateIfEESt5tupleIJNSA_6TensorESF_SF_EERKSF_lbbbEUlllE_EE10hipError_tT0_T1_T2_jT3_P12ihipStream_tbPNSt15iterator_traitsISL_E10value_typeEPNSR_ISM_E10value_typeEPSN_NS1_7vsmem_tEENKUlT_SL_SM_SN_E_clIS8_S8_S9_S9_EESK_S10_SL_SM_SN_EUlS10_E_NS1_11comp_targetILNS1_3genE2ELNS1_11target_archE906ELNS1_3gpuE6ELNS1_3repE0EEENS1_48merge_mergepath_partition_config_static_selectorELNS0_4arch9wavefront6targetE1EEEvSM_.num_named_barrier, 0
	.set _ZN7rocprim17ROCPRIM_400000_NS6detail17trampoline_kernelINS0_14default_configENS1_38merge_sort_block_merge_config_selectorIlNS0_10empty_typeEEEZZNS1_27merge_sort_block_merge_implIS3_PlPS5_mZN2at6native12_GLOBAL__N_124unique_dim_cuda_templateIfEESt5tupleIJNSA_6TensorESF_SF_EERKSF_lbbbEUlllE_EE10hipError_tT0_T1_T2_jT3_P12ihipStream_tbPNSt15iterator_traitsISL_E10value_typeEPNSR_ISM_E10value_typeEPSN_NS1_7vsmem_tEENKUlT_SL_SM_SN_E_clIS8_S8_S9_S9_EESK_S10_SL_SM_SN_EUlS10_E_NS1_11comp_targetILNS1_3genE2ELNS1_11target_archE906ELNS1_3gpuE6ELNS1_3repE0EEENS1_48merge_mergepath_partition_config_static_selectorELNS0_4arch9wavefront6targetE1EEEvSM_.private_seg_size, 0
	.set _ZN7rocprim17ROCPRIM_400000_NS6detail17trampoline_kernelINS0_14default_configENS1_38merge_sort_block_merge_config_selectorIlNS0_10empty_typeEEEZZNS1_27merge_sort_block_merge_implIS3_PlPS5_mZN2at6native12_GLOBAL__N_124unique_dim_cuda_templateIfEESt5tupleIJNSA_6TensorESF_SF_EERKSF_lbbbEUlllE_EE10hipError_tT0_T1_T2_jT3_P12ihipStream_tbPNSt15iterator_traitsISL_E10value_typeEPNSR_ISM_E10value_typeEPSN_NS1_7vsmem_tEENKUlT_SL_SM_SN_E_clIS8_S8_S9_S9_EESK_S10_SL_SM_SN_EUlS10_E_NS1_11comp_targetILNS1_3genE2ELNS1_11target_archE906ELNS1_3gpuE6ELNS1_3repE0EEENS1_48merge_mergepath_partition_config_static_selectorELNS0_4arch9wavefront6targetE1EEEvSM_.uses_vcc, 0
	.set _ZN7rocprim17ROCPRIM_400000_NS6detail17trampoline_kernelINS0_14default_configENS1_38merge_sort_block_merge_config_selectorIlNS0_10empty_typeEEEZZNS1_27merge_sort_block_merge_implIS3_PlPS5_mZN2at6native12_GLOBAL__N_124unique_dim_cuda_templateIfEESt5tupleIJNSA_6TensorESF_SF_EERKSF_lbbbEUlllE_EE10hipError_tT0_T1_T2_jT3_P12ihipStream_tbPNSt15iterator_traitsISL_E10value_typeEPNSR_ISM_E10value_typeEPSN_NS1_7vsmem_tEENKUlT_SL_SM_SN_E_clIS8_S8_S9_S9_EESK_S10_SL_SM_SN_EUlS10_E_NS1_11comp_targetILNS1_3genE2ELNS1_11target_archE906ELNS1_3gpuE6ELNS1_3repE0EEENS1_48merge_mergepath_partition_config_static_selectorELNS0_4arch9wavefront6targetE1EEEvSM_.uses_flat_scratch, 0
	.set _ZN7rocprim17ROCPRIM_400000_NS6detail17trampoline_kernelINS0_14default_configENS1_38merge_sort_block_merge_config_selectorIlNS0_10empty_typeEEEZZNS1_27merge_sort_block_merge_implIS3_PlPS5_mZN2at6native12_GLOBAL__N_124unique_dim_cuda_templateIfEESt5tupleIJNSA_6TensorESF_SF_EERKSF_lbbbEUlllE_EE10hipError_tT0_T1_T2_jT3_P12ihipStream_tbPNSt15iterator_traitsISL_E10value_typeEPNSR_ISM_E10value_typeEPSN_NS1_7vsmem_tEENKUlT_SL_SM_SN_E_clIS8_S8_S9_S9_EESK_S10_SL_SM_SN_EUlS10_E_NS1_11comp_targetILNS1_3genE2ELNS1_11target_archE906ELNS1_3gpuE6ELNS1_3repE0EEENS1_48merge_mergepath_partition_config_static_selectorELNS0_4arch9wavefront6targetE1EEEvSM_.has_dyn_sized_stack, 0
	.set _ZN7rocprim17ROCPRIM_400000_NS6detail17trampoline_kernelINS0_14default_configENS1_38merge_sort_block_merge_config_selectorIlNS0_10empty_typeEEEZZNS1_27merge_sort_block_merge_implIS3_PlPS5_mZN2at6native12_GLOBAL__N_124unique_dim_cuda_templateIfEESt5tupleIJNSA_6TensorESF_SF_EERKSF_lbbbEUlllE_EE10hipError_tT0_T1_T2_jT3_P12ihipStream_tbPNSt15iterator_traitsISL_E10value_typeEPNSR_ISM_E10value_typeEPSN_NS1_7vsmem_tEENKUlT_SL_SM_SN_E_clIS8_S8_S9_S9_EESK_S10_SL_SM_SN_EUlS10_E_NS1_11comp_targetILNS1_3genE2ELNS1_11target_archE906ELNS1_3gpuE6ELNS1_3repE0EEENS1_48merge_mergepath_partition_config_static_selectorELNS0_4arch9wavefront6targetE1EEEvSM_.has_recursion, 0
	.set _ZN7rocprim17ROCPRIM_400000_NS6detail17trampoline_kernelINS0_14default_configENS1_38merge_sort_block_merge_config_selectorIlNS0_10empty_typeEEEZZNS1_27merge_sort_block_merge_implIS3_PlPS5_mZN2at6native12_GLOBAL__N_124unique_dim_cuda_templateIfEESt5tupleIJNSA_6TensorESF_SF_EERKSF_lbbbEUlllE_EE10hipError_tT0_T1_T2_jT3_P12ihipStream_tbPNSt15iterator_traitsISL_E10value_typeEPNSR_ISM_E10value_typeEPSN_NS1_7vsmem_tEENKUlT_SL_SM_SN_E_clIS8_S8_S9_S9_EESK_S10_SL_SM_SN_EUlS10_E_NS1_11comp_targetILNS1_3genE2ELNS1_11target_archE906ELNS1_3gpuE6ELNS1_3repE0EEENS1_48merge_mergepath_partition_config_static_selectorELNS0_4arch9wavefront6targetE1EEEvSM_.has_indirect_call, 0
	.section	.AMDGPU.csdata,"",@progbits
; Kernel info:
; codeLenInByte = 0
; TotalNumSgprs: 6
; NumVgprs: 0
; NumAgprs: 0
; TotalNumVgprs: 0
; ScratchSize: 0
; MemoryBound: 0
; FloatMode: 240
; IeeeMode: 1
; LDSByteSize: 0 bytes/workgroup (compile time only)
; SGPRBlocks: 0
; VGPRBlocks: 0
; NumSGPRsForWavesPerEU: 6
; NumVGPRsForWavesPerEU: 1
; AccumOffset: 4
; Occupancy: 8
; WaveLimiterHint : 0
; COMPUTE_PGM_RSRC2:SCRATCH_EN: 0
; COMPUTE_PGM_RSRC2:USER_SGPR: 2
; COMPUTE_PGM_RSRC2:TRAP_HANDLER: 0
; COMPUTE_PGM_RSRC2:TGID_X_EN: 1
; COMPUTE_PGM_RSRC2:TGID_Y_EN: 0
; COMPUTE_PGM_RSRC2:TGID_Z_EN: 0
; COMPUTE_PGM_RSRC2:TIDIG_COMP_CNT: 0
; COMPUTE_PGM_RSRC3_GFX90A:ACCUM_OFFSET: 0
; COMPUTE_PGM_RSRC3_GFX90A:TG_SPLIT: 0
	.section	.text._ZN7rocprim17ROCPRIM_400000_NS6detail17trampoline_kernelINS0_14default_configENS1_38merge_sort_block_merge_config_selectorIlNS0_10empty_typeEEEZZNS1_27merge_sort_block_merge_implIS3_PlPS5_mZN2at6native12_GLOBAL__N_124unique_dim_cuda_templateIfEESt5tupleIJNSA_6TensorESF_SF_EERKSF_lbbbEUlllE_EE10hipError_tT0_T1_T2_jT3_P12ihipStream_tbPNSt15iterator_traitsISL_E10value_typeEPNSR_ISM_E10value_typeEPSN_NS1_7vsmem_tEENKUlT_SL_SM_SN_E_clIS8_S8_S9_S9_EESK_S10_SL_SM_SN_EUlS10_E_NS1_11comp_targetILNS1_3genE9ELNS1_11target_archE1100ELNS1_3gpuE3ELNS1_3repE0EEENS1_48merge_mergepath_partition_config_static_selectorELNS0_4arch9wavefront6targetE1EEEvSM_,"axG",@progbits,_ZN7rocprim17ROCPRIM_400000_NS6detail17trampoline_kernelINS0_14default_configENS1_38merge_sort_block_merge_config_selectorIlNS0_10empty_typeEEEZZNS1_27merge_sort_block_merge_implIS3_PlPS5_mZN2at6native12_GLOBAL__N_124unique_dim_cuda_templateIfEESt5tupleIJNSA_6TensorESF_SF_EERKSF_lbbbEUlllE_EE10hipError_tT0_T1_T2_jT3_P12ihipStream_tbPNSt15iterator_traitsISL_E10value_typeEPNSR_ISM_E10value_typeEPSN_NS1_7vsmem_tEENKUlT_SL_SM_SN_E_clIS8_S8_S9_S9_EESK_S10_SL_SM_SN_EUlS10_E_NS1_11comp_targetILNS1_3genE9ELNS1_11target_archE1100ELNS1_3gpuE3ELNS1_3repE0EEENS1_48merge_mergepath_partition_config_static_selectorELNS0_4arch9wavefront6targetE1EEEvSM_,comdat
	.globl	_ZN7rocprim17ROCPRIM_400000_NS6detail17trampoline_kernelINS0_14default_configENS1_38merge_sort_block_merge_config_selectorIlNS0_10empty_typeEEEZZNS1_27merge_sort_block_merge_implIS3_PlPS5_mZN2at6native12_GLOBAL__N_124unique_dim_cuda_templateIfEESt5tupleIJNSA_6TensorESF_SF_EERKSF_lbbbEUlllE_EE10hipError_tT0_T1_T2_jT3_P12ihipStream_tbPNSt15iterator_traitsISL_E10value_typeEPNSR_ISM_E10value_typeEPSN_NS1_7vsmem_tEENKUlT_SL_SM_SN_E_clIS8_S8_S9_S9_EESK_S10_SL_SM_SN_EUlS10_E_NS1_11comp_targetILNS1_3genE9ELNS1_11target_archE1100ELNS1_3gpuE3ELNS1_3repE0EEENS1_48merge_mergepath_partition_config_static_selectorELNS0_4arch9wavefront6targetE1EEEvSM_ ; -- Begin function _ZN7rocprim17ROCPRIM_400000_NS6detail17trampoline_kernelINS0_14default_configENS1_38merge_sort_block_merge_config_selectorIlNS0_10empty_typeEEEZZNS1_27merge_sort_block_merge_implIS3_PlPS5_mZN2at6native12_GLOBAL__N_124unique_dim_cuda_templateIfEESt5tupleIJNSA_6TensorESF_SF_EERKSF_lbbbEUlllE_EE10hipError_tT0_T1_T2_jT3_P12ihipStream_tbPNSt15iterator_traitsISL_E10value_typeEPNSR_ISM_E10value_typeEPSN_NS1_7vsmem_tEENKUlT_SL_SM_SN_E_clIS8_S8_S9_S9_EESK_S10_SL_SM_SN_EUlS10_E_NS1_11comp_targetILNS1_3genE9ELNS1_11target_archE1100ELNS1_3gpuE3ELNS1_3repE0EEENS1_48merge_mergepath_partition_config_static_selectorELNS0_4arch9wavefront6targetE1EEEvSM_
	.p2align	8
	.type	_ZN7rocprim17ROCPRIM_400000_NS6detail17trampoline_kernelINS0_14default_configENS1_38merge_sort_block_merge_config_selectorIlNS0_10empty_typeEEEZZNS1_27merge_sort_block_merge_implIS3_PlPS5_mZN2at6native12_GLOBAL__N_124unique_dim_cuda_templateIfEESt5tupleIJNSA_6TensorESF_SF_EERKSF_lbbbEUlllE_EE10hipError_tT0_T1_T2_jT3_P12ihipStream_tbPNSt15iterator_traitsISL_E10value_typeEPNSR_ISM_E10value_typeEPSN_NS1_7vsmem_tEENKUlT_SL_SM_SN_E_clIS8_S8_S9_S9_EESK_S10_SL_SM_SN_EUlS10_E_NS1_11comp_targetILNS1_3genE9ELNS1_11target_archE1100ELNS1_3gpuE3ELNS1_3repE0EEENS1_48merge_mergepath_partition_config_static_selectorELNS0_4arch9wavefront6targetE1EEEvSM_,@function
_ZN7rocprim17ROCPRIM_400000_NS6detail17trampoline_kernelINS0_14default_configENS1_38merge_sort_block_merge_config_selectorIlNS0_10empty_typeEEEZZNS1_27merge_sort_block_merge_implIS3_PlPS5_mZN2at6native12_GLOBAL__N_124unique_dim_cuda_templateIfEESt5tupleIJNSA_6TensorESF_SF_EERKSF_lbbbEUlllE_EE10hipError_tT0_T1_T2_jT3_P12ihipStream_tbPNSt15iterator_traitsISL_E10value_typeEPNSR_ISM_E10value_typeEPSN_NS1_7vsmem_tEENKUlT_SL_SM_SN_E_clIS8_S8_S9_S9_EESK_S10_SL_SM_SN_EUlS10_E_NS1_11comp_targetILNS1_3genE9ELNS1_11target_archE1100ELNS1_3gpuE3ELNS1_3repE0EEENS1_48merge_mergepath_partition_config_static_selectorELNS0_4arch9wavefront6targetE1EEEvSM_: ; @_ZN7rocprim17ROCPRIM_400000_NS6detail17trampoline_kernelINS0_14default_configENS1_38merge_sort_block_merge_config_selectorIlNS0_10empty_typeEEEZZNS1_27merge_sort_block_merge_implIS3_PlPS5_mZN2at6native12_GLOBAL__N_124unique_dim_cuda_templateIfEESt5tupleIJNSA_6TensorESF_SF_EERKSF_lbbbEUlllE_EE10hipError_tT0_T1_T2_jT3_P12ihipStream_tbPNSt15iterator_traitsISL_E10value_typeEPNSR_ISM_E10value_typeEPSN_NS1_7vsmem_tEENKUlT_SL_SM_SN_E_clIS8_S8_S9_S9_EESK_S10_SL_SM_SN_EUlS10_E_NS1_11comp_targetILNS1_3genE9ELNS1_11target_archE1100ELNS1_3gpuE3ELNS1_3repE0EEENS1_48merge_mergepath_partition_config_static_selectorELNS0_4arch9wavefront6targetE1EEEvSM_
; %bb.0:
	.section	.rodata,"a",@progbits
	.p2align	6, 0x0
	.amdhsa_kernel _ZN7rocprim17ROCPRIM_400000_NS6detail17trampoline_kernelINS0_14default_configENS1_38merge_sort_block_merge_config_selectorIlNS0_10empty_typeEEEZZNS1_27merge_sort_block_merge_implIS3_PlPS5_mZN2at6native12_GLOBAL__N_124unique_dim_cuda_templateIfEESt5tupleIJNSA_6TensorESF_SF_EERKSF_lbbbEUlllE_EE10hipError_tT0_T1_T2_jT3_P12ihipStream_tbPNSt15iterator_traitsISL_E10value_typeEPNSR_ISM_E10value_typeEPSN_NS1_7vsmem_tEENKUlT_SL_SM_SN_E_clIS8_S8_S9_S9_EESK_S10_SL_SM_SN_EUlS10_E_NS1_11comp_targetILNS1_3genE9ELNS1_11target_archE1100ELNS1_3gpuE3ELNS1_3repE0EEENS1_48merge_mergepath_partition_config_static_selectorELNS0_4arch9wavefront6targetE1EEEvSM_
		.amdhsa_group_segment_fixed_size 0
		.amdhsa_private_segment_fixed_size 0
		.amdhsa_kernarg_size 56
		.amdhsa_user_sgpr_count 2
		.amdhsa_user_sgpr_dispatch_ptr 0
		.amdhsa_user_sgpr_queue_ptr 0
		.amdhsa_user_sgpr_kernarg_segment_ptr 1
		.amdhsa_user_sgpr_dispatch_id 0
		.amdhsa_user_sgpr_kernarg_preload_length 0
		.amdhsa_user_sgpr_kernarg_preload_offset 0
		.amdhsa_user_sgpr_private_segment_size 0
		.amdhsa_uses_dynamic_stack 0
		.amdhsa_enable_private_segment 0
		.amdhsa_system_sgpr_workgroup_id_x 1
		.amdhsa_system_sgpr_workgroup_id_y 0
		.amdhsa_system_sgpr_workgroup_id_z 0
		.amdhsa_system_sgpr_workgroup_info 0
		.amdhsa_system_vgpr_workitem_id 0
		.amdhsa_next_free_vgpr 1
		.amdhsa_next_free_sgpr 0
		.amdhsa_accum_offset 4
		.amdhsa_reserve_vcc 0
		.amdhsa_float_round_mode_32 0
		.amdhsa_float_round_mode_16_64 0
		.amdhsa_float_denorm_mode_32 3
		.amdhsa_float_denorm_mode_16_64 3
		.amdhsa_dx10_clamp 1
		.amdhsa_ieee_mode 1
		.amdhsa_fp16_overflow 0
		.amdhsa_tg_split 0
		.amdhsa_exception_fp_ieee_invalid_op 0
		.amdhsa_exception_fp_denorm_src 0
		.amdhsa_exception_fp_ieee_div_zero 0
		.amdhsa_exception_fp_ieee_overflow 0
		.amdhsa_exception_fp_ieee_underflow 0
		.amdhsa_exception_fp_ieee_inexact 0
		.amdhsa_exception_int_div_zero 0
	.end_amdhsa_kernel
	.section	.text._ZN7rocprim17ROCPRIM_400000_NS6detail17trampoline_kernelINS0_14default_configENS1_38merge_sort_block_merge_config_selectorIlNS0_10empty_typeEEEZZNS1_27merge_sort_block_merge_implIS3_PlPS5_mZN2at6native12_GLOBAL__N_124unique_dim_cuda_templateIfEESt5tupleIJNSA_6TensorESF_SF_EERKSF_lbbbEUlllE_EE10hipError_tT0_T1_T2_jT3_P12ihipStream_tbPNSt15iterator_traitsISL_E10value_typeEPNSR_ISM_E10value_typeEPSN_NS1_7vsmem_tEENKUlT_SL_SM_SN_E_clIS8_S8_S9_S9_EESK_S10_SL_SM_SN_EUlS10_E_NS1_11comp_targetILNS1_3genE9ELNS1_11target_archE1100ELNS1_3gpuE3ELNS1_3repE0EEENS1_48merge_mergepath_partition_config_static_selectorELNS0_4arch9wavefront6targetE1EEEvSM_,"axG",@progbits,_ZN7rocprim17ROCPRIM_400000_NS6detail17trampoline_kernelINS0_14default_configENS1_38merge_sort_block_merge_config_selectorIlNS0_10empty_typeEEEZZNS1_27merge_sort_block_merge_implIS3_PlPS5_mZN2at6native12_GLOBAL__N_124unique_dim_cuda_templateIfEESt5tupleIJNSA_6TensorESF_SF_EERKSF_lbbbEUlllE_EE10hipError_tT0_T1_T2_jT3_P12ihipStream_tbPNSt15iterator_traitsISL_E10value_typeEPNSR_ISM_E10value_typeEPSN_NS1_7vsmem_tEENKUlT_SL_SM_SN_E_clIS8_S8_S9_S9_EESK_S10_SL_SM_SN_EUlS10_E_NS1_11comp_targetILNS1_3genE9ELNS1_11target_archE1100ELNS1_3gpuE3ELNS1_3repE0EEENS1_48merge_mergepath_partition_config_static_selectorELNS0_4arch9wavefront6targetE1EEEvSM_,comdat
.Lfunc_end886:
	.size	_ZN7rocprim17ROCPRIM_400000_NS6detail17trampoline_kernelINS0_14default_configENS1_38merge_sort_block_merge_config_selectorIlNS0_10empty_typeEEEZZNS1_27merge_sort_block_merge_implIS3_PlPS5_mZN2at6native12_GLOBAL__N_124unique_dim_cuda_templateIfEESt5tupleIJNSA_6TensorESF_SF_EERKSF_lbbbEUlllE_EE10hipError_tT0_T1_T2_jT3_P12ihipStream_tbPNSt15iterator_traitsISL_E10value_typeEPNSR_ISM_E10value_typeEPSN_NS1_7vsmem_tEENKUlT_SL_SM_SN_E_clIS8_S8_S9_S9_EESK_S10_SL_SM_SN_EUlS10_E_NS1_11comp_targetILNS1_3genE9ELNS1_11target_archE1100ELNS1_3gpuE3ELNS1_3repE0EEENS1_48merge_mergepath_partition_config_static_selectorELNS0_4arch9wavefront6targetE1EEEvSM_, .Lfunc_end886-_ZN7rocprim17ROCPRIM_400000_NS6detail17trampoline_kernelINS0_14default_configENS1_38merge_sort_block_merge_config_selectorIlNS0_10empty_typeEEEZZNS1_27merge_sort_block_merge_implIS3_PlPS5_mZN2at6native12_GLOBAL__N_124unique_dim_cuda_templateIfEESt5tupleIJNSA_6TensorESF_SF_EERKSF_lbbbEUlllE_EE10hipError_tT0_T1_T2_jT3_P12ihipStream_tbPNSt15iterator_traitsISL_E10value_typeEPNSR_ISM_E10value_typeEPSN_NS1_7vsmem_tEENKUlT_SL_SM_SN_E_clIS8_S8_S9_S9_EESK_S10_SL_SM_SN_EUlS10_E_NS1_11comp_targetILNS1_3genE9ELNS1_11target_archE1100ELNS1_3gpuE3ELNS1_3repE0EEENS1_48merge_mergepath_partition_config_static_selectorELNS0_4arch9wavefront6targetE1EEEvSM_
                                        ; -- End function
	.set _ZN7rocprim17ROCPRIM_400000_NS6detail17trampoline_kernelINS0_14default_configENS1_38merge_sort_block_merge_config_selectorIlNS0_10empty_typeEEEZZNS1_27merge_sort_block_merge_implIS3_PlPS5_mZN2at6native12_GLOBAL__N_124unique_dim_cuda_templateIfEESt5tupleIJNSA_6TensorESF_SF_EERKSF_lbbbEUlllE_EE10hipError_tT0_T1_T2_jT3_P12ihipStream_tbPNSt15iterator_traitsISL_E10value_typeEPNSR_ISM_E10value_typeEPSN_NS1_7vsmem_tEENKUlT_SL_SM_SN_E_clIS8_S8_S9_S9_EESK_S10_SL_SM_SN_EUlS10_E_NS1_11comp_targetILNS1_3genE9ELNS1_11target_archE1100ELNS1_3gpuE3ELNS1_3repE0EEENS1_48merge_mergepath_partition_config_static_selectorELNS0_4arch9wavefront6targetE1EEEvSM_.num_vgpr, 0
	.set _ZN7rocprim17ROCPRIM_400000_NS6detail17trampoline_kernelINS0_14default_configENS1_38merge_sort_block_merge_config_selectorIlNS0_10empty_typeEEEZZNS1_27merge_sort_block_merge_implIS3_PlPS5_mZN2at6native12_GLOBAL__N_124unique_dim_cuda_templateIfEESt5tupleIJNSA_6TensorESF_SF_EERKSF_lbbbEUlllE_EE10hipError_tT0_T1_T2_jT3_P12ihipStream_tbPNSt15iterator_traitsISL_E10value_typeEPNSR_ISM_E10value_typeEPSN_NS1_7vsmem_tEENKUlT_SL_SM_SN_E_clIS8_S8_S9_S9_EESK_S10_SL_SM_SN_EUlS10_E_NS1_11comp_targetILNS1_3genE9ELNS1_11target_archE1100ELNS1_3gpuE3ELNS1_3repE0EEENS1_48merge_mergepath_partition_config_static_selectorELNS0_4arch9wavefront6targetE1EEEvSM_.num_agpr, 0
	.set _ZN7rocprim17ROCPRIM_400000_NS6detail17trampoline_kernelINS0_14default_configENS1_38merge_sort_block_merge_config_selectorIlNS0_10empty_typeEEEZZNS1_27merge_sort_block_merge_implIS3_PlPS5_mZN2at6native12_GLOBAL__N_124unique_dim_cuda_templateIfEESt5tupleIJNSA_6TensorESF_SF_EERKSF_lbbbEUlllE_EE10hipError_tT0_T1_T2_jT3_P12ihipStream_tbPNSt15iterator_traitsISL_E10value_typeEPNSR_ISM_E10value_typeEPSN_NS1_7vsmem_tEENKUlT_SL_SM_SN_E_clIS8_S8_S9_S9_EESK_S10_SL_SM_SN_EUlS10_E_NS1_11comp_targetILNS1_3genE9ELNS1_11target_archE1100ELNS1_3gpuE3ELNS1_3repE0EEENS1_48merge_mergepath_partition_config_static_selectorELNS0_4arch9wavefront6targetE1EEEvSM_.numbered_sgpr, 0
	.set _ZN7rocprim17ROCPRIM_400000_NS6detail17trampoline_kernelINS0_14default_configENS1_38merge_sort_block_merge_config_selectorIlNS0_10empty_typeEEEZZNS1_27merge_sort_block_merge_implIS3_PlPS5_mZN2at6native12_GLOBAL__N_124unique_dim_cuda_templateIfEESt5tupleIJNSA_6TensorESF_SF_EERKSF_lbbbEUlllE_EE10hipError_tT0_T1_T2_jT3_P12ihipStream_tbPNSt15iterator_traitsISL_E10value_typeEPNSR_ISM_E10value_typeEPSN_NS1_7vsmem_tEENKUlT_SL_SM_SN_E_clIS8_S8_S9_S9_EESK_S10_SL_SM_SN_EUlS10_E_NS1_11comp_targetILNS1_3genE9ELNS1_11target_archE1100ELNS1_3gpuE3ELNS1_3repE0EEENS1_48merge_mergepath_partition_config_static_selectorELNS0_4arch9wavefront6targetE1EEEvSM_.num_named_barrier, 0
	.set _ZN7rocprim17ROCPRIM_400000_NS6detail17trampoline_kernelINS0_14default_configENS1_38merge_sort_block_merge_config_selectorIlNS0_10empty_typeEEEZZNS1_27merge_sort_block_merge_implIS3_PlPS5_mZN2at6native12_GLOBAL__N_124unique_dim_cuda_templateIfEESt5tupleIJNSA_6TensorESF_SF_EERKSF_lbbbEUlllE_EE10hipError_tT0_T1_T2_jT3_P12ihipStream_tbPNSt15iterator_traitsISL_E10value_typeEPNSR_ISM_E10value_typeEPSN_NS1_7vsmem_tEENKUlT_SL_SM_SN_E_clIS8_S8_S9_S9_EESK_S10_SL_SM_SN_EUlS10_E_NS1_11comp_targetILNS1_3genE9ELNS1_11target_archE1100ELNS1_3gpuE3ELNS1_3repE0EEENS1_48merge_mergepath_partition_config_static_selectorELNS0_4arch9wavefront6targetE1EEEvSM_.private_seg_size, 0
	.set _ZN7rocprim17ROCPRIM_400000_NS6detail17trampoline_kernelINS0_14default_configENS1_38merge_sort_block_merge_config_selectorIlNS0_10empty_typeEEEZZNS1_27merge_sort_block_merge_implIS3_PlPS5_mZN2at6native12_GLOBAL__N_124unique_dim_cuda_templateIfEESt5tupleIJNSA_6TensorESF_SF_EERKSF_lbbbEUlllE_EE10hipError_tT0_T1_T2_jT3_P12ihipStream_tbPNSt15iterator_traitsISL_E10value_typeEPNSR_ISM_E10value_typeEPSN_NS1_7vsmem_tEENKUlT_SL_SM_SN_E_clIS8_S8_S9_S9_EESK_S10_SL_SM_SN_EUlS10_E_NS1_11comp_targetILNS1_3genE9ELNS1_11target_archE1100ELNS1_3gpuE3ELNS1_3repE0EEENS1_48merge_mergepath_partition_config_static_selectorELNS0_4arch9wavefront6targetE1EEEvSM_.uses_vcc, 0
	.set _ZN7rocprim17ROCPRIM_400000_NS6detail17trampoline_kernelINS0_14default_configENS1_38merge_sort_block_merge_config_selectorIlNS0_10empty_typeEEEZZNS1_27merge_sort_block_merge_implIS3_PlPS5_mZN2at6native12_GLOBAL__N_124unique_dim_cuda_templateIfEESt5tupleIJNSA_6TensorESF_SF_EERKSF_lbbbEUlllE_EE10hipError_tT0_T1_T2_jT3_P12ihipStream_tbPNSt15iterator_traitsISL_E10value_typeEPNSR_ISM_E10value_typeEPSN_NS1_7vsmem_tEENKUlT_SL_SM_SN_E_clIS8_S8_S9_S9_EESK_S10_SL_SM_SN_EUlS10_E_NS1_11comp_targetILNS1_3genE9ELNS1_11target_archE1100ELNS1_3gpuE3ELNS1_3repE0EEENS1_48merge_mergepath_partition_config_static_selectorELNS0_4arch9wavefront6targetE1EEEvSM_.uses_flat_scratch, 0
	.set _ZN7rocprim17ROCPRIM_400000_NS6detail17trampoline_kernelINS0_14default_configENS1_38merge_sort_block_merge_config_selectorIlNS0_10empty_typeEEEZZNS1_27merge_sort_block_merge_implIS3_PlPS5_mZN2at6native12_GLOBAL__N_124unique_dim_cuda_templateIfEESt5tupleIJNSA_6TensorESF_SF_EERKSF_lbbbEUlllE_EE10hipError_tT0_T1_T2_jT3_P12ihipStream_tbPNSt15iterator_traitsISL_E10value_typeEPNSR_ISM_E10value_typeEPSN_NS1_7vsmem_tEENKUlT_SL_SM_SN_E_clIS8_S8_S9_S9_EESK_S10_SL_SM_SN_EUlS10_E_NS1_11comp_targetILNS1_3genE9ELNS1_11target_archE1100ELNS1_3gpuE3ELNS1_3repE0EEENS1_48merge_mergepath_partition_config_static_selectorELNS0_4arch9wavefront6targetE1EEEvSM_.has_dyn_sized_stack, 0
	.set _ZN7rocprim17ROCPRIM_400000_NS6detail17trampoline_kernelINS0_14default_configENS1_38merge_sort_block_merge_config_selectorIlNS0_10empty_typeEEEZZNS1_27merge_sort_block_merge_implIS3_PlPS5_mZN2at6native12_GLOBAL__N_124unique_dim_cuda_templateIfEESt5tupleIJNSA_6TensorESF_SF_EERKSF_lbbbEUlllE_EE10hipError_tT0_T1_T2_jT3_P12ihipStream_tbPNSt15iterator_traitsISL_E10value_typeEPNSR_ISM_E10value_typeEPSN_NS1_7vsmem_tEENKUlT_SL_SM_SN_E_clIS8_S8_S9_S9_EESK_S10_SL_SM_SN_EUlS10_E_NS1_11comp_targetILNS1_3genE9ELNS1_11target_archE1100ELNS1_3gpuE3ELNS1_3repE0EEENS1_48merge_mergepath_partition_config_static_selectorELNS0_4arch9wavefront6targetE1EEEvSM_.has_recursion, 0
	.set _ZN7rocprim17ROCPRIM_400000_NS6detail17trampoline_kernelINS0_14default_configENS1_38merge_sort_block_merge_config_selectorIlNS0_10empty_typeEEEZZNS1_27merge_sort_block_merge_implIS3_PlPS5_mZN2at6native12_GLOBAL__N_124unique_dim_cuda_templateIfEESt5tupleIJNSA_6TensorESF_SF_EERKSF_lbbbEUlllE_EE10hipError_tT0_T1_T2_jT3_P12ihipStream_tbPNSt15iterator_traitsISL_E10value_typeEPNSR_ISM_E10value_typeEPSN_NS1_7vsmem_tEENKUlT_SL_SM_SN_E_clIS8_S8_S9_S9_EESK_S10_SL_SM_SN_EUlS10_E_NS1_11comp_targetILNS1_3genE9ELNS1_11target_archE1100ELNS1_3gpuE3ELNS1_3repE0EEENS1_48merge_mergepath_partition_config_static_selectorELNS0_4arch9wavefront6targetE1EEEvSM_.has_indirect_call, 0
	.section	.AMDGPU.csdata,"",@progbits
; Kernel info:
; codeLenInByte = 0
; TotalNumSgprs: 6
; NumVgprs: 0
; NumAgprs: 0
; TotalNumVgprs: 0
; ScratchSize: 0
; MemoryBound: 0
; FloatMode: 240
; IeeeMode: 1
; LDSByteSize: 0 bytes/workgroup (compile time only)
; SGPRBlocks: 0
; VGPRBlocks: 0
; NumSGPRsForWavesPerEU: 6
; NumVGPRsForWavesPerEU: 1
; AccumOffset: 4
; Occupancy: 8
; WaveLimiterHint : 0
; COMPUTE_PGM_RSRC2:SCRATCH_EN: 0
; COMPUTE_PGM_RSRC2:USER_SGPR: 2
; COMPUTE_PGM_RSRC2:TRAP_HANDLER: 0
; COMPUTE_PGM_RSRC2:TGID_X_EN: 1
; COMPUTE_PGM_RSRC2:TGID_Y_EN: 0
; COMPUTE_PGM_RSRC2:TGID_Z_EN: 0
; COMPUTE_PGM_RSRC2:TIDIG_COMP_CNT: 0
; COMPUTE_PGM_RSRC3_GFX90A:ACCUM_OFFSET: 0
; COMPUTE_PGM_RSRC3_GFX90A:TG_SPLIT: 0
	.section	.text._ZN7rocprim17ROCPRIM_400000_NS6detail17trampoline_kernelINS0_14default_configENS1_38merge_sort_block_merge_config_selectorIlNS0_10empty_typeEEEZZNS1_27merge_sort_block_merge_implIS3_PlPS5_mZN2at6native12_GLOBAL__N_124unique_dim_cuda_templateIfEESt5tupleIJNSA_6TensorESF_SF_EERKSF_lbbbEUlllE_EE10hipError_tT0_T1_T2_jT3_P12ihipStream_tbPNSt15iterator_traitsISL_E10value_typeEPNSR_ISM_E10value_typeEPSN_NS1_7vsmem_tEENKUlT_SL_SM_SN_E_clIS8_S8_S9_S9_EESK_S10_SL_SM_SN_EUlS10_E_NS1_11comp_targetILNS1_3genE8ELNS1_11target_archE1030ELNS1_3gpuE2ELNS1_3repE0EEENS1_48merge_mergepath_partition_config_static_selectorELNS0_4arch9wavefront6targetE1EEEvSM_,"axG",@progbits,_ZN7rocprim17ROCPRIM_400000_NS6detail17trampoline_kernelINS0_14default_configENS1_38merge_sort_block_merge_config_selectorIlNS0_10empty_typeEEEZZNS1_27merge_sort_block_merge_implIS3_PlPS5_mZN2at6native12_GLOBAL__N_124unique_dim_cuda_templateIfEESt5tupleIJNSA_6TensorESF_SF_EERKSF_lbbbEUlllE_EE10hipError_tT0_T1_T2_jT3_P12ihipStream_tbPNSt15iterator_traitsISL_E10value_typeEPNSR_ISM_E10value_typeEPSN_NS1_7vsmem_tEENKUlT_SL_SM_SN_E_clIS8_S8_S9_S9_EESK_S10_SL_SM_SN_EUlS10_E_NS1_11comp_targetILNS1_3genE8ELNS1_11target_archE1030ELNS1_3gpuE2ELNS1_3repE0EEENS1_48merge_mergepath_partition_config_static_selectorELNS0_4arch9wavefront6targetE1EEEvSM_,comdat
	.globl	_ZN7rocprim17ROCPRIM_400000_NS6detail17trampoline_kernelINS0_14default_configENS1_38merge_sort_block_merge_config_selectorIlNS0_10empty_typeEEEZZNS1_27merge_sort_block_merge_implIS3_PlPS5_mZN2at6native12_GLOBAL__N_124unique_dim_cuda_templateIfEESt5tupleIJNSA_6TensorESF_SF_EERKSF_lbbbEUlllE_EE10hipError_tT0_T1_T2_jT3_P12ihipStream_tbPNSt15iterator_traitsISL_E10value_typeEPNSR_ISM_E10value_typeEPSN_NS1_7vsmem_tEENKUlT_SL_SM_SN_E_clIS8_S8_S9_S9_EESK_S10_SL_SM_SN_EUlS10_E_NS1_11comp_targetILNS1_3genE8ELNS1_11target_archE1030ELNS1_3gpuE2ELNS1_3repE0EEENS1_48merge_mergepath_partition_config_static_selectorELNS0_4arch9wavefront6targetE1EEEvSM_ ; -- Begin function _ZN7rocprim17ROCPRIM_400000_NS6detail17trampoline_kernelINS0_14default_configENS1_38merge_sort_block_merge_config_selectorIlNS0_10empty_typeEEEZZNS1_27merge_sort_block_merge_implIS3_PlPS5_mZN2at6native12_GLOBAL__N_124unique_dim_cuda_templateIfEESt5tupleIJNSA_6TensorESF_SF_EERKSF_lbbbEUlllE_EE10hipError_tT0_T1_T2_jT3_P12ihipStream_tbPNSt15iterator_traitsISL_E10value_typeEPNSR_ISM_E10value_typeEPSN_NS1_7vsmem_tEENKUlT_SL_SM_SN_E_clIS8_S8_S9_S9_EESK_S10_SL_SM_SN_EUlS10_E_NS1_11comp_targetILNS1_3genE8ELNS1_11target_archE1030ELNS1_3gpuE2ELNS1_3repE0EEENS1_48merge_mergepath_partition_config_static_selectorELNS0_4arch9wavefront6targetE1EEEvSM_
	.p2align	8
	.type	_ZN7rocprim17ROCPRIM_400000_NS6detail17trampoline_kernelINS0_14default_configENS1_38merge_sort_block_merge_config_selectorIlNS0_10empty_typeEEEZZNS1_27merge_sort_block_merge_implIS3_PlPS5_mZN2at6native12_GLOBAL__N_124unique_dim_cuda_templateIfEESt5tupleIJNSA_6TensorESF_SF_EERKSF_lbbbEUlllE_EE10hipError_tT0_T1_T2_jT3_P12ihipStream_tbPNSt15iterator_traitsISL_E10value_typeEPNSR_ISM_E10value_typeEPSN_NS1_7vsmem_tEENKUlT_SL_SM_SN_E_clIS8_S8_S9_S9_EESK_S10_SL_SM_SN_EUlS10_E_NS1_11comp_targetILNS1_3genE8ELNS1_11target_archE1030ELNS1_3gpuE2ELNS1_3repE0EEENS1_48merge_mergepath_partition_config_static_selectorELNS0_4arch9wavefront6targetE1EEEvSM_,@function
_ZN7rocprim17ROCPRIM_400000_NS6detail17trampoline_kernelINS0_14default_configENS1_38merge_sort_block_merge_config_selectorIlNS0_10empty_typeEEEZZNS1_27merge_sort_block_merge_implIS3_PlPS5_mZN2at6native12_GLOBAL__N_124unique_dim_cuda_templateIfEESt5tupleIJNSA_6TensorESF_SF_EERKSF_lbbbEUlllE_EE10hipError_tT0_T1_T2_jT3_P12ihipStream_tbPNSt15iterator_traitsISL_E10value_typeEPNSR_ISM_E10value_typeEPSN_NS1_7vsmem_tEENKUlT_SL_SM_SN_E_clIS8_S8_S9_S9_EESK_S10_SL_SM_SN_EUlS10_E_NS1_11comp_targetILNS1_3genE8ELNS1_11target_archE1030ELNS1_3gpuE2ELNS1_3repE0EEENS1_48merge_mergepath_partition_config_static_selectorELNS0_4arch9wavefront6targetE1EEEvSM_: ; @_ZN7rocprim17ROCPRIM_400000_NS6detail17trampoline_kernelINS0_14default_configENS1_38merge_sort_block_merge_config_selectorIlNS0_10empty_typeEEEZZNS1_27merge_sort_block_merge_implIS3_PlPS5_mZN2at6native12_GLOBAL__N_124unique_dim_cuda_templateIfEESt5tupleIJNSA_6TensorESF_SF_EERKSF_lbbbEUlllE_EE10hipError_tT0_T1_T2_jT3_P12ihipStream_tbPNSt15iterator_traitsISL_E10value_typeEPNSR_ISM_E10value_typeEPSN_NS1_7vsmem_tEENKUlT_SL_SM_SN_E_clIS8_S8_S9_S9_EESK_S10_SL_SM_SN_EUlS10_E_NS1_11comp_targetILNS1_3genE8ELNS1_11target_archE1030ELNS1_3gpuE2ELNS1_3repE0EEENS1_48merge_mergepath_partition_config_static_selectorELNS0_4arch9wavefront6targetE1EEEvSM_
; %bb.0:
	.section	.rodata,"a",@progbits
	.p2align	6, 0x0
	.amdhsa_kernel _ZN7rocprim17ROCPRIM_400000_NS6detail17trampoline_kernelINS0_14default_configENS1_38merge_sort_block_merge_config_selectorIlNS0_10empty_typeEEEZZNS1_27merge_sort_block_merge_implIS3_PlPS5_mZN2at6native12_GLOBAL__N_124unique_dim_cuda_templateIfEESt5tupleIJNSA_6TensorESF_SF_EERKSF_lbbbEUlllE_EE10hipError_tT0_T1_T2_jT3_P12ihipStream_tbPNSt15iterator_traitsISL_E10value_typeEPNSR_ISM_E10value_typeEPSN_NS1_7vsmem_tEENKUlT_SL_SM_SN_E_clIS8_S8_S9_S9_EESK_S10_SL_SM_SN_EUlS10_E_NS1_11comp_targetILNS1_3genE8ELNS1_11target_archE1030ELNS1_3gpuE2ELNS1_3repE0EEENS1_48merge_mergepath_partition_config_static_selectorELNS0_4arch9wavefront6targetE1EEEvSM_
		.amdhsa_group_segment_fixed_size 0
		.amdhsa_private_segment_fixed_size 0
		.amdhsa_kernarg_size 56
		.amdhsa_user_sgpr_count 2
		.amdhsa_user_sgpr_dispatch_ptr 0
		.amdhsa_user_sgpr_queue_ptr 0
		.amdhsa_user_sgpr_kernarg_segment_ptr 1
		.amdhsa_user_sgpr_dispatch_id 0
		.amdhsa_user_sgpr_kernarg_preload_length 0
		.amdhsa_user_sgpr_kernarg_preload_offset 0
		.amdhsa_user_sgpr_private_segment_size 0
		.amdhsa_uses_dynamic_stack 0
		.amdhsa_enable_private_segment 0
		.amdhsa_system_sgpr_workgroup_id_x 1
		.amdhsa_system_sgpr_workgroup_id_y 0
		.amdhsa_system_sgpr_workgroup_id_z 0
		.amdhsa_system_sgpr_workgroup_info 0
		.amdhsa_system_vgpr_workitem_id 0
		.amdhsa_next_free_vgpr 1
		.amdhsa_next_free_sgpr 0
		.amdhsa_accum_offset 4
		.amdhsa_reserve_vcc 0
		.amdhsa_float_round_mode_32 0
		.amdhsa_float_round_mode_16_64 0
		.amdhsa_float_denorm_mode_32 3
		.amdhsa_float_denorm_mode_16_64 3
		.amdhsa_dx10_clamp 1
		.amdhsa_ieee_mode 1
		.amdhsa_fp16_overflow 0
		.amdhsa_tg_split 0
		.amdhsa_exception_fp_ieee_invalid_op 0
		.amdhsa_exception_fp_denorm_src 0
		.amdhsa_exception_fp_ieee_div_zero 0
		.amdhsa_exception_fp_ieee_overflow 0
		.amdhsa_exception_fp_ieee_underflow 0
		.amdhsa_exception_fp_ieee_inexact 0
		.amdhsa_exception_int_div_zero 0
	.end_amdhsa_kernel
	.section	.text._ZN7rocprim17ROCPRIM_400000_NS6detail17trampoline_kernelINS0_14default_configENS1_38merge_sort_block_merge_config_selectorIlNS0_10empty_typeEEEZZNS1_27merge_sort_block_merge_implIS3_PlPS5_mZN2at6native12_GLOBAL__N_124unique_dim_cuda_templateIfEESt5tupleIJNSA_6TensorESF_SF_EERKSF_lbbbEUlllE_EE10hipError_tT0_T1_T2_jT3_P12ihipStream_tbPNSt15iterator_traitsISL_E10value_typeEPNSR_ISM_E10value_typeEPSN_NS1_7vsmem_tEENKUlT_SL_SM_SN_E_clIS8_S8_S9_S9_EESK_S10_SL_SM_SN_EUlS10_E_NS1_11comp_targetILNS1_3genE8ELNS1_11target_archE1030ELNS1_3gpuE2ELNS1_3repE0EEENS1_48merge_mergepath_partition_config_static_selectorELNS0_4arch9wavefront6targetE1EEEvSM_,"axG",@progbits,_ZN7rocprim17ROCPRIM_400000_NS6detail17trampoline_kernelINS0_14default_configENS1_38merge_sort_block_merge_config_selectorIlNS0_10empty_typeEEEZZNS1_27merge_sort_block_merge_implIS3_PlPS5_mZN2at6native12_GLOBAL__N_124unique_dim_cuda_templateIfEESt5tupleIJNSA_6TensorESF_SF_EERKSF_lbbbEUlllE_EE10hipError_tT0_T1_T2_jT3_P12ihipStream_tbPNSt15iterator_traitsISL_E10value_typeEPNSR_ISM_E10value_typeEPSN_NS1_7vsmem_tEENKUlT_SL_SM_SN_E_clIS8_S8_S9_S9_EESK_S10_SL_SM_SN_EUlS10_E_NS1_11comp_targetILNS1_3genE8ELNS1_11target_archE1030ELNS1_3gpuE2ELNS1_3repE0EEENS1_48merge_mergepath_partition_config_static_selectorELNS0_4arch9wavefront6targetE1EEEvSM_,comdat
.Lfunc_end887:
	.size	_ZN7rocprim17ROCPRIM_400000_NS6detail17trampoline_kernelINS0_14default_configENS1_38merge_sort_block_merge_config_selectorIlNS0_10empty_typeEEEZZNS1_27merge_sort_block_merge_implIS3_PlPS5_mZN2at6native12_GLOBAL__N_124unique_dim_cuda_templateIfEESt5tupleIJNSA_6TensorESF_SF_EERKSF_lbbbEUlllE_EE10hipError_tT0_T1_T2_jT3_P12ihipStream_tbPNSt15iterator_traitsISL_E10value_typeEPNSR_ISM_E10value_typeEPSN_NS1_7vsmem_tEENKUlT_SL_SM_SN_E_clIS8_S8_S9_S9_EESK_S10_SL_SM_SN_EUlS10_E_NS1_11comp_targetILNS1_3genE8ELNS1_11target_archE1030ELNS1_3gpuE2ELNS1_3repE0EEENS1_48merge_mergepath_partition_config_static_selectorELNS0_4arch9wavefront6targetE1EEEvSM_, .Lfunc_end887-_ZN7rocprim17ROCPRIM_400000_NS6detail17trampoline_kernelINS0_14default_configENS1_38merge_sort_block_merge_config_selectorIlNS0_10empty_typeEEEZZNS1_27merge_sort_block_merge_implIS3_PlPS5_mZN2at6native12_GLOBAL__N_124unique_dim_cuda_templateIfEESt5tupleIJNSA_6TensorESF_SF_EERKSF_lbbbEUlllE_EE10hipError_tT0_T1_T2_jT3_P12ihipStream_tbPNSt15iterator_traitsISL_E10value_typeEPNSR_ISM_E10value_typeEPSN_NS1_7vsmem_tEENKUlT_SL_SM_SN_E_clIS8_S8_S9_S9_EESK_S10_SL_SM_SN_EUlS10_E_NS1_11comp_targetILNS1_3genE8ELNS1_11target_archE1030ELNS1_3gpuE2ELNS1_3repE0EEENS1_48merge_mergepath_partition_config_static_selectorELNS0_4arch9wavefront6targetE1EEEvSM_
                                        ; -- End function
	.set _ZN7rocprim17ROCPRIM_400000_NS6detail17trampoline_kernelINS0_14default_configENS1_38merge_sort_block_merge_config_selectorIlNS0_10empty_typeEEEZZNS1_27merge_sort_block_merge_implIS3_PlPS5_mZN2at6native12_GLOBAL__N_124unique_dim_cuda_templateIfEESt5tupleIJNSA_6TensorESF_SF_EERKSF_lbbbEUlllE_EE10hipError_tT0_T1_T2_jT3_P12ihipStream_tbPNSt15iterator_traitsISL_E10value_typeEPNSR_ISM_E10value_typeEPSN_NS1_7vsmem_tEENKUlT_SL_SM_SN_E_clIS8_S8_S9_S9_EESK_S10_SL_SM_SN_EUlS10_E_NS1_11comp_targetILNS1_3genE8ELNS1_11target_archE1030ELNS1_3gpuE2ELNS1_3repE0EEENS1_48merge_mergepath_partition_config_static_selectorELNS0_4arch9wavefront6targetE1EEEvSM_.num_vgpr, 0
	.set _ZN7rocprim17ROCPRIM_400000_NS6detail17trampoline_kernelINS0_14default_configENS1_38merge_sort_block_merge_config_selectorIlNS0_10empty_typeEEEZZNS1_27merge_sort_block_merge_implIS3_PlPS5_mZN2at6native12_GLOBAL__N_124unique_dim_cuda_templateIfEESt5tupleIJNSA_6TensorESF_SF_EERKSF_lbbbEUlllE_EE10hipError_tT0_T1_T2_jT3_P12ihipStream_tbPNSt15iterator_traitsISL_E10value_typeEPNSR_ISM_E10value_typeEPSN_NS1_7vsmem_tEENKUlT_SL_SM_SN_E_clIS8_S8_S9_S9_EESK_S10_SL_SM_SN_EUlS10_E_NS1_11comp_targetILNS1_3genE8ELNS1_11target_archE1030ELNS1_3gpuE2ELNS1_3repE0EEENS1_48merge_mergepath_partition_config_static_selectorELNS0_4arch9wavefront6targetE1EEEvSM_.num_agpr, 0
	.set _ZN7rocprim17ROCPRIM_400000_NS6detail17trampoline_kernelINS0_14default_configENS1_38merge_sort_block_merge_config_selectorIlNS0_10empty_typeEEEZZNS1_27merge_sort_block_merge_implIS3_PlPS5_mZN2at6native12_GLOBAL__N_124unique_dim_cuda_templateIfEESt5tupleIJNSA_6TensorESF_SF_EERKSF_lbbbEUlllE_EE10hipError_tT0_T1_T2_jT3_P12ihipStream_tbPNSt15iterator_traitsISL_E10value_typeEPNSR_ISM_E10value_typeEPSN_NS1_7vsmem_tEENKUlT_SL_SM_SN_E_clIS8_S8_S9_S9_EESK_S10_SL_SM_SN_EUlS10_E_NS1_11comp_targetILNS1_3genE8ELNS1_11target_archE1030ELNS1_3gpuE2ELNS1_3repE0EEENS1_48merge_mergepath_partition_config_static_selectorELNS0_4arch9wavefront6targetE1EEEvSM_.numbered_sgpr, 0
	.set _ZN7rocprim17ROCPRIM_400000_NS6detail17trampoline_kernelINS0_14default_configENS1_38merge_sort_block_merge_config_selectorIlNS0_10empty_typeEEEZZNS1_27merge_sort_block_merge_implIS3_PlPS5_mZN2at6native12_GLOBAL__N_124unique_dim_cuda_templateIfEESt5tupleIJNSA_6TensorESF_SF_EERKSF_lbbbEUlllE_EE10hipError_tT0_T1_T2_jT3_P12ihipStream_tbPNSt15iterator_traitsISL_E10value_typeEPNSR_ISM_E10value_typeEPSN_NS1_7vsmem_tEENKUlT_SL_SM_SN_E_clIS8_S8_S9_S9_EESK_S10_SL_SM_SN_EUlS10_E_NS1_11comp_targetILNS1_3genE8ELNS1_11target_archE1030ELNS1_3gpuE2ELNS1_3repE0EEENS1_48merge_mergepath_partition_config_static_selectorELNS0_4arch9wavefront6targetE1EEEvSM_.num_named_barrier, 0
	.set _ZN7rocprim17ROCPRIM_400000_NS6detail17trampoline_kernelINS0_14default_configENS1_38merge_sort_block_merge_config_selectorIlNS0_10empty_typeEEEZZNS1_27merge_sort_block_merge_implIS3_PlPS5_mZN2at6native12_GLOBAL__N_124unique_dim_cuda_templateIfEESt5tupleIJNSA_6TensorESF_SF_EERKSF_lbbbEUlllE_EE10hipError_tT0_T1_T2_jT3_P12ihipStream_tbPNSt15iterator_traitsISL_E10value_typeEPNSR_ISM_E10value_typeEPSN_NS1_7vsmem_tEENKUlT_SL_SM_SN_E_clIS8_S8_S9_S9_EESK_S10_SL_SM_SN_EUlS10_E_NS1_11comp_targetILNS1_3genE8ELNS1_11target_archE1030ELNS1_3gpuE2ELNS1_3repE0EEENS1_48merge_mergepath_partition_config_static_selectorELNS0_4arch9wavefront6targetE1EEEvSM_.private_seg_size, 0
	.set _ZN7rocprim17ROCPRIM_400000_NS6detail17trampoline_kernelINS0_14default_configENS1_38merge_sort_block_merge_config_selectorIlNS0_10empty_typeEEEZZNS1_27merge_sort_block_merge_implIS3_PlPS5_mZN2at6native12_GLOBAL__N_124unique_dim_cuda_templateIfEESt5tupleIJNSA_6TensorESF_SF_EERKSF_lbbbEUlllE_EE10hipError_tT0_T1_T2_jT3_P12ihipStream_tbPNSt15iterator_traitsISL_E10value_typeEPNSR_ISM_E10value_typeEPSN_NS1_7vsmem_tEENKUlT_SL_SM_SN_E_clIS8_S8_S9_S9_EESK_S10_SL_SM_SN_EUlS10_E_NS1_11comp_targetILNS1_3genE8ELNS1_11target_archE1030ELNS1_3gpuE2ELNS1_3repE0EEENS1_48merge_mergepath_partition_config_static_selectorELNS0_4arch9wavefront6targetE1EEEvSM_.uses_vcc, 0
	.set _ZN7rocprim17ROCPRIM_400000_NS6detail17trampoline_kernelINS0_14default_configENS1_38merge_sort_block_merge_config_selectorIlNS0_10empty_typeEEEZZNS1_27merge_sort_block_merge_implIS3_PlPS5_mZN2at6native12_GLOBAL__N_124unique_dim_cuda_templateIfEESt5tupleIJNSA_6TensorESF_SF_EERKSF_lbbbEUlllE_EE10hipError_tT0_T1_T2_jT3_P12ihipStream_tbPNSt15iterator_traitsISL_E10value_typeEPNSR_ISM_E10value_typeEPSN_NS1_7vsmem_tEENKUlT_SL_SM_SN_E_clIS8_S8_S9_S9_EESK_S10_SL_SM_SN_EUlS10_E_NS1_11comp_targetILNS1_3genE8ELNS1_11target_archE1030ELNS1_3gpuE2ELNS1_3repE0EEENS1_48merge_mergepath_partition_config_static_selectorELNS0_4arch9wavefront6targetE1EEEvSM_.uses_flat_scratch, 0
	.set _ZN7rocprim17ROCPRIM_400000_NS6detail17trampoline_kernelINS0_14default_configENS1_38merge_sort_block_merge_config_selectorIlNS0_10empty_typeEEEZZNS1_27merge_sort_block_merge_implIS3_PlPS5_mZN2at6native12_GLOBAL__N_124unique_dim_cuda_templateIfEESt5tupleIJNSA_6TensorESF_SF_EERKSF_lbbbEUlllE_EE10hipError_tT0_T1_T2_jT3_P12ihipStream_tbPNSt15iterator_traitsISL_E10value_typeEPNSR_ISM_E10value_typeEPSN_NS1_7vsmem_tEENKUlT_SL_SM_SN_E_clIS8_S8_S9_S9_EESK_S10_SL_SM_SN_EUlS10_E_NS1_11comp_targetILNS1_3genE8ELNS1_11target_archE1030ELNS1_3gpuE2ELNS1_3repE0EEENS1_48merge_mergepath_partition_config_static_selectorELNS0_4arch9wavefront6targetE1EEEvSM_.has_dyn_sized_stack, 0
	.set _ZN7rocprim17ROCPRIM_400000_NS6detail17trampoline_kernelINS0_14default_configENS1_38merge_sort_block_merge_config_selectorIlNS0_10empty_typeEEEZZNS1_27merge_sort_block_merge_implIS3_PlPS5_mZN2at6native12_GLOBAL__N_124unique_dim_cuda_templateIfEESt5tupleIJNSA_6TensorESF_SF_EERKSF_lbbbEUlllE_EE10hipError_tT0_T1_T2_jT3_P12ihipStream_tbPNSt15iterator_traitsISL_E10value_typeEPNSR_ISM_E10value_typeEPSN_NS1_7vsmem_tEENKUlT_SL_SM_SN_E_clIS8_S8_S9_S9_EESK_S10_SL_SM_SN_EUlS10_E_NS1_11comp_targetILNS1_3genE8ELNS1_11target_archE1030ELNS1_3gpuE2ELNS1_3repE0EEENS1_48merge_mergepath_partition_config_static_selectorELNS0_4arch9wavefront6targetE1EEEvSM_.has_recursion, 0
	.set _ZN7rocprim17ROCPRIM_400000_NS6detail17trampoline_kernelINS0_14default_configENS1_38merge_sort_block_merge_config_selectorIlNS0_10empty_typeEEEZZNS1_27merge_sort_block_merge_implIS3_PlPS5_mZN2at6native12_GLOBAL__N_124unique_dim_cuda_templateIfEESt5tupleIJNSA_6TensorESF_SF_EERKSF_lbbbEUlllE_EE10hipError_tT0_T1_T2_jT3_P12ihipStream_tbPNSt15iterator_traitsISL_E10value_typeEPNSR_ISM_E10value_typeEPSN_NS1_7vsmem_tEENKUlT_SL_SM_SN_E_clIS8_S8_S9_S9_EESK_S10_SL_SM_SN_EUlS10_E_NS1_11comp_targetILNS1_3genE8ELNS1_11target_archE1030ELNS1_3gpuE2ELNS1_3repE0EEENS1_48merge_mergepath_partition_config_static_selectorELNS0_4arch9wavefront6targetE1EEEvSM_.has_indirect_call, 0
	.section	.AMDGPU.csdata,"",@progbits
; Kernel info:
; codeLenInByte = 0
; TotalNumSgprs: 6
; NumVgprs: 0
; NumAgprs: 0
; TotalNumVgprs: 0
; ScratchSize: 0
; MemoryBound: 0
; FloatMode: 240
; IeeeMode: 1
; LDSByteSize: 0 bytes/workgroup (compile time only)
; SGPRBlocks: 0
; VGPRBlocks: 0
; NumSGPRsForWavesPerEU: 6
; NumVGPRsForWavesPerEU: 1
; AccumOffset: 4
; Occupancy: 8
; WaveLimiterHint : 0
; COMPUTE_PGM_RSRC2:SCRATCH_EN: 0
; COMPUTE_PGM_RSRC2:USER_SGPR: 2
; COMPUTE_PGM_RSRC2:TRAP_HANDLER: 0
; COMPUTE_PGM_RSRC2:TGID_X_EN: 1
; COMPUTE_PGM_RSRC2:TGID_Y_EN: 0
; COMPUTE_PGM_RSRC2:TGID_Z_EN: 0
; COMPUTE_PGM_RSRC2:TIDIG_COMP_CNT: 0
; COMPUTE_PGM_RSRC3_GFX90A:ACCUM_OFFSET: 0
; COMPUTE_PGM_RSRC3_GFX90A:TG_SPLIT: 0
	.section	.text._ZN7rocprim17ROCPRIM_400000_NS6detail17trampoline_kernelINS0_14default_configENS1_38merge_sort_block_merge_config_selectorIlNS0_10empty_typeEEEZZNS1_27merge_sort_block_merge_implIS3_PlPS5_mZN2at6native12_GLOBAL__N_124unique_dim_cuda_templateIfEESt5tupleIJNSA_6TensorESF_SF_EERKSF_lbbbEUlllE_EE10hipError_tT0_T1_T2_jT3_P12ihipStream_tbPNSt15iterator_traitsISL_E10value_typeEPNSR_ISM_E10value_typeEPSN_NS1_7vsmem_tEENKUlT_SL_SM_SN_E_clIS8_S8_S9_S9_EESK_S10_SL_SM_SN_EUlS10_E0_NS1_11comp_targetILNS1_3genE0ELNS1_11target_archE4294967295ELNS1_3gpuE0ELNS1_3repE0EEENS1_38merge_mergepath_config_static_selectorELNS0_4arch9wavefront6targetE1EEEvSM_,"axG",@progbits,_ZN7rocprim17ROCPRIM_400000_NS6detail17trampoline_kernelINS0_14default_configENS1_38merge_sort_block_merge_config_selectorIlNS0_10empty_typeEEEZZNS1_27merge_sort_block_merge_implIS3_PlPS5_mZN2at6native12_GLOBAL__N_124unique_dim_cuda_templateIfEESt5tupleIJNSA_6TensorESF_SF_EERKSF_lbbbEUlllE_EE10hipError_tT0_T1_T2_jT3_P12ihipStream_tbPNSt15iterator_traitsISL_E10value_typeEPNSR_ISM_E10value_typeEPSN_NS1_7vsmem_tEENKUlT_SL_SM_SN_E_clIS8_S8_S9_S9_EESK_S10_SL_SM_SN_EUlS10_E0_NS1_11comp_targetILNS1_3genE0ELNS1_11target_archE4294967295ELNS1_3gpuE0ELNS1_3repE0EEENS1_38merge_mergepath_config_static_selectorELNS0_4arch9wavefront6targetE1EEEvSM_,comdat
	.globl	_ZN7rocprim17ROCPRIM_400000_NS6detail17trampoline_kernelINS0_14default_configENS1_38merge_sort_block_merge_config_selectorIlNS0_10empty_typeEEEZZNS1_27merge_sort_block_merge_implIS3_PlPS5_mZN2at6native12_GLOBAL__N_124unique_dim_cuda_templateIfEESt5tupleIJNSA_6TensorESF_SF_EERKSF_lbbbEUlllE_EE10hipError_tT0_T1_T2_jT3_P12ihipStream_tbPNSt15iterator_traitsISL_E10value_typeEPNSR_ISM_E10value_typeEPSN_NS1_7vsmem_tEENKUlT_SL_SM_SN_E_clIS8_S8_S9_S9_EESK_S10_SL_SM_SN_EUlS10_E0_NS1_11comp_targetILNS1_3genE0ELNS1_11target_archE4294967295ELNS1_3gpuE0ELNS1_3repE0EEENS1_38merge_mergepath_config_static_selectorELNS0_4arch9wavefront6targetE1EEEvSM_ ; -- Begin function _ZN7rocprim17ROCPRIM_400000_NS6detail17trampoline_kernelINS0_14default_configENS1_38merge_sort_block_merge_config_selectorIlNS0_10empty_typeEEEZZNS1_27merge_sort_block_merge_implIS3_PlPS5_mZN2at6native12_GLOBAL__N_124unique_dim_cuda_templateIfEESt5tupleIJNSA_6TensorESF_SF_EERKSF_lbbbEUlllE_EE10hipError_tT0_T1_T2_jT3_P12ihipStream_tbPNSt15iterator_traitsISL_E10value_typeEPNSR_ISM_E10value_typeEPSN_NS1_7vsmem_tEENKUlT_SL_SM_SN_E_clIS8_S8_S9_S9_EESK_S10_SL_SM_SN_EUlS10_E0_NS1_11comp_targetILNS1_3genE0ELNS1_11target_archE4294967295ELNS1_3gpuE0ELNS1_3repE0EEENS1_38merge_mergepath_config_static_selectorELNS0_4arch9wavefront6targetE1EEEvSM_
	.p2align	8
	.type	_ZN7rocprim17ROCPRIM_400000_NS6detail17trampoline_kernelINS0_14default_configENS1_38merge_sort_block_merge_config_selectorIlNS0_10empty_typeEEEZZNS1_27merge_sort_block_merge_implIS3_PlPS5_mZN2at6native12_GLOBAL__N_124unique_dim_cuda_templateIfEESt5tupleIJNSA_6TensorESF_SF_EERKSF_lbbbEUlllE_EE10hipError_tT0_T1_T2_jT3_P12ihipStream_tbPNSt15iterator_traitsISL_E10value_typeEPNSR_ISM_E10value_typeEPSN_NS1_7vsmem_tEENKUlT_SL_SM_SN_E_clIS8_S8_S9_S9_EESK_S10_SL_SM_SN_EUlS10_E0_NS1_11comp_targetILNS1_3genE0ELNS1_11target_archE4294967295ELNS1_3gpuE0ELNS1_3repE0EEENS1_38merge_mergepath_config_static_selectorELNS0_4arch9wavefront6targetE1EEEvSM_,@function
_ZN7rocprim17ROCPRIM_400000_NS6detail17trampoline_kernelINS0_14default_configENS1_38merge_sort_block_merge_config_selectorIlNS0_10empty_typeEEEZZNS1_27merge_sort_block_merge_implIS3_PlPS5_mZN2at6native12_GLOBAL__N_124unique_dim_cuda_templateIfEESt5tupleIJNSA_6TensorESF_SF_EERKSF_lbbbEUlllE_EE10hipError_tT0_T1_T2_jT3_P12ihipStream_tbPNSt15iterator_traitsISL_E10value_typeEPNSR_ISM_E10value_typeEPSN_NS1_7vsmem_tEENKUlT_SL_SM_SN_E_clIS8_S8_S9_S9_EESK_S10_SL_SM_SN_EUlS10_E0_NS1_11comp_targetILNS1_3genE0ELNS1_11target_archE4294967295ELNS1_3gpuE0ELNS1_3repE0EEENS1_38merge_mergepath_config_static_selectorELNS0_4arch9wavefront6targetE1EEEvSM_: ; @_ZN7rocprim17ROCPRIM_400000_NS6detail17trampoline_kernelINS0_14default_configENS1_38merge_sort_block_merge_config_selectorIlNS0_10empty_typeEEEZZNS1_27merge_sort_block_merge_implIS3_PlPS5_mZN2at6native12_GLOBAL__N_124unique_dim_cuda_templateIfEESt5tupleIJNSA_6TensorESF_SF_EERKSF_lbbbEUlllE_EE10hipError_tT0_T1_T2_jT3_P12ihipStream_tbPNSt15iterator_traitsISL_E10value_typeEPNSR_ISM_E10value_typeEPSN_NS1_7vsmem_tEENKUlT_SL_SM_SN_E_clIS8_S8_S9_S9_EESK_S10_SL_SM_SN_EUlS10_E0_NS1_11comp_targetILNS1_3genE0ELNS1_11target_archE4294967295ELNS1_3gpuE0ELNS1_3repE0EEENS1_38merge_mergepath_config_static_selectorELNS0_4arch9wavefront6targetE1EEEvSM_
; %bb.0:
	s_load_dwordx2 s[22:23], s[0:1], 0x58
	s_load_dword s5, s[0:1], 0x38
	s_add_u32 s18, s0, 0x58
	s_addc_u32 s19, s1, 0
	s_waitcnt lgkmcnt(0)
	s_mul_i32 s4, s23, s4
	s_add_i32 s3, s4, s3
	s_mul_i32 s3, s3, s22
	s_add_i32 s20, s3, s2
	s_cmp_ge_u32 s20, s5
	s_cbranch_scc1 .LBB888_115
; %bb.1:
	s_load_dwordx2 s[12:13], s[0:1], 0x50
	s_load_dwordx4 s[8:11], s[0:1], 0x8
	s_load_dwordx4 s[4:7], s[0:1], 0x28
	s_mov_b32 s21, 0
	s_lshl_b64 s[14:15], s[20:21], 3
	s_waitcnt lgkmcnt(0)
	s_add_u32 s16, s12, s14
	s_addc_u32 s17, s13, s15
	s_load_dwordx4 s[12:15], s[16:17], 0x0
	s_lshr_b64 s[16:17], s[6:7], 9
	s_and_b32 s3, s16, -2
	s_sub_i32 s33, 0, s3
	s_and_b32 s26, s20, s33
	s_mov_b32 s27, s21
	s_lshl_b64 s[24:25], s[26:27], 10
	s_lshl_b64 s[16:17], s[20:21], 10
	s_sub_u32 s3, s16, s24
	s_subb_u32 s23, s17, s25
	s_lshl_b64 s[26:27], s[26:27], 11
	s_add_u32 s26, s26, s6
	s_addc_u32 s27, s27, s7
	s_add_u32 s3, s26, s3
	s_addc_u32 s23, s27, s23
	s_waitcnt lgkmcnt(0)
	s_sub_u32 s28, s3, s14
	s_subb_u32 s15, s23, s15
	s_add_u32 s28, s28, 0x400
	s_addc_u32 s29, s15, 0
	v_mov_b64_e32 v[2:3], s[28:29]
	v_cmp_lt_u64_e32 vcc, s[4:5], v[2:3]
	s_and_b64 s[30:31], vcc, exec
	s_cselect_b32 s15, s4, s28
	s_or_b32 s28, s20, s33
	s_cmp_lg_u32 s28, -1
	s_cbranch_scc1 .LBB888_3
; %bb.2:
	s_sub_u32 s24, s26, s24
	s_subb_u32 s25, s27, s25
	v_mov_b64_e32 v[2:3], s[24:25]
	v_cmp_lt_u64_e32 vcc, s[4:5], v[2:3]
	s_and_b64 s[14:15], vcc, exec
	s_cselect_b32 s14, s4, s24
	s_add_u32 s6, s24, s6
	s_addc_u32 s7, s25, s7
	v_mov_b64_e32 v[2:3], s[6:7]
	v_cmp_lt_u64_e32 vcc, s[4:5], v[2:3]
	s_and_b64 s[24:25], vcc, exec
	s_cselect_b32 s15, s4, s6
.LBB888_3:
	s_lshr_b64 s[24:25], s[4:5], 10
	s_cmp_lg_u64 s[24:25], s[20:21]
	s_cselect_b64 s[6:7], -1, 0
	s_sub_u32 s26, s3, s12
	s_subb_u32 s27, s23, s13
	v_mov_b64_e32 v[2:3], s[26:27]
	v_cmp_lt_u64_e32 vcc, s[4:5], v[2:3]
	s_and_b64 s[28:29], vcc, exec
	s_cselect_b32 s26, s4, s26
	s_cselect_b32 s27, s5, s27
	s_sub_i32 s5, s14, s12
	s_sub_i32 s23, s15, s26
	s_lshl_b64 s[12:13], s[12:13], 3
	s_add_u32 s12, s8, s12
	s_addc_u32 s13, s9, s13
	s_lshl_b64 s[14:15], s[26:27], 3
	s_add_u32 s8, s8, s14
	s_addc_u32 s9, s9, s15
	s_cmp_lt_u32 s2, s22
	v_mov_b32_e32 v19, 0
	s_cselect_b32 s2, 12, 18
	global_load_dword v1, v19, s[18:19] offset:14
	s_add_u32 s2, s18, s2
	s_addc_u32 s3, s19, 0
	global_load_ushort v2, v19, s[2:3]
	s_cmp_eq_u64 s[24:25], s[20:21]
	v_lshlrev_b32_e32 v18, 3, v0
	s_waitcnt vmcnt(1)
	v_lshrrev_b32_e32 v3, 16, v1
	v_and_b32_e32 v1, 0xffff, v1
	v_mul_lo_u32 v1, v1, v3
	s_waitcnt vmcnt(0)
	v_mul_lo_u32 v1, v1, v2
	s_cbranch_scc1 .LBB888_5
; %bb.4:
	v_subrev_co_u32_e32 v4, vcc, s5, v0
	v_mov_b32_e32 v5, v19
	v_lshl_add_u64 v[2:3], s[12:13], 0, v[18:19]
	v_lshl_add_u64 v[4:5], v[4:5], 3, s[8:9]
	v_add_u32_e32 v6, v1, v0
	v_cndmask_b32_e32 v3, v5, v3, vcc
	v_cndmask_b32_e32 v2, v4, v2, vcc
	v_mov_b32_e32 v7, v19
	v_subrev_co_u32_e32 v8, vcc, s5, v6
	v_mov_b32_e32 v9, v19
	v_lshl_add_u64 v[4:5], v[6:7], 3, s[12:13]
	v_lshl_add_u64 v[8:9], v[8:9], 3, s[8:9]
	v_cndmask_b32_e32 v4, v8, v4, vcc
	v_add_u32_e32 v8, v6, v1
	v_cndmask_b32_e32 v5, v9, v5, vcc
	v_mov_b32_e32 v9, v19
	v_subrev_co_u32_e32 v10, vcc, s5, v8
	v_mov_b32_e32 v11, v19
	v_lshl_add_u64 v[6:7], v[8:9], 3, s[12:13]
	v_lshl_add_u64 v[10:11], v[10:11], 3, s[8:9]
	v_cndmask_b32_e32 v6, v10, v6, vcc
	v_add_u32_e32 v10, v8, v1
	v_cndmask_b32_e32 v7, v11, v7, vcc
	v_mov_b32_e32 v11, v19
	v_subrev_co_u32_e32 v12, vcc, s5, v10
	v_mov_b32_e32 v13, v19
	v_lshl_add_u64 v[8:9], v[10:11], 3, s[12:13]
	v_lshl_add_u64 v[12:13], v[12:13], 3, s[8:9]
	v_cndmask_b32_e32 v8, v12, v8, vcc
	v_add_u32_e32 v12, v10, v1
	v_cndmask_b32_e32 v9, v13, v9, vcc
	v_mov_b32_e32 v13, v19
	v_subrev_co_u32_e32 v14, vcc, s5, v12
	v_mov_b32_e32 v15, v19
	v_lshl_add_u64 v[10:11], v[12:13], 3, s[12:13]
	v_lshl_add_u64 v[14:15], v[14:15], 3, s[8:9]
	v_cndmask_b32_e32 v10, v14, v10, vcc
	v_add_u32_e32 v14, v12, v1
	v_cndmask_b32_e32 v11, v15, v11, vcc
	v_mov_b32_e32 v15, v19
	v_subrev_co_u32_e32 v16, vcc, s5, v14
	v_mov_b32_e32 v17, v19
	v_lshl_add_u64 v[12:13], v[14:15], 3, s[12:13]
	v_lshl_add_u64 v[16:17], v[16:17], 3, s[8:9]
	v_cndmask_b32_e32 v12, v16, v12, vcc
	v_add_u32_e32 v16, v14, v1
	v_cndmask_b32_e32 v13, v17, v13, vcc
	v_mov_b32_e32 v17, v19
	v_subrev_co_u32_e32 v20, vcc, s5, v16
	v_mov_b32_e32 v21, v19
	v_lshl_add_u64 v[14:15], v[16:17], 3, s[12:13]
	v_lshl_add_u64 v[20:21], v[20:21], 3, s[8:9]
	v_add_u32_e32 v16, v16, v1
	v_cndmask_b32_e32 v15, v21, v15, vcc
	v_cndmask_b32_e32 v14, v20, v14, vcc
	v_lshl_add_u64 v[20:21], v[16:17], 3, s[12:13]
	v_subrev_co_u32_e32 v16, vcc, s5, v16
	v_lshl_add_u64 v[16:17], v[16:17], 3, s[8:9]
	s_nop 0
	v_cndmask_b32_e32 v17, v17, v21, vcc
	v_cndmask_b32_e32 v16, v16, v20, vcc
	global_load_dwordx2 v[2:3], v[2:3], off
	s_add_i32 s33, s5, s23
	global_load_dwordx2 v[4:5], v[4:5], off
	s_nop 0
	global_load_dwordx2 v[6:7], v[6:7], off
	s_nop 0
	global_load_dwordx2 v[8:9], v[8:9], off
	s_nop 0
	global_load_dwordx2 v[10:11], v[10:11], off
	s_nop 0
	global_load_dwordx2 v[12:13], v[12:13], off
	s_nop 0
	global_load_dwordx2 v[14:15], v[14:15], off
	s_nop 0
	global_load_dwordx2 v[16:17], v[16:17], off
	s_cbranch_execz .LBB888_6
	s_branch .LBB888_23
.LBB888_5:
                                        ; implicit-def: $vgpr2_vgpr3_vgpr4_vgpr5_vgpr6_vgpr7_vgpr8_vgpr9_vgpr10_vgpr11_vgpr12_vgpr13_vgpr14_vgpr15_vgpr16_vgpr17
                                        ; implicit-def: $sgpr33
.LBB888_6:
	s_add_i32 s33, s5, s23
	s_waitcnt vmcnt(7)
	v_mov_b32_e32 v2, 0
	v_cmp_gt_u32_e32 vcc, s33, v0
	v_mov_b32_e32 v3, v2
	s_waitcnt vmcnt(6)
	v_mov_b32_e32 v4, v2
	v_mov_b32_e32 v5, v2
	s_waitcnt vmcnt(5)
	v_mov_b32_e32 v6, v2
	;; [unrolled: 3-line block ×7, first 2 shown]
	v_mov_b32_e32 v17, v2
	s_and_saveexec_b64 s[2:3], vcc
	s_cbranch_execz .LBB888_8
; %bb.7:
	v_mov_b32_e32 v19, v2
	v_subrev_co_u32_e32 v6, vcc, s5, v0
	v_mov_b32_e32 v7, v2
	v_lshl_add_u64 v[4:5], s[12:13], 0, v[18:19]
	v_lshl_add_u64 v[6:7], v[6:7], 3, s[8:9]
	v_cndmask_b32_e32 v5, v7, v5, vcc
	v_cndmask_b32_e32 v4, v6, v4, vcc
	global_load_dwordx2 v[20:21], v[4:5], off
	v_mov_b32_e32 v22, v2
	v_mov_b32_e32 v23, v2
	;; [unrolled: 1-line block ×14, first 2 shown]
	s_waitcnt vmcnt(0)
	v_mov_b64_e32 v[2:3], v[20:21]
	v_mov_b64_e32 v[4:5], v[22:23]
	;; [unrolled: 1-line block ×8, first 2 shown]
.LBB888_8:
	s_or_b64 exec, exec, s[2:3]
	v_add_u32_e32 v20, v1, v0
	v_cmp_gt_u32_e32 vcc, s33, v20
	s_and_saveexec_b64 s[2:3], vcc
	s_cbranch_execz .LBB888_10
; %bb.9:
	v_mov_b32_e32 v21, 0
	v_subrev_co_u32_e32 v22, vcc, s5, v20
	v_mov_b32_e32 v23, v21
	v_lshl_add_u64 v[4:5], v[20:21], 3, s[12:13]
	v_lshl_add_u64 v[22:23], v[22:23], 3, s[8:9]
	v_cndmask_b32_e32 v5, v23, v5, vcc
	v_cndmask_b32_e32 v4, v22, v4, vcc
	global_load_dwordx2 v[4:5], v[4:5], off
.LBB888_10:
	s_or_b64 exec, exec, s[2:3]
	v_add_u32_e32 v20, v20, v1
	v_cmp_gt_u32_e32 vcc, s33, v20
	s_and_saveexec_b64 s[2:3], vcc
	s_cbranch_execz .LBB888_12
; %bb.11:
	v_mov_b32_e32 v21, 0
	v_subrev_co_u32_e32 v22, vcc, s5, v20
	v_mov_b32_e32 v23, v21
	v_lshl_add_u64 v[6:7], v[20:21], 3, s[12:13]
	v_lshl_add_u64 v[22:23], v[22:23], 3, s[8:9]
	v_cndmask_b32_e32 v7, v23, v7, vcc
	v_cndmask_b32_e32 v6, v22, v6, vcc
	global_load_dwordx2 v[6:7], v[6:7], off
.LBB888_12:
	;; [unrolled: 15-line block ×6, first 2 shown]
	s_or_b64 exec, exec, s[2:3]
	v_add_u32_e32 v20, v20, v1
	v_cmp_gt_u32_e32 vcc, s33, v20
	s_and_saveexec_b64 s[2:3], vcc
	s_cbranch_execz .LBB888_22
; %bb.21:
	v_mov_b32_e32 v21, 0
	v_lshl_add_u64 v[16:17], v[20:21], 3, s[12:13]
	v_subrev_co_u32_e32 v20, vcc, s5, v20
	v_lshl_add_u64 v[20:21], v[20:21], 3, s[8:9]
	s_nop 0
	v_cndmask_b32_e32 v17, v21, v17, vcc
	v_cndmask_b32_e32 v16, v20, v16, vcc
	global_load_dwordx2 v[16:17], v[16:17], off
.LBB888_22:
	s_or_b64 exec, exec, s[2:3]
.LBB888_23:
	s_load_dwordx4 s[12:15], s[0:1], 0x40
	v_min_u32_e32 v1, s33, v18
	v_sub_u32_e64 v24, v1, s23 clamp
	v_min_u32_e32 v19, s5, v1
	v_cmp_lt_u32_e32 vcc, v24, v19
	s_waitcnt vmcnt(0)
	ds_write2st64_b64 v18, v[2:3], v[4:5] offset1:2
	ds_write2st64_b64 v18, v[6:7], v[8:9] offset0:4 offset1:6
	ds_write2st64_b64 v18, v[10:11], v[12:13] offset0:8 offset1:10
	;; [unrolled: 1-line block ×3, first 2 shown]
	s_waitcnt lgkmcnt(0)
	s_barrier
	s_and_saveexec_b64 s[8:9], vcc
	s_cbranch_execz .LBB888_33
; %bb.24:
	v_lshlrev_b32_e32 v20, 3, v1
	v_cmp_gt_i64_e64 s[0:1], s[12:13], 0
	v_lshl_add_u32 v25, s5, 3, v20
	s_mov_b64 s[18:19], 0
	v_cndmask_b32_e64 v20, 0, 1, s[0:1]
	s_lshl_b64 s[20:21], s[12:13], 2
	v_cmp_ne_u32_e64 s[0:1], 1, v20
	s_branch .LBB888_27
.LBB888_25:                             ;   in Loop: Header=BB888_27 Depth=1
	s_or_b64 exec, exec, s[24:25]
.LBB888_26:                             ;   in Loop: Header=BB888_27 Depth=1
	v_add_u32_e32 v20, 1, v26
	v_cndmask_b32_e64 v19, v19, v26, s[22:23]
	v_cndmask_b32_e64 v24, v20, v24, s[22:23]
	v_cmp_ge_u32_e32 vcc, v24, v19
	s_or_b64 s[18:19], vcc, s[18:19]
	s_andn2_b64 exec, exec, s[18:19]
	s_cbranch_execz .LBB888_32
.LBB888_27:                             ; =>This Loop Header: Depth=1
                                        ;     Child Loop BB888_30 Depth 2
	v_add_u32_e32 v20, v19, v24
	v_lshrrev_b32_e32 v26, 1, v20
	s_and_b64 vcc, exec, s[0:1]
	s_mov_b64 s[22:23], 0
	s_cbranch_vccnz .LBB888_26
; %bb.28:                               ;   in Loop: Header=BB888_27 Depth=1
	v_not_b32_e32 v20, v26
	v_lshl_add_u32 v20, v20, 3, v25
	ds_read_b64 v[20:21], v20
	v_lshlrev_b32_e32 v27, 3, v26
	ds_read_b64 v[28:29], v27
	v_mov_b64_e32 v[22:23], s[14:15]
	s_mov_b64 s[24:25], 0
	s_waitcnt lgkmcnt(1)
	v_mul_lo_u32 v27, s20, v21
	v_mul_lo_u32 v30, s21, v20
	v_mad_u64_u32 v[20:21], s[2:3], s20, v20, v[22:23]
	v_add3_u32 v21, v30, v21, v27
	s_waitcnt lgkmcnt(0)
	v_mul_lo_u32 v27, s20, v29
	v_mul_lo_u32 v29, s21, v28
	v_mad_u64_u32 v[22:23], s[2:3], s20, v28, v[22:23]
	v_add3_u32 v23, v29, v23, v27
	s_mov_b64 s[28:29], s[12:13]
                                        ; implicit-def: $sgpr22_sgpr23
                                        ; implicit-def: $sgpr26_sgpr27
                                        ; implicit-def: $sgpr2_sgpr3
                                        ; implicit-def: $sgpr30_sgpr31
	s_branch .LBB888_30
.LBB888_29:                             ;   in Loop: Header=BB888_30 Depth=2
	s_or_b64 exec, exec, s[36:37]
	s_and_b64 s[36:37], exec, s[26:27]
	s_or_b64 s[24:25], s[36:37], s[24:25]
	s_andn2_b64 s[30:31], s[30:31], exec
	s_and_b64 s[34:35], s[34:35], exec
	s_or_b64 s[30:31], s[30:31], s[34:35]
	s_andn2_b64 s[22:23], s[22:23], exec
	s_and_b64 s[34:35], s[2:3], exec
	s_or_b64 s[22:23], s[22:23], s[34:35]
	s_andn2_b64 exec, exec, s[24:25]
	s_cbranch_execz .LBB888_25
.LBB888_30:                             ;   Parent Loop BB888_27 Depth=1
                                        ; =>  This Inner Loop Header: Depth=2
	global_load_dword v27, v[20:21], off
	global_load_dword v28, v[22:23], off
	s_andn2_b64 s[36:37], s[2:3], exec
	s_or_b64 s[26:27], s[26:27], exec
	s_waitcnt vmcnt(0)
	v_cmp_ngt_f32_e64 s[2:3], v27, v28
	v_cmp_lt_f32_e32 vcc, v27, v28
	s_and_b64 s[34:35], s[2:3], s[30:31]
	s_or_b64 s[34:35], vcc, s[34:35]
	s_xor_b64 s[38:39], vcc, s[2:3]
	s_and_b64 s[2:3], s[34:35], exec
	s_or_b64 s[2:3], s[36:37], s[2:3]
	s_and_saveexec_b64 s[36:37], s[38:39]
	s_cbranch_execz .LBB888_29
; %bb.31:                               ;   in Loop: Header=BB888_30 Depth=2
	s_add_u32 s28, s28, -1
	s_addc_u32 s29, s29, -1
	s_cmp_eq_u64 s[28:29], 0
	s_cselect_b64 s[30:31], -1, 0
	s_andn2_b64 s[26:27], s[26:27], exec
	s_and_b64 s[30:31], s[30:31], exec
	v_lshl_add_u64 v[20:21], v[20:21], 0, 4
	v_lshl_add_u64 v[22:23], v[22:23], 0, 4
	s_andn2_b64 s[2:3], s[2:3], exec
	s_or_b64 s[26:27], s[26:27], s[30:31]
                                        ; implicit-def: $sgpr30_sgpr31
	s_branch .LBB888_29
.LBB888_32:
	s_or_b64 exec, exec, s[18:19]
.LBB888_33:
	s_or_b64 exec, exec, s[8:9]
	v_sub_u32_e32 v1, v1, v24
	v_add_u32_e32 v22, s5, v1
	v_cmp_ge_u32_e32 vcc, s5, v24
	v_cmp_ge_u32_e64 s[0:1], s33, v22
	s_or_b64 s[0:1], vcc, s[0:1]
	s_and_saveexec_b64 s[8:9], s[0:1]
	s_cbranch_execz .LBB888_101
; %bb.34:
	v_cmp_le_u32_e32 vcc, s5, v24
	v_cmp_gt_u32_e64 s[0:1], s5, v24
                                        ; implicit-def: $vgpr2_vgpr3
	s_and_saveexec_b64 s[2:3], s[0:1]
; %bb.35:
	v_lshlrev_b32_e32 v1, 3, v24
	ds_read_b64 v[2:3], v1
; %bb.36:
	s_or_b64 exec, exec, s[2:3]
	v_cmp_le_u32_e64 s[0:1], s33, v22
	v_cmp_gt_u32_e64 s[2:3], s33, v22
                                        ; implicit-def: $vgpr16_vgpr17
	s_and_saveexec_b64 s[18:19], s[2:3]
; %bb.37:
	v_lshlrev_b32_e32 v1, 3, v22
	ds_read_b64 v[16:17], v1
; %bb.38:
	s_or_b64 exec, exec, s[18:19]
	v_cmp_lt_i64_e64 s[18:19], s[12:13], 1
	s_or_b64 s[2:3], vcc, s[0:1]
	s_nor_b64 s[22:23], s[2:3], s[18:19]
	s_xor_b64 s[2:3], vcc, -1
	s_or_b64 s[2:3], s[0:1], s[2:3]
	s_and_saveexec_b64 s[20:21], s[22:23]
	s_cbranch_execz .LBB888_44
; %bb.39:
	s_waitcnt lgkmcnt(0)
	v_mul_lo_u32 v1, v17, s12
	v_mul_lo_u32 v6, v16, s13
	v_mad_u64_u32 v[4:5], s[0:1], v16, s12, 0
	v_add3_u32 v5, v5, v6, v1
	v_mul_lo_u32 v1, v3, s12
	v_mul_lo_u32 v8, v2, s13
	v_mad_u64_u32 v[6:7], s[0:1], v2, s12, 0
	v_add3_u32 v7, v7, v8, v1
	v_lshl_add_u64 v[4:5], v[4:5], 2, s[14:15]
	v_lshl_add_u64 v[6:7], v[6:7], 2, s[14:15]
	s_mov_b64 s[22:23], 0
	s_mov_b64 s[28:29], s[12:13]
                                        ; implicit-def: $sgpr24_sgpr25
                                        ; implicit-def: $sgpr26_sgpr27
                                        ; implicit-def: $sgpr0_sgpr1
                                        ; implicit-def: $sgpr30_sgpr31
	s_branch .LBB888_41
.LBB888_40:                             ;   in Loop: Header=BB888_41 Depth=1
	s_or_b64 exec, exec, s[36:37]
	s_and_b64 s[36:37], exec, s[26:27]
	s_or_b64 s[22:23], s[36:37], s[22:23]
	s_andn2_b64 s[30:31], s[30:31], exec
	s_and_b64 s[34:35], s[34:35], exec
	s_or_b64 s[30:31], s[30:31], s[34:35]
	s_andn2_b64 s[24:25], s[24:25], exec
	s_and_b64 s[34:35], s[0:1], exec
	s_or_b64 s[24:25], s[24:25], s[34:35]
	s_andn2_b64 exec, exec, s[22:23]
	s_cbranch_execz .LBB888_43
.LBB888_41:                             ; =>This Inner Loop Header: Depth=1
	global_load_dword v1, v[4:5], off
	global_load_dword v8, v[6:7], off
	s_andn2_b64 s[36:37], s[0:1], exec
	s_or_b64 s[26:27], s[26:27], exec
	s_waitcnt vmcnt(0)
	v_cmp_ngt_f32_e64 s[0:1], v1, v8
	v_cmp_lt_f32_e32 vcc, v1, v8
	s_and_b64 s[34:35], s[0:1], s[30:31]
	s_or_b64 s[34:35], vcc, s[34:35]
	s_xor_b64 s[38:39], vcc, s[0:1]
	s_and_b64 s[0:1], s[34:35], exec
	s_or_b64 s[0:1], s[36:37], s[0:1]
	s_and_saveexec_b64 s[36:37], s[38:39]
	s_cbranch_execz .LBB888_40
; %bb.42:                               ;   in Loop: Header=BB888_41 Depth=1
	s_add_u32 s28, s28, -1
	s_addc_u32 s29, s29, -1
	s_cmp_eq_u64 s[28:29], 0
	s_cselect_b64 s[30:31], -1, 0
	s_andn2_b64 s[26:27], s[26:27], exec
	s_and_b64 s[30:31], s[30:31], exec
	v_lshl_add_u64 v[4:5], v[4:5], 0, 4
	v_lshl_add_u64 v[6:7], v[6:7], 0, 4
	s_andn2_b64 s[0:1], s[0:1], exec
	s_or_b64 s[26:27], s[26:27], s[30:31]
                                        ; implicit-def: $sgpr30_sgpr31
	s_branch .LBB888_40
.LBB888_43:
	s_or_b64 exec, exec, s[22:23]
	s_xor_b64 s[0:1], s[24:25], -1
	s_andn2_b64 s[2:3], s[2:3], exec
	s_and_b64 s[0:1], s[0:1], exec
	s_or_b64 s[2:3], s[2:3], s[0:1]
.LBB888_44:
	s_or_b64 exec, exec, s[20:21]
	v_mov_b32_e32 v4, s33
	v_mov_b32_e32 v5, s5
	v_cndmask_b32_e64 v1, v22, v24, s[2:3]
	v_cndmask_b32_e64 v4, v4, v5, s[2:3]
	v_add_u32_e32 v6, 1, v1
	v_add_u32_e32 v1, -1, v4
	v_min_u32_e32 v1, v6, v1
	v_lshlrev_b32_e32 v1, 3, v1
	ds_read_b64 v[4:5], v1
	v_cndmask_b32_e64 v8, v6, v22, s[2:3]
	v_cndmask_b32_e64 v9, v24, v6, s[2:3]
	v_cmp_gt_u32_e32 vcc, s33, v8
	s_mov_b64 s[22:23], -1
	s_waitcnt lgkmcnt(0)
	v_cndmask_b32_e64 v1, v5, v17, s[2:3]
	v_cndmask_b32_e64 v19, v4, v16, s[2:3]
	;; [unrolled: 1-line block ×4, first 2 shown]
	s_mov_b64 s[20:21], -1
	s_and_saveexec_b64 s[24:25], vcc
	s_cbranch_execz .LBB888_52
; %bb.45:
	v_cmp_gt_u32_e64 s[20:21], s5, v9
	s_xor_b64 s[0:1], s[18:19], -1
	s_and_b64 s[0:1], s[20:21], s[0:1]
	s_and_saveexec_b64 s[26:27], s[0:1]
	s_cbranch_execz .LBB888_51
; %bb.46:
	v_mul_lo_u32 v6, v1, s12
	v_mul_lo_u32 v7, v19, s13
	v_mad_u64_u32 v[4:5], s[0:1], v19, s12, 0
	v_add3_u32 v5, v5, v7, v6
	v_mul_lo_u32 v10, v20, s12
	v_mul_lo_u32 v11, v21, s13
	v_mad_u64_u32 v[6:7], s[0:1], v21, s12, 0
	v_add3_u32 v7, v7, v11, v10
	v_lshl_add_u64 v[4:5], v[4:5], 2, s[14:15]
	v_lshl_add_u64 v[6:7], v[6:7], 2, s[14:15]
	s_mov_b64 s[28:29], 0
	s_mov_b64 s[36:37], s[12:13]
                                        ; implicit-def: $sgpr30_sgpr31
                                        ; implicit-def: $sgpr34_sgpr35
                                        ; implicit-def: $sgpr0_sgpr1
                                        ; implicit-def: $sgpr38_sgpr39
	s_branch .LBB888_48
.LBB888_47:                             ;   in Loop: Header=BB888_48 Depth=1
	s_or_b64 exec, exec, s[42:43]
	s_and_b64 s[42:43], exec, s[34:35]
	s_or_b64 s[28:29], s[42:43], s[28:29]
	s_andn2_b64 s[38:39], s[38:39], exec
	s_and_b64 s[40:41], s[40:41], exec
	s_or_b64 s[38:39], s[38:39], s[40:41]
	s_andn2_b64 s[30:31], s[30:31], exec
	s_and_b64 s[40:41], s[0:1], exec
	s_or_b64 s[30:31], s[30:31], s[40:41]
	s_andn2_b64 exec, exec, s[28:29]
	s_cbranch_execz .LBB888_50
.LBB888_48:                             ; =>This Inner Loop Header: Depth=1
	global_load_dword v10, v[4:5], off
	global_load_dword v11, v[6:7], off
	s_andn2_b64 s[42:43], s[0:1], exec
	s_or_b64 s[34:35], s[34:35], exec
	s_waitcnt vmcnt(0)
	v_cmp_ngt_f32_e64 s[0:1], v10, v11
	v_cmp_lt_f32_e32 vcc, v10, v11
	s_and_b64 s[40:41], s[0:1], s[38:39]
	s_or_b64 s[40:41], vcc, s[40:41]
	s_xor_b64 s[44:45], vcc, s[0:1]
	s_and_b64 s[0:1], s[40:41], exec
	s_or_b64 s[0:1], s[42:43], s[0:1]
	s_and_saveexec_b64 s[42:43], s[44:45]
	s_cbranch_execz .LBB888_47
; %bb.49:                               ;   in Loop: Header=BB888_48 Depth=1
	s_add_u32 s36, s36, -1
	s_addc_u32 s37, s37, -1
	s_cmp_eq_u64 s[36:37], 0
	s_cselect_b64 s[38:39], -1, 0
	s_andn2_b64 s[34:35], s[34:35], exec
	s_and_b64 s[38:39], s[38:39], exec
	v_lshl_add_u64 v[4:5], v[4:5], 0, 4
	v_lshl_add_u64 v[6:7], v[6:7], 0, 4
	s_andn2_b64 s[0:1], s[0:1], exec
	s_or_b64 s[34:35], s[34:35], s[38:39]
                                        ; implicit-def: $sgpr38_sgpr39
	s_branch .LBB888_47
.LBB888_50:
	s_or_b64 exec, exec, s[28:29]
	s_xor_b64 s[0:1], s[30:31], -1
	s_andn2_b64 s[20:21], s[20:21], exec
	s_and_b64 s[0:1], s[0:1], exec
	s_or_b64 s[20:21], s[20:21], s[0:1]
.LBB888_51:
	s_or_b64 exec, exec, s[26:27]
	s_orn2_b64 s[20:21], s[20:21], exec
.LBB888_52:
	s_or_b64 exec, exec, s[24:25]
	v_mov_b32_e32 v5, s33
	v_mov_b32_e32 v6, s5
	v_cndmask_b32_e64 v4, v8, v9, s[20:21]
	v_cndmask_b32_e64 v5, v5, v6, s[20:21]
	v_add_u32_e32 v6, 1, v4
	v_add_u32_e32 v4, -1, v5
	v_min_u32_e32 v4, v6, v4
	v_lshlrev_b32_e32 v4, 3, v4
	ds_read_b64 v[4:5], v4
	v_cndmask_b32_e64 v10, v6, v8, s[20:21]
	v_cndmask_b32_e64 v11, v9, v6, s[20:21]
	v_cmp_gt_u32_e32 vcc, s33, v10
	s_waitcnt lgkmcnt(0)
	v_cndmask_b32_e64 v22, v5, v1, s[20:21]
	v_cndmask_b32_e64 v23, v4, v19, s[20:21]
	;; [unrolled: 1-line block ×4, first 2 shown]
	s_and_saveexec_b64 s[24:25], vcc
	s_cbranch_execz .LBB888_60
; %bb.53:
	v_cmp_gt_u32_e64 s[22:23], s5, v11
	s_xor_b64 s[0:1], s[18:19], -1
	s_and_b64 s[0:1], s[22:23], s[0:1]
	s_and_saveexec_b64 s[26:27], s[0:1]
	s_cbranch_execz .LBB888_59
; %bb.54:
	v_mul_lo_u32 v6, v22, s12
	v_mul_lo_u32 v7, v23, s13
	v_mad_u64_u32 v[4:5], s[0:1], v23, s12, 0
	v_add3_u32 v5, v5, v7, v6
	v_mul_lo_u32 v8, v24, s12
	v_mul_lo_u32 v9, v25, s13
	v_mad_u64_u32 v[6:7], s[0:1], v25, s12, 0
	v_add3_u32 v7, v7, v9, v8
	v_lshl_add_u64 v[4:5], v[4:5], 2, s[14:15]
	v_lshl_add_u64 v[6:7], v[6:7], 2, s[14:15]
	s_mov_b64 s[28:29], 0
	s_mov_b64 s[36:37], s[12:13]
                                        ; implicit-def: $sgpr30_sgpr31
                                        ; implicit-def: $sgpr34_sgpr35
                                        ; implicit-def: $sgpr0_sgpr1
                                        ; implicit-def: $sgpr38_sgpr39
	s_branch .LBB888_56
.LBB888_55:                             ;   in Loop: Header=BB888_56 Depth=1
	s_or_b64 exec, exec, s[42:43]
	s_and_b64 s[42:43], exec, s[34:35]
	s_or_b64 s[28:29], s[42:43], s[28:29]
	s_andn2_b64 s[38:39], s[38:39], exec
	s_and_b64 s[40:41], s[40:41], exec
	s_or_b64 s[38:39], s[38:39], s[40:41]
	s_andn2_b64 s[30:31], s[30:31], exec
	s_and_b64 s[40:41], s[0:1], exec
	s_or_b64 s[30:31], s[30:31], s[40:41]
	s_andn2_b64 exec, exec, s[28:29]
	s_cbranch_execz .LBB888_58
.LBB888_56:                             ; =>This Inner Loop Header: Depth=1
	global_load_dword v8, v[4:5], off
	global_load_dword v9, v[6:7], off
	s_andn2_b64 s[42:43], s[0:1], exec
	s_or_b64 s[34:35], s[34:35], exec
	s_waitcnt vmcnt(0)
	v_cmp_ngt_f32_e64 s[0:1], v8, v9
	v_cmp_lt_f32_e32 vcc, v8, v9
	s_and_b64 s[40:41], s[0:1], s[38:39]
	s_or_b64 s[40:41], vcc, s[40:41]
	s_xor_b64 s[44:45], vcc, s[0:1]
	s_and_b64 s[0:1], s[40:41], exec
	s_or_b64 s[0:1], s[42:43], s[0:1]
	s_and_saveexec_b64 s[42:43], s[44:45]
	s_cbranch_execz .LBB888_55
; %bb.57:                               ;   in Loop: Header=BB888_56 Depth=1
	s_add_u32 s36, s36, -1
	s_addc_u32 s37, s37, -1
	s_cmp_eq_u64 s[36:37], 0
	s_cselect_b64 s[38:39], -1, 0
	s_andn2_b64 s[34:35], s[34:35], exec
	s_and_b64 s[38:39], s[38:39], exec
	v_lshl_add_u64 v[4:5], v[4:5], 0, 4
	v_lshl_add_u64 v[6:7], v[6:7], 0, 4
	s_andn2_b64 s[0:1], s[0:1], exec
	s_or_b64 s[34:35], s[34:35], s[38:39]
                                        ; implicit-def: $sgpr38_sgpr39
	s_branch .LBB888_55
.LBB888_58:
	s_or_b64 exec, exec, s[28:29]
	s_xor_b64 s[0:1], s[30:31], -1
	s_andn2_b64 s[22:23], s[22:23], exec
	s_and_b64 s[0:1], s[0:1], exec
	s_or_b64 s[22:23], s[22:23], s[0:1]
.LBB888_59:
	s_or_b64 exec, exec, s[26:27]
	s_orn2_b64 s[22:23], s[22:23], exec
.LBB888_60:
	s_or_b64 exec, exec, s[24:25]
	v_mov_b32_e32 v5, s33
	v_mov_b32_e32 v6, s5
	v_cndmask_b32_e64 v4, v10, v11, s[22:23]
	v_cndmask_b32_e64 v5, v5, v6, s[22:23]
	v_add_u32_e32 v6, 1, v4
	v_add_u32_e32 v4, -1, v5
	v_min_u32_e32 v4, v6, v4
	v_lshlrev_b32_e32 v4, 3, v4
	ds_read_b64 v[4:5], v4
	v_cndmask_b32_e64 v12, v6, v10, s[22:23]
	v_cndmask_b32_e64 v13, v11, v6, s[22:23]
	v_cmp_gt_u32_e32 vcc, s33, v12
	s_mov_b64 s[26:27], -1
	s_waitcnt lgkmcnt(0)
	v_cndmask_b32_e64 v8, v5, v22, s[22:23]
	v_cndmask_b32_e64 v26, v4, v23, s[22:23]
	;; [unrolled: 1-line block ×4, first 2 shown]
	s_mov_b64 s[24:25], -1
	s_and_saveexec_b64 s[28:29], vcc
	s_cbranch_execz .LBB888_68
; %bb.61:
	v_cmp_gt_u32_e64 s[24:25], s5, v13
	s_xor_b64 s[0:1], s[18:19], -1
	s_and_b64 s[0:1], s[24:25], s[0:1]
	s_and_saveexec_b64 s[30:31], s[0:1]
	s_cbranch_execz .LBB888_67
; %bb.62:
	v_mul_lo_u32 v6, v8, s12
	v_mul_lo_u32 v7, v26, s13
	v_mad_u64_u32 v[4:5], s[0:1], v26, s12, 0
	v_add3_u32 v5, v5, v7, v6
	v_mul_lo_u32 v10, v9, s12
	v_mul_lo_u32 v11, v27, s13
	v_mad_u64_u32 v[6:7], s[0:1], v27, s12, 0
	v_add3_u32 v7, v7, v11, v10
	v_lshl_add_u64 v[4:5], v[4:5], 2, s[14:15]
	v_lshl_add_u64 v[6:7], v[6:7], 2, s[14:15]
	s_mov_b64 s[34:35], 0
	s_mov_b64 s[40:41], s[12:13]
                                        ; implicit-def: $sgpr36_sgpr37
                                        ; implicit-def: $sgpr38_sgpr39
                                        ; implicit-def: $sgpr0_sgpr1
                                        ; implicit-def: $sgpr42_sgpr43
	s_branch .LBB888_64
.LBB888_63:                             ;   in Loop: Header=BB888_64 Depth=1
	s_or_b64 exec, exec, s[46:47]
	s_and_b64 s[46:47], exec, s[38:39]
	s_or_b64 s[34:35], s[46:47], s[34:35]
	s_andn2_b64 s[42:43], s[42:43], exec
	s_and_b64 s[44:45], s[44:45], exec
	s_or_b64 s[42:43], s[42:43], s[44:45]
	s_andn2_b64 s[36:37], s[36:37], exec
	s_and_b64 s[44:45], s[0:1], exec
	s_or_b64 s[36:37], s[36:37], s[44:45]
	s_andn2_b64 exec, exec, s[34:35]
	s_cbranch_execz .LBB888_66
.LBB888_64:                             ; =>This Inner Loop Header: Depth=1
	global_load_dword v10, v[4:5], off
	global_load_dword v11, v[6:7], off
	s_andn2_b64 s[46:47], s[0:1], exec
	s_or_b64 s[38:39], s[38:39], exec
	s_waitcnt vmcnt(0)
	v_cmp_ngt_f32_e64 s[0:1], v10, v11
	v_cmp_lt_f32_e32 vcc, v10, v11
	s_and_b64 s[44:45], s[0:1], s[42:43]
	s_or_b64 s[44:45], vcc, s[44:45]
	s_xor_b64 s[48:49], vcc, s[0:1]
	s_and_b64 s[0:1], s[44:45], exec
	s_or_b64 s[0:1], s[46:47], s[0:1]
	s_and_saveexec_b64 s[46:47], s[48:49]
	s_cbranch_execz .LBB888_63
; %bb.65:                               ;   in Loop: Header=BB888_64 Depth=1
	s_add_u32 s40, s40, -1
	s_addc_u32 s41, s41, -1
	s_cmp_eq_u64 s[40:41], 0
	s_cselect_b64 s[42:43], -1, 0
	s_andn2_b64 s[38:39], s[38:39], exec
	s_and_b64 s[42:43], s[42:43], exec
	v_lshl_add_u64 v[4:5], v[4:5], 0, 4
	v_lshl_add_u64 v[6:7], v[6:7], 0, 4
	s_andn2_b64 s[0:1], s[0:1], exec
	s_or_b64 s[38:39], s[38:39], s[42:43]
                                        ; implicit-def: $sgpr42_sgpr43
	s_branch .LBB888_63
.LBB888_66:
	s_or_b64 exec, exec, s[34:35]
	s_xor_b64 s[0:1], s[36:37], -1
	s_andn2_b64 s[24:25], s[24:25], exec
	s_and_b64 s[0:1], s[0:1], exec
	s_or_b64 s[24:25], s[24:25], s[0:1]
.LBB888_67:
	s_or_b64 exec, exec, s[30:31]
	s_orn2_b64 s[24:25], s[24:25], exec
.LBB888_68:
	s_or_b64 exec, exec, s[28:29]
	v_mov_b32_e32 v5, s33
	v_mov_b32_e32 v6, s5
	v_cndmask_b32_e64 v4, v12, v13, s[24:25]
	v_cndmask_b32_e64 v5, v5, v6, s[24:25]
	v_add_u32_e32 v6, 1, v4
	v_add_u32_e32 v4, -1, v5
	v_min_u32_e32 v4, v6, v4
	v_lshlrev_b32_e32 v4, 3, v4
	ds_read_b64 v[4:5], v4
	v_cndmask_b32_e64 v14, v6, v12, s[24:25]
	v_cndmask_b32_e64 v15, v13, v6, s[24:25]
	v_cmp_gt_u32_e32 vcc, s33, v14
	s_waitcnt lgkmcnt(0)
	v_cndmask_b32_e64 v10, v5, v8, s[24:25]
	v_cndmask_b32_e64 v28, v4, v26, s[24:25]
	;; [unrolled: 1-line block ×4, first 2 shown]
	s_and_saveexec_b64 s[28:29], vcc
	s_cbranch_execz .LBB888_76
; %bb.69:
	v_cmp_gt_u32_e64 s[26:27], s5, v15
	s_xor_b64 s[0:1], s[18:19], -1
	s_and_b64 s[0:1], s[26:27], s[0:1]
	s_and_saveexec_b64 s[30:31], s[0:1]
	s_cbranch_execz .LBB888_75
; %bb.70:
	v_mul_lo_u32 v6, v10, s12
	v_mul_lo_u32 v7, v28, s13
	v_mad_u64_u32 v[4:5], s[0:1], v28, s12, 0
	v_add3_u32 v5, v5, v7, v6
	v_mul_lo_u32 v12, v11, s12
	v_mul_lo_u32 v13, v29, s13
	v_mad_u64_u32 v[6:7], s[0:1], v29, s12, 0
	v_add3_u32 v7, v7, v13, v12
	v_lshl_add_u64 v[4:5], v[4:5], 2, s[14:15]
	v_lshl_add_u64 v[6:7], v[6:7], 2, s[14:15]
	s_mov_b64 s[34:35], 0
	s_mov_b64 s[40:41], s[12:13]
                                        ; implicit-def: $sgpr36_sgpr37
                                        ; implicit-def: $sgpr38_sgpr39
                                        ; implicit-def: $sgpr0_sgpr1
                                        ; implicit-def: $sgpr42_sgpr43
	s_branch .LBB888_72
.LBB888_71:                             ;   in Loop: Header=BB888_72 Depth=1
	s_or_b64 exec, exec, s[46:47]
	s_and_b64 s[46:47], exec, s[38:39]
	s_or_b64 s[34:35], s[46:47], s[34:35]
	s_andn2_b64 s[42:43], s[42:43], exec
	s_and_b64 s[44:45], s[44:45], exec
	s_or_b64 s[42:43], s[42:43], s[44:45]
	s_andn2_b64 s[36:37], s[36:37], exec
	s_and_b64 s[44:45], s[0:1], exec
	s_or_b64 s[36:37], s[36:37], s[44:45]
	s_andn2_b64 exec, exec, s[34:35]
	s_cbranch_execz .LBB888_74
.LBB888_72:                             ; =>This Inner Loop Header: Depth=1
	global_load_dword v12, v[4:5], off
	global_load_dword v13, v[6:7], off
	s_andn2_b64 s[46:47], s[0:1], exec
	s_or_b64 s[38:39], s[38:39], exec
	s_waitcnt vmcnt(0)
	v_cmp_ngt_f32_e64 s[0:1], v12, v13
	v_cmp_lt_f32_e32 vcc, v12, v13
	s_and_b64 s[44:45], s[0:1], s[42:43]
	s_or_b64 s[44:45], vcc, s[44:45]
	s_xor_b64 s[48:49], vcc, s[0:1]
	s_and_b64 s[0:1], s[44:45], exec
	s_or_b64 s[0:1], s[46:47], s[0:1]
	s_and_saveexec_b64 s[46:47], s[48:49]
	s_cbranch_execz .LBB888_71
; %bb.73:                               ;   in Loop: Header=BB888_72 Depth=1
	s_add_u32 s40, s40, -1
	s_addc_u32 s41, s41, -1
	s_cmp_eq_u64 s[40:41], 0
	s_cselect_b64 s[42:43], -1, 0
	s_andn2_b64 s[38:39], s[38:39], exec
	s_and_b64 s[42:43], s[42:43], exec
	v_lshl_add_u64 v[4:5], v[4:5], 0, 4
	v_lshl_add_u64 v[6:7], v[6:7], 0, 4
	s_andn2_b64 s[0:1], s[0:1], exec
	s_or_b64 s[38:39], s[38:39], s[42:43]
                                        ; implicit-def: $sgpr42_sgpr43
	s_branch .LBB888_71
.LBB888_74:
	s_or_b64 exec, exec, s[34:35]
	s_xor_b64 s[0:1], s[36:37], -1
	s_andn2_b64 s[26:27], s[26:27], exec
	s_and_b64 s[0:1], s[0:1], exec
	s_or_b64 s[26:27], s[26:27], s[0:1]
.LBB888_75:
	s_or_b64 exec, exec, s[30:31]
	s_orn2_b64 s[26:27], s[26:27], exec
.LBB888_76:
	s_or_b64 exec, exec, s[28:29]
	v_mov_b32_e32 v5, s33
	v_mov_b32_e32 v6, s5
	v_cndmask_b32_e64 v4, v14, v15, s[26:27]
	v_cndmask_b32_e64 v5, v5, v6, s[26:27]
	v_add_u32_e32 v6, 1, v4
	v_add_u32_e32 v4, -1, v5
	v_min_u32_e32 v4, v6, v4
	v_lshlrev_b32_e32 v4, 3, v4
	ds_read_b64 v[4:5], v4
	v_cndmask_b32_e64 v34, v6, v14, s[26:27]
	v_cndmask_b32_e64 v35, v15, v6, s[26:27]
	v_cmp_gt_u32_e32 vcc, s33, v34
	s_mov_b64 s[30:31], -1
	s_waitcnt lgkmcnt(0)
	v_cndmask_b32_e64 v12, v5, v10, s[26:27]
	v_cndmask_b32_e64 v30, v4, v28, s[26:27]
	;; [unrolled: 1-line block ×4, first 2 shown]
	s_mov_b64 s[28:29], -1
	s_and_saveexec_b64 s[34:35], vcc
	s_cbranch_execz .LBB888_84
; %bb.77:
	v_cmp_gt_u32_e64 s[28:29], s5, v35
	s_xor_b64 s[0:1], s[18:19], -1
	s_and_b64 s[0:1], s[28:29], s[0:1]
	s_and_saveexec_b64 s[36:37], s[0:1]
	s_cbranch_execz .LBB888_83
; %bb.78:
	v_mul_lo_u32 v6, v12, s12
	v_mul_lo_u32 v7, v30, s13
	v_mad_u64_u32 v[4:5], s[0:1], v30, s12, 0
	v_add3_u32 v5, v5, v7, v6
	v_mul_lo_u32 v14, v13, s12
	v_mul_lo_u32 v15, v31, s13
	v_mad_u64_u32 v[6:7], s[0:1], v31, s12, 0
	v_add3_u32 v7, v7, v15, v14
	v_lshl_add_u64 v[4:5], v[4:5], 2, s[14:15]
	v_lshl_add_u64 v[6:7], v[6:7], 2, s[14:15]
	s_mov_b64 s[38:39], 0
	s_mov_b64 s[44:45], s[12:13]
                                        ; implicit-def: $sgpr40_sgpr41
                                        ; implicit-def: $sgpr42_sgpr43
                                        ; implicit-def: $sgpr0_sgpr1
                                        ; implicit-def: $sgpr46_sgpr47
	s_branch .LBB888_80
.LBB888_79:                             ;   in Loop: Header=BB888_80 Depth=1
	s_or_b64 exec, exec, s[50:51]
	s_and_b64 s[50:51], exec, s[42:43]
	s_or_b64 s[38:39], s[50:51], s[38:39]
	s_andn2_b64 s[46:47], s[46:47], exec
	s_and_b64 s[48:49], s[48:49], exec
	s_or_b64 s[46:47], s[46:47], s[48:49]
	s_andn2_b64 s[40:41], s[40:41], exec
	s_and_b64 s[48:49], s[0:1], exec
	s_or_b64 s[40:41], s[40:41], s[48:49]
	s_andn2_b64 exec, exec, s[38:39]
	s_cbranch_execz .LBB888_82
.LBB888_80:                             ; =>This Inner Loop Header: Depth=1
	global_load_dword v14, v[4:5], off
	global_load_dword v15, v[6:7], off
	s_andn2_b64 s[50:51], s[0:1], exec
	s_or_b64 s[42:43], s[42:43], exec
	s_waitcnt vmcnt(0)
	v_cmp_ngt_f32_e64 s[0:1], v14, v15
	v_cmp_lt_f32_e32 vcc, v14, v15
	s_and_b64 s[48:49], s[0:1], s[46:47]
	s_or_b64 s[48:49], vcc, s[48:49]
	s_xor_b64 s[52:53], vcc, s[0:1]
	s_and_b64 s[0:1], s[48:49], exec
	s_or_b64 s[0:1], s[50:51], s[0:1]
	s_and_saveexec_b64 s[50:51], s[52:53]
	s_cbranch_execz .LBB888_79
; %bb.81:                               ;   in Loop: Header=BB888_80 Depth=1
	s_add_u32 s44, s44, -1
	s_addc_u32 s45, s45, -1
	s_cmp_eq_u64 s[44:45], 0
	s_cselect_b64 s[46:47], -1, 0
	s_andn2_b64 s[42:43], s[42:43], exec
	s_and_b64 s[46:47], s[46:47], exec
	v_lshl_add_u64 v[4:5], v[4:5], 0, 4
	v_lshl_add_u64 v[6:7], v[6:7], 0, 4
	s_andn2_b64 s[0:1], s[0:1], exec
	s_or_b64 s[42:43], s[42:43], s[46:47]
                                        ; implicit-def: $sgpr46_sgpr47
	s_branch .LBB888_79
.LBB888_82:
	s_or_b64 exec, exec, s[38:39]
	s_xor_b64 s[0:1], s[40:41], -1
	s_andn2_b64 s[28:29], s[28:29], exec
	s_and_b64 s[0:1], s[0:1], exec
	s_or_b64 s[28:29], s[28:29], s[0:1]
.LBB888_83:
	s_or_b64 exec, exec, s[36:37]
	s_orn2_b64 s[28:29], s[28:29], exec
.LBB888_84:
	s_or_b64 exec, exec, s[34:35]
	v_mov_b32_e32 v5, s33
	v_mov_b32_e32 v6, s5
	v_cndmask_b32_e64 v4, v34, v35, s[28:29]
	v_cndmask_b32_e64 v5, v5, v6, s[28:29]
	v_add_u32_e32 v6, 1, v4
	v_add_u32_e32 v4, -1, v5
	v_min_u32_e32 v4, v6, v4
	v_lshlrev_b32_e32 v4, 3, v4
	ds_read_b64 v[4:5], v4
	v_cndmask_b32_e64 v39, v6, v34, s[28:29]
	v_cndmask_b32_e64 v38, v35, v6, s[28:29]
	v_cmp_gt_u32_e32 vcc, s33, v39
	s_waitcnt lgkmcnt(0)
	v_cndmask_b32_e64 v14, v5, v12, s[28:29]
	v_cndmask_b32_e64 v32, v4, v30, s[28:29]
	;; [unrolled: 1-line block ×4, first 2 shown]
	s_and_saveexec_b64 s[34:35], vcc
	s_cbranch_execz .LBB888_92
; %bb.85:
	v_cmp_gt_u32_e64 s[30:31], s5, v38
	s_xor_b64 s[0:1], s[18:19], -1
	s_and_b64 s[0:1], s[30:31], s[0:1]
	s_and_saveexec_b64 s[36:37], s[0:1]
	s_cbranch_execz .LBB888_91
; %bb.86:
	v_mul_lo_u32 v6, v14, s12
	v_mul_lo_u32 v7, v32, s13
	v_mad_u64_u32 v[4:5], s[0:1], v32, s12, 0
	v_add3_u32 v5, v5, v7, v6
	v_mul_lo_u32 v34, v15, s12
	v_mul_lo_u32 v35, v33, s13
	v_mad_u64_u32 v[6:7], s[0:1], v33, s12, 0
	v_add3_u32 v7, v7, v35, v34
	v_lshl_add_u64 v[4:5], v[4:5], 2, s[14:15]
	v_lshl_add_u64 v[6:7], v[6:7], 2, s[14:15]
	s_mov_b64 s[38:39], 0
	s_mov_b64 s[44:45], s[12:13]
                                        ; implicit-def: $sgpr40_sgpr41
                                        ; implicit-def: $sgpr42_sgpr43
                                        ; implicit-def: $sgpr0_sgpr1
                                        ; implicit-def: $sgpr46_sgpr47
	s_branch .LBB888_88
.LBB888_87:                             ;   in Loop: Header=BB888_88 Depth=1
	s_or_b64 exec, exec, s[50:51]
	s_and_b64 s[50:51], exec, s[42:43]
	s_or_b64 s[38:39], s[50:51], s[38:39]
	s_andn2_b64 s[46:47], s[46:47], exec
	s_and_b64 s[48:49], s[48:49], exec
	s_or_b64 s[46:47], s[46:47], s[48:49]
	s_andn2_b64 s[40:41], s[40:41], exec
	s_and_b64 s[48:49], s[0:1], exec
	s_or_b64 s[40:41], s[40:41], s[48:49]
	s_andn2_b64 exec, exec, s[38:39]
	s_cbranch_execz .LBB888_90
.LBB888_88:                             ; =>This Inner Loop Header: Depth=1
	global_load_dword v34, v[4:5], off
	global_load_dword v35, v[6:7], off
	s_andn2_b64 s[50:51], s[0:1], exec
	s_or_b64 s[42:43], s[42:43], exec
	s_waitcnt vmcnt(0)
	v_cmp_ngt_f32_e64 s[0:1], v34, v35
	v_cmp_lt_f32_e32 vcc, v34, v35
	s_and_b64 s[48:49], s[0:1], s[46:47]
	s_or_b64 s[48:49], vcc, s[48:49]
	s_xor_b64 s[52:53], vcc, s[0:1]
	s_and_b64 s[0:1], s[48:49], exec
	s_or_b64 s[0:1], s[50:51], s[0:1]
	s_and_saveexec_b64 s[50:51], s[52:53]
	s_cbranch_execz .LBB888_87
; %bb.89:                               ;   in Loop: Header=BB888_88 Depth=1
	s_add_u32 s44, s44, -1
	s_addc_u32 s45, s45, -1
	s_cmp_eq_u64 s[44:45], 0
	s_cselect_b64 s[46:47], -1, 0
	s_andn2_b64 s[42:43], s[42:43], exec
	s_and_b64 s[46:47], s[46:47], exec
	v_lshl_add_u64 v[4:5], v[4:5], 0, 4
	v_lshl_add_u64 v[6:7], v[6:7], 0, 4
	s_andn2_b64 s[0:1], s[0:1], exec
	s_or_b64 s[42:43], s[42:43], s[46:47]
                                        ; implicit-def: $sgpr46_sgpr47
	s_branch .LBB888_87
.LBB888_90:
	s_or_b64 exec, exec, s[38:39]
	s_xor_b64 s[0:1], s[40:41], -1
	s_andn2_b64 s[30:31], s[30:31], exec
	s_and_b64 s[0:1], s[0:1], exec
	s_or_b64 s[30:31], s[30:31], s[0:1]
.LBB888_91:
	s_or_b64 exec, exec, s[36:37]
	s_orn2_b64 s[30:31], s[30:31], exec
.LBB888_92:
	s_or_b64 exec, exec, s[34:35]
	v_mov_b32_e32 v5, s33
	v_mov_b32_e32 v6, s5
	v_cndmask_b32_e64 v4, v39, v38, s[30:31]
	v_cndmask_b32_e64 v5, v5, v6, s[30:31]
	v_add_u32_e32 v4, 1, v4
	v_add_u32_e32 v5, -1, v5
	v_min_u32_e32 v5, v4, v5
	v_lshlrev_b32_e32 v5, 3, v5
	ds_read_b64 v[6:7], v5
	v_cndmask_b32_e64 v5, v4, v39, s[30:31]
	v_cmp_gt_u32_e32 vcc, s33, v5
	s_mov_b64 s[0:1], -1
	s_waitcnt lgkmcnt(0)
	v_cndmask_b32_e64 v34, v7, v14, s[30:31]
	v_cndmask_b32_e64 v35, v6, v32, s[30:31]
	;; [unrolled: 1-line block ×4, first 2 shown]
	s_and_saveexec_b64 s[34:35], vcc
	s_cbranch_execz .LBB888_100
; %bb.93:
	v_cndmask_b32_e64 v4, v38, v4, s[30:31]
	v_cmp_gt_u32_e64 s[36:37], s5, v4
	s_xor_b64 s[0:1], s[18:19], -1
	s_and_b64 s[0:1], s[36:37], s[0:1]
	s_and_saveexec_b64 s[18:19], s[0:1]
	s_cbranch_execz .LBB888_99
; %bb.94:
	v_mul_lo_u32 v6, v34, s12
	v_mul_lo_u32 v7, v35, s13
	v_mad_u64_u32 v[4:5], s[0:1], v35, s12, 0
	v_add3_u32 v5, v5, v7, v6
	v_mul_lo_u32 v38, v36, s12
	v_mul_lo_u32 v39, v37, s13
	v_mad_u64_u32 v[6:7], s[0:1], v37, s12, 0
	v_add3_u32 v7, v7, v39, v38
	v_lshl_add_u64 v[4:5], v[4:5], 2, s[14:15]
	v_lshl_add_u64 v[6:7], v[6:7], 2, s[14:15]
	s_mov_b64 s[14:15], 0
                                        ; implicit-def: $sgpr38_sgpr39
                                        ; implicit-def: $sgpr40_sgpr41
                                        ; implicit-def: $sgpr0_sgpr1
                                        ; implicit-def: $sgpr42_sgpr43
	s_branch .LBB888_96
.LBB888_95:                             ;   in Loop: Header=BB888_96 Depth=1
	s_or_b64 exec, exec, s[46:47]
	s_and_b64 s[46:47], exec, s[40:41]
	s_or_b64 s[14:15], s[46:47], s[14:15]
	s_andn2_b64 s[42:43], s[42:43], exec
	s_and_b64 s[44:45], s[44:45], exec
	s_or_b64 s[42:43], s[42:43], s[44:45]
	s_andn2_b64 s[38:39], s[38:39], exec
	s_and_b64 s[44:45], s[0:1], exec
	s_or_b64 s[38:39], s[38:39], s[44:45]
	s_andn2_b64 exec, exec, s[14:15]
	s_cbranch_execz .LBB888_98
.LBB888_96:                             ; =>This Inner Loop Header: Depth=1
	global_load_dword v38, v[4:5], off
	global_load_dword v39, v[6:7], off
	s_andn2_b64 s[46:47], s[0:1], exec
	s_or_b64 s[40:41], s[40:41], exec
	s_waitcnt vmcnt(0)
	v_cmp_ngt_f32_e64 s[0:1], v38, v39
	v_cmp_lt_f32_e32 vcc, v38, v39
	s_and_b64 s[44:45], s[0:1], s[42:43]
	s_or_b64 s[44:45], vcc, s[44:45]
	s_xor_b64 s[48:49], vcc, s[0:1]
	s_and_b64 s[0:1], s[44:45], exec
	s_or_b64 s[0:1], s[46:47], s[0:1]
	s_and_saveexec_b64 s[46:47], s[48:49]
	s_cbranch_execz .LBB888_95
; %bb.97:                               ;   in Loop: Header=BB888_96 Depth=1
	s_add_u32 s12, s12, -1
	s_addc_u32 s13, s13, -1
	s_cmp_eq_u64 s[12:13], 0
	s_cselect_b64 s[42:43], -1, 0
	s_andn2_b64 s[40:41], s[40:41], exec
	s_and_b64 s[42:43], s[42:43], exec
	v_lshl_add_u64 v[4:5], v[4:5], 0, 4
	v_lshl_add_u64 v[6:7], v[6:7], 0, 4
	s_andn2_b64 s[0:1], s[0:1], exec
	s_or_b64 s[40:41], s[40:41], s[42:43]
                                        ; implicit-def: $sgpr42_sgpr43
	s_branch .LBB888_95
.LBB888_98:
	s_or_b64 exec, exec, s[14:15]
	s_xor_b64 s[0:1], s[38:39], -1
	s_andn2_b64 s[12:13], s[36:37], exec
	s_and_b64 s[0:1], s[0:1], exec
	s_or_b64 s[36:37], s[12:13], s[0:1]
.LBB888_99:
	s_or_b64 exec, exec, s[18:19]
	s_orn2_b64 s[0:1], s[36:37], exec
.LBB888_100:
	s_or_b64 exec, exec, s[34:35]
	v_cndmask_b32_e64 v15, v14, v15, s[30:31]
	v_cndmask_b32_e64 v14, v32, v33, s[30:31]
	;; [unrolled: 1-line block ×16, first 2 shown]
.LBB888_101:
	s_or_b64 exec, exec, s[8:9]
	v_lshrrev_b32_e32 v1, 2, v0
	v_lshlrev_b32_e32 v19, 3, v18
	v_lshl_add_u32 v19, v1, 3, v19
	v_and_b32_e32 v1, 24, v1
	v_or_b32_e32 v23, 0x80, v0
	v_add_u32_e32 v24, v1, v18
	v_lshrrev_b32_e32 v1, 2, v23
	v_and_b32_e32 v1, 56, v1
	v_or_b32_e32 v22, 0x100, v0
	s_barrier
	s_barrier
	ds_write2_b64 v19, v[2:3], v[4:5] offset1:1
	ds_write2_b64 v19, v[6:7], v[8:9] offset0:2 offset1:3
	ds_write2_b64 v19, v[10:11], v[12:13] offset0:4 offset1:5
	;; [unrolled: 1-line block ×3, first 2 shown]
	v_add_u32_e32 v4, v1, v18
	v_lshrrev_b32_e32 v1, 2, v22
	v_and_b32_e32 v1, 0x58, v1
	v_or_b32_e32 v21, 0x180, v0
	v_add_u32_e32 v5, v1, v18
	v_lshrrev_b32_e32 v1, 2, v21
	v_and_b32_e32 v1, 0x78, v1
	v_or_b32_e32 v20, 0x200, v0
	;; [unrolled: 4-line block ×4, first 2 shown]
	v_add_u32_e32 v25, v1, v18
	v_lshrrev_b32_e32 v1, 2, v16
	v_and_b32_e32 v1, 0xd8, v1
	s_lshl_b64 s[0:1], s[16:17], 3
	v_add_u32_e32 v26, v1, v18
	v_or_b32_e32 v1, 0x380, v0
	s_add_u32 s0, s10, s0
	v_lshrrev_b32_e32 v2, 2, v1
	s_addc_u32 s1, s11, s1
	v_and_b32_e32 v2, 0xf8, v2
	v_mov_b32_e32 v19, 0
	v_add_u32_e32 v27, v2, v18
	v_lshl_add_u64 v[2:3], s[0:1], 0, v[18:19]
	s_and_b64 vcc, exec, s[6:7]
	s_waitcnt lgkmcnt(0)
	s_cbranch_vccz .LBB888_103
; %bb.102:
	s_barrier
	ds_read_b64 v[8:9], v24
	ds_read_b64 v[10:11], v4 offset:1024
	ds_read_b64 v[12:13], v5 offset:2048
	;; [unrolled: 1-line block ×7, first 2 shown]
	s_waitcnt lgkmcnt(7)
	global_store_dwordx2 v[2:3], v[8:9], off
	s_waitcnt lgkmcnt(6)
	global_store_dwordx2 v[2:3], v[10:11], off offset:1024
	s_waitcnt lgkmcnt(5)
	global_store_dwordx2 v[2:3], v[12:13], off offset:2048
	s_waitcnt lgkmcnt(4)
	global_store_dwordx2 v[2:3], v[14:15], off offset:3072
	v_add_co_u32_e32 v8, vcc, 0x1000, v2
	s_nop 1
	v_addc_co_u32_e32 v9, vcc, 0, v3, vcc
	s_waitcnt lgkmcnt(3)
	global_store_dwordx2 v[8:9], v[28:29], off
	s_waitcnt lgkmcnt(2)
	global_store_dwordx2 v[8:9], v[30:31], off offset:1024
	s_waitcnt lgkmcnt(1)
	global_store_dwordx2 v[8:9], v[32:33], off offset:2048
	s_mov_b64 s[0:1], -1
	s_cbranch_execz .LBB888_104
	s_branch .LBB888_113
.LBB888_103:
	s_mov_b64 s[0:1], 0
                                        ; implicit-def: $vgpr18_vgpr19
.LBB888_104:
	s_barrier
	s_waitcnt lgkmcnt(0)
	ds_read_b64 v[14:15], v4 offset:1024
	ds_read_b64 v[12:13], v5 offset:2048
	;; [unrolled: 1-line block ×7, first 2 shown]
	s_sub_i32 s2, s4, s16
	v_cmp_gt_u32_e32 vcc, s2, v0
	s_and_saveexec_b64 s[0:1], vcc
	s_cbranch_execnz .LBB888_116
; %bb.105:
	s_or_b64 exec, exec, s[0:1]
	v_cmp_gt_u32_e32 vcc, s2, v23
	s_and_saveexec_b64 s[0:1], vcc
	s_cbranch_execnz .LBB888_117
.LBB888_106:
	s_or_b64 exec, exec, s[0:1]
	v_cmp_gt_u32_e32 vcc, s2, v22
	s_and_saveexec_b64 s[0:1], vcc
	s_cbranch_execnz .LBB888_118
.LBB888_107:
	s_or_b64 exec, exec, s[0:1]
	v_cmp_gt_u32_e32 vcc, s2, v21
	s_and_saveexec_b64 s[0:1], vcc
	s_cbranch_execnz .LBB888_119
.LBB888_108:
	s_or_b64 exec, exec, s[0:1]
	v_cmp_gt_u32_e32 vcc, s2, v20
	s_and_saveexec_b64 s[0:1], vcc
	s_cbranch_execnz .LBB888_120
.LBB888_109:
	s_or_b64 exec, exec, s[0:1]
	v_cmp_gt_u32_e32 vcc, s2, v17
	s_and_saveexec_b64 s[0:1], vcc
	s_cbranch_execnz .LBB888_121
.LBB888_110:
	s_or_b64 exec, exec, s[0:1]
	v_cmp_gt_u32_e32 vcc, s2, v16
	s_and_saveexec_b64 s[0:1], vcc
	s_cbranch_execz .LBB888_112
.LBB888_111:
	s_waitcnt lgkmcnt(2)
	v_add_co_u32_e32 v6, vcc, 0x1000, v2
	s_nop 1
	v_addc_co_u32_e32 v7, vcc, 0, v3, vcc
	s_waitcnt lgkmcnt(1)
	global_store_dwordx2 v[6:7], v[4:5], off offset:2048
.LBB888_112:
	s_or_b64 exec, exec, s[0:1]
	v_cmp_gt_u32_e64 s[0:1], s2, v1
.LBB888_113:
	s_and_saveexec_b64 s[2:3], s[0:1]
	s_cbranch_execz .LBB888_115
; %bb.114:
	v_add_co_u32_e32 v0, vcc, 0x1000, v2
	s_nop 1
	v_addc_co_u32_e32 v1, vcc, 0, v3, vcc
	s_waitcnt lgkmcnt(0)
	global_store_dwordx2 v[0:1], v[18:19], off offset:3072
.LBB888_115:
	s_endpgm
.LBB888_116:
	ds_read_b64 v[24:25], v24
	s_waitcnt lgkmcnt(0)
	global_store_dwordx2 v[2:3], v[24:25], off
	s_or_b64 exec, exec, s[0:1]
	v_cmp_gt_u32_e32 vcc, s2, v23
	s_and_saveexec_b64 s[0:1], vcc
	s_cbranch_execz .LBB888_106
.LBB888_117:
	s_waitcnt lgkmcnt(6)
	global_store_dwordx2 v[2:3], v[14:15], off offset:1024
	s_or_b64 exec, exec, s[0:1]
	v_cmp_gt_u32_e32 vcc, s2, v22
	s_and_saveexec_b64 s[0:1], vcc
	s_cbranch_execz .LBB888_107
.LBB888_118:
	s_waitcnt lgkmcnt(5)
	global_store_dwordx2 v[2:3], v[12:13], off offset:2048
	s_or_b64 exec, exec, s[0:1]
	v_cmp_gt_u32_e32 vcc, s2, v21
	s_and_saveexec_b64 s[0:1], vcc
	s_cbranch_execz .LBB888_108
.LBB888_119:
	s_waitcnt lgkmcnt(4)
	global_store_dwordx2 v[2:3], v[10:11], off offset:3072
	s_or_b64 exec, exec, s[0:1]
	v_cmp_gt_u32_e32 vcc, s2, v20
	s_and_saveexec_b64 s[0:1], vcc
	s_cbranch_execz .LBB888_109
.LBB888_120:
	s_waitcnt lgkmcnt(4)
	v_add_co_u32_e32 v10, vcc, 0x1000, v2
	s_nop 1
	v_addc_co_u32_e32 v11, vcc, 0, v3, vcc
	s_waitcnt lgkmcnt(3)
	global_store_dwordx2 v[10:11], v[8:9], off
	s_or_b64 exec, exec, s[0:1]
	v_cmp_gt_u32_e32 vcc, s2, v17
	s_and_saveexec_b64 s[0:1], vcc
	s_cbranch_execz .LBB888_110
.LBB888_121:
	s_waitcnt lgkmcnt(3)
	v_add_co_u32_e32 v8, vcc, 0x1000, v2
	s_nop 1
	v_addc_co_u32_e32 v9, vcc, 0, v3, vcc
	s_waitcnt lgkmcnt(2)
	global_store_dwordx2 v[8:9], v[6:7], off offset:1024
	s_or_b64 exec, exec, s[0:1]
	v_cmp_gt_u32_e32 vcc, s2, v16
	s_and_saveexec_b64 s[0:1], vcc
	s_cbranch_execnz .LBB888_111
	s_branch .LBB888_112
	.section	.rodata,"a",@progbits
	.p2align	6, 0x0
	.amdhsa_kernel _ZN7rocprim17ROCPRIM_400000_NS6detail17trampoline_kernelINS0_14default_configENS1_38merge_sort_block_merge_config_selectorIlNS0_10empty_typeEEEZZNS1_27merge_sort_block_merge_implIS3_PlPS5_mZN2at6native12_GLOBAL__N_124unique_dim_cuda_templateIfEESt5tupleIJNSA_6TensorESF_SF_EERKSF_lbbbEUlllE_EE10hipError_tT0_T1_T2_jT3_P12ihipStream_tbPNSt15iterator_traitsISL_E10value_typeEPNSR_ISM_E10value_typeEPSN_NS1_7vsmem_tEENKUlT_SL_SM_SN_E_clIS8_S8_S9_S9_EESK_S10_SL_SM_SN_EUlS10_E0_NS1_11comp_targetILNS1_3genE0ELNS1_11target_archE4294967295ELNS1_3gpuE0ELNS1_3repE0EEENS1_38merge_mergepath_config_static_selectorELNS0_4arch9wavefront6targetE1EEEvSM_
		.amdhsa_group_segment_fixed_size 8448
		.amdhsa_private_segment_fixed_size 0
		.amdhsa_kernarg_size 344
		.amdhsa_user_sgpr_count 2
		.amdhsa_user_sgpr_dispatch_ptr 0
		.amdhsa_user_sgpr_queue_ptr 0
		.amdhsa_user_sgpr_kernarg_segment_ptr 1
		.amdhsa_user_sgpr_dispatch_id 0
		.amdhsa_user_sgpr_kernarg_preload_length 0
		.amdhsa_user_sgpr_kernarg_preload_offset 0
		.amdhsa_user_sgpr_private_segment_size 0
		.amdhsa_uses_dynamic_stack 0
		.amdhsa_enable_private_segment 0
		.amdhsa_system_sgpr_workgroup_id_x 1
		.amdhsa_system_sgpr_workgroup_id_y 1
		.amdhsa_system_sgpr_workgroup_id_z 1
		.amdhsa_system_sgpr_workgroup_info 0
		.amdhsa_system_vgpr_workitem_id 0
		.amdhsa_next_free_vgpr 40
		.amdhsa_next_free_sgpr 54
		.amdhsa_accum_offset 40
		.amdhsa_reserve_vcc 1
		.amdhsa_float_round_mode_32 0
		.amdhsa_float_round_mode_16_64 0
		.amdhsa_float_denorm_mode_32 3
		.amdhsa_float_denorm_mode_16_64 3
		.amdhsa_dx10_clamp 1
		.amdhsa_ieee_mode 1
		.amdhsa_fp16_overflow 0
		.amdhsa_tg_split 0
		.amdhsa_exception_fp_ieee_invalid_op 0
		.amdhsa_exception_fp_denorm_src 0
		.amdhsa_exception_fp_ieee_div_zero 0
		.amdhsa_exception_fp_ieee_overflow 0
		.amdhsa_exception_fp_ieee_underflow 0
		.amdhsa_exception_fp_ieee_inexact 0
		.amdhsa_exception_int_div_zero 0
	.end_amdhsa_kernel
	.section	.text._ZN7rocprim17ROCPRIM_400000_NS6detail17trampoline_kernelINS0_14default_configENS1_38merge_sort_block_merge_config_selectorIlNS0_10empty_typeEEEZZNS1_27merge_sort_block_merge_implIS3_PlPS5_mZN2at6native12_GLOBAL__N_124unique_dim_cuda_templateIfEESt5tupleIJNSA_6TensorESF_SF_EERKSF_lbbbEUlllE_EE10hipError_tT0_T1_T2_jT3_P12ihipStream_tbPNSt15iterator_traitsISL_E10value_typeEPNSR_ISM_E10value_typeEPSN_NS1_7vsmem_tEENKUlT_SL_SM_SN_E_clIS8_S8_S9_S9_EESK_S10_SL_SM_SN_EUlS10_E0_NS1_11comp_targetILNS1_3genE0ELNS1_11target_archE4294967295ELNS1_3gpuE0ELNS1_3repE0EEENS1_38merge_mergepath_config_static_selectorELNS0_4arch9wavefront6targetE1EEEvSM_,"axG",@progbits,_ZN7rocprim17ROCPRIM_400000_NS6detail17trampoline_kernelINS0_14default_configENS1_38merge_sort_block_merge_config_selectorIlNS0_10empty_typeEEEZZNS1_27merge_sort_block_merge_implIS3_PlPS5_mZN2at6native12_GLOBAL__N_124unique_dim_cuda_templateIfEESt5tupleIJNSA_6TensorESF_SF_EERKSF_lbbbEUlllE_EE10hipError_tT0_T1_T2_jT3_P12ihipStream_tbPNSt15iterator_traitsISL_E10value_typeEPNSR_ISM_E10value_typeEPSN_NS1_7vsmem_tEENKUlT_SL_SM_SN_E_clIS8_S8_S9_S9_EESK_S10_SL_SM_SN_EUlS10_E0_NS1_11comp_targetILNS1_3genE0ELNS1_11target_archE4294967295ELNS1_3gpuE0ELNS1_3repE0EEENS1_38merge_mergepath_config_static_selectorELNS0_4arch9wavefront6targetE1EEEvSM_,comdat
.Lfunc_end888:
	.size	_ZN7rocprim17ROCPRIM_400000_NS6detail17trampoline_kernelINS0_14default_configENS1_38merge_sort_block_merge_config_selectorIlNS0_10empty_typeEEEZZNS1_27merge_sort_block_merge_implIS3_PlPS5_mZN2at6native12_GLOBAL__N_124unique_dim_cuda_templateIfEESt5tupleIJNSA_6TensorESF_SF_EERKSF_lbbbEUlllE_EE10hipError_tT0_T1_T2_jT3_P12ihipStream_tbPNSt15iterator_traitsISL_E10value_typeEPNSR_ISM_E10value_typeEPSN_NS1_7vsmem_tEENKUlT_SL_SM_SN_E_clIS8_S8_S9_S9_EESK_S10_SL_SM_SN_EUlS10_E0_NS1_11comp_targetILNS1_3genE0ELNS1_11target_archE4294967295ELNS1_3gpuE0ELNS1_3repE0EEENS1_38merge_mergepath_config_static_selectorELNS0_4arch9wavefront6targetE1EEEvSM_, .Lfunc_end888-_ZN7rocprim17ROCPRIM_400000_NS6detail17trampoline_kernelINS0_14default_configENS1_38merge_sort_block_merge_config_selectorIlNS0_10empty_typeEEEZZNS1_27merge_sort_block_merge_implIS3_PlPS5_mZN2at6native12_GLOBAL__N_124unique_dim_cuda_templateIfEESt5tupleIJNSA_6TensorESF_SF_EERKSF_lbbbEUlllE_EE10hipError_tT0_T1_T2_jT3_P12ihipStream_tbPNSt15iterator_traitsISL_E10value_typeEPNSR_ISM_E10value_typeEPSN_NS1_7vsmem_tEENKUlT_SL_SM_SN_E_clIS8_S8_S9_S9_EESK_S10_SL_SM_SN_EUlS10_E0_NS1_11comp_targetILNS1_3genE0ELNS1_11target_archE4294967295ELNS1_3gpuE0ELNS1_3repE0EEENS1_38merge_mergepath_config_static_selectorELNS0_4arch9wavefront6targetE1EEEvSM_
                                        ; -- End function
	.set _ZN7rocprim17ROCPRIM_400000_NS6detail17trampoline_kernelINS0_14default_configENS1_38merge_sort_block_merge_config_selectorIlNS0_10empty_typeEEEZZNS1_27merge_sort_block_merge_implIS3_PlPS5_mZN2at6native12_GLOBAL__N_124unique_dim_cuda_templateIfEESt5tupleIJNSA_6TensorESF_SF_EERKSF_lbbbEUlllE_EE10hipError_tT0_T1_T2_jT3_P12ihipStream_tbPNSt15iterator_traitsISL_E10value_typeEPNSR_ISM_E10value_typeEPSN_NS1_7vsmem_tEENKUlT_SL_SM_SN_E_clIS8_S8_S9_S9_EESK_S10_SL_SM_SN_EUlS10_E0_NS1_11comp_targetILNS1_3genE0ELNS1_11target_archE4294967295ELNS1_3gpuE0ELNS1_3repE0EEENS1_38merge_mergepath_config_static_selectorELNS0_4arch9wavefront6targetE1EEEvSM_.num_vgpr, 40
	.set _ZN7rocprim17ROCPRIM_400000_NS6detail17trampoline_kernelINS0_14default_configENS1_38merge_sort_block_merge_config_selectorIlNS0_10empty_typeEEEZZNS1_27merge_sort_block_merge_implIS3_PlPS5_mZN2at6native12_GLOBAL__N_124unique_dim_cuda_templateIfEESt5tupleIJNSA_6TensorESF_SF_EERKSF_lbbbEUlllE_EE10hipError_tT0_T1_T2_jT3_P12ihipStream_tbPNSt15iterator_traitsISL_E10value_typeEPNSR_ISM_E10value_typeEPSN_NS1_7vsmem_tEENKUlT_SL_SM_SN_E_clIS8_S8_S9_S9_EESK_S10_SL_SM_SN_EUlS10_E0_NS1_11comp_targetILNS1_3genE0ELNS1_11target_archE4294967295ELNS1_3gpuE0ELNS1_3repE0EEENS1_38merge_mergepath_config_static_selectorELNS0_4arch9wavefront6targetE1EEEvSM_.num_agpr, 0
	.set _ZN7rocprim17ROCPRIM_400000_NS6detail17trampoline_kernelINS0_14default_configENS1_38merge_sort_block_merge_config_selectorIlNS0_10empty_typeEEEZZNS1_27merge_sort_block_merge_implIS3_PlPS5_mZN2at6native12_GLOBAL__N_124unique_dim_cuda_templateIfEESt5tupleIJNSA_6TensorESF_SF_EERKSF_lbbbEUlllE_EE10hipError_tT0_T1_T2_jT3_P12ihipStream_tbPNSt15iterator_traitsISL_E10value_typeEPNSR_ISM_E10value_typeEPSN_NS1_7vsmem_tEENKUlT_SL_SM_SN_E_clIS8_S8_S9_S9_EESK_S10_SL_SM_SN_EUlS10_E0_NS1_11comp_targetILNS1_3genE0ELNS1_11target_archE4294967295ELNS1_3gpuE0ELNS1_3repE0EEENS1_38merge_mergepath_config_static_selectorELNS0_4arch9wavefront6targetE1EEEvSM_.numbered_sgpr, 54
	.set _ZN7rocprim17ROCPRIM_400000_NS6detail17trampoline_kernelINS0_14default_configENS1_38merge_sort_block_merge_config_selectorIlNS0_10empty_typeEEEZZNS1_27merge_sort_block_merge_implIS3_PlPS5_mZN2at6native12_GLOBAL__N_124unique_dim_cuda_templateIfEESt5tupleIJNSA_6TensorESF_SF_EERKSF_lbbbEUlllE_EE10hipError_tT0_T1_T2_jT3_P12ihipStream_tbPNSt15iterator_traitsISL_E10value_typeEPNSR_ISM_E10value_typeEPSN_NS1_7vsmem_tEENKUlT_SL_SM_SN_E_clIS8_S8_S9_S9_EESK_S10_SL_SM_SN_EUlS10_E0_NS1_11comp_targetILNS1_3genE0ELNS1_11target_archE4294967295ELNS1_3gpuE0ELNS1_3repE0EEENS1_38merge_mergepath_config_static_selectorELNS0_4arch9wavefront6targetE1EEEvSM_.num_named_barrier, 0
	.set _ZN7rocprim17ROCPRIM_400000_NS6detail17trampoline_kernelINS0_14default_configENS1_38merge_sort_block_merge_config_selectorIlNS0_10empty_typeEEEZZNS1_27merge_sort_block_merge_implIS3_PlPS5_mZN2at6native12_GLOBAL__N_124unique_dim_cuda_templateIfEESt5tupleIJNSA_6TensorESF_SF_EERKSF_lbbbEUlllE_EE10hipError_tT0_T1_T2_jT3_P12ihipStream_tbPNSt15iterator_traitsISL_E10value_typeEPNSR_ISM_E10value_typeEPSN_NS1_7vsmem_tEENKUlT_SL_SM_SN_E_clIS8_S8_S9_S9_EESK_S10_SL_SM_SN_EUlS10_E0_NS1_11comp_targetILNS1_3genE0ELNS1_11target_archE4294967295ELNS1_3gpuE0ELNS1_3repE0EEENS1_38merge_mergepath_config_static_selectorELNS0_4arch9wavefront6targetE1EEEvSM_.private_seg_size, 0
	.set _ZN7rocprim17ROCPRIM_400000_NS6detail17trampoline_kernelINS0_14default_configENS1_38merge_sort_block_merge_config_selectorIlNS0_10empty_typeEEEZZNS1_27merge_sort_block_merge_implIS3_PlPS5_mZN2at6native12_GLOBAL__N_124unique_dim_cuda_templateIfEESt5tupleIJNSA_6TensorESF_SF_EERKSF_lbbbEUlllE_EE10hipError_tT0_T1_T2_jT3_P12ihipStream_tbPNSt15iterator_traitsISL_E10value_typeEPNSR_ISM_E10value_typeEPSN_NS1_7vsmem_tEENKUlT_SL_SM_SN_E_clIS8_S8_S9_S9_EESK_S10_SL_SM_SN_EUlS10_E0_NS1_11comp_targetILNS1_3genE0ELNS1_11target_archE4294967295ELNS1_3gpuE0ELNS1_3repE0EEENS1_38merge_mergepath_config_static_selectorELNS0_4arch9wavefront6targetE1EEEvSM_.uses_vcc, 1
	.set _ZN7rocprim17ROCPRIM_400000_NS6detail17trampoline_kernelINS0_14default_configENS1_38merge_sort_block_merge_config_selectorIlNS0_10empty_typeEEEZZNS1_27merge_sort_block_merge_implIS3_PlPS5_mZN2at6native12_GLOBAL__N_124unique_dim_cuda_templateIfEESt5tupleIJNSA_6TensorESF_SF_EERKSF_lbbbEUlllE_EE10hipError_tT0_T1_T2_jT3_P12ihipStream_tbPNSt15iterator_traitsISL_E10value_typeEPNSR_ISM_E10value_typeEPSN_NS1_7vsmem_tEENKUlT_SL_SM_SN_E_clIS8_S8_S9_S9_EESK_S10_SL_SM_SN_EUlS10_E0_NS1_11comp_targetILNS1_3genE0ELNS1_11target_archE4294967295ELNS1_3gpuE0ELNS1_3repE0EEENS1_38merge_mergepath_config_static_selectorELNS0_4arch9wavefront6targetE1EEEvSM_.uses_flat_scratch, 0
	.set _ZN7rocprim17ROCPRIM_400000_NS6detail17trampoline_kernelINS0_14default_configENS1_38merge_sort_block_merge_config_selectorIlNS0_10empty_typeEEEZZNS1_27merge_sort_block_merge_implIS3_PlPS5_mZN2at6native12_GLOBAL__N_124unique_dim_cuda_templateIfEESt5tupleIJNSA_6TensorESF_SF_EERKSF_lbbbEUlllE_EE10hipError_tT0_T1_T2_jT3_P12ihipStream_tbPNSt15iterator_traitsISL_E10value_typeEPNSR_ISM_E10value_typeEPSN_NS1_7vsmem_tEENKUlT_SL_SM_SN_E_clIS8_S8_S9_S9_EESK_S10_SL_SM_SN_EUlS10_E0_NS1_11comp_targetILNS1_3genE0ELNS1_11target_archE4294967295ELNS1_3gpuE0ELNS1_3repE0EEENS1_38merge_mergepath_config_static_selectorELNS0_4arch9wavefront6targetE1EEEvSM_.has_dyn_sized_stack, 0
	.set _ZN7rocprim17ROCPRIM_400000_NS6detail17trampoline_kernelINS0_14default_configENS1_38merge_sort_block_merge_config_selectorIlNS0_10empty_typeEEEZZNS1_27merge_sort_block_merge_implIS3_PlPS5_mZN2at6native12_GLOBAL__N_124unique_dim_cuda_templateIfEESt5tupleIJNSA_6TensorESF_SF_EERKSF_lbbbEUlllE_EE10hipError_tT0_T1_T2_jT3_P12ihipStream_tbPNSt15iterator_traitsISL_E10value_typeEPNSR_ISM_E10value_typeEPSN_NS1_7vsmem_tEENKUlT_SL_SM_SN_E_clIS8_S8_S9_S9_EESK_S10_SL_SM_SN_EUlS10_E0_NS1_11comp_targetILNS1_3genE0ELNS1_11target_archE4294967295ELNS1_3gpuE0ELNS1_3repE0EEENS1_38merge_mergepath_config_static_selectorELNS0_4arch9wavefront6targetE1EEEvSM_.has_recursion, 0
	.set _ZN7rocprim17ROCPRIM_400000_NS6detail17trampoline_kernelINS0_14default_configENS1_38merge_sort_block_merge_config_selectorIlNS0_10empty_typeEEEZZNS1_27merge_sort_block_merge_implIS3_PlPS5_mZN2at6native12_GLOBAL__N_124unique_dim_cuda_templateIfEESt5tupleIJNSA_6TensorESF_SF_EERKSF_lbbbEUlllE_EE10hipError_tT0_T1_T2_jT3_P12ihipStream_tbPNSt15iterator_traitsISL_E10value_typeEPNSR_ISM_E10value_typeEPSN_NS1_7vsmem_tEENKUlT_SL_SM_SN_E_clIS8_S8_S9_S9_EESK_S10_SL_SM_SN_EUlS10_E0_NS1_11comp_targetILNS1_3genE0ELNS1_11target_archE4294967295ELNS1_3gpuE0ELNS1_3repE0EEENS1_38merge_mergepath_config_static_selectorELNS0_4arch9wavefront6targetE1EEEvSM_.has_indirect_call, 0
	.section	.AMDGPU.csdata,"",@progbits
; Kernel info:
; codeLenInByte = 6476
; TotalNumSgprs: 60
; NumVgprs: 40
; NumAgprs: 0
; TotalNumVgprs: 40
; ScratchSize: 0
; MemoryBound: 0
; FloatMode: 240
; IeeeMode: 1
; LDSByteSize: 8448 bytes/workgroup (compile time only)
; SGPRBlocks: 7
; VGPRBlocks: 4
; NumSGPRsForWavesPerEU: 60
; NumVGPRsForWavesPerEU: 40
; AccumOffset: 40
; Occupancy: 8
; WaveLimiterHint : 1
; COMPUTE_PGM_RSRC2:SCRATCH_EN: 0
; COMPUTE_PGM_RSRC2:USER_SGPR: 2
; COMPUTE_PGM_RSRC2:TRAP_HANDLER: 0
; COMPUTE_PGM_RSRC2:TGID_X_EN: 1
; COMPUTE_PGM_RSRC2:TGID_Y_EN: 1
; COMPUTE_PGM_RSRC2:TGID_Z_EN: 1
; COMPUTE_PGM_RSRC2:TIDIG_COMP_CNT: 0
; COMPUTE_PGM_RSRC3_GFX90A:ACCUM_OFFSET: 9
; COMPUTE_PGM_RSRC3_GFX90A:TG_SPLIT: 0
	.section	.text._ZN7rocprim17ROCPRIM_400000_NS6detail17trampoline_kernelINS0_14default_configENS1_38merge_sort_block_merge_config_selectorIlNS0_10empty_typeEEEZZNS1_27merge_sort_block_merge_implIS3_PlPS5_mZN2at6native12_GLOBAL__N_124unique_dim_cuda_templateIfEESt5tupleIJNSA_6TensorESF_SF_EERKSF_lbbbEUlllE_EE10hipError_tT0_T1_T2_jT3_P12ihipStream_tbPNSt15iterator_traitsISL_E10value_typeEPNSR_ISM_E10value_typeEPSN_NS1_7vsmem_tEENKUlT_SL_SM_SN_E_clIS8_S8_S9_S9_EESK_S10_SL_SM_SN_EUlS10_E0_NS1_11comp_targetILNS1_3genE10ELNS1_11target_archE1201ELNS1_3gpuE5ELNS1_3repE0EEENS1_38merge_mergepath_config_static_selectorELNS0_4arch9wavefront6targetE1EEEvSM_,"axG",@progbits,_ZN7rocprim17ROCPRIM_400000_NS6detail17trampoline_kernelINS0_14default_configENS1_38merge_sort_block_merge_config_selectorIlNS0_10empty_typeEEEZZNS1_27merge_sort_block_merge_implIS3_PlPS5_mZN2at6native12_GLOBAL__N_124unique_dim_cuda_templateIfEESt5tupleIJNSA_6TensorESF_SF_EERKSF_lbbbEUlllE_EE10hipError_tT0_T1_T2_jT3_P12ihipStream_tbPNSt15iterator_traitsISL_E10value_typeEPNSR_ISM_E10value_typeEPSN_NS1_7vsmem_tEENKUlT_SL_SM_SN_E_clIS8_S8_S9_S9_EESK_S10_SL_SM_SN_EUlS10_E0_NS1_11comp_targetILNS1_3genE10ELNS1_11target_archE1201ELNS1_3gpuE5ELNS1_3repE0EEENS1_38merge_mergepath_config_static_selectorELNS0_4arch9wavefront6targetE1EEEvSM_,comdat
	.globl	_ZN7rocprim17ROCPRIM_400000_NS6detail17trampoline_kernelINS0_14default_configENS1_38merge_sort_block_merge_config_selectorIlNS0_10empty_typeEEEZZNS1_27merge_sort_block_merge_implIS3_PlPS5_mZN2at6native12_GLOBAL__N_124unique_dim_cuda_templateIfEESt5tupleIJNSA_6TensorESF_SF_EERKSF_lbbbEUlllE_EE10hipError_tT0_T1_T2_jT3_P12ihipStream_tbPNSt15iterator_traitsISL_E10value_typeEPNSR_ISM_E10value_typeEPSN_NS1_7vsmem_tEENKUlT_SL_SM_SN_E_clIS8_S8_S9_S9_EESK_S10_SL_SM_SN_EUlS10_E0_NS1_11comp_targetILNS1_3genE10ELNS1_11target_archE1201ELNS1_3gpuE5ELNS1_3repE0EEENS1_38merge_mergepath_config_static_selectorELNS0_4arch9wavefront6targetE1EEEvSM_ ; -- Begin function _ZN7rocprim17ROCPRIM_400000_NS6detail17trampoline_kernelINS0_14default_configENS1_38merge_sort_block_merge_config_selectorIlNS0_10empty_typeEEEZZNS1_27merge_sort_block_merge_implIS3_PlPS5_mZN2at6native12_GLOBAL__N_124unique_dim_cuda_templateIfEESt5tupleIJNSA_6TensorESF_SF_EERKSF_lbbbEUlllE_EE10hipError_tT0_T1_T2_jT3_P12ihipStream_tbPNSt15iterator_traitsISL_E10value_typeEPNSR_ISM_E10value_typeEPSN_NS1_7vsmem_tEENKUlT_SL_SM_SN_E_clIS8_S8_S9_S9_EESK_S10_SL_SM_SN_EUlS10_E0_NS1_11comp_targetILNS1_3genE10ELNS1_11target_archE1201ELNS1_3gpuE5ELNS1_3repE0EEENS1_38merge_mergepath_config_static_selectorELNS0_4arch9wavefront6targetE1EEEvSM_
	.p2align	8
	.type	_ZN7rocprim17ROCPRIM_400000_NS6detail17trampoline_kernelINS0_14default_configENS1_38merge_sort_block_merge_config_selectorIlNS0_10empty_typeEEEZZNS1_27merge_sort_block_merge_implIS3_PlPS5_mZN2at6native12_GLOBAL__N_124unique_dim_cuda_templateIfEESt5tupleIJNSA_6TensorESF_SF_EERKSF_lbbbEUlllE_EE10hipError_tT0_T1_T2_jT3_P12ihipStream_tbPNSt15iterator_traitsISL_E10value_typeEPNSR_ISM_E10value_typeEPSN_NS1_7vsmem_tEENKUlT_SL_SM_SN_E_clIS8_S8_S9_S9_EESK_S10_SL_SM_SN_EUlS10_E0_NS1_11comp_targetILNS1_3genE10ELNS1_11target_archE1201ELNS1_3gpuE5ELNS1_3repE0EEENS1_38merge_mergepath_config_static_selectorELNS0_4arch9wavefront6targetE1EEEvSM_,@function
_ZN7rocprim17ROCPRIM_400000_NS6detail17trampoline_kernelINS0_14default_configENS1_38merge_sort_block_merge_config_selectorIlNS0_10empty_typeEEEZZNS1_27merge_sort_block_merge_implIS3_PlPS5_mZN2at6native12_GLOBAL__N_124unique_dim_cuda_templateIfEESt5tupleIJNSA_6TensorESF_SF_EERKSF_lbbbEUlllE_EE10hipError_tT0_T1_T2_jT3_P12ihipStream_tbPNSt15iterator_traitsISL_E10value_typeEPNSR_ISM_E10value_typeEPSN_NS1_7vsmem_tEENKUlT_SL_SM_SN_E_clIS8_S8_S9_S9_EESK_S10_SL_SM_SN_EUlS10_E0_NS1_11comp_targetILNS1_3genE10ELNS1_11target_archE1201ELNS1_3gpuE5ELNS1_3repE0EEENS1_38merge_mergepath_config_static_selectorELNS0_4arch9wavefront6targetE1EEEvSM_: ; @_ZN7rocprim17ROCPRIM_400000_NS6detail17trampoline_kernelINS0_14default_configENS1_38merge_sort_block_merge_config_selectorIlNS0_10empty_typeEEEZZNS1_27merge_sort_block_merge_implIS3_PlPS5_mZN2at6native12_GLOBAL__N_124unique_dim_cuda_templateIfEESt5tupleIJNSA_6TensorESF_SF_EERKSF_lbbbEUlllE_EE10hipError_tT0_T1_T2_jT3_P12ihipStream_tbPNSt15iterator_traitsISL_E10value_typeEPNSR_ISM_E10value_typeEPSN_NS1_7vsmem_tEENKUlT_SL_SM_SN_E_clIS8_S8_S9_S9_EESK_S10_SL_SM_SN_EUlS10_E0_NS1_11comp_targetILNS1_3genE10ELNS1_11target_archE1201ELNS1_3gpuE5ELNS1_3repE0EEENS1_38merge_mergepath_config_static_selectorELNS0_4arch9wavefront6targetE1EEEvSM_
; %bb.0:
	.section	.rodata,"a",@progbits
	.p2align	6, 0x0
	.amdhsa_kernel _ZN7rocprim17ROCPRIM_400000_NS6detail17trampoline_kernelINS0_14default_configENS1_38merge_sort_block_merge_config_selectorIlNS0_10empty_typeEEEZZNS1_27merge_sort_block_merge_implIS3_PlPS5_mZN2at6native12_GLOBAL__N_124unique_dim_cuda_templateIfEESt5tupleIJNSA_6TensorESF_SF_EERKSF_lbbbEUlllE_EE10hipError_tT0_T1_T2_jT3_P12ihipStream_tbPNSt15iterator_traitsISL_E10value_typeEPNSR_ISM_E10value_typeEPSN_NS1_7vsmem_tEENKUlT_SL_SM_SN_E_clIS8_S8_S9_S9_EESK_S10_SL_SM_SN_EUlS10_E0_NS1_11comp_targetILNS1_3genE10ELNS1_11target_archE1201ELNS1_3gpuE5ELNS1_3repE0EEENS1_38merge_mergepath_config_static_selectorELNS0_4arch9wavefront6targetE1EEEvSM_
		.amdhsa_group_segment_fixed_size 0
		.amdhsa_private_segment_fixed_size 0
		.amdhsa_kernarg_size 88
		.amdhsa_user_sgpr_count 2
		.amdhsa_user_sgpr_dispatch_ptr 0
		.amdhsa_user_sgpr_queue_ptr 0
		.amdhsa_user_sgpr_kernarg_segment_ptr 1
		.amdhsa_user_sgpr_dispatch_id 0
		.amdhsa_user_sgpr_kernarg_preload_length 0
		.amdhsa_user_sgpr_kernarg_preload_offset 0
		.amdhsa_user_sgpr_private_segment_size 0
		.amdhsa_uses_dynamic_stack 0
		.amdhsa_enable_private_segment 0
		.amdhsa_system_sgpr_workgroup_id_x 1
		.amdhsa_system_sgpr_workgroup_id_y 0
		.amdhsa_system_sgpr_workgroup_id_z 0
		.amdhsa_system_sgpr_workgroup_info 0
		.amdhsa_system_vgpr_workitem_id 0
		.amdhsa_next_free_vgpr 1
		.amdhsa_next_free_sgpr 0
		.amdhsa_accum_offset 4
		.amdhsa_reserve_vcc 0
		.amdhsa_float_round_mode_32 0
		.amdhsa_float_round_mode_16_64 0
		.amdhsa_float_denorm_mode_32 3
		.amdhsa_float_denorm_mode_16_64 3
		.amdhsa_dx10_clamp 1
		.amdhsa_ieee_mode 1
		.amdhsa_fp16_overflow 0
		.amdhsa_tg_split 0
		.amdhsa_exception_fp_ieee_invalid_op 0
		.amdhsa_exception_fp_denorm_src 0
		.amdhsa_exception_fp_ieee_div_zero 0
		.amdhsa_exception_fp_ieee_overflow 0
		.amdhsa_exception_fp_ieee_underflow 0
		.amdhsa_exception_fp_ieee_inexact 0
		.amdhsa_exception_int_div_zero 0
	.end_amdhsa_kernel
	.section	.text._ZN7rocprim17ROCPRIM_400000_NS6detail17trampoline_kernelINS0_14default_configENS1_38merge_sort_block_merge_config_selectorIlNS0_10empty_typeEEEZZNS1_27merge_sort_block_merge_implIS3_PlPS5_mZN2at6native12_GLOBAL__N_124unique_dim_cuda_templateIfEESt5tupleIJNSA_6TensorESF_SF_EERKSF_lbbbEUlllE_EE10hipError_tT0_T1_T2_jT3_P12ihipStream_tbPNSt15iterator_traitsISL_E10value_typeEPNSR_ISM_E10value_typeEPSN_NS1_7vsmem_tEENKUlT_SL_SM_SN_E_clIS8_S8_S9_S9_EESK_S10_SL_SM_SN_EUlS10_E0_NS1_11comp_targetILNS1_3genE10ELNS1_11target_archE1201ELNS1_3gpuE5ELNS1_3repE0EEENS1_38merge_mergepath_config_static_selectorELNS0_4arch9wavefront6targetE1EEEvSM_,"axG",@progbits,_ZN7rocprim17ROCPRIM_400000_NS6detail17trampoline_kernelINS0_14default_configENS1_38merge_sort_block_merge_config_selectorIlNS0_10empty_typeEEEZZNS1_27merge_sort_block_merge_implIS3_PlPS5_mZN2at6native12_GLOBAL__N_124unique_dim_cuda_templateIfEESt5tupleIJNSA_6TensorESF_SF_EERKSF_lbbbEUlllE_EE10hipError_tT0_T1_T2_jT3_P12ihipStream_tbPNSt15iterator_traitsISL_E10value_typeEPNSR_ISM_E10value_typeEPSN_NS1_7vsmem_tEENKUlT_SL_SM_SN_E_clIS8_S8_S9_S9_EESK_S10_SL_SM_SN_EUlS10_E0_NS1_11comp_targetILNS1_3genE10ELNS1_11target_archE1201ELNS1_3gpuE5ELNS1_3repE0EEENS1_38merge_mergepath_config_static_selectorELNS0_4arch9wavefront6targetE1EEEvSM_,comdat
.Lfunc_end889:
	.size	_ZN7rocprim17ROCPRIM_400000_NS6detail17trampoline_kernelINS0_14default_configENS1_38merge_sort_block_merge_config_selectorIlNS0_10empty_typeEEEZZNS1_27merge_sort_block_merge_implIS3_PlPS5_mZN2at6native12_GLOBAL__N_124unique_dim_cuda_templateIfEESt5tupleIJNSA_6TensorESF_SF_EERKSF_lbbbEUlllE_EE10hipError_tT0_T1_T2_jT3_P12ihipStream_tbPNSt15iterator_traitsISL_E10value_typeEPNSR_ISM_E10value_typeEPSN_NS1_7vsmem_tEENKUlT_SL_SM_SN_E_clIS8_S8_S9_S9_EESK_S10_SL_SM_SN_EUlS10_E0_NS1_11comp_targetILNS1_3genE10ELNS1_11target_archE1201ELNS1_3gpuE5ELNS1_3repE0EEENS1_38merge_mergepath_config_static_selectorELNS0_4arch9wavefront6targetE1EEEvSM_, .Lfunc_end889-_ZN7rocprim17ROCPRIM_400000_NS6detail17trampoline_kernelINS0_14default_configENS1_38merge_sort_block_merge_config_selectorIlNS0_10empty_typeEEEZZNS1_27merge_sort_block_merge_implIS3_PlPS5_mZN2at6native12_GLOBAL__N_124unique_dim_cuda_templateIfEESt5tupleIJNSA_6TensorESF_SF_EERKSF_lbbbEUlllE_EE10hipError_tT0_T1_T2_jT3_P12ihipStream_tbPNSt15iterator_traitsISL_E10value_typeEPNSR_ISM_E10value_typeEPSN_NS1_7vsmem_tEENKUlT_SL_SM_SN_E_clIS8_S8_S9_S9_EESK_S10_SL_SM_SN_EUlS10_E0_NS1_11comp_targetILNS1_3genE10ELNS1_11target_archE1201ELNS1_3gpuE5ELNS1_3repE0EEENS1_38merge_mergepath_config_static_selectorELNS0_4arch9wavefront6targetE1EEEvSM_
                                        ; -- End function
	.set _ZN7rocprim17ROCPRIM_400000_NS6detail17trampoline_kernelINS0_14default_configENS1_38merge_sort_block_merge_config_selectorIlNS0_10empty_typeEEEZZNS1_27merge_sort_block_merge_implIS3_PlPS5_mZN2at6native12_GLOBAL__N_124unique_dim_cuda_templateIfEESt5tupleIJNSA_6TensorESF_SF_EERKSF_lbbbEUlllE_EE10hipError_tT0_T1_T2_jT3_P12ihipStream_tbPNSt15iterator_traitsISL_E10value_typeEPNSR_ISM_E10value_typeEPSN_NS1_7vsmem_tEENKUlT_SL_SM_SN_E_clIS8_S8_S9_S9_EESK_S10_SL_SM_SN_EUlS10_E0_NS1_11comp_targetILNS1_3genE10ELNS1_11target_archE1201ELNS1_3gpuE5ELNS1_3repE0EEENS1_38merge_mergepath_config_static_selectorELNS0_4arch9wavefront6targetE1EEEvSM_.num_vgpr, 0
	.set _ZN7rocprim17ROCPRIM_400000_NS6detail17trampoline_kernelINS0_14default_configENS1_38merge_sort_block_merge_config_selectorIlNS0_10empty_typeEEEZZNS1_27merge_sort_block_merge_implIS3_PlPS5_mZN2at6native12_GLOBAL__N_124unique_dim_cuda_templateIfEESt5tupleIJNSA_6TensorESF_SF_EERKSF_lbbbEUlllE_EE10hipError_tT0_T1_T2_jT3_P12ihipStream_tbPNSt15iterator_traitsISL_E10value_typeEPNSR_ISM_E10value_typeEPSN_NS1_7vsmem_tEENKUlT_SL_SM_SN_E_clIS8_S8_S9_S9_EESK_S10_SL_SM_SN_EUlS10_E0_NS1_11comp_targetILNS1_3genE10ELNS1_11target_archE1201ELNS1_3gpuE5ELNS1_3repE0EEENS1_38merge_mergepath_config_static_selectorELNS0_4arch9wavefront6targetE1EEEvSM_.num_agpr, 0
	.set _ZN7rocprim17ROCPRIM_400000_NS6detail17trampoline_kernelINS0_14default_configENS1_38merge_sort_block_merge_config_selectorIlNS0_10empty_typeEEEZZNS1_27merge_sort_block_merge_implIS3_PlPS5_mZN2at6native12_GLOBAL__N_124unique_dim_cuda_templateIfEESt5tupleIJNSA_6TensorESF_SF_EERKSF_lbbbEUlllE_EE10hipError_tT0_T1_T2_jT3_P12ihipStream_tbPNSt15iterator_traitsISL_E10value_typeEPNSR_ISM_E10value_typeEPSN_NS1_7vsmem_tEENKUlT_SL_SM_SN_E_clIS8_S8_S9_S9_EESK_S10_SL_SM_SN_EUlS10_E0_NS1_11comp_targetILNS1_3genE10ELNS1_11target_archE1201ELNS1_3gpuE5ELNS1_3repE0EEENS1_38merge_mergepath_config_static_selectorELNS0_4arch9wavefront6targetE1EEEvSM_.numbered_sgpr, 0
	.set _ZN7rocprim17ROCPRIM_400000_NS6detail17trampoline_kernelINS0_14default_configENS1_38merge_sort_block_merge_config_selectorIlNS0_10empty_typeEEEZZNS1_27merge_sort_block_merge_implIS3_PlPS5_mZN2at6native12_GLOBAL__N_124unique_dim_cuda_templateIfEESt5tupleIJNSA_6TensorESF_SF_EERKSF_lbbbEUlllE_EE10hipError_tT0_T1_T2_jT3_P12ihipStream_tbPNSt15iterator_traitsISL_E10value_typeEPNSR_ISM_E10value_typeEPSN_NS1_7vsmem_tEENKUlT_SL_SM_SN_E_clIS8_S8_S9_S9_EESK_S10_SL_SM_SN_EUlS10_E0_NS1_11comp_targetILNS1_3genE10ELNS1_11target_archE1201ELNS1_3gpuE5ELNS1_3repE0EEENS1_38merge_mergepath_config_static_selectorELNS0_4arch9wavefront6targetE1EEEvSM_.num_named_barrier, 0
	.set _ZN7rocprim17ROCPRIM_400000_NS6detail17trampoline_kernelINS0_14default_configENS1_38merge_sort_block_merge_config_selectorIlNS0_10empty_typeEEEZZNS1_27merge_sort_block_merge_implIS3_PlPS5_mZN2at6native12_GLOBAL__N_124unique_dim_cuda_templateIfEESt5tupleIJNSA_6TensorESF_SF_EERKSF_lbbbEUlllE_EE10hipError_tT0_T1_T2_jT3_P12ihipStream_tbPNSt15iterator_traitsISL_E10value_typeEPNSR_ISM_E10value_typeEPSN_NS1_7vsmem_tEENKUlT_SL_SM_SN_E_clIS8_S8_S9_S9_EESK_S10_SL_SM_SN_EUlS10_E0_NS1_11comp_targetILNS1_3genE10ELNS1_11target_archE1201ELNS1_3gpuE5ELNS1_3repE0EEENS1_38merge_mergepath_config_static_selectorELNS0_4arch9wavefront6targetE1EEEvSM_.private_seg_size, 0
	.set _ZN7rocprim17ROCPRIM_400000_NS6detail17trampoline_kernelINS0_14default_configENS1_38merge_sort_block_merge_config_selectorIlNS0_10empty_typeEEEZZNS1_27merge_sort_block_merge_implIS3_PlPS5_mZN2at6native12_GLOBAL__N_124unique_dim_cuda_templateIfEESt5tupleIJNSA_6TensorESF_SF_EERKSF_lbbbEUlllE_EE10hipError_tT0_T1_T2_jT3_P12ihipStream_tbPNSt15iterator_traitsISL_E10value_typeEPNSR_ISM_E10value_typeEPSN_NS1_7vsmem_tEENKUlT_SL_SM_SN_E_clIS8_S8_S9_S9_EESK_S10_SL_SM_SN_EUlS10_E0_NS1_11comp_targetILNS1_3genE10ELNS1_11target_archE1201ELNS1_3gpuE5ELNS1_3repE0EEENS1_38merge_mergepath_config_static_selectorELNS0_4arch9wavefront6targetE1EEEvSM_.uses_vcc, 0
	.set _ZN7rocprim17ROCPRIM_400000_NS6detail17trampoline_kernelINS0_14default_configENS1_38merge_sort_block_merge_config_selectorIlNS0_10empty_typeEEEZZNS1_27merge_sort_block_merge_implIS3_PlPS5_mZN2at6native12_GLOBAL__N_124unique_dim_cuda_templateIfEESt5tupleIJNSA_6TensorESF_SF_EERKSF_lbbbEUlllE_EE10hipError_tT0_T1_T2_jT3_P12ihipStream_tbPNSt15iterator_traitsISL_E10value_typeEPNSR_ISM_E10value_typeEPSN_NS1_7vsmem_tEENKUlT_SL_SM_SN_E_clIS8_S8_S9_S9_EESK_S10_SL_SM_SN_EUlS10_E0_NS1_11comp_targetILNS1_3genE10ELNS1_11target_archE1201ELNS1_3gpuE5ELNS1_3repE0EEENS1_38merge_mergepath_config_static_selectorELNS0_4arch9wavefront6targetE1EEEvSM_.uses_flat_scratch, 0
	.set _ZN7rocprim17ROCPRIM_400000_NS6detail17trampoline_kernelINS0_14default_configENS1_38merge_sort_block_merge_config_selectorIlNS0_10empty_typeEEEZZNS1_27merge_sort_block_merge_implIS3_PlPS5_mZN2at6native12_GLOBAL__N_124unique_dim_cuda_templateIfEESt5tupleIJNSA_6TensorESF_SF_EERKSF_lbbbEUlllE_EE10hipError_tT0_T1_T2_jT3_P12ihipStream_tbPNSt15iterator_traitsISL_E10value_typeEPNSR_ISM_E10value_typeEPSN_NS1_7vsmem_tEENKUlT_SL_SM_SN_E_clIS8_S8_S9_S9_EESK_S10_SL_SM_SN_EUlS10_E0_NS1_11comp_targetILNS1_3genE10ELNS1_11target_archE1201ELNS1_3gpuE5ELNS1_3repE0EEENS1_38merge_mergepath_config_static_selectorELNS0_4arch9wavefront6targetE1EEEvSM_.has_dyn_sized_stack, 0
	.set _ZN7rocprim17ROCPRIM_400000_NS6detail17trampoline_kernelINS0_14default_configENS1_38merge_sort_block_merge_config_selectorIlNS0_10empty_typeEEEZZNS1_27merge_sort_block_merge_implIS3_PlPS5_mZN2at6native12_GLOBAL__N_124unique_dim_cuda_templateIfEESt5tupleIJNSA_6TensorESF_SF_EERKSF_lbbbEUlllE_EE10hipError_tT0_T1_T2_jT3_P12ihipStream_tbPNSt15iterator_traitsISL_E10value_typeEPNSR_ISM_E10value_typeEPSN_NS1_7vsmem_tEENKUlT_SL_SM_SN_E_clIS8_S8_S9_S9_EESK_S10_SL_SM_SN_EUlS10_E0_NS1_11comp_targetILNS1_3genE10ELNS1_11target_archE1201ELNS1_3gpuE5ELNS1_3repE0EEENS1_38merge_mergepath_config_static_selectorELNS0_4arch9wavefront6targetE1EEEvSM_.has_recursion, 0
	.set _ZN7rocprim17ROCPRIM_400000_NS6detail17trampoline_kernelINS0_14default_configENS1_38merge_sort_block_merge_config_selectorIlNS0_10empty_typeEEEZZNS1_27merge_sort_block_merge_implIS3_PlPS5_mZN2at6native12_GLOBAL__N_124unique_dim_cuda_templateIfEESt5tupleIJNSA_6TensorESF_SF_EERKSF_lbbbEUlllE_EE10hipError_tT0_T1_T2_jT3_P12ihipStream_tbPNSt15iterator_traitsISL_E10value_typeEPNSR_ISM_E10value_typeEPSN_NS1_7vsmem_tEENKUlT_SL_SM_SN_E_clIS8_S8_S9_S9_EESK_S10_SL_SM_SN_EUlS10_E0_NS1_11comp_targetILNS1_3genE10ELNS1_11target_archE1201ELNS1_3gpuE5ELNS1_3repE0EEENS1_38merge_mergepath_config_static_selectorELNS0_4arch9wavefront6targetE1EEEvSM_.has_indirect_call, 0
	.section	.AMDGPU.csdata,"",@progbits
; Kernel info:
; codeLenInByte = 0
; TotalNumSgprs: 6
; NumVgprs: 0
; NumAgprs: 0
; TotalNumVgprs: 0
; ScratchSize: 0
; MemoryBound: 0
; FloatMode: 240
; IeeeMode: 1
; LDSByteSize: 0 bytes/workgroup (compile time only)
; SGPRBlocks: 0
; VGPRBlocks: 0
; NumSGPRsForWavesPerEU: 6
; NumVGPRsForWavesPerEU: 1
; AccumOffset: 4
; Occupancy: 8
; WaveLimiterHint : 0
; COMPUTE_PGM_RSRC2:SCRATCH_EN: 0
; COMPUTE_PGM_RSRC2:USER_SGPR: 2
; COMPUTE_PGM_RSRC2:TRAP_HANDLER: 0
; COMPUTE_PGM_RSRC2:TGID_X_EN: 1
; COMPUTE_PGM_RSRC2:TGID_Y_EN: 0
; COMPUTE_PGM_RSRC2:TGID_Z_EN: 0
; COMPUTE_PGM_RSRC2:TIDIG_COMP_CNT: 0
; COMPUTE_PGM_RSRC3_GFX90A:ACCUM_OFFSET: 0
; COMPUTE_PGM_RSRC3_GFX90A:TG_SPLIT: 0
	.section	.text._ZN7rocprim17ROCPRIM_400000_NS6detail17trampoline_kernelINS0_14default_configENS1_38merge_sort_block_merge_config_selectorIlNS0_10empty_typeEEEZZNS1_27merge_sort_block_merge_implIS3_PlPS5_mZN2at6native12_GLOBAL__N_124unique_dim_cuda_templateIfEESt5tupleIJNSA_6TensorESF_SF_EERKSF_lbbbEUlllE_EE10hipError_tT0_T1_T2_jT3_P12ihipStream_tbPNSt15iterator_traitsISL_E10value_typeEPNSR_ISM_E10value_typeEPSN_NS1_7vsmem_tEENKUlT_SL_SM_SN_E_clIS8_S8_S9_S9_EESK_S10_SL_SM_SN_EUlS10_E0_NS1_11comp_targetILNS1_3genE5ELNS1_11target_archE942ELNS1_3gpuE9ELNS1_3repE0EEENS1_38merge_mergepath_config_static_selectorELNS0_4arch9wavefront6targetE1EEEvSM_,"axG",@progbits,_ZN7rocprim17ROCPRIM_400000_NS6detail17trampoline_kernelINS0_14default_configENS1_38merge_sort_block_merge_config_selectorIlNS0_10empty_typeEEEZZNS1_27merge_sort_block_merge_implIS3_PlPS5_mZN2at6native12_GLOBAL__N_124unique_dim_cuda_templateIfEESt5tupleIJNSA_6TensorESF_SF_EERKSF_lbbbEUlllE_EE10hipError_tT0_T1_T2_jT3_P12ihipStream_tbPNSt15iterator_traitsISL_E10value_typeEPNSR_ISM_E10value_typeEPSN_NS1_7vsmem_tEENKUlT_SL_SM_SN_E_clIS8_S8_S9_S9_EESK_S10_SL_SM_SN_EUlS10_E0_NS1_11comp_targetILNS1_3genE5ELNS1_11target_archE942ELNS1_3gpuE9ELNS1_3repE0EEENS1_38merge_mergepath_config_static_selectorELNS0_4arch9wavefront6targetE1EEEvSM_,comdat
	.globl	_ZN7rocprim17ROCPRIM_400000_NS6detail17trampoline_kernelINS0_14default_configENS1_38merge_sort_block_merge_config_selectorIlNS0_10empty_typeEEEZZNS1_27merge_sort_block_merge_implIS3_PlPS5_mZN2at6native12_GLOBAL__N_124unique_dim_cuda_templateIfEESt5tupleIJNSA_6TensorESF_SF_EERKSF_lbbbEUlllE_EE10hipError_tT0_T1_T2_jT3_P12ihipStream_tbPNSt15iterator_traitsISL_E10value_typeEPNSR_ISM_E10value_typeEPSN_NS1_7vsmem_tEENKUlT_SL_SM_SN_E_clIS8_S8_S9_S9_EESK_S10_SL_SM_SN_EUlS10_E0_NS1_11comp_targetILNS1_3genE5ELNS1_11target_archE942ELNS1_3gpuE9ELNS1_3repE0EEENS1_38merge_mergepath_config_static_selectorELNS0_4arch9wavefront6targetE1EEEvSM_ ; -- Begin function _ZN7rocprim17ROCPRIM_400000_NS6detail17trampoline_kernelINS0_14default_configENS1_38merge_sort_block_merge_config_selectorIlNS0_10empty_typeEEEZZNS1_27merge_sort_block_merge_implIS3_PlPS5_mZN2at6native12_GLOBAL__N_124unique_dim_cuda_templateIfEESt5tupleIJNSA_6TensorESF_SF_EERKSF_lbbbEUlllE_EE10hipError_tT0_T1_T2_jT3_P12ihipStream_tbPNSt15iterator_traitsISL_E10value_typeEPNSR_ISM_E10value_typeEPSN_NS1_7vsmem_tEENKUlT_SL_SM_SN_E_clIS8_S8_S9_S9_EESK_S10_SL_SM_SN_EUlS10_E0_NS1_11comp_targetILNS1_3genE5ELNS1_11target_archE942ELNS1_3gpuE9ELNS1_3repE0EEENS1_38merge_mergepath_config_static_selectorELNS0_4arch9wavefront6targetE1EEEvSM_
	.p2align	8
	.type	_ZN7rocprim17ROCPRIM_400000_NS6detail17trampoline_kernelINS0_14default_configENS1_38merge_sort_block_merge_config_selectorIlNS0_10empty_typeEEEZZNS1_27merge_sort_block_merge_implIS3_PlPS5_mZN2at6native12_GLOBAL__N_124unique_dim_cuda_templateIfEESt5tupleIJNSA_6TensorESF_SF_EERKSF_lbbbEUlllE_EE10hipError_tT0_T1_T2_jT3_P12ihipStream_tbPNSt15iterator_traitsISL_E10value_typeEPNSR_ISM_E10value_typeEPSN_NS1_7vsmem_tEENKUlT_SL_SM_SN_E_clIS8_S8_S9_S9_EESK_S10_SL_SM_SN_EUlS10_E0_NS1_11comp_targetILNS1_3genE5ELNS1_11target_archE942ELNS1_3gpuE9ELNS1_3repE0EEENS1_38merge_mergepath_config_static_selectorELNS0_4arch9wavefront6targetE1EEEvSM_,@function
_ZN7rocprim17ROCPRIM_400000_NS6detail17trampoline_kernelINS0_14default_configENS1_38merge_sort_block_merge_config_selectorIlNS0_10empty_typeEEEZZNS1_27merge_sort_block_merge_implIS3_PlPS5_mZN2at6native12_GLOBAL__N_124unique_dim_cuda_templateIfEESt5tupleIJNSA_6TensorESF_SF_EERKSF_lbbbEUlllE_EE10hipError_tT0_T1_T2_jT3_P12ihipStream_tbPNSt15iterator_traitsISL_E10value_typeEPNSR_ISM_E10value_typeEPSN_NS1_7vsmem_tEENKUlT_SL_SM_SN_E_clIS8_S8_S9_S9_EESK_S10_SL_SM_SN_EUlS10_E0_NS1_11comp_targetILNS1_3genE5ELNS1_11target_archE942ELNS1_3gpuE9ELNS1_3repE0EEENS1_38merge_mergepath_config_static_selectorELNS0_4arch9wavefront6targetE1EEEvSM_: ; @_ZN7rocprim17ROCPRIM_400000_NS6detail17trampoline_kernelINS0_14default_configENS1_38merge_sort_block_merge_config_selectorIlNS0_10empty_typeEEEZZNS1_27merge_sort_block_merge_implIS3_PlPS5_mZN2at6native12_GLOBAL__N_124unique_dim_cuda_templateIfEESt5tupleIJNSA_6TensorESF_SF_EERKSF_lbbbEUlllE_EE10hipError_tT0_T1_T2_jT3_P12ihipStream_tbPNSt15iterator_traitsISL_E10value_typeEPNSR_ISM_E10value_typeEPSN_NS1_7vsmem_tEENKUlT_SL_SM_SN_E_clIS8_S8_S9_S9_EESK_S10_SL_SM_SN_EUlS10_E0_NS1_11comp_targetILNS1_3genE5ELNS1_11target_archE942ELNS1_3gpuE9ELNS1_3repE0EEENS1_38merge_mergepath_config_static_selectorELNS0_4arch9wavefront6targetE1EEEvSM_
; %bb.0:
	.section	.rodata,"a",@progbits
	.p2align	6, 0x0
	.amdhsa_kernel _ZN7rocprim17ROCPRIM_400000_NS6detail17trampoline_kernelINS0_14default_configENS1_38merge_sort_block_merge_config_selectorIlNS0_10empty_typeEEEZZNS1_27merge_sort_block_merge_implIS3_PlPS5_mZN2at6native12_GLOBAL__N_124unique_dim_cuda_templateIfEESt5tupleIJNSA_6TensorESF_SF_EERKSF_lbbbEUlllE_EE10hipError_tT0_T1_T2_jT3_P12ihipStream_tbPNSt15iterator_traitsISL_E10value_typeEPNSR_ISM_E10value_typeEPSN_NS1_7vsmem_tEENKUlT_SL_SM_SN_E_clIS8_S8_S9_S9_EESK_S10_SL_SM_SN_EUlS10_E0_NS1_11comp_targetILNS1_3genE5ELNS1_11target_archE942ELNS1_3gpuE9ELNS1_3repE0EEENS1_38merge_mergepath_config_static_selectorELNS0_4arch9wavefront6targetE1EEEvSM_
		.amdhsa_group_segment_fixed_size 0
		.amdhsa_private_segment_fixed_size 0
		.amdhsa_kernarg_size 88
		.amdhsa_user_sgpr_count 2
		.amdhsa_user_sgpr_dispatch_ptr 0
		.amdhsa_user_sgpr_queue_ptr 0
		.amdhsa_user_sgpr_kernarg_segment_ptr 1
		.amdhsa_user_sgpr_dispatch_id 0
		.amdhsa_user_sgpr_kernarg_preload_length 0
		.amdhsa_user_sgpr_kernarg_preload_offset 0
		.amdhsa_user_sgpr_private_segment_size 0
		.amdhsa_uses_dynamic_stack 0
		.amdhsa_enable_private_segment 0
		.amdhsa_system_sgpr_workgroup_id_x 1
		.amdhsa_system_sgpr_workgroup_id_y 0
		.amdhsa_system_sgpr_workgroup_id_z 0
		.amdhsa_system_sgpr_workgroup_info 0
		.amdhsa_system_vgpr_workitem_id 0
		.amdhsa_next_free_vgpr 1
		.amdhsa_next_free_sgpr 0
		.amdhsa_accum_offset 4
		.amdhsa_reserve_vcc 0
		.amdhsa_float_round_mode_32 0
		.amdhsa_float_round_mode_16_64 0
		.amdhsa_float_denorm_mode_32 3
		.amdhsa_float_denorm_mode_16_64 3
		.amdhsa_dx10_clamp 1
		.amdhsa_ieee_mode 1
		.amdhsa_fp16_overflow 0
		.amdhsa_tg_split 0
		.amdhsa_exception_fp_ieee_invalid_op 0
		.amdhsa_exception_fp_denorm_src 0
		.amdhsa_exception_fp_ieee_div_zero 0
		.amdhsa_exception_fp_ieee_overflow 0
		.amdhsa_exception_fp_ieee_underflow 0
		.amdhsa_exception_fp_ieee_inexact 0
		.amdhsa_exception_int_div_zero 0
	.end_amdhsa_kernel
	.section	.text._ZN7rocprim17ROCPRIM_400000_NS6detail17trampoline_kernelINS0_14default_configENS1_38merge_sort_block_merge_config_selectorIlNS0_10empty_typeEEEZZNS1_27merge_sort_block_merge_implIS3_PlPS5_mZN2at6native12_GLOBAL__N_124unique_dim_cuda_templateIfEESt5tupleIJNSA_6TensorESF_SF_EERKSF_lbbbEUlllE_EE10hipError_tT0_T1_T2_jT3_P12ihipStream_tbPNSt15iterator_traitsISL_E10value_typeEPNSR_ISM_E10value_typeEPSN_NS1_7vsmem_tEENKUlT_SL_SM_SN_E_clIS8_S8_S9_S9_EESK_S10_SL_SM_SN_EUlS10_E0_NS1_11comp_targetILNS1_3genE5ELNS1_11target_archE942ELNS1_3gpuE9ELNS1_3repE0EEENS1_38merge_mergepath_config_static_selectorELNS0_4arch9wavefront6targetE1EEEvSM_,"axG",@progbits,_ZN7rocprim17ROCPRIM_400000_NS6detail17trampoline_kernelINS0_14default_configENS1_38merge_sort_block_merge_config_selectorIlNS0_10empty_typeEEEZZNS1_27merge_sort_block_merge_implIS3_PlPS5_mZN2at6native12_GLOBAL__N_124unique_dim_cuda_templateIfEESt5tupleIJNSA_6TensorESF_SF_EERKSF_lbbbEUlllE_EE10hipError_tT0_T1_T2_jT3_P12ihipStream_tbPNSt15iterator_traitsISL_E10value_typeEPNSR_ISM_E10value_typeEPSN_NS1_7vsmem_tEENKUlT_SL_SM_SN_E_clIS8_S8_S9_S9_EESK_S10_SL_SM_SN_EUlS10_E0_NS1_11comp_targetILNS1_3genE5ELNS1_11target_archE942ELNS1_3gpuE9ELNS1_3repE0EEENS1_38merge_mergepath_config_static_selectorELNS0_4arch9wavefront6targetE1EEEvSM_,comdat
.Lfunc_end890:
	.size	_ZN7rocprim17ROCPRIM_400000_NS6detail17trampoline_kernelINS0_14default_configENS1_38merge_sort_block_merge_config_selectorIlNS0_10empty_typeEEEZZNS1_27merge_sort_block_merge_implIS3_PlPS5_mZN2at6native12_GLOBAL__N_124unique_dim_cuda_templateIfEESt5tupleIJNSA_6TensorESF_SF_EERKSF_lbbbEUlllE_EE10hipError_tT0_T1_T2_jT3_P12ihipStream_tbPNSt15iterator_traitsISL_E10value_typeEPNSR_ISM_E10value_typeEPSN_NS1_7vsmem_tEENKUlT_SL_SM_SN_E_clIS8_S8_S9_S9_EESK_S10_SL_SM_SN_EUlS10_E0_NS1_11comp_targetILNS1_3genE5ELNS1_11target_archE942ELNS1_3gpuE9ELNS1_3repE0EEENS1_38merge_mergepath_config_static_selectorELNS0_4arch9wavefront6targetE1EEEvSM_, .Lfunc_end890-_ZN7rocprim17ROCPRIM_400000_NS6detail17trampoline_kernelINS0_14default_configENS1_38merge_sort_block_merge_config_selectorIlNS0_10empty_typeEEEZZNS1_27merge_sort_block_merge_implIS3_PlPS5_mZN2at6native12_GLOBAL__N_124unique_dim_cuda_templateIfEESt5tupleIJNSA_6TensorESF_SF_EERKSF_lbbbEUlllE_EE10hipError_tT0_T1_T2_jT3_P12ihipStream_tbPNSt15iterator_traitsISL_E10value_typeEPNSR_ISM_E10value_typeEPSN_NS1_7vsmem_tEENKUlT_SL_SM_SN_E_clIS8_S8_S9_S9_EESK_S10_SL_SM_SN_EUlS10_E0_NS1_11comp_targetILNS1_3genE5ELNS1_11target_archE942ELNS1_3gpuE9ELNS1_3repE0EEENS1_38merge_mergepath_config_static_selectorELNS0_4arch9wavefront6targetE1EEEvSM_
                                        ; -- End function
	.set _ZN7rocprim17ROCPRIM_400000_NS6detail17trampoline_kernelINS0_14default_configENS1_38merge_sort_block_merge_config_selectorIlNS0_10empty_typeEEEZZNS1_27merge_sort_block_merge_implIS3_PlPS5_mZN2at6native12_GLOBAL__N_124unique_dim_cuda_templateIfEESt5tupleIJNSA_6TensorESF_SF_EERKSF_lbbbEUlllE_EE10hipError_tT0_T1_T2_jT3_P12ihipStream_tbPNSt15iterator_traitsISL_E10value_typeEPNSR_ISM_E10value_typeEPSN_NS1_7vsmem_tEENKUlT_SL_SM_SN_E_clIS8_S8_S9_S9_EESK_S10_SL_SM_SN_EUlS10_E0_NS1_11comp_targetILNS1_3genE5ELNS1_11target_archE942ELNS1_3gpuE9ELNS1_3repE0EEENS1_38merge_mergepath_config_static_selectorELNS0_4arch9wavefront6targetE1EEEvSM_.num_vgpr, 0
	.set _ZN7rocprim17ROCPRIM_400000_NS6detail17trampoline_kernelINS0_14default_configENS1_38merge_sort_block_merge_config_selectorIlNS0_10empty_typeEEEZZNS1_27merge_sort_block_merge_implIS3_PlPS5_mZN2at6native12_GLOBAL__N_124unique_dim_cuda_templateIfEESt5tupleIJNSA_6TensorESF_SF_EERKSF_lbbbEUlllE_EE10hipError_tT0_T1_T2_jT3_P12ihipStream_tbPNSt15iterator_traitsISL_E10value_typeEPNSR_ISM_E10value_typeEPSN_NS1_7vsmem_tEENKUlT_SL_SM_SN_E_clIS8_S8_S9_S9_EESK_S10_SL_SM_SN_EUlS10_E0_NS1_11comp_targetILNS1_3genE5ELNS1_11target_archE942ELNS1_3gpuE9ELNS1_3repE0EEENS1_38merge_mergepath_config_static_selectorELNS0_4arch9wavefront6targetE1EEEvSM_.num_agpr, 0
	.set _ZN7rocprim17ROCPRIM_400000_NS6detail17trampoline_kernelINS0_14default_configENS1_38merge_sort_block_merge_config_selectorIlNS0_10empty_typeEEEZZNS1_27merge_sort_block_merge_implIS3_PlPS5_mZN2at6native12_GLOBAL__N_124unique_dim_cuda_templateIfEESt5tupleIJNSA_6TensorESF_SF_EERKSF_lbbbEUlllE_EE10hipError_tT0_T1_T2_jT3_P12ihipStream_tbPNSt15iterator_traitsISL_E10value_typeEPNSR_ISM_E10value_typeEPSN_NS1_7vsmem_tEENKUlT_SL_SM_SN_E_clIS8_S8_S9_S9_EESK_S10_SL_SM_SN_EUlS10_E0_NS1_11comp_targetILNS1_3genE5ELNS1_11target_archE942ELNS1_3gpuE9ELNS1_3repE0EEENS1_38merge_mergepath_config_static_selectorELNS0_4arch9wavefront6targetE1EEEvSM_.numbered_sgpr, 0
	.set _ZN7rocprim17ROCPRIM_400000_NS6detail17trampoline_kernelINS0_14default_configENS1_38merge_sort_block_merge_config_selectorIlNS0_10empty_typeEEEZZNS1_27merge_sort_block_merge_implIS3_PlPS5_mZN2at6native12_GLOBAL__N_124unique_dim_cuda_templateIfEESt5tupleIJNSA_6TensorESF_SF_EERKSF_lbbbEUlllE_EE10hipError_tT0_T1_T2_jT3_P12ihipStream_tbPNSt15iterator_traitsISL_E10value_typeEPNSR_ISM_E10value_typeEPSN_NS1_7vsmem_tEENKUlT_SL_SM_SN_E_clIS8_S8_S9_S9_EESK_S10_SL_SM_SN_EUlS10_E0_NS1_11comp_targetILNS1_3genE5ELNS1_11target_archE942ELNS1_3gpuE9ELNS1_3repE0EEENS1_38merge_mergepath_config_static_selectorELNS0_4arch9wavefront6targetE1EEEvSM_.num_named_barrier, 0
	.set _ZN7rocprim17ROCPRIM_400000_NS6detail17trampoline_kernelINS0_14default_configENS1_38merge_sort_block_merge_config_selectorIlNS0_10empty_typeEEEZZNS1_27merge_sort_block_merge_implIS3_PlPS5_mZN2at6native12_GLOBAL__N_124unique_dim_cuda_templateIfEESt5tupleIJNSA_6TensorESF_SF_EERKSF_lbbbEUlllE_EE10hipError_tT0_T1_T2_jT3_P12ihipStream_tbPNSt15iterator_traitsISL_E10value_typeEPNSR_ISM_E10value_typeEPSN_NS1_7vsmem_tEENKUlT_SL_SM_SN_E_clIS8_S8_S9_S9_EESK_S10_SL_SM_SN_EUlS10_E0_NS1_11comp_targetILNS1_3genE5ELNS1_11target_archE942ELNS1_3gpuE9ELNS1_3repE0EEENS1_38merge_mergepath_config_static_selectorELNS0_4arch9wavefront6targetE1EEEvSM_.private_seg_size, 0
	.set _ZN7rocprim17ROCPRIM_400000_NS6detail17trampoline_kernelINS0_14default_configENS1_38merge_sort_block_merge_config_selectorIlNS0_10empty_typeEEEZZNS1_27merge_sort_block_merge_implIS3_PlPS5_mZN2at6native12_GLOBAL__N_124unique_dim_cuda_templateIfEESt5tupleIJNSA_6TensorESF_SF_EERKSF_lbbbEUlllE_EE10hipError_tT0_T1_T2_jT3_P12ihipStream_tbPNSt15iterator_traitsISL_E10value_typeEPNSR_ISM_E10value_typeEPSN_NS1_7vsmem_tEENKUlT_SL_SM_SN_E_clIS8_S8_S9_S9_EESK_S10_SL_SM_SN_EUlS10_E0_NS1_11comp_targetILNS1_3genE5ELNS1_11target_archE942ELNS1_3gpuE9ELNS1_3repE0EEENS1_38merge_mergepath_config_static_selectorELNS0_4arch9wavefront6targetE1EEEvSM_.uses_vcc, 0
	.set _ZN7rocprim17ROCPRIM_400000_NS6detail17trampoline_kernelINS0_14default_configENS1_38merge_sort_block_merge_config_selectorIlNS0_10empty_typeEEEZZNS1_27merge_sort_block_merge_implIS3_PlPS5_mZN2at6native12_GLOBAL__N_124unique_dim_cuda_templateIfEESt5tupleIJNSA_6TensorESF_SF_EERKSF_lbbbEUlllE_EE10hipError_tT0_T1_T2_jT3_P12ihipStream_tbPNSt15iterator_traitsISL_E10value_typeEPNSR_ISM_E10value_typeEPSN_NS1_7vsmem_tEENKUlT_SL_SM_SN_E_clIS8_S8_S9_S9_EESK_S10_SL_SM_SN_EUlS10_E0_NS1_11comp_targetILNS1_3genE5ELNS1_11target_archE942ELNS1_3gpuE9ELNS1_3repE0EEENS1_38merge_mergepath_config_static_selectorELNS0_4arch9wavefront6targetE1EEEvSM_.uses_flat_scratch, 0
	.set _ZN7rocprim17ROCPRIM_400000_NS6detail17trampoline_kernelINS0_14default_configENS1_38merge_sort_block_merge_config_selectorIlNS0_10empty_typeEEEZZNS1_27merge_sort_block_merge_implIS3_PlPS5_mZN2at6native12_GLOBAL__N_124unique_dim_cuda_templateIfEESt5tupleIJNSA_6TensorESF_SF_EERKSF_lbbbEUlllE_EE10hipError_tT0_T1_T2_jT3_P12ihipStream_tbPNSt15iterator_traitsISL_E10value_typeEPNSR_ISM_E10value_typeEPSN_NS1_7vsmem_tEENKUlT_SL_SM_SN_E_clIS8_S8_S9_S9_EESK_S10_SL_SM_SN_EUlS10_E0_NS1_11comp_targetILNS1_3genE5ELNS1_11target_archE942ELNS1_3gpuE9ELNS1_3repE0EEENS1_38merge_mergepath_config_static_selectorELNS0_4arch9wavefront6targetE1EEEvSM_.has_dyn_sized_stack, 0
	.set _ZN7rocprim17ROCPRIM_400000_NS6detail17trampoline_kernelINS0_14default_configENS1_38merge_sort_block_merge_config_selectorIlNS0_10empty_typeEEEZZNS1_27merge_sort_block_merge_implIS3_PlPS5_mZN2at6native12_GLOBAL__N_124unique_dim_cuda_templateIfEESt5tupleIJNSA_6TensorESF_SF_EERKSF_lbbbEUlllE_EE10hipError_tT0_T1_T2_jT3_P12ihipStream_tbPNSt15iterator_traitsISL_E10value_typeEPNSR_ISM_E10value_typeEPSN_NS1_7vsmem_tEENKUlT_SL_SM_SN_E_clIS8_S8_S9_S9_EESK_S10_SL_SM_SN_EUlS10_E0_NS1_11comp_targetILNS1_3genE5ELNS1_11target_archE942ELNS1_3gpuE9ELNS1_3repE0EEENS1_38merge_mergepath_config_static_selectorELNS0_4arch9wavefront6targetE1EEEvSM_.has_recursion, 0
	.set _ZN7rocprim17ROCPRIM_400000_NS6detail17trampoline_kernelINS0_14default_configENS1_38merge_sort_block_merge_config_selectorIlNS0_10empty_typeEEEZZNS1_27merge_sort_block_merge_implIS3_PlPS5_mZN2at6native12_GLOBAL__N_124unique_dim_cuda_templateIfEESt5tupleIJNSA_6TensorESF_SF_EERKSF_lbbbEUlllE_EE10hipError_tT0_T1_T2_jT3_P12ihipStream_tbPNSt15iterator_traitsISL_E10value_typeEPNSR_ISM_E10value_typeEPSN_NS1_7vsmem_tEENKUlT_SL_SM_SN_E_clIS8_S8_S9_S9_EESK_S10_SL_SM_SN_EUlS10_E0_NS1_11comp_targetILNS1_3genE5ELNS1_11target_archE942ELNS1_3gpuE9ELNS1_3repE0EEENS1_38merge_mergepath_config_static_selectorELNS0_4arch9wavefront6targetE1EEEvSM_.has_indirect_call, 0
	.section	.AMDGPU.csdata,"",@progbits
; Kernel info:
; codeLenInByte = 0
; TotalNumSgprs: 6
; NumVgprs: 0
; NumAgprs: 0
; TotalNumVgprs: 0
; ScratchSize: 0
; MemoryBound: 0
; FloatMode: 240
; IeeeMode: 1
; LDSByteSize: 0 bytes/workgroup (compile time only)
; SGPRBlocks: 0
; VGPRBlocks: 0
; NumSGPRsForWavesPerEU: 6
; NumVGPRsForWavesPerEU: 1
; AccumOffset: 4
; Occupancy: 8
; WaveLimiterHint : 0
; COMPUTE_PGM_RSRC2:SCRATCH_EN: 0
; COMPUTE_PGM_RSRC2:USER_SGPR: 2
; COMPUTE_PGM_RSRC2:TRAP_HANDLER: 0
; COMPUTE_PGM_RSRC2:TGID_X_EN: 1
; COMPUTE_PGM_RSRC2:TGID_Y_EN: 0
; COMPUTE_PGM_RSRC2:TGID_Z_EN: 0
; COMPUTE_PGM_RSRC2:TIDIG_COMP_CNT: 0
; COMPUTE_PGM_RSRC3_GFX90A:ACCUM_OFFSET: 0
; COMPUTE_PGM_RSRC3_GFX90A:TG_SPLIT: 0
	.section	.text._ZN7rocprim17ROCPRIM_400000_NS6detail17trampoline_kernelINS0_14default_configENS1_38merge_sort_block_merge_config_selectorIlNS0_10empty_typeEEEZZNS1_27merge_sort_block_merge_implIS3_PlPS5_mZN2at6native12_GLOBAL__N_124unique_dim_cuda_templateIfEESt5tupleIJNSA_6TensorESF_SF_EERKSF_lbbbEUlllE_EE10hipError_tT0_T1_T2_jT3_P12ihipStream_tbPNSt15iterator_traitsISL_E10value_typeEPNSR_ISM_E10value_typeEPSN_NS1_7vsmem_tEENKUlT_SL_SM_SN_E_clIS8_S8_S9_S9_EESK_S10_SL_SM_SN_EUlS10_E0_NS1_11comp_targetILNS1_3genE4ELNS1_11target_archE910ELNS1_3gpuE8ELNS1_3repE0EEENS1_38merge_mergepath_config_static_selectorELNS0_4arch9wavefront6targetE1EEEvSM_,"axG",@progbits,_ZN7rocprim17ROCPRIM_400000_NS6detail17trampoline_kernelINS0_14default_configENS1_38merge_sort_block_merge_config_selectorIlNS0_10empty_typeEEEZZNS1_27merge_sort_block_merge_implIS3_PlPS5_mZN2at6native12_GLOBAL__N_124unique_dim_cuda_templateIfEESt5tupleIJNSA_6TensorESF_SF_EERKSF_lbbbEUlllE_EE10hipError_tT0_T1_T2_jT3_P12ihipStream_tbPNSt15iterator_traitsISL_E10value_typeEPNSR_ISM_E10value_typeEPSN_NS1_7vsmem_tEENKUlT_SL_SM_SN_E_clIS8_S8_S9_S9_EESK_S10_SL_SM_SN_EUlS10_E0_NS1_11comp_targetILNS1_3genE4ELNS1_11target_archE910ELNS1_3gpuE8ELNS1_3repE0EEENS1_38merge_mergepath_config_static_selectorELNS0_4arch9wavefront6targetE1EEEvSM_,comdat
	.globl	_ZN7rocprim17ROCPRIM_400000_NS6detail17trampoline_kernelINS0_14default_configENS1_38merge_sort_block_merge_config_selectorIlNS0_10empty_typeEEEZZNS1_27merge_sort_block_merge_implIS3_PlPS5_mZN2at6native12_GLOBAL__N_124unique_dim_cuda_templateIfEESt5tupleIJNSA_6TensorESF_SF_EERKSF_lbbbEUlllE_EE10hipError_tT0_T1_T2_jT3_P12ihipStream_tbPNSt15iterator_traitsISL_E10value_typeEPNSR_ISM_E10value_typeEPSN_NS1_7vsmem_tEENKUlT_SL_SM_SN_E_clIS8_S8_S9_S9_EESK_S10_SL_SM_SN_EUlS10_E0_NS1_11comp_targetILNS1_3genE4ELNS1_11target_archE910ELNS1_3gpuE8ELNS1_3repE0EEENS1_38merge_mergepath_config_static_selectorELNS0_4arch9wavefront6targetE1EEEvSM_ ; -- Begin function _ZN7rocprim17ROCPRIM_400000_NS6detail17trampoline_kernelINS0_14default_configENS1_38merge_sort_block_merge_config_selectorIlNS0_10empty_typeEEEZZNS1_27merge_sort_block_merge_implIS3_PlPS5_mZN2at6native12_GLOBAL__N_124unique_dim_cuda_templateIfEESt5tupleIJNSA_6TensorESF_SF_EERKSF_lbbbEUlllE_EE10hipError_tT0_T1_T2_jT3_P12ihipStream_tbPNSt15iterator_traitsISL_E10value_typeEPNSR_ISM_E10value_typeEPSN_NS1_7vsmem_tEENKUlT_SL_SM_SN_E_clIS8_S8_S9_S9_EESK_S10_SL_SM_SN_EUlS10_E0_NS1_11comp_targetILNS1_3genE4ELNS1_11target_archE910ELNS1_3gpuE8ELNS1_3repE0EEENS1_38merge_mergepath_config_static_selectorELNS0_4arch9wavefront6targetE1EEEvSM_
	.p2align	8
	.type	_ZN7rocprim17ROCPRIM_400000_NS6detail17trampoline_kernelINS0_14default_configENS1_38merge_sort_block_merge_config_selectorIlNS0_10empty_typeEEEZZNS1_27merge_sort_block_merge_implIS3_PlPS5_mZN2at6native12_GLOBAL__N_124unique_dim_cuda_templateIfEESt5tupleIJNSA_6TensorESF_SF_EERKSF_lbbbEUlllE_EE10hipError_tT0_T1_T2_jT3_P12ihipStream_tbPNSt15iterator_traitsISL_E10value_typeEPNSR_ISM_E10value_typeEPSN_NS1_7vsmem_tEENKUlT_SL_SM_SN_E_clIS8_S8_S9_S9_EESK_S10_SL_SM_SN_EUlS10_E0_NS1_11comp_targetILNS1_3genE4ELNS1_11target_archE910ELNS1_3gpuE8ELNS1_3repE0EEENS1_38merge_mergepath_config_static_selectorELNS0_4arch9wavefront6targetE1EEEvSM_,@function
_ZN7rocprim17ROCPRIM_400000_NS6detail17trampoline_kernelINS0_14default_configENS1_38merge_sort_block_merge_config_selectorIlNS0_10empty_typeEEEZZNS1_27merge_sort_block_merge_implIS3_PlPS5_mZN2at6native12_GLOBAL__N_124unique_dim_cuda_templateIfEESt5tupleIJNSA_6TensorESF_SF_EERKSF_lbbbEUlllE_EE10hipError_tT0_T1_T2_jT3_P12ihipStream_tbPNSt15iterator_traitsISL_E10value_typeEPNSR_ISM_E10value_typeEPSN_NS1_7vsmem_tEENKUlT_SL_SM_SN_E_clIS8_S8_S9_S9_EESK_S10_SL_SM_SN_EUlS10_E0_NS1_11comp_targetILNS1_3genE4ELNS1_11target_archE910ELNS1_3gpuE8ELNS1_3repE0EEENS1_38merge_mergepath_config_static_selectorELNS0_4arch9wavefront6targetE1EEEvSM_: ; @_ZN7rocprim17ROCPRIM_400000_NS6detail17trampoline_kernelINS0_14default_configENS1_38merge_sort_block_merge_config_selectorIlNS0_10empty_typeEEEZZNS1_27merge_sort_block_merge_implIS3_PlPS5_mZN2at6native12_GLOBAL__N_124unique_dim_cuda_templateIfEESt5tupleIJNSA_6TensorESF_SF_EERKSF_lbbbEUlllE_EE10hipError_tT0_T1_T2_jT3_P12ihipStream_tbPNSt15iterator_traitsISL_E10value_typeEPNSR_ISM_E10value_typeEPSN_NS1_7vsmem_tEENKUlT_SL_SM_SN_E_clIS8_S8_S9_S9_EESK_S10_SL_SM_SN_EUlS10_E0_NS1_11comp_targetILNS1_3genE4ELNS1_11target_archE910ELNS1_3gpuE8ELNS1_3repE0EEENS1_38merge_mergepath_config_static_selectorELNS0_4arch9wavefront6targetE1EEEvSM_
; %bb.0:
	.section	.rodata,"a",@progbits
	.p2align	6, 0x0
	.amdhsa_kernel _ZN7rocprim17ROCPRIM_400000_NS6detail17trampoline_kernelINS0_14default_configENS1_38merge_sort_block_merge_config_selectorIlNS0_10empty_typeEEEZZNS1_27merge_sort_block_merge_implIS3_PlPS5_mZN2at6native12_GLOBAL__N_124unique_dim_cuda_templateIfEESt5tupleIJNSA_6TensorESF_SF_EERKSF_lbbbEUlllE_EE10hipError_tT0_T1_T2_jT3_P12ihipStream_tbPNSt15iterator_traitsISL_E10value_typeEPNSR_ISM_E10value_typeEPSN_NS1_7vsmem_tEENKUlT_SL_SM_SN_E_clIS8_S8_S9_S9_EESK_S10_SL_SM_SN_EUlS10_E0_NS1_11comp_targetILNS1_3genE4ELNS1_11target_archE910ELNS1_3gpuE8ELNS1_3repE0EEENS1_38merge_mergepath_config_static_selectorELNS0_4arch9wavefront6targetE1EEEvSM_
		.amdhsa_group_segment_fixed_size 0
		.amdhsa_private_segment_fixed_size 0
		.amdhsa_kernarg_size 88
		.amdhsa_user_sgpr_count 2
		.amdhsa_user_sgpr_dispatch_ptr 0
		.amdhsa_user_sgpr_queue_ptr 0
		.amdhsa_user_sgpr_kernarg_segment_ptr 1
		.amdhsa_user_sgpr_dispatch_id 0
		.amdhsa_user_sgpr_kernarg_preload_length 0
		.amdhsa_user_sgpr_kernarg_preload_offset 0
		.amdhsa_user_sgpr_private_segment_size 0
		.amdhsa_uses_dynamic_stack 0
		.amdhsa_enable_private_segment 0
		.amdhsa_system_sgpr_workgroup_id_x 1
		.amdhsa_system_sgpr_workgroup_id_y 0
		.amdhsa_system_sgpr_workgroup_id_z 0
		.amdhsa_system_sgpr_workgroup_info 0
		.amdhsa_system_vgpr_workitem_id 0
		.amdhsa_next_free_vgpr 1
		.amdhsa_next_free_sgpr 0
		.amdhsa_accum_offset 4
		.amdhsa_reserve_vcc 0
		.amdhsa_float_round_mode_32 0
		.amdhsa_float_round_mode_16_64 0
		.amdhsa_float_denorm_mode_32 3
		.amdhsa_float_denorm_mode_16_64 3
		.amdhsa_dx10_clamp 1
		.amdhsa_ieee_mode 1
		.amdhsa_fp16_overflow 0
		.amdhsa_tg_split 0
		.amdhsa_exception_fp_ieee_invalid_op 0
		.amdhsa_exception_fp_denorm_src 0
		.amdhsa_exception_fp_ieee_div_zero 0
		.amdhsa_exception_fp_ieee_overflow 0
		.amdhsa_exception_fp_ieee_underflow 0
		.amdhsa_exception_fp_ieee_inexact 0
		.amdhsa_exception_int_div_zero 0
	.end_amdhsa_kernel
	.section	.text._ZN7rocprim17ROCPRIM_400000_NS6detail17trampoline_kernelINS0_14default_configENS1_38merge_sort_block_merge_config_selectorIlNS0_10empty_typeEEEZZNS1_27merge_sort_block_merge_implIS3_PlPS5_mZN2at6native12_GLOBAL__N_124unique_dim_cuda_templateIfEESt5tupleIJNSA_6TensorESF_SF_EERKSF_lbbbEUlllE_EE10hipError_tT0_T1_T2_jT3_P12ihipStream_tbPNSt15iterator_traitsISL_E10value_typeEPNSR_ISM_E10value_typeEPSN_NS1_7vsmem_tEENKUlT_SL_SM_SN_E_clIS8_S8_S9_S9_EESK_S10_SL_SM_SN_EUlS10_E0_NS1_11comp_targetILNS1_3genE4ELNS1_11target_archE910ELNS1_3gpuE8ELNS1_3repE0EEENS1_38merge_mergepath_config_static_selectorELNS0_4arch9wavefront6targetE1EEEvSM_,"axG",@progbits,_ZN7rocprim17ROCPRIM_400000_NS6detail17trampoline_kernelINS0_14default_configENS1_38merge_sort_block_merge_config_selectorIlNS0_10empty_typeEEEZZNS1_27merge_sort_block_merge_implIS3_PlPS5_mZN2at6native12_GLOBAL__N_124unique_dim_cuda_templateIfEESt5tupleIJNSA_6TensorESF_SF_EERKSF_lbbbEUlllE_EE10hipError_tT0_T1_T2_jT3_P12ihipStream_tbPNSt15iterator_traitsISL_E10value_typeEPNSR_ISM_E10value_typeEPSN_NS1_7vsmem_tEENKUlT_SL_SM_SN_E_clIS8_S8_S9_S9_EESK_S10_SL_SM_SN_EUlS10_E0_NS1_11comp_targetILNS1_3genE4ELNS1_11target_archE910ELNS1_3gpuE8ELNS1_3repE0EEENS1_38merge_mergepath_config_static_selectorELNS0_4arch9wavefront6targetE1EEEvSM_,comdat
.Lfunc_end891:
	.size	_ZN7rocprim17ROCPRIM_400000_NS6detail17trampoline_kernelINS0_14default_configENS1_38merge_sort_block_merge_config_selectorIlNS0_10empty_typeEEEZZNS1_27merge_sort_block_merge_implIS3_PlPS5_mZN2at6native12_GLOBAL__N_124unique_dim_cuda_templateIfEESt5tupleIJNSA_6TensorESF_SF_EERKSF_lbbbEUlllE_EE10hipError_tT0_T1_T2_jT3_P12ihipStream_tbPNSt15iterator_traitsISL_E10value_typeEPNSR_ISM_E10value_typeEPSN_NS1_7vsmem_tEENKUlT_SL_SM_SN_E_clIS8_S8_S9_S9_EESK_S10_SL_SM_SN_EUlS10_E0_NS1_11comp_targetILNS1_3genE4ELNS1_11target_archE910ELNS1_3gpuE8ELNS1_3repE0EEENS1_38merge_mergepath_config_static_selectorELNS0_4arch9wavefront6targetE1EEEvSM_, .Lfunc_end891-_ZN7rocprim17ROCPRIM_400000_NS6detail17trampoline_kernelINS0_14default_configENS1_38merge_sort_block_merge_config_selectorIlNS0_10empty_typeEEEZZNS1_27merge_sort_block_merge_implIS3_PlPS5_mZN2at6native12_GLOBAL__N_124unique_dim_cuda_templateIfEESt5tupleIJNSA_6TensorESF_SF_EERKSF_lbbbEUlllE_EE10hipError_tT0_T1_T2_jT3_P12ihipStream_tbPNSt15iterator_traitsISL_E10value_typeEPNSR_ISM_E10value_typeEPSN_NS1_7vsmem_tEENKUlT_SL_SM_SN_E_clIS8_S8_S9_S9_EESK_S10_SL_SM_SN_EUlS10_E0_NS1_11comp_targetILNS1_3genE4ELNS1_11target_archE910ELNS1_3gpuE8ELNS1_3repE0EEENS1_38merge_mergepath_config_static_selectorELNS0_4arch9wavefront6targetE1EEEvSM_
                                        ; -- End function
	.set _ZN7rocprim17ROCPRIM_400000_NS6detail17trampoline_kernelINS0_14default_configENS1_38merge_sort_block_merge_config_selectorIlNS0_10empty_typeEEEZZNS1_27merge_sort_block_merge_implIS3_PlPS5_mZN2at6native12_GLOBAL__N_124unique_dim_cuda_templateIfEESt5tupleIJNSA_6TensorESF_SF_EERKSF_lbbbEUlllE_EE10hipError_tT0_T1_T2_jT3_P12ihipStream_tbPNSt15iterator_traitsISL_E10value_typeEPNSR_ISM_E10value_typeEPSN_NS1_7vsmem_tEENKUlT_SL_SM_SN_E_clIS8_S8_S9_S9_EESK_S10_SL_SM_SN_EUlS10_E0_NS1_11comp_targetILNS1_3genE4ELNS1_11target_archE910ELNS1_3gpuE8ELNS1_3repE0EEENS1_38merge_mergepath_config_static_selectorELNS0_4arch9wavefront6targetE1EEEvSM_.num_vgpr, 0
	.set _ZN7rocprim17ROCPRIM_400000_NS6detail17trampoline_kernelINS0_14default_configENS1_38merge_sort_block_merge_config_selectorIlNS0_10empty_typeEEEZZNS1_27merge_sort_block_merge_implIS3_PlPS5_mZN2at6native12_GLOBAL__N_124unique_dim_cuda_templateIfEESt5tupleIJNSA_6TensorESF_SF_EERKSF_lbbbEUlllE_EE10hipError_tT0_T1_T2_jT3_P12ihipStream_tbPNSt15iterator_traitsISL_E10value_typeEPNSR_ISM_E10value_typeEPSN_NS1_7vsmem_tEENKUlT_SL_SM_SN_E_clIS8_S8_S9_S9_EESK_S10_SL_SM_SN_EUlS10_E0_NS1_11comp_targetILNS1_3genE4ELNS1_11target_archE910ELNS1_3gpuE8ELNS1_3repE0EEENS1_38merge_mergepath_config_static_selectorELNS0_4arch9wavefront6targetE1EEEvSM_.num_agpr, 0
	.set _ZN7rocprim17ROCPRIM_400000_NS6detail17trampoline_kernelINS0_14default_configENS1_38merge_sort_block_merge_config_selectorIlNS0_10empty_typeEEEZZNS1_27merge_sort_block_merge_implIS3_PlPS5_mZN2at6native12_GLOBAL__N_124unique_dim_cuda_templateIfEESt5tupleIJNSA_6TensorESF_SF_EERKSF_lbbbEUlllE_EE10hipError_tT0_T1_T2_jT3_P12ihipStream_tbPNSt15iterator_traitsISL_E10value_typeEPNSR_ISM_E10value_typeEPSN_NS1_7vsmem_tEENKUlT_SL_SM_SN_E_clIS8_S8_S9_S9_EESK_S10_SL_SM_SN_EUlS10_E0_NS1_11comp_targetILNS1_3genE4ELNS1_11target_archE910ELNS1_3gpuE8ELNS1_3repE0EEENS1_38merge_mergepath_config_static_selectorELNS0_4arch9wavefront6targetE1EEEvSM_.numbered_sgpr, 0
	.set _ZN7rocprim17ROCPRIM_400000_NS6detail17trampoline_kernelINS0_14default_configENS1_38merge_sort_block_merge_config_selectorIlNS0_10empty_typeEEEZZNS1_27merge_sort_block_merge_implIS3_PlPS5_mZN2at6native12_GLOBAL__N_124unique_dim_cuda_templateIfEESt5tupleIJNSA_6TensorESF_SF_EERKSF_lbbbEUlllE_EE10hipError_tT0_T1_T2_jT3_P12ihipStream_tbPNSt15iterator_traitsISL_E10value_typeEPNSR_ISM_E10value_typeEPSN_NS1_7vsmem_tEENKUlT_SL_SM_SN_E_clIS8_S8_S9_S9_EESK_S10_SL_SM_SN_EUlS10_E0_NS1_11comp_targetILNS1_3genE4ELNS1_11target_archE910ELNS1_3gpuE8ELNS1_3repE0EEENS1_38merge_mergepath_config_static_selectorELNS0_4arch9wavefront6targetE1EEEvSM_.num_named_barrier, 0
	.set _ZN7rocprim17ROCPRIM_400000_NS6detail17trampoline_kernelINS0_14default_configENS1_38merge_sort_block_merge_config_selectorIlNS0_10empty_typeEEEZZNS1_27merge_sort_block_merge_implIS3_PlPS5_mZN2at6native12_GLOBAL__N_124unique_dim_cuda_templateIfEESt5tupleIJNSA_6TensorESF_SF_EERKSF_lbbbEUlllE_EE10hipError_tT0_T1_T2_jT3_P12ihipStream_tbPNSt15iterator_traitsISL_E10value_typeEPNSR_ISM_E10value_typeEPSN_NS1_7vsmem_tEENKUlT_SL_SM_SN_E_clIS8_S8_S9_S9_EESK_S10_SL_SM_SN_EUlS10_E0_NS1_11comp_targetILNS1_3genE4ELNS1_11target_archE910ELNS1_3gpuE8ELNS1_3repE0EEENS1_38merge_mergepath_config_static_selectorELNS0_4arch9wavefront6targetE1EEEvSM_.private_seg_size, 0
	.set _ZN7rocprim17ROCPRIM_400000_NS6detail17trampoline_kernelINS0_14default_configENS1_38merge_sort_block_merge_config_selectorIlNS0_10empty_typeEEEZZNS1_27merge_sort_block_merge_implIS3_PlPS5_mZN2at6native12_GLOBAL__N_124unique_dim_cuda_templateIfEESt5tupleIJNSA_6TensorESF_SF_EERKSF_lbbbEUlllE_EE10hipError_tT0_T1_T2_jT3_P12ihipStream_tbPNSt15iterator_traitsISL_E10value_typeEPNSR_ISM_E10value_typeEPSN_NS1_7vsmem_tEENKUlT_SL_SM_SN_E_clIS8_S8_S9_S9_EESK_S10_SL_SM_SN_EUlS10_E0_NS1_11comp_targetILNS1_3genE4ELNS1_11target_archE910ELNS1_3gpuE8ELNS1_3repE0EEENS1_38merge_mergepath_config_static_selectorELNS0_4arch9wavefront6targetE1EEEvSM_.uses_vcc, 0
	.set _ZN7rocprim17ROCPRIM_400000_NS6detail17trampoline_kernelINS0_14default_configENS1_38merge_sort_block_merge_config_selectorIlNS0_10empty_typeEEEZZNS1_27merge_sort_block_merge_implIS3_PlPS5_mZN2at6native12_GLOBAL__N_124unique_dim_cuda_templateIfEESt5tupleIJNSA_6TensorESF_SF_EERKSF_lbbbEUlllE_EE10hipError_tT0_T1_T2_jT3_P12ihipStream_tbPNSt15iterator_traitsISL_E10value_typeEPNSR_ISM_E10value_typeEPSN_NS1_7vsmem_tEENKUlT_SL_SM_SN_E_clIS8_S8_S9_S9_EESK_S10_SL_SM_SN_EUlS10_E0_NS1_11comp_targetILNS1_3genE4ELNS1_11target_archE910ELNS1_3gpuE8ELNS1_3repE0EEENS1_38merge_mergepath_config_static_selectorELNS0_4arch9wavefront6targetE1EEEvSM_.uses_flat_scratch, 0
	.set _ZN7rocprim17ROCPRIM_400000_NS6detail17trampoline_kernelINS0_14default_configENS1_38merge_sort_block_merge_config_selectorIlNS0_10empty_typeEEEZZNS1_27merge_sort_block_merge_implIS3_PlPS5_mZN2at6native12_GLOBAL__N_124unique_dim_cuda_templateIfEESt5tupleIJNSA_6TensorESF_SF_EERKSF_lbbbEUlllE_EE10hipError_tT0_T1_T2_jT3_P12ihipStream_tbPNSt15iterator_traitsISL_E10value_typeEPNSR_ISM_E10value_typeEPSN_NS1_7vsmem_tEENKUlT_SL_SM_SN_E_clIS8_S8_S9_S9_EESK_S10_SL_SM_SN_EUlS10_E0_NS1_11comp_targetILNS1_3genE4ELNS1_11target_archE910ELNS1_3gpuE8ELNS1_3repE0EEENS1_38merge_mergepath_config_static_selectorELNS0_4arch9wavefront6targetE1EEEvSM_.has_dyn_sized_stack, 0
	.set _ZN7rocprim17ROCPRIM_400000_NS6detail17trampoline_kernelINS0_14default_configENS1_38merge_sort_block_merge_config_selectorIlNS0_10empty_typeEEEZZNS1_27merge_sort_block_merge_implIS3_PlPS5_mZN2at6native12_GLOBAL__N_124unique_dim_cuda_templateIfEESt5tupleIJNSA_6TensorESF_SF_EERKSF_lbbbEUlllE_EE10hipError_tT0_T1_T2_jT3_P12ihipStream_tbPNSt15iterator_traitsISL_E10value_typeEPNSR_ISM_E10value_typeEPSN_NS1_7vsmem_tEENKUlT_SL_SM_SN_E_clIS8_S8_S9_S9_EESK_S10_SL_SM_SN_EUlS10_E0_NS1_11comp_targetILNS1_3genE4ELNS1_11target_archE910ELNS1_3gpuE8ELNS1_3repE0EEENS1_38merge_mergepath_config_static_selectorELNS0_4arch9wavefront6targetE1EEEvSM_.has_recursion, 0
	.set _ZN7rocprim17ROCPRIM_400000_NS6detail17trampoline_kernelINS0_14default_configENS1_38merge_sort_block_merge_config_selectorIlNS0_10empty_typeEEEZZNS1_27merge_sort_block_merge_implIS3_PlPS5_mZN2at6native12_GLOBAL__N_124unique_dim_cuda_templateIfEESt5tupleIJNSA_6TensorESF_SF_EERKSF_lbbbEUlllE_EE10hipError_tT0_T1_T2_jT3_P12ihipStream_tbPNSt15iterator_traitsISL_E10value_typeEPNSR_ISM_E10value_typeEPSN_NS1_7vsmem_tEENKUlT_SL_SM_SN_E_clIS8_S8_S9_S9_EESK_S10_SL_SM_SN_EUlS10_E0_NS1_11comp_targetILNS1_3genE4ELNS1_11target_archE910ELNS1_3gpuE8ELNS1_3repE0EEENS1_38merge_mergepath_config_static_selectorELNS0_4arch9wavefront6targetE1EEEvSM_.has_indirect_call, 0
	.section	.AMDGPU.csdata,"",@progbits
; Kernel info:
; codeLenInByte = 0
; TotalNumSgprs: 6
; NumVgprs: 0
; NumAgprs: 0
; TotalNumVgprs: 0
; ScratchSize: 0
; MemoryBound: 0
; FloatMode: 240
; IeeeMode: 1
; LDSByteSize: 0 bytes/workgroup (compile time only)
; SGPRBlocks: 0
; VGPRBlocks: 0
; NumSGPRsForWavesPerEU: 6
; NumVGPRsForWavesPerEU: 1
; AccumOffset: 4
; Occupancy: 8
; WaveLimiterHint : 0
; COMPUTE_PGM_RSRC2:SCRATCH_EN: 0
; COMPUTE_PGM_RSRC2:USER_SGPR: 2
; COMPUTE_PGM_RSRC2:TRAP_HANDLER: 0
; COMPUTE_PGM_RSRC2:TGID_X_EN: 1
; COMPUTE_PGM_RSRC2:TGID_Y_EN: 0
; COMPUTE_PGM_RSRC2:TGID_Z_EN: 0
; COMPUTE_PGM_RSRC2:TIDIG_COMP_CNT: 0
; COMPUTE_PGM_RSRC3_GFX90A:ACCUM_OFFSET: 0
; COMPUTE_PGM_RSRC3_GFX90A:TG_SPLIT: 0
	.section	.text._ZN7rocprim17ROCPRIM_400000_NS6detail17trampoline_kernelINS0_14default_configENS1_38merge_sort_block_merge_config_selectorIlNS0_10empty_typeEEEZZNS1_27merge_sort_block_merge_implIS3_PlPS5_mZN2at6native12_GLOBAL__N_124unique_dim_cuda_templateIfEESt5tupleIJNSA_6TensorESF_SF_EERKSF_lbbbEUlllE_EE10hipError_tT0_T1_T2_jT3_P12ihipStream_tbPNSt15iterator_traitsISL_E10value_typeEPNSR_ISM_E10value_typeEPSN_NS1_7vsmem_tEENKUlT_SL_SM_SN_E_clIS8_S8_S9_S9_EESK_S10_SL_SM_SN_EUlS10_E0_NS1_11comp_targetILNS1_3genE3ELNS1_11target_archE908ELNS1_3gpuE7ELNS1_3repE0EEENS1_38merge_mergepath_config_static_selectorELNS0_4arch9wavefront6targetE1EEEvSM_,"axG",@progbits,_ZN7rocprim17ROCPRIM_400000_NS6detail17trampoline_kernelINS0_14default_configENS1_38merge_sort_block_merge_config_selectorIlNS0_10empty_typeEEEZZNS1_27merge_sort_block_merge_implIS3_PlPS5_mZN2at6native12_GLOBAL__N_124unique_dim_cuda_templateIfEESt5tupleIJNSA_6TensorESF_SF_EERKSF_lbbbEUlllE_EE10hipError_tT0_T1_T2_jT3_P12ihipStream_tbPNSt15iterator_traitsISL_E10value_typeEPNSR_ISM_E10value_typeEPSN_NS1_7vsmem_tEENKUlT_SL_SM_SN_E_clIS8_S8_S9_S9_EESK_S10_SL_SM_SN_EUlS10_E0_NS1_11comp_targetILNS1_3genE3ELNS1_11target_archE908ELNS1_3gpuE7ELNS1_3repE0EEENS1_38merge_mergepath_config_static_selectorELNS0_4arch9wavefront6targetE1EEEvSM_,comdat
	.globl	_ZN7rocprim17ROCPRIM_400000_NS6detail17trampoline_kernelINS0_14default_configENS1_38merge_sort_block_merge_config_selectorIlNS0_10empty_typeEEEZZNS1_27merge_sort_block_merge_implIS3_PlPS5_mZN2at6native12_GLOBAL__N_124unique_dim_cuda_templateIfEESt5tupleIJNSA_6TensorESF_SF_EERKSF_lbbbEUlllE_EE10hipError_tT0_T1_T2_jT3_P12ihipStream_tbPNSt15iterator_traitsISL_E10value_typeEPNSR_ISM_E10value_typeEPSN_NS1_7vsmem_tEENKUlT_SL_SM_SN_E_clIS8_S8_S9_S9_EESK_S10_SL_SM_SN_EUlS10_E0_NS1_11comp_targetILNS1_3genE3ELNS1_11target_archE908ELNS1_3gpuE7ELNS1_3repE0EEENS1_38merge_mergepath_config_static_selectorELNS0_4arch9wavefront6targetE1EEEvSM_ ; -- Begin function _ZN7rocprim17ROCPRIM_400000_NS6detail17trampoline_kernelINS0_14default_configENS1_38merge_sort_block_merge_config_selectorIlNS0_10empty_typeEEEZZNS1_27merge_sort_block_merge_implIS3_PlPS5_mZN2at6native12_GLOBAL__N_124unique_dim_cuda_templateIfEESt5tupleIJNSA_6TensorESF_SF_EERKSF_lbbbEUlllE_EE10hipError_tT0_T1_T2_jT3_P12ihipStream_tbPNSt15iterator_traitsISL_E10value_typeEPNSR_ISM_E10value_typeEPSN_NS1_7vsmem_tEENKUlT_SL_SM_SN_E_clIS8_S8_S9_S9_EESK_S10_SL_SM_SN_EUlS10_E0_NS1_11comp_targetILNS1_3genE3ELNS1_11target_archE908ELNS1_3gpuE7ELNS1_3repE0EEENS1_38merge_mergepath_config_static_selectorELNS0_4arch9wavefront6targetE1EEEvSM_
	.p2align	8
	.type	_ZN7rocprim17ROCPRIM_400000_NS6detail17trampoline_kernelINS0_14default_configENS1_38merge_sort_block_merge_config_selectorIlNS0_10empty_typeEEEZZNS1_27merge_sort_block_merge_implIS3_PlPS5_mZN2at6native12_GLOBAL__N_124unique_dim_cuda_templateIfEESt5tupleIJNSA_6TensorESF_SF_EERKSF_lbbbEUlllE_EE10hipError_tT0_T1_T2_jT3_P12ihipStream_tbPNSt15iterator_traitsISL_E10value_typeEPNSR_ISM_E10value_typeEPSN_NS1_7vsmem_tEENKUlT_SL_SM_SN_E_clIS8_S8_S9_S9_EESK_S10_SL_SM_SN_EUlS10_E0_NS1_11comp_targetILNS1_3genE3ELNS1_11target_archE908ELNS1_3gpuE7ELNS1_3repE0EEENS1_38merge_mergepath_config_static_selectorELNS0_4arch9wavefront6targetE1EEEvSM_,@function
_ZN7rocprim17ROCPRIM_400000_NS6detail17trampoline_kernelINS0_14default_configENS1_38merge_sort_block_merge_config_selectorIlNS0_10empty_typeEEEZZNS1_27merge_sort_block_merge_implIS3_PlPS5_mZN2at6native12_GLOBAL__N_124unique_dim_cuda_templateIfEESt5tupleIJNSA_6TensorESF_SF_EERKSF_lbbbEUlllE_EE10hipError_tT0_T1_T2_jT3_P12ihipStream_tbPNSt15iterator_traitsISL_E10value_typeEPNSR_ISM_E10value_typeEPSN_NS1_7vsmem_tEENKUlT_SL_SM_SN_E_clIS8_S8_S9_S9_EESK_S10_SL_SM_SN_EUlS10_E0_NS1_11comp_targetILNS1_3genE3ELNS1_11target_archE908ELNS1_3gpuE7ELNS1_3repE0EEENS1_38merge_mergepath_config_static_selectorELNS0_4arch9wavefront6targetE1EEEvSM_: ; @_ZN7rocprim17ROCPRIM_400000_NS6detail17trampoline_kernelINS0_14default_configENS1_38merge_sort_block_merge_config_selectorIlNS0_10empty_typeEEEZZNS1_27merge_sort_block_merge_implIS3_PlPS5_mZN2at6native12_GLOBAL__N_124unique_dim_cuda_templateIfEESt5tupleIJNSA_6TensorESF_SF_EERKSF_lbbbEUlllE_EE10hipError_tT0_T1_T2_jT3_P12ihipStream_tbPNSt15iterator_traitsISL_E10value_typeEPNSR_ISM_E10value_typeEPSN_NS1_7vsmem_tEENKUlT_SL_SM_SN_E_clIS8_S8_S9_S9_EESK_S10_SL_SM_SN_EUlS10_E0_NS1_11comp_targetILNS1_3genE3ELNS1_11target_archE908ELNS1_3gpuE7ELNS1_3repE0EEENS1_38merge_mergepath_config_static_selectorELNS0_4arch9wavefront6targetE1EEEvSM_
; %bb.0:
	.section	.rodata,"a",@progbits
	.p2align	6, 0x0
	.amdhsa_kernel _ZN7rocprim17ROCPRIM_400000_NS6detail17trampoline_kernelINS0_14default_configENS1_38merge_sort_block_merge_config_selectorIlNS0_10empty_typeEEEZZNS1_27merge_sort_block_merge_implIS3_PlPS5_mZN2at6native12_GLOBAL__N_124unique_dim_cuda_templateIfEESt5tupleIJNSA_6TensorESF_SF_EERKSF_lbbbEUlllE_EE10hipError_tT0_T1_T2_jT3_P12ihipStream_tbPNSt15iterator_traitsISL_E10value_typeEPNSR_ISM_E10value_typeEPSN_NS1_7vsmem_tEENKUlT_SL_SM_SN_E_clIS8_S8_S9_S9_EESK_S10_SL_SM_SN_EUlS10_E0_NS1_11comp_targetILNS1_3genE3ELNS1_11target_archE908ELNS1_3gpuE7ELNS1_3repE0EEENS1_38merge_mergepath_config_static_selectorELNS0_4arch9wavefront6targetE1EEEvSM_
		.amdhsa_group_segment_fixed_size 0
		.amdhsa_private_segment_fixed_size 0
		.amdhsa_kernarg_size 88
		.amdhsa_user_sgpr_count 2
		.amdhsa_user_sgpr_dispatch_ptr 0
		.amdhsa_user_sgpr_queue_ptr 0
		.amdhsa_user_sgpr_kernarg_segment_ptr 1
		.amdhsa_user_sgpr_dispatch_id 0
		.amdhsa_user_sgpr_kernarg_preload_length 0
		.amdhsa_user_sgpr_kernarg_preload_offset 0
		.amdhsa_user_sgpr_private_segment_size 0
		.amdhsa_uses_dynamic_stack 0
		.amdhsa_enable_private_segment 0
		.amdhsa_system_sgpr_workgroup_id_x 1
		.amdhsa_system_sgpr_workgroup_id_y 0
		.amdhsa_system_sgpr_workgroup_id_z 0
		.amdhsa_system_sgpr_workgroup_info 0
		.amdhsa_system_vgpr_workitem_id 0
		.amdhsa_next_free_vgpr 1
		.amdhsa_next_free_sgpr 0
		.amdhsa_accum_offset 4
		.amdhsa_reserve_vcc 0
		.amdhsa_float_round_mode_32 0
		.amdhsa_float_round_mode_16_64 0
		.amdhsa_float_denorm_mode_32 3
		.amdhsa_float_denorm_mode_16_64 3
		.amdhsa_dx10_clamp 1
		.amdhsa_ieee_mode 1
		.amdhsa_fp16_overflow 0
		.amdhsa_tg_split 0
		.amdhsa_exception_fp_ieee_invalid_op 0
		.amdhsa_exception_fp_denorm_src 0
		.amdhsa_exception_fp_ieee_div_zero 0
		.amdhsa_exception_fp_ieee_overflow 0
		.amdhsa_exception_fp_ieee_underflow 0
		.amdhsa_exception_fp_ieee_inexact 0
		.amdhsa_exception_int_div_zero 0
	.end_amdhsa_kernel
	.section	.text._ZN7rocprim17ROCPRIM_400000_NS6detail17trampoline_kernelINS0_14default_configENS1_38merge_sort_block_merge_config_selectorIlNS0_10empty_typeEEEZZNS1_27merge_sort_block_merge_implIS3_PlPS5_mZN2at6native12_GLOBAL__N_124unique_dim_cuda_templateIfEESt5tupleIJNSA_6TensorESF_SF_EERKSF_lbbbEUlllE_EE10hipError_tT0_T1_T2_jT3_P12ihipStream_tbPNSt15iterator_traitsISL_E10value_typeEPNSR_ISM_E10value_typeEPSN_NS1_7vsmem_tEENKUlT_SL_SM_SN_E_clIS8_S8_S9_S9_EESK_S10_SL_SM_SN_EUlS10_E0_NS1_11comp_targetILNS1_3genE3ELNS1_11target_archE908ELNS1_3gpuE7ELNS1_3repE0EEENS1_38merge_mergepath_config_static_selectorELNS0_4arch9wavefront6targetE1EEEvSM_,"axG",@progbits,_ZN7rocprim17ROCPRIM_400000_NS6detail17trampoline_kernelINS0_14default_configENS1_38merge_sort_block_merge_config_selectorIlNS0_10empty_typeEEEZZNS1_27merge_sort_block_merge_implIS3_PlPS5_mZN2at6native12_GLOBAL__N_124unique_dim_cuda_templateIfEESt5tupleIJNSA_6TensorESF_SF_EERKSF_lbbbEUlllE_EE10hipError_tT0_T1_T2_jT3_P12ihipStream_tbPNSt15iterator_traitsISL_E10value_typeEPNSR_ISM_E10value_typeEPSN_NS1_7vsmem_tEENKUlT_SL_SM_SN_E_clIS8_S8_S9_S9_EESK_S10_SL_SM_SN_EUlS10_E0_NS1_11comp_targetILNS1_3genE3ELNS1_11target_archE908ELNS1_3gpuE7ELNS1_3repE0EEENS1_38merge_mergepath_config_static_selectorELNS0_4arch9wavefront6targetE1EEEvSM_,comdat
.Lfunc_end892:
	.size	_ZN7rocprim17ROCPRIM_400000_NS6detail17trampoline_kernelINS0_14default_configENS1_38merge_sort_block_merge_config_selectorIlNS0_10empty_typeEEEZZNS1_27merge_sort_block_merge_implIS3_PlPS5_mZN2at6native12_GLOBAL__N_124unique_dim_cuda_templateIfEESt5tupleIJNSA_6TensorESF_SF_EERKSF_lbbbEUlllE_EE10hipError_tT0_T1_T2_jT3_P12ihipStream_tbPNSt15iterator_traitsISL_E10value_typeEPNSR_ISM_E10value_typeEPSN_NS1_7vsmem_tEENKUlT_SL_SM_SN_E_clIS8_S8_S9_S9_EESK_S10_SL_SM_SN_EUlS10_E0_NS1_11comp_targetILNS1_3genE3ELNS1_11target_archE908ELNS1_3gpuE7ELNS1_3repE0EEENS1_38merge_mergepath_config_static_selectorELNS0_4arch9wavefront6targetE1EEEvSM_, .Lfunc_end892-_ZN7rocprim17ROCPRIM_400000_NS6detail17trampoline_kernelINS0_14default_configENS1_38merge_sort_block_merge_config_selectorIlNS0_10empty_typeEEEZZNS1_27merge_sort_block_merge_implIS3_PlPS5_mZN2at6native12_GLOBAL__N_124unique_dim_cuda_templateIfEESt5tupleIJNSA_6TensorESF_SF_EERKSF_lbbbEUlllE_EE10hipError_tT0_T1_T2_jT3_P12ihipStream_tbPNSt15iterator_traitsISL_E10value_typeEPNSR_ISM_E10value_typeEPSN_NS1_7vsmem_tEENKUlT_SL_SM_SN_E_clIS8_S8_S9_S9_EESK_S10_SL_SM_SN_EUlS10_E0_NS1_11comp_targetILNS1_3genE3ELNS1_11target_archE908ELNS1_3gpuE7ELNS1_3repE0EEENS1_38merge_mergepath_config_static_selectorELNS0_4arch9wavefront6targetE1EEEvSM_
                                        ; -- End function
	.set _ZN7rocprim17ROCPRIM_400000_NS6detail17trampoline_kernelINS0_14default_configENS1_38merge_sort_block_merge_config_selectorIlNS0_10empty_typeEEEZZNS1_27merge_sort_block_merge_implIS3_PlPS5_mZN2at6native12_GLOBAL__N_124unique_dim_cuda_templateIfEESt5tupleIJNSA_6TensorESF_SF_EERKSF_lbbbEUlllE_EE10hipError_tT0_T1_T2_jT3_P12ihipStream_tbPNSt15iterator_traitsISL_E10value_typeEPNSR_ISM_E10value_typeEPSN_NS1_7vsmem_tEENKUlT_SL_SM_SN_E_clIS8_S8_S9_S9_EESK_S10_SL_SM_SN_EUlS10_E0_NS1_11comp_targetILNS1_3genE3ELNS1_11target_archE908ELNS1_3gpuE7ELNS1_3repE0EEENS1_38merge_mergepath_config_static_selectorELNS0_4arch9wavefront6targetE1EEEvSM_.num_vgpr, 0
	.set _ZN7rocprim17ROCPRIM_400000_NS6detail17trampoline_kernelINS0_14default_configENS1_38merge_sort_block_merge_config_selectorIlNS0_10empty_typeEEEZZNS1_27merge_sort_block_merge_implIS3_PlPS5_mZN2at6native12_GLOBAL__N_124unique_dim_cuda_templateIfEESt5tupleIJNSA_6TensorESF_SF_EERKSF_lbbbEUlllE_EE10hipError_tT0_T1_T2_jT3_P12ihipStream_tbPNSt15iterator_traitsISL_E10value_typeEPNSR_ISM_E10value_typeEPSN_NS1_7vsmem_tEENKUlT_SL_SM_SN_E_clIS8_S8_S9_S9_EESK_S10_SL_SM_SN_EUlS10_E0_NS1_11comp_targetILNS1_3genE3ELNS1_11target_archE908ELNS1_3gpuE7ELNS1_3repE0EEENS1_38merge_mergepath_config_static_selectorELNS0_4arch9wavefront6targetE1EEEvSM_.num_agpr, 0
	.set _ZN7rocprim17ROCPRIM_400000_NS6detail17trampoline_kernelINS0_14default_configENS1_38merge_sort_block_merge_config_selectorIlNS0_10empty_typeEEEZZNS1_27merge_sort_block_merge_implIS3_PlPS5_mZN2at6native12_GLOBAL__N_124unique_dim_cuda_templateIfEESt5tupleIJNSA_6TensorESF_SF_EERKSF_lbbbEUlllE_EE10hipError_tT0_T1_T2_jT3_P12ihipStream_tbPNSt15iterator_traitsISL_E10value_typeEPNSR_ISM_E10value_typeEPSN_NS1_7vsmem_tEENKUlT_SL_SM_SN_E_clIS8_S8_S9_S9_EESK_S10_SL_SM_SN_EUlS10_E0_NS1_11comp_targetILNS1_3genE3ELNS1_11target_archE908ELNS1_3gpuE7ELNS1_3repE0EEENS1_38merge_mergepath_config_static_selectorELNS0_4arch9wavefront6targetE1EEEvSM_.numbered_sgpr, 0
	.set _ZN7rocprim17ROCPRIM_400000_NS6detail17trampoline_kernelINS0_14default_configENS1_38merge_sort_block_merge_config_selectorIlNS0_10empty_typeEEEZZNS1_27merge_sort_block_merge_implIS3_PlPS5_mZN2at6native12_GLOBAL__N_124unique_dim_cuda_templateIfEESt5tupleIJNSA_6TensorESF_SF_EERKSF_lbbbEUlllE_EE10hipError_tT0_T1_T2_jT3_P12ihipStream_tbPNSt15iterator_traitsISL_E10value_typeEPNSR_ISM_E10value_typeEPSN_NS1_7vsmem_tEENKUlT_SL_SM_SN_E_clIS8_S8_S9_S9_EESK_S10_SL_SM_SN_EUlS10_E0_NS1_11comp_targetILNS1_3genE3ELNS1_11target_archE908ELNS1_3gpuE7ELNS1_3repE0EEENS1_38merge_mergepath_config_static_selectorELNS0_4arch9wavefront6targetE1EEEvSM_.num_named_barrier, 0
	.set _ZN7rocprim17ROCPRIM_400000_NS6detail17trampoline_kernelINS0_14default_configENS1_38merge_sort_block_merge_config_selectorIlNS0_10empty_typeEEEZZNS1_27merge_sort_block_merge_implIS3_PlPS5_mZN2at6native12_GLOBAL__N_124unique_dim_cuda_templateIfEESt5tupleIJNSA_6TensorESF_SF_EERKSF_lbbbEUlllE_EE10hipError_tT0_T1_T2_jT3_P12ihipStream_tbPNSt15iterator_traitsISL_E10value_typeEPNSR_ISM_E10value_typeEPSN_NS1_7vsmem_tEENKUlT_SL_SM_SN_E_clIS8_S8_S9_S9_EESK_S10_SL_SM_SN_EUlS10_E0_NS1_11comp_targetILNS1_3genE3ELNS1_11target_archE908ELNS1_3gpuE7ELNS1_3repE0EEENS1_38merge_mergepath_config_static_selectorELNS0_4arch9wavefront6targetE1EEEvSM_.private_seg_size, 0
	.set _ZN7rocprim17ROCPRIM_400000_NS6detail17trampoline_kernelINS0_14default_configENS1_38merge_sort_block_merge_config_selectorIlNS0_10empty_typeEEEZZNS1_27merge_sort_block_merge_implIS3_PlPS5_mZN2at6native12_GLOBAL__N_124unique_dim_cuda_templateIfEESt5tupleIJNSA_6TensorESF_SF_EERKSF_lbbbEUlllE_EE10hipError_tT0_T1_T2_jT3_P12ihipStream_tbPNSt15iterator_traitsISL_E10value_typeEPNSR_ISM_E10value_typeEPSN_NS1_7vsmem_tEENKUlT_SL_SM_SN_E_clIS8_S8_S9_S9_EESK_S10_SL_SM_SN_EUlS10_E0_NS1_11comp_targetILNS1_3genE3ELNS1_11target_archE908ELNS1_3gpuE7ELNS1_3repE0EEENS1_38merge_mergepath_config_static_selectorELNS0_4arch9wavefront6targetE1EEEvSM_.uses_vcc, 0
	.set _ZN7rocprim17ROCPRIM_400000_NS6detail17trampoline_kernelINS0_14default_configENS1_38merge_sort_block_merge_config_selectorIlNS0_10empty_typeEEEZZNS1_27merge_sort_block_merge_implIS3_PlPS5_mZN2at6native12_GLOBAL__N_124unique_dim_cuda_templateIfEESt5tupleIJNSA_6TensorESF_SF_EERKSF_lbbbEUlllE_EE10hipError_tT0_T1_T2_jT3_P12ihipStream_tbPNSt15iterator_traitsISL_E10value_typeEPNSR_ISM_E10value_typeEPSN_NS1_7vsmem_tEENKUlT_SL_SM_SN_E_clIS8_S8_S9_S9_EESK_S10_SL_SM_SN_EUlS10_E0_NS1_11comp_targetILNS1_3genE3ELNS1_11target_archE908ELNS1_3gpuE7ELNS1_3repE0EEENS1_38merge_mergepath_config_static_selectorELNS0_4arch9wavefront6targetE1EEEvSM_.uses_flat_scratch, 0
	.set _ZN7rocprim17ROCPRIM_400000_NS6detail17trampoline_kernelINS0_14default_configENS1_38merge_sort_block_merge_config_selectorIlNS0_10empty_typeEEEZZNS1_27merge_sort_block_merge_implIS3_PlPS5_mZN2at6native12_GLOBAL__N_124unique_dim_cuda_templateIfEESt5tupleIJNSA_6TensorESF_SF_EERKSF_lbbbEUlllE_EE10hipError_tT0_T1_T2_jT3_P12ihipStream_tbPNSt15iterator_traitsISL_E10value_typeEPNSR_ISM_E10value_typeEPSN_NS1_7vsmem_tEENKUlT_SL_SM_SN_E_clIS8_S8_S9_S9_EESK_S10_SL_SM_SN_EUlS10_E0_NS1_11comp_targetILNS1_3genE3ELNS1_11target_archE908ELNS1_3gpuE7ELNS1_3repE0EEENS1_38merge_mergepath_config_static_selectorELNS0_4arch9wavefront6targetE1EEEvSM_.has_dyn_sized_stack, 0
	.set _ZN7rocprim17ROCPRIM_400000_NS6detail17trampoline_kernelINS0_14default_configENS1_38merge_sort_block_merge_config_selectorIlNS0_10empty_typeEEEZZNS1_27merge_sort_block_merge_implIS3_PlPS5_mZN2at6native12_GLOBAL__N_124unique_dim_cuda_templateIfEESt5tupleIJNSA_6TensorESF_SF_EERKSF_lbbbEUlllE_EE10hipError_tT0_T1_T2_jT3_P12ihipStream_tbPNSt15iterator_traitsISL_E10value_typeEPNSR_ISM_E10value_typeEPSN_NS1_7vsmem_tEENKUlT_SL_SM_SN_E_clIS8_S8_S9_S9_EESK_S10_SL_SM_SN_EUlS10_E0_NS1_11comp_targetILNS1_3genE3ELNS1_11target_archE908ELNS1_3gpuE7ELNS1_3repE0EEENS1_38merge_mergepath_config_static_selectorELNS0_4arch9wavefront6targetE1EEEvSM_.has_recursion, 0
	.set _ZN7rocprim17ROCPRIM_400000_NS6detail17trampoline_kernelINS0_14default_configENS1_38merge_sort_block_merge_config_selectorIlNS0_10empty_typeEEEZZNS1_27merge_sort_block_merge_implIS3_PlPS5_mZN2at6native12_GLOBAL__N_124unique_dim_cuda_templateIfEESt5tupleIJNSA_6TensorESF_SF_EERKSF_lbbbEUlllE_EE10hipError_tT0_T1_T2_jT3_P12ihipStream_tbPNSt15iterator_traitsISL_E10value_typeEPNSR_ISM_E10value_typeEPSN_NS1_7vsmem_tEENKUlT_SL_SM_SN_E_clIS8_S8_S9_S9_EESK_S10_SL_SM_SN_EUlS10_E0_NS1_11comp_targetILNS1_3genE3ELNS1_11target_archE908ELNS1_3gpuE7ELNS1_3repE0EEENS1_38merge_mergepath_config_static_selectorELNS0_4arch9wavefront6targetE1EEEvSM_.has_indirect_call, 0
	.section	.AMDGPU.csdata,"",@progbits
; Kernel info:
; codeLenInByte = 0
; TotalNumSgprs: 6
; NumVgprs: 0
; NumAgprs: 0
; TotalNumVgprs: 0
; ScratchSize: 0
; MemoryBound: 0
; FloatMode: 240
; IeeeMode: 1
; LDSByteSize: 0 bytes/workgroup (compile time only)
; SGPRBlocks: 0
; VGPRBlocks: 0
; NumSGPRsForWavesPerEU: 6
; NumVGPRsForWavesPerEU: 1
; AccumOffset: 4
; Occupancy: 8
; WaveLimiterHint : 0
; COMPUTE_PGM_RSRC2:SCRATCH_EN: 0
; COMPUTE_PGM_RSRC2:USER_SGPR: 2
; COMPUTE_PGM_RSRC2:TRAP_HANDLER: 0
; COMPUTE_PGM_RSRC2:TGID_X_EN: 1
; COMPUTE_PGM_RSRC2:TGID_Y_EN: 0
; COMPUTE_PGM_RSRC2:TGID_Z_EN: 0
; COMPUTE_PGM_RSRC2:TIDIG_COMP_CNT: 0
; COMPUTE_PGM_RSRC3_GFX90A:ACCUM_OFFSET: 0
; COMPUTE_PGM_RSRC3_GFX90A:TG_SPLIT: 0
	.section	.text._ZN7rocprim17ROCPRIM_400000_NS6detail17trampoline_kernelINS0_14default_configENS1_38merge_sort_block_merge_config_selectorIlNS0_10empty_typeEEEZZNS1_27merge_sort_block_merge_implIS3_PlPS5_mZN2at6native12_GLOBAL__N_124unique_dim_cuda_templateIfEESt5tupleIJNSA_6TensorESF_SF_EERKSF_lbbbEUlllE_EE10hipError_tT0_T1_T2_jT3_P12ihipStream_tbPNSt15iterator_traitsISL_E10value_typeEPNSR_ISM_E10value_typeEPSN_NS1_7vsmem_tEENKUlT_SL_SM_SN_E_clIS8_S8_S9_S9_EESK_S10_SL_SM_SN_EUlS10_E0_NS1_11comp_targetILNS1_3genE2ELNS1_11target_archE906ELNS1_3gpuE6ELNS1_3repE0EEENS1_38merge_mergepath_config_static_selectorELNS0_4arch9wavefront6targetE1EEEvSM_,"axG",@progbits,_ZN7rocprim17ROCPRIM_400000_NS6detail17trampoline_kernelINS0_14default_configENS1_38merge_sort_block_merge_config_selectorIlNS0_10empty_typeEEEZZNS1_27merge_sort_block_merge_implIS3_PlPS5_mZN2at6native12_GLOBAL__N_124unique_dim_cuda_templateIfEESt5tupleIJNSA_6TensorESF_SF_EERKSF_lbbbEUlllE_EE10hipError_tT0_T1_T2_jT3_P12ihipStream_tbPNSt15iterator_traitsISL_E10value_typeEPNSR_ISM_E10value_typeEPSN_NS1_7vsmem_tEENKUlT_SL_SM_SN_E_clIS8_S8_S9_S9_EESK_S10_SL_SM_SN_EUlS10_E0_NS1_11comp_targetILNS1_3genE2ELNS1_11target_archE906ELNS1_3gpuE6ELNS1_3repE0EEENS1_38merge_mergepath_config_static_selectorELNS0_4arch9wavefront6targetE1EEEvSM_,comdat
	.globl	_ZN7rocprim17ROCPRIM_400000_NS6detail17trampoline_kernelINS0_14default_configENS1_38merge_sort_block_merge_config_selectorIlNS0_10empty_typeEEEZZNS1_27merge_sort_block_merge_implIS3_PlPS5_mZN2at6native12_GLOBAL__N_124unique_dim_cuda_templateIfEESt5tupleIJNSA_6TensorESF_SF_EERKSF_lbbbEUlllE_EE10hipError_tT0_T1_T2_jT3_P12ihipStream_tbPNSt15iterator_traitsISL_E10value_typeEPNSR_ISM_E10value_typeEPSN_NS1_7vsmem_tEENKUlT_SL_SM_SN_E_clIS8_S8_S9_S9_EESK_S10_SL_SM_SN_EUlS10_E0_NS1_11comp_targetILNS1_3genE2ELNS1_11target_archE906ELNS1_3gpuE6ELNS1_3repE0EEENS1_38merge_mergepath_config_static_selectorELNS0_4arch9wavefront6targetE1EEEvSM_ ; -- Begin function _ZN7rocprim17ROCPRIM_400000_NS6detail17trampoline_kernelINS0_14default_configENS1_38merge_sort_block_merge_config_selectorIlNS0_10empty_typeEEEZZNS1_27merge_sort_block_merge_implIS3_PlPS5_mZN2at6native12_GLOBAL__N_124unique_dim_cuda_templateIfEESt5tupleIJNSA_6TensorESF_SF_EERKSF_lbbbEUlllE_EE10hipError_tT0_T1_T2_jT3_P12ihipStream_tbPNSt15iterator_traitsISL_E10value_typeEPNSR_ISM_E10value_typeEPSN_NS1_7vsmem_tEENKUlT_SL_SM_SN_E_clIS8_S8_S9_S9_EESK_S10_SL_SM_SN_EUlS10_E0_NS1_11comp_targetILNS1_3genE2ELNS1_11target_archE906ELNS1_3gpuE6ELNS1_3repE0EEENS1_38merge_mergepath_config_static_selectorELNS0_4arch9wavefront6targetE1EEEvSM_
	.p2align	8
	.type	_ZN7rocprim17ROCPRIM_400000_NS6detail17trampoline_kernelINS0_14default_configENS1_38merge_sort_block_merge_config_selectorIlNS0_10empty_typeEEEZZNS1_27merge_sort_block_merge_implIS3_PlPS5_mZN2at6native12_GLOBAL__N_124unique_dim_cuda_templateIfEESt5tupleIJNSA_6TensorESF_SF_EERKSF_lbbbEUlllE_EE10hipError_tT0_T1_T2_jT3_P12ihipStream_tbPNSt15iterator_traitsISL_E10value_typeEPNSR_ISM_E10value_typeEPSN_NS1_7vsmem_tEENKUlT_SL_SM_SN_E_clIS8_S8_S9_S9_EESK_S10_SL_SM_SN_EUlS10_E0_NS1_11comp_targetILNS1_3genE2ELNS1_11target_archE906ELNS1_3gpuE6ELNS1_3repE0EEENS1_38merge_mergepath_config_static_selectorELNS0_4arch9wavefront6targetE1EEEvSM_,@function
_ZN7rocprim17ROCPRIM_400000_NS6detail17trampoline_kernelINS0_14default_configENS1_38merge_sort_block_merge_config_selectorIlNS0_10empty_typeEEEZZNS1_27merge_sort_block_merge_implIS3_PlPS5_mZN2at6native12_GLOBAL__N_124unique_dim_cuda_templateIfEESt5tupleIJNSA_6TensorESF_SF_EERKSF_lbbbEUlllE_EE10hipError_tT0_T1_T2_jT3_P12ihipStream_tbPNSt15iterator_traitsISL_E10value_typeEPNSR_ISM_E10value_typeEPSN_NS1_7vsmem_tEENKUlT_SL_SM_SN_E_clIS8_S8_S9_S9_EESK_S10_SL_SM_SN_EUlS10_E0_NS1_11comp_targetILNS1_3genE2ELNS1_11target_archE906ELNS1_3gpuE6ELNS1_3repE0EEENS1_38merge_mergepath_config_static_selectorELNS0_4arch9wavefront6targetE1EEEvSM_: ; @_ZN7rocprim17ROCPRIM_400000_NS6detail17trampoline_kernelINS0_14default_configENS1_38merge_sort_block_merge_config_selectorIlNS0_10empty_typeEEEZZNS1_27merge_sort_block_merge_implIS3_PlPS5_mZN2at6native12_GLOBAL__N_124unique_dim_cuda_templateIfEESt5tupleIJNSA_6TensorESF_SF_EERKSF_lbbbEUlllE_EE10hipError_tT0_T1_T2_jT3_P12ihipStream_tbPNSt15iterator_traitsISL_E10value_typeEPNSR_ISM_E10value_typeEPSN_NS1_7vsmem_tEENKUlT_SL_SM_SN_E_clIS8_S8_S9_S9_EESK_S10_SL_SM_SN_EUlS10_E0_NS1_11comp_targetILNS1_3genE2ELNS1_11target_archE906ELNS1_3gpuE6ELNS1_3repE0EEENS1_38merge_mergepath_config_static_selectorELNS0_4arch9wavefront6targetE1EEEvSM_
; %bb.0:
	.section	.rodata,"a",@progbits
	.p2align	6, 0x0
	.amdhsa_kernel _ZN7rocprim17ROCPRIM_400000_NS6detail17trampoline_kernelINS0_14default_configENS1_38merge_sort_block_merge_config_selectorIlNS0_10empty_typeEEEZZNS1_27merge_sort_block_merge_implIS3_PlPS5_mZN2at6native12_GLOBAL__N_124unique_dim_cuda_templateIfEESt5tupleIJNSA_6TensorESF_SF_EERKSF_lbbbEUlllE_EE10hipError_tT0_T1_T2_jT3_P12ihipStream_tbPNSt15iterator_traitsISL_E10value_typeEPNSR_ISM_E10value_typeEPSN_NS1_7vsmem_tEENKUlT_SL_SM_SN_E_clIS8_S8_S9_S9_EESK_S10_SL_SM_SN_EUlS10_E0_NS1_11comp_targetILNS1_3genE2ELNS1_11target_archE906ELNS1_3gpuE6ELNS1_3repE0EEENS1_38merge_mergepath_config_static_selectorELNS0_4arch9wavefront6targetE1EEEvSM_
		.amdhsa_group_segment_fixed_size 0
		.amdhsa_private_segment_fixed_size 0
		.amdhsa_kernarg_size 88
		.amdhsa_user_sgpr_count 2
		.amdhsa_user_sgpr_dispatch_ptr 0
		.amdhsa_user_sgpr_queue_ptr 0
		.amdhsa_user_sgpr_kernarg_segment_ptr 1
		.amdhsa_user_sgpr_dispatch_id 0
		.amdhsa_user_sgpr_kernarg_preload_length 0
		.amdhsa_user_sgpr_kernarg_preload_offset 0
		.amdhsa_user_sgpr_private_segment_size 0
		.amdhsa_uses_dynamic_stack 0
		.amdhsa_enable_private_segment 0
		.amdhsa_system_sgpr_workgroup_id_x 1
		.amdhsa_system_sgpr_workgroup_id_y 0
		.amdhsa_system_sgpr_workgroup_id_z 0
		.amdhsa_system_sgpr_workgroup_info 0
		.amdhsa_system_vgpr_workitem_id 0
		.amdhsa_next_free_vgpr 1
		.amdhsa_next_free_sgpr 0
		.amdhsa_accum_offset 4
		.amdhsa_reserve_vcc 0
		.amdhsa_float_round_mode_32 0
		.amdhsa_float_round_mode_16_64 0
		.amdhsa_float_denorm_mode_32 3
		.amdhsa_float_denorm_mode_16_64 3
		.amdhsa_dx10_clamp 1
		.amdhsa_ieee_mode 1
		.amdhsa_fp16_overflow 0
		.amdhsa_tg_split 0
		.amdhsa_exception_fp_ieee_invalid_op 0
		.amdhsa_exception_fp_denorm_src 0
		.amdhsa_exception_fp_ieee_div_zero 0
		.amdhsa_exception_fp_ieee_overflow 0
		.amdhsa_exception_fp_ieee_underflow 0
		.amdhsa_exception_fp_ieee_inexact 0
		.amdhsa_exception_int_div_zero 0
	.end_amdhsa_kernel
	.section	.text._ZN7rocprim17ROCPRIM_400000_NS6detail17trampoline_kernelINS0_14default_configENS1_38merge_sort_block_merge_config_selectorIlNS0_10empty_typeEEEZZNS1_27merge_sort_block_merge_implIS3_PlPS5_mZN2at6native12_GLOBAL__N_124unique_dim_cuda_templateIfEESt5tupleIJNSA_6TensorESF_SF_EERKSF_lbbbEUlllE_EE10hipError_tT0_T1_T2_jT3_P12ihipStream_tbPNSt15iterator_traitsISL_E10value_typeEPNSR_ISM_E10value_typeEPSN_NS1_7vsmem_tEENKUlT_SL_SM_SN_E_clIS8_S8_S9_S9_EESK_S10_SL_SM_SN_EUlS10_E0_NS1_11comp_targetILNS1_3genE2ELNS1_11target_archE906ELNS1_3gpuE6ELNS1_3repE0EEENS1_38merge_mergepath_config_static_selectorELNS0_4arch9wavefront6targetE1EEEvSM_,"axG",@progbits,_ZN7rocprim17ROCPRIM_400000_NS6detail17trampoline_kernelINS0_14default_configENS1_38merge_sort_block_merge_config_selectorIlNS0_10empty_typeEEEZZNS1_27merge_sort_block_merge_implIS3_PlPS5_mZN2at6native12_GLOBAL__N_124unique_dim_cuda_templateIfEESt5tupleIJNSA_6TensorESF_SF_EERKSF_lbbbEUlllE_EE10hipError_tT0_T1_T2_jT3_P12ihipStream_tbPNSt15iterator_traitsISL_E10value_typeEPNSR_ISM_E10value_typeEPSN_NS1_7vsmem_tEENKUlT_SL_SM_SN_E_clIS8_S8_S9_S9_EESK_S10_SL_SM_SN_EUlS10_E0_NS1_11comp_targetILNS1_3genE2ELNS1_11target_archE906ELNS1_3gpuE6ELNS1_3repE0EEENS1_38merge_mergepath_config_static_selectorELNS0_4arch9wavefront6targetE1EEEvSM_,comdat
.Lfunc_end893:
	.size	_ZN7rocprim17ROCPRIM_400000_NS6detail17trampoline_kernelINS0_14default_configENS1_38merge_sort_block_merge_config_selectorIlNS0_10empty_typeEEEZZNS1_27merge_sort_block_merge_implIS3_PlPS5_mZN2at6native12_GLOBAL__N_124unique_dim_cuda_templateIfEESt5tupleIJNSA_6TensorESF_SF_EERKSF_lbbbEUlllE_EE10hipError_tT0_T1_T2_jT3_P12ihipStream_tbPNSt15iterator_traitsISL_E10value_typeEPNSR_ISM_E10value_typeEPSN_NS1_7vsmem_tEENKUlT_SL_SM_SN_E_clIS8_S8_S9_S9_EESK_S10_SL_SM_SN_EUlS10_E0_NS1_11comp_targetILNS1_3genE2ELNS1_11target_archE906ELNS1_3gpuE6ELNS1_3repE0EEENS1_38merge_mergepath_config_static_selectorELNS0_4arch9wavefront6targetE1EEEvSM_, .Lfunc_end893-_ZN7rocprim17ROCPRIM_400000_NS6detail17trampoline_kernelINS0_14default_configENS1_38merge_sort_block_merge_config_selectorIlNS0_10empty_typeEEEZZNS1_27merge_sort_block_merge_implIS3_PlPS5_mZN2at6native12_GLOBAL__N_124unique_dim_cuda_templateIfEESt5tupleIJNSA_6TensorESF_SF_EERKSF_lbbbEUlllE_EE10hipError_tT0_T1_T2_jT3_P12ihipStream_tbPNSt15iterator_traitsISL_E10value_typeEPNSR_ISM_E10value_typeEPSN_NS1_7vsmem_tEENKUlT_SL_SM_SN_E_clIS8_S8_S9_S9_EESK_S10_SL_SM_SN_EUlS10_E0_NS1_11comp_targetILNS1_3genE2ELNS1_11target_archE906ELNS1_3gpuE6ELNS1_3repE0EEENS1_38merge_mergepath_config_static_selectorELNS0_4arch9wavefront6targetE1EEEvSM_
                                        ; -- End function
	.set _ZN7rocprim17ROCPRIM_400000_NS6detail17trampoline_kernelINS0_14default_configENS1_38merge_sort_block_merge_config_selectorIlNS0_10empty_typeEEEZZNS1_27merge_sort_block_merge_implIS3_PlPS5_mZN2at6native12_GLOBAL__N_124unique_dim_cuda_templateIfEESt5tupleIJNSA_6TensorESF_SF_EERKSF_lbbbEUlllE_EE10hipError_tT0_T1_T2_jT3_P12ihipStream_tbPNSt15iterator_traitsISL_E10value_typeEPNSR_ISM_E10value_typeEPSN_NS1_7vsmem_tEENKUlT_SL_SM_SN_E_clIS8_S8_S9_S9_EESK_S10_SL_SM_SN_EUlS10_E0_NS1_11comp_targetILNS1_3genE2ELNS1_11target_archE906ELNS1_3gpuE6ELNS1_3repE0EEENS1_38merge_mergepath_config_static_selectorELNS0_4arch9wavefront6targetE1EEEvSM_.num_vgpr, 0
	.set _ZN7rocprim17ROCPRIM_400000_NS6detail17trampoline_kernelINS0_14default_configENS1_38merge_sort_block_merge_config_selectorIlNS0_10empty_typeEEEZZNS1_27merge_sort_block_merge_implIS3_PlPS5_mZN2at6native12_GLOBAL__N_124unique_dim_cuda_templateIfEESt5tupleIJNSA_6TensorESF_SF_EERKSF_lbbbEUlllE_EE10hipError_tT0_T1_T2_jT3_P12ihipStream_tbPNSt15iterator_traitsISL_E10value_typeEPNSR_ISM_E10value_typeEPSN_NS1_7vsmem_tEENKUlT_SL_SM_SN_E_clIS8_S8_S9_S9_EESK_S10_SL_SM_SN_EUlS10_E0_NS1_11comp_targetILNS1_3genE2ELNS1_11target_archE906ELNS1_3gpuE6ELNS1_3repE0EEENS1_38merge_mergepath_config_static_selectorELNS0_4arch9wavefront6targetE1EEEvSM_.num_agpr, 0
	.set _ZN7rocprim17ROCPRIM_400000_NS6detail17trampoline_kernelINS0_14default_configENS1_38merge_sort_block_merge_config_selectorIlNS0_10empty_typeEEEZZNS1_27merge_sort_block_merge_implIS3_PlPS5_mZN2at6native12_GLOBAL__N_124unique_dim_cuda_templateIfEESt5tupleIJNSA_6TensorESF_SF_EERKSF_lbbbEUlllE_EE10hipError_tT0_T1_T2_jT3_P12ihipStream_tbPNSt15iterator_traitsISL_E10value_typeEPNSR_ISM_E10value_typeEPSN_NS1_7vsmem_tEENKUlT_SL_SM_SN_E_clIS8_S8_S9_S9_EESK_S10_SL_SM_SN_EUlS10_E0_NS1_11comp_targetILNS1_3genE2ELNS1_11target_archE906ELNS1_3gpuE6ELNS1_3repE0EEENS1_38merge_mergepath_config_static_selectorELNS0_4arch9wavefront6targetE1EEEvSM_.numbered_sgpr, 0
	.set _ZN7rocprim17ROCPRIM_400000_NS6detail17trampoline_kernelINS0_14default_configENS1_38merge_sort_block_merge_config_selectorIlNS0_10empty_typeEEEZZNS1_27merge_sort_block_merge_implIS3_PlPS5_mZN2at6native12_GLOBAL__N_124unique_dim_cuda_templateIfEESt5tupleIJNSA_6TensorESF_SF_EERKSF_lbbbEUlllE_EE10hipError_tT0_T1_T2_jT3_P12ihipStream_tbPNSt15iterator_traitsISL_E10value_typeEPNSR_ISM_E10value_typeEPSN_NS1_7vsmem_tEENKUlT_SL_SM_SN_E_clIS8_S8_S9_S9_EESK_S10_SL_SM_SN_EUlS10_E0_NS1_11comp_targetILNS1_3genE2ELNS1_11target_archE906ELNS1_3gpuE6ELNS1_3repE0EEENS1_38merge_mergepath_config_static_selectorELNS0_4arch9wavefront6targetE1EEEvSM_.num_named_barrier, 0
	.set _ZN7rocprim17ROCPRIM_400000_NS6detail17trampoline_kernelINS0_14default_configENS1_38merge_sort_block_merge_config_selectorIlNS0_10empty_typeEEEZZNS1_27merge_sort_block_merge_implIS3_PlPS5_mZN2at6native12_GLOBAL__N_124unique_dim_cuda_templateIfEESt5tupleIJNSA_6TensorESF_SF_EERKSF_lbbbEUlllE_EE10hipError_tT0_T1_T2_jT3_P12ihipStream_tbPNSt15iterator_traitsISL_E10value_typeEPNSR_ISM_E10value_typeEPSN_NS1_7vsmem_tEENKUlT_SL_SM_SN_E_clIS8_S8_S9_S9_EESK_S10_SL_SM_SN_EUlS10_E0_NS1_11comp_targetILNS1_3genE2ELNS1_11target_archE906ELNS1_3gpuE6ELNS1_3repE0EEENS1_38merge_mergepath_config_static_selectorELNS0_4arch9wavefront6targetE1EEEvSM_.private_seg_size, 0
	.set _ZN7rocprim17ROCPRIM_400000_NS6detail17trampoline_kernelINS0_14default_configENS1_38merge_sort_block_merge_config_selectorIlNS0_10empty_typeEEEZZNS1_27merge_sort_block_merge_implIS3_PlPS5_mZN2at6native12_GLOBAL__N_124unique_dim_cuda_templateIfEESt5tupleIJNSA_6TensorESF_SF_EERKSF_lbbbEUlllE_EE10hipError_tT0_T1_T2_jT3_P12ihipStream_tbPNSt15iterator_traitsISL_E10value_typeEPNSR_ISM_E10value_typeEPSN_NS1_7vsmem_tEENKUlT_SL_SM_SN_E_clIS8_S8_S9_S9_EESK_S10_SL_SM_SN_EUlS10_E0_NS1_11comp_targetILNS1_3genE2ELNS1_11target_archE906ELNS1_3gpuE6ELNS1_3repE0EEENS1_38merge_mergepath_config_static_selectorELNS0_4arch9wavefront6targetE1EEEvSM_.uses_vcc, 0
	.set _ZN7rocprim17ROCPRIM_400000_NS6detail17trampoline_kernelINS0_14default_configENS1_38merge_sort_block_merge_config_selectorIlNS0_10empty_typeEEEZZNS1_27merge_sort_block_merge_implIS3_PlPS5_mZN2at6native12_GLOBAL__N_124unique_dim_cuda_templateIfEESt5tupleIJNSA_6TensorESF_SF_EERKSF_lbbbEUlllE_EE10hipError_tT0_T1_T2_jT3_P12ihipStream_tbPNSt15iterator_traitsISL_E10value_typeEPNSR_ISM_E10value_typeEPSN_NS1_7vsmem_tEENKUlT_SL_SM_SN_E_clIS8_S8_S9_S9_EESK_S10_SL_SM_SN_EUlS10_E0_NS1_11comp_targetILNS1_3genE2ELNS1_11target_archE906ELNS1_3gpuE6ELNS1_3repE0EEENS1_38merge_mergepath_config_static_selectorELNS0_4arch9wavefront6targetE1EEEvSM_.uses_flat_scratch, 0
	.set _ZN7rocprim17ROCPRIM_400000_NS6detail17trampoline_kernelINS0_14default_configENS1_38merge_sort_block_merge_config_selectorIlNS0_10empty_typeEEEZZNS1_27merge_sort_block_merge_implIS3_PlPS5_mZN2at6native12_GLOBAL__N_124unique_dim_cuda_templateIfEESt5tupleIJNSA_6TensorESF_SF_EERKSF_lbbbEUlllE_EE10hipError_tT0_T1_T2_jT3_P12ihipStream_tbPNSt15iterator_traitsISL_E10value_typeEPNSR_ISM_E10value_typeEPSN_NS1_7vsmem_tEENKUlT_SL_SM_SN_E_clIS8_S8_S9_S9_EESK_S10_SL_SM_SN_EUlS10_E0_NS1_11comp_targetILNS1_3genE2ELNS1_11target_archE906ELNS1_3gpuE6ELNS1_3repE0EEENS1_38merge_mergepath_config_static_selectorELNS0_4arch9wavefront6targetE1EEEvSM_.has_dyn_sized_stack, 0
	.set _ZN7rocprim17ROCPRIM_400000_NS6detail17trampoline_kernelINS0_14default_configENS1_38merge_sort_block_merge_config_selectorIlNS0_10empty_typeEEEZZNS1_27merge_sort_block_merge_implIS3_PlPS5_mZN2at6native12_GLOBAL__N_124unique_dim_cuda_templateIfEESt5tupleIJNSA_6TensorESF_SF_EERKSF_lbbbEUlllE_EE10hipError_tT0_T1_T2_jT3_P12ihipStream_tbPNSt15iterator_traitsISL_E10value_typeEPNSR_ISM_E10value_typeEPSN_NS1_7vsmem_tEENKUlT_SL_SM_SN_E_clIS8_S8_S9_S9_EESK_S10_SL_SM_SN_EUlS10_E0_NS1_11comp_targetILNS1_3genE2ELNS1_11target_archE906ELNS1_3gpuE6ELNS1_3repE0EEENS1_38merge_mergepath_config_static_selectorELNS0_4arch9wavefront6targetE1EEEvSM_.has_recursion, 0
	.set _ZN7rocprim17ROCPRIM_400000_NS6detail17trampoline_kernelINS0_14default_configENS1_38merge_sort_block_merge_config_selectorIlNS0_10empty_typeEEEZZNS1_27merge_sort_block_merge_implIS3_PlPS5_mZN2at6native12_GLOBAL__N_124unique_dim_cuda_templateIfEESt5tupleIJNSA_6TensorESF_SF_EERKSF_lbbbEUlllE_EE10hipError_tT0_T1_T2_jT3_P12ihipStream_tbPNSt15iterator_traitsISL_E10value_typeEPNSR_ISM_E10value_typeEPSN_NS1_7vsmem_tEENKUlT_SL_SM_SN_E_clIS8_S8_S9_S9_EESK_S10_SL_SM_SN_EUlS10_E0_NS1_11comp_targetILNS1_3genE2ELNS1_11target_archE906ELNS1_3gpuE6ELNS1_3repE0EEENS1_38merge_mergepath_config_static_selectorELNS0_4arch9wavefront6targetE1EEEvSM_.has_indirect_call, 0
	.section	.AMDGPU.csdata,"",@progbits
; Kernel info:
; codeLenInByte = 0
; TotalNumSgprs: 6
; NumVgprs: 0
; NumAgprs: 0
; TotalNumVgprs: 0
; ScratchSize: 0
; MemoryBound: 0
; FloatMode: 240
; IeeeMode: 1
; LDSByteSize: 0 bytes/workgroup (compile time only)
; SGPRBlocks: 0
; VGPRBlocks: 0
; NumSGPRsForWavesPerEU: 6
; NumVGPRsForWavesPerEU: 1
; AccumOffset: 4
; Occupancy: 8
; WaveLimiterHint : 0
; COMPUTE_PGM_RSRC2:SCRATCH_EN: 0
; COMPUTE_PGM_RSRC2:USER_SGPR: 2
; COMPUTE_PGM_RSRC2:TRAP_HANDLER: 0
; COMPUTE_PGM_RSRC2:TGID_X_EN: 1
; COMPUTE_PGM_RSRC2:TGID_Y_EN: 0
; COMPUTE_PGM_RSRC2:TGID_Z_EN: 0
; COMPUTE_PGM_RSRC2:TIDIG_COMP_CNT: 0
; COMPUTE_PGM_RSRC3_GFX90A:ACCUM_OFFSET: 0
; COMPUTE_PGM_RSRC3_GFX90A:TG_SPLIT: 0
	.section	.text._ZN7rocprim17ROCPRIM_400000_NS6detail17trampoline_kernelINS0_14default_configENS1_38merge_sort_block_merge_config_selectorIlNS0_10empty_typeEEEZZNS1_27merge_sort_block_merge_implIS3_PlPS5_mZN2at6native12_GLOBAL__N_124unique_dim_cuda_templateIfEESt5tupleIJNSA_6TensorESF_SF_EERKSF_lbbbEUlllE_EE10hipError_tT0_T1_T2_jT3_P12ihipStream_tbPNSt15iterator_traitsISL_E10value_typeEPNSR_ISM_E10value_typeEPSN_NS1_7vsmem_tEENKUlT_SL_SM_SN_E_clIS8_S8_S9_S9_EESK_S10_SL_SM_SN_EUlS10_E0_NS1_11comp_targetILNS1_3genE9ELNS1_11target_archE1100ELNS1_3gpuE3ELNS1_3repE0EEENS1_38merge_mergepath_config_static_selectorELNS0_4arch9wavefront6targetE1EEEvSM_,"axG",@progbits,_ZN7rocprim17ROCPRIM_400000_NS6detail17trampoline_kernelINS0_14default_configENS1_38merge_sort_block_merge_config_selectorIlNS0_10empty_typeEEEZZNS1_27merge_sort_block_merge_implIS3_PlPS5_mZN2at6native12_GLOBAL__N_124unique_dim_cuda_templateIfEESt5tupleIJNSA_6TensorESF_SF_EERKSF_lbbbEUlllE_EE10hipError_tT0_T1_T2_jT3_P12ihipStream_tbPNSt15iterator_traitsISL_E10value_typeEPNSR_ISM_E10value_typeEPSN_NS1_7vsmem_tEENKUlT_SL_SM_SN_E_clIS8_S8_S9_S9_EESK_S10_SL_SM_SN_EUlS10_E0_NS1_11comp_targetILNS1_3genE9ELNS1_11target_archE1100ELNS1_3gpuE3ELNS1_3repE0EEENS1_38merge_mergepath_config_static_selectorELNS0_4arch9wavefront6targetE1EEEvSM_,comdat
	.globl	_ZN7rocprim17ROCPRIM_400000_NS6detail17trampoline_kernelINS0_14default_configENS1_38merge_sort_block_merge_config_selectorIlNS0_10empty_typeEEEZZNS1_27merge_sort_block_merge_implIS3_PlPS5_mZN2at6native12_GLOBAL__N_124unique_dim_cuda_templateIfEESt5tupleIJNSA_6TensorESF_SF_EERKSF_lbbbEUlllE_EE10hipError_tT0_T1_T2_jT3_P12ihipStream_tbPNSt15iterator_traitsISL_E10value_typeEPNSR_ISM_E10value_typeEPSN_NS1_7vsmem_tEENKUlT_SL_SM_SN_E_clIS8_S8_S9_S9_EESK_S10_SL_SM_SN_EUlS10_E0_NS1_11comp_targetILNS1_3genE9ELNS1_11target_archE1100ELNS1_3gpuE3ELNS1_3repE0EEENS1_38merge_mergepath_config_static_selectorELNS0_4arch9wavefront6targetE1EEEvSM_ ; -- Begin function _ZN7rocprim17ROCPRIM_400000_NS6detail17trampoline_kernelINS0_14default_configENS1_38merge_sort_block_merge_config_selectorIlNS0_10empty_typeEEEZZNS1_27merge_sort_block_merge_implIS3_PlPS5_mZN2at6native12_GLOBAL__N_124unique_dim_cuda_templateIfEESt5tupleIJNSA_6TensorESF_SF_EERKSF_lbbbEUlllE_EE10hipError_tT0_T1_T2_jT3_P12ihipStream_tbPNSt15iterator_traitsISL_E10value_typeEPNSR_ISM_E10value_typeEPSN_NS1_7vsmem_tEENKUlT_SL_SM_SN_E_clIS8_S8_S9_S9_EESK_S10_SL_SM_SN_EUlS10_E0_NS1_11comp_targetILNS1_3genE9ELNS1_11target_archE1100ELNS1_3gpuE3ELNS1_3repE0EEENS1_38merge_mergepath_config_static_selectorELNS0_4arch9wavefront6targetE1EEEvSM_
	.p2align	8
	.type	_ZN7rocprim17ROCPRIM_400000_NS6detail17trampoline_kernelINS0_14default_configENS1_38merge_sort_block_merge_config_selectorIlNS0_10empty_typeEEEZZNS1_27merge_sort_block_merge_implIS3_PlPS5_mZN2at6native12_GLOBAL__N_124unique_dim_cuda_templateIfEESt5tupleIJNSA_6TensorESF_SF_EERKSF_lbbbEUlllE_EE10hipError_tT0_T1_T2_jT3_P12ihipStream_tbPNSt15iterator_traitsISL_E10value_typeEPNSR_ISM_E10value_typeEPSN_NS1_7vsmem_tEENKUlT_SL_SM_SN_E_clIS8_S8_S9_S9_EESK_S10_SL_SM_SN_EUlS10_E0_NS1_11comp_targetILNS1_3genE9ELNS1_11target_archE1100ELNS1_3gpuE3ELNS1_3repE0EEENS1_38merge_mergepath_config_static_selectorELNS0_4arch9wavefront6targetE1EEEvSM_,@function
_ZN7rocprim17ROCPRIM_400000_NS6detail17trampoline_kernelINS0_14default_configENS1_38merge_sort_block_merge_config_selectorIlNS0_10empty_typeEEEZZNS1_27merge_sort_block_merge_implIS3_PlPS5_mZN2at6native12_GLOBAL__N_124unique_dim_cuda_templateIfEESt5tupleIJNSA_6TensorESF_SF_EERKSF_lbbbEUlllE_EE10hipError_tT0_T1_T2_jT3_P12ihipStream_tbPNSt15iterator_traitsISL_E10value_typeEPNSR_ISM_E10value_typeEPSN_NS1_7vsmem_tEENKUlT_SL_SM_SN_E_clIS8_S8_S9_S9_EESK_S10_SL_SM_SN_EUlS10_E0_NS1_11comp_targetILNS1_3genE9ELNS1_11target_archE1100ELNS1_3gpuE3ELNS1_3repE0EEENS1_38merge_mergepath_config_static_selectorELNS0_4arch9wavefront6targetE1EEEvSM_: ; @_ZN7rocprim17ROCPRIM_400000_NS6detail17trampoline_kernelINS0_14default_configENS1_38merge_sort_block_merge_config_selectorIlNS0_10empty_typeEEEZZNS1_27merge_sort_block_merge_implIS3_PlPS5_mZN2at6native12_GLOBAL__N_124unique_dim_cuda_templateIfEESt5tupleIJNSA_6TensorESF_SF_EERKSF_lbbbEUlllE_EE10hipError_tT0_T1_T2_jT3_P12ihipStream_tbPNSt15iterator_traitsISL_E10value_typeEPNSR_ISM_E10value_typeEPSN_NS1_7vsmem_tEENKUlT_SL_SM_SN_E_clIS8_S8_S9_S9_EESK_S10_SL_SM_SN_EUlS10_E0_NS1_11comp_targetILNS1_3genE9ELNS1_11target_archE1100ELNS1_3gpuE3ELNS1_3repE0EEENS1_38merge_mergepath_config_static_selectorELNS0_4arch9wavefront6targetE1EEEvSM_
; %bb.0:
	.section	.rodata,"a",@progbits
	.p2align	6, 0x0
	.amdhsa_kernel _ZN7rocprim17ROCPRIM_400000_NS6detail17trampoline_kernelINS0_14default_configENS1_38merge_sort_block_merge_config_selectorIlNS0_10empty_typeEEEZZNS1_27merge_sort_block_merge_implIS3_PlPS5_mZN2at6native12_GLOBAL__N_124unique_dim_cuda_templateIfEESt5tupleIJNSA_6TensorESF_SF_EERKSF_lbbbEUlllE_EE10hipError_tT0_T1_T2_jT3_P12ihipStream_tbPNSt15iterator_traitsISL_E10value_typeEPNSR_ISM_E10value_typeEPSN_NS1_7vsmem_tEENKUlT_SL_SM_SN_E_clIS8_S8_S9_S9_EESK_S10_SL_SM_SN_EUlS10_E0_NS1_11comp_targetILNS1_3genE9ELNS1_11target_archE1100ELNS1_3gpuE3ELNS1_3repE0EEENS1_38merge_mergepath_config_static_selectorELNS0_4arch9wavefront6targetE1EEEvSM_
		.amdhsa_group_segment_fixed_size 0
		.amdhsa_private_segment_fixed_size 0
		.amdhsa_kernarg_size 88
		.amdhsa_user_sgpr_count 2
		.amdhsa_user_sgpr_dispatch_ptr 0
		.amdhsa_user_sgpr_queue_ptr 0
		.amdhsa_user_sgpr_kernarg_segment_ptr 1
		.amdhsa_user_sgpr_dispatch_id 0
		.amdhsa_user_sgpr_kernarg_preload_length 0
		.amdhsa_user_sgpr_kernarg_preload_offset 0
		.amdhsa_user_sgpr_private_segment_size 0
		.amdhsa_uses_dynamic_stack 0
		.amdhsa_enable_private_segment 0
		.amdhsa_system_sgpr_workgroup_id_x 1
		.amdhsa_system_sgpr_workgroup_id_y 0
		.amdhsa_system_sgpr_workgroup_id_z 0
		.amdhsa_system_sgpr_workgroup_info 0
		.amdhsa_system_vgpr_workitem_id 0
		.amdhsa_next_free_vgpr 1
		.amdhsa_next_free_sgpr 0
		.amdhsa_accum_offset 4
		.amdhsa_reserve_vcc 0
		.amdhsa_float_round_mode_32 0
		.amdhsa_float_round_mode_16_64 0
		.amdhsa_float_denorm_mode_32 3
		.amdhsa_float_denorm_mode_16_64 3
		.amdhsa_dx10_clamp 1
		.amdhsa_ieee_mode 1
		.amdhsa_fp16_overflow 0
		.amdhsa_tg_split 0
		.amdhsa_exception_fp_ieee_invalid_op 0
		.amdhsa_exception_fp_denorm_src 0
		.amdhsa_exception_fp_ieee_div_zero 0
		.amdhsa_exception_fp_ieee_overflow 0
		.amdhsa_exception_fp_ieee_underflow 0
		.amdhsa_exception_fp_ieee_inexact 0
		.amdhsa_exception_int_div_zero 0
	.end_amdhsa_kernel
	.section	.text._ZN7rocprim17ROCPRIM_400000_NS6detail17trampoline_kernelINS0_14default_configENS1_38merge_sort_block_merge_config_selectorIlNS0_10empty_typeEEEZZNS1_27merge_sort_block_merge_implIS3_PlPS5_mZN2at6native12_GLOBAL__N_124unique_dim_cuda_templateIfEESt5tupleIJNSA_6TensorESF_SF_EERKSF_lbbbEUlllE_EE10hipError_tT0_T1_T2_jT3_P12ihipStream_tbPNSt15iterator_traitsISL_E10value_typeEPNSR_ISM_E10value_typeEPSN_NS1_7vsmem_tEENKUlT_SL_SM_SN_E_clIS8_S8_S9_S9_EESK_S10_SL_SM_SN_EUlS10_E0_NS1_11comp_targetILNS1_3genE9ELNS1_11target_archE1100ELNS1_3gpuE3ELNS1_3repE0EEENS1_38merge_mergepath_config_static_selectorELNS0_4arch9wavefront6targetE1EEEvSM_,"axG",@progbits,_ZN7rocprim17ROCPRIM_400000_NS6detail17trampoline_kernelINS0_14default_configENS1_38merge_sort_block_merge_config_selectorIlNS0_10empty_typeEEEZZNS1_27merge_sort_block_merge_implIS3_PlPS5_mZN2at6native12_GLOBAL__N_124unique_dim_cuda_templateIfEESt5tupleIJNSA_6TensorESF_SF_EERKSF_lbbbEUlllE_EE10hipError_tT0_T1_T2_jT3_P12ihipStream_tbPNSt15iterator_traitsISL_E10value_typeEPNSR_ISM_E10value_typeEPSN_NS1_7vsmem_tEENKUlT_SL_SM_SN_E_clIS8_S8_S9_S9_EESK_S10_SL_SM_SN_EUlS10_E0_NS1_11comp_targetILNS1_3genE9ELNS1_11target_archE1100ELNS1_3gpuE3ELNS1_3repE0EEENS1_38merge_mergepath_config_static_selectorELNS0_4arch9wavefront6targetE1EEEvSM_,comdat
.Lfunc_end894:
	.size	_ZN7rocprim17ROCPRIM_400000_NS6detail17trampoline_kernelINS0_14default_configENS1_38merge_sort_block_merge_config_selectorIlNS0_10empty_typeEEEZZNS1_27merge_sort_block_merge_implIS3_PlPS5_mZN2at6native12_GLOBAL__N_124unique_dim_cuda_templateIfEESt5tupleIJNSA_6TensorESF_SF_EERKSF_lbbbEUlllE_EE10hipError_tT0_T1_T2_jT3_P12ihipStream_tbPNSt15iterator_traitsISL_E10value_typeEPNSR_ISM_E10value_typeEPSN_NS1_7vsmem_tEENKUlT_SL_SM_SN_E_clIS8_S8_S9_S9_EESK_S10_SL_SM_SN_EUlS10_E0_NS1_11comp_targetILNS1_3genE9ELNS1_11target_archE1100ELNS1_3gpuE3ELNS1_3repE0EEENS1_38merge_mergepath_config_static_selectorELNS0_4arch9wavefront6targetE1EEEvSM_, .Lfunc_end894-_ZN7rocprim17ROCPRIM_400000_NS6detail17trampoline_kernelINS0_14default_configENS1_38merge_sort_block_merge_config_selectorIlNS0_10empty_typeEEEZZNS1_27merge_sort_block_merge_implIS3_PlPS5_mZN2at6native12_GLOBAL__N_124unique_dim_cuda_templateIfEESt5tupleIJNSA_6TensorESF_SF_EERKSF_lbbbEUlllE_EE10hipError_tT0_T1_T2_jT3_P12ihipStream_tbPNSt15iterator_traitsISL_E10value_typeEPNSR_ISM_E10value_typeEPSN_NS1_7vsmem_tEENKUlT_SL_SM_SN_E_clIS8_S8_S9_S9_EESK_S10_SL_SM_SN_EUlS10_E0_NS1_11comp_targetILNS1_3genE9ELNS1_11target_archE1100ELNS1_3gpuE3ELNS1_3repE0EEENS1_38merge_mergepath_config_static_selectorELNS0_4arch9wavefront6targetE1EEEvSM_
                                        ; -- End function
	.set _ZN7rocprim17ROCPRIM_400000_NS6detail17trampoline_kernelINS0_14default_configENS1_38merge_sort_block_merge_config_selectorIlNS0_10empty_typeEEEZZNS1_27merge_sort_block_merge_implIS3_PlPS5_mZN2at6native12_GLOBAL__N_124unique_dim_cuda_templateIfEESt5tupleIJNSA_6TensorESF_SF_EERKSF_lbbbEUlllE_EE10hipError_tT0_T1_T2_jT3_P12ihipStream_tbPNSt15iterator_traitsISL_E10value_typeEPNSR_ISM_E10value_typeEPSN_NS1_7vsmem_tEENKUlT_SL_SM_SN_E_clIS8_S8_S9_S9_EESK_S10_SL_SM_SN_EUlS10_E0_NS1_11comp_targetILNS1_3genE9ELNS1_11target_archE1100ELNS1_3gpuE3ELNS1_3repE0EEENS1_38merge_mergepath_config_static_selectorELNS0_4arch9wavefront6targetE1EEEvSM_.num_vgpr, 0
	.set _ZN7rocprim17ROCPRIM_400000_NS6detail17trampoline_kernelINS0_14default_configENS1_38merge_sort_block_merge_config_selectorIlNS0_10empty_typeEEEZZNS1_27merge_sort_block_merge_implIS3_PlPS5_mZN2at6native12_GLOBAL__N_124unique_dim_cuda_templateIfEESt5tupleIJNSA_6TensorESF_SF_EERKSF_lbbbEUlllE_EE10hipError_tT0_T1_T2_jT3_P12ihipStream_tbPNSt15iterator_traitsISL_E10value_typeEPNSR_ISM_E10value_typeEPSN_NS1_7vsmem_tEENKUlT_SL_SM_SN_E_clIS8_S8_S9_S9_EESK_S10_SL_SM_SN_EUlS10_E0_NS1_11comp_targetILNS1_3genE9ELNS1_11target_archE1100ELNS1_3gpuE3ELNS1_3repE0EEENS1_38merge_mergepath_config_static_selectorELNS0_4arch9wavefront6targetE1EEEvSM_.num_agpr, 0
	.set _ZN7rocprim17ROCPRIM_400000_NS6detail17trampoline_kernelINS0_14default_configENS1_38merge_sort_block_merge_config_selectorIlNS0_10empty_typeEEEZZNS1_27merge_sort_block_merge_implIS3_PlPS5_mZN2at6native12_GLOBAL__N_124unique_dim_cuda_templateIfEESt5tupleIJNSA_6TensorESF_SF_EERKSF_lbbbEUlllE_EE10hipError_tT0_T1_T2_jT3_P12ihipStream_tbPNSt15iterator_traitsISL_E10value_typeEPNSR_ISM_E10value_typeEPSN_NS1_7vsmem_tEENKUlT_SL_SM_SN_E_clIS8_S8_S9_S9_EESK_S10_SL_SM_SN_EUlS10_E0_NS1_11comp_targetILNS1_3genE9ELNS1_11target_archE1100ELNS1_3gpuE3ELNS1_3repE0EEENS1_38merge_mergepath_config_static_selectorELNS0_4arch9wavefront6targetE1EEEvSM_.numbered_sgpr, 0
	.set _ZN7rocprim17ROCPRIM_400000_NS6detail17trampoline_kernelINS0_14default_configENS1_38merge_sort_block_merge_config_selectorIlNS0_10empty_typeEEEZZNS1_27merge_sort_block_merge_implIS3_PlPS5_mZN2at6native12_GLOBAL__N_124unique_dim_cuda_templateIfEESt5tupleIJNSA_6TensorESF_SF_EERKSF_lbbbEUlllE_EE10hipError_tT0_T1_T2_jT3_P12ihipStream_tbPNSt15iterator_traitsISL_E10value_typeEPNSR_ISM_E10value_typeEPSN_NS1_7vsmem_tEENKUlT_SL_SM_SN_E_clIS8_S8_S9_S9_EESK_S10_SL_SM_SN_EUlS10_E0_NS1_11comp_targetILNS1_3genE9ELNS1_11target_archE1100ELNS1_3gpuE3ELNS1_3repE0EEENS1_38merge_mergepath_config_static_selectorELNS0_4arch9wavefront6targetE1EEEvSM_.num_named_barrier, 0
	.set _ZN7rocprim17ROCPRIM_400000_NS6detail17trampoline_kernelINS0_14default_configENS1_38merge_sort_block_merge_config_selectorIlNS0_10empty_typeEEEZZNS1_27merge_sort_block_merge_implIS3_PlPS5_mZN2at6native12_GLOBAL__N_124unique_dim_cuda_templateIfEESt5tupleIJNSA_6TensorESF_SF_EERKSF_lbbbEUlllE_EE10hipError_tT0_T1_T2_jT3_P12ihipStream_tbPNSt15iterator_traitsISL_E10value_typeEPNSR_ISM_E10value_typeEPSN_NS1_7vsmem_tEENKUlT_SL_SM_SN_E_clIS8_S8_S9_S9_EESK_S10_SL_SM_SN_EUlS10_E0_NS1_11comp_targetILNS1_3genE9ELNS1_11target_archE1100ELNS1_3gpuE3ELNS1_3repE0EEENS1_38merge_mergepath_config_static_selectorELNS0_4arch9wavefront6targetE1EEEvSM_.private_seg_size, 0
	.set _ZN7rocprim17ROCPRIM_400000_NS6detail17trampoline_kernelINS0_14default_configENS1_38merge_sort_block_merge_config_selectorIlNS0_10empty_typeEEEZZNS1_27merge_sort_block_merge_implIS3_PlPS5_mZN2at6native12_GLOBAL__N_124unique_dim_cuda_templateIfEESt5tupleIJNSA_6TensorESF_SF_EERKSF_lbbbEUlllE_EE10hipError_tT0_T1_T2_jT3_P12ihipStream_tbPNSt15iterator_traitsISL_E10value_typeEPNSR_ISM_E10value_typeEPSN_NS1_7vsmem_tEENKUlT_SL_SM_SN_E_clIS8_S8_S9_S9_EESK_S10_SL_SM_SN_EUlS10_E0_NS1_11comp_targetILNS1_3genE9ELNS1_11target_archE1100ELNS1_3gpuE3ELNS1_3repE0EEENS1_38merge_mergepath_config_static_selectorELNS0_4arch9wavefront6targetE1EEEvSM_.uses_vcc, 0
	.set _ZN7rocprim17ROCPRIM_400000_NS6detail17trampoline_kernelINS0_14default_configENS1_38merge_sort_block_merge_config_selectorIlNS0_10empty_typeEEEZZNS1_27merge_sort_block_merge_implIS3_PlPS5_mZN2at6native12_GLOBAL__N_124unique_dim_cuda_templateIfEESt5tupleIJNSA_6TensorESF_SF_EERKSF_lbbbEUlllE_EE10hipError_tT0_T1_T2_jT3_P12ihipStream_tbPNSt15iterator_traitsISL_E10value_typeEPNSR_ISM_E10value_typeEPSN_NS1_7vsmem_tEENKUlT_SL_SM_SN_E_clIS8_S8_S9_S9_EESK_S10_SL_SM_SN_EUlS10_E0_NS1_11comp_targetILNS1_3genE9ELNS1_11target_archE1100ELNS1_3gpuE3ELNS1_3repE0EEENS1_38merge_mergepath_config_static_selectorELNS0_4arch9wavefront6targetE1EEEvSM_.uses_flat_scratch, 0
	.set _ZN7rocprim17ROCPRIM_400000_NS6detail17trampoline_kernelINS0_14default_configENS1_38merge_sort_block_merge_config_selectorIlNS0_10empty_typeEEEZZNS1_27merge_sort_block_merge_implIS3_PlPS5_mZN2at6native12_GLOBAL__N_124unique_dim_cuda_templateIfEESt5tupleIJNSA_6TensorESF_SF_EERKSF_lbbbEUlllE_EE10hipError_tT0_T1_T2_jT3_P12ihipStream_tbPNSt15iterator_traitsISL_E10value_typeEPNSR_ISM_E10value_typeEPSN_NS1_7vsmem_tEENKUlT_SL_SM_SN_E_clIS8_S8_S9_S9_EESK_S10_SL_SM_SN_EUlS10_E0_NS1_11comp_targetILNS1_3genE9ELNS1_11target_archE1100ELNS1_3gpuE3ELNS1_3repE0EEENS1_38merge_mergepath_config_static_selectorELNS0_4arch9wavefront6targetE1EEEvSM_.has_dyn_sized_stack, 0
	.set _ZN7rocprim17ROCPRIM_400000_NS6detail17trampoline_kernelINS0_14default_configENS1_38merge_sort_block_merge_config_selectorIlNS0_10empty_typeEEEZZNS1_27merge_sort_block_merge_implIS3_PlPS5_mZN2at6native12_GLOBAL__N_124unique_dim_cuda_templateIfEESt5tupleIJNSA_6TensorESF_SF_EERKSF_lbbbEUlllE_EE10hipError_tT0_T1_T2_jT3_P12ihipStream_tbPNSt15iterator_traitsISL_E10value_typeEPNSR_ISM_E10value_typeEPSN_NS1_7vsmem_tEENKUlT_SL_SM_SN_E_clIS8_S8_S9_S9_EESK_S10_SL_SM_SN_EUlS10_E0_NS1_11comp_targetILNS1_3genE9ELNS1_11target_archE1100ELNS1_3gpuE3ELNS1_3repE0EEENS1_38merge_mergepath_config_static_selectorELNS0_4arch9wavefront6targetE1EEEvSM_.has_recursion, 0
	.set _ZN7rocprim17ROCPRIM_400000_NS6detail17trampoline_kernelINS0_14default_configENS1_38merge_sort_block_merge_config_selectorIlNS0_10empty_typeEEEZZNS1_27merge_sort_block_merge_implIS3_PlPS5_mZN2at6native12_GLOBAL__N_124unique_dim_cuda_templateIfEESt5tupleIJNSA_6TensorESF_SF_EERKSF_lbbbEUlllE_EE10hipError_tT0_T1_T2_jT3_P12ihipStream_tbPNSt15iterator_traitsISL_E10value_typeEPNSR_ISM_E10value_typeEPSN_NS1_7vsmem_tEENKUlT_SL_SM_SN_E_clIS8_S8_S9_S9_EESK_S10_SL_SM_SN_EUlS10_E0_NS1_11comp_targetILNS1_3genE9ELNS1_11target_archE1100ELNS1_3gpuE3ELNS1_3repE0EEENS1_38merge_mergepath_config_static_selectorELNS0_4arch9wavefront6targetE1EEEvSM_.has_indirect_call, 0
	.section	.AMDGPU.csdata,"",@progbits
; Kernel info:
; codeLenInByte = 0
; TotalNumSgprs: 6
; NumVgprs: 0
; NumAgprs: 0
; TotalNumVgprs: 0
; ScratchSize: 0
; MemoryBound: 0
; FloatMode: 240
; IeeeMode: 1
; LDSByteSize: 0 bytes/workgroup (compile time only)
; SGPRBlocks: 0
; VGPRBlocks: 0
; NumSGPRsForWavesPerEU: 6
; NumVGPRsForWavesPerEU: 1
; AccumOffset: 4
; Occupancy: 8
; WaveLimiterHint : 0
; COMPUTE_PGM_RSRC2:SCRATCH_EN: 0
; COMPUTE_PGM_RSRC2:USER_SGPR: 2
; COMPUTE_PGM_RSRC2:TRAP_HANDLER: 0
; COMPUTE_PGM_RSRC2:TGID_X_EN: 1
; COMPUTE_PGM_RSRC2:TGID_Y_EN: 0
; COMPUTE_PGM_RSRC2:TGID_Z_EN: 0
; COMPUTE_PGM_RSRC2:TIDIG_COMP_CNT: 0
; COMPUTE_PGM_RSRC3_GFX90A:ACCUM_OFFSET: 0
; COMPUTE_PGM_RSRC3_GFX90A:TG_SPLIT: 0
	.section	.text._ZN7rocprim17ROCPRIM_400000_NS6detail17trampoline_kernelINS0_14default_configENS1_38merge_sort_block_merge_config_selectorIlNS0_10empty_typeEEEZZNS1_27merge_sort_block_merge_implIS3_PlPS5_mZN2at6native12_GLOBAL__N_124unique_dim_cuda_templateIfEESt5tupleIJNSA_6TensorESF_SF_EERKSF_lbbbEUlllE_EE10hipError_tT0_T1_T2_jT3_P12ihipStream_tbPNSt15iterator_traitsISL_E10value_typeEPNSR_ISM_E10value_typeEPSN_NS1_7vsmem_tEENKUlT_SL_SM_SN_E_clIS8_S8_S9_S9_EESK_S10_SL_SM_SN_EUlS10_E0_NS1_11comp_targetILNS1_3genE8ELNS1_11target_archE1030ELNS1_3gpuE2ELNS1_3repE0EEENS1_38merge_mergepath_config_static_selectorELNS0_4arch9wavefront6targetE1EEEvSM_,"axG",@progbits,_ZN7rocprim17ROCPRIM_400000_NS6detail17trampoline_kernelINS0_14default_configENS1_38merge_sort_block_merge_config_selectorIlNS0_10empty_typeEEEZZNS1_27merge_sort_block_merge_implIS3_PlPS5_mZN2at6native12_GLOBAL__N_124unique_dim_cuda_templateIfEESt5tupleIJNSA_6TensorESF_SF_EERKSF_lbbbEUlllE_EE10hipError_tT0_T1_T2_jT3_P12ihipStream_tbPNSt15iterator_traitsISL_E10value_typeEPNSR_ISM_E10value_typeEPSN_NS1_7vsmem_tEENKUlT_SL_SM_SN_E_clIS8_S8_S9_S9_EESK_S10_SL_SM_SN_EUlS10_E0_NS1_11comp_targetILNS1_3genE8ELNS1_11target_archE1030ELNS1_3gpuE2ELNS1_3repE0EEENS1_38merge_mergepath_config_static_selectorELNS0_4arch9wavefront6targetE1EEEvSM_,comdat
	.globl	_ZN7rocprim17ROCPRIM_400000_NS6detail17trampoline_kernelINS0_14default_configENS1_38merge_sort_block_merge_config_selectorIlNS0_10empty_typeEEEZZNS1_27merge_sort_block_merge_implIS3_PlPS5_mZN2at6native12_GLOBAL__N_124unique_dim_cuda_templateIfEESt5tupleIJNSA_6TensorESF_SF_EERKSF_lbbbEUlllE_EE10hipError_tT0_T1_T2_jT3_P12ihipStream_tbPNSt15iterator_traitsISL_E10value_typeEPNSR_ISM_E10value_typeEPSN_NS1_7vsmem_tEENKUlT_SL_SM_SN_E_clIS8_S8_S9_S9_EESK_S10_SL_SM_SN_EUlS10_E0_NS1_11comp_targetILNS1_3genE8ELNS1_11target_archE1030ELNS1_3gpuE2ELNS1_3repE0EEENS1_38merge_mergepath_config_static_selectorELNS0_4arch9wavefront6targetE1EEEvSM_ ; -- Begin function _ZN7rocprim17ROCPRIM_400000_NS6detail17trampoline_kernelINS0_14default_configENS1_38merge_sort_block_merge_config_selectorIlNS0_10empty_typeEEEZZNS1_27merge_sort_block_merge_implIS3_PlPS5_mZN2at6native12_GLOBAL__N_124unique_dim_cuda_templateIfEESt5tupleIJNSA_6TensorESF_SF_EERKSF_lbbbEUlllE_EE10hipError_tT0_T1_T2_jT3_P12ihipStream_tbPNSt15iterator_traitsISL_E10value_typeEPNSR_ISM_E10value_typeEPSN_NS1_7vsmem_tEENKUlT_SL_SM_SN_E_clIS8_S8_S9_S9_EESK_S10_SL_SM_SN_EUlS10_E0_NS1_11comp_targetILNS1_3genE8ELNS1_11target_archE1030ELNS1_3gpuE2ELNS1_3repE0EEENS1_38merge_mergepath_config_static_selectorELNS0_4arch9wavefront6targetE1EEEvSM_
	.p2align	8
	.type	_ZN7rocprim17ROCPRIM_400000_NS6detail17trampoline_kernelINS0_14default_configENS1_38merge_sort_block_merge_config_selectorIlNS0_10empty_typeEEEZZNS1_27merge_sort_block_merge_implIS3_PlPS5_mZN2at6native12_GLOBAL__N_124unique_dim_cuda_templateIfEESt5tupleIJNSA_6TensorESF_SF_EERKSF_lbbbEUlllE_EE10hipError_tT0_T1_T2_jT3_P12ihipStream_tbPNSt15iterator_traitsISL_E10value_typeEPNSR_ISM_E10value_typeEPSN_NS1_7vsmem_tEENKUlT_SL_SM_SN_E_clIS8_S8_S9_S9_EESK_S10_SL_SM_SN_EUlS10_E0_NS1_11comp_targetILNS1_3genE8ELNS1_11target_archE1030ELNS1_3gpuE2ELNS1_3repE0EEENS1_38merge_mergepath_config_static_selectorELNS0_4arch9wavefront6targetE1EEEvSM_,@function
_ZN7rocprim17ROCPRIM_400000_NS6detail17trampoline_kernelINS0_14default_configENS1_38merge_sort_block_merge_config_selectorIlNS0_10empty_typeEEEZZNS1_27merge_sort_block_merge_implIS3_PlPS5_mZN2at6native12_GLOBAL__N_124unique_dim_cuda_templateIfEESt5tupleIJNSA_6TensorESF_SF_EERKSF_lbbbEUlllE_EE10hipError_tT0_T1_T2_jT3_P12ihipStream_tbPNSt15iterator_traitsISL_E10value_typeEPNSR_ISM_E10value_typeEPSN_NS1_7vsmem_tEENKUlT_SL_SM_SN_E_clIS8_S8_S9_S9_EESK_S10_SL_SM_SN_EUlS10_E0_NS1_11comp_targetILNS1_3genE8ELNS1_11target_archE1030ELNS1_3gpuE2ELNS1_3repE0EEENS1_38merge_mergepath_config_static_selectorELNS0_4arch9wavefront6targetE1EEEvSM_: ; @_ZN7rocprim17ROCPRIM_400000_NS6detail17trampoline_kernelINS0_14default_configENS1_38merge_sort_block_merge_config_selectorIlNS0_10empty_typeEEEZZNS1_27merge_sort_block_merge_implIS3_PlPS5_mZN2at6native12_GLOBAL__N_124unique_dim_cuda_templateIfEESt5tupleIJNSA_6TensorESF_SF_EERKSF_lbbbEUlllE_EE10hipError_tT0_T1_T2_jT3_P12ihipStream_tbPNSt15iterator_traitsISL_E10value_typeEPNSR_ISM_E10value_typeEPSN_NS1_7vsmem_tEENKUlT_SL_SM_SN_E_clIS8_S8_S9_S9_EESK_S10_SL_SM_SN_EUlS10_E0_NS1_11comp_targetILNS1_3genE8ELNS1_11target_archE1030ELNS1_3gpuE2ELNS1_3repE0EEENS1_38merge_mergepath_config_static_selectorELNS0_4arch9wavefront6targetE1EEEvSM_
; %bb.0:
	.section	.rodata,"a",@progbits
	.p2align	6, 0x0
	.amdhsa_kernel _ZN7rocprim17ROCPRIM_400000_NS6detail17trampoline_kernelINS0_14default_configENS1_38merge_sort_block_merge_config_selectorIlNS0_10empty_typeEEEZZNS1_27merge_sort_block_merge_implIS3_PlPS5_mZN2at6native12_GLOBAL__N_124unique_dim_cuda_templateIfEESt5tupleIJNSA_6TensorESF_SF_EERKSF_lbbbEUlllE_EE10hipError_tT0_T1_T2_jT3_P12ihipStream_tbPNSt15iterator_traitsISL_E10value_typeEPNSR_ISM_E10value_typeEPSN_NS1_7vsmem_tEENKUlT_SL_SM_SN_E_clIS8_S8_S9_S9_EESK_S10_SL_SM_SN_EUlS10_E0_NS1_11comp_targetILNS1_3genE8ELNS1_11target_archE1030ELNS1_3gpuE2ELNS1_3repE0EEENS1_38merge_mergepath_config_static_selectorELNS0_4arch9wavefront6targetE1EEEvSM_
		.amdhsa_group_segment_fixed_size 0
		.amdhsa_private_segment_fixed_size 0
		.amdhsa_kernarg_size 88
		.amdhsa_user_sgpr_count 2
		.amdhsa_user_sgpr_dispatch_ptr 0
		.amdhsa_user_sgpr_queue_ptr 0
		.amdhsa_user_sgpr_kernarg_segment_ptr 1
		.amdhsa_user_sgpr_dispatch_id 0
		.amdhsa_user_sgpr_kernarg_preload_length 0
		.amdhsa_user_sgpr_kernarg_preload_offset 0
		.amdhsa_user_sgpr_private_segment_size 0
		.amdhsa_uses_dynamic_stack 0
		.amdhsa_enable_private_segment 0
		.amdhsa_system_sgpr_workgroup_id_x 1
		.amdhsa_system_sgpr_workgroup_id_y 0
		.amdhsa_system_sgpr_workgroup_id_z 0
		.amdhsa_system_sgpr_workgroup_info 0
		.amdhsa_system_vgpr_workitem_id 0
		.amdhsa_next_free_vgpr 1
		.amdhsa_next_free_sgpr 0
		.amdhsa_accum_offset 4
		.amdhsa_reserve_vcc 0
		.amdhsa_float_round_mode_32 0
		.amdhsa_float_round_mode_16_64 0
		.amdhsa_float_denorm_mode_32 3
		.amdhsa_float_denorm_mode_16_64 3
		.amdhsa_dx10_clamp 1
		.amdhsa_ieee_mode 1
		.amdhsa_fp16_overflow 0
		.amdhsa_tg_split 0
		.amdhsa_exception_fp_ieee_invalid_op 0
		.amdhsa_exception_fp_denorm_src 0
		.amdhsa_exception_fp_ieee_div_zero 0
		.amdhsa_exception_fp_ieee_overflow 0
		.amdhsa_exception_fp_ieee_underflow 0
		.amdhsa_exception_fp_ieee_inexact 0
		.amdhsa_exception_int_div_zero 0
	.end_amdhsa_kernel
	.section	.text._ZN7rocprim17ROCPRIM_400000_NS6detail17trampoline_kernelINS0_14default_configENS1_38merge_sort_block_merge_config_selectorIlNS0_10empty_typeEEEZZNS1_27merge_sort_block_merge_implIS3_PlPS5_mZN2at6native12_GLOBAL__N_124unique_dim_cuda_templateIfEESt5tupleIJNSA_6TensorESF_SF_EERKSF_lbbbEUlllE_EE10hipError_tT0_T1_T2_jT3_P12ihipStream_tbPNSt15iterator_traitsISL_E10value_typeEPNSR_ISM_E10value_typeEPSN_NS1_7vsmem_tEENKUlT_SL_SM_SN_E_clIS8_S8_S9_S9_EESK_S10_SL_SM_SN_EUlS10_E0_NS1_11comp_targetILNS1_3genE8ELNS1_11target_archE1030ELNS1_3gpuE2ELNS1_3repE0EEENS1_38merge_mergepath_config_static_selectorELNS0_4arch9wavefront6targetE1EEEvSM_,"axG",@progbits,_ZN7rocprim17ROCPRIM_400000_NS6detail17trampoline_kernelINS0_14default_configENS1_38merge_sort_block_merge_config_selectorIlNS0_10empty_typeEEEZZNS1_27merge_sort_block_merge_implIS3_PlPS5_mZN2at6native12_GLOBAL__N_124unique_dim_cuda_templateIfEESt5tupleIJNSA_6TensorESF_SF_EERKSF_lbbbEUlllE_EE10hipError_tT0_T1_T2_jT3_P12ihipStream_tbPNSt15iterator_traitsISL_E10value_typeEPNSR_ISM_E10value_typeEPSN_NS1_7vsmem_tEENKUlT_SL_SM_SN_E_clIS8_S8_S9_S9_EESK_S10_SL_SM_SN_EUlS10_E0_NS1_11comp_targetILNS1_3genE8ELNS1_11target_archE1030ELNS1_3gpuE2ELNS1_3repE0EEENS1_38merge_mergepath_config_static_selectorELNS0_4arch9wavefront6targetE1EEEvSM_,comdat
.Lfunc_end895:
	.size	_ZN7rocprim17ROCPRIM_400000_NS6detail17trampoline_kernelINS0_14default_configENS1_38merge_sort_block_merge_config_selectorIlNS0_10empty_typeEEEZZNS1_27merge_sort_block_merge_implIS3_PlPS5_mZN2at6native12_GLOBAL__N_124unique_dim_cuda_templateIfEESt5tupleIJNSA_6TensorESF_SF_EERKSF_lbbbEUlllE_EE10hipError_tT0_T1_T2_jT3_P12ihipStream_tbPNSt15iterator_traitsISL_E10value_typeEPNSR_ISM_E10value_typeEPSN_NS1_7vsmem_tEENKUlT_SL_SM_SN_E_clIS8_S8_S9_S9_EESK_S10_SL_SM_SN_EUlS10_E0_NS1_11comp_targetILNS1_3genE8ELNS1_11target_archE1030ELNS1_3gpuE2ELNS1_3repE0EEENS1_38merge_mergepath_config_static_selectorELNS0_4arch9wavefront6targetE1EEEvSM_, .Lfunc_end895-_ZN7rocprim17ROCPRIM_400000_NS6detail17trampoline_kernelINS0_14default_configENS1_38merge_sort_block_merge_config_selectorIlNS0_10empty_typeEEEZZNS1_27merge_sort_block_merge_implIS3_PlPS5_mZN2at6native12_GLOBAL__N_124unique_dim_cuda_templateIfEESt5tupleIJNSA_6TensorESF_SF_EERKSF_lbbbEUlllE_EE10hipError_tT0_T1_T2_jT3_P12ihipStream_tbPNSt15iterator_traitsISL_E10value_typeEPNSR_ISM_E10value_typeEPSN_NS1_7vsmem_tEENKUlT_SL_SM_SN_E_clIS8_S8_S9_S9_EESK_S10_SL_SM_SN_EUlS10_E0_NS1_11comp_targetILNS1_3genE8ELNS1_11target_archE1030ELNS1_3gpuE2ELNS1_3repE0EEENS1_38merge_mergepath_config_static_selectorELNS0_4arch9wavefront6targetE1EEEvSM_
                                        ; -- End function
	.set _ZN7rocprim17ROCPRIM_400000_NS6detail17trampoline_kernelINS0_14default_configENS1_38merge_sort_block_merge_config_selectorIlNS0_10empty_typeEEEZZNS1_27merge_sort_block_merge_implIS3_PlPS5_mZN2at6native12_GLOBAL__N_124unique_dim_cuda_templateIfEESt5tupleIJNSA_6TensorESF_SF_EERKSF_lbbbEUlllE_EE10hipError_tT0_T1_T2_jT3_P12ihipStream_tbPNSt15iterator_traitsISL_E10value_typeEPNSR_ISM_E10value_typeEPSN_NS1_7vsmem_tEENKUlT_SL_SM_SN_E_clIS8_S8_S9_S9_EESK_S10_SL_SM_SN_EUlS10_E0_NS1_11comp_targetILNS1_3genE8ELNS1_11target_archE1030ELNS1_3gpuE2ELNS1_3repE0EEENS1_38merge_mergepath_config_static_selectorELNS0_4arch9wavefront6targetE1EEEvSM_.num_vgpr, 0
	.set _ZN7rocprim17ROCPRIM_400000_NS6detail17trampoline_kernelINS0_14default_configENS1_38merge_sort_block_merge_config_selectorIlNS0_10empty_typeEEEZZNS1_27merge_sort_block_merge_implIS3_PlPS5_mZN2at6native12_GLOBAL__N_124unique_dim_cuda_templateIfEESt5tupleIJNSA_6TensorESF_SF_EERKSF_lbbbEUlllE_EE10hipError_tT0_T1_T2_jT3_P12ihipStream_tbPNSt15iterator_traitsISL_E10value_typeEPNSR_ISM_E10value_typeEPSN_NS1_7vsmem_tEENKUlT_SL_SM_SN_E_clIS8_S8_S9_S9_EESK_S10_SL_SM_SN_EUlS10_E0_NS1_11comp_targetILNS1_3genE8ELNS1_11target_archE1030ELNS1_3gpuE2ELNS1_3repE0EEENS1_38merge_mergepath_config_static_selectorELNS0_4arch9wavefront6targetE1EEEvSM_.num_agpr, 0
	.set _ZN7rocprim17ROCPRIM_400000_NS6detail17trampoline_kernelINS0_14default_configENS1_38merge_sort_block_merge_config_selectorIlNS0_10empty_typeEEEZZNS1_27merge_sort_block_merge_implIS3_PlPS5_mZN2at6native12_GLOBAL__N_124unique_dim_cuda_templateIfEESt5tupleIJNSA_6TensorESF_SF_EERKSF_lbbbEUlllE_EE10hipError_tT0_T1_T2_jT3_P12ihipStream_tbPNSt15iterator_traitsISL_E10value_typeEPNSR_ISM_E10value_typeEPSN_NS1_7vsmem_tEENKUlT_SL_SM_SN_E_clIS8_S8_S9_S9_EESK_S10_SL_SM_SN_EUlS10_E0_NS1_11comp_targetILNS1_3genE8ELNS1_11target_archE1030ELNS1_3gpuE2ELNS1_3repE0EEENS1_38merge_mergepath_config_static_selectorELNS0_4arch9wavefront6targetE1EEEvSM_.numbered_sgpr, 0
	.set _ZN7rocprim17ROCPRIM_400000_NS6detail17trampoline_kernelINS0_14default_configENS1_38merge_sort_block_merge_config_selectorIlNS0_10empty_typeEEEZZNS1_27merge_sort_block_merge_implIS3_PlPS5_mZN2at6native12_GLOBAL__N_124unique_dim_cuda_templateIfEESt5tupleIJNSA_6TensorESF_SF_EERKSF_lbbbEUlllE_EE10hipError_tT0_T1_T2_jT3_P12ihipStream_tbPNSt15iterator_traitsISL_E10value_typeEPNSR_ISM_E10value_typeEPSN_NS1_7vsmem_tEENKUlT_SL_SM_SN_E_clIS8_S8_S9_S9_EESK_S10_SL_SM_SN_EUlS10_E0_NS1_11comp_targetILNS1_3genE8ELNS1_11target_archE1030ELNS1_3gpuE2ELNS1_3repE0EEENS1_38merge_mergepath_config_static_selectorELNS0_4arch9wavefront6targetE1EEEvSM_.num_named_barrier, 0
	.set _ZN7rocprim17ROCPRIM_400000_NS6detail17trampoline_kernelINS0_14default_configENS1_38merge_sort_block_merge_config_selectorIlNS0_10empty_typeEEEZZNS1_27merge_sort_block_merge_implIS3_PlPS5_mZN2at6native12_GLOBAL__N_124unique_dim_cuda_templateIfEESt5tupleIJNSA_6TensorESF_SF_EERKSF_lbbbEUlllE_EE10hipError_tT0_T1_T2_jT3_P12ihipStream_tbPNSt15iterator_traitsISL_E10value_typeEPNSR_ISM_E10value_typeEPSN_NS1_7vsmem_tEENKUlT_SL_SM_SN_E_clIS8_S8_S9_S9_EESK_S10_SL_SM_SN_EUlS10_E0_NS1_11comp_targetILNS1_3genE8ELNS1_11target_archE1030ELNS1_3gpuE2ELNS1_3repE0EEENS1_38merge_mergepath_config_static_selectorELNS0_4arch9wavefront6targetE1EEEvSM_.private_seg_size, 0
	.set _ZN7rocprim17ROCPRIM_400000_NS6detail17trampoline_kernelINS0_14default_configENS1_38merge_sort_block_merge_config_selectorIlNS0_10empty_typeEEEZZNS1_27merge_sort_block_merge_implIS3_PlPS5_mZN2at6native12_GLOBAL__N_124unique_dim_cuda_templateIfEESt5tupleIJNSA_6TensorESF_SF_EERKSF_lbbbEUlllE_EE10hipError_tT0_T1_T2_jT3_P12ihipStream_tbPNSt15iterator_traitsISL_E10value_typeEPNSR_ISM_E10value_typeEPSN_NS1_7vsmem_tEENKUlT_SL_SM_SN_E_clIS8_S8_S9_S9_EESK_S10_SL_SM_SN_EUlS10_E0_NS1_11comp_targetILNS1_3genE8ELNS1_11target_archE1030ELNS1_3gpuE2ELNS1_3repE0EEENS1_38merge_mergepath_config_static_selectorELNS0_4arch9wavefront6targetE1EEEvSM_.uses_vcc, 0
	.set _ZN7rocprim17ROCPRIM_400000_NS6detail17trampoline_kernelINS0_14default_configENS1_38merge_sort_block_merge_config_selectorIlNS0_10empty_typeEEEZZNS1_27merge_sort_block_merge_implIS3_PlPS5_mZN2at6native12_GLOBAL__N_124unique_dim_cuda_templateIfEESt5tupleIJNSA_6TensorESF_SF_EERKSF_lbbbEUlllE_EE10hipError_tT0_T1_T2_jT3_P12ihipStream_tbPNSt15iterator_traitsISL_E10value_typeEPNSR_ISM_E10value_typeEPSN_NS1_7vsmem_tEENKUlT_SL_SM_SN_E_clIS8_S8_S9_S9_EESK_S10_SL_SM_SN_EUlS10_E0_NS1_11comp_targetILNS1_3genE8ELNS1_11target_archE1030ELNS1_3gpuE2ELNS1_3repE0EEENS1_38merge_mergepath_config_static_selectorELNS0_4arch9wavefront6targetE1EEEvSM_.uses_flat_scratch, 0
	.set _ZN7rocprim17ROCPRIM_400000_NS6detail17trampoline_kernelINS0_14default_configENS1_38merge_sort_block_merge_config_selectorIlNS0_10empty_typeEEEZZNS1_27merge_sort_block_merge_implIS3_PlPS5_mZN2at6native12_GLOBAL__N_124unique_dim_cuda_templateIfEESt5tupleIJNSA_6TensorESF_SF_EERKSF_lbbbEUlllE_EE10hipError_tT0_T1_T2_jT3_P12ihipStream_tbPNSt15iterator_traitsISL_E10value_typeEPNSR_ISM_E10value_typeEPSN_NS1_7vsmem_tEENKUlT_SL_SM_SN_E_clIS8_S8_S9_S9_EESK_S10_SL_SM_SN_EUlS10_E0_NS1_11comp_targetILNS1_3genE8ELNS1_11target_archE1030ELNS1_3gpuE2ELNS1_3repE0EEENS1_38merge_mergepath_config_static_selectorELNS0_4arch9wavefront6targetE1EEEvSM_.has_dyn_sized_stack, 0
	.set _ZN7rocprim17ROCPRIM_400000_NS6detail17trampoline_kernelINS0_14default_configENS1_38merge_sort_block_merge_config_selectorIlNS0_10empty_typeEEEZZNS1_27merge_sort_block_merge_implIS3_PlPS5_mZN2at6native12_GLOBAL__N_124unique_dim_cuda_templateIfEESt5tupleIJNSA_6TensorESF_SF_EERKSF_lbbbEUlllE_EE10hipError_tT0_T1_T2_jT3_P12ihipStream_tbPNSt15iterator_traitsISL_E10value_typeEPNSR_ISM_E10value_typeEPSN_NS1_7vsmem_tEENKUlT_SL_SM_SN_E_clIS8_S8_S9_S9_EESK_S10_SL_SM_SN_EUlS10_E0_NS1_11comp_targetILNS1_3genE8ELNS1_11target_archE1030ELNS1_3gpuE2ELNS1_3repE0EEENS1_38merge_mergepath_config_static_selectorELNS0_4arch9wavefront6targetE1EEEvSM_.has_recursion, 0
	.set _ZN7rocprim17ROCPRIM_400000_NS6detail17trampoline_kernelINS0_14default_configENS1_38merge_sort_block_merge_config_selectorIlNS0_10empty_typeEEEZZNS1_27merge_sort_block_merge_implIS3_PlPS5_mZN2at6native12_GLOBAL__N_124unique_dim_cuda_templateIfEESt5tupleIJNSA_6TensorESF_SF_EERKSF_lbbbEUlllE_EE10hipError_tT0_T1_T2_jT3_P12ihipStream_tbPNSt15iterator_traitsISL_E10value_typeEPNSR_ISM_E10value_typeEPSN_NS1_7vsmem_tEENKUlT_SL_SM_SN_E_clIS8_S8_S9_S9_EESK_S10_SL_SM_SN_EUlS10_E0_NS1_11comp_targetILNS1_3genE8ELNS1_11target_archE1030ELNS1_3gpuE2ELNS1_3repE0EEENS1_38merge_mergepath_config_static_selectorELNS0_4arch9wavefront6targetE1EEEvSM_.has_indirect_call, 0
	.section	.AMDGPU.csdata,"",@progbits
; Kernel info:
; codeLenInByte = 0
; TotalNumSgprs: 6
; NumVgprs: 0
; NumAgprs: 0
; TotalNumVgprs: 0
; ScratchSize: 0
; MemoryBound: 0
; FloatMode: 240
; IeeeMode: 1
; LDSByteSize: 0 bytes/workgroup (compile time only)
; SGPRBlocks: 0
; VGPRBlocks: 0
; NumSGPRsForWavesPerEU: 6
; NumVGPRsForWavesPerEU: 1
; AccumOffset: 4
; Occupancy: 8
; WaveLimiterHint : 0
; COMPUTE_PGM_RSRC2:SCRATCH_EN: 0
; COMPUTE_PGM_RSRC2:USER_SGPR: 2
; COMPUTE_PGM_RSRC2:TRAP_HANDLER: 0
; COMPUTE_PGM_RSRC2:TGID_X_EN: 1
; COMPUTE_PGM_RSRC2:TGID_Y_EN: 0
; COMPUTE_PGM_RSRC2:TGID_Z_EN: 0
; COMPUTE_PGM_RSRC2:TIDIG_COMP_CNT: 0
; COMPUTE_PGM_RSRC3_GFX90A:ACCUM_OFFSET: 0
; COMPUTE_PGM_RSRC3_GFX90A:TG_SPLIT: 0
	.section	.text._ZN7rocprim17ROCPRIM_400000_NS6detail17trampoline_kernelINS0_14default_configENS1_38merge_sort_block_merge_config_selectorIlNS0_10empty_typeEEEZZNS1_27merge_sort_block_merge_implIS3_PlPS5_mZN2at6native12_GLOBAL__N_124unique_dim_cuda_templateIfEESt5tupleIJNSA_6TensorESF_SF_EERKSF_lbbbEUlllE_EE10hipError_tT0_T1_T2_jT3_P12ihipStream_tbPNSt15iterator_traitsISL_E10value_typeEPNSR_ISM_E10value_typeEPSN_NS1_7vsmem_tEENKUlT_SL_SM_SN_E_clIS8_S8_S9_S9_EESK_S10_SL_SM_SN_EUlS10_E1_NS1_11comp_targetILNS1_3genE0ELNS1_11target_archE4294967295ELNS1_3gpuE0ELNS1_3repE0EEENS1_36merge_oddeven_config_static_selectorELNS0_4arch9wavefront6targetE1EEEvSM_,"axG",@progbits,_ZN7rocprim17ROCPRIM_400000_NS6detail17trampoline_kernelINS0_14default_configENS1_38merge_sort_block_merge_config_selectorIlNS0_10empty_typeEEEZZNS1_27merge_sort_block_merge_implIS3_PlPS5_mZN2at6native12_GLOBAL__N_124unique_dim_cuda_templateIfEESt5tupleIJNSA_6TensorESF_SF_EERKSF_lbbbEUlllE_EE10hipError_tT0_T1_T2_jT3_P12ihipStream_tbPNSt15iterator_traitsISL_E10value_typeEPNSR_ISM_E10value_typeEPSN_NS1_7vsmem_tEENKUlT_SL_SM_SN_E_clIS8_S8_S9_S9_EESK_S10_SL_SM_SN_EUlS10_E1_NS1_11comp_targetILNS1_3genE0ELNS1_11target_archE4294967295ELNS1_3gpuE0ELNS1_3repE0EEENS1_36merge_oddeven_config_static_selectorELNS0_4arch9wavefront6targetE1EEEvSM_,comdat
	.globl	_ZN7rocprim17ROCPRIM_400000_NS6detail17trampoline_kernelINS0_14default_configENS1_38merge_sort_block_merge_config_selectorIlNS0_10empty_typeEEEZZNS1_27merge_sort_block_merge_implIS3_PlPS5_mZN2at6native12_GLOBAL__N_124unique_dim_cuda_templateIfEESt5tupleIJNSA_6TensorESF_SF_EERKSF_lbbbEUlllE_EE10hipError_tT0_T1_T2_jT3_P12ihipStream_tbPNSt15iterator_traitsISL_E10value_typeEPNSR_ISM_E10value_typeEPSN_NS1_7vsmem_tEENKUlT_SL_SM_SN_E_clIS8_S8_S9_S9_EESK_S10_SL_SM_SN_EUlS10_E1_NS1_11comp_targetILNS1_3genE0ELNS1_11target_archE4294967295ELNS1_3gpuE0ELNS1_3repE0EEENS1_36merge_oddeven_config_static_selectorELNS0_4arch9wavefront6targetE1EEEvSM_ ; -- Begin function _ZN7rocprim17ROCPRIM_400000_NS6detail17trampoline_kernelINS0_14default_configENS1_38merge_sort_block_merge_config_selectorIlNS0_10empty_typeEEEZZNS1_27merge_sort_block_merge_implIS3_PlPS5_mZN2at6native12_GLOBAL__N_124unique_dim_cuda_templateIfEESt5tupleIJNSA_6TensorESF_SF_EERKSF_lbbbEUlllE_EE10hipError_tT0_T1_T2_jT3_P12ihipStream_tbPNSt15iterator_traitsISL_E10value_typeEPNSR_ISM_E10value_typeEPSN_NS1_7vsmem_tEENKUlT_SL_SM_SN_E_clIS8_S8_S9_S9_EESK_S10_SL_SM_SN_EUlS10_E1_NS1_11comp_targetILNS1_3genE0ELNS1_11target_archE4294967295ELNS1_3gpuE0ELNS1_3repE0EEENS1_36merge_oddeven_config_static_selectorELNS0_4arch9wavefront6targetE1EEEvSM_
	.p2align	8
	.type	_ZN7rocprim17ROCPRIM_400000_NS6detail17trampoline_kernelINS0_14default_configENS1_38merge_sort_block_merge_config_selectorIlNS0_10empty_typeEEEZZNS1_27merge_sort_block_merge_implIS3_PlPS5_mZN2at6native12_GLOBAL__N_124unique_dim_cuda_templateIfEESt5tupleIJNSA_6TensorESF_SF_EERKSF_lbbbEUlllE_EE10hipError_tT0_T1_T2_jT3_P12ihipStream_tbPNSt15iterator_traitsISL_E10value_typeEPNSR_ISM_E10value_typeEPSN_NS1_7vsmem_tEENKUlT_SL_SM_SN_E_clIS8_S8_S9_S9_EESK_S10_SL_SM_SN_EUlS10_E1_NS1_11comp_targetILNS1_3genE0ELNS1_11target_archE4294967295ELNS1_3gpuE0ELNS1_3repE0EEENS1_36merge_oddeven_config_static_selectorELNS0_4arch9wavefront6targetE1EEEvSM_,@function
_ZN7rocprim17ROCPRIM_400000_NS6detail17trampoline_kernelINS0_14default_configENS1_38merge_sort_block_merge_config_selectorIlNS0_10empty_typeEEEZZNS1_27merge_sort_block_merge_implIS3_PlPS5_mZN2at6native12_GLOBAL__N_124unique_dim_cuda_templateIfEESt5tupleIJNSA_6TensorESF_SF_EERKSF_lbbbEUlllE_EE10hipError_tT0_T1_T2_jT3_P12ihipStream_tbPNSt15iterator_traitsISL_E10value_typeEPNSR_ISM_E10value_typeEPSN_NS1_7vsmem_tEENKUlT_SL_SM_SN_E_clIS8_S8_S9_S9_EESK_S10_SL_SM_SN_EUlS10_E1_NS1_11comp_targetILNS1_3genE0ELNS1_11target_archE4294967295ELNS1_3gpuE0ELNS1_3repE0EEENS1_36merge_oddeven_config_static_selectorELNS0_4arch9wavefront6targetE1EEEvSM_: ; @_ZN7rocprim17ROCPRIM_400000_NS6detail17trampoline_kernelINS0_14default_configENS1_38merge_sort_block_merge_config_selectorIlNS0_10empty_typeEEEZZNS1_27merge_sort_block_merge_implIS3_PlPS5_mZN2at6native12_GLOBAL__N_124unique_dim_cuda_templateIfEESt5tupleIJNSA_6TensorESF_SF_EERKSF_lbbbEUlllE_EE10hipError_tT0_T1_T2_jT3_P12ihipStream_tbPNSt15iterator_traitsISL_E10value_typeEPNSR_ISM_E10value_typeEPSN_NS1_7vsmem_tEENKUlT_SL_SM_SN_E_clIS8_S8_S9_S9_EESK_S10_SL_SM_SN_EUlS10_E1_NS1_11comp_targetILNS1_3genE0ELNS1_11target_archE4294967295ELNS1_3gpuE0ELNS1_3repE0EEENS1_36merge_oddeven_config_static_selectorELNS0_4arch9wavefront6targetE1EEEvSM_
; %bb.0:
	s_load_dword s22, s[0:1], 0x20
	s_waitcnt lgkmcnt(0)
	s_lshr_b32 s3, s22, 8
	s_cmp_lg_u32 s2, s3
	s_cselect_b64 s[12:13], -1, 0
	s_cmp_eq_u32 s2, s3
	s_cselect_b64 s[20:21], -1, 0
	s_lshl_b32 s18, s2, 8
	s_sub_i32 s3, s22, s18
	v_cmp_gt_u32_e64 s[4:5], s3, v0
	s_or_b64 s[6:7], s[12:13], s[4:5]
	s_and_saveexec_b64 s[8:9], s[6:7]
	s_cbranch_execz .LBB896_54
; %bb.1:
	s_load_dwordx4 s[8:11], s[0:1], 0x0
	s_load_dword s23, s[0:1], 0x28
	s_mov_b32 s19, 0
	s_lshl_b64 s[6:7], s[18:19], 3
	v_lshlrev_b32_e32 v1, 3, v0
	s_waitcnt lgkmcnt(0)
	s_add_u32 s6, s8, s6
	s_addc_u32 s7, s9, s7
	global_load_dwordx2 v[2:3], v1, s[6:7]
	s_lshr_b32 s3, s23, 8
	s_sub_i32 s6, 0, s3
	s_and_b32 s2, s2, s6
	s_and_b32 s3, s2, s3
	s_cmp_lg_u32 s3, 0
	s_cselect_b64 s[6:7], -1, 0
	s_lshl_b32 s19, s2, 8
	s_sub_i32 s2, 0, s23
	s_cmp_eq_u32 s3, 0
	s_cselect_b32 s33, s23, s2
	s_add_i32 s33, s33, s19
	s_cmp_lt_u32 s33, s22
	s_cbranch_scc1 .LBB896_3
; %bb.2:
	v_add_u32_e32 v4, s18, v0
	v_cmp_gt_u32_e32 vcc, s22, v4
	s_or_b64 s[12:13], vcc, s[12:13]
	s_and_b64 s[16:17], s[12:13], exec
	s_cbranch_execz .LBB896_4
	s_branch .LBB896_52
.LBB896_3:
	s_mov_b64 s[16:17], 0
                                        ; implicit-def: $vgpr4
.LBB896_4:
	s_load_dwordx4 s[12:15], s[0:1], 0x30
	s_min_u32 s42, s33, s22
	s_add_i32 s0, s42, s23
	s_min_u32 s43, s0, s22
	s_min_u32 s0, s19, s42
	v_add_u32_e32 v0, s18, v0
	s_add_i32 s19, s19, s42
	v_subrev_u32_e32 v0, s19, v0
	v_add_u32_e32 v14, s0, v0
	s_waitcnt lgkmcnt(0)
	v_cmp_gt_i64_e64 s[18:19], s[12:13], 0
	s_and_b64 vcc, exec, s[20:21]
	s_cbranch_vccz .LBB896_26
; %bb.5:
                                        ; implicit-def: $vgpr4
	s_and_saveexec_b64 s[20:21], s[4:5]
	s_cbranch_execz .LBB896_29
; %bb.6:
	s_cmp_ge_u32 s33, s43
	v_mov_b32_e32 v15, s42
	s_cbranch_scc1 .LBB896_28
; %bb.7:
	s_waitcnt vmcnt(0)
	v_mul_lo_u32 v0, v3, s12
	v_mul_lo_u32 v1, v2, s13
	v_mad_u64_u32 v[4:5], s[0:1], v2, s12, 0
	v_cndmask_b32_e64 v6, 0, 1, s[6:7]
	v_add3_u32 v5, v5, v1, v0
	v_cmp_ne_u32_e64 s[0:1], 1, v6
	v_cndmask_b32_e64 v6, 0, 1, s[18:19]
	v_mov_b64_e32 v[0:1], s[14:15]
	v_lshl_add_u64 v[4:5], v[4:5], 2, s[14:15]
	s_lshl_b64 s[24:25], s[12:13], 2
	s_mov_b64 s[22:23], 0
	v_mov_b32_e32 v16, s43
	v_mov_b32_e32 v15, s42
	;; [unrolled: 1-line block ×3, first 2 shown]
	v_cmp_ne_u32_e64 s[2:3], 1, v6
	s_branch .LBB896_10
.LBB896_8:                              ;   in Loop: Header=BB896_10 Depth=1
	s_or_b64 exec, exec, s[28:29]
.LBB896_9:                              ;   in Loop: Header=BB896_10 Depth=1
	s_waitcnt vmcnt(0)
	v_add_u32_e32 v8, 1, v6
	v_cndmask_b32_e64 v16, v6, v16, s[26:27]
	v_cndmask_b32_e64 v15, v15, v8, s[26:27]
	v_cmp_ge_u32_e32 vcc, v15, v16
	s_or_b64 s[22:23], vcc, s[22:23]
	s_andn2_b64 exec, exec, s[22:23]
	s_cbranch_execz .LBB896_27
.LBB896_10:                             ; =>This Loop Header: Depth=1
                                        ;     Child Loop BB896_14 Depth 2
                                        ;     Child Loop BB896_23 Depth 2
	v_add_u32_e32 v6, v15, v16
	v_lshrrev_b32_e32 v6, 1, v6
	v_lshl_add_u64 v[8:9], v[6:7], 3, s[8:9]
	global_load_dwordx2 v[8:9], v[8:9], off
	s_and_b64 vcc, exec, s[0:1]
	s_mov_b64 s[4:5], -1
                                        ; implicit-def: $sgpr26_sgpr27
	s_cbranch_vccnz .LBB896_19
; %bb.11:                               ;   in Loop: Header=BB896_10 Depth=1
	s_and_b64 vcc, exec, s[2:3]
	s_cbranch_vccnz .LBB896_17
; %bb.12:                               ;   in Loop: Header=BB896_10 Depth=1
	s_waitcnt vmcnt(0)
	v_mad_u64_u32 v[10:11], s[4:5], s24, v8, v[0:1]
	v_mul_lo_u32 v12, s24, v9
	v_mul_lo_u32 v13, s25, v8
	v_add3_u32 v11, v13, v11, v12
	s_mov_b64 s[26:27], 0
	s_mov_b64 s[34:35], s[12:13]
	v_mov_b64_e32 v[12:13], v[4:5]
                                        ; implicit-def: $sgpr28_sgpr29
                                        ; implicit-def: $sgpr30_sgpr31
                                        ; implicit-def: $sgpr4_sgpr5
                                        ; implicit-def: $sgpr36_sgpr37
	s_branch .LBB896_14
.LBB896_13:                             ;   in Loop: Header=BB896_14 Depth=2
	s_or_b64 exec, exec, s[40:41]
	s_and_b64 s[40:41], exec, s[30:31]
	s_or_b64 s[26:27], s[40:41], s[26:27]
	s_andn2_b64 s[36:37], s[36:37], exec
	s_and_b64 s[38:39], s[38:39], exec
	s_or_b64 s[36:37], s[36:37], s[38:39]
	s_andn2_b64 s[28:29], s[28:29], exec
	s_and_b64 s[38:39], s[4:5], exec
	s_or_b64 s[28:29], s[28:29], s[38:39]
	s_andn2_b64 exec, exec, s[26:27]
	s_cbranch_execz .LBB896_16
.LBB896_14:                             ;   Parent Loop BB896_10 Depth=1
                                        ; =>  This Inner Loop Header: Depth=2
	global_load_dword v17, v[12:13], off
	global_load_dword v18, v[10:11], off
	s_andn2_b64 s[40:41], s[4:5], exec
	s_or_b64 s[30:31], s[30:31], exec
	s_waitcnt vmcnt(0)
	v_cmp_ngt_f32_e64 s[4:5], v17, v18
	v_cmp_lt_f32_e32 vcc, v17, v18
	s_and_b64 s[38:39], s[4:5], s[36:37]
	s_or_b64 s[38:39], vcc, s[38:39]
	s_xor_b64 s[44:45], vcc, s[4:5]
	s_and_b64 s[4:5], s[38:39], exec
	s_or_b64 s[4:5], s[40:41], s[4:5]
	s_and_saveexec_b64 s[40:41], s[44:45]
	s_cbranch_execz .LBB896_13
; %bb.15:                               ;   in Loop: Header=BB896_14 Depth=2
	s_add_u32 s34, s34, -1
	s_addc_u32 s35, s35, -1
	s_cmp_eq_u64 s[34:35], 0
	s_cselect_b64 s[36:37], -1, 0
	s_andn2_b64 s[30:31], s[30:31], exec
	s_and_b64 s[36:37], s[36:37], exec
	v_lshl_add_u64 v[12:13], v[12:13], 0, 4
	v_lshl_add_u64 v[10:11], v[10:11], 0, 4
	s_andn2_b64 s[4:5], s[4:5], exec
	s_or_b64 s[30:31], s[30:31], s[36:37]
                                        ; implicit-def: $sgpr36_sgpr37
	s_branch .LBB896_13
.LBB896_16:                             ;   in Loop: Header=BB896_10 Depth=1
	s_or_b64 exec, exec, s[26:27]
	s_xor_b64 s[26:27], s[28:29], -1
	s_branch .LBB896_18
.LBB896_17:                             ;   in Loop: Header=BB896_10 Depth=1
	s_mov_b64 s[26:27], -1
.LBB896_18:                             ;   in Loop: Header=BB896_10 Depth=1
	s_mov_b64 s[4:5], 0
.LBB896_19:                             ;   in Loop: Header=BB896_10 Depth=1
	s_andn2_b64 vcc, exec, s[4:5]
	s_cbranch_vccnz .LBB896_9
; %bb.20:                               ;   in Loop: Header=BB896_10 Depth=1
	s_and_b64 vcc, exec, s[2:3]
	s_cbranch_vccnz .LBB896_25
; %bb.21:                               ;   in Loop: Header=BB896_10 Depth=1
	s_waitcnt vmcnt(0)
	v_mad_u64_u32 v[10:11], s[4:5], s24, v8, v[0:1]
	v_mul_lo_u32 v9, s24, v9
	v_mul_lo_u32 v8, s25, v8
	v_add3_u32 v11, v8, v11, v9
	s_mov_b64 s[28:29], 0
	s_mov_b64 s[34:35], s[12:13]
	v_mov_b64_e32 v[8:9], v[4:5]
                                        ; implicit-def: $sgpr26_sgpr27
                                        ; implicit-def: $sgpr30_sgpr31
                                        ; implicit-def: $sgpr4_sgpr5
                                        ; implicit-def: $sgpr36_sgpr37
	s_branch .LBB896_23
.LBB896_22:                             ;   in Loop: Header=BB896_23 Depth=2
	s_or_b64 exec, exec, s[40:41]
	s_and_b64 s[40:41], exec, s[30:31]
	s_or_b64 s[28:29], s[40:41], s[28:29]
	s_andn2_b64 s[36:37], s[36:37], exec
	s_and_b64 s[38:39], s[38:39], exec
	s_or_b64 s[36:37], s[36:37], s[38:39]
	s_andn2_b64 s[26:27], s[26:27], exec
	s_and_b64 s[38:39], s[4:5], exec
	s_or_b64 s[26:27], s[26:27], s[38:39]
	s_andn2_b64 exec, exec, s[28:29]
	s_cbranch_execz .LBB896_8
.LBB896_23:                             ;   Parent Loop BB896_10 Depth=1
                                        ; =>  This Inner Loop Header: Depth=2
	global_load_dword v12, v[10:11], off
	global_load_dword v13, v[8:9], off
	s_andn2_b64 s[40:41], s[4:5], exec
	s_or_b64 s[30:31], s[30:31], exec
	s_waitcnt vmcnt(0)
	v_cmp_ngt_f32_e64 s[4:5], v12, v13
	v_cmp_lt_f32_e32 vcc, v12, v13
	s_and_b64 s[38:39], s[4:5], s[36:37]
	s_or_b64 s[38:39], vcc, s[38:39]
	s_xor_b64 s[44:45], vcc, s[4:5]
	s_and_b64 s[4:5], s[38:39], exec
	s_or_b64 s[4:5], s[40:41], s[4:5]
	s_and_saveexec_b64 s[40:41], s[44:45]
	s_cbranch_execz .LBB896_22
; %bb.24:                               ;   in Loop: Header=BB896_23 Depth=2
	s_add_u32 s34, s34, -1
	s_addc_u32 s35, s35, -1
	s_cmp_eq_u64 s[34:35], 0
	s_cselect_b64 s[36:37], -1, 0
	s_andn2_b64 s[30:31], s[30:31], exec
	s_and_b64 s[36:37], s[36:37], exec
	v_lshl_add_u64 v[10:11], v[10:11], 0, 4
	v_lshl_add_u64 v[8:9], v[8:9], 0, 4
	s_andn2_b64 s[4:5], s[4:5], exec
	s_or_b64 s[30:31], s[30:31], s[36:37]
                                        ; implicit-def: $sgpr36_sgpr37
	s_branch .LBB896_22
.LBB896_25:                             ;   in Loop: Header=BB896_10 Depth=1
	s_mov_b64 s[26:27], 0
	s_branch .LBB896_9
.LBB896_26:
                                        ; implicit-def: $vgpr4
	s_cbranch_execnz .LBB896_30
	s_branch .LBB896_52
.LBB896_27:
	s_or_b64 exec, exec, s[22:23]
.LBB896_28:
	v_add_u32_e32 v4, v15, v14
	s_or_b64 s[16:17], s[16:17], exec
.LBB896_29:
	s_or_b64 exec, exec, s[20:21]
	s_branch .LBB896_52
.LBB896_30:
	s_cmp_ge_u32 s33, s43
	v_mov_b32_e32 v15, s42
	s_cbranch_scc1 .LBB896_51
; %bb.31:
	s_waitcnt vmcnt(0)
	v_mul_lo_u32 v0, v3, s12
	v_mul_lo_u32 v1, v2, s13
	v_mad_u64_u32 v[4:5], s[0:1], v2, s12, 0
	v_cndmask_b32_e64 v6, 0, 1, s[6:7]
	v_add3_u32 v5, v5, v1, v0
	v_cmp_ne_u32_e64 s[0:1], 1, v6
	v_cndmask_b32_e64 v6, 0, 1, s[18:19]
	v_mov_b64_e32 v[0:1], s[14:15]
	v_lshl_add_u64 v[4:5], v[4:5], 2, s[14:15]
	s_lshl_b64 s[16:17], s[12:13], 2
	s_mov_b64 s[14:15], 0
	v_mov_b32_e32 v16, s43
	v_mov_b32_e32 v15, s42
	;; [unrolled: 1-line block ×3, first 2 shown]
	v_cmp_ne_u32_e64 s[2:3], 1, v6
	s_branch .LBB896_34
.LBB896_32:                             ;   in Loop: Header=BB896_34 Depth=1
	s_or_b64 exec, exec, s[18:19]
.LBB896_33:                             ;   in Loop: Header=BB896_34 Depth=1
	s_waitcnt vmcnt(0)
	v_add_u32_e32 v8, 1, v6
	v_cndmask_b32_e64 v16, v6, v16, s[6:7]
	v_cndmask_b32_e64 v15, v15, v8, s[6:7]
	v_cmp_ge_u32_e32 vcc, v15, v16
	s_or_b64 s[14:15], vcc, s[14:15]
	s_andn2_b64 exec, exec, s[14:15]
	s_cbranch_execz .LBB896_50
.LBB896_34:                             ; =>This Loop Header: Depth=1
                                        ;     Child Loop BB896_38 Depth 2
                                        ;     Child Loop BB896_47 Depth 2
	v_add_u32_e32 v6, v15, v16
	v_lshrrev_b32_e32 v6, 1, v6
	v_lshl_add_u64 v[8:9], v[6:7], 3, s[8:9]
	global_load_dwordx2 v[8:9], v[8:9], off
	s_and_b64 vcc, exec, s[0:1]
	s_mov_b64 s[4:5], -1
                                        ; implicit-def: $sgpr6_sgpr7
	s_cbranch_vccnz .LBB896_43
; %bb.35:                               ;   in Loop: Header=BB896_34 Depth=1
	s_and_b64 vcc, exec, s[2:3]
	s_cbranch_vccnz .LBB896_41
; %bb.36:                               ;   in Loop: Header=BB896_34 Depth=1
	s_waitcnt vmcnt(0)
	v_mad_u64_u32 v[10:11], s[4:5], s16, v8, v[0:1]
	v_mul_lo_u32 v12, s16, v9
	v_mul_lo_u32 v13, s17, v8
	v_add3_u32 v11, v13, v11, v12
	s_mov_b64 s[6:7], 0
	s_mov_b64 s[22:23], s[12:13]
	v_mov_b64_e32 v[12:13], v[4:5]
                                        ; implicit-def: $sgpr18_sgpr19
                                        ; implicit-def: $sgpr20_sgpr21
                                        ; implicit-def: $sgpr4_sgpr5
                                        ; implicit-def: $sgpr24_sgpr25
	s_branch .LBB896_38
.LBB896_37:                             ;   in Loop: Header=BB896_38 Depth=2
	s_or_b64 exec, exec, s[28:29]
	s_and_b64 s[28:29], exec, s[20:21]
	s_or_b64 s[6:7], s[28:29], s[6:7]
	s_andn2_b64 s[24:25], s[24:25], exec
	s_and_b64 s[26:27], s[26:27], exec
	s_or_b64 s[24:25], s[24:25], s[26:27]
	s_andn2_b64 s[18:19], s[18:19], exec
	s_and_b64 s[26:27], s[4:5], exec
	s_or_b64 s[18:19], s[18:19], s[26:27]
	s_andn2_b64 exec, exec, s[6:7]
	s_cbranch_execz .LBB896_40
.LBB896_38:                             ;   Parent Loop BB896_34 Depth=1
                                        ; =>  This Inner Loop Header: Depth=2
	global_load_dword v17, v[12:13], off
	global_load_dword v18, v[10:11], off
	s_andn2_b64 s[28:29], s[4:5], exec
	s_or_b64 s[20:21], s[20:21], exec
	s_waitcnt vmcnt(0)
	v_cmp_ngt_f32_e64 s[4:5], v17, v18
	v_cmp_lt_f32_e32 vcc, v17, v18
	s_and_b64 s[26:27], s[4:5], s[24:25]
	s_or_b64 s[26:27], vcc, s[26:27]
	s_xor_b64 s[30:31], vcc, s[4:5]
	s_and_b64 s[4:5], s[26:27], exec
	s_or_b64 s[4:5], s[28:29], s[4:5]
	s_and_saveexec_b64 s[28:29], s[30:31]
	s_cbranch_execz .LBB896_37
; %bb.39:                               ;   in Loop: Header=BB896_38 Depth=2
	s_add_u32 s22, s22, -1
	s_addc_u32 s23, s23, -1
	s_cmp_eq_u64 s[22:23], 0
	s_cselect_b64 s[24:25], -1, 0
	s_andn2_b64 s[20:21], s[20:21], exec
	s_and_b64 s[24:25], s[24:25], exec
	v_lshl_add_u64 v[12:13], v[12:13], 0, 4
	v_lshl_add_u64 v[10:11], v[10:11], 0, 4
	s_andn2_b64 s[4:5], s[4:5], exec
	s_or_b64 s[20:21], s[20:21], s[24:25]
                                        ; implicit-def: $sgpr24_sgpr25
	s_branch .LBB896_37
.LBB896_40:                             ;   in Loop: Header=BB896_34 Depth=1
	s_or_b64 exec, exec, s[6:7]
	s_xor_b64 s[6:7], s[18:19], -1
	s_branch .LBB896_42
.LBB896_41:                             ;   in Loop: Header=BB896_34 Depth=1
	s_mov_b64 s[6:7], -1
.LBB896_42:                             ;   in Loop: Header=BB896_34 Depth=1
	s_mov_b64 s[4:5], 0
.LBB896_43:                             ;   in Loop: Header=BB896_34 Depth=1
	s_andn2_b64 vcc, exec, s[4:5]
	s_cbranch_vccnz .LBB896_33
; %bb.44:                               ;   in Loop: Header=BB896_34 Depth=1
	s_and_b64 vcc, exec, s[2:3]
	s_cbranch_vccnz .LBB896_49
; %bb.45:                               ;   in Loop: Header=BB896_34 Depth=1
	s_waitcnt vmcnt(0)
	v_mad_u64_u32 v[10:11], s[4:5], s16, v8, v[0:1]
	v_mul_lo_u32 v9, s16, v9
	v_mul_lo_u32 v8, s17, v8
	v_add3_u32 v11, v8, v11, v9
	s_mov_b64 s[18:19], 0
	s_mov_b64 s[22:23], s[12:13]
	v_mov_b64_e32 v[8:9], v[4:5]
                                        ; implicit-def: $sgpr6_sgpr7
                                        ; implicit-def: $sgpr20_sgpr21
                                        ; implicit-def: $sgpr4_sgpr5
                                        ; implicit-def: $sgpr24_sgpr25
	s_branch .LBB896_47
.LBB896_46:                             ;   in Loop: Header=BB896_47 Depth=2
	s_or_b64 exec, exec, s[28:29]
	s_and_b64 s[28:29], exec, s[20:21]
	s_or_b64 s[18:19], s[28:29], s[18:19]
	s_andn2_b64 s[24:25], s[24:25], exec
	s_and_b64 s[26:27], s[26:27], exec
	s_or_b64 s[24:25], s[24:25], s[26:27]
	s_andn2_b64 s[6:7], s[6:7], exec
	s_and_b64 s[26:27], s[4:5], exec
	s_or_b64 s[6:7], s[6:7], s[26:27]
	s_andn2_b64 exec, exec, s[18:19]
	s_cbranch_execz .LBB896_32
.LBB896_47:                             ;   Parent Loop BB896_34 Depth=1
                                        ; =>  This Inner Loop Header: Depth=2
	global_load_dword v12, v[10:11], off
	global_load_dword v13, v[8:9], off
	s_andn2_b64 s[28:29], s[4:5], exec
	s_or_b64 s[20:21], s[20:21], exec
	s_waitcnt vmcnt(0)
	v_cmp_ngt_f32_e64 s[4:5], v12, v13
	v_cmp_lt_f32_e32 vcc, v12, v13
	s_and_b64 s[26:27], s[4:5], s[24:25]
	s_or_b64 s[26:27], vcc, s[26:27]
	s_xor_b64 s[30:31], vcc, s[4:5]
	s_and_b64 s[4:5], s[26:27], exec
	s_or_b64 s[4:5], s[28:29], s[4:5]
	s_and_saveexec_b64 s[28:29], s[30:31]
	s_cbranch_execz .LBB896_46
; %bb.48:                               ;   in Loop: Header=BB896_47 Depth=2
	s_add_u32 s22, s22, -1
	s_addc_u32 s23, s23, -1
	s_cmp_eq_u64 s[22:23], 0
	s_cselect_b64 s[24:25], -1, 0
	s_andn2_b64 s[20:21], s[20:21], exec
	s_and_b64 s[24:25], s[24:25], exec
	v_lshl_add_u64 v[10:11], v[10:11], 0, 4
	v_lshl_add_u64 v[8:9], v[8:9], 0, 4
	s_andn2_b64 s[4:5], s[4:5], exec
	s_or_b64 s[20:21], s[20:21], s[24:25]
                                        ; implicit-def: $sgpr24_sgpr25
	s_branch .LBB896_46
.LBB896_49:                             ;   in Loop: Header=BB896_34 Depth=1
	s_mov_b64 s[6:7], 0
	s_branch .LBB896_33
.LBB896_50:
	s_or_b64 exec, exec, s[14:15]
.LBB896_51:
	v_add_u32_e32 v4, v15, v14
	s_mov_b64 s[16:17], -1
.LBB896_52:
	s_and_b64 exec, exec, s[16:17]
	s_cbranch_execz .LBB896_54
; %bb.53:
	v_mov_b32_e32 v0, s10
	v_mov_b32_e32 v1, s11
	;; [unrolled: 1-line block ×3, first 2 shown]
	v_lshl_add_u64 v[0:1], v[4:5], 3, v[0:1]
	s_waitcnt vmcnt(0)
	global_store_dwordx2 v[0:1], v[2:3], off
.LBB896_54:
	s_endpgm
	.section	.rodata,"a",@progbits
	.p2align	6, 0x0
	.amdhsa_kernel _ZN7rocprim17ROCPRIM_400000_NS6detail17trampoline_kernelINS0_14default_configENS1_38merge_sort_block_merge_config_selectorIlNS0_10empty_typeEEEZZNS1_27merge_sort_block_merge_implIS3_PlPS5_mZN2at6native12_GLOBAL__N_124unique_dim_cuda_templateIfEESt5tupleIJNSA_6TensorESF_SF_EERKSF_lbbbEUlllE_EE10hipError_tT0_T1_T2_jT3_P12ihipStream_tbPNSt15iterator_traitsISL_E10value_typeEPNSR_ISM_E10value_typeEPSN_NS1_7vsmem_tEENKUlT_SL_SM_SN_E_clIS8_S8_S9_S9_EESK_S10_SL_SM_SN_EUlS10_E1_NS1_11comp_targetILNS1_3genE0ELNS1_11target_archE4294967295ELNS1_3gpuE0ELNS1_3repE0EEENS1_36merge_oddeven_config_static_selectorELNS0_4arch9wavefront6targetE1EEEvSM_
		.amdhsa_group_segment_fixed_size 0
		.amdhsa_private_segment_fixed_size 0
		.amdhsa_kernarg_size 64
		.amdhsa_user_sgpr_count 2
		.amdhsa_user_sgpr_dispatch_ptr 0
		.amdhsa_user_sgpr_queue_ptr 0
		.amdhsa_user_sgpr_kernarg_segment_ptr 1
		.amdhsa_user_sgpr_dispatch_id 0
		.amdhsa_user_sgpr_kernarg_preload_length 0
		.amdhsa_user_sgpr_kernarg_preload_offset 0
		.amdhsa_user_sgpr_private_segment_size 0
		.amdhsa_uses_dynamic_stack 0
		.amdhsa_enable_private_segment 0
		.amdhsa_system_sgpr_workgroup_id_x 1
		.amdhsa_system_sgpr_workgroup_id_y 0
		.amdhsa_system_sgpr_workgroup_id_z 0
		.amdhsa_system_sgpr_workgroup_info 0
		.amdhsa_system_vgpr_workitem_id 0
		.amdhsa_next_free_vgpr 19
		.amdhsa_next_free_sgpr 46
		.amdhsa_accum_offset 20
		.amdhsa_reserve_vcc 1
		.amdhsa_float_round_mode_32 0
		.amdhsa_float_round_mode_16_64 0
		.amdhsa_float_denorm_mode_32 3
		.amdhsa_float_denorm_mode_16_64 3
		.amdhsa_dx10_clamp 1
		.amdhsa_ieee_mode 1
		.amdhsa_fp16_overflow 0
		.amdhsa_tg_split 0
		.amdhsa_exception_fp_ieee_invalid_op 0
		.amdhsa_exception_fp_denorm_src 0
		.amdhsa_exception_fp_ieee_div_zero 0
		.amdhsa_exception_fp_ieee_overflow 0
		.amdhsa_exception_fp_ieee_underflow 0
		.amdhsa_exception_fp_ieee_inexact 0
		.amdhsa_exception_int_div_zero 0
	.end_amdhsa_kernel
	.section	.text._ZN7rocprim17ROCPRIM_400000_NS6detail17trampoline_kernelINS0_14default_configENS1_38merge_sort_block_merge_config_selectorIlNS0_10empty_typeEEEZZNS1_27merge_sort_block_merge_implIS3_PlPS5_mZN2at6native12_GLOBAL__N_124unique_dim_cuda_templateIfEESt5tupleIJNSA_6TensorESF_SF_EERKSF_lbbbEUlllE_EE10hipError_tT0_T1_T2_jT3_P12ihipStream_tbPNSt15iterator_traitsISL_E10value_typeEPNSR_ISM_E10value_typeEPSN_NS1_7vsmem_tEENKUlT_SL_SM_SN_E_clIS8_S8_S9_S9_EESK_S10_SL_SM_SN_EUlS10_E1_NS1_11comp_targetILNS1_3genE0ELNS1_11target_archE4294967295ELNS1_3gpuE0ELNS1_3repE0EEENS1_36merge_oddeven_config_static_selectorELNS0_4arch9wavefront6targetE1EEEvSM_,"axG",@progbits,_ZN7rocprim17ROCPRIM_400000_NS6detail17trampoline_kernelINS0_14default_configENS1_38merge_sort_block_merge_config_selectorIlNS0_10empty_typeEEEZZNS1_27merge_sort_block_merge_implIS3_PlPS5_mZN2at6native12_GLOBAL__N_124unique_dim_cuda_templateIfEESt5tupleIJNSA_6TensorESF_SF_EERKSF_lbbbEUlllE_EE10hipError_tT0_T1_T2_jT3_P12ihipStream_tbPNSt15iterator_traitsISL_E10value_typeEPNSR_ISM_E10value_typeEPSN_NS1_7vsmem_tEENKUlT_SL_SM_SN_E_clIS8_S8_S9_S9_EESK_S10_SL_SM_SN_EUlS10_E1_NS1_11comp_targetILNS1_3genE0ELNS1_11target_archE4294967295ELNS1_3gpuE0ELNS1_3repE0EEENS1_36merge_oddeven_config_static_selectorELNS0_4arch9wavefront6targetE1EEEvSM_,comdat
.Lfunc_end896:
	.size	_ZN7rocprim17ROCPRIM_400000_NS6detail17trampoline_kernelINS0_14default_configENS1_38merge_sort_block_merge_config_selectorIlNS0_10empty_typeEEEZZNS1_27merge_sort_block_merge_implIS3_PlPS5_mZN2at6native12_GLOBAL__N_124unique_dim_cuda_templateIfEESt5tupleIJNSA_6TensorESF_SF_EERKSF_lbbbEUlllE_EE10hipError_tT0_T1_T2_jT3_P12ihipStream_tbPNSt15iterator_traitsISL_E10value_typeEPNSR_ISM_E10value_typeEPSN_NS1_7vsmem_tEENKUlT_SL_SM_SN_E_clIS8_S8_S9_S9_EESK_S10_SL_SM_SN_EUlS10_E1_NS1_11comp_targetILNS1_3genE0ELNS1_11target_archE4294967295ELNS1_3gpuE0ELNS1_3repE0EEENS1_36merge_oddeven_config_static_selectorELNS0_4arch9wavefront6targetE1EEEvSM_, .Lfunc_end896-_ZN7rocprim17ROCPRIM_400000_NS6detail17trampoline_kernelINS0_14default_configENS1_38merge_sort_block_merge_config_selectorIlNS0_10empty_typeEEEZZNS1_27merge_sort_block_merge_implIS3_PlPS5_mZN2at6native12_GLOBAL__N_124unique_dim_cuda_templateIfEESt5tupleIJNSA_6TensorESF_SF_EERKSF_lbbbEUlllE_EE10hipError_tT0_T1_T2_jT3_P12ihipStream_tbPNSt15iterator_traitsISL_E10value_typeEPNSR_ISM_E10value_typeEPSN_NS1_7vsmem_tEENKUlT_SL_SM_SN_E_clIS8_S8_S9_S9_EESK_S10_SL_SM_SN_EUlS10_E1_NS1_11comp_targetILNS1_3genE0ELNS1_11target_archE4294967295ELNS1_3gpuE0ELNS1_3repE0EEENS1_36merge_oddeven_config_static_selectorELNS0_4arch9wavefront6targetE1EEEvSM_
                                        ; -- End function
	.set _ZN7rocprim17ROCPRIM_400000_NS6detail17trampoline_kernelINS0_14default_configENS1_38merge_sort_block_merge_config_selectorIlNS0_10empty_typeEEEZZNS1_27merge_sort_block_merge_implIS3_PlPS5_mZN2at6native12_GLOBAL__N_124unique_dim_cuda_templateIfEESt5tupleIJNSA_6TensorESF_SF_EERKSF_lbbbEUlllE_EE10hipError_tT0_T1_T2_jT3_P12ihipStream_tbPNSt15iterator_traitsISL_E10value_typeEPNSR_ISM_E10value_typeEPSN_NS1_7vsmem_tEENKUlT_SL_SM_SN_E_clIS8_S8_S9_S9_EESK_S10_SL_SM_SN_EUlS10_E1_NS1_11comp_targetILNS1_3genE0ELNS1_11target_archE4294967295ELNS1_3gpuE0ELNS1_3repE0EEENS1_36merge_oddeven_config_static_selectorELNS0_4arch9wavefront6targetE1EEEvSM_.num_vgpr, 19
	.set _ZN7rocprim17ROCPRIM_400000_NS6detail17trampoline_kernelINS0_14default_configENS1_38merge_sort_block_merge_config_selectorIlNS0_10empty_typeEEEZZNS1_27merge_sort_block_merge_implIS3_PlPS5_mZN2at6native12_GLOBAL__N_124unique_dim_cuda_templateIfEESt5tupleIJNSA_6TensorESF_SF_EERKSF_lbbbEUlllE_EE10hipError_tT0_T1_T2_jT3_P12ihipStream_tbPNSt15iterator_traitsISL_E10value_typeEPNSR_ISM_E10value_typeEPSN_NS1_7vsmem_tEENKUlT_SL_SM_SN_E_clIS8_S8_S9_S9_EESK_S10_SL_SM_SN_EUlS10_E1_NS1_11comp_targetILNS1_3genE0ELNS1_11target_archE4294967295ELNS1_3gpuE0ELNS1_3repE0EEENS1_36merge_oddeven_config_static_selectorELNS0_4arch9wavefront6targetE1EEEvSM_.num_agpr, 0
	.set _ZN7rocprim17ROCPRIM_400000_NS6detail17trampoline_kernelINS0_14default_configENS1_38merge_sort_block_merge_config_selectorIlNS0_10empty_typeEEEZZNS1_27merge_sort_block_merge_implIS3_PlPS5_mZN2at6native12_GLOBAL__N_124unique_dim_cuda_templateIfEESt5tupleIJNSA_6TensorESF_SF_EERKSF_lbbbEUlllE_EE10hipError_tT0_T1_T2_jT3_P12ihipStream_tbPNSt15iterator_traitsISL_E10value_typeEPNSR_ISM_E10value_typeEPSN_NS1_7vsmem_tEENKUlT_SL_SM_SN_E_clIS8_S8_S9_S9_EESK_S10_SL_SM_SN_EUlS10_E1_NS1_11comp_targetILNS1_3genE0ELNS1_11target_archE4294967295ELNS1_3gpuE0ELNS1_3repE0EEENS1_36merge_oddeven_config_static_selectorELNS0_4arch9wavefront6targetE1EEEvSM_.numbered_sgpr, 46
	.set _ZN7rocprim17ROCPRIM_400000_NS6detail17trampoline_kernelINS0_14default_configENS1_38merge_sort_block_merge_config_selectorIlNS0_10empty_typeEEEZZNS1_27merge_sort_block_merge_implIS3_PlPS5_mZN2at6native12_GLOBAL__N_124unique_dim_cuda_templateIfEESt5tupleIJNSA_6TensorESF_SF_EERKSF_lbbbEUlllE_EE10hipError_tT0_T1_T2_jT3_P12ihipStream_tbPNSt15iterator_traitsISL_E10value_typeEPNSR_ISM_E10value_typeEPSN_NS1_7vsmem_tEENKUlT_SL_SM_SN_E_clIS8_S8_S9_S9_EESK_S10_SL_SM_SN_EUlS10_E1_NS1_11comp_targetILNS1_3genE0ELNS1_11target_archE4294967295ELNS1_3gpuE0ELNS1_3repE0EEENS1_36merge_oddeven_config_static_selectorELNS0_4arch9wavefront6targetE1EEEvSM_.num_named_barrier, 0
	.set _ZN7rocprim17ROCPRIM_400000_NS6detail17trampoline_kernelINS0_14default_configENS1_38merge_sort_block_merge_config_selectorIlNS0_10empty_typeEEEZZNS1_27merge_sort_block_merge_implIS3_PlPS5_mZN2at6native12_GLOBAL__N_124unique_dim_cuda_templateIfEESt5tupleIJNSA_6TensorESF_SF_EERKSF_lbbbEUlllE_EE10hipError_tT0_T1_T2_jT3_P12ihipStream_tbPNSt15iterator_traitsISL_E10value_typeEPNSR_ISM_E10value_typeEPSN_NS1_7vsmem_tEENKUlT_SL_SM_SN_E_clIS8_S8_S9_S9_EESK_S10_SL_SM_SN_EUlS10_E1_NS1_11comp_targetILNS1_3genE0ELNS1_11target_archE4294967295ELNS1_3gpuE0ELNS1_3repE0EEENS1_36merge_oddeven_config_static_selectorELNS0_4arch9wavefront6targetE1EEEvSM_.private_seg_size, 0
	.set _ZN7rocprim17ROCPRIM_400000_NS6detail17trampoline_kernelINS0_14default_configENS1_38merge_sort_block_merge_config_selectorIlNS0_10empty_typeEEEZZNS1_27merge_sort_block_merge_implIS3_PlPS5_mZN2at6native12_GLOBAL__N_124unique_dim_cuda_templateIfEESt5tupleIJNSA_6TensorESF_SF_EERKSF_lbbbEUlllE_EE10hipError_tT0_T1_T2_jT3_P12ihipStream_tbPNSt15iterator_traitsISL_E10value_typeEPNSR_ISM_E10value_typeEPSN_NS1_7vsmem_tEENKUlT_SL_SM_SN_E_clIS8_S8_S9_S9_EESK_S10_SL_SM_SN_EUlS10_E1_NS1_11comp_targetILNS1_3genE0ELNS1_11target_archE4294967295ELNS1_3gpuE0ELNS1_3repE0EEENS1_36merge_oddeven_config_static_selectorELNS0_4arch9wavefront6targetE1EEEvSM_.uses_vcc, 1
	.set _ZN7rocprim17ROCPRIM_400000_NS6detail17trampoline_kernelINS0_14default_configENS1_38merge_sort_block_merge_config_selectorIlNS0_10empty_typeEEEZZNS1_27merge_sort_block_merge_implIS3_PlPS5_mZN2at6native12_GLOBAL__N_124unique_dim_cuda_templateIfEESt5tupleIJNSA_6TensorESF_SF_EERKSF_lbbbEUlllE_EE10hipError_tT0_T1_T2_jT3_P12ihipStream_tbPNSt15iterator_traitsISL_E10value_typeEPNSR_ISM_E10value_typeEPSN_NS1_7vsmem_tEENKUlT_SL_SM_SN_E_clIS8_S8_S9_S9_EESK_S10_SL_SM_SN_EUlS10_E1_NS1_11comp_targetILNS1_3genE0ELNS1_11target_archE4294967295ELNS1_3gpuE0ELNS1_3repE0EEENS1_36merge_oddeven_config_static_selectorELNS0_4arch9wavefront6targetE1EEEvSM_.uses_flat_scratch, 0
	.set _ZN7rocprim17ROCPRIM_400000_NS6detail17trampoline_kernelINS0_14default_configENS1_38merge_sort_block_merge_config_selectorIlNS0_10empty_typeEEEZZNS1_27merge_sort_block_merge_implIS3_PlPS5_mZN2at6native12_GLOBAL__N_124unique_dim_cuda_templateIfEESt5tupleIJNSA_6TensorESF_SF_EERKSF_lbbbEUlllE_EE10hipError_tT0_T1_T2_jT3_P12ihipStream_tbPNSt15iterator_traitsISL_E10value_typeEPNSR_ISM_E10value_typeEPSN_NS1_7vsmem_tEENKUlT_SL_SM_SN_E_clIS8_S8_S9_S9_EESK_S10_SL_SM_SN_EUlS10_E1_NS1_11comp_targetILNS1_3genE0ELNS1_11target_archE4294967295ELNS1_3gpuE0ELNS1_3repE0EEENS1_36merge_oddeven_config_static_selectorELNS0_4arch9wavefront6targetE1EEEvSM_.has_dyn_sized_stack, 0
	.set _ZN7rocprim17ROCPRIM_400000_NS6detail17trampoline_kernelINS0_14default_configENS1_38merge_sort_block_merge_config_selectorIlNS0_10empty_typeEEEZZNS1_27merge_sort_block_merge_implIS3_PlPS5_mZN2at6native12_GLOBAL__N_124unique_dim_cuda_templateIfEESt5tupleIJNSA_6TensorESF_SF_EERKSF_lbbbEUlllE_EE10hipError_tT0_T1_T2_jT3_P12ihipStream_tbPNSt15iterator_traitsISL_E10value_typeEPNSR_ISM_E10value_typeEPSN_NS1_7vsmem_tEENKUlT_SL_SM_SN_E_clIS8_S8_S9_S9_EESK_S10_SL_SM_SN_EUlS10_E1_NS1_11comp_targetILNS1_3genE0ELNS1_11target_archE4294967295ELNS1_3gpuE0ELNS1_3repE0EEENS1_36merge_oddeven_config_static_selectorELNS0_4arch9wavefront6targetE1EEEvSM_.has_recursion, 0
	.set _ZN7rocprim17ROCPRIM_400000_NS6detail17trampoline_kernelINS0_14default_configENS1_38merge_sort_block_merge_config_selectorIlNS0_10empty_typeEEEZZNS1_27merge_sort_block_merge_implIS3_PlPS5_mZN2at6native12_GLOBAL__N_124unique_dim_cuda_templateIfEESt5tupleIJNSA_6TensorESF_SF_EERKSF_lbbbEUlllE_EE10hipError_tT0_T1_T2_jT3_P12ihipStream_tbPNSt15iterator_traitsISL_E10value_typeEPNSR_ISM_E10value_typeEPSN_NS1_7vsmem_tEENKUlT_SL_SM_SN_E_clIS8_S8_S9_S9_EESK_S10_SL_SM_SN_EUlS10_E1_NS1_11comp_targetILNS1_3genE0ELNS1_11target_archE4294967295ELNS1_3gpuE0ELNS1_3repE0EEENS1_36merge_oddeven_config_static_selectorELNS0_4arch9wavefront6targetE1EEEvSM_.has_indirect_call, 0
	.section	.AMDGPU.csdata,"",@progbits
; Kernel info:
; codeLenInByte = 1700
; TotalNumSgprs: 52
; NumVgprs: 19
; NumAgprs: 0
; TotalNumVgprs: 19
; ScratchSize: 0
; MemoryBound: 0
; FloatMode: 240
; IeeeMode: 1
; LDSByteSize: 0 bytes/workgroup (compile time only)
; SGPRBlocks: 6
; VGPRBlocks: 2
; NumSGPRsForWavesPerEU: 52
; NumVGPRsForWavesPerEU: 19
; AccumOffset: 20
; Occupancy: 8
; WaveLimiterHint : 0
; COMPUTE_PGM_RSRC2:SCRATCH_EN: 0
; COMPUTE_PGM_RSRC2:USER_SGPR: 2
; COMPUTE_PGM_RSRC2:TRAP_HANDLER: 0
; COMPUTE_PGM_RSRC2:TGID_X_EN: 1
; COMPUTE_PGM_RSRC2:TGID_Y_EN: 0
; COMPUTE_PGM_RSRC2:TGID_Z_EN: 0
; COMPUTE_PGM_RSRC2:TIDIG_COMP_CNT: 0
; COMPUTE_PGM_RSRC3_GFX90A:ACCUM_OFFSET: 4
; COMPUTE_PGM_RSRC3_GFX90A:TG_SPLIT: 0
	.section	.text._ZN7rocprim17ROCPRIM_400000_NS6detail17trampoline_kernelINS0_14default_configENS1_38merge_sort_block_merge_config_selectorIlNS0_10empty_typeEEEZZNS1_27merge_sort_block_merge_implIS3_PlPS5_mZN2at6native12_GLOBAL__N_124unique_dim_cuda_templateIfEESt5tupleIJNSA_6TensorESF_SF_EERKSF_lbbbEUlllE_EE10hipError_tT0_T1_T2_jT3_P12ihipStream_tbPNSt15iterator_traitsISL_E10value_typeEPNSR_ISM_E10value_typeEPSN_NS1_7vsmem_tEENKUlT_SL_SM_SN_E_clIS8_S8_S9_S9_EESK_S10_SL_SM_SN_EUlS10_E1_NS1_11comp_targetILNS1_3genE10ELNS1_11target_archE1201ELNS1_3gpuE5ELNS1_3repE0EEENS1_36merge_oddeven_config_static_selectorELNS0_4arch9wavefront6targetE1EEEvSM_,"axG",@progbits,_ZN7rocprim17ROCPRIM_400000_NS6detail17trampoline_kernelINS0_14default_configENS1_38merge_sort_block_merge_config_selectorIlNS0_10empty_typeEEEZZNS1_27merge_sort_block_merge_implIS3_PlPS5_mZN2at6native12_GLOBAL__N_124unique_dim_cuda_templateIfEESt5tupleIJNSA_6TensorESF_SF_EERKSF_lbbbEUlllE_EE10hipError_tT0_T1_T2_jT3_P12ihipStream_tbPNSt15iterator_traitsISL_E10value_typeEPNSR_ISM_E10value_typeEPSN_NS1_7vsmem_tEENKUlT_SL_SM_SN_E_clIS8_S8_S9_S9_EESK_S10_SL_SM_SN_EUlS10_E1_NS1_11comp_targetILNS1_3genE10ELNS1_11target_archE1201ELNS1_3gpuE5ELNS1_3repE0EEENS1_36merge_oddeven_config_static_selectorELNS0_4arch9wavefront6targetE1EEEvSM_,comdat
	.globl	_ZN7rocprim17ROCPRIM_400000_NS6detail17trampoline_kernelINS0_14default_configENS1_38merge_sort_block_merge_config_selectorIlNS0_10empty_typeEEEZZNS1_27merge_sort_block_merge_implIS3_PlPS5_mZN2at6native12_GLOBAL__N_124unique_dim_cuda_templateIfEESt5tupleIJNSA_6TensorESF_SF_EERKSF_lbbbEUlllE_EE10hipError_tT0_T1_T2_jT3_P12ihipStream_tbPNSt15iterator_traitsISL_E10value_typeEPNSR_ISM_E10value_typeEPSN_NS1_7vsmem_tEENKUlT_SL_SM_SN_E_clIS8_S8_S9_S9_EESK_S10_SL_SM_SN_EUlS10_E1_NS1_11comp_targetILNS1_3genE10ELNS1_11target_archE1201ELNS1_3gpuE5ELNS1_3repE0EEENS1_36merge_oddeven_config_static_selectorELNS0_4arch9wavefront6targetE1EEEvSM_ ; -- Begin function _ZN7rocprim17ROCPRIM_400000_NS6detail17trampoline_kernelINS0_14default_configENS1_38merge_sort_block_merge_config_selectorIlNS0_10empty_typeEEEZZNS1_27merge_sort_block_merge_implIS3_PlPS5_mZN2at6native12_GLOBAL__N_124unique_dim_cuda_templateIfEESt5tupleIJNSA_6TensorESF_SF_EERKSF_lbbbEUlllE_EE10hipError_tT0_T1_T2_jT3_P12ihipStream_tbPNSt15iterator_traitsISL_E10value_typeEPNSR_ISM_E10value_typeEPSN_NS1_7vsmem_tEENKUlT_SL_SM_SN_E_clIS8_S8_S9_S9_EESK_S10_SL_SM_SN_EUlS10_E1_NS1_11comp_targetILNS1_3genE10ELNS1_11target_archE1201ELNS1_3gpuE5ELNS1_3repE0EEENS1_36merge_oddeven_config_static_selectorELNS0_4arch9wavefront6targetE1EEEvSM_
	.p2align	8
	.type	_ZN7rocprim17ROCPRIM_400000_NS6detail17trampoline_kernelINS0_14default_configENS1_38merge_sort_block_merge_config_selectorIlNS0_10empty_typeEEEZZNS1_27merge_sort_block_merge_implIS3_PlPS5_mZN2at6native12_GLOBAL__N_124unique_dim_cuda_templateIfEESt5tupleIJNSA_6TensorESF_SF_EERKSF_lbbbEUlllE_EE10hipError_tT0_T1_T2_jT3_P12ihipStream_tbPNSt15iterator_traitsISL_E10value_typeEPNSR_ISM_E10value_typeEPSN_NS1_7vsmem_tEENKUlT_SL_SM_SN_E_clIS8_S8_S9_S9_EESK_S10_SL_SM_SN_EUlS10_E1_NS1_11comp_targetILNS1_3genE10ELNS1_11target_archE1201ELNS1_3gpuE5ELNS1_3repE0EEENS1_36merge_oddeven_config_static_selectorELNS0_4arch9wavefront6targetE1EEEvSM_,@function
_ZN7rocprim17ROCPRIM_400000_NS6detail17trampoline_kernelINS0_14default_configENS1_38merge_sort_block_merge_config_selectorIlNS0_10empty_typeEEEZZNS1_27merge_sort_block_merge_implIS3_PlPS5_mZN2at6native12_GLOBAL__N_124unique_dim_cuda_templateIfEESt5tupleIJNSA_6TensorESF_SF_EERKSF_lbbbEUlllE_EE10hipError_tT0_T1_T2_jT3_P12ihipStream_tbPNSt15iterator_traitsISL_E10value_typeEPNSR_ISM_E10value_typeEPSN_NS1_7vsmem_tEENKUlT_SL_SM_SN_E_clIS8_S8_S9_S9_EESK_S10_SL_SM_SN_EUlS10_E1_NS1_11comp_targetILNS1_3genE10ELNS1_11target_archE1201ELNS1_3gpuE5ELNS1_3repE0EEENS1_36merge_oddeven_config_static_selectorELNS0_4arch9wavefront6targetE1EEEvSM_: ; @_ZN7rocprim17ROCPRIM_400000_NS6detail17trampoline_kernelINS0_14default_configENS1_38merge_sort_block_merge_config_selectorIlNS0_10empty_typeEEEZZNS1_27merge_sort_block_merge_implIS3_PlPS5_mZN2at6native12_GLOBAL__N_124unique_dim_cuda_templateIfEESt5tupleIJNSA_6TensorESF_SF_EERKSF_lbbbEUlllE_EE10hipError_tT0_T1_T2_jT3_P12ihipStream_tbPNSt15iterator_traitsISL_E10value_typeEPNSR_ISM_E10value_typeEPSN_NS1_7vsmem_tEENKUlT_SL_SM_SN_E_clIS8_S8_S9_S9_EESK_S10_SL_SM_SN_EUlS10_E1_NS1_11comp_targetILNS1_3genE10ELNS1_11target_archE1201ELNS1_3gpuE5ELNS1_3repE0EEENS1_36merge_oddeven_config_static_selectorELNS0_4arch9wavefront6targetE1EEEvSM_
; %bb.0:
	.section	.rodata,"a",@progbits
	.p2align	6, 0x0
	.amdhsa_kernel _ZN7rocprim17ROCPRIM_400000_NS6detail17trampoline_kernelINS0_14default_configENS1_38merge_sort_block_merge_config_selectorIlNS0_10empty_typeEEEZZNS1_27merge_sort_block_merge_implIS3_PlPS5_mZN2at6native12_GLOBAL__N_124unique_dim_cuda_templateIfEESt5tupleIJNSA_6TensorESF_SF_EERKSF_lbbbEUlllE_EE10hipError_tT0_T1_T2_jT3_P12ihipStream_tbPNSt15iterator_traitsISL_E10value_typeEPNSR_ISM_E10value_typeEPSN_NS1_7vsmem_tEENKUlT_SL_SM_SN_E_clIS8_S8_S9_S9_EESK_S10_SL_SM_SN_EUlS10_E1_NS1_11comp_targetILNS1_3genE10ELNS1_11target_archE1201ELNS1_3gpuE5ELNS1_3repE0EEENS1_36merge_oddeven_config_static_selectorELNS0_4arch9wavefront6targetE1EEEvSM_
		.amdhsa_group_segment_fixed_size 0
		.amdhsa_private_segment_fixed_size 0
		.amdhsa_kernarg_size 64
		.amdhsa_user_sgpr_count 2
		.amdhsa_user_sgpr_dispatch_ptr 0
		.amdhsa_user_sgpr_queue_ptr 0
		.amdhsa_user_sgpr_kernarg_segment_ptr 1
		.amdhsa_user_sgpr_dispatch_id 0
		.amdhsa_user_sgpr_kernarg_preload_length 0
		.amdhsa_user_sgpr_kernarg_preload_offset 0
		.amdhsa_user_sgpr_private_segment_size 0
		.amdhsa_uses_dynamic_stack 0
		.amdhsa_enable_private_segment 0
		.amdhsa_system_sgpr_workgroup_id_x 1
		.amdhsa_system_sgpr_workgroup_id_y 0
		.amdhsa_system_sgpr_workgroup_id_z 0
		.amdhsa_system_sgpr_workgroup_info 0
		.amdhsa_system_vgpr_workitem_id 0
		.amdhsa_next_free_vgpr 1
		.amdhsa_next_free_sgpr 0
		.amdhsa_accum_offset 4
		.amdhsa_reserve_vcc 0
		.amdhsa_float_round_mode_32 0
		.amdhsa_float_round_mode_16_64 0
		.amdhsa_float_denorm_mode_32 3
		.amdhsa_float_denorm_mode_16_64 3
		.amdhsa_dx10_clamp 1
		.amdhsa_ieee_mode 1
		.amdhsa_fp16_overflow 0
		.amdhsa_tg_split 0
		.amdhsa_exception_fp_ieee_invalid_op 0
		.amdhsa_exception_fp_denorm_src 0
		.amdhsa_exception_fp_ieee_div_zero 0
		.amdhsa_exception_fp_ieee_overflow 0
		.amdhsa_exception_fp_ieee_underflow 0
		.amdhsa_exception_fp_ieee_inexact 0
		.amdhsa_exception_int_div_zero 0
	.end_amdhsa_kernel
	.section	.text._ZN7rocprim17ROCPRIM_400000_NS6detail17trampoline_kernelINS0_14default_configENS1_38merge_sort_block_merge_config_selectorIlNS0_10empty_typeEEEZZNS1_27merge_sort_block_merge_implIS3_PlPS5_mZN2at6native12_GLOBAL__N_124unique_dim_cuda_templateIfEESt5tupleIJNSA_6TensorESF_SF_EERKSF_lbbbEUlllE_EE10hipError_tT0_T1_T2_jT3_P12ihipStream_tbPNSt15iterator_traitsISL_E10value_typeEPNSR_ISM_E10value_typeEPSN_NS1_7vsmem_tEENKUlT_SL_SM_SN_E_clIS8_S8_S9_S9_EESK_S10_SL_SM_SN_EUlS10_E1_NS1_11comp_targetILNS1_3genE10ELNS1_11target_archE1201ELNS1_3gpuE5ELNS1_3repE0EEENS1_36merge_oddeven_config_static_selectorELNS0_4arch9wavefront6targetE1EEEvSM_,"axG",@progbits,_ZN7rocprim17ROCPRIM_400000_NS6detail17trampoline_kernelINS0_14default_configENS1_38merge_sort_block_merge_config_selectorIlNS0_10empty_typeEEEZZNS1_27merge_sort_block_merge_implIS3_PlPS5_mZN2at6native12_GLOBAL__N_124unique_dim_cuda_templateIfEESt5tupleIJNSA_6TensorESF_SF_EERKSF_lbbbEUlllE_EE10hipError_tT0_T1_T2_jT3_P12ihipStream_tbPNSt15iterator_traitsISL_E10value_typeEPNSR_ISM_E10value_typeEPSN_NS1_7vsmem_tEENKUlT_SL_SM_SN_E_clIS8_S8_S9_S9_EESK_S10_SL_SM_SN_EUlS10_E1_NS1_11comp_targetILNS1_3genE10ELNS1_11target_archE1201ELNS1_3gpuE5ELNS1_3repE0EEENS1_36merge_oddeven_config_static_selectorELNS0_4arch9wavefront6targetE1EEEvSM_,comdat
.Lfunc_end897:
	.size	_ZN7rocprim17ROCPRIM_400000_NS6detail17trampoline_kernelINS0_14default_configENS1_38merge_sort_block_merge_config_selectorIlNS0_10empty_typeEEEZZNS1_27merge_sort_block_merge_implIS3_PlPS5_mZN2at6native12_GLOBAL__N_124unique_dim_cuda_templateIfEESt5tupleIJNSA_6TensorESF_SF_EERKSF_lbbbEUlllE_EE10hipError_tT0_T1_T2_jT3_P12ihipStream_tbPNSt15iterator_traitsISL_E10value_typeEPNSR_ISM_E10value_typeEPSN_NS1_7vsmem_tEENKUlT_SL_SM_SN_E_clIS8_S8_S9_S9_EESK_S10_SL_SM_SN_EUlS10_E1_NS1_11comp_targetILNS1_3genE10ELNS1_11target_archE1201ELNS1_3gpuE5ELNS1_3repE0EEENS1_36merge_oddeven_config_static_selectorELNS0_4arch9wavefront6targetE1EEEvSM_, .Lfunc_end897-_ZN7rocprim17ROCPRIM_400000_NS6detail17trampoline_kernelINS0_14default_configENS1_38merge_sort_block_merge_config_selectorIlNS0_10empty_typeEEEZZNS1_27merge_sort_block_merge_implIS3_PlPS5_mZN2at6native12_GLOBAL__N_124unique_dim_cuda_templateIfEESt5tupleIJNSA_6TensorESF_SF_EERKSF_lbbbEUlllE_EE10hipError_tT0_T1_T2_jT3_P12ihipStream_tbPNSt15iterator_traitsISL_E10value_typeEPNSR_ISM_E10value_typeEPSN_NS1_7vsmem_tEENKUlT_SL_SM_SN_E_clIS8_S8_S9_S9_EESK_S10_SL_SM_SN_EUlS10_E1_NS1_11comp_targetILNS1_3genE10ELNS1_11target_archE1201ELNS1_3gpuE5ELNS1_3repE0EEENS1_36merge_oddeven_config_static_selectorELNS0_4arch9wavefront6targetE1EEEvSM_
                                        ; -- End function
	.set _ZN7rocprim17ROCPRIM_400000_NS6detail17trampoline_kernelINS0_14default_configENS1_38merge_sort_block_merge_config_selectorIlNS0_10empty_typeEEEZZNS1_27merge_sort_block_merge_implIS3_PlPS5_mZN2at6native12_GLOBAL__N_124unique_dim_cuda_templateIfEESt5tupleIJNSA_6TensorESF_SF_EERKSF_lbbbEUlllE_EE10hipError_tT0_T1_T2_jT3_P12ihipStream_tbPNSt15iterator_traitsISL_E10value_typeEPNSR_ISM_E10value_typeEPSN_NS1_7vsmem_tEENKUlT_SL_SM_SN_E_clIS8_S8_S9_S9_EESK_S10_SL_SM_SN_EUlS10_E1_NS1_11comp_targetILNS1_3genE10ELNS1_11target_archE1201ELNS1_3gpuE5ELNS1_3repE0EEENS1_36merge_oddeven_config_static_selectorELNS0_4arch9wavefront6targetE1EEEvSM_.num_vgpr, 0
	.set _ZN7rocprim17ROCPRIM_400000_NS6detail17trampoline_kernelINS0_14default_configENS1_38merge_sort_block_merge_config_selectorIlNS0_10empty_typeEEEZZNS1_27merge_sort_block_merge_implIS3_PlPS5_mZN2at6native12_GLOBAL__N_124unique_dim_cuda_templateIfEESt5tupleIJNSA_6TensorESF_SF_EERKSF_lbbbEUlllE_EE10hipError_tT0_T1_T2_jT3_P12ihipStream_tbPNSt15iterator_traitsISL_E10value_typeEPNSR_ISM_E10value_typeEPSN_NS1_7vsmem_tEENKUlT_SL_SM_SN_E_clIS8_S8_S9_S9_EESK_S10_SL_SM_SN_EUlS10_E1_NS1_11comp_targetILNS1_3genE10ELNS1_11target_archE1201ELNS1_3gpuE5ELNS1_3repE0EEENS1_36merge_oddeven_config_static_selectorELNS0_4arch9wavefront6targetE1EEEvSM_.num_agpr, 0
	.set _ZN7rocprim17ROCPRIM_400000_NS6detail17trampoline_kernelINS0_14default_configENS1_38merge_sort_block_merge_config_selectorIlNS0_10empty_typeEEEZZNS1_27merge_sort_block_merge_implIS3_PlPS5_mZN2at6native12_GLOBAL__N_124unique_dim_cuda_templateIfEESt5tupleIJNSA_6TensorESF_SF_EERKSF_lbbbEUlllE_EE10hipError_tT0_T1_T2_jT3_P12ihipStream_tbPNSt15iterator_traitsISL_E10value_typeEPNSR_ISM_E10value_typeEPSN_NS1_7vsmem_tEENKUlT_SL_SM_SN_E_clIS8_S8_S9_S9_EESK_S10_SL_SM_SN_EUlS10_E1_NS1_11comp_targetILNS1_3genE10ELNS1_11target_archE1201ELNS1_3gpuE5ELNS1_3repE0EEENS1_36merge_oddeven_config_static_selectorELNS0_4arch9wavefront6targetE1EEEvSM_.numbered_sgpr, 0
	.set _ZN7rocprim17ROCPRIM_400000_NS6detail17trampoline_kernelINS0_14default_configENS1_38merge_sort_block_merge_config_selectorIlNS0_10empty_typeEEEZZNS1_27merge_sort_block_merge_implIS3_PlPS5_mZN2at6native12_GLOBAL__N_124unique_dim_cuda_templateIfEESt5tupleIJNSA_6TensorESF_SF_EERKSF_lbbbEUlllE_EE10hipError_tT0_T1_T2_jT3_P12ihipStream_tbPNSt15iterator_traitsISL_E10value_typeEPNSR_ISM_E10value_typeEPSN_NS1_7vsmem_tEENKUlT_SL_SM_SN_E_clIS8_S8_S9_S9_EESK_S10_SL_SM_SN_EUlS10_E1_NS1_11comp_targetILNS1_3genE10ELNS1_11target_archE1201ELNS1_3gpuE5ELNS1_3repE0EEENS1_36merge_oddeven_config_static_selectorELNS0_4arch9wavefront6targetE1EEEvSM_.num_named_barrier, 0
	.set _ZN7rocprim17ROCPRIM_400000_NS6detail17trampoline_kernelINS0_14default_configENS1_38merge_sort_block_merge_config_selectorIlNS0_10empty_typeEEEZZNS1_27merge_sort_block_merge_implIS3_PlPS5_mZN2at6native12_GLOBAL__N_124unique_dim_cuda_templateIfEESt5tupleIJNSA_6TensorESF_SF_EERKSF_lbbbEUlllE_EE10hipError_tT0_T1_T2_jT3_P12ihipStream_tbPNSt15iterator_traitsISL_E10value_typeEPNSR_ISM_E10value_typeEPSN_NS1_7vsmem_tEENKUlT_SL_SM_SN_E_clIS8_S8_S9_S9_EESK_S10_SL_SM_SN_EUlS10_E1_NS1_11comp_targetILNS1_3genE10ELNS1_11target_archE1201ELNS1_3gpuE5ELNS1_3repE0EEENS1_36merge_oddeven_config_static_selectorELNS0_4arch9wavefront6targetE1EEEvSM_.private_seg_size, 0
	.set _ZN7rocprim17ROCPRIM_400000_NS6detail17trampoline_kernelINS0_14default_configENS1_38merge_sort_block_merge_config_selectorIlNS0_10empty_typeEEEZZNS1_27merge_sort_block_merge_implIS3_PlPS5_mZN2at6native12_GLOBAL__N_124unique_dim_cuda_templateIfEESt5tupleIJNSA_6TensorESF_SF_EERKSF_lbbbEUlllE_EE10hipError_tT0_T1_T2_jT3_P12ihipStream_tbPNSt15iterator_traitsISL_E10value_typeEPNSR_ISM_E10value_typeEPSN_NS1_7vsmem_tEENKUlT_SL_SM_SN_E_clIS8_S8_S9_S9_EESK_S10_SL_SM_SN_EUlS10_E1_NS1_11comp_targetILNS1_3genE10ELNS1_11target_archE1201ELNS1_3gpuE5ELNS1_3repE0EEENS1_36merge_oddeven_config_static_selectorELNS0_4arch9wavefront6targetE1EEEvSM_.uses_vcc, 0
	.set _ZN7rocprim17ROCPRIM_400000_NS6detail17trampoline_kernelINS0_14default_configENS1_38merge_sort_block_merge_config_selectorIlNS0_10empty_typeEEEZZNS1_27merge_sort_block_merge_implIS3_PlPS5_mZN2at6native12_GLOBAL__N_124unique_dim_cuda_templateIfEESt5tupleIJNSA_6TensorESF_SF_EERKSF_lbbbEUlllE_EE10hipError_tT0_T1_T2_jT3_P12ihipStream_tbPNSt15iterator_traitsISL_E10value_typeEPNSR_ISM_E10value_typeEPSN_NS1_7vsmem_tEENKUlT_SL_SM_SN_E_clIS8_S8_S9_S9_EESK_S10_SL_SM_SN_EUlS10_E1_NS1_11comp_targetILNS1_3genE10ELNS1_11target_archE1201ELNS1_3gpuE5ELNS1_3repE0EEENS1_36merge_oddeven_config_static_selectorELNS0_4arch9wavefront6targetE1EEEvSM_.uses_flat_scratch, 0
	.set _ZN7rocprim17ROCPRIM_400000_NS6detail17trampoline_kernelINS0_14default_configENS1_38merge_sort_block_merge_config_selectorIlNS0_10empty_typeEEEZZNS1_27merge_sort_block_merge_implIS3_PlPS5_mZN2at6native12_GLOBAL__N_124unique_dim_cuda_templateIfEESt5tupleIJNSA_6TensorESF_SF_EERKSF_lbbbEUlllE_EE10hipError_tT0_T1_T2_jT3_P12ihipStream_tbPNSt15iterator_traitsISL_E10value_typeEPNSR_ISM_E10value_typeEPSN_NS1_7vsmem_tEENKUlT_SL_SM_SN_E_clIS8_S8_S9_S9_EESK_S10_SL_SM_SN_EUlS10_E1_NS1_11comp_targetILNS1_3genE10ELNS1_11target_archE1201ELNS1_3gpuE5ELNS1_3repE0EEENS1_36merge_oddeven_config_static_selectorELNS0_4arch9wavefront6targetE1EEEvSM_.has_dyn_sized_stack, 0
	.set _ZN7rocprim17ROCPRIM_400000_NS6detail17trampoline_kernelINS0_14default_configENS1_38merge_sort_block_merge_config_selectorIlNS0_10empty_typeEEEZZNS1_27merge_sort_block_merge_implIS3_PlPS5_mZN2at6native12_GLOBAL__N_124unique_dim_cuda_templateIfEESt5tupleIJNSA_6TensorESF_SF_EERKSF_lbbbEUlllE_EE10hipError_tT0_T1_T2_jT3_P12ihipStream_tbPNSt15iterator_traitsISL_E10value_typeEPNSR_ISM_E10value_typeEPSN_NS1_7vsmem_tEENKUlT_SL_SM_SN_E_clIS8_S8_S9_S9_EESK_S10_SL_SM_SN_EUlS10_E1_NS1_11comp_targetILNS1_3genE10ELNS1_11target_archE1201ELNS1_3gpuE5ELNS1_3repE0EEENS1_36merge_oddeven_config_static_selectorELNS0_4arch9wavefront6targetE1EEEvSM_.has_recursion, 0
	.set _ZN7rocprim17ROCPRIM_400000_NS6detail17trampoline_kernelINS0_14default_configENS1_38merge_sort_block_merge_config_selectorIlNS0_10empty_typeEEEZZNS1_27merge_sort_block_merge_implIS3_PlPS5_mZN2at6native12_GLOBAL__N_124unique_dim_cuda_templateIfEESt5tupleIJNSA_6TensorESF_SF_EERKSF_lbbbEUlllE_EE10hipError_tT0_T1_T2_jT3_P12ihipStream_tbPNSt15iterator_traitsISL_E10value_typeEPNSR_ISM_E10value_typeEPSN_NS1_7vsmem_tEENKUlT_SL_SM_SN_E_clIS8_S8_S9_S9_EESK_S10_SL_SM_SN_EUlS10_E1_NS1_11comp_targetILNS1_3genE10ELNS1_11target_archE1201ELNS1_3gpuE5ELNS1_3repE0EEENS1_36merge_oddeven_config_static_selectorELNS0_4arch9wavefront6targetE1EEEvSM_.has_indirect_call, 0
	.section	.AMDGPU.csdata,"",@progbits
; Kernel info:
; codeLenInByte = 0
; TotalNumSgprs: 6
; NumVgprs: 0
; NumAgprs: 0
; TotalNumVgprs: 0
; ScratchSize: 0
; MemoryBound: 0
; FloatMode: 240
; IeeeMode: 1
; LDSByteSize: 0 bytes/workgroup (compile time only)
; SGPRBlocks: 0
; VGPRBlocks: 0
; NumSGPRsForWavesPerEU: 6
; NumVGPRsForWavesPerEU: 1
; AccumOffset: 4
; Occupancy: 8
; WaveLimiterHint : 0
; COMPUTE_PGM_RSRC2:SCRATCH_EN: 0
; COMPUTE_PGM_RSRC2:USER_SGPR: 2
; COMPUTE_PGM_RSRC2:TRAP_HANDLER: 0
; COMPUTE_PGM_RSRC2:TGID_X_EN: 1
; COMPUTE_PGM_RSRC2:TGID_Y_EN: 0
; COMPUTE_PGM_RSRC2:TGID_Z_EN: 0
; COMPUTE_PGM_RSRC2:TIDIG_COMP_CNT: 0
; COMPUTE_PGM_RSRC3_GFX90A:ACCUM_OFFSET: 0
; COMPUTE_PGM_RSRC3_GFX90A:TG_SPLIT: 0
	.section	.text._ZN7rocprim17ROCPRIM_400000_NS6detail17trampoline_kernelINS0_14default_configENS1_38merge_sort_block_merge_config_selectorIlNS0_10empty_typeEEEZZNS1_27merge_sort_block_merge_implIS3_PlPS5_mZN2at6native12_GLOBAL__N_124unique_dim_cuda_templateIfEESt5tupleIJNSA_6TensorESF_SF_EERKSF_lbbbEUlllE_EE10hipError_tT0_T1_T2_jT3_P12ihipStream_tbPNSt15iterator_traitsISL_E10value_typeEPNSR_ISM_E10value_typeEPSN_NS1_7vsmem_tEENKUlT_SL_SM_SN_E_clIS8_S8_S9_S9_EESK_S10_SL_SM_SN_EUlS10_E1_NS1_11comp_targetILNS1_3genE5ELNS1_11target_archE942ELNS1_3gpuE9ELNS1_3repE0EEENS1_36merge_oddeven_config_static_selectorELNS0_4arch9wavefront6targetE1EEEvSM_,"axG",@progbits,_ZN7rocprim17ROCPRIM_400000_NS6detail17trampoline_kernelINS0_14default_configENS1_38merge_sort_block_merge_config_selectorIlNS0_10empty_typeEEEZZNS1_27merge_sort_block_merge_implIS3_PlPS5_mZN2at6native12_GLOBAL__N_124unique_dim_cuda_templateIfEESt5tupleIJNSA_6TensorESF_SF_EERKSF_lbbbEUlllE_EE10hipError_tT0_T1_T2_jT3_P12ihipStream_tbPNSt15iterator_traitsISL_E10value_typeEPNSR_ISM_E10value_typeEPSN_NS1_7vsmem_tEENKUlT_SL_SM_SN_E_clIS8_S8_S9_S9_EESK_S10_SL_SM_SN_EUlS10_E1_NS1_11comp_targetILNS1_3genE5ELNS1_11target_archE942ELNS1_3gpuE9ELNS1_3repE0EEENS1_36merge_oddeven_config_static_selectorELNS0_4arch9wavefront6targetE1EEEvSM_,comdat
	.globl	_ZN7rocprim17ROCPRIM_400000_NS6detail17trampoline_kernelINS0_14default_configENS1_38merge_sort_block_merge_config_selectorIlNS0_10empty_typeEEEZZNS1_27merge_sort_block_merge_implIS3_PlPS5_mZN2at6native12_GLOBAL__N_124unique_dim_cuda_templateIfEESt5tupleIJNSA_6TensorESF_SF_EERKSF_lbbbEUlllE_EE10hipError_tT0_T1_T2_jT3_P12ihipStream_tbPNSt15iterator_traitsISL_E10value_typeEPNSR_ISM_E10value_typeEPSN_NS1_7vsmem_tEENKUlT_SL_SM_SN_E_clIS8_S8_S9_S9_EESK_S10_SL_SM_SN_EUlS10_E1_NS1_11comp_targetILNS1_3genE5ELNS1_11target_archE942ELNS1_3gpuE9ELNS1_3repE0EEENS1_36merge_oddeven_config_static_selectorELNS0_4arch9wavefront6targetE1EEEvSM_ ; -- Begin function _ZN7rocprim17ROCPRIM_400000_NS6detail17trampoline_kernelINS0_14default_configENS1_38merge_sort_block_merge_config_selectorIlNS0_10empty_typeEEEZZNS1_27merge_sort_block_merge_implIS3_PlPS5_mZN2at6native12_GLOBAL__N_124unique_dim_cuda_templateIfEESt5tupleIJNSA_6TensorESF_SF_EERKSF_lbbbEUlllE_EE10hipError_tT0_T1_T2_jT3_P12ihipStream_tbPNSt15iterator_traitsISL_E10value_typeEPNSR_ISM_E10value_typeEPSN_NS1_7vsmem_tEENKUlT_SL_SM_SN_E_clIS8_S8_S9_S9_EESK_S10_SL_SM_SN_EUlS10_E1_NS1_11comp_targetILNS1_3genE5ELNS1_11target_archE942ELNS1_3gpuE9ELNS1_3repE0EEENS1_36merge_oddeven_config_static_selectorELNS0_4arch9wavefront6targetE1EEEvSM_
	.p2align	8
	.type	_ZN7rocprim17ROCPRIM_400000_NS6detail17trampoline_kernelINS0_14default_configENS1_38merge_sort_block_merge_config_selectorIlNS0_10empty_typeEEEZZNS1_27merge_sort_block_merge_implIS3_PlPS5_mZN2at6native12_GLOBAL__N_124unique_dim_cuda_templateIfEESt5tupleIJNSA_6TensorESF_SF_EERKSF_lbbbEUlllE_EE10hipError_tT0_T1_T2_jT3_P12ihipStream_tbPNSt15iterator_traitsISL_E10value_typeEPNSR_ISM_E10value_typeEPSN_NS1_7vsmem_tEENKUlT_SL_SM_SN_E_clIS8_S8_S9_S9_EESK_S10_SL_SM_SN_EUlS10_E1_NS1_11comp_targetILNS1_3genE5ELNS1_11target_archE942ELNS1_3gpuE9ELNS1_3repE0EEENS1_36merge_oddeven_config_static_selectorELNS0_4arch9wavefront6targetE1EEEvSM_,@function
_ZN7rocprim17ROCPRIM_400000_NS6detail17trampoline_kernelINS0_14default_configENS1_38merge_sort_block_merge_config_selectorIlNS0_10empty_typeEEEZZNS1_27merge_sort_block_merge_implIS3_PlPS5_mZN2at6native12_GLOBAL__N_124unique_dim_cuda_templateIfEESt5tupleIJNSA_6TensorESF_SF_EERKSF_lbbbEUlllE_EE10hipError_tT0_T1_T2_jT3_P12ihipStream_tbPNSt15iterator_traitsISL_E10value_typeEPNSR_ISM_E10value_typeEPSN_NS1_7vsmem_tEENKUlT_SL_SM_SN_E_clIS8_S8_S9_S9_EESK_S10_SL_SM_SN_EUlS10_E1_NS1_11comp_targetILNS1_3genE5ELNS1_11target_archE942ELNS1_3gpuE9ELNS1_3repE0EEENS1_36merge_oddeven_config_static_selectorELNS0_4arch9wavefront6targetE1EEEvSM_: ; @_ZN7rocprim17ROCPRIM_400000_NS6detail17trampoline_kernelINS0_14default_configENS1_38merge_sort_block_merge_config_selectorIlNS0_10empty_typeEEEZZNS1_27merge_sort_block_merge_implIS3_PlPS5_mZN2at6native12_GLOBAL__N_124unique_dim_cuda_templateIfEESt5tupleIJNSA_6TensorESF_SF_EERKSF_lbbbEUlllE_EE10hipError_tT0_T1_T2_jT3_P12ihipStream_tbPNSt15iterator_traitsISL_E10value_typeEPNSR_ISM_E10value_typeEPSN_NS1_7vsmem_tEENKUlT_SL_SM_SN_E_clIS8_S8_S9_S9_EESK_S10_SL_SM_SN_EUlS10_E1_NS1_11comp_targetILNS1_3genE5ELNS1_11target_archE942ELNS1_3gpuE9ELNS1_3repE0EEENS1_36merge_oddeven_config_static_selectorELNS0_4arch9wavefront6targetE1EEEvSM_
; %bb.0:
	.section	.rodata,"a",@progbits
	.p2align	6, 0x0
	.amdhsa_kernel _ZN7rocprim17ROCPRIM_400000_NS6detail17trampoline_kernelINS0_14default_configENS1_38merge_sort_block_merge_config_selectorIlNS0_10empty_typeEEEZZNS1_27merge_sort_block_merge_implIS3_PlPS5_mZN2at6native12_GLOBAL__N_124unique_dim_cuda_templateIfEESt5tupleIJNSA_6TensorESF_SF_EERKSF_lbbbEUlllE_EE10hipError_tT0_T1_T2_jT3_P12ihipStream_tbPNSt15iterator_traitsISL_E10value_typeEPNSR_ISM_E10value_typeEPSN_NS1_7vsmem_tEENKUlT_SL_SM_SN_E_clIS8_S8_S9_S9_EESK_S10_SL_SM_SN_EUlS10_E1_NS1_11comp_targetILNS1_3genE5ELNS1_11target_archE942ELNS1_3gpuE9ELNS1_3repE0EEENS1_36merge_oddeven_config_static_selectorELNS0_4arch9wavefront6targetE1EEEvSM_
		.amdhsa_group_segment_fixed_size 0
		.amdhsa_private_segment_fixed_size 0
		.amdhsa_kernarg_size 64
		.amdhsa_user_sgpr_count 2
		.amdhsa_user_sgpr_dispatch_ptr 0
		.amdhsa_user_sgpr_queue_ptr 0
		.amdhsa_user_sgpr_kernarg_segment_ptr 1
		.amdhsa_user_sgpr_dispatch_id 0
		.amdhsa_user_sgpr_kernarg_preload_length 0
		.amdhsa_user_sgpr_kernarg_preload_offset 0
		.amdhsa_user_sgpr_private_segment_size 0
		.amdhsa_uses_dynamic_stack 0
		.amdhsa_enable_private_segment 0
		.amdhsa_system_sgpr_workgroup_id_x 1
		.amdhsa_system_sgpr_workgroup_id_y 0
		.amdhsa_system_sgpr_workgroup_id_z 0
		.amdhsa_system_sgpr_workgroup_info 0
		.amdhsa_system_vgpr_workitem_id 0
		.amdhsa_next_free_vgpr 1
		.amdhsa_next_free_sgpr 0
		.amdhsa_accum_offset 4
		.amdhsa_reserve_vcc 0
		.amdhsa_float_round_mode_32 0
		.amdhsa_float_round_mode_16_64 0
		.amdhsa_float_denorm_mode_32 3
		.amdhsa_float_denorm_mode_16_64 3
		.amdhsa_dx10_clamp 1
		.amdhsa_ieee_mode 1
		.amdhsa_fp16_overflow 0
		.amdhsa_tg_split 0
		.amdhsa_exception_fp_ieee_invalid_op 0
		.amdhsa_exception_fp_denorm_src 0
		.amdhsa_exception_fp_ieee_div_zero 0
		.amdhsa_exception_fp_ieee_overflow 0
		.amdhsa_exception_fp_ieee_underflow 0
		.amdhsa_exception_fp_ieee_inexact 0
		.amdhsa_exception_int_div_zero 0
	.end_amdhsa_kernel
	.section	.text._ZN7rocprim17ROCPRIM_400000_NS6detail17trampoline_kernelINS0_14default_configENS1_38merge_sort_block_merge_config_selectorIlNS0_10empty_typeEEEZZNS1_27merge_sort_block_merge_implIS3_PlPS5_mZN2at6native12_GLOBAL__N_124unique_dim_cuda_templateIfEESt5tupleIJNSA_6TensorESF_SF_EERKSF_lbbbEUlllE_EE10hipError_tT0_T1_T2_jT3_P12ihipStream_tbPNSt15iterator_traitsISL_E10value_typeEPNSR_ISM_E10value_typeEPSN_NS1_7vsmem_tEENKUlT_SL_SM_SN_E_clIS8_S8_S9_S9_EESK_S10_SL_SM_SN_EUlS10_E1_NS1_11comp_targetILNS1_3genE5ELNS1_11target_archE942ELNS1_3gpuE9ELNS1_3repE0EEENS1_36merge_oddeven_config_static_selectorELNS0_4arch9wavefront6targetE1EEEvSM_,"axG",@progbits,_ZN7rocprim17ROCPRIM_400000_NS6detail17trampoline_kernelINS0_14default_configENS1_38merge_sort_block_merge_config_selectorIlNS0_10empty_typeEEEZZNS1_27merge_sort_block_merge_implIS3_PlPS5_mZN2at6native12_GLOBAL__N_124unique_dim_cuda_templateIfEESt5tupleIJNSA_6TensorESF_SF_EERKSF_lbbbEUlllE_EE10hipError_tT0_T1_T2_jT3_P12ihipStream_tbPNSt15iterator_traitsISL_E10value_typeEPNSR_ISM_E10value_typeEPSN_NS1_7vsmem_tEENKUlT_SL_SM_SN_E_clIS8_S8_S9_S9_EESK_S10_SL_SM_SN_EUlS10_E1_NS1_11comp_targetILNS1_3genE5ELNS1_11target_archE942ELNS1_3gpuE9ELNS1_3repE0EEENS1_36merge_oddeven_config_static_selectorELNS0_4arch9wavefront6targetE1EEEvSM_,comdat
.Lfunc_end898:
	.size	_ZN7rocprim17ROCPRIM_400000_NS6detail17trampoline_kernelINS0_14default_configENS1_38merge_sort_block_merge_config_selectorIlNS0_10empty_typeEEEZZNS1_27merge_sort_block_merge_implIS3_PlPS5_mZN2at6native12_GLOBAL__N_124unique_dim_cuda_templateIfEESt5tupleIJNSA_6TensorESF_SF_EERKSF_lbbbEUlllE_EE10hipError_tT0_T1_T2_jT3_P12ihipStream_tbPNSt15iterator_traitsISL_E10value_typeEPNSR_ISM_E10value_typeEPSN_NS1_7vsmem_tEENKUlT_SL_SM_SN_E_clIS8_S8_S9_S9_EESK_S10_SL_SM_SN_EUlS10_E1_NS1_11comp_targetILNS1_3genE5ELNS1_11target_archE942ELNS1_3gpuE9ELNS1_3repE0EEENS1_36merge_oddeven_config_static_selectorELNS0_4arch9wavefront6targetE1EEEvSM_, .Lfunc_end898-_ZN7rocprim17ROCPRIM_400000_NS6detail17trampoline_kernelINS0_14default_configENS1_38merge_sort_block_merge_config_selectorIlNS0_10empty_typeEEEZZNS1_27merge_sort_block_merge_implIS3_PlPS5_mZN2at6native12_GLOBAL__N_124unique_dim_cuda_templateIfEESt5tupleIJNSA_6TensorESF_SF_EERKSF_lbbbEUlllE_EE10hipError_tT0_T1_T2_jT3_P12ihipStream_tbPNSt15iterator_traitsISL_E10value_typeEPNSR_ISM_E10value_typeEPSN_NS1_7vsmem_tEENKUlT_SL_SM_SN_E_clIS8_S8_S9_S9_EESK_S10_SL_SM_SN_EUlS10_E1_NS1_11comp_targetILNS1_3genE5ELNS1_11target_archE942ELNS1_3gpuE9ELNS1_3repE0EEENS1_36merge_oddeven_config_static_selectorELNS0_4arch9wavefront6targetE1EEEvSM_
                                        ; -- End function
	.set _ZN7rocprim17ROCPRIM_400000_NS6detail17trampoline_kernelINS0_14default_configENS1_38merge_sort_block_merge_config_selectorIlNS0_10empty_typeEEEZZNS1_27merge_sort_block_merge_implIS3_PlPS5_mZN2at6native12_GLOBAL__N_124unique_dim_cuda_templateIfEESt5tupleIJNSA_6TensorESF_SF_EERKSF_lbbbEUlllE_EE10hipError_tT0_T1_T2_jT3_P12ihipStream_tbPNSt15iterator_traitsISL_E10value_typeEPNSR_ISM_E10value_typeEPSN_NS1_7vsmem_tEENKUlT_SL_SM_SN_E_clIS8_S8_S9_S9_EESK_S10_SL_SM_SN_EUlS10_E1_NS1_11comp_targetILNS1_3genE5ELNS1_11target_archE942ELNS1_3gpuE9ELNS1_3repE0EEENS1_36merge_oddeven_config_static_selectorELNS0_4arch9wavefront6targetE1EEEvSM_.num_vgpr, 0
	.set _ZN7rocprim17ROCPRIM_400000_NS6detail17trampoline_kernelINS0_14default_configENS1_38merge_sort_block_merge_config_selectorIlNS0_10empty_typeEEEZZNS1_27merge_sort_block_merge_implIS3_PlPS5_mZN2at6native12_GLOBAL__N_124unique_dim_cuda_templateIfEESt5tupleIJNSA_6TensorESF_SF_EERKSF_lbbbEUlllE_EE10hipError_tT0_T1_T2_jT3_P12ihipStream_tbPNSt15iterator_traitsISL_E10value_typeEPNSR_ISM_E10value_typeEPSN_NS1_7vsmem_tEENKUlT_SL_SM_SN_E_clIS8_S8_S9_S9_EESK_S10_SL_SM_SN_EUlS10_E1_NS1_11comp_targetILNS1_3genE5ELNS1_11target_archE942ELNS1_3gpuE9ELNS1_3repE0EEENS1_36merge_oddeven_config_static_selectorELNS0_4arch9wavefront6targetE1EEEvSM_.num_agpr, 0
	.set _ZN7rocprim17ROCPRIM_400000_NS6detail17trampoline_kernelINS0_14default_configENS1_38merge_sort_block_merge_config_selectorIlNS0_10empty_typeEEEZZNS1_27merge_sort_block_merge_implIS3_PlPS5_mZN2at6native12_GLOBAL__N_124unique_dim_cuda_templateIfEESt5tupleIJNSA_6TensorESF_SF_EERKSF_lbbbEUlllE_EE10hipError_tT0_T1_T2_jT3_P12ihipStream_tbPNSt15iterator_traitsISL_E10value_typeEPNSR_ISM_E10value_typeEPSN_NS1_7vsmem_tEENKUlT_SL_SM_SN_E_clIS8_S8_S9_S9_EESK_S10_SL_SM_SN_EUlS10_E1_NS1_11comp_targetILNS1_3genE5ELNS1_11target_archE942ELNS1_3gpuE9ELNS1_3repE0EEENS1_36merge_oddeven_config_static_selectorELNS0_4arch9wavefront6targetE1EEEvSM_.numbered_sgpr, 0
	.set _ZN7rocprim17ROCPRIM_400000_NS6detail17trampoline_kernelINS0_14default_configENS1_38merge_sort_block_merge_config_selectorIlNS0_10empty_typeEEEZZNS1_27merge_sort_block_merge_implIS3_PlPS5_mZN2at6native12_GLOBAL__N_124unique_dim_cuda_templateIfEESt5tupleIJNSA_6TensorESF_SF_EERKSF_lbbbEUlllE_EE10hipError_tT0_T1_T2_jT3_P12ihipStream_tbPNSt15iterator_traitsISL_E10value_typeEPNSR_ISM_E10value_typeEPSN_NS1_7vsmem_tEENKUlT_SL_SM_SN_E_clIS8_S8_S9_S9_EESK_S10_SL_SM_SN_EUlS10_E1_NS1_11comp_targetILNS1_3genE5ELNS1_11target_archE942ELNS1_3gpuE9ELNS1_3repE0EEENS1_36merge_oddeven_config_static_selectorELNS0_4arch9wavefront6targetE1EEEvSM_.num_named_barrier, 0
	.set _ZN7rocprim17ROCPRIM_400000_NS6detail17trampoline_kernelINS0_14default_configENS1_38merge_sort_block_merge_config_selectorIlNS0_10empty_typeEEEZZNS1_27merge_sort_block_merge_implIS3_PlPS5_mZN2at6native12_GLOBAL__N_124unique_dim_cuda_templateIfEESt5tupleIJNSA_6TensorESF_SF_EERKSF_lbbbEUlllE_EE10hipError_tT0_T1_T2_jT3_P12ihipStream_tbPNSt15iterator_traitsISL_E10value_typeEPNSR_ISM_E10value_typeEPSN_NS1_7vsmem_tEENKUlT_SL_SM_SN_E_clIS8_S8_S9_S9_EESK_S10_SL_SM_SN_EUlS10_E1_NS1_11comp_targetILNS1_3genE5ELNS1_11target_archE942ELNS1_3gpuE9ELNS1_3repE0EEENS1_36merge_oddeven_config_static_selectorELNS0_4arch9wavefront6targetE1EEEvSM_.private_seg_size, 0
	.set _ZN7rocprim17ROCPRIM_400000_NS6detail17trampoline_kernelINS0_14default_configENS1_38merge_sort_block_merge_config_selectorIlNS0_10empty_typeEEEZZNS1_27merge_sort_block_merge_implIS3_PlPS5_mZN2at6native12_GLOBAL__N_124unique_dim_cuda_templateIfEESt5tupleIJNSA_6TensorESF_SF_EERKSF_lbbbEUlllE_EE10hipError_tT0_T1_T2_jT3_P12ihipStream_tbPNSt15iterator_traitsISL_E10value_typeEPNSR_ISM_E10value_typeEPSN_NS1_7vsmem_tEENKUlT_SL_SM_SN_E_clIS8_S8_S9_S9_EESK_S10_SL_SM_SN_EUlS10_E1_NS1_11comp_targetILNS1_3genE5ELNS1_11target_archE942ELNS1_3gpuE9ELNS1_3repE0EEENS1_36merge_oddeven_config_static_selectorELNS0_4arch9wavefront6targetE1EEEvSM_.uses_vcc, 0
	.set _ZN7rocprim17ROCPRIM_400000_NS6detail17trampoline_kernelINS0_14default_configENS1_38merge_sort_block_merge_config_selectorIlNS0_10empty_typeEEEZZNS1_27merge_sort_block_merge_implIS3_PlPS5_mZN2at6native12_GLOBAL__N_124unique_dim_cuda_templateIfEESt5tupleIJNSA_6TensorESF_SF_EERKSF_lbbbEUlllE_EE10hipError_tT0_T1_T2_jT3_P12ihipStream_tbPNSt15iterator_traitsISL_E10value_typeEPNSR_ISM_E10value_typeEPSN_NS1_7vsmem_tEENKUlT_SL_SM_SN_E_clIS8_S8_S9_S9_EESK_S10_SL_SM_SN_EUlS10_E1_NS1_11comp_targetILNS1_3genE5ELNS1_11target_archE942ELNS1_3gpuE9ELNS1_3repE0EEENS1_36merge_oddeven_config_static_selectorELNS0_4arch9wavefront6targetE1EEEvSM_.uses_flat_scratch, 0
	.set _ZN7rocprim17ROCPRIM_400000_NS6detail17trampoline_kernelINS0_14default_configENS1_38merge_sort_block_merge_config_selectorIlNS0_10empty_typeEEEZZNS1_27merge_sort_block_merge_implIS3_PlPS5_mZN2at6native12_GLOBAL__N_124unique_dim_cuda_templateIfEESt5tupleIJNSA_6TensorESF_SF_EERKSF_lbbbEUlllE_EE10hipError_tT0_T1_T2_jT3_P12ihipStream_tbPNSt15iterator_traitsISL_E10value_typeEPNSR_ISM_E10value_typeEPSN_NS1_7vsmem_tEENKUlT_SL_SM_SN_E_clIS8_S8_S9_S9_EESK_S10_SL_SM_SN_EUlS10_E1_NS1_11comp_targetILNS1_3genE5ELNS1_11target_archE942ELNS1_3gpuE9ELNS1_3repE0EEENS1_36merge_oddeven_config_static_selectorELNS0_4arch9wavefront6targetE1EEEvSM_.has_dyn_sized_stack, 0
	.set _ZN7rocprim17ROCPRIM_400000_NS6detail17trampoline_kernelINS0_14default_configENS1_38merge_sort_block_merge_config_selectorIlNS0_10empty_typeEEEZZNS1_27merge_sort_block_merge_implIS3_PlPS5_mZN2at6native12_GLOBAL__N_124unique_dim_cuda_templateIfEESt5tupleIJNSA_6TensorESF_SF_EERKSF_lbbbEUlllE_EE10hipError_tT0_T1_T2_jT3_P12ihipStream_tbPNSt15iterator_traitsISL_E10value_typeEPNSR_ISM_E10value_typeEPSN_NS1_7vsmem_tEENKUlT_SL_SM_SN_E_clIS8_S8_S9_S9_EESK_S10_SL_SM_SN_EUlS10_E1_NS1_11comp_targetILNS1_3genE5ELNS1_11target_archE942ELNS1_3gpuE9ELNS1_3repE0EEENS1_36merge_oddeven_config_static_selectorELNS0_4arch9wavefront6targetE1EEEvSM_.has_recursion, 0
	.set _ZN7rocprim17ROCPRIM_400000_NS6detail17trampoline_kernelINS0_14default_configENS1_38merge_sort_block_merge_config_selectorIlNS0_10empty_typeEEEZZNS1_27merge_sort_block_merge_implIS3_PlPS5_mZN2at6native12_GLOBAL__N_124unique_dim_cuda_templateIfEESt5tupleIJNSA_6TensorESF_SF_EERKSF_lbbbEUlllE_EE10hipError_tT0_T1_T2_jT3_P12ihipStream_tbPNSt15iterator_traitsISL_E10value_typeEPNSR_ISM_E10value_typeEPSN_NS1_7vsmem_tEENKUlT_SL_SM_SN_E_clIS8_S8_S9_S9_EESK_S10_SL_SM_SN_EUlS10_E1_NS1_11comp_targetILNS1_3genE5ELNS1_11target_archE942ELNS1_3gpuE9ELNS1_3repE0EEENS1_36merge_oddeven_config_static_selectorELNS0_4arch9wavefront6targetE1EEEvSM_.has_indirect_call, 0
	.section	.AMDGPU.csdata,"",@progbits
; Kernel info:
; codeLenInByte = 0
; TotalNumSgprs: 6
; NumVgprs: 0
; NumAgprs: 0
; TotalNumVgprs: 0
; ScratchSize: 0
; MemoryBound: 0
; FloatMode: 240
; IeeeMode: 1
; LDSByteSize: 0 bytes/workgroup (compile time only)
; SGPRBlocks: 0
; VGPRBlocks: 0
; NumSGPRsForWavesPerEU: 6
; NumVGPRsForWavesPerEU: 1
; AccumOffset: 4
; Occupancy: 8
; WaveLimiterHint : 0
; COMPUTE_PGM_RSRC2:SCRATCH_EN: 0
; COMPUTE_PGM_RSRC2:USER_SGPR: 2
; COMPUTE_PGM_RSRC2:TRAP_HANDLER: 0
; COMPUTE_PGM_RSRC2:TGID_X_EN: 1
; COMPUTE_PGM_RSRC2:TGID_Y_EN: 0
; COMPUTE_PGM_RSRC2:TGID_Z_EN: 0
; COMPUTE_PGM_RSRC2:TIDIG_COMP_CNT: 0
; COMPUTE_PGM_RSRC3_GFX90A:ACCUM_OFFSET: 0
; COMPUTE_PGM_RSRC3_GFX90A:TG_SPLIT: 0
	.section	.text._ZN7rocprim17ROCPRIM_400000_NS6detail17trampoline_kernelINS0_14default_configENS1_38merge_sort_block_merge_config_selectorIlNS0_10empty_typeEEEZZNS1_27merge_sort_block_merge_implIS3_PlPS5_mZN2at6native12_GLOBAL__N_124unique_dim_cuda_templateIfEESt5tupleIJNSA_6TensorESF_SF_EERKSF_lbbbEUlllE_EE10hipError_tT0_T1_T2_jT3_P12ihipStream_tbPNSt15iterator_traitsISL_E10value_typeEPNSR_ISM_E10value_typeEPSN_NS1_7vsmem_tEENKUlT_SL_SM_SN_E_clIS8_S8_S9_S9_EESK_S10_SL_SM_SN_EUlS10_E1_NS1_11comp_targetILNS1_3genE4ELNS1_11target_archE910ELNS1_3gpuE8ELNS1_3repE0EEENS1_36merge_oddeven_config_static_selectorELNS0_4arch9wavefront6targetE1EEEvSM_,"axG",@progbits,_ZN7rocprim17ROCPRIM_400000_NS6detail17trampoline_kernelINS0_14default_configENS1_38merge_sort_block_merge_config_selectorIlNS0_10empty_typeEEEZZNS1_27merge_sort_block_merge_implIS3_PlPS5_mZN2at6native12_GLOBAL__N_124unique_dim_cuda_templateIfEESt5tupleIJNSA_6TensorESF_SF_EERKSF_lbbbEUlllE_EE10hipError_tT0_T1_T2_jT3_P12ihipStream_tbPNSt15iterator_traitsISL_E10value_typeEPNSR_ISM_E10value_typeEPSN_NS1_7vsmem_tEENKUlT_SL_SM_SN_E_clIS8_S8_S9_S9_EESK_S10_SL_SM_SN_EUlS10_E1_NS1_11comp_targetILNS1_3genE4ELNS1_11target_archE910ELNS1_3gpuE8ELNS1_3repE0EEENS1_36merge_oddeven_config_static_selectorELNS0_4arch9wavefront6targetE1EEEvSM_,comdat
	.globl	_ZN7rocprim17ROCPRIM_400000_NS6detail17trampoline_kernelINS0_14default_configENS1_38merge_sort_block_merge_config_selectorIlNS0_10empty_typeEEEZZNS1_27merge_sort_block_merge_implIS3_PlPS5_mZN2at6native12_GLOBAL__N_124unique_dim_cuda_templateIfEESt5tupleIJNSA_6TensorESF_SF_EERKSF_lbbbEUlllE_EE10hipError_tT0_T1_T2_jT3_P12ihipStream_tbPNSt15iterator_traitsISL_E10value_typeEPNSR_ISM_E10value_typeEPSN_NS1_7vsmem_tEENKUlT_SL_SM_SN_E_clIS8_S8_S9_S9_EESK_S10_SL_SM_SN_EUlS10_E1_NS1_11comp_targetILNS1_3genE4ELNS1_11target_archE910ELNS1_3gpuE8ELNS1_3repE0EEENS1_36merge_oddeven_config_static_selectorELNS0_4arch9wavefront6targetE1EEEvSM_ ; -- Begin function _ZN7rocprim17ROCPRIM_400000_NS6detail17trampoline_kernelINS0_14default_configENS1_38merge_sort_block_merge_config_selectorIlNS0_10empty_typeEEEZZNS1_27merge_sort_block_merge_implIS3_PlPS5_mZN2at6native12_GLOBAL__N_124unique_dim_cuda_templateIfEESt5tupleIJNSA_6TensorESF_SF_EERKSF_lbbbEUlllE_EE10hipError_tT0_T1_T2_jT3_P12ihipStream_tbPNSt15iterator_traitsISL_E10value_typeEPNSR_ISM_E10value_typeEPSN_NS1_7vsmem_tEENKUlT_SL_SM_SN_E_clIS8_S8_S9_S9_EESK_S10_SL_SM_SN_EUlS10_E1_NS1_11comp_targetILNS1_3genE4ELNS1_11target_archE910ELNS1_3gpuE8ELNS1_3repE0EEENS1_36merge_oddeven_config_static_selectorELNS0_4arch9wavefront6targetE1EEEvSM_
	.p2align	8
	.type	_ZN7rocprim17ROCPRIM_400000_NS6detail17trampoline_kernelINS0_14default_configENS1_38merge_sort_block_merge_config_selectorIlNS0_10empty_typeEEEZZNS1_27merge_sort_block_merge_implIS3_PlPS5_mZN2at6native12_GLOBAL__N_124unique_dim_cuda_templateIfEESt5tupleIJNSA_6TensorESF_SF_EERKSF_lbbbEUlllE_EE10hipError_tT0_T1_T2_jT3_P12ihipStream_tbPNSt15iterator_traitsISL_E10value_typeEPNSR_ISM_E10value_typeEPSN_NS1_7vsmem_tEENKUlT_SL_SM_SN_E_clIS8_S8_S9_S9_EESK_S10_SL_SM_SN_EUlS10_E1_NS1_11comp_targetILNS1_3genE4ELNS1_11target_archE910ELNS1_3gpuE8ELNS1_3repE0EEENS1_36merge_oddeven_config_static_selectorELNS0_4arch9wavefront6targetE1EEEvSM_,@function
_ZN7rocprim17ROCPRIM_400000_NS6detail17trampoline_kernelINS0_14default_configENS1_38merge_sort_block_merge_config_selectorIlNS0_10empty_typeEEEZZNS1_27merge_sort_block_merge_implIS3_PlPS5_mZN2at6native12_GLOBAL__N_124unique_dim_cuda_templateIfEESt5tupleIJNSA_6TensorESF_SF_EERKSF_lbbbEUlllE_EE10hipError_tT0_T1_T2_jT3_P12ihipStream_tbPNSt15iterator_traitsISL_E10value_typeEPNSR_ISM_E10value_typeEPSN_NS1_7vsmem_tEENKUlT_SL_SM_SN_E_clIS8_S8_S9_S9_EESK_S10_SL_SM_SN_EUlS10_E1_NS1_11comp_targetILNS1_3genE4ELNS1_11target_archE910ELNS1_3gpuE8ELNS1_3repE0EEENS1_36merge_oddeven_config_static_selectorELNS0_4arch9wavefront6targetE1EEEvSM_: ; @_ZN7rocprim17ROCPRIM_400000_NS6detail17trampoline_kernelINS0_14default_configENS1_38merge_sort_block_merge_config_selectorIlNS0_10empty_typeEEEZZNS1_27merge_sort_block_merge_implIS3_PlPS5_mZN2at6native12_GLOBAL__N_124unique_dim_cuda_templateIfEESt5tupleIJNSA_6TensorESF_SF_EERKSF_lbbbEUlllE_EE10hipError_tT0_T1_T2_jT3_P12ihipStream_tbPNSt15iterator_traitsISL_E10value_typeEPNSR_ISM_E10value_typeEPSN_NS1_7vsmem_tEENKUlT_SL_SM_SN_E_clIS8_S8_S9_S9_EESK_S10_SL_SM_SN_EUlS10_E1_NS1_11comp_targetILNS1_3genE4ELNS1_11target_archE910ELNS1_3gpuE8ELNS1_3repE0EEENS1_36merge_oddeven_config_static_selectorELNS0_4arch9wavefront6targetE1EEEvSM_
; %bb.0:
	.section	.rodata,"a",@progbits
	.p2align	6, 0x0
	.amdhsa_kernel _ZN7rocprim17ROCPRIM_400000_NS6detail17trampoline_kernelINS0_14default_configENS1_38merge_sort_block_merge_config_selectorIlNS0_10empty_typeEEEZZNS1_27merge_sort_block_merge_implIS3_PlPS5_mZN2at6native12_GLOBAL__N_124unique_dim_cuda_templateIfEESt5tupleIJNSA_6TensorESF_SF_EERKSF_lbbbEUlllE_EE10hipError_tT0_T1_T2_jT3_P12ihipStream_tbPNSt15iterator_traitsISL_E10value_typeEPNSR_ISM_E10value_typeEPSN_NS1_7vsmem_tEENKUlT_SL_SM_SN_E_clIS8_S8_S9_S9_EESK_S10_SL_SM_SN_EUlS10_E1_NS1_11comp_targetILNS1_3genE4ELNS1_11target_archE910ELNS1_3gpuE8ELNS1_3repE0EEENS1_36merge_oddeven_config_static_selectorELNS0_4arch9wavefront6targetE1EEEvSM_
		.amdhsa_group_segment_fixed_size 0
		.amdhsa_private_segment_fixed_size 0
		.amdhsa_kernarg_size 64
		.amdhsa_user_sgpr_count 2
		.amdhsa_user_sgpr_dispatch_ptr 0
		.amdhsa_user_sgpr_queue_ptr 0
		.amdhsa_user_sgpr_kernarg_segment_ptr 1
		.amdhsa_user_sgpr_dispatch_id 0
		.amdhsa_user_sgpr_kernarg_preload_length 0
		.amdhsa_user_sgpr_kernarg_preload_offset 0
		.amdhsa_user_sgpr_private_segment_size 0
		.amdhsa_uses_dynamic_stack 0
		.amdhsa_enable_private_segment 0
		.amdhsa_system_sgpr_workgroup_id_x 1
		.amdhsa_system_sgpr_workgroup_id_y 0
		.amdhsa_system_sgpr_workgroup_id_z 0
		.amdhsa_system_sgpr_workgroup_info 0
		.amdhsa_system_vgpr_workitem_id 0
		.amdhsa_next_free_vgpr 1
		.amdhsa_next_free_sgpr 0
		.amdhsa_accum_offset 4
		.amdhsa_reserve_vcc 0
		.amdhsa_float_round_mode_32 0
		.amdhsa_float_round_mode_16_64 0
		.amdhsa_float_denorm_mode_32 3
		.amdhsa_float_denorm_mode_16_64 3
		.amdhsa_dx10_clamp 1
		.amdhsa_ieee_mode 1
		.amdhsa_fp16_overflow 0
		.amdhsa_tg_split 0
		.amdhsa_exception_fp_ieee_invalid_op 0
		.amdhsa_exception_fp_denorm_src 0
		.amdhsa_exception_fp_ieee_div_zero 0
		.amdhsa_exception_fp_ieee_overflow 0
		.amdhsa_exception_fp_ieee_underflow 0
		.amdhsa_exception_fp_ieee_inexact 0
		.amdhsa_exception_int_div_zero 0
	.end_amdhsa_kernel
	.section	.text._ZN7rocprim17ROCPRIM_400000_NS6detail17trampoline_kernelINS0_14default_configENS1_38merge_sort_block_merge_config_selectorIlNS0_10empty_typeEEEZZNS1_27merge_sort_block_merge_implIS3_PlPS5_mZN2at6native12_GLOBAL__N_124unique_dim_cuda_templateIfEESt5tupleIJNSA_6TensorESF_SF_EERKSF_lbbbEUlllE_EE10hipError_tT0_T1_T2_jT3_P12ihipStream_tbPNSt15iterator_traitsISL_E10value_typeEPNSR_ISM_E10value_typeEPSN_NS1_7vsmem_tEENKUlT_SL_SM_SN_E_clIS8_S8_S9_S9_EESK_S10_SL_SM_SN_EUlS10_E1_NS1_11comp_targetILNS1_3genE4ELNS1_11target_archE910ELNS1_3gpuE8ELNS1_3repE0EEENS1_36merge_oddeven_config_static_selectorELNS0_4arch9wavefront6targetE1EEEvSM_,"axG",@progbits,_ZN7rocprim17ROCPRIM_400000_NS6detail17trampoline_kernelINS0_14default_configENS1_38merge_sort_block_merge_config_selectorIlNS0_10empty_typeEEEZZNS1_27merge_sort_block_merge_implIS3_PlPS5_mZN2at6native12_GLOBAL__N_124unique_dim_cuda_templateIfEESt5tupleIJNSA_6TensorESF_SF_EERKSF_lbbbEUlllE_EE10hipError_tT0_T1_T2_jT3_P12ihipStream_tbPNSt15iterator_traitsISL_E10value_typeEPNSR_ISM_E10value_typeEPSN_NS1_7vsmem_tEENKUlT_SL_SM_SN_E_clIS8_S8_S9_S9_EESK_S10_SL_SM_SN_EUlS10_E1_NS1_11comp_targetILNS1_3genE4ELNS1_11target_archE910ELNS1_3gpuE8ELNS1_3repE0EEENS1_36merge_oddeven_config_static_selectorELNS0_4arch9wavefront6targetE1EEEvSM_,comdat
.Lfunc_end899:
	.size	_ZN7rocprim17ROCPRIM_400000_NS6detail17trampoline_kernelINS0_14default_configENS1_38merge_sort_block_merge_config_selectorIlNS0_10empty_typeEEEZZNS1_27merge_sort_block_merge_implIS3_PlPS5_mZN2at6native12_GLOBAL__N_124unique_dim_cuda_templateIfEESt5tupleIJNSA_6TensorESF_SF_EERKSF_lbbbEUlllE_EE10hipError_tT0_T1_T2_jT3_P12ihipStream_tbPNSt15iterator_traitsISL_E10value_typeEPNSR_ISM_E10value_typeEPSN_NS1_7vsmem_tEENKUlT_SL_SM_SN_E_clIS8_S8_S9_S9_EESK_S10_SL_SM_SN_EUlS10_E1_NS1_11comp_targetILNS1_3genE4ELNS1_11target_archE910ELNS1_3gpuE8ELNS1_3repE0EEENS1_36merge_oddeven_config_static_selectorELNS0_4arch9wavefront6targetE1EEEvSM_, .Lfunc_end899-_ZN7rocprim17ROCPRIM_400000_NS6detail17trampoline_kernelINS0_14default_configENS1_38merge_sort_block_merge_config_selectorIlNS0_10empty_typeEEEZZNS1_27merge_sort_block_merge_implIS3_PlPS5_mZN2at6native12_GLOBAL__N_124unique_dim_cuda_templateIfEESt5tupleIJNSA_6TensorESF_SF_EERKSF_lbbbEUlllE_EE10hipError_tT0_T1_T2_jT3_P12ihipStream_tbPNSt15iterator_traitsISL_E10value_typeEPNSR_ISM_E10value_typeEPSN_NS1_7vsmem_tEENKUlT_SL_SM_SN_E_clIS8_S8_S9_S9_EESK_S10_SL_SM_SN_EUlS10_E1_NS1_11comp_targetILNS1_3genE4ELNS1_11target_archE910ELNS1_3gpuE8ELNS1_3repE0EEENS1_36merge_oddeven_config_static_selectorELNS0_4arch9wavefront6targetE1EEEvSM_
                                        ; -- End function
	.set _ZN7rocprim17ROCPRIM_400000_NS6detail17trampoline_kernelINS0_14default_configENS1_38merge_sort_block_merge_config_selectorIlNS0_10empty_typeEEEZZNS1_27merge_sort_block_merge_implIS3_PlPS5_mZN2at6native12_GLOBAL__N_124unique_dim_cuda_templateIfEESt5tupleIJNSA_6TensorESF_SF_EERKSF_lbbbEUlllE_EE10hipError_tT0_T1_T2_jT3_P12ihipStream_tbPNSt15iterator_traitsISL_E10value_typeEPNSR_ISM_E10value_typeEPSN_NS1_7vsmem_tEENKUlT_SL_SM_SN_E_clIS8_S8_S9_S9_EESK_S10_SL_SM_SN_EUlS10_E1_NS1_11comp_targetILNS1_3genE4ELNS1_11target_archE910ELNS1_3gpuE8ELNS1_3repE0EEENS1_36merge_oddeven_config_static_selectorELNS0_4arch9wavefront6targetE1EEEvSM_.num_vgpr, 0
	.set _ZN7rocprim17ROCPRIM_400000_NS6detail17trampoline_kernelINS0_14default_configENS1_38merge_sort_block_merge_config_selectorIlNS0_10empty_typeEEEZZNS1_27merge_sort_block_merge_implIS3_PlPS5_mZN2at6native12_GLOBAL__N_124unique_dim_cuda_templateIfEESt5tupleIJNSA_6TensorESF_SF_EERKSF_lbbbEUlllE_EE10hipError_tT0_T1_T2_jT3_P12ihipStream_tbPNSt15iterator_traitsISL_E10value_typeEPNSR_ISM_E10value_typeEPSN_NS1_7vsmem_tEENKUlT_SL_SM_SN_E_clIS8_S8_S9_S9_EESK_S10_SL_SM_SN_EUlS10_E1_NS1_11comp_targetILNS1_3genE4ELNS1_11target_archE910ELNS1_3gpuE8ELNS1_3repE0EEENS1_36merge_oddeven_config_static_selectorELNS0_4arch9wavefront6targetE1EEEvSM_.num_agpr, 0
	.set _ZN7rocprim17ROCPRIM_400000_NS6detail17trampoline_kernelINS0_14default_configENS1_38merge_sort_block_merge_config_selectorIlNS0_10empty_typeEEEZZNS1_27merge_sort_block_merge_implIS3_PlPS5_mZN2at6native12_GLOBAL__N_124unique_dim_cuda_templateIfEESt5tupleIJNSA_6TensorESF_SF_EERKSF_lbbbEUlllE_EE10hipError_tT0_T1_T2_jT3_P12ihipStream_tbPNSt15iterator_traitsISL_E10value_typeEPNSR_ISM_E10value_typeEPSN_NS1_7vsmem_tEENKUlT_SL_SM_SN_E_clIS8_S8_S9_S9_EESK_S10_SL_SM_SN_EUlS10_E1_NS1_11comp_targetILNS1_3genE4ELNS1_11target_archE910ELNS1_3gpuE8ELNS1_3repE0EEENS1_36merge_oddeven_config_static_selectorELNS0_4arch9wavefront6targetE1EEEvSM_.numbered_sgpr, 0
	.set _ZN7rocprim17ROCPRIM_400000_NS6detail17trampoline_kernelINS0_14default_configENS1_38merge_sort_block_merge_config_selectorIlNS0_10empty_typeEEEZZNS1_27merge_sort_block_merge_implIS3_PlPS5_mZN2at6native12_GLOBAL__N_124unique_dim_cuda_templateIfEESt5tupleIJNSA_6TensorESF_SF_EERKSF_lbbbEUlllE_EE10hipError_tT0_T1_T2_jT3_P12ihipStream_tbPNSt15iterator_traitsISL_E10value_typeEPNSR_ISM_E10value_typeEPSN_NS1_7vsmem_tEENKUlT_SL_SM_SN_E_clIS8_S8_S9_S9_EESK_S10_SL_SM_SN_EUlS10_E1_NS1_11comp_targetILNS1_3genE4ELNS1_11target_archE910ELNS1_3gpuE8ELNS1_3repE0EEENS1_36merge_oddeven_config_static_selectorELNS0_4arch9wavefront6targetE1EEEvSM_.num_named_barrier, 0
	.set _ZN7rocprim17ROCPRIM_400000_NS6detail17trampoline_kernelINS0_14default_configENS1_38merge_sort_block_merge_config_selectorIlNS0_10empty_typeEEEZZNS1_27merge_sort_block_merge_implIS3_PlPS5_mZN2at6native12_GLOBAL__N_124unique_dim_cuda_templateIfEESt5tupleIJNSA_6TensorESF_SF_EERKSF_lbbbEUlllE_EE10hipError_tT0_T1_T2_jT3_P12ihipStream_tbPNSt15iterator_traitsISL_E10value_typeEPNSR_ISM_E10value_typeEPSN_NS1_7vsmem_tEENKUlT_SL_SM_SN_E_clIS8_S8_S9_S9_EESK_S10_SL_SM_SN_EUlS10_E1_NS1_11comp_targetILNS1_3genE4ELNS1_11target_archE910ELNS1_3gpuE8ELNS1_3repE0EEENS1_36merge_oddeven_config_static_selectorELNS0_4arch9wavefront6targetE1EEEvSM_.private_seg_size, 0
	.set _ZN7rocprim17ROCPRIM_400000_NS6detail17trampoline_kernelINS0_14default_configENS1_38merge_sort_block_merge_config_selectorIlNS0_10empty_typeEEEZZNS1_27merge_sort_block_merge_implIS3_PlPS5_mZN2at6native12_GLOBAL__N_124unique_dim_cuda_templateIfEESt5tupleIJNSA_6TensorESF_SF_EERKSF_lbbbEUlllE_EE10hipError_tT0_T1_T2_jT3_P12ihipStream_tbPNSt15iterator_traitsISL_E10value_typeEPNSR_ISM_E10value_typeEPSN_NS1_7vsmem_tEENKUlT_SL_SM_SN_E_clIS8_S8_S9_S9_EESK_S10_SL_SM_SN_EUlS10_E1_NS1_11comp_targetILNS1_3genE4ELNS1_11target_archE910ELNS1_3gpuE8ELNS1_3repE0EEENS1_36merge_oddeven_config_static_selectorELNS0_4arch9wavefront6targetE1EEEvSM_.uses_vcc, 0
	.set _ZN7rocprim17ROCPRIM_400000_NS6detail17trampoline_kernelINS0_14default_configENS1_38merge_sort_block_merge_config_selectorIlNS0_10empty_typeEEEZZNS1_27merge_sort_block_merge_implIS3_PlPS5_mZN2at6native12_GLOBAL__N_124unique_dim_cuda_templateIfEESt5tupleIJNSA_6TensorESF_SF_EERKSF_lbbbEUlllE_EE10hipError_tT0_T1_T2_jT3_P12ihipStream_tbPNSt15iterator_traitsISL_E10value_typeEPNSR_ISM_E10value_typeEPSN_NS1_7vsmem_tEENKUlT_SL_SM_SN_E_clIS8_S8_S9_S9_EESK_S10_SL_SM_SN_EUlS10_E1_NS1_11comp_targetILNS1_3genE4ELNS1_11target_archE910ELNS1_3gpuE8ELNS1_3repE0EEENS1_36merge_oddeven_config_static_selectorELNS0_4arch9wavefront6targetE1EEEvSM_.uses_flat_scratch, 0
	.set _ZN7rocprim17ROCPRIM_400000_NS6detail17trampoline_kernelINS0_14default_configENS1_38merge_sort_block_merge_config_selectorIlNS0_10empty_typeEEEZZNS1_27merge_sort_block_merge_implIS3_PlPS5_mZN2at6native12_GLOBAL__N_124unique_dim_cuda_templateIfEESt5tupleIJNSA_6TensorESF_SF_EERKSF_lbbbEUlllE_EE10hipError_tT0_T1_T2_jT3_P12ihipStream_tbPNSt15iterator_traitsISL_E10value_typeEPNSR_ISM_E10value_typeEPSN_NS1_7vsmem_tEENKUlT_SL_SM_SN_E_clIS8_S8_S9_S9_EESK_S10_SL_SM_SN_EUlS10_E1_NS1_11comp_targetILNS1_3genE4ELNS1_11target_archE910ELNS1_3gpuE8ELNS1_3repE0EEENS1_36merge_oddeven_config_static_selectorELNS0_4arch9wavefront6targetE1EEEvSM_.has_dyn_sized_stack, 0
	.set _ZN7rocprim17ROCPRIM_400000_NS6detail17trampoline_kernelINS0_14default_configENS1_38merge_sort_block_merge_config_selectorIlNS0_10empty_typeEEEZZNS1_27merge_sort_block_merge_implIS3_PlPS5_mZN2at6native12_GLOBAL__N_124unique_dim_cuda_templateIfEESt5tupleIJNSA_6TensorESF_SF_EERKSF_lbbbEUlllE_EE10hipError_tT0_T1_T2_jT3_P12ihipStream_tbPNSt15iterator_traitsISL_E10value_typeEPNSR_ISM_E10value_typeEPSN_NS1_7vsmem_tEENKUlT_SL_SM_SN_E_clIS8_S8_S9_S9_EESK_S10_SL_SM_SN_EUlS10_E1_NS1_11comp_targetILNS1_3genE4ELNS1_11target_archE910ELNS1_3gpuE8ELNS1_3repE0EEENS1_36merge_oddeven_config_static_selectorELNS0_4arch9wavefront6targetE1EEEvSM_.has_recursion, 0
	.set _ZN7rocprim17ROCPRIM_400000_NS6detail17trampoline_kernelINS0_14default_configENS1_38merge_sort_block_merge_config_selectorIlNS0_10empty_typeEEEZZNS1_27merge_sort_block_merge_implIS3_PlPS5_mZN2at6native12_GLOBAL__N_124unique_dim_cuda_templateIfEESt5tupleIJNSA_6TensorESF_SF_EERKSF_lbbbEUlllE_EE10hipError_tT0_T1_T2_jT3_P12ihipStream_tbPNSt15iterator_traitsISL_E10value_typeEPNSR_ISM_E10value_typeEPSN_NS1_7vsmem_tEENKUlT_SL_SM_SN_E_clIS8_S8_S9_S9_EESK_S10_SL_SM_SN_EUlS10_E1_NS1_11comp_targetILNS1_3genE4ELNS1_11target_archE910ELNS1_3gpuE8ELNS1_3repE0EEENS1_36merge_oddeven_config_static_selectorELNS0_4arch9wavefront6targetE1EEEvSM_.has_indirect_call, 0
	.section	.AMDGPU.csdata,"",@progbits
; Kernel info:
; codeLenInByte = 0
; TotalNumSgprs: 6
; NumVgprs: 0
; NumAgprs: 0
; TotalNumVgprs: 0
; ScratchSize: 0
; MemoryBound: 0
; FloatMode: 240
; IeeeMode: 1
; LDSByteSize: 0 bytes/workgroup (compile time only)
; SGPRBlocks: 0
; VGPRBlocks: 0
; NumSGPRsForWavesPerEU: 6
; NumVGPRsForWavesPerEU: 1
; AccumOffset: 4
; Occupancy: 8
; WaveLimiterHint : 0
; COMPUTE_PGM_RSRC2:SCRATCH_EN: 0
; COMPUTE_PGM_RSRC2:USER_SGPR: 2
; COMPUTE_PGM_RSRC2:TRAP_HANDLER: 0
; COMPUTE_PGM_RSRC2:TGID_X_EN: 1
; COMPUTE_PGM_RSRC2:TGID_Y_EN: 0
; COMPUTE_PGM_RSRC2:TGID_Z_EN: 0
; COMPUTE_PGM_RSRC2:TIDIG_COMP_CNT: 0
; COMPUTE_PGM_RSRC3_GFX90A:ACCUM_OFFSET: 0
; COMPUTE_PGM_RSRC3_GFX90A:TG_SPLIT: 0
	.section	.text._ZN7rocprim17ROCPRIM_400000_NS6detail17trampoline_kernelINS0_14default_configENS1_38merge_sort_block_merge_config_selectorIlNS0_10empty_typeEEEZZNS1_27merge_sort_block_merge_implIS3_PlPS5_mZN2at6native12_GLOBAL__N_124unique_dim_cuda_templateIfEESt5tupleIJNSA_6TensorESF_SF_EERKSF_lbbbEUlllE_EE10hipError_tT0_T1_T2_jT3_P12ihipStream_tbPNSt15iterator_traitsISL_E10value_typeEPNSR_ISM_E10value_typeEPSN_NS1_7vsmem_tEENKUlT_SL_SM_SN_E_clIS8_S8_S9_S9_EESK_S10_SL_SM_SN_EUlS10_E1_NS1_11comp_targetILNS1_3genE3ELNS1_11target_archE908ELNS1_3gpuE7ELNS1_3repE0EEENS1_36merge_oddeven_config_static_selectorELNS0_4arch9wavefront6targetE1EEEvSM_,"axG",@progbits,_ZN7rocprim17ROCPRIM_400000_NS6detail17trampoline_kernelINS0_14default_configENS1_38merge_sort_block_merge_config_selectorIlNS0_10empty_typeEEEZZNS1_27merge_sort_block_merge_implIS3_PlPS5_mZN2at6native12_GLOBAL__N_124unique_dim_cuda_templateIfEESt5tupleIJNSA_6TensorESF_SF_EERKSF_lbbbEUlllE_EE10hipError_tT0_T1_T2_jT3_P12ihipStream_tbPNSt15iterator_traitsISL_E10value_typeEPNSR_ISM_E10value_typeEPSN_NS1_7vsmem_tEENKUlT_SL_SM_SN_E_clIS8_S8_S9_S9_EESK_S10_SL_SM_SN_EUlS10_E1_NS1_11comp_targetILNS1_3genE3ELNS1_11target_archE908ELNS1_3gpuE7ELNS1_3repE0EEENS1_36merge_oddeven_config_static_selectorELNS0_4arch9wavefront6targetE1EEEvSM_,comdat
	.globl	_ZN7rocprim17ROCPRIM_400000_NS6detail17trampoline_kernelINS0_14default_configENS1_38merge_sort_block_merge_config_selectorIlNS0_10empty_typeEEEZZNS1_27merge_sort_block_merge_implIS3_PlPS5_mZN2at6native12_GLOBAL__N_124unique_dim_cuda_templateIfEESt5tupleIJNSA_6TensorESF_SF_EERKSF_lbbbEUlllE_EE10hipError_tT0_T1_T2_jT3_P12ihipStream_tbPNSt15iterator_traitsISL_E10value_typeEPNSR_ISM_E10value_typeEPSN_NS1_7vsmem_tEENKUlT_SL_SM_SN_E_clIS8_S8_S9_S9_EESK_S10_SL_SM_SN_EUlS10_E1_NS1_11comp_targetILNS1_3genE3ELNS1_11target_archE908ELNS1_3gpuE7ELNS1_3repE0EEENS1_36merge_oddeven_config_static_selectorELNS0_4arch9wavefront6targetE1EEEvSM_ ; -- Begin function _ZN7rocprim17ROCPRIM_400000_NS6detail17trampoline_kernelINS0_14default_configENS1_38merge_sort_block_merge_config_selectorIlNS0_10empty_typeEEEZZNS1_27merge_sort_block_merge_implIS3_PlPS5_mZN2at6native12_GLOBAL__N_124unique_dim_cuda_templateIfEESt5tupleIJNSA_6TensorESF_SF_EERKSF_lbbbEUlllE_EE10hipError_tT0_T1_T2_jT3_P12ihipStream_tbPNSt15iterator_traitsISL_E10value_typeEPNSR_ISM_E10value_typeEPSN_NS1_7vsmem_tEENKUlT_SL_SM_SN_E_clIS8_S8_S9_S9_EESK_S10_SL_SM_SN_EUlS10_E1_NS1_11comp_targetILNS1_3genE3ELNS1_11target_archE908ELNS1_3gpuE7ELNS1_3repE0EEENS1_36merge_oddeven_config_static_selectorELNS0_4arch9wavefront6targetE1EEEvSM_
	.p2align	8
	.type	_ZN7rocprim17ROCPRIM_400000_NS6detail17trampoline_kernelINS0_14default_configENS1_38merge_sort_block_merge_config_selectorIlNS0_10empty_typeEEEZZNS1_27merge_sort_block_merge_implIS3_PlPS5_mZN2at6native12_GLOBAL__N_124unique_dim_cuda_templateIfEESt5tupleIJNSA_6TensorESF_SF_EERKSF_lbbbEUlllE_EE10hipError_tT0_T1_T2_jT3_P12ihipStream_tbPNSt15iterator_traitsISL_E10value_typeEPNSR_ISM_E10value_typeEPSN_NS1_7vsmem_tEENKUlT_SL_SM_SN_E_clIS8_S8_S9_S9_EESK_S10_SL_SM_SN_EUlS10_E1_NS1_11comp_targetILNS1_3genE3ELNS1_11target_archE908ELNS1_3gpuE7ELNS1_3repE0EEENS1_36merge_oddeven_config_static_selectorELNS0_4arch9wavefront6targetE1EEEvSM_,@function
_ZN7rocprim17ROCPRIM_400000_NS6detail17trampoline_kernelINS0_14default_configENS1_38merge_sort_block_merge_config_selectorIlNS0_10empty_typeEEEZZNS1_27merge_sort_block_merge_implIS3_PlPS5_mZN2at6native12_GLOBAL__N_124unique_dim_cuda_templateIfEESt5tupleIJNSA_6TensorESF_SF_EERKSF_lbbbEUlllE_EE10hipError_tT0_T1_T2_jT3_P12ihipStream_tbPNSt15iterator_traitsISL_E10value_typeEPNSR_ISM_E10value_typeEPSN_NS1_7vsmem_tEENKUlT_SL_SM_SN_E_clIS8_S8_S9_S9_EESK_S10_SL_SM_SN_EUlS10_E1_NS1_11comp_targetILNS1_3genE3ELNS1_11target_archE908ELNS1_3gpuE7ELNS1_3repE0EEENS1_36merge_oddeven_config_static_selectorELNS0_4arch9wavefront6targetE1EEEvSM_: ; @_ZN7rocprim17ROCPRIM_400000_NS6detail17trampoline_kernelINS0_14default_configENS1_38merge_sort_block_merge_config_selectorIlNS0_10empty_typeEEEZZNS1_27merge_sort_block_merge_implIS3_PlPS5_mZN2at6native12_GLOBAL__N_124unique_dim_cuda_templateIfEESt5tupleIJNSA_6TensorESF_SF_EERKSF_lbbbEUlllE_EE10hipError_tT0_T1_T2_jT3_P12ihipStream_tbPNSt15iterator_traitsISL_E10value_typeEPNSR_ISM_E10value_typeEPSN_NS1_7vsmem_tEENKUlT_SL_SM_SN_E_clIS8_S8_S9_S9_EESK_S10_SL_SM_SN_EUlS10_E1_NS1_11comp_targetILNS1_3genE3ELNS1_11target_archE908ELNS1_3gpuE7ELNS1_3repE0EEENS1_36merge_oddeven_config_static_selectorELNS0_4arch9wavefront6targetE1EEEvSM_
; %bb.0:
	.section	.rodata,"a",@progbits
	.p2align	6, 0x0
	.amdhsa_kernel _ZN7rocprim17ROCPRIM_400000_NS6detail17trampoline_kernelINS0_14default_configENS1_38merge_sort_block_merge_config_selectorIlNS0_10empty_typeEEEZZNS1_27merge_sort_block_merge_implIS3_PlPS5_mZN2at6native12_GLOBAL__N_124unique_dim_cuda_templateIfEESt5tupleIJNSA_6TensorESF_SF_EERKSF_lbbbEUlllE_EE10hipError_tT0_T1_T2_jT3_P12ihipStream_tbPNSt15iterator_traitsISL_E10value_typeEPNSR_ISM_E10value_typeEPSN_NS1_7vsmem_tEENKUlT_SL_SM_SN_E_clIS8_S8_S9_S9_EESK_S10_SL_SM_SN_EUlS10_E1_NS1_11comp_targetILNS1_3genE3ELNS1_11target_archE908ELNS1_3gpuE7ELNS1_3repE0EEENS1_36merge_oddeven_config_static_selectorELNS0_4arch9wavefront6targetE1EEEvSM_
		.amdhsa_group_segment_fixed_size 0
		.amdhsa_private_segment_fixed_size 0
		.amdhsa_kernarg_size 64
		.amdhsa_user_sgpr_count 2
		.amdhsa_user_sgpr_dispatch_ptr 0
		.amdhsa_user_sgpr_queue_ptr 0
		.amdhsa_user_sgpr_kernarg_segment_ptr 1
		.amdhsa_user_sgpr_dispatch_id 0
		.amdhsa_user_sgpr_kernarg_preload_length 0
		.amdhsa_user_sgpr_kernarg_preload_offset 0
		.amdhsa_user_sgpr_private_segment_size 0
		.amdhsa_uses_dynamic_stack 0
		.amdhsa_enable_private_segment 0
		.amdhsa_system_sgpr_workgroup_id_x 1
		.amdhsa_system_sgpr_workgroup_id_y 0
		.amdhsa_system_sgpr_workgroup_id_z 0
		.amdhsa_system_sgpr_workgroup_info 0
		.amdhsa_system_vgpr_workitem_id 0
		.amdhsa_next_free_vgpr 1
		.amdhsa_next_free_sgpr 0
		.amdhsa_accum_offset 4
		.amdhsa_reserve_vcc 0
		.amdhsa_float_round_mode_32 0
		.amdhsa_float_round_mode_16_64 0
		.amdhsa_float_denorm_mode_32 3
		.amdhsa_float_denorm_mode_16_64 3
		.amdhsa_dx10_clamp 1
		.amdhsa_ieee_mode 1
		.amdhsa_fp16_overflow 0
		.amdhsa_tg_split 0
		.amdhsa_exception_fp_ieee_invalid_op 0
		.amdhsa_exception_fp_denorm_src 0
		.amdhsa_exception_fp_ieee_div_zero 0
		.amdhsa_exception_fp_ieee_overflow 0
		.amdhsa_exception_fp_ieee_underflow 0
		.amdhsa_exception_fp_ieee_inexact 0
		.amdhsa_exception_int_div_zero 0
	.end_amdhsa_kernel
	.section	.text._ZN7rocprim17ROCPRIM_400000_NS6detail17trampoline_kernelINS0_14default_configENS1_38merge_sort_block_merge_config_selectorIlNS0_10empty_typeEEEZZNS1_27merge_sort_block_merge_implIS3_PlPS5_mZN2at6native12_GLOBAL__N_124unique_dim_cuda_templateIfEESt5tupleIJNSA_6TensorESF_SF_EERKSF_lbbbEUlllE_EE10hipError_tT0_T1_T2_jT3_P12ihipStream_tbPNSt15iterator_traitsISL_E10value_typeEPNSR_ISM_E10value_typeEPSN_NS1_7vsmem_tEENKUlT_SL_SM_SN_E_clIS8_S8_S9_S9_EESK_S10_SL_SM_SN_EUlS10_E1_NS1_11comp_targetILNS1_3genE3ELNS1_11target_archE908ELNS1_3gpuE7ELNS1_3repE0EEENS1_36merge_oddeven_config_static_selectorELNS0_4arch9wavefront6targetE1EEEvSM_,"axG",@progbits,_ZN7rocprim17ROCPRIM_400000_NS6detail17trampoline_kernelINS0_14default_configENS1_38merge_sort_block_merge_config_selectorIlNS0_10empty_typeEEEZZNS1_27merge_sort_block_merge_implIS3_PlPS5_mZN2at6native12_GLOBAL__N_124unique_dim_cuda_templateIfEESt5tupleIJNSA_6TensorESF_SF_EERKSF_lbbbEUlllE_EE10hipError_tT0_T1_T2_jT3_P12ihipStream_tbPNSt15iterator_traitsISL_E10value_typeEPNSR_ISM_E10value_typeEPSN_NS1_7vsmem_tEENKUlT_SL_SM_SN_E_clIS8_S8_S9_S9_EESK_S10_SL_SM_SN_EUlS10_E1_NS1_11comp_targetILNS1_3genE3ELNS1_11target_archE908ELNS1_3gpuE7ELNS1_3repE0EEENS1_36merge_oddeven_config_static_selectorELNS0_4arch9wavefront6targetE1EEEvSM_,comdat
.Lfunc_end900:
	.size	_ZN7rocprim17ROCPRIM_400000_NS6detail17trampoline_kernelINS0_14default_configENS1_38merge_sort_block_merge_config_selectorIlNS0_10empty_typeEEEZZNS1_27merge_sort_block_merge_implIS3_PlPS5_mZN2at6native12_GLOBAL__N_124unique_dim_cuda_templateIfEESt5tupleIJNSA_6TensorESF_SF_EERKSF_lbbbEUlllE_EE10hipError_tT0_T1_T2_jT3_P12ihipStream_tbPNSt15iterator_traitsISL_E10value_typeEPNSR_ISM_E10value_typeEPSN_NS1_7vsmem_tEENKUlT_SL_SM_SN_E_clIS8_S8_S9_S9_EESK_S10_SL_SM_SN_EUlS10_E1_NS1_11comp_targetILNS1_3genE3ELNS1_11target_archE908ELNS1_3gpuE7ELNS1_3repE0EEENS1_36merge_oddeven_config_static_selectorELNS0_4arch9wavefront6targetE1EEEvSM_, .Lfunc_end900-_ZN7rocprim17ROCPRIM_400000_NS6detail17trampoline_kernelINS0_14default_configENS1_38merge_sort_block_merge_config_selectorIlNS0_10empty_typeEEEZZNS1_27merge_sort_block_merge_implIS3_PlPS5_mZN2at6native12_GLOBAL__N_124unique_dim_cuda_templateIfEESt5tupleIJNSA_6TensorESF_SF_EERKSF_lbbbEUlllE_EE10hipError_tT0_T1_T2_jT3_P12ihipStream_tbPNSt15iterator_traitsISL_E10value_typeEPNSR_ISM_E10value_typeEPSN_NS1_7vsmem_tEENKUlT_SL_SM_SN_E_clIS8_S8_S9_S9_EESK_S10_SL_SM_SN_EUlS10_E1_NS1_11comp_targetILNS1_3genE3ELNS1_11target_archE908ELNS1_3gpuE7ELNS1_3repE0EEENS1_36merge_oddeven_config_static_selectorELNS0_4arch9wavefront6targetE1EEEvSM_
                                        ; -- End function
	.set _ZN7rocprim17ROCPRIM_400000_NS6detail17trampoline_kernelINS0_14default_configENS1_38merge_sort_block_merge_config_selectorIlNS0_10empty_typeEEEZZNS1_27merge_sort_block_merge_implIS3_PlPS5_mZN2at6native12_GLOBAL__N_124unique_dim_cuda_templateIfEESt5tupleIJNSA_6TensorESF_SF_EERKSF_lbbbEUlllE_EE10hipError_tT0_T1_T2_jT3_P12ihipStream_tbPNSt15iterator_traitsISL_E10value_typeEPNSR_ISM_E10value_typeEPSN_NS1_7vsmem_tEENKUlT_SL_SM_SN_E_clIS8_S8_S9_S9_EESK_S10_SL_SM_SN_EUlS10_E1_NS1_11comp_targetILNS1_3genE3ELNS1_11target_archE908ELNS1_3gpuE7ELNS1_3repE0EEENS1_36merge_oddeven_config_static_selectorELNS0_4arch9wavefront6targetE1EEEvSM_.num_vgpr, 0
	.set _ZN7rocprim17ROCPRIM_400000_NS6detail17trampoline_kernelINS0_14default_configENS1_38merge_sort_block_merge_config_selectorIlNS0_10empty_typeEEEZZNS1_27merge_sort_block_merge_implIS3_PlPS5_mZN2at6native12_GLOBAL__N_124unique_dim_cuda_templateIfEESt5tupleIJNSA_6TensorESF_SF_EERKSF_lbbbEUlllE_EE10hipError_tT0_T1_T2_jT3_P12ihipStream_tbPNSt15iterator_traitsISL_E10value_typeEPNSR_ISM_E10value_typeEPSN_NS1_7vsmem_tEENKUlT_SL_SM_SN_E_clIS8_S8_S9_S9_EESK_S10_SL_SM_SN_EUlS10_E1_NS1_11comp_targetILNS1_3genE3ELNS1_11target_archE908ELNS1_3gpuE7ELNS1_3repE0EEENS1_36merge_oddeven_config_static_selectorELNS0_4arch9wavefront6targetE1EEEvSM_.num_agpr, 0
	.set _ZN7rocprim17ROCPRIM_400000_NS6detail17trampoline_kernelINS0_14default_configENS1_38merge_sort_block_merge_config_selectorIlNS0_10empty_typeEEEZZNS1_27merge_sort_block_merge_implIS3_PlPS5_mZN2at6native12_GLOBAL__N_124unique_dim_cuda_templateIfEESt5tupleIJNSA_6TensorESF_SF_EERKSF_lbbbEUlllE_EE10hipError_tT0_T1_T2_jT3_P12ihipStream_tbPNSt15iterator_traitsISL_E10value_typeEPNSR_ISM_E10value_typeEPSN_NS1_7vsmem_tEENKUlT_SL_SM_SN_E_clIS8_S8_S9_S9_EESK_S10_SL_SM_SN_EUlS10_E1_NS1_11comp_targetILNS1_3genE3ELNS1_11target_archE908ELNS1_3gpuE7ELNS1_3repE0EEENS1_36merge_oddeven_config_static_selectorELNS0_4arch9wavefront6targetE1EEEvSM_.numbered_sgpr, 0
	.set _ZN7rocprim17ROCPRIM_400000_NS6detail17trampoline_kernelINS0_14default_configENS1_38merge_sort_block_merge_config_selectorIlNS0_10empty_typeEEEZZNS1_27merge_sort_block_merge_implIS3_PlPS5_mZN2at6native12_GLOBAL__N_124unique_dim_cuda_templateIfEESt5tupleIJNSA_6TensorESF_SF_EERKSF_lbbbEUlllE_EE10hipError_tT0_T1_T2_jT3_P12ihipStream_tbPNSt15iterator_traitsISL_E10value_typeEPNSR_ISM_E10value_typeEPSN_NS1_7vsmem_tEENKUlT_SL_SM_SN_E_clIS8_S8_S9_S9_EESK_S10_SL_SM_SN_EUlS10_E1_NS1_11comp_targetILNS1_3genE3ELNS1_11target_archE908ELNS1_3gpuE7ELNS1_3repE0EEENS1_36merge_oddeven_config_static_selectorELNS0_4arch9wavefront6targetE1EEEvSM_.num_named_barrier, 0
	.set _ZN7rocprim17ROCPRIM_400000_NS6detail17trampoline_kernelINS0_14default_configENS1_38merge_sort_block_merge_config_selectorIlNS0_10empty_typeEEEZZNS1_27merge_sort_block_merge_implIS3_PlPS5_mZN2at6native12_GLOBAL__N_124unique_dim_cuda_templateIfEESt5tupleIJNSA_6TensorESF_SF_EERKSF_lbbbEUlllE_EE10hipError_tT0_T1_T2_jT3_P12ihipStream_tbPNSt15iterator_traitsISL_E10value_typeEPNSR_ISM_E10value_typeEPSN_NS1_7vsmem_tEENKUlT_SL_SM_SN_E_clIS8_S8_S9_S9_EESK_S10_SL_SM_SN_EUlS10_E1_NS1_11comp_targetILNS1_3genE3ELNS1_11target_archE908ELNS1_3gpuE7ELNS1_3repE0EEENS1_36merge_oddeven_config_static_selectorELNS0_4arch9wavefront6targetE1EEEvSM_.private_seg_size, 0
	.set _ZN7rocprim17ROCPRIM_400000_NS6detail17trampoline_kernelINS0_14default_configENS1_38merge_sort_block_merge_config_selectorIlNS0_10empty_typeEEEZZNS1_27merge_sort_block_merge_implIS3_PlPS5_mZN2at6native12_GLOBAL__N_124unique_dim_cuda_templateIfEESt5tupleIJNSA_6TensorESF_SF_EERKSF_lbbbEUlllE_EE10hipError_tT0_T1_T2_jT3_P12ihipStream_tbPNSt15iterator_traitsISL_E10value_typeEPNSR_ISM_E10value_typeEPSN_NS1_7vsmem_tEENKUlT_SL_SM_SN_E_clIS8_S8_S9_S9_EESK_S10_SL_SM_SN_EUlS10_E1_NS1_11comp_targetILNS1_3genE3ELNS1_11target_archE908ELNS1_3gpuE7ELNS1_3repE0EEENS1_36merge_oddeven_config_static_selectorELNS0_4arch9wavefront6targetE1EEEvSM_.uses_vcc, 0
	.set _ZN7rocprim17ROCPRIM_400000_NS6detail17trampoline_kernelINS0_14default_configENS1_38merge_sort_block_merge_config_selectorIlNS0_10empty_typeEEEZZNS1_27merge_sort_block_merge_implIS3_PlPS5_mZN2at6native12_GLOBAL__N_124unique_dim_cuda_templateIfEESt5tupleIJNSA_6TensorESF_SF_EERKSF_lbbbEUlllE_EE10hipError_tT0_T1_T2_jT3_P12ihipStream_tbPNSt15iterator_traitsISL_E10value_typeEPNSR_ISM_E10value_typeEPSN_NS1_7vsmem_tEENKUlT_SL_SM_SN_E_clIS8_S8_S9_S9_EESK_S10_SL_SM_SN_EUlS10_E1_NS1_11comp_targetILNS1_3genE3ELNS1_11target_archE908ELNS1_3gpuE7ELNS1_3repE0EEENS1_36merge_oddeven_config_static_selectorELNS0_4arch9wavefront6targetE1EEEvSM_.uses_flat_scratch, 0
	.set _ZN7rocprim17ROCPRIM_400000_NS6detail17trampoline_kernelINS0_14default_configENS1_38merge_sort_block_merge_config_selectorIlNS0_10empty_typeEEEZZNS1_27merge_sort_block_merge_implIS3_PlPS5_mZN2at6native12_GLOBAL__N_124unique_dim_cuda_templateIfEESt5tupleIJNSA_6TensorESF_SF_EERKSF_lbbbEUlllE_EE10hipError_tT0_T1_T2_jT3_P12ihipStream_tbPNSt15iterator_traitsISL_E10value_typeEPNSR_ISM_E10value_typeEPSN_NS1_7vsmem_tEENKUlT_SL_SM_SN_E_clIS8_S8_S9_S9_EESK_S10_SL_SM_SN_EUlS10_E1_NS1_11comp_targetILNS1_3genE3ELNS1_11target_archE908ELNS1_3gpuE7ELNS1_3repE0EEENS1_36merge_oddeven_config_static_selectorELNS0_4arch9wavefront6targetE1EEEvSM_.has_dyn_sized_stack, 0
	.set _ZN7rocprim17ROCPRIM_400000_NS6detail17trampoline_kernelINS0_14default_configENS1_38merge_sort_block_merge_config_selectorIlNS0_10empty_typeEEEZZNS1_27merge_sort_block_merge_implIS3_PlPS5_mZN2at6native12_GLOBAL__N_124unique_dim_cuda_templateIfEESt5tupleIJNSA_6TensorESF_SF_EERKSF_lbbbEUlllE_EE10hipError_tT0_T1_T2_jT3_P12ihipStream_tbPNSt15iterator_traitsISL_E10value_typeEPNSR_ISM_E10value_typeEPSN_NS1_7vsmem_tEENKUlT_SL_SM_SN_E_clIS8_S8_S9_S9_EESK_S10_SL_SM_SN_EUlS10_E1_NS1_11comp_targetILNS1_3genE3ELNS1_11target_archE908ELNS1_3gpuE7ELNS1_3repE0EEENS1_36merge_oddeven_config_static_selectorELNS0_4arch9wavefront6targetE1EEEvSM_.has_recursion, 0
	.set _ZN7rocprim17ROCPRIM_400000_NS6detail17trampoline_kernelINS0_14default_configENS1_38merge_sort_block_merge_config_selectorIlNS0_10empty_typeEEEZZNS1_27merge_sort_block_merge_implIS3_PlPS5_mZN2at6native12_GLOBAL__N_124unique_dim_cuda_templateIfEESt5tupleIJNSA_6TensorESF_SF_EERKSF_lbbbEUlllE_EE10hipError_tT0_T1_T2_jT3_P12ihipStream_tbPNSt15iterator_traitsISL_E10value_typeEPNSR_ISM_E10value_typeEPSN_NS1_7vsmem_tEENKUlT_SL_SM_SN_E_clIS8_S8_S9_S9_EESK_S10_SL_SM_SN_EUlS10_E1_NS1_11comp_targetILNS1_3genE3ELNS1_11target_archE908ELNS1_3gpuE7ELNS1_3repE0EEENS1_36merge_oddeven_config_static_selectorELNS0_4arch9wavefront6targetE1EEEvSM_.has_indirect_call, 0
	.section	.AMDGPU.csdata,"",@progbits
; Kernel info:
; codeLenInByte = 0
; TotalNumSgprs: 6
; NumVgprs: 0
; NumAgprs: 0
; TotalNumVgprs: 0
; ScratchSize: 0
; MemoryBound: 0
; FloatMode: 240
; IeeeMode: 1
; LDSByteSize: 0 bytes/workgroup (compile time only)
; SGPRBlocks: 0
; VGPRBlocks: 0
; NumSGPRsForWavesPerEU: 6
; NumVGPRsForWavesPerEU: 1
; AccumOffset: 4
; Occupancy: 8
; WaveLimiterHint : 0
; COMPUTE_PGM_RSRC2:SCRATCH_EN: 0
; COMPUTE_PGM_RSRC2:USER_SGPR: 2
; COMPUTE_PGM_RSRC2:TRAP_HANDLER: 0
; COMPUTE_PGM_RSRC2:TGID_X_EN: 1
; COMPUTE_PGM_RSRC2:TGID_Y_EN: 0
; COMPUTE_PGM_RSRC2:TGID_Z_EN: 0
; COMPUTE_PGM_RSRC2:TIDIG_COMP_CNT: 0
; COMPUTE_PGM_RSRC3_GFX90A:ACCUM_OFFSET: 0
; COMPUTE_PGM_RSRC3_GFX90A:TG_SPLIT: 0
	.section	.text._ZN7rocprim17ROCPRIM_400000_NS6detail17trampoline_kernelINS0_14default_configENS1_38merge_sort_block_merge_config_selectorIlNS0_10empty_typeEEEZZNS1_27merge_sort_block_merge_implIS3_PlPS5_mZN2at6native12_GLOBAL__N_124unique_dim_cuda_templateIfEESt5tupleIJNSA_6TensorESF_SF_EERKSF_lbbbEUlllE_EE10hipError_tT0_T1_T2_jT3_P12ihipStream_tbPNSt15iterator_traitsISL_E10value_typeEPNSR_ISM_E10value_typeEPSN_NS1_7vsmem_tEENKUlT_SL_SM_SN_E_clIS8_S8_S9_S9_EESK_S10_SL_SM_SN_EUlS10_E1_NS1_11comp_targetILNS1_3genE2ELNS1_11target_archE906ELNS1_3gpuE6ELNS1_3repE0EEENS1_36merge_oddeven_config_static_selectorELNS0_4arch9wavefront6targetE1EEEvSM_,"axG",@progbits,_ZN7rocprim17ROCPRIM_400000_NS6detail17trampoline_kernelINS0_14default_configENS1_38merge_sort_block_merge_config_selectorIlNS0_10empty_typeEEEZZNS1_27merge_sort_block_merge_implIS3_PlPS5_mZN2at6native12_GLOBAL__N_124unique_dim_cuda_templateIfEESt5tupleIJNSA_6TensorESF_SF_EERKSF_lbbbEUlllE_EE10hipError_tT0_T1_T2_jT3_P12ihipStream_tbPNSt15iterator_traitsISL_E10value_typeEPNSR_ISM_E10value_typeEPSN_NS1_7vsmem_tEENKUlT_SL_SM_SN_E_clIS8_S8_S9_S9_EESK_S10_SL_SM_SN_EUlS10_E1_NS1_11comp_targetILNS1_3genE2ELNS1_11target_archE906ELNS1_3gpuE6ELNS1_3repE0EEENS1_36merge_oddeven_config_static_selectorELNS0_4arch9wavefront6targetE1EEEvSM_,comdat
	.globl	_ZN7rocprim17ROCPRIM_400000_NS6detail17trampoline_kernelINS0_14default_configENS1_38merge_sort_block_merge_config_selectorIlNS0_10empty_typeEEEZZNS1_27merge_sort_block_merge_implIS3_PlPS5_mZN2at6native12_GLOBAL__N_124unique_dim_cuda_templateIfEESt5tupleIJNSA_6TensorESF_SF_EERKSF_lbbbEUlllE_EE10hipError_tT0_T1_T2_jT3_P12ihipStream_tbPNSt15iterator_traitsISL_E10value_typeEPNSR_ISM_E10value_typeEPSN_NS1_7vsmem_tEENKUlT_SL_SM_SN_E_clIS8_S8_S9_S9_EESK_S10_SL_SM_SN_EUlS10_E1_NS1_11comp_targetILNS1_3genE2ELNS1_11target_archE906ELNS1_3gpuE6ELNS1_3repE0EEENS1_36merge_oddeven_config_static_selectorELNS0_4arch9wavefront6targetE1EEEvSM_ ; -- Begin function _ZN7rocprim17ROCPRIM_400000_NS6detail17trampoline_kernelINS0_14default_configENS1_38merge_sort_block_merge_config_selectorIlNS0_10empty_typeEEEZZNS1_27merge_sort_block_merge_implIS3_PlPS5_mZN2at6native12_GLOBAL__N_124unique_dim_cuda_templateIfEESt5tupleIJNSA_6TensorESF_SF_EERKSF_lbbbEUlllE_EE10hipError_tT0_T1_T2_jT3_P12ihipStream_tbPNSt15iterator_traitsISL_E10value_typeEPNSR_ISM_E10value_typeEPSN_NS1_7vsmem_tEENKUlT_SL_SM_SN_E_clIS8_S8_S9_S9_EESK_S10_SL_SM_SN_EUlS10_E1_NS1_11comp_targetILNS1_3genE2ELNS1_11target_archE906ELNS1_3gpuE6ELNS1_3repE0EEENS1_36merge_oddeven_config_static_selectorELNS0_4arch9wavefront6targetE1EEEvSM_
	.p2align	8
	.type	_ZN7rocprim17ROCPRIM_400000_NS6detail17trampoline_kernelINS0_14default_configENS1_38merge_sort_block_merge_config_selectorIlNS0_10empty_typeEEEZZNS1_27merge_sort_block_merge_implIS3_PlPS5_mZN2at6native12_GLOBAL__N_124unique_dim_cuda_templateIfEESt5tupleIJNSA_6TensorESF_SF_EERKSF_lbbbEUlllE_EE10hipError_tT0_T1_T2_jT3_P12ihipStream_tbPNSt15iterator_traitsISL_E10value_typeEPNSR_ISM_E10value_typeEPSN_NS1_7vsmem_tEENKUlT_SL_SM_SN_E_clIS8_S8_S9_S9_EESK_S10_SL_SM_SN_EUlS10_E1_NS1_11comp_targetILNS1_3genE2ELNS1_11target_archE906ELNS1_3gpuE6ELNS1_3repE0EEENS1_36merge_oddeven_config_static_selectorELNS0_4arch9wavefront6targetE1EEEvSM_,@function
_ZN7rocprim17ROCPRIM_400000_NS6detail17trampoline_kernelINS0_14default_configENS1_38merge_sort_block_merge_config_selectorIlNS0_10empty_typeEEEZZNS1_27merge_sort_block_merge_implIS3_PlPS5_mZN2at6native12_GLOBAL__N_124unique_dim_cuda_templateIfEESt5tupleIJNSA_6TensorESF_SF_EERKSF_lbbbEUlllE_EE10hipError_tT0_T1_T2_jT3_P12ihipStream_tbPNSt15iterator_traitsISL_E10value_typeEPNSR_ISM_E10value_typeEPSN_NS1_7vsmem_tEENKUlT_SL_SM_SN_E_clIS8_S8_S9_S9_EESK_S10_SL_SM_SN_EUlS10_E1_NS1_11comp_targetILNS1_3genE2ELNS1_11target_archE906ELNS1_3gpuE6ELNS1_3repE0EEENS1_36merge_oddeven_config_static_selectorELNS0_4arch9wavefront6targetE1EEEvSM_: ; @_ZN7rocprim17ROCPRIM_400000_NS6detail17trampoline_kernelINS0_14default_configENS1_38merge_sort_block_merge_config_selectorIlNS0_10empty_typeEEEZZNS1_27merge_sort_block_merge_implIS3_PlPS5_mZN2at6native12_GLOBAL__N_124unique_dim_cuda_templateIfEESt5tupleIJNSA_6TensorESF_SF_EERKSF_lbbbEUlllE_EE10hipError_tT0_T1_T2_jT3_P12ihipStream_tbPNSt15iterator_traitsISL_E10value_typeEPNSR_ISM_E10value_typeEPSN_NS1_7vsmem_tEENKUlT_SL_SM_SN_E_clIS8_S8_S9_S9_EESK_S10_SL_SM_SN_EUlS10_E1_NS1_11comp_targetILNS1_3genE2ELNS1_11target_archE906ELNS1_3gpuE6ELNS1_3repE0EEENS1_36merge_oddeven_config_static_selectorELNS0_4arch9wavefront6targetE1EEEvSM_
; %bb.0:
	.section	.rodata,"a",@progbits
	.p2align	6, 0x0
	.amdhsa_kernel _ZN7rocprim17ROCPRIM_400000_NS6detail17trampoline_kernelINS0_14default_configENS1_38merge_sort_block_merge_config_selectorIlNS0_10empty_typeEEEZZNS1_27merge_sort_block_merge_implIS3_PlPS5_mZN2at6native12_GLOBAL__N_124unique_dim_cuda_templateIfEESt5tupleIJNSA_6TensorESF_SF_EERKSF_lbbbEUlllE_EE10hipError_tT0_T1_T2_jT3_P12ihipStream_tbPNSt15iterator_traitsISL_E10value_typeEPNSR_ISM_E10value_typeEPSN_NS1_7vsmem_tEENKUlT_SL_SM_SN_E_clIS8_S8_S9_S9_EESK_S10_SL_SM_SN_EUlS10_E1_NS1_11comp_targetILNS1_3genE2ELNS1_11target_archE906ELNS1_3gpuE6ELNS1_3repE0EEENS1_36merge_oddeven_config_static_selectorELNS0_4arch9wavefront6targetE1EEEvSM_
		.amdhsa_group_segment_fixed_size 0
		.amdhsa_private_segment_fixed_size 0
		.amdhsa_kernarg_size 64
		.amdhsa_user_sgpr_count 2
		.amdhsa_user_sgpr_dispatch_ptr 0
		.amdhsa_user_sgpr_queue_ptr 0
		.amdhsa_user_sgpr_kernarg_segment_ptr 1
		.amdhsa_user_sgpr_dispatch_id 0
		.amdhsa_user_sgpr_kernarg_preload_length 0
		.amdhsa_user_sgpr_kernarg_preload_offset 0
		.amdhsa_user_sgpr_private_segment_size 0
		.amdhsa_uses_dynamic_stack 0
		.amdhsa_enable_private_segment 0
		.amdhsa_system_sgpr_workgroup_id_x 1
		.amdhsa_system_sgpr_workgroup_id_y 0
		.amdhsa_system_sgpr_workgroup_id_z 0
		.amdhsa_system_sgpr_workgroup_info 0
		.amdhsa_system_vgpr_workitem_id 0
		.amdhsa_next_free_vgpr 1
		.amdhsa_next_free_sgpr 0
		.amdhsa_accum_offset 4
		.amdhsa_reserve_vcc 0
		.amdhsa_float_round_mode_32 0
		.amdhsa_float_round_mode_16_64 0
		.amdhsa_float_denorm_mode_32 3
		.amdhsa_float_denorm_mode_16_64 3
		.amdhsa_dx10_clamp 1
		.amdhsa_ieee_mode 1
		.amdhsa_fp16_overflow 0
		.amdhsa_tg_split 0
		.amdhsa_exception_fp_ieee_invalid_op 0
		.amdhsa_exception_fp_denorm_src 0
		.amdhsa_exception_fp_ieee_div_zero 0
		.amdhsa_exception_fp_ieee_overflow 0
		.amdhsa_exception_fp_ieee_underflow 0
		.amdhsa_exception_fp_ieee_inexact 0
		.amdhsa_exception_int_div_zero 0
	.end_amdhsa_kernel
	.section	.text._ZN7rocprim17ROCPRIM_400000_NS6detail17trampoline_kernelINS0_14default_configENS1_38merge_sort_block_merge_config_selectorIlNS0_10empty_typeEEEZZNS1_27merge_sort_block_merge_implIS3_PlPS5_mZN2at6native12_GLOBAL__N_124unique_dim_cuda_templateIfEESt5tupleIJNSA_6TensorESF_SF_EERKSF_lbbbEUlllE_EE10hipError_tT0_T1_T2_jT3_P12ihipStream_tbPNSt15iterator_traitsISL_E10value_typeEPNSR_ISM_E10value_typeEPSN_NS1_7vsmem_tEENKUlT_SL_SM_SN_E_clIS8_S8_S9_S9_EESK_S10_SL_SM_SN_EUlS10_E1_NS1_11comp_targetILNS1_3genE2ELNS1_11target_archE906ELNS1_3gpuE6ELNS1_3repE0EEENS1_36merge_oddeven_config_static_selectorELNS0_4arch9wavefront6targetE1EEEvSM_,"axG",@progbits,_ZN7rocprim17ROCPRIM_400000_NS6detail17trampoline_kernelINS0_14default_configENS1_38merge_sort_block_merge_config_selectorIlNS0_10empty_typeEEEZZNS1_27merge_sort_block_merge_implIS3_PlPS5_mZN2at6native12_GLOBAL__N_124unique_dim_cuda_templateIfEESt5tupleIJNSA_6TensorESF_SF_EERKSF_lbbbEUlllE_EE10hipError_tT0_T1_T2_jT3_P12ihipStream_tbPNSt15iterator_traitsISL_E10value_typeEPNSR_ISM_E10value_typeEPSN_NS1_7vsmem_tEENKUlT_SL_SM_SN_E_clIS8_S8_S9_S9_EESK_S10_SL_SM_SN_EUlS10_E1_NS1_11comp_targetILNS1_3genE2ELNS1_11target_archE906ELNS1_3gpuE6ELNS1_3repE0EEENS1_36merge_oddeven_config_static_selectorELNS0_4arch9wavefront6targetE1EEEvSM_,comdat
.Lfunc_end901:
	.size	_ZN7rocprim17ROCPRIM_400000_NS6detail17trampoline_kernelINS0_14default_configENS1_38merge_sort_block_merge_config_selectorIlNS0_10empty_typeEEEZZNS1_27merge_sort_block_merge_implIS3_PlPS5_mZN2at6native12_GLOBAL__N_124unique_dim_cuda_templateIfEESt5tupleIJNSA_6TensorESF_SF_EERKSF_lbbbEUlllE_EE10hipError_tT0_T1_T2_jT3_P12ihipStream_tbPNSt15iterator_traitsISL_E10value_typeEPNSR_ISM_E10value_typeEPSN_NS1_7vsmem_tEENKUlT_SL_SM_SN_E_clIS8_S8_S9_S9_EESK_S10_SL_SM_SN_EUlS10_E1_NS1_11comp_targetILNS1_3genE2ELNS1_11target_archE906ELNS1_3gpuE6ELNS1_3repE0EEENS1_36merge_oddeven_config_static_selectorELNS0_4arch9wavefront6targetE1EEEvSM_, .Lfunc_end901-_ZN7rocprim17ROCPRIM_400000_NS6detail17trampoline_kernelINS0_14default_configENS1_38merge_sort_block_merge_config_selectorIlNS0_10empty_typeEEEZZNS1_27merge_sort_block_merge_implIS3_PlPS5_mZN2at6native12_GLOBAL__N_124unique_dim_cuda_templateIfEESt5tupleIJNSA_6TensorESF_SF_EERKSF_lbbbEUlllE_EE10hipError_tT0_T1_T2_jT3_P12ihipStream_tbPNSt15iterator_traitsISL_E10value_typeEPNSR_ISM_E10value_typeEPSN_NS1_7vsmem_tEENKUlT_SL_SM_SN_E_clIS8_S8_S9_S9_EESK_S10_SL_SM_SN_EUlS10_E1_NS1_11comp_targetILNS1_3genE2ELNS1_11target_archE906ELNS1_3gpuE6ELNS1_3repE0EEENS1_36merge_oddeven_config_static_selectorELNS0_4arch9wavefront6targetE1EEEvSM_
                                        ; -- End function
	.set _ZN7rocprim17ROCPRIM_400000_NS6detail17trampoline_kernelINS0_14default_configENS1_38merge_sort_block_merge_config_selectorIlNS0_10empty_typeEEEZZNS1_27merge_sort_block_merge_implIS3_PlPS5_mZN2at6native12_GLOBAL__N_124unique_dim_cuda_templateIfEESt5tupleIJNSA_6TensorESF_SF_EERKSF_lbbbEUlllE_EE10hipError_tT0_T1_T2_jT3_P12ihipStream_tbPNSt15iterator_traitsISL_E10value_typeEPNSR_ISM_E10value_typeEPSN_NS1_7vsmem_tEENKUlT_SL_SM_SN_E_clIS8_S8_S9_S9_EESK_S10_SL_SM_SN_EUlS10_E1_NS1_11comp_targetILNS1_3genE2ELNS1_11target_archE906ELNS1_3gpuE6ELNS1_3repE0EEENS1_36merge_oddeven_config_static_selectorELNS0_4arch9wavefront6targetE1EEEvSM_.num_vgpr, 0
	.set _ZN7rocprim17ROCPRIM_400000_NS6detail17trampoline_kernelINS0_14default_configENS1_38merge_sort_block_merge_config_selectorIlNS0_10empty_typeEEEZZNS1_27merge_sort_block_merge_implIS3_PlPS5_mZN2at6native12_GLOBAL__N_124unique_dim_cuda_templateIfEESt5tupleIJNSA_6TensorESF_SF_EERKSF_lbbbEUlllE_EE10hipError_tT0_T1_T2_jT3_P12ihipStream_tbPNSt15iterator_traitsISL_E10value_typeEPNSR_ISM_E10value_typeEPSN_NS1_7vsmem_tEENKUlT_SL_SM_SN_E_clIS8_S8_S9_S9_EESK_S10_SL_SM_SN_EUlS10_E1_NS1_11comp_targetILNS1_3genE2ELNS1_11target_archE906ELNS1_3gpuE6ELNS1_3repE0EEENS1_36merge_oddeven_config_static_selectorELNS0_4arch9wavefront6targetE1EEEvSM_.num_agpr, 0
	.set _ZN7rocprim17ROCPRIM_400000_NS6detail17trampoline_kernelINS0_14default_configENS1_38merge_sort_block_merge_config_selectorIlNS0_10empty_typeEEEZZNS1_27merge_sort_block_merge_implIS3_PlPS5_mZN2at6native12_GLOBAL__N_124unique_dim_cuda_templateIfEESt5tupleIJNSA_6TensorESF_SF_EERKSF_lbbbEUlllE_EE10hipError_tT0_T1_T2_jT3_P12ihipStream_tbPNSt15iterator_traitsISL_E10value_typeEPNSR_ISM_E10value_typeEPSN_NS1_7vsmem_tEENKUlT_SL_SM_SN_E_clIS8_S8_S9_S9_EESK_S10_SL_SM_SN_EUlS10_E1_NS1_11comp_targetILNS1_3genE2ELNS1_11target_archE906ELNS1_3gpuE6ELNS1_3repE0EEENS1_36merge_oddeven_config_static_selectorELNS0_4arch9wavefront6targetE1EEEvSM_.numbered_sgpr, 0
	.set _ZN7rocprim17ROCPRIM_400000_NS6detail17trampoline_kernelINS0_14default_configENS1_38merge_sort_block_merge_config_selectorIlNS0_10empty_typeEEEZZNS1_27merge_sort_block_merge_implIS3_PlPS5_mZN2at6native12_GLOBAL__N_124unique_dim_cuda_templateIfEESt5tupleIJNSA_6TensorESF_SF_EERKSF_lbbbEUlllE_EE10hipError_tT0_T1_T2_jT3_P12ihipStream_tbPNSt15iterator_traitsISL_E10value_typeEPNSR_ISM_E10value_typeEPSN_NS1_7vsmem_tEENKUlT_SL_SM_SN_E_clIS8_S8_S9_S9_EESK_S10_SL_SM_SN_EUlS10_E1_NS1_11comp_targetILNS1_3genE2ELNS1_11target_archE906ELNS1_3gpuE6ELNS1_3repE0EEENS1_36merge_oddeven_config_static_selectorELNS0_4arch9wavefront6targetE1EEEvSM_.num_named_barrier, 0
	.set _ZN7rocprim17ROCPRIM_400000_NS6detail17trampoline_kernelINS0_14default_configENS1_38merge_sort_block_merge_config_selectorIlNS0_10empty_typeEEEZZNS1_27merge_sort_block_merge_implIS3_PlPS5_mZN2at6native12_GLOBAL__N_124unique_dim_cuda_templateIfEESt5tupleIJNSA_6TensorESF_SF_EERKSF_lbbbEUlllE_EE10hipError_tT0_T1_T2_jT3_P12ihipStream_tbPNSt15iterator_traitsISL_E10value_typeEPNSR_ISM_E10value_typeEPSN_NS1_7vsmem_tEENKUlT_SL_SM_SN_E_clIS8_S8_S9_S9_EESK_S10_SL_SM_SN_EUlS10_E1_NS1_11comp_targetILNS1_3genE2ELNS1_11target_archE906ELNS1_3gpuE6ELNS1_3repE0EEENS1_36merge_oddeven_config_static_selectorELNS0_4arch9wavefront6targetE1EEEvSM_.private_seg_size, 0
	.set _ZN7rocprim17ROCPRIM_400000_NS6detail17trampoline_kernelINS0_14default_configENS1_38merge_sort_block_merge_config_selectorIlNS0_10empty_typeEEEZZNS1_27merge_sort_block_merge_implIS3_PlPS5_mZN2at6native12_GLOBAL__N_124unique_dim_cuda_templateIfEESt5tupleIJNSA_6TensorESF_SF_EERKSF_lbbbEUlllE_EE10hipError_tT0_T1_T2_jT3_P12ihipStream_tbPNSt15iterator_traitsISL_E10value_typeEPNSR_ISM_E10value_typeEPSN_NS1_7vsmem_tEENKUlT_SL_SM_SN_E_clIS8_S8_S9_S9_EESK_S10_SL_SM_SN_EUlS10_E1_NS1_11comp_targetILNS1_3genE2ELNS1_11target_archE906ELNS1_3gpuE6ELNS1_3repE0EEENS1_36merge_oddeven_config_static_selectorELNS0_4arch9wavefront6targetE1EEEvSM_.uses_vcc, 0
	.set _ZN7rocprim17ROCPRIM_400000_NS6detail17trampoline_kernelINS0_14default_configENS1_38merge_sort_block_merge_config_selectorIlNS0_10empty_typeEEEZZNS1_27merge_sort_block_merge_implIS3_PlPS5_mZN2at6native12_GLOBAL__N_124unique_dim_cuda_templateIfEESt5tupleIJNSA_6TensorESF_SF_EERKSF_lbbbEUlllE_EE10hipError_tT0_T1_T2_jT3_P12ihipStream_tbPNSt15iterator_traitsISL_E10value_typeEPNSR_ISM_E10value_typeEPSN_NS1_7vsmem_tEENKUlT_SL_SM_SN_E_clIS8_S8_S9_S9_EESK_S10_SL_SM_SN_EUlS10_E1_NS1_11comp_targetILNS1_3genE2ELNS1_11target_archE906ELNS1_3gpuE6ELNS1_3repE0EEENS1_36merge_oddeven_config_static_selectorELNS0_4arch9wavefront6targetE1EEEvSM_.uses_flat_scratch, 0
	.set _ZN7rocprim17ROCPRIM_400000_NS6detail17trampoline_kernelINS0_14default_configENS1_38merge_sort_block_merge_config_selectorIlNS0_10empty_typeEEEZZNS1_27merge_sort_block_merge_implIS3_PlPS5_mZN2at6native12_GLOBAL__N_124unique_dim_cuda_templateIfEESt5tupleIJNSA_6TensorESF_SF_EERKSF_lbbbEUlllE_EE10hipError_tT0_T1_T2_jT3_P12ihipStream_tbPNSt15iterator_traitsISL_E10value_typeEPNSR_ISM_E10value_typeEPSN_NS1_7vsmem_tEENKUlT_SL_SM_SN_E_clIS8_S8_S9_S9_EESK_S10_SL_SM_SN_EUlS10_E1_NS1_11comp_targetILNS1_3genE2ELNS1_11target_archE906ELNS1_3gpuE6ELNS1_3repE0EEENS1_36merge_oddeven_config_static_selectorELNS0_4arch9wavefront6targetE1EEEvSM_.has_dyn_sized_stack, 0
	.set _ZN7rocprim17ROCPRIM_400000_NS6detail17trampoline_kernelINS0_14default_configENS1_38merge_sort_block_merge_config_selectorIlNS0_10empty_typeEEEZZNS1_27merge_sort_block_merge_implIS3_PlPS5_mZN2at6native12_GLOBAL__N_124unique_dim_cuda_templateIfEESt5tupleIJNSA_6TensorESF_SF_EERKSF_lbbbEUlllE_EE10hipError_tT0_T1_T2_jT3_P12ihipStream_tbPNSt15iterator_traitsISL_E10value_typeEPNSR_ISM_E10value_typeEPSN_NS1_7vsmem_tEENKUlT_SL_SM_SN_E_clIS8_S8_S9_S9_EESK_S10_SL_SM_SN_EUlS10_E1_NS1_11comp_targetILNS1_3genE2ELNS1_11target_archE906ELNS1_3gpuE6ELNS1_3repE0EEENS1_36merge_oddeven_config_static_selectorELNS0_4arch9wavefront6targetE1EEEvSM_.has_recursion, 0
	.set _ZN7rocprim17ROCPRIM_400000_NS6detail17trampoline_kernelINS0_14default_configENS1_38merge_sort_block_merge_config_selectorIlNS0_10empty_typeEEEZZNS1_27merge_sort_block_merge_implIS3_PlPS5_mZN2at6native12_GLOBAL__N_124unique_dim_cuda_templateIfEESt5tupleIJNSA_6TensorESF_SF_EERKSF_lbbbEUlllE_EE10hipError_tT0_T1_T2_jT3_P12ihipStream_tbPNSt15iterator_traitsISL_E10value_typeEPNSR_ISM_E10value_typeEPSN_NS1_7vsmem_tEENKUlT_SL_SM_SN_E_clIS8_S8_S9_S9_EESK_S10_SL_SM_SN_EUlS10_E1_NS1_11comp_targetILNS1_3genE2ELNS1_11target_archE906ELNS1_3gpuE6ELNS1_3repE0EEENS1_36merge_oddeven_config_static_selectorELNS0_4arch9wavefront6targetE1EEEvSM_.has_indirect_call, 0
	.section	.AMDGPU.csdata,"",@progbits
; Kernel info:
; codeLenInByte = 0
; TotalNumSgprs: 6
; NumVgprs: 0
; NumAgprs: 0
; TotalNumVgprs: 0
; ScratchSize: 0
; MemoryBound: 0
; FloatMode: 240
; IeeeMode: 1
; LDSByteSize: 0 bytes/workgroup (compile time only)
; SGPRBlocks: 0
; VGPRBlocks: 0
; NumSGPRsForWavesPerEU: 6
; NumVGPRsForWavesPerEU: 1
; AccumOffset: 4
; Occupancy: 8
; WaveLimiterHint : 0
; COMPUTE_PGM_RSRC2:SCRATCH_EN: 0
; COMPUTE_PGM_RSRC2:USER_SGPR: 2
; COMPUTE_PGM_RSRC2:TRAP_HANDLER: 0
; COMPUTE_PGM_RSRC2:TGID_X_EN: 1
; COMPUTE_PGM_RSRC2:TGID_Y_EN: 0
; COMPUTE_PGM_RSRC2:TGID_Z_EN: 0
; COMPUTE_PGM_RSRC2:TIDIG_COMP_CNT: 0
; COMPUTE_PGM_RSRC3_GFX90A:ACCUM_OFFSET: 0
; COMPUTE_PGM_RSRC3_GFX90A:TG_SPLIT: 0
	.section	.text._ZN7rocprim17ROCPRIM_400000_NS6detail17trampoline_kernelINS0_14default_configENS1_38merge_sort_block_merge_config_selectorIlNS0_10empty_typeEEEZZNS1_27merge_sort_block_merge_implIS3_PlPS5_mZN2at6native12_GLOBAL__N_124unique_dim_cuda_templateIfEESt5tupleIJNSA_6TensorESF_SF_EERKSF_lbbbEUlllE_EE10hipError_tT0_T1_T2_jT3_P12ihipStream_tbPNSt15iterator_traitsISL_E10value_typeEPNSR_ISM_E10value_typeEPSN_NS1_7vsmem_tEENKUlT_SL_SM_SN_E_clIS8_S8_S9_S9_EESK_S10_SL_SM_SN_EUlS10_E1_NS1_11comp_targetILNS1_3genE9ELNS1_11target_archE1100ELNS1_3gpuE3ELNS1_3repE0EEENS1_36merge_oddeven_config_static_selectorELNS0_4arch9wavefront6targetE1EEEvSM_,"axG",@progbits,_ZN7rocprim17ROCPRIM_400000_NS6detail17trampoline_kernelINS0_14default_configENS1_38merge_sort_block_merge_config_selectorIlNS0_10empty_typeEEEZZNS1_27merge_sort_block_merge_implIS3_PlPS5_mZN2at6native12_GLOBAL__N_124unique_dim_cuda_templateIfEESt5tupleIJNSA_6TensorESF_SF_EERKSF_lbbbEUlllE_EE10hipError_tT0_T1_T2_jT3_P12ihipStream_tbPNSt15iterator_traitsISL_E10value_typeEPNSR_ISM_E10value_typeEPSN_NS1_7vsmem_tEENKUlT_SL_SM_SN_E_clIS8_S8_S9_S9_EESK_S10_SL_SM_SN_EUlS10_E1_NS1_11comp_targetILNS1_3genE9ELNS1_11target_archE1100ELNS1_3gpuE3ELNS1_3repE0EEENS1_36merge_oddeven_config_static_selectorELNS0_4arch9wavefront6targetE1EEEvSM_,comdat
	.globl	_ZN7rocprim17ROCPRIM_400000_NS6detail17trampoline_kernelINS0_14default_configENS1_38merge_sort_block_merge_config_selectorIlNS0_10empty_typeEEEZZNS1_27merge_sort_block_merge_implIS3_PlPS5_mZN2at6native12_GLOBAL__N_124unique_dim_cuda_templateIfEESt5tupleIJNSA_6TensorESF_SF_EERKSF_lbbbEUlllE_EE10hipError_tT0_T1_T2_jT3_P12ihipStream_tbPNSt15iterator_traitsISL_E10value_typeEPNSR_ISM_E10value_typeEPSN_NS1_7vsmem_tEENKUlT_SL_SM_SN_E_clIS8_S8_S9_S9_EESK_S10_SL_SM_SN_EUlS10_E1_NS1_11comp_targetILNS1_3genE9ELNS1_11target_archE1100ELNS1_3gpuE3ELNS1_3repE0EEENS1_36merge_oddeven_config_static_selectorELNS0_4arch9wavefront6targetE1EEEvSM_ ; -- Begin function _ZN7rocprim17ROCPRIM_400000_NS6detail17trampoline_kernelINS0_14default_configENS1_38merge_sort_block_merge_config_selectorIlNS0_10empty_typeEEEZZNS1_27merge_sort_block_merge_implIS3_PlPS5_mZN2at6native12_GLOBAL__N_124unique_dim_cuda_templateIfEESt5tupleIJNSA_6TensorESF_SF_EERKSF_lbbbEUlllE_EE10hipError_tT0_T1_T2_jT3_P12ihipStream_tbPNSt15iterator_traitsISL_E10value_typeEPNSR_ISM_E10value_typeEPSN_NS1_7vsmem_tEENKUlT_SL_SM_SN_E_clIS8_S8_S9_S9_EESK_S10_SL_SM_SN_EUlS10_E1_NS1_11comp_targetILNS1_3genE9ELNS1_11target_archE1100ELNS1_3gpuE3ELNS1_3repE0EEENS1_36merge_oddeven_config_static_selectorELNS0_4arch9wavefront6targetE1EEEvSM_
	.p2align	8
	.type	_ZN7rocprim17ROCPRIM_400000_NS6detail17trampoline_kernelINS0_14default_configENS1_38merge_sort_block_merge_config_selectorIlNS0_10empty_typeEEEZZNS1_27merge_sort_block_merge_implIS3_PlPS5_mZN2at6native12_GLOBAL__N_124unique_dim_cuda_templateIfEESt5tupleIJNSA_6TensorESF_SF_EERKSF_lbbbEUlllE_EE10hipError_tT0_T1_T2_jT3_P12ihipStream_tbPNSt15iterator_traitsISL_E10value_typeEPNSR_ISM_E10value_typeEPSN_NS1_7vsmem_tEENKUlT_SL_SM_SN_E_clIS8_S8_S9_S9_EESK_S10_SL_SM_SN_EUlS10_E1_NS1_11comp_targetILNS1_3genE9ELNS1_11target_archE1100ELNS1_3gpuE3ELNS1_3repE0EEENS1_36merge_oddeven_config_static_selectorELNS0_4arch9wavefront6targetE1EEEvSM_,@function
_ZN7rocprim17ROCPRIM_400000_NS6detail17trampoline_kernelINS0_14default_configENS1_38merge_sort_block_merge_config_selectorIlNS0_10empty_typeEEEZZNS1_27merge_sort_block_merge_implIS3_PlPS5_mZN2at6native12_GLOBAL__N_124unique_dim_cuda_templateIfEESt5tupleIJNSA_6TensorESF_SF_EERKSF_lbbbEUlllE_EE10hipError_tT0_T1_T2_jT3_P12ihipStream_tbPNSt15iterator_traitsISL_E10value_typeEPNSR_ISM_E10value_typeEPSN_NS1_7vsmem_tEENKUlT_SL_SM_SN_E_clIS8_S8_S9_S9_EESK_S10_SL_SM_SN_EUlS10_E1_NS1_11comp_targetILNS1_3genE9ELNS1_11target_archE1100ELNS1_3gpuE3ELNS1_3repE0EEENS1_36merge_oddeven_config_static_selectorELNS0_4arch9wavefront6targetE1EEEvSM_: ; @_ZN7rocprim17ROCPRIM_400000_NS6detail17trampoline_kernelINS0_14default_configENS1_38merge_sort_block_merge_config_selectorIlNS0_10empty_typeEEEZZNS1_27merge_sort_block_merge_implIS3_PlPS5_mZN2at6native12_GLOBAL__N_124unique_dim_cuda_templateIfEESt5tupleIJNSA_6TensorESF_SF_EERKSF_lbbbEUlllE_EE10hipError_tT0_T1_T2_jT3_P12ihipStream_tbPNSt15iterator_traitsISL_E10value_typeEPNSR_ISM_E10value_typeEPSN_NS1_7vsmem_tEENKUlT_SL_SM_SN_E_clIS8_S8_S9_S9_EESK_S10_SL_SM_SN_EUlS10_E1_NS1_11comp_targetILNS1_3genE9ELNS1_11target_archE1100ELNS1_3gpuE3ELNS1_3repE0EEENS1_36merge_oddeven_config_static_selectorELNS0_4arch9wavefront6targetE1EEEvSM_
; %bb.0:
	.section	.rodata,"a",@progbits
	.p2align	6, 0x0
	.amdhsa_kernel _ZN7rocprim17ROCPRIM_400000_NS6detail17trampoline_kernelINS0_14default_configENS1_38merge_sort_block_merge_config_selectorIlNS0_10empty_typeEEEZZNS1_27merge_sort_block_merge_implIS3_PlPS5_mZN2at6native12_GLOBAL__N_124unique_dim_cuda_templateIfEESt5tupleIJNSA_6TensorESF_SF_EERKSF_lbbbEUlllE_EE10hipError_tT0_T1_T2_jT3_P12ihipStream_tbPNSt15iterator_traitsISL_E10value_typeEPNSR_ISM_E10value_typeEPSN_NS1_7vsmem_tEENKUlT_SL_SM_SN_E_clIS8_S8_S9_S9_EESK_S10_SL_SM_SN_EUlS10_E1_NS1_11comp_targetILNS1_3genE9ELNS1_11target_archE1100ELNS1_3gpuE3ELNS1_3repE0EEENS1_36merge_oddeven_config_static_selectorELNS0_4arch9wavefront6targetE1EEEvSM_
		.amdhsa_group_segment_fixed_size 0
		.amdhsa_private_segment_fixed_size 0
		.amdhsa_kernarg_size 64
		.amdhsa_user_sgpr_count 2
		.amdhsa_user_sgpr_dispatch_ptr 0
		.amdhsa_user_sgpr_queue_ptr 0
		.amdhsa_user_sgpr_kernarg_segment_ptr 1
		.amdhsa_user_sgpr_dispatch_id 0
		.amdhsa_user_sgpr_kernarg_preload_length 0
		.amdhsa_user_sgpr_kernarg_preload_offset 0
		.amdhsa_user_sgpr_private_segment_size 0
		.amdhsa_uses_dynamic_stack 0
		.amdhsa_enable_private_segment 0
		.amdhsa_system_sgpr_workgroup_id_x 1
		.amdhsa_system_sgpr_workgroup_id_y 0
		.amdhsa_system_sgpr_workgroup_id_z 0
		.amdhsa_system_sgpr_workgroup_info 0
		.amdhsa_system_vgpr_workitem_id 0
		.amdhsa_next_free_vgpr 1
		.amdhsa_next_free_sgpr 0
		.amdhsa_accum_offset 4
		.amdhsa_reserve_vcc 0
		.amdhsa_float_round_mode_32 0
		.amdhsa_float_round_mode_16_64 0
		.amdhsa_float_denorm_mode_32 3
		.amdhsa_float_denorm_mode_16_64 3
		.amdhsa_dx10_clamp 1
		.amdhsa_ieee_mode 1
		.amdhsa_fp16_overflow 0
		.amdhsa_tg_split 0
		.amdhsa_exception_fp_ieee_invalid_op 0
		.amdhsa_exception_fp_denorm_src 0
		.amdhsa_exception_fp_ieee_div_zero 0
		.amdhsa_exception_fp_ieee_overflow 0
		.amdhsa_exception_fp_ieee_underflow 0
		.amdhsa_exception_fp_ieee_inexact 0
		.amdhsa_exception_int_div_zero 0
	.end_amdhsa_kernel
	.section	.text._ZN7rocprim17ROCPRIM_400000_NS6detail17trampoline_kernelINS0_14default_configENS1_38merge_sort_block_merge_config_selectorIlNS0_10empty_typeEEEZZNS1_27merge_sort_block_merge_implIS3_PlPS5_mZN2at6native12_GLOBAL__N_124unique_dim_cuda_templateIfEESt5tupleIJNSA_6TensorESF_SF_EERKSF_lbbbEUlllE_EE10hipError_tT0_T1_T2_jT3_P12ihipStream_tbPNSt15iterator_traitsISL_E10value_typeEPNSR_ISM_E10value_typeEPSN_NS1_7vsmem_tEENKUlT_SL_SM_SN_E_clIS8_S8_S9_S9_EESK_S10_SL_SM_SN_EUlS10_E1_NS1_11comp_targetILNS1_3genE9ELNS1_11target_archE1100ELNS1_3gpuE3ELNS1_3repE0EEENS1_36merge_oddeven_config_static_selectorELNS0_4arch9wavefront6targetE1EEEvSM_,"axG",@progbits,_ZN7rocprim17ROCPRIM_400000_NS6detail17trampoline_kernelINS0_14default_configENS1_38merge_sort_block_merge_config_selectorIlNS0_10empty_typeEEEZZNS1_27merge_sort_block_merge_implIS3_PlPS5_mZN2at6native12_GLOBAL__N_124unique_dim_cuda_templateIfEESt5tupleIJNSA_6TensorESF_SF_EERKSF_lbbbEUlllE_EE10hipError_tT0_T1_T2_jT3_P12ihipStream_tbPNSt15iterator_traitsISL_E10value_typeEPNSR_ISM_E10value_typeEPSN_NS1_7vsmem_tEENKUlT_SL_SM_SN_E_clIS8_S8_S9_S9_EESK_S10_SL_SM_SN_EUlS10_E1_NS1_11comp_targetILNS1_3genE9ELNS1_11target_archE1100ELNS1_3gpuE3ELNS1_3repE0EEENS1_36merge_oddeven_config_static_selectorELNS0_4arch9wavefront6targetE1EEEvSM_,comdat
.Lfunc_end902:
	.size	_ZN7rocprim17ROCPRIM_400000_NS6detail17trampoline_kernelINS0_14default_configENS1_38merge_sort_block_merge_config_selectorIlNS0_10empty_typeEEEZZNS1_27merge_sort_block_merge_implIS3_PlPS5_mZN2at6native12_GLOBAL__N_124unique_dim_cuda_templateIfEESt5tupleIJNSA_6TensorESF_SF_EERKSF_lbbbEUlllE_EE10hipError_tT0_T1_T2_jT3_P12ihipStream_tbPNSt15iterator_traitsISL_E10value_typeEPNSR_ISM_E10value_typeEPSN_NS1_7vsmem_tEENKUlT_SL_SM_SN_E_clIS8_S8_S9_S9_EESK_S10_SL_SM_SN_EUlS10_E1_NS1_11comp_targetILNS1_3genE9ELNS1_11target_archE1100ELNS1_3gpuE3ELNS1_3repE0EEENS1_36merge_oddeven_config_static_selectorELNS0_4arch9wavefront6targetE1EEEvSM_, .Lfunc_end902-_ZN7rocprim17ROCPRIM_400000_NS6detail17trampoline_kernelINS0_14default_configENS1_38merge_sort_block_merge_config_selectorIlNS0_10empty_typeEEEZZNS1_27merge_sort_block_merge_implIS3_PlPS5_mZN2at6native12_GLOBAL__N_124unique_dim_cuda_templateIfEESt5tupleIJNSA_6TensorESF_SF_EERKSF_lbbbEUlllE_EE10hipError_tT0_T1_T2_jT3_P12ihipStream_tbPNSt15iterator_traitsISL_E10value_typeEPNSR_ISM_E10value_typeEPSN_NS1_7vsmem_tEENKUlT_SL_SM_SN_E_clIS8_S8_S9_S9_EESK_S10_SL_SM_SN_EUlS10_E1_NS1_11comp_targetILNS1_3genE9ELNS1_11target_archE1100ELNS1_3gpuE3ELNS1_3repE0EEENS1_36merge_oddeven_config_static_selectorELNS0_4arch9wavefront6targetE1EEEvSM_
                                        ; -- End function
	.set _ZN7rocprim17ROCPRIM_400000_NS6detail17trampoline_kernelINS0_14default_configENS1_38merge_sort_block_merge_config_selectorIlNS0_10empty_typeEEEZZNS1_27merge_sort_block_merge_implIS3_PlPS5_mZN2at6native12_GLOBAL__N_124unique_dim_cuda_templateIfEESt5tupleIJNSA_6TensorESF_SF_EERKSF_lbbbEUlllE_EE10hipError_tT0_T1_T2_jT3_P12ihipStream_tbPNSt15iterator_traitsISL_E10value_typeEPNSR_ISM_E10value_typeEPSN_NS1_7vsmem_tEENKUlT_SL_SM_SN_E_clIS8_S8_S9_S9_EESK_S10_SL_SM_SN_EUlS10_E1_NS1_11comp_targetILNS1_3genE9ELNS1_11target_archE1100ELNS1_3gpuE3ELNS1_3repE0EEENS1_36merge_oddeven_config_static_selectorELNS0_4arch9wavefront6targetE1EEEvSM_.num_vgpr, 0
	.set _ZN7rocprim17ROCPRIM_400000_NS6detail17trampoline_kernelINS0_14default_configENS1_38merge_sort_block_merge_config_selectorIlNS0_10empty_typeEEEZZNS1_27merge_sort_block_merge_implIS3_PlPS5_mZN2at6native12_GLOBAL__N_124unique_dim_cuda_templateIfEESt5tupleIJNSA_6TensorESF_SF_EERKSF_lbbbEUlllE_EE10hipError_tT0_T1_T2_jT3_P12ihipStream_tbPNSt15iterator_traitsISL_E10value_typeEPNSR_ISM_E10value_typeEPSN_NS1_7vsmem_tEENKUlT_SL_SM_SN_E_clIS8_S8_S9_S9_EESK_S10_SL_SM_SN_EUlS10_E1_NS1_11comp_targetILNS1_3genE9ELNS1_11target_archE1100ELNS1_3gpuE3ELNS1_3repE0EEENS1_36merge_oddeven_config_static_selectorELNS0_4arch9wavefront6targetE1EEEvSM_.num_agpr, 0
	.set _ZN7rocprim17ROCPRIM_400000_NS6detail17trampoline_kernelINS0_14default_configENS1_38merge_sort_block_merge_config_selectorIlNS0_10empty_typeEEEZZNS1_27merge_sort_block_merge_implIS3_PlPS5_mZN2at6native12_GLOBAL__N_124unique_dim_cuda_templateIfEESt5tupleIJNSA_6TensorESF_SF_EERKSF_lbbbEUlllE_EE10hipError_tT0_T1_T2_jT3_P12ihipStream_tbPNSt15iterator_traitsISL_E10value_typeEPNSR_ISM_E10value_typeEPSN_NS1_7vsmem_tEENKUlT_SL_SM_SN_E_clIS8_S8_S9_S9_EESK_S10_SL_SM_SN_EUlS10_E1_NS1_11comp_targetILNS1_3genE9ELNS1_11target_archE1100ELNS1_3gpuE3ELNS1_3repE0EEENS1_36merge_oddeven_config_static_selectorELNS0_4arch9wavefront6targetE1EEEvSM_.numbered_sgpr, 0
	.set _ZN7rocprim17ROCPRIM_400000_NS6detail17trampoline_kernelINS0_14default_configENS1_38merge_sort_block_merge_config_selectorIlNS0_10empty_typeEEEZZNS1_27merge_sort_block_merge_implIS3_PlPS5_mZN2at6native12_GLOBAL__N_124unique_dim_cuda_templateIfEESt5tupleIJNSA_6TensorESF_SF_EERKSF_lbbbEUlllE_EE10hipError_tT0_T1_T2_jT3_P12ihipStream_tbPNSt15iterator_traitsISL_E10value_typeEPNSR_ISM_E10value_typeEPSN_NS1_7vsmem_tEENKUlT_SL_SM_SN_E_clIS8_S8_S9_S9_EESK_S10_SL_SM_SN_EUlS10_E1_NS1_11comp_targetILNS1_3genE9ELNS1_11target_archE1100ELNS1_3gpuE3ELNS1_3repE0EEENS1_36merge_oddeven_config_static_selectorELNS0_4arch9wavefront6targetE1EEEvSM_.num_named_barrier, 0
	.set _ZN7rocprim17ROCPRIM_400000_NS6detail17trampoline_kernelINS0_14default_configENS1_38merge_sort_block_merge_config_selectorIlNS0_10empty_typeEEEZZNS1_27merge_sort_block_merge_implIS3_PlPS5_mZN2at6native12_GLOBAL__N_124unique_dim_cuda_templateIfEESt5tupleIJNSA_6TensorESF_SF_EERKSF_lbbbEUlllE_EE10hipError_tT0_T1_T2_jT3_P12ihipStream_tbPNSt15iterator_traitsISL_E10value_typeEPNSR_ISM_E10value_typeEPSN_NS1_7vsmem_tEENKUlT_SL_SM_SN_E_clIS8_S8_S9_S9_EESK_S10_SL_SM_SN_EUlS10_E1_NS1_11comp_targetILNS1_3genE9ELNS1_11target_archE1100ELNS1_3gpuE3ELNS1_3repE0EEENS1_36merge_oddeven_config_static_selectorELNS0_4arch9wavefront6targetE1EEEvSM_.private_seg_size, 0
	.set _ZN7rocprim17ROCPRIM_400000_NS6detail17trampoline_kernelINS0_14default_configENS1_38merge_sort_block_merge_config_selectorIlNS0_10empty_typeEEEZZNS1_27merge_sort_block_merge_implIS3_PlPS5_mZN2at6native12_GLOBAL__N_124unique_dim_cuda_templateIfEESt5tupleIJNSA_6TensorESF_SF_EERKSF_lbbbEUlllE_EE10hipError_tT0_T1_T2_jT3_P12ihipStream_tbPNSt15iterator_traitsISL_E10value_typeEPNSR_ISM_E10value_typeEPSN_NS1_7vsmem_tEENKUlT_SL_SM_SN_E_clIS8_S8_S9_S9_EESK_S10_SL_SM_SN_EUlS10_E1_NS1_11comp_targetILNS1_3genE9ELNS1_11target_archE1100ELNS1_3gpuE3ELNS1_3repE0EEENS1_36merge_oddeven_config_static_selectorELNS0_4arch9wavefront6targetE1EEEvSM_.uses_vcc, 0
	.set _ZN7rocprim17ROCPRIM_400000_NS6detail17trampoline_kernelINS0_14default_configENS1_38merge_sort_block_merge_config_selectorIlNS0_10empty_typeEEEZZNS1_27merge_sort_block_merge_implIS3_PlPS5_mZN2at6native12_GLOBAL__N_124unique_dim_cuda_templateIfEESt5tupleIJNSA_6TensorESF_SF_EERKSF_lbbbEUlllE_EE10hipError_tT0_T1_T2_jT3_P12ihipStream_tbPNSt15iterator_traitsISL_E10value_typeEPNSR_ISM_E10value_typeEPSN_NS1_7vsmem_tEENKUlT_SL_SM_SN_E_clIS8_S8_S9_S9_EESK_S10_SL_SM_SN_EUlS10_E1_NS1_11comp_targetILNS1_3genE9ELNS1_11target_archE1100ELNS1_3gpuE3ELNS1_3repE0EEENS1_36merge_oddeven_config_static_selectorELNS0_4arch9wavefront6targetE1EEEvSM_.uses_flat_scratch, 0
	.set _ZN7rocprim17ROCPRIM_400000_NS6detail17trampoline_kernelINS0_14default_configENS1_38merge_sort_block_merge_config_selectorIlNS0_10empty_typeEEEZZNS1_27merge_sort_block_merge_implIS3_PlPS5_mZN2at6native12_GLOBAL__N_124unique_dim_cuda_templateIfEESt5tupleIJNSA_6TensorESF_SF_EERKSF_lbbbEUlllE_EE10hipError_tT0_T1_T2_jT3_P12ihipStream_tbPNSt15iterator_traitsISL_E10value_typeEPNSR_ISM_E10value_typeEPSN_NS1_7vsmem_tEENKUlT_SL_SM_SN_E_clIS8_S8_S9_S9_EESK_S10_SL_SM_SN_EUlS10_E1_NS1_11comp_targetILNS1_3genE9ELNS1_11target_archE1100ELNS1_3gpuE3ELNS1_3repE0EEENS1_36merge_oddeven_config_static_selectorELNS0_4arch9wavefront6targetE1EEEvSM_.has_dyn_sized_stack, 0
	.set _ZN7rocprim17ROCPRIM_400000_NS6detail17trampoline_kernelINS0_14default_configENS1_38merge_sort_block_merge_config_selectorIlNS0_10empty_typeEEEZZNS1_27merge_sort_block_merge_implIS3_PlPS5_mZN2at6native12_GLOBAL__N_124unique_dim_cuda_templateIfEESt5tupleIJNSA_6TensorESF_SF_EERKSF_lbbbEUlllE_EE10hipError_tT0_T1_T2_jT3_P12ihipStream_tbPNSt15iterator_traitsISL_E10value_typeEPNSR_ISM_E10value_typeEPSN_NS1_7vsmem_tEENKUlT_SL_SM_SN_E_clIS8_S8_S9_S9_EESK_S10_SL_SM_SN_EUlS10_E1_NS1_11comp_targetILNS1_3genE9ELNS1_11target_archE1100ELNS1_3gpuE3ELNS1_3repE0EEENS1_36merge_oddeven_config_static_selectorELNS0_4arch9wavefront6targetE1EEEvSM_.has_recursion, 0
	.set _ZN7rocprim17ROCPRIM_400000_NS6detail17trampoline_kernelINS0_14default_configENS1_38merge_sort_block_merge_config_selectorIlNS0_10empty_typeEEEZZNS1_27merge_sort_block_merge_implIS3_PlPS5_mZN2at6native12_GLOBAL__N_124unique_dim_cuda_templateIfEESt5tupleIJNSA_6TensorESF_SF_EERKSF_lbbbEUlllE_EE10hipError_tT0_T1_T2_jT3_P12ihipStream_tbPNSt15iterator_traitsISL_E10value_typeEPNSR_ISM_E10value_typeEPSN_NS1_7vsmem_tEENKUlT_SL_SM_SN_E_clIS8_S8_S9_S9_EESK_S10_SL_SM_SN_EUlS10_E1_NS1_11comp_targetILNS1_3genE9ELNS1_11target_archE1100ELNS1_3gpuE3ELNS1_3repE0EEENS1_36merge_oddeven_config_static_selectorELNS0_4arch9wavefront6targetE1EEEvSM_.has_indirect_call, 0
	.section	.AMDGPU.csdata,"",@progbits
; Kernel info:
; codeLenInByte = 0
; TotalNumSgprs: 6
; NumVgprs: 0
; NumAgprs: 0
; TotalNumVgprs: 0
; ScratchSize: 0
; MemoryBound: 0
; FloatMode: 240
; IeeeMode: 1
; LDSByteSize: 0 bytes/workgroup (compile time only)
; SGPRBlocks: 0
; VGPRBlocks: 0
; NumSGPRsForWavesPerEU: 6
; NumVGPRsForWavesPerEU: 1
; AccumOffset: 4
; Occupancy: 8
; WaveLimiterHint : 0
; COMPUTE_PGM_RSRC2:SCRATCH_EN: 0
; COMPUTE_PGM_RSRC2:USER_SGPR: 2
; COMPUTE_PGM_RSRC2:TRAP_HANDLER: 0
; COMPUTE_PGM_RSRC2:TGID_X_EN: 1
; COMPUTE_PGM_RSRC2:TGID_Y_EN: 0
; COMPUTE_PGM_RSRC2:TGID_Z_EN: 0
; COMPUTE_PGM_RSRC2:TIDIG_COMP_CNT: 0
; COMPUTE_PGM_RSRC3_GFX90A:ACCUM_OFFSET: 0
; COMPUTE_PGM_RSRC3_GFX90A:TG_SPLIT: 0
	.section	.text._ZN7rocprim17ROCPRIM_400000_NS6detail17trampoline_kernelINS0_14default_configENS1_38merge_sort_block_merge_config_selectorIlNS0_10empty_typeEEEZZNS1_27merge_sort_block_merge_implIS3_PlPS5_mZN2at6native12_GLOBAL__N_124unique_dim_cuda_templateIfEESt5tupleIJNSA_6TensorESF_SF_EERKSF_lbbbEUlllE_EE10hipError_tT0_T1_T2_jT3_P12ihipStream_tbPNSt15iterator_traitsISL_E10value_typeEPNSR_ISM_E10value_typeEPSN_NS1_7vsmem_tEENKUlT_SL_SM_SN_E_clIS8_S8_S9_S9_EESK_S10_SL_SM_SN_EUlS10_E1_NS1_11comp_targetILNS1_3genE8ELNS1_11target_archE1030ELNS1_3gpuE2ELNS1_3repE0EEENS1_36merge_oddeven_config_static_selectorELNS0_4arch9wavefront6targetE1EEEvSM_,"axG",@progbits,_ZN7rocprim17ROCPRIM_400000_NS6detail17trampoline_kernelINS0_14default_configENS1_38merge_sort_block_merge_config_selectorIlNS0_10empty_typeEEEZZNS1_27merge_sort_block_merge_implIS3_PlPS5_mZN2at6native12_GLOBAL__N_124unique_dim_cuda_templateIfEESt5tupleIJNSA_6TensorESF_SF_EERKSF_lbbbEUlllE_EE10hipError_tT0_T1_T2_jT3_P12ihipStream_tbPNSt15iterator_traitsISL_E10value_typeEPNSR_ISM_E10value_typeEPSN_NS1_7vsmem_tEENKUlT_SL_SM_SN_E_clIS8_S8_S9_S9_EESK_S10_SL_SM_SN_EUlS10_E1_NS1_11comp_targetILNS1_3genE8ELNS1_11target_archE1030ELNS1_3gpuE2ELNS1_3repE0EEENS1_36merge_oddeven_config_static_selectorELNS0_4arch9wavefront6targetE1EEEvSM_,comdat
	.globl	_ZN7rocprim17ROCPRIM_400000_NS6detail17trampoline_kernelINS0_14default_configENS1_38merge_sort_block_merge_config_selectorIlNS0_10empty_typeEEEZZNS1_27merge_sort_block_merge_implIS3_PlPS5_mZN2at6native12_GLOBAL__N_124unique_dim_cuda_templateIfEESt5tupleIJNSA_6TensorESF_SF_EERKSF_lbbbEUlllE_EE10hipError_tT0_T1_T2_jT3_P12ihipStream_tbPNSt15iterator_traitsISL_E10value_typeEPNSR_ISM_E10value_typeEPSN_NS1_7vsmem_tEENKUlT_SL_SM_SN_E_clIS8_S8_S9_S9_EESK_S10_SL_SM_SN_EUlS10_E1_NS1_11comp_targetILNS1_3genE8ELNS1_11target_archE1030ELNS1_3gpuE2ELNS1_3repE0EEENS1_36merge_oddeven_config_static_selectorELNS0_4arch9wavefront6targetE1EEEvSM_ ; -- Begin function _ZN7rocprim17ROCPRIM_400000_NS6detail17trampoline_kernelINS0_14default_configENS1_38merge_sort_block_merge_config_selectorIlNS0_10empty_typeEEEZZNS1_27merge_sort_block_merge_implIS3_PlPS5_mZN2at6native12_GLOBAL__N_124unique_dim_cuda_templateIfEESt5tupleIJNSA_6TensorESF_SF_EERKSF_lbbbEUlllE_EE10hipError_tT0_T1_T2_jT3_P12ihipStream_tbPNSt15iterator_traitsISL_E10value_typeEPNSR_ISM_E10value_typeEPSN_NS1_7vsmem_tEENKUlT_SL_SM_SN_E_clIS8_S8_S9_S9_EESK_S10_SL_SM_SN_EUlS10_E1_NS1_11comp_targetILNS1_3genE8ELNS1_11target_archE1030ELNS1_3gpuE2ELNS1_3repE0EEENS1_36merge_oddeven_config_static_selectorELNS0_4arch9wavefront6targetE1EEEvSM_
	.p2align	8
	.type	_ZN7rocprim17ROCPRIM_400000_NS6detail17trampoline_kernelINS0_14default_configENS1_38merge_sort_block_merge_config_selectorIlNS0_10empty_typeEEEZZNS1_27merge_sort_block_merge_implIS3_PlPS5_mZN2at6native12_GLOBAL__N_124unique_dim_cuda_templateIfEESt5tupleIJNSA_6TensorESF_SF_EERKSF_lbbbEUlllE_EE10hipError_tT0_T1_T2_jT3_P12ihipStream_tbPNSt15iterator_traitsISL_E10value_typeEPNSR_ISM_E10value_typeEPSN_NS1_7vsmem_tEENKUlT_SL_SM_SN_E_clIS8_S8_S9_S9_EESK_S10_SL_SM_SN_EUlS10_E1_NS1_11comp_targetILNS1_3genE8ELNS1_11target_archE1030ELNS1_3gpuE2ELNS1_3repE0EEENS1_36merge_oddeven_config_static_selectorELNS0_4arch9wavefront6targetE1EEEvSM_,@function
_ZN7rocprim17ROCPRIM_400000_NS6detail17trampoline_kernelINS0_14default_configENS1_38merge_sort_block_merge_config_selectorIlNS0_10empty_typeEEEZZNS1_27merge_sort_block_merge_implIS3_PlPS5_mZN2at6native12_GLOBAL__N_124unique_dim_cuda_templateIfEESt5tupleIJNSA_6TensorESF_SF_EERKSF_lbbbEUlllE_EE10hipError_tT0_T1_T2_jT3_P12ihipStream_tbPNSt15iterator_traitsISL_E10value_typeEPNSR_ISM_E10value_typeEPSN_NS1_7vsmem_tEENKUlT_SL_SM_SN_E_clIS8_S8_S9_S9_EESK_S10_SL_SM_SN_EUlS10_E1_NS1_11comp_targetILNS1_3genE8ELNS1_11target_archE1030ELNS1_3gpuE2ELNS1_3repE0EEENS1_36merge_oddeven_config_static_selectorELNS0_4arch9wavefront6targetE1EEEvSM_: ; @_ZN7rocprim17ROCPRIM_400000_NS6detail17trampoline_kernelINS0_14default_configENS1_38merge_sort_block_merge_config_selectorIlNS0_10empty_typeEEEZZNS1_27merge_sort_block_merge_implIS3_PlPS5_mZN2at6native12_GLOBAL__N_124unique_dim_cuda_templateIfEESt5tupleIJNSA_6TensorESF_SF_EERKSF_lbbbEUlllE_EE10hipError_tT0_T1_T2_jT3_P12ihipStream_tbPNSt15iterator_traitsISL_E10value_typeEPNSR_ISM_E10value_typeEPSN_NS1_7vsmem_tEENKUlT_SL_SM_SN_E_clIS8_S8_S9_S9_EESK_S10_SL_SM_SN_EUlS10_E1_NS1_11comp_targetILNS1_3genE8ELNS1_11target_archE1030ELNS1_3gpuE2ELNS1_3repE0EEENS1_36merge_oddeven_config_static_selectorELNS0_4arch9wavefront6targetE1EEEvSM_
; %bb.0:
	.section	.rodata,"a",@progbits
	.p2align	6, 0x0
	.amdhsa_kernel _ZN7rocprim17ROCPRIM_400000_NS6detail17trampoline_kernelINS0_14default_configENS1_38merge_sort_block_merge_config_selectorIlNS0_10empty_typeEEEZZNS1_27merge_sort_block_merge_implIS3_PlPS5_mZN2at6native12_GLOBAL__N_124unique_dim_cuda_templateIfEESt5tupleIJNSA_6TensorESF_SF_EERKSF_lbbbEUlllE_EE10hipError_tT0_T1_T2_jT3_P12ihipStream_tbPNSt15iterator_traitsISL_E10value_typeEPNSR_ISM_E10value_typeEPSN_NS1_7vsmem_tEENKUlT_SL_SM_SN_E_clIS8_S8_S9_S9_EESK_S10_SL_SM_SN_EUlS10_E1_NS1_11comp_targetILNS1_3genE8ELNS1_11target_archE1030ELNS1_3gpuE2ELNS1_3repE0EEENS1_36merge_oddeven_config_static_selectorELNS0_4arch9wavefront6targetE1EEEvSM_
		.amdhsa_group_segment_fixed_size 0
		.amdhsa_private_segment_fixed_size 0
		.amdhsa_kernarg_size 64
		.amdhsa_user_sgpr_count 2
		.amdhsa_user_sgpr_dispatch_ptr 0
		.amdhsa_user_sgpr_queue_ptr 0
		.amdhsa_user_sgpr_kernarg_segment_ptr 1
		.amdhsa_user_sgpr_dispatch_id 0
		.amdhsa_user_sgpr_kernarg_preload_length 0
		.amdhsa_user_sgpr_kernarg_preload_offset 0
		.amdhsa_user_sgpr_private_segment_size 0
		.amdhsa_uses_dynamic_stack 0
		.amdhsa_enable_private_segment 0
		.amdhsa_system_sgpr_workgroup_id_x 1
		.amdhsa_system_sgpr_workgroup_id_y 0
		.amdhsa_system_sgpr_workgroup_id_z 0
		.amdhsa_system_sgpr_workgroup_info 0
		.amdhsa_system_vgpr_workitem_id 0
		.amdhsa_next_free_vgpr 1
		.amdhsa_next_free_sgpr 0
		.amdhsa_accum_offset 4
		.amdhsa_reserve_vcc 0
		.amdhsa_float_round_mode_32 0
		.amdhsa_float_round_mode_16_64 0
		.amdhsa_float_denorm_mode_32 3
		.amdhsa_float_denorm_mode_16_64 3
		.amdhsa_dx10_clamp 1
		.amdhsa_ieee_mode 1
		.amdhsa_fp16_overflow 0
		.amdhsa_tg_split 0
		.amdhsa_exception_fp_ieee_invalid_op 0
		.amdhsa_exception_fp_denorm_src 0
		.amdhsa_exception_fp_ieee_div_zero 0
		.amdhsa_exception_fp_ieee_overflow 0
		.amdhsa_exception_fp_ieee_underflow 0
		.amdhsa_exception_fp_ieee_inexact 0
		.amdhsa_exception_int_div_zero 0
	.end_amdhsa_kernel
	.section	.text._ZN7rocprim17ROCPRIM_400000_NS6detail17trampoline_kernelINS0_14default_configENS1_38merge_sort_block_merge_config_selectorIlNS0_10empty_typeEEEZZNS1_27merge_sort_block_merge_implIS3_PlPS5_mZN2at6native12_GLOBAL__N_124unique_dim_cuda_templateIfEESt5tupleIJNSA_6TensorESF_SF_EERKSF_lbbbEUlllE_EE10hipError_tT0_T1_T2_jT3_P12ihipStream_tbPNSt15iterator_traitsISL_E10value_typeEPNSR_ISM_E10value_typeEPSN_NS1_7vsmem_tEENKUlT_SL_SM_SN_E_clIS8_S8_S9_S9_EESK_S10_SL_SM_SN_EUlS10_E1_NS1_11comp_targetILNS1_3genE8ELNS1_11target_archE1030ELNS1_3gpuE2ELNS1_3repE0EEENS1_36merge_oddeven_config_static_selectorELNS0_4arch9wavefront6targetE1EEEvSM_,"axG",@progbits,_ZN7rocprim17ROCPRIM_400000_NS6detail17trampoline_kernelINS0_14default_configENS1_38merge_sort_block_merge_config_selectorIlNS0_10empty_typeEEEZZNS1_27merge_sort_block_merge_implIS3_PlPS5_mZN2at6native12_GLOBAL__N_124unique_dim_cuda_templateIfEESt5tupleIJNSA_6TensorESF_SF_EERKSF_lbbbEUlllE_EE10hipError_tT0_T1_T2_jT3_P12ihipStream_tbPNSt15iterator_traitsISL_E10value_typeEPNSR_ISM_E10value_typeEPSN_NS1_7vsmem_tEENKUlT_SL_SM_SN_E_clIS8_S8_S9_S9_EESK_S10_SL_SM_SN_EUlS10_E1_NS1_11comp_targetILNS1_3genE8ELNS1_11target_archE1030ELNS1_3gpuE2ELNS1_3repE0EEENS1_36merge_oddeven_config_static_selectorELNS0_4arch9wavefront6targetE1EEEvSM_,comdat
.Lfunc_end903:
	.size	_ZN7rocprim17ROCPRIM_400000_NS6detail17trampoline_kernelINS0_14default_configENS1_38merge_sort_block_merge_config_selectorIlNS0_10empty_typeEEEZZNS1_27merge_sort_block_merge_implIS3_PlPS5_mZN2at6native12_GLOBAL__N_124unique_dim_cuda_templateIfEESt5tupleIJNSA_6TensorESF_SF_EERKSF_lbbbEUlllE_EE10hipError_tT0_T1_T2_jT3_P12ihipStream_tbPNSt15iterator_traitsISL_E10value_typeEPNSR_ISM_E10value_typeEPSN_NS1_7vsmem_tEENKUlT_SL_SM_SN_E_clIS8_S8_S9_S9_EESK_S10_SL_SM_SN_EUlS10_E1_NS1_11comp_targetILNS1_3genE8ELNS1_11target_archE1030ELNS1_3gpuE2ELNS1_3repE0EEENS1_36merge_oddeven_config_static_selectorELNS0_4arch9wavefront6targetE1EEEvSM_, .Lfunc_end903-_ZN7rocprim17ROCPRIM_400000_NS6detail17trampoline_kernelINS0_14default_configENS1_38merge_sort_block_merge_config_selectorIlNS0_10empty_typeEEEZZNS1_27merge_sort_block_merge_implIS3_PlPS5_mZN2at6native12_GLOBAL__N_124unique_dim_cuda_templateIfEESt5tupleIJNSA_6TensorESF_SF_EERKSF_lbbbEUlllE_EE10hipError_tT0_T1_T2_jT3_P12ihipStream_tbPNSt15iterator_traitsISL_E10value_typeEPNSR_ISM_E10value_typeEPSN_NS1_7vsmem_tEENKUlT_SL_SM_SN_E_clIS8_S8_S9_S9_EESK_S10_SL_SM_SN_EUlS10_E1_NS1_11comp_targetILNS1_3genE8ELNS1_11target_archE1030ELNS1_3gpuE2ELNS1_3repE0EEENS1_36merge_oddeven_config_static_selectorELNS0_4arch9wavefront6targetE1EEEvSM_
                                        ; -- End function
	.set _ZN7rocprim17ROCPRIM_400000_NS6detail17trampoline_kernelINS0_14default_configENS1_38merge_sort_block_merge_config_selectorIlNS0_10empty_typeEEEZZNS1_27merge_sort_block_merge_implIS3_PlPS5_mZN2at6native12_GLOBAL__N_124unique_dim_cuda_templateIfEESt5tupleIJNSA_6TensorESF_SF_EERKSF_lbbbEUlllE_EE10hipError_tT0_T1_T2_jT3_P12ihipStream_tbPNSt15iterator_traitsISL_E10value_typeEPNSR_ISM_E10value_typeEPSN_NS1_7vsmem_tEENKUlT_SL_SM_SN_E_clIS8_S8_S9_S9_EESK_S10_SL_SM_SN_EUlS10_E1_NS1_11comp_targetILNS1_3genE8ELNS1_11target_archE1030ELNS1_3gpuE2ELNS1_3repE0EEENS1_36merge_oddeven_config_static_selectorELNS0_4arch9wavefront6targetE1EEEvSM_.num_vgpr, 0
	.set _ZN7rocprim17ROCPRIM_400000_NS6detail17trampoline_kernelINS0_14default_configENS1_38merge_sort_block_merge_config_selectorIlNS0_10empty_typeEEEZZNS1_27merge_sort_block_merge_implIS3_PlPS5_mZN2at6native12_GLOBAL__N_124unique_dim_cuda_templateIfEESt5tupleIJNSA_6TensorESF_SF_EERKSF_lbbbEUlllE_EE10hipError_tT0_T1_T2_jT3_P12ihipStream_tbPNSt15iterator_traitsISL_E10value_typeEPNSR_ISM_E10value_typeEPSN_NS1_7vsmem_tEENKUlT_SL_SM_SN_E_clIS8_S8_S9_S9_EESK_S10_SL_SM_SN_EUlS10_E1_NS1_11comp_targetILNS1_3genE8ELNS1_11target_archE1030ELNS1_3gpuE2ELNS1_3repE0EEENS1_36merge_oddeven_config_static_selectorELNS0_4arch9wavefront6targetE1EEEvSM_.num_agpr, 0
	.set _ZN7rocprim17ROCPRIM_400000_NS6detail17trampoline_kernelINS0_14default_configENS1_38merge_sort_block_merge_config_selectorIlNS0_10empty_typeEEEZZNS1_27merge_sort_block_merge_implIS3_PlPS5_mZN2at6native12_GLOBAL__N_124unique_dim_cuda_templateIfEESt5tupleIJNSA_6TensorESF_SF_EERKSF_lbbbEUlllE_EE10hipError_tT0_T1_T2_jT3_P12ihipStream_tbPNSt15iterator_traitsISL_E10value_typeEPNSR_ISM_E10value_typeEPSN_NS1_7vsmem_tEENKUlT_SL_SM_SN_E_clIS8_S8_S9_S9_EESK_S10_SL_SM_SN_EUlS10_E1_NS1_11comp_targetILNS1_3genE8ELNS1_11target_archE1030ELNS1_3gpuE2ELNS1_3repE0EEENS1_36merge_oddeven_config_static_selectorELNS0_4arch9wavefront6targetE1EEEvSM_.numbered_sgpr, 0
	.set _ZN7rocprim17ROCPRIM_400000_NS6detail17trampoline_kernelINS0_14default_configENS1_38merge_sort_block_merge_config_selectorIlNS0_10empty_typeEEEZZNS1_27merge_sort_block_merge_implIS3_PlPS5_mZN2at6native12_GLOBAL__N_124unique_dim_cuda_templateIfEESt5tupleIJNSA_6TensorESF_SF_EERKSF_lbbbEUlllE_EE10hipError_tT0_T1_T2_jT3_P12ihipStream_tbPNSt15iterator_traitsISL_E10value_typeEPNSR_ISM_E10value_typeEPSN_NS1_7vsmem_tEENKUlT_SL_SM_SN_E_clIS8_S8_S9_S9_EESK_S10_SL_SM_SN_EUlS10_E1_NS1_11comp_targetILNS1_3genE8ELNS1_11target_archE1030ELNS1_3gpuE2ELNS1_3repE0EEENS1_36merge_oddeven_config_static_selectorELNS0_4arch9wavefront6targetE1EEEvSM_.num_named_barrier, 0
	.set _ZN7rocprim17ROCPRIM_400000_NS6detail17trampoline_kernelINS0_14default_configENS1_38merge_sort_block_merge_config_selectorIlNS0_10empty_typeEEEZZNS1_27merge_sort_block_merge_implIS3_PlPS5_mZN2at6native12_GLOBAL__N_124unique_dim_cuda_templateIfEESt5tupleIJNSA_6TensorESF_SF_EERKSF_lbbbEUlllE_EE10hipError_tT0_T1_T2_jT3_P12ihipStream_tbPNSt15iterator_traitsISL_E10value_typeEPNSR_ISM_E10value_typeEPSN_NS1_7vsmem_tEENKUlT_SL_SM_SN_E_clIS8_S8_S9_S9_EESK_S10_SL_SM_SN_EUlS10_E1_NS1_11comp_targetILNS1_3genE8ELNS1_11target_archE1030ELNS1_3gpuE2ELNS1_3repE0EEENS1_36merge_oddeven_config_static_selectorELNS0_4arch9wavefront6targetE1EEEvSM_.private_seg_size, 0
	.set _ZN7rocprim17ROCPRIM_400000_NS6detail17trampoline_kernelINS0_14default_configENS1_38merge_sort_block_merge_config_selectorIlNS0_10empty_typeEEEZZNS1_27merge_sort_block_merge_implIS3_PlPS5_mZN2at6native12_GLOBAL__N_124unique_dim_cuda_templateIfEESt5tupleIJNSA_6TensorESF_SF_EERKSF_lbbbEUlllE_EE10hipError_tT0_T1_T2_jT3_P12ihipStream_tbPNSt15iterator_traitsISL_E10value_typeEPNSR_ISM_E10value_typeEPSN_NS1_7vsmem_tEENKUlT_SL_SM_SN_E_clIS8_S8_S9_S9_EESK_S10_SL_SM_SN_EUlS10_E1_NS1_11comp_targetILNS1_3genE8ELNS1_11target_archE1030ELNS1_3gpuE2ELNS1_3repE0EEENS1_36merge_oddeven_config_static_selectorELNS0_4arch9wavefront6targetE1EEEvSM_.uses_vcc, 0
	.set _ZN7rocprim17ROCPRIM_400000_NS6detail17trampoline_kernelINS0_14default_configENS1_38merge_sort_block_merge_config_selectorIlNS0_10empty_typeEEEZZNS1_27merge_sort_block_merge_implIS3_PlPS5_mZN2at6native12_GLOBAL__N_124unique_dim_cuda_templateIfEESt5tupleIJNSA_6TensorESF_SF_EERKSF_lbbbEUlllE_EE10hipError_tT0_T1_T2_jT3_P12ihipStream_tbPNSt15iterator_traitsISL_E10value_typeEPNSR_ISM_E10value_typeEPSN_NS1_7vsmem_tEENKUlT_SL_SM_SN_E_clIS8_S8_S9_S9_EESK_S10_SL_SM_SN_EUlS10_E1_NS1_11comp_targetILNS1_3genE8ELNS1_11target_archE1030ELNS1_3gpuE2ELNS1_3repE0EEENS1_36merge_oddeven_config_static_selectorELNS0_4arch9wavefront6targetE1EEEvSM_.uses_flat_scratch, 0
	.set _ZN7rocprim17ROCPRIM_400000_NS6detail17trampoline_kernelINS0_14default_configENS1_38merge_sort_block_merge_config_selectorIlNS0_10empty_typeEEEZZNS1_27merge_sort_block_merge_implIS3_PlPS5_mZN2at6native12_GLOBAL__N_124unique_dim_cuda_templateIfEESt5tupleIJNSA_6TensorESF_SF_EERKSF_lbbbEUlllE_EE10hipError_tT0_T1_T2_jT3_P12ihipStream_tbPNSt15iterator_traitsISL_E10value_typeEPNSR_ISM_E10value_typeEPSN_NS1_7vsmem_tEENKUlT_SL_SM_SN_E_clIS8_S8_S9_S9_EESK_S10_SL_SM_SN_EUlS10_E1_NS1_11comp_targetILNS1_3genE8ELNS1_11target_archE1030ELNS1_3gpuE2ELNS1_3repE0EEENS1_36merge_oddeven_config_static_selectorELNS0_4arch9wavefront6targetE1EEEvSM_.has_dyn_sized_stack, 0
	.set _ZN7rocprim17ROCPRIM_400000_NS6detail17trampoline_kernelINS0_14default_configENS1_38merge_sort_block_merge_config_selectorIlNS0_10empty_typeEEEZZNS1_27merge_sort_block_merge_implIS3_PlPS5_mZN2at6native12_GLOBAL__N_124unique_dim_cuda_templateIfEESt5tupleIJNSA_6TensorESF_SF_EERKSF_lbbbEUlllE_EE10hipError_tT0_T1_T2_jT3_P12ihipStream_tbPNSt15iterator_traitsISL_E10value_typeEPNSR_ISM_E10value_typeEPSN_NS1_7vsmem_tEENKUlT_SL_SM_SN_E_clIS8_S8_S9_S9_EESK_S10_SL_SM_SN_EUlS10_E1_NS1_11comp_targetILNS1_3genE8ELNS1_11target_archE1030ELNS1_3gpuE2ELNS1_3repE0EEENS1_36merge_oddeven_config_static_selectorELNS0_4arch9wavefront6targetE1EEEvSM_.has_recursion, 0
	.set _ZN7rocprim17ROCPRIM_400000_NS6detail17trampoline_kernelINS0_14default_configENS1_38merge_sort_block_merge_config_selectorIlNS0_10empty_typeEEEZZNS1_27merge_sort_block_merge_implIS3_PlPS5_mZN2at6native12_GLOBAL__N_124unique_dim_cuda_templateIfEESt5tupleIJNSA_6TensorESF_SF_EERKSF_lbbbEUlllE_EE10hipError_tT0_T1_T2_jT3_P12ihipStream_tbPNSt15iterator_traitsISL_E10value_typeEPNSR_ISM_E10value_typeEPSN_NS1_7vsmem_tEENKUlT_SL_SM_SN_E_clIS8_S8_S9_S9_EESK_S10_SL_SM_SN_EUlS10_E1_NS1_11comp_targetILNS1_3genE8ELNS1_11target_archE1030ELNS1_3gpuE2ELNS1_3repE0EEENS1_36merge_oddeven_config_static_selectorELNS0_4arch9wavefront6targetE1EEEvSM_.has_indirect_call, 0
	.section	.AMDGPU.csdata,"",@progbits
; Kernel info:
; codeLenInByte = 0
; TotalNumSgprs: 6
; NumVgprs: 0
; NumAgprs: 0
; TotalNumVgprs: 0
; ScratchSize: 0
; MemoryBound: 0
; FloatMode: 240
; IeeeMode: 1
; LDSByteSize: 0 bytes/workgroup (compile time only)
; SGPRBlocks: 0
; VGPRBlocks: 0
; NumSGPRsForWavesPerEU: 6
; NumVGPRsForWavesPerEU: 1
; AccumOffset: 4
; Occupancy: 8
; WaveLimiterHint : 0
; COMPUTE_PGM_RSRC2:SCRATCH_EN: 0
; COMPUTE_PGM_RSRC2:USER_SGPR: 2
; COMPUTE_PGM_RSRC2:TRAP_HANDLER: 0
; COMPUTE_PGM_RSRC2:TGID_X_EN: 1
; COMPUTE_PGM_RSRC2:TGID_Y_EN: 0
; COMPUTE_PGM_RSRC2:TGID_Z_EN: 0
; COMPUTE_PGM_RSRC2:TIDIG_COMP_CNT: 0
; COMPUTE_PGM_RSRC3_GFX90A:ACCUM_OFFSET: 0
; COMPUTE_PGM_RSRC3_GFX90A:TG_SPLIT: 0
	.section	.text._ZN7rocprim17ROCPRIM_400000_NS6detail17trampoline_kernelINS0_14default_configENS1_35adjacent_difference_config_selectorILb0ElEEZNS1_24adjacent_difference_implIS3_Lb0ELb0EPlS7_ZN2at6native12_GLOBAL__N_124unique_dim_cuda_templateIfEESt5tupleIJNS8_6TensorESD_SD_EERKSD_lbbbEUlllE1_EE10hipError_tPvRmT2_T3_mT4_P12ihipStream_tbEUlT_E_NS1_11comp_targetILNS1_3genE0ELNS1_11target_archE4294967295ELNS1_3gpuE0ELNS1_3repE0EEENS1_30default_config_static_selectorELNS0_4arch9wavefront6targetE1EEEvT1_,"axG",@progbits,_ZN7rocprim17ROCPRIM_400000_NS6detail17trampoline_kernelINS0_14default_configENS1_35adjacent_difference_config_selectorILb0ElEEZNS1_24adjacent_difference_implIS3_Lb0ELb0EPlS7_ZN2at6native12_GLOBAL__N_124unique_dim_cuda_templateIfEESt5tupleIJNS8_6TensorESD_SD_EERKSD_lbbbEUlllE1_EE10hipError_tPvRmT2_T3_mT4_P12ihipStream_tbEUlT_E_NS1_11comp_targetILNS1_3genE0ELNS1_11target_archE4294967295ELNS1_3gpuE0ELNS1_3repE0EEENS1_30default_config_static_selectorELNS0_4arch9wavefront6targetE1EEEvT1_,comdat
	.globl	_ZN7rocprim17ROCPRIM_400000_NS6detail17trampoline_kernelINS0_14default_configENS1_35adjacent_difference_config_selectorILb0ElEEZNS1_24adjacent_difference_implIS3_Lb0ELb0EPlS7_ZN2at6native12_GLOBAL__N_124unique_dim_cuda_templateIfEESt5tupleIJNS8_6TensorESD_SD_EERKSD_lbbbEUlllE1_EE10hipError_tPvRmT2_T3_mT4_P12ihipStream_tbEUlT_E_NS1_11comp_targetILNS1_3genE0ELNS1_11target_archE4294967295ELNS1_3gpuE0ELNS1_3repE0EEENS1_30default_config_static_selectorELNS0_4arch9wavefront6targetE1EEEvT1_ ; -- Begin function _ZN7rocprim17ROCPRIM_400000_NS6detail17trampoline_kernelINS0_14default_configENS1_35adjacent_difference_config_selectorILb0ElEEZNS1_24adjacent_difference_implIS3_Lb0ELb0EPlS7_ZN2at6native12_GLOBAL__N_124unique_dim_cuda_templateIfEESt5tupleIJNS8_6TensorESD_SD_EERKSD_lbbbEUlllE1_EE10hipError_tPvRmT2_T3_mT4_P12ihipStream_tbEUlT_E_NS1_11comp_targetILNS1_3genE0ELNS1_11target_archE4294967295ELNS1_3gpuE0ELNS1_3repE0EEENS1_30default_config_static_selectorELNS0_4arch9wavefront6targetE1EEEvT1_
	.p2align	8
	.type	_ZN7rocprim17ROCPRIM_400000_NS6detail17trampoline_kernelINS0_14default_configENS1_35adjacent_difference_config_selectorILb0ElEEZNS1_24adjacent_difference_implIS3_Lb0ELb0EPlS7_ZN2at6native12_GLOBAL__N_124unique_dim_cuda_templateIfEESt5tupleIJNS8_6TensorESD_SD_EERKSD_lbbbEUlllE1_EE10hipError_tPvRmT2_T3_mT4_P12ihipStream_tbEUlT_E_NS1_11comp_targetILNS1_3genE0ELNS1_11target_archE4294967295ELNS1_3gpuE0ELNS1_3repE0EEENS1_30default_config_static_selectorELNS0_4arch9wavefront6targetE1EEEvT1_,@function
_ZN7rocprim17ROCPRIM_400000_NS6detail17trampoline_kernelINS0_14default_configENS1_35adjacent_difference_config_selectorILb0ElEEZNS1_24adjacent_difference_implIS3_Lb0ELb0EPlS7_ZN2at6native12_GLOBAL__N_124unique_dim_cuda_templateIfEESt5tupleIJNS8_6TensorESD_SD_EERKSD_lbbbEUlllE1_EE10hipError_tPvRmT2_T3_mT4_P12ihipStream_tbEUlT_E_NS1_11comp_targetILNS1_3genE0ELNS1_11target_archE4294967295ELNS1_3gpuE0ELNS1_3repE0EEENS1_30default_config_static_selectorELNS0_4arch9wavefront6targetE1EEEvT1_: ; @_ZN7rocprim17ROCPRIM_400000_NS6detail17trampoline_kernelINS0_14default_configENS1_35adjacent_difference_config_selectorILb0ElEEZNS1_24adjacent_difference_implIS3_Lb0ELb0EPlS7_ZN2at6native12_GLOBAL__N_124unique_dim_cuda_templateIfEESt5tupleIJNS8_6TensorESD_SD_EERKSD_lbbbEUlllE1_EE10hipError_tPvRmT2_T3_mT4_P12ihipStream_tbEUlT_E_NS1_11comp_targetILNS1_3genE0ELNS1_11target_archE4294967295ELNS1_3gpuE0ELNS1_3repE0EEENS1_30default_config_static_selectorELNS0_4arch9wavefront6targetE1EEEvT1_
; %bb.0:
	s_load_dwordx8 s[4:11], s[0:1], 0x0
	s_load_dwordx4 s[12:15], s[0:1], 0x20
	s_load_dwordx2 s[16:17], s[0:1], 0x38
	s_mov_b32 s19, 0
	s_mov_b64 s[20:21], -1
	s_waitcnt lgkmcnt(0)
	s_lshl_b64 s[6:7], s[6:7], 3
	s_add_u32 s22, s4, s6
	s_addc_u32 s23, s5, s7
	s_lshl_b32 s4, s2, 7
	s_lshr_b64 s[0:1], s[10:11], 7
	s_and_b32 s18, s10, 0x7f
	s_cmp_lg_u64 s[18:19], 0
	s_cselect_b64 s[18:19], -1, 0
	v_cndmask_b32_e64 v1, 0, 1, s[18:19]
	s_nop 0
	v_readfirstlane_b32 s3, v1
	s_add_u32 s18, s0, s3
	s_addc_u32 s19, s1, 0
	s_add_u32 s2, s16, s2
	s_addc_u32 s3, s17, 0
	s_add_u32 s16, s18, -1
	s_addc_u32 s17, s19, -1
	v_mov_b64_e32 v[2:3], s[16:17]
	v_cmp_ge_u64_e64 s[0:1], s[2:3], v[2:3]
	s_and_b64 vcc, exec, s[0:1]
                                        ; implicit-def: $vgpr1
	s_cbranch_vccz .LBB904_4
; %bb.1:
	s_lshl_b32 s5, s16, 7
	s_sub_i32 s5, s10, s5
	v_cmp_gt_u32_e32 vcc, s5, v0
                                        ; implicit-def: $vgpr2_vgpr3
	s_and_saveexec_b64 s[20:21], vcc
	s_cbranch_execz .LBB904_3
; %bb.2:
	s_mov_b32 s5, 0
	s_lshl_b64 s[24:25], s[4:5], 3
	s_add_u32 s24, s22, s24
	s_addc_u32 s25, s23, s25
	v_lshlrev_b32_e32 v1, 3, v0
	global_load_dwordx2 v[2:3], v1, s[24:25]
.LBB904_3:
	s_or_b64 exec, exec, s[20:21]
	v_lshlrev_b32_e32 v1, 3, v0
	s_mov_b64 s[20:21], 0
	s_waitcnt vmcnt(0)
	ds_write_b64 v1, v[2:3]
	s_waitcnt lgkmcnt(0)
	s_barrier
.LBB904_4:
	s_and_b64 vcc, exec, s[20:21]
	s_cbranch_vccz .LBB904_6
; %bb.5:
	s_mov_b32 s5, 0
	s_lshl_b64 s[20:21], s[4:5], 3
	s_add_u32 s20, s22, s20
	s_addc_u32 s21, s23, s21
	v_lshlrev_b32_e32 v1, 3, v0
	global_load_dwordx2 v[2:3], v1, s[20:21]
	s_waitcnt vmcnt(0)
	ds_write_b64 v1, v[2:3]
	s_waitcnt lgkmcnt(0)
	s_barrier
.LBB904_6:
	ds_read_b64 v[2:3], v1
	s_cmp_eq_u64 s[2:3], 0
	s_waitcnt lgkmcnt(0)
	s_barrier
	s_cbranch_scc1 .LBB904_15
; %bb.7:
	s_mov_b32 s5, 0
	s_lshl_b64 s[20:21], s[4:5], 3
	s_add_u32 s5, s22, s20
	s_addc_u32 s11, s23, s21
	s_add_u32 s20, s5, -8
	s_addc_u32 s21, s11, -1
	s_load_dwordx2 s[20:21], s[20:21], 0x0
	s_cmp_eq_u64 s[2:3], s[16:17]
	s_cbranch_scc1 .LBB904_16
; %bb.8:
	v_lshlrev_b32_e32 v1, 3, v0
	v_cmp_ne_u32_e32 vcc, 0, v0
	s_waitcnt lgkmcnt(0)
	v_mov_b64_e32 v[6:7], s[20:21]
	ds_write_b64 v1, v[2:3]
	s_waitcnt lgkmcnt(0)
	s_barrier
	s_and_saveexec_b64 s[22:23], vcc
; %bb.9:
	v_add_u32_e32 v1, -8, v1
	ds_read_b64 v[6:7], v1
; %bb.10:
	s_or_b64 exec, exec, s[22:23]
	v_cmp_lt_i64_e64 s[22:23], s[12:13], 1
	s_and_b64 vcc, exec, s[22:23]
	s_cbranch_vccnz .LBB904_18
; %bb.11:
	v_mul_lo_u32 v1, v3, s12
	v_mul_lo_u32 v8, v2, s13
	v_mad_u64_u32 v[4:5], s[22:23], v2, s12, 0
	v_add3_u32 v5, v5, v8, v1
	s_waitcnt lgkmcnt(0)
	v_mul_lo_u32 v1, v7, s12
	v_mul_lo_u32 v8, v6, s13
	v_mad_u64_u32 v[6:7], s[22:23], v6, s12, 0
	v_add3_u32 v7, v7, v8, v1
	v_lshl_add_u64 v[4:5], v[4:5], 2, s[14:15]
	v_lshl_add_u64 v[6:7], v[6:7], 2, s[14:15]
	s_mov_b64 s[22:23], 0
	s_mov_b64 s[24:25], s[12:13]
                                        ; implicit-def: $sgpr26_sgpr27
	s_branch .LBB904_13
.LBB904_12:                             ;   in Loop: Header=BB904_13 Depth=1
	s_or_b64 exec, exec, s[28:29]
	s_and_b64 s[28:29], exec, s[26:27]
	s_or_b64 s[22:23], s[28:29], s[22:23]
	s_andn2_b64 exec, exec, s[22:23]
	s_cbranch_execz .LBB904_17
.LBB904_13:                             ; =>This Inner Loop Header: Depth=1
	global_load_dword v1, v[4:5], off
	global_load_dword v10, v[6:7], off
	v_mov_b64_e32 v[8:9], 1
	s_or_b64 s[26:27], s[26:27], exec
	s_waitcnt vmcnt(0)
	v_cmp_eq_f32_e32 vcc, v1, v10
	s_and_saveexec_b64 s[28:29], vcc
	s_cbranch_execz .LBB904_12
; %bb.14:                               ;   in Loop: Header=BB904_13 Depth=1
	s_add_u32 s24, s24, -1
	s_addc_u32 s25, s25, -1
	s_cmp_eq_u64 s[24:25], 0
	s_cselect_b64 s[30:31], -1, 0
	s_andn2_b64 s[26:27], s[26:27], exec
	s_and_b64 s[30:31], s[30:31], exec
	v_lshl_add_u64 v[4:5], v[4:5], 0, 4
	v_lshl_add_u64 v[6:7], v[6:7], 0, 4
	v_mov_b64_e32 v[8:9], 0
	s_or_b64 s[26:27], s[26:27], s[30:31]
	s_branch .LBB904_12
.LBB904_15:
                                        ; implicit-def: $vgpr8_vgpr9
	s_branch .LBB904_31
.LBB904_16:
                                        ; implicit-def: $vgpr8_vgpr9
	s_cbranch_execnz .LBB904_19
	s_branch .LBB904_30
.LBB904_17:
	s_or_b64 exec, exec, s[22:23]
	s_branch .LBB904_30
.LBB904_18:
	v_mov_b64_e32 v[8:9], 0
	s_branch .LBB904_30
.LBB904_19:
	v_lshlrev_b32_e32 v1, 3, v0
	v_cmp_ne_u32_e32 vcc, 0, v0
	s_waitcnt lgkmcnt(0)
	v_mov_b64_e32 v[6:7], s[20:21]
	ds_write_b64 v1, v[2:3]
	s_waitcnt lgkmcnt(0)
	s_barrier
	s_and_saveexec_b64 s[20:21], vcc
; %bb.20:
	v_add_u32_e32 v1, -8, v1
	ds_read_b64 v[6:7], v1
; %bb.21:
	s_or_b64 exec, exec, s[20:21]
	s_lshl_b32 s2, s2, 7
	s_sub_i32 s2, s10, s2
	v_cmp_gt_u32_e32 vcc, s2, v0
	v_mov_b64_e32 v[8:9], v[2:3]
	s_and_saveexec_b64 s[2:3], vcc
	s_cbranch_execz .LBB904_29
; %bb.22:
	v_cmp_lt_i64_e64 s[20:21], s[12:13], 1
	s_and_b64 vcc, exec, s[20:21]
	s_cbranch_vccnz .LBB904_28
; %bb.23:
	v_mul_lo_u32 v1, v3, s12
	v_mul_lo_u32 v8, v2, s13
	v_mad_u64_u32 v[4:5], s[20:21], v2, s12, 0
	v_add3_u32 v5, v5, v8, v1
	s_waitcnt lgkmcnt(0)
	v_mul_lo_u32 v1, v7, s12
	v_mul_lo_u32 v8, v6, s13
	v_mad_u64_u32 v[6:7], s[20:21], v6, s12, 0
	v_add3_u32 v7, v7, v8, v1
	v_lshl_add_u64 v[4:5], v[4:5], 2, s[14:15]
	v_lshl_add_u64 v[6:7], v[6:7], 2, s[14:15]
	s_mov_b64 s[20:21], 0
	s_mov_b64 s[22:23], s[12:13]
                                        ; implicit-def: $sgpr24_sgpr25
	s_branch .LBB904_25
.LBB904_24:                             ;   in Loop: Header=BB904_25 Depth=1
	s_or_b64 exec, exec, s[26:27]
	s_and_b64 s[26:27], exec, s[24:25]
	s_or_b64 s[20:21], s[26:27], s[20:21]
	s_andn2_b64 exec, exec, s[20:21]
	s_cbranch_execz .LBB904_27
.LBB904_25:                             ; =>This Inner Loop Header: Depth=1
	global_load_dword v1, v[4:5], off
	global_load_dword v10, v[6:7], off
	v_mov_b64_e32 v[8:9], 1
	s_or_b64 s[24:25], s[24:25], exec
	s_waitcnt vmcnt(0)
	v_cmp_eq_f32_e32 vcc, v1, v10
	s_and_saveexec_b64 s[26:27], vcc
	s_cbranch_execz .LBB904_24
; %bb.26:                               ;   in Loop: Header=BB904_25 Depth=1
	s_add_u32 s22, s22, -1
	s_addc_u32 s23, s23, -1
	s_cmp_eq_u64 s[22:23], 0
	s_cselect_b64 s[28:29], -1, 0
	s_andn2_b64 s[24:25], s[24:25], exec
	s_and_b64 s[28:29], s[28:29], exec
	v_lshl_add_u64 v[4:5], v[4:5], 0, 4
	v_lshl_add_u64 v[6:7], v[6:7], 0, 4
	v_mov_b64_e32 v[8:9], 0
	s_or_b64 s[24:25], s[24:25], s[28:29]
	s_branch .LBB904_24
.LBB904_27:
	s_or_b64 exec, exec, s[20:21]
	s_branch .LBB904_29
.LBB904_28:
	v_mov_b64_e32 v[8:9], 0
.LBB904_29:
	s_or_b64 exec, exec, s[2:3]
.LBB904_30:
	s_cbranch_execnz .LBB904_51
.LBB904_31:
	s_cmp_eq_u64 s[18:19], 1
	v_cmp_ne_u32_e32 vcc, 0, v0
	s_cbranch_scc1 .LBB904_38
; %bb.32:
	v_lshlrev_b32_e32 v1, 3, v0
	v_mov_b64_e32 v[8:9], v[2:3]
	ds_write_b64 v1, v[2:3]
	s_waitcnt lgkmcnt(0)
	s_barrier
	s_and_saveexec_b64 s[2:3], vcc
	s_cbranch_execz .LBB904_41
; %bb.33:
	v_cmp_lt_i64_e64 s[18:19], s[12:13], 1
	s_and_b64 vcc, exec, s[18:19]
	s_cbranch_vccnz .LBB904_40
; %bb.34:
	v_add_u32_e32 v1, -8, v1
	ds_read_b64 v[6:7], v1
	v_mul_lo_u32 v1, v3, s12
	v_mul_lo_u32 v8, v2, s13
	v_mad_u64_u32 v[4:5], s[18:19], v2, s12, 0
	v_add3_u32 v5, v5, v8, v1
	s_waitcnt lgkmcnt(0)
	v_mul_lo_u32 v1, s13, v6
	v_mul_lo_u32 v8, s12, v7
	v_mad_u64_u32 v[6:7], s[18:19], s12, v6, 0
	v_add3_u32 v7, v7, v8, v1
	v_lshl_add_u64 v[4:5], v[4:5], 2, s[14:15]
	v_lshl_add_u64 v[6:7], v[6:7], 2, s[14:15]
	s_mov_b64 s[18:19], 0
	s_mov_b64 s[20:21], s[12:13]
                                        ; implicit-def: $sgpr22_sgpr23
	s_branch .LBB904_36
.LBB904_35:                             ;   in Loop: Header=BB904_36 Depth=1
	s_or_b64 exec, exec, s[24:25]
	s_and_b64 s[24:25], exec, s[22:23]
	s_or_b64 s[18:19], s[24:25], s[18:19]
	s_andn2_b64 exec, exec, s[18:19]
	s_cbranch_execz .LBB904_39
.LBB904_36:                             ; =>This Inner Loop Header: Depth=1
	global_load_dword v1, v[4:5], off
	global_load_dword v10, v[6:7], off
	v_mov_b64_e32 v[8:9], 1
	s_or_b64 s[22:23], s[22:23], exec
	s_waitcnt vmcnt(0)
	v_cmp_eq_f32_e32 vcc, v1, v10
	s_and_saveexec_b64 s[24:25], vcc
	s_cbranch_execz .LBB904_35
; %bb.37:                               ;   in Loop: Header=BB904_36 Depth=1
	s_add_u32 s20, s20, -1
	s_addc_u32 s21, s21, -1
	s_cmp_eq_u64 s[20:21], 0
	s_cselect_b64 s[26:27], -1, 0
	s_andn2_b64 s[22:23], s[22:23], exec
	s_and_b64 s[26:27], s[26:27], exec
	v_lshl_add_u64 v[4:5], v[4:5], 0, 4
	v_lshl_add_u64 v[6:7], v[6:7], 0, 4
	v_mov_b64_e32 v[8:9], 0
	s_or_b64 s[22:23], s[22:23], s[26:27]
	s_branch .LBB904_35
.LBB904_38:
                                        ; implicit-def: $vgpr8_vgpr9
	s_branch .LBB904_42
.LBB904_39:
	s_or_b64 exec, exec, s[18:19]
	s_branch .LBB904_41
.LBB904_40:
	v_mov_b64_e32 v[8:9], 0
.LBB904_41:
	s_or_b64 exec, exec, s[2:3]
	s_cbranch_execnz .LBB904_51
.LBB904_42:
	v_cmp_ne_u32_e32 vcc, 0, v0
	v_cmp_gt_u32_e64 s[2:3], s10, v0
	v_lshlrev_b32_e32 v1, 3, v0
	s_and_b64 s[18:19], vcc, s[2:3]
	ds_write_b64 v1, v[2:3]
	s_waitcnt lgkmcnt(0)
	s_barrier
	s_and_saveexec_b64 s[2:3], s[18:19]
	s_cbranch_execz .LBB904_50
; %bb.43:
	v_cmp_lt_i64_e64 s[18:19], s[12:13], 1
	s_and_b64 vcc, exec, s[18:19]
	s_cbranch_vccnz .LBB904_49
; %bb.44:
	v_add_u32_e32 v1, -8, v1
	ds_read_b64 v[6:7], v1
	v_mul_lo_u32 v1, v3, s12
	v_mul_lo_u32 v4, v2, s13
	v_mad_u64_u32 v[2:3], s[18:19], v2, s12, 0
	v_add3_u32 v3, v3, v4, v1
	v_lshl_add_u64 v[4:5], v[2:3], 2, s[14:15]
	s_waitcnt lgkmcnt(0)
	v_mul_lo_u32 v1, s13, v6
	v_mul_lo_u32 v7, s12, v7
	v_mad_u64_u32 v[2:3], s[18:19], s12, v6, 0
	v_add3_u32 v3, v3, v7, v1
	v_lshl_add_u64 v[6:7], v[2:3], 2, s[14:15]
	s_mov_b64 s[14:15], 0
                                        ; implicit-def: $sgpr18_sgpr19
	s_branch .LBB904_46
.LBB904_45:                             ;   in Loop: Header=BB904_46 Depth=1
	s_or_b64 exec, exec, s[20:21]
	s_and_b64 s[20:21], exec, s[18:19]
	s_or_b64 s[14:15], s[20:21], s[14:15]
	s_andn2_b64 exec, exec, s[14:15]
	s_cbranch_execz .LBB904_48
.LBB904_46:                             ; =>This Inner Loop Header: Depth=1
	global_load_dword v1, v[4:5], off
	global_load_dword v8, v[6:7], off
	v_mov_b64_e32 v[2:3], 1
	s_or_b64 s[18:19], s[18:19], exec
	s_waitcnt vmcnt(0)
	v_cmp_eq_f32_e32 vcc, v1, v8
	s_and_saveexec_b64 s[20:21], vcc
	s_cbranch_execz .LBB904_45
; %bb.47:                               ;   in Loop: Header=BB904_46 Depth=1
	s_add_u32 s12, s12, -1
	s_addc_u32 s13, s13, -1
	s_cmp_eq_u64 s[12:13], 0
	s_cselect_b64 s[22:23], -1, 0
	s_andn2_b64 s[18:19], s[18:19], exec
	s_and_b64 s[22:23], s[22:23], exec
	v_lshl_add_u64 v[4:5], v[4:5], 0, 4
	v_lshl_add_u64 v[6:7], v[6:7], 0, 4
	v_mov_b64_e32 v[2:3], 0
	s_or_b64 s[18:19], s[18:19], s[22:23]
	s_branch .LBB904_45
.LBB904_48:
	s_or_b64 exec, exec, s[14:15]
	s_branch .LBB904_50
.LBB904_49:
	v_mov_b64_e32 v[2:3], 0
.LBB904_50:
	s_or_b64 exec, exec, s[2:3]
	v_mov_b64_e32 v[8:9], v[2:3]
.LBB904_51:
	s_add_u32 s6, s8, s6
	s_addc_u32 s7, s9, s7
	s_mov_b64 s[2:3], -1
	s_and_b64 vcc, exec, s[0:1]
	s_waitcnt lgkmcnt(0)
	s_barrier
	s_cbranch_vccnz .LBB904_54
; %bb.52:
	s_andn2_b64 vcc, exec, s[2:3]
	s_cbranch_vccz .LBB904_57
.LBB904_53:
	s_endpgm
.LBB904_54:
	s_lshl_b32 s0, s16, 7
	s_sub_i32 s0, s10, s0
	v_lshlrev_b32_e32 v1, 3, v0
	v_cmp_gt_u32_e32 vcc, s0, v0
	ds_write_b64 v1, v[8:9]
	s_waitcnt lgkmcnt(0)
	s_barrier
	s_and_saveexec_b64 s[0:1], vcc
	s_cbranch_execz .LBB904_56
; %bb.55:
	ds_read_b64 v[2:3], v1
	s_mov_b32 s5, 0
	s_lshl_b64 s[2:3], s[4:5], 3
	s_add_u32 s2, s6, s2
	s_addc_u32 s3, s7, s3
	s_waitcnt lgkmcnt(0)
	global_store_dwordx2 v1, v[2:3], s[2:3]
.LBB904_56:
	s_or_b64 exec, exec, s[0:1]
	s_cbranch_execnz .LBB904_53
.LBB904_57:
	v_lshlrev_b32_e32 v2, 3, v0
	ds_write_b64 v2, v[8:9]
	s_waitcnt lgkmcnt(0)
	s_barrier
	ds_read_b64 v[0:1], v2
	s_mov_b32 s5, 0
	s_lshl_b64 s[0:1], s[4:5], 3
	s_add_u32 s0, s6, s0
	s_addc_u32 s1, s7, s1
	s_waitcnt lgkmcnt(0)
	global_store_dwordx2 v2, v[0:1], s[0:1]
	s_endpgm
	.section	.rodata,"a",@progbits
	.p2align	6, 0x0
	.amdhsa_kernel _ZN7rocprim17ROCPRIM_400000_NS6detail17trampoline_kernelINS0_14default_configENS1_35adjacent_difference_config_selectorILb0ElEEZNS1_24adjacent_difference_implIS3_Lb0ELb0EPlS7_ZN2at6native12_GLOBAL__N_124unique_dim_cuda_templateIfEESt5tupleIJNS8_6TensorESD_SD_EERKSD_lbbbEUlllE1_EE10hipError_tPvRmT2_T3_mT4_P12ihipStream_tbEUlT_E_NS1_11comp_targetILNS1_3genE0ELNS1_11target_archE4294967295ELNS1_3gpuE0ELNS1_3repE0EEENS1_30default_config_static_selectorELNS0_4arch9wavefront6targetE1EEEvT1_
		.amdhsa_group_segment_fixed_size 2048
		.amdhsa_private_segment_fixed_size 0
		.amdhsa_kernarg_size 64
		.amdhsa_user_sgpr_count 2
		.amdhsa_user_sgpr_dispatch_ptr 0
		.amdhsa_user_sgpr_queue_ptr 0
		.amdhsa_user_sgpr_kernarg_segment_ptr 1
		.amdhsa_user_sgpr_dispatch_id 0
		.amdhsa_user_sgpr_kernarg_preload_length 0
		.amdhsa_user_sgpr_kernarg_preload_offset 0
		.amdhsa_user_sgpr_private_segment_size 0
		.amdhsa_uses_dynamic_stack 0
		.amdhsa_enable_private_segment 0
		.amdhsa_system_sgpr_workgroup_id_x 1
		.amdhsa_system_sgpr_workgroup_id_y 0
		.amdhsa_system_sgpr_workgroup_id_z 0
		.amdhsa_system_sgpr_workgroup_info 0
		.amdhsa_system_vgpr_workitem_id 0
		.amdhsa_next_free_vgpr 11
		.amdhsa_next_free_sgpr 32
		.amdhsa_accum_offset 12
		.amdhsa_reserve_vcc 1
		.amdhsa_float_round_mode_32 0
		.amdhsa_float_round_mode_16_64 0
		.amdhsa_float_denorm_mode_32 3
		.amdhsa_float_denorm_mode_16_64 3
		.amdhsa_dx10_clamp 1
		.amdhsa_ieee_mode 1
		.amdhsa_fp16_overflow 0
		.amdhsa_tg_split 0
		.amdhsa_exception_fp_ieee_invalid_op 0
		.amdhsa_exception_fp_denorm_src 0
		.amdhsa_exception_fp_ieee_div_zero 0
		.amdhsa_exception_fp_ieee_overflow 0
		.amdhsa_exception_fp_ieee_underflow 0
		.amdhsa_exception_fp_ieee_inexact 0
		.amdhsa_exception_int_div_zero 0
	.end_amdhsa_kernel
	.section	.text._ZN7rocprim17ROCPRIM_400000_NS6detail17trampoline_kernelINS0_14default_configENS1_35adjacent_difference_config_selectorILb0ElEEZNS1_24adjacent_difference_implIS3_Lb0ELb0EPlS7_ZN2at6native12_GLOBAL__N_124unique_dim_cuda_templateIfEESt5tupleIJNS8_6TensorESD_SD_EERKSD_lbbbEUlllE1_EE10hipError_tPvRmT2_T3_mT4_P12ihipStream_tbEUlT_E_NS1_11comp_targetILNS1_3genE0ELNS1_11target_archE4294967295ELNS1_3gpuE0ELNS1_3repE0EEENS1_30default_config_static_selectorELNS0_4arch9wavefront6targetE1EEEvT1_,"axG",@progbits,_ZN7rocprim17ROCPRIM_400000_NS6detail17trampoline_kernelINS0_14default_configENS1_35adjacent_difference_config_selectorILb0ElEEZNS1_24adjacent_difference_implIS3_Lb0ELb0EPlS7_ZN2at6native12_GLOBAL__N_124unique_dim_cuda_templateIfEESt5tupleIJNS8_6TensorESD_SD_EERKSD_lbbbEUlllE1_EE10hipError_tPvRmT2_T3_mT4_P12ihipStream_tbEUlT_E_NS1_11comp_targetILNS1_3genE0ELNS1_11target_archE4294967295ELNS1_3gpuE0ELNS1_3repE0EEENS1_30default_config_static_selectorELNS0_4arch9wavefront6targetE1EEEvT1_,comdat
.Lfunc_end904:
	.size	_ZN7rocprim17ROCPRIM_400000_NS6detail17trampoline_kernelINS0_14default_configENS1_35adjacent_difference_config_selectorILb0ElEEZNS1_24adjacent_difference_implIS3_Lb0ELb0EPlS7_ZN2at6native12_GLOBAL__N_124unique_dim_cuda_templateIfEESt5tupleIJNS8_6TensorESD_SD_EERKSD_lbbbEUlllE1_EE10hipError_tPvRmT2_T3_mT4_P12ihipStream_tbEUlT_E_NS1_11comp_targetILNS1_3genE0ELNS1_11target_archE4294967295ELNS1_3gpuE0ELNS1_3repE0EEENS1_30default_config_static_selectorELNS0_4arch9wavefront6targetE1EEEvT1_, .Lfunc_end904-_ZN7rocprim17ROCPRIM_400000_NS6detail17trampoline_kernelINS0_14default_configENS1_35adjacent_difference_config_selectorILb0ElEEZNS1_24adjacent_difference_implIS3_Lb0ELb0EPlS7_ZN2at6native12_GLOBAL__N_124unique_dim_cuda_templateIfEESt5tupleIJNS8_6TensorESD_SD_EERKSD_lbbbEUlllE1_EE10hipError_tPvRmT2_T3_mT4_P12ihipStream_tbEUlT_E_NS1_11comp_targetILNS1_3genE0ELNS1_11target_archE4294967295ELNS1_3gpuE0ELNS1_3repE0EEENS1_30default_config_static_selectorELNS0_4arch9wavefront6targetE1EEEvT1_
                                        ; -- End function
	.set _ZN7rocprim17ROCPRIM_400000_NS6detail17trampoline_kernelINS0_14default_configENS1_35adjacent_difference_config_selectorILb0ElEEZNS1_24adjacent_difference_implIS3_Lb0ELb0EPlS7_ZN2at6native12_GLOBAL__N_124unique_dim_cuda_templateIfEESt5tupleIJNS8_6TensorESD_SD_EERKSD_lbbbEUlllE1_EE10hipError_tPvRmT2_T3_mT4_P12ihipStream_tbEUlT_E_NS1_11comp_targetILNS1_3genE0ELNS1_11target_archE4294967295ELNS1_3gpuE0ELNS1_3repE0EEENS1_30default_config_static_selectorELNS0_4arch9wavefront6targetE1EEEvT1_.num_vgpr, 11
	.set _ZN7rocprim17ROCPRIM_400000_NS6detail17trampoline_kernelINS0_14default_configENS1_35adjacent_difference_config_selectorILb0ElEEZNS1_24adjacent_difference_implIS3_Lb0ELb0EPlS7_ZN2at6native12_GLOBAL__N_124unique_dim_cuda_templateIfEESt5tupleIJNS8_6TensorESD_SD_EERKSD_lbbbEUlllE1_EE10hipError_tPvRmT2_T3_mT4_P12ihipStream_tbEUlT_E_NS1_11comp_targetILNS1_3genE0ELNS1_11target_archE4294967295ELNS1_3gpuE0ELNS1_3repE0EEENS1_30default_config_static_selectorELNS0_4arch9wavefront6targetE1EEEvT1_.num_agpr, 0
	.set _ZN7rocprim17ROCPRIM_400000_NS6detail17trampoline_kernelINS0_14default_configENS1_35adjacent_difference_config_selectorILb0ElEEZNS1_24adjacent_difference_implIS3_Lb0ELb0EPlS7_ZN2at6native12_GLOBAL__N_124unique_dim_cuda_templateIfEESt5tupleIJNS8_6TensorESD_SD_EERKSD_lbbbEUlllE1_EE10hipError_tPvRmT2_T3_mT4_P12ihipStream_tbEUlT_E_NS1_11comp_targetILNS1_3genE0ELNS1_11target_archE4294967295ELNS1_3gpuE0ELNS1_3repE0EEENS1_30default_config_static_selectorELNS0_4arch9wavefront6targetE1EEEvT1_.numbered_sgpr, 32
	.set _ZN7rocprim17ROCPRIM_400000_NS6detail17trampoline_kernelINS0_14default_configENS1_35adjacent_difference_config_selectorILb0ElEEZNS1_24adjacent_difference_implIS3_Lb0ELb0EPlS7_ZN2at6native12_GLOBAL__N_124unique_dim_cuda_templateIfEESt5tupleIJNS8_6TensorESD_SD_EERKSD_lbbbEUlllE1_EE10hipError_tPvRmT2_T3_mT4_P12ihipStream_tbEUlT_E_NS1_11comp_targetILNS1_3genE0ELNS1_11target_archE4294967295ELNS1_3gpuE0ELNS1_3repE0EEENS1_30default_config_static_selectorELNS0_4arch9wavefront6targetE1EEEvT1_.num_named_barrier, 0
	.set _ZN7rocprim17ROCPRIM_400000_NS6detail17trampoline_kernelINS0_14default_configENS1_35adjacent_difference_config_selectorILb0ElEEZNS1_24adjacent_difference_implIS3_Lb0ELb0EPlS7_ZN2at6native12_GLOBAL__N_124unique_dim_cuda_templateIfEESt5tupleIJNS8_6TensorESD_SD_EERKSD_lbbbEUlllE1_EE10hipError_tPvRmT2_T3_mT4_P12ihipStream_tbEUlT_E_NS1_11comp_targetILNS1_3genE0ELNS1_11target_archE4294967295ELNS1_3gpuE0ELNS1_3repE0EEENS1_30default_config_static_selectorELNS0_4arch9wavefront6targetE1EEEvT1_.private_seg_size, 0
	.set _ZN7rocprim17ROCPRIM_400000_NS6detail17trampoline_kernelINS0_14default_configENS1_35adjacent_difference_config_selectorILb0ElEEZNS1_24adjacent_difference_implIS3_Lb0ELb0EPlS7_ZN2at6native12_GLOBAL__N_124unique_dim_cuda_templateIfEESt5tupleIJNS8_6TensorESD_SD_EERKSD_lbbbEUlllE1_EE10hipError_tPvRmT2_T3_mT4_P12ihipStream_tbEUlT_E_NS1_11comp_targetILNS1_3genE0ELNS1_11target_archE4294967295ELNS1_3gpuE0ELNS1_3repE0EEENS1_30default_config_static_selectorELNS0_4arch9wavefront6targetE1EEEvT1_.uses_vcc, 1
	.set _ZN7rocprim17ROCPRIM_400000_NS6detail17trampoline_kernelINS0_14default_configENS1_35adjacent_difference_config_selectorILb0ElEEZNS1_24adjacent_difference_implIS3_Lb0ELb0EPlS7_ZN2at6native12_GLOBAL__N_124unique_dim_cuda_templateIfEESt5tupleIJNS8_6TensorESD_SD_EERKSD_lbbbEUlllE1_EE10hipError_tPvRmT2_T3_mT4_P12ihipStream_tbEUlT_E_NS1_11comp_targetILNS1_3genE0ELNS1_11target_archE4294967295ELNS1_3gpuE0ELNS1_3repE0EEENS1_30default_config_static_selectorELNS0_4arch9wavefront6targetE1EEEvT1_.uses_flat_scratch, 0
	.set _ZN7rocprim17ROCPRIM_400000_NS6detail17trampoline_kernelINS0_14default_configENS1_35adjacent_difference_config_selectorILb0ElEEZNS1_24adjacent_difference_implIS3_Lb0ELb0EPlS7_ZN2at6native12_GLOBAL__N_124unique_dim_cuda_templateIfEESt5tupleIJNS8_6TensorESD_SD_EERKSD_lbbbEUlllE1_EE10hipError_tPvRmT2_T3_mT4_P12ihipStream_tbEUlT_E_NS1_11comp_targetILNS1_3genE0ELNS1_11target_archE4294967295ELNS1_3gpuE0ELNS1_3repE0EEENS1_30default_config_static_selectorELNS0_4arch9wavefront6targetE1EEEvT1_.has_dyn_sized_stack, 0
	.set _ZN7rocprim17ROCPRIM_400000_NS6detail17trampoline_kernelINS0_14default_configENS1_35adjacent_difference_config_selectorILb0ElEEZNS1_24adjacent_difference_implIS3_Lb0ELb0EPlS7_ZN2at6native12_GLOBAL__N_124unique_dim_cuda_templateIfEESt5tupleIJNS8_6TensorESD_SD_EERKSD_lbbbEUlllE1_EE10hipError_tPvRmT2_T3_mT4_P12ihipStream_tbEUlT_E_NS1_11comp_targetILNS1_3genE0ELNS1_11target_archE4294967295ELNS1_3gpuE0ELNS1_3repE0EEENS1_30default_config_static_selectorELNS0_4arch9wavefront6targetE1EEEvT1_.has_recursion, 0
	.set _ZN7rocprim17ROCPRIM_400000_NS6detail17trampoline_kernelINS0_14default_configENS1_35adjacent_difference_config_selectorILb0ElEEZNS1_24adjacent_difference_implIS3_Lb0ELb0EPlS7_ZN2at6native12_GLOBAL__N_124unique_dim_cuda_templateIfEESt5tupleIJNS8_6TensorESD_SD_EERKSD_lbbbEUlllE1_EE10hipError_tPvRmT2_T3_mT4_P12ihipStream_tbEUlT_E_NS1_11comp_targetILNS1_3genE0ELNS1_11target_archE4294967295ELNS1_3gpuE0ELNS1_3repE0EEENS1_30default_config_static_selectorELNS0_4arch9wavefront6targetE1EEEvT1_.has_indirect_call, 0
	.section	.AMDGPU.csdata,"",@progbits
; Kernel info:
; codeLenInByte = 1740
; TotalNumSgprs: 38
; NumVgprs: 11
; NumAgprs: 0
; TotalNumVgprs: 11
; ScratchSize: 0
; MemoryBound: 0
; FloatMode: 240
; IeeeMode: 1
; LDSByteSize: 2048 bytes/workgroup (compile time only)
; SGPRBlocks: 4
; VGPRBlocks: 1
; NumSGPRsForWavesPerEU: 38
; NumVGPRsForWavesPerEU: 11
; AccumOffset: 12
; Occupancy: 8
; WaveLimiterHint : 0
; COMPUTE_PGM_RSRC2:SCRATCH_EN: 0
; COMPUTE_PGM_RSRC2:USER_SGPR: 2
; COMPUTE_PGM_RSRC2:TRAP_HANDLER: 0
; COMPUTE_PGM_RSRC2:TGID_X_EN: 1
; COMPUTE_PGM_RSRC2:TGID_Y_EN: 0
; COMPUTE_PGM_RSRC2:TGID_Z_EN: 0
; COMPUTE_PGM_RSRC2:TIDIG_COMP_CNT: 0
; COMPUTE_PGM_RSRC3_GFX90A:ACCUM_OFFSET: 2
; COMPUTE_PGM_RSRC3_GFX90A:TG_SPLIT: 0
	.section	.text._ZN7rocprim17ROCPRIM_400000_NS6detail17trampoline_kernelINS0_14default_configENS1_35adjacent_difference_config_selectorILb0ElEEZNS1_24adjacent_difference_implIS3_Lb0ELb0EPlS7_ZN2at6native12_GLOBAL__N_124unique_dim_cuda_templateIfEESt5tupleIJNS8_6TensorESD_SD_EERKSD_lbbbEUlllE1_EE10hipError_tPvRmT2_T3_mT4_P12ihipStream_tbEUlT_E_NS1_11comp_targetILNS1_3genE10ELNS1_11target_archE1201ELNS1_3gpuE5ELNS1_3repE0EEENS1_30default_config_static_selectorELNS0_4arch9wavefront6targetE1EEEvT1_,"axG",@progbits,_ZN7rocprim17ROCPRIM_400000_NS6detail17trampoline_kernelINS0_14default_configENS1_35adjacent_difference_config_selectorILb0ElEEZNS1_24adjacent_difference_implIS3_Lb0ELb0EPlS7_ZN2at6native12_GLOBAL__N_124unique_dim_cuda_templateIfEESt5tupleIJNS8_6TensorESD_SD_EERKSD_lbbbEUlllE1_EE10hipError_tPvRmT2_T3_mT4_P12ihipStream_tbEUlT_E_NS1_11comp_targetILNS1_3genE10ELNS1_11target_archE1201ELNS1_3gpuE5ELNS1_3repE0EEENS1_30default_config_static_selectorELNS0_4arch9wavefront6targetE1EEEvT1_,comdat
	.globl	_ZN7rocprim17ROCPRIM_400000_NS6detail17trampoline_kernelINS0_14default_configENS1_35adjacent_difference_config_selectorILb0ElEEZNS1_24adjacent_difference_implIS3_Lb0ELb0EPlS7_ZN2at6native12_GLOBAL__N_124unique_dim_cuda_templateIfEESt5tupleIJNS8_6TensorESD_SD_EERKSD_lbbbEUlllE1_EE10hipError_tPvRmT2_T3_mT4_P12ihipStream_tbEUlT_E_NS1_11comp_targetILNS1_3genE10ELNS1_11target_archE1201ELNS1_3gpuE5ELNS1_3repE0EEENS1_30default_config_static_selectorELNS0_4arch9wavefront6targetE1EEEvT1_ ; -- Begin function _ZN7rocprim17ROCPRIM_400000_NS6detail17trampoline_kernelINS0_14default_configENS1_35adjacent_difference_config_selectorILb0ElEEZNS1_24adjacent_difference_implIS3_Lb0ELb0EPlS7_ZN2at6native12_GLOBAL__N_124unique_dim_cuda_templateIfEESt5tupleIJNS8_6TensorESD_SD_EERKSD_lbbbEUlllE1_EE10hipError_tPvRmT2_T3_mT4_P12ihipStream_tbEUlT_E_NS1_11comp_targetILNS1_3genE10ELNS1_11target_archE1201ELNS1_3gpuE5ELNS1_3repE0EEENS1_30default_config_static_selectorELNS0_4arch9wavefront6targetE1EEEvT1_
	.p2align	8
	.type	_ZN7rocprim17ROCPRIM_400000_NS6detail17trampoline_kernelINS0_14default_configENS1_35adjacent_difference_config_selectorILb0ElEEZNS1_24adjacent_difference_implIS3_Lb0ELb0EPlS7_ZN2at6native12_GLOBAL__N_124unique_dim_cuda_templateIfEESt5tupleIJNS8_6TensorESD_SD_EERKSD_lbbbEUlllE1_EE10hipError_tPvRmT2_T3_mT4_P12ihipStream_tbEUlT_E_NS1_11comp_targetILNS1_3genE10ELNS1_11target_archE1201ELNS1_3gpuE5ELNS1_3repE0EEENS1_30default_config_static_selectorELNS0_4arch9wavefront6targetE1EEEvT1_,@function
_ZN7rocprim17ROCPRIM_400000_NS6detail17trampoline_kernelINS0_14default_configENS1_35adjacent_difference_config_selectorILb0ElEEZNS1_24adjacent_difference_implIS3_Lb0ELb0EPlS7_ZN2at6native12_GLOBAL__N_124unique_dim_cuda_templateIfEESt5tupleIJNS8_6TensorESD_SD_EERKSD_lbbbEUlllE1_EE10hipError_tPvRmT2_T3_mT4_P12ihipStream_tbEUlT_E_NS1_11comp_targetILNS1_3genE10ELNS1_11target_archE1201ELNS1_3gpuE5ELNS1_3repE0EEENS1_30default_config_static_selectorELNS0_4arch9wavefront6targetE1EEEvT1_: ; @_ZN7rocprim17ROCPRIM_400000_NS6detail17trampoline_kernelINS0_14default_configENS1_35adjacent_difference_config_selectorILb0ElEEZNS1_24adjacent_difference_implIS3_Lb0ELb0EPlS7_ZN2at6native12_GLOBAL__N_124unique_dim_cuda_templateIfEESt5tupleIJNS8_6TensorESD_SD_EERKSD_lbbbEUlllE1_EE10hipError_tPvRmT2_T3_mT4_P12ihipStream_tbEUlT_E_NS1_11comp_targetILNS1_3genE10ELNS1_11target_archE1201ELNS1_3gpuE5ELNS1_3repE0EEENS1_30default_config_static_selectorELNS0_4arch9wavefront6targetE1EEEvT1_
; %bb.0:
	.section	.rodata,"a",@progbits
	.p2align	6, 0x0
	.amdhsa_kernel _ZN7rocprim17ROCPRIM_400000_NS6detail17trampoline_kernelINS0_14default_configENS1_35adjacent_difference_config_selectorILb0ElEEZNS1_24adjacent_difference_implIS3_Lb0ELb0EPlS7_ZN2at6native12_GLOBAL__N_124unique_dim_cuda_templateIfEESt5tupleIJNS8_6TensorESD_SD_EERKSD_lbbbEUlllE1_EE10hipError_tPvRmT2_T3_mT4_P12ihipStream_tbEUlT_E_NS1_11comp_targetILNS1_3genE10ELNS1_11target_archE1201ELNS1_3gpuE5ELNS1_3repE0EEENS1_30default_config_static_selectorELNS0_4arch9wavefront6targetE1EEEvT1_
		.amdhsa_group_segment_fixed_size 0
		.amdhsa_private_segment_fixed_size 0
		.amdhsa_kernarg_size 64
		.amdhsa_user_sgpr_count 2
		.amdhsa_user_sgpr_dispatch_ptr 0
		.amdhsa_user_sgpr_queue_ptr 0
		.amdhsa_user_sgpr_kernarg_segment_ptr 1
		.amdhsa_user_sgpr_dispatch_id 0
		.amdhsa_user_sgpr_kernarg_preload_length 0
		.amdhsa_user_sgpr_kernarg_preload_offset 0
		.amdhsa_user_sgpr_private_segment_size 0
		.amdhsa_uses_dynamic_stack 0
		.amdhsa_enable_private_segment 0
		.amdhsa_system_sgpr_workgroup_id_x 1
		.amdhsa_system_sgpr_workgroup_id_y 0
		.amdhsa_system_sgpr_workgroup_id_z 0
		.amdhsa_system_sgpr_workgroup_info 0
		.amdhsa_system_vgpr_workitem_id 0
		.amdhsa_next_free_vgpr 1
		.amdhsa_next_free_sgpr 0
		.amdhsa_accum_offset 4
		.amdhsa_reserve_vcc 0
		.amdhsa_float_round_mode_32 0
		.amdhsa_float_round_mode_16_64 0
		.amdhsa_float_denorm_mode_32 3
		.amdhsa_float_denorm_mode_16_64 3
		.amdhsa_dx10_clamp 1
		.amdhsa_ieee_mode 1
		.amdhsa_fp16_overflow 0
		.amdhsa_tg_split 0
		.amdhsa_exception_fp_ieee_invalid_op 0
		.amdhsa_exception_fp_denorm_src 0
		.amdhsa_exception_fp_ieee_div_zero 0
		.amdhsa_exception_fp_ieee_overflow 0
		.amdhsa_exception_fp_ieee_underflow 0
		.amdhsa_exception_fp_ieee_inexact 0
		.amdhsa_exception_int_div_zero 0
	.end_amdhsa_kernel
	.section	.text._ZN7rocprim17ROCPRIM_400000_NS6detail17trampoline_kernelINS0_14default_configENS1_35adjacent_difference_config_selectorILb0ElEEZNS1_24adjacent_difference_implIS3_Lb0ELb0EPlS7_ZN2at6native12_GLOBAL__N_124unique_dim_cuda_templateIfEESt5tupleIJNS8_6TensorESD_SD_EERKSD_lbbbEUlllE1_EE10hipError_tPvRmT2_T3_mT4_P12ihipStream_tbEUlT_E_NS1_11comp_targetILNS1_3genE10ELNS1_11target_archE1201ELNS1_3gpuE5ELNS1_3repE0EEENS1_30default_config_static_selectorELNS0_4arch9wavefront6targetE1EEEvT1_,"axG",@progbits,_ZN7rocprim17ROCPRIM_400000_NS6detail17trampoline_kernelINS0_14default_configENS1_35adjacent_difference_config_selectorILb0ElEEZNS1_24adjacent_difference_implIS3_Lb0ELb0EPlS7_ZN2at6native12_GLOBAL__N_124unique_dim_cuda_templateIfEESt5tupleIJNS8_6TensorESD_SD_EERKSD_lbbbEUlllE1_EE10hipError_tPvRmT2_T3_mT4_P12ihipStream_tbEUlT_E_NS1_11comp_targetILNS1_3genE10ELNS1_11target_archE1201ELNS1_3gpuE5ELNS1_3repE0EEENS1_30default_config_static_selectorELNS0_4arch9wavefront6targetE1EEEvT1_,comdat
.Lfunc_end905:
	.size	_ZN7rocprim17ROCPRIM_400000_NS6detail17trampoline_kernelINS0_14default_configENS1_35adjacent_difference_config_selectorILb0ElEEZNS1_24adjacent_difference_implIS3_Lb0ELb0EPlS7_ZN2at6native12_GLOBAL__N_124unique_dim_cuda_templateIfEESt5tupleIJNS8_6TensorESD_SD_EERKSD_lbbbEUlllE1_EE10hipError_tPvRmT2_T3_mT4_P12ihipStream_tbEUlT_E_NS1_11comp_targetILNS1_3genE10ELNS1_11target_archE1201ELNS1_3gpuE5ELNS1_3repE0EEENS1_30default_config_static_selectorELNS0_4arch9wavefront6targetE1EEEvT1_, .Lfunc_end905-_ZN7rocprim17ROCPRIM_400000_NS6detail17trampoline_kernelINS0_14default_configENS1_35adjacent_difference_config_selectorILb0ElEEZNS1_24adjacent_difference_implIS3_Lb0ELb0EPlS7_ZN2at6native12_GLOBAL__N_124unique_dim_cuda_templateIfEESt5tupleIJNS8_6TensorESD_SD_EERKSD_lbbbEUlllE1_EE10hipError_tPvRmT2_T3_mT4_P12ihipStream_tbEUlT_E_NS1_11comp_targetILNS1_3genE10ELNS1_11target_archE1201ELNS1_3gpuE5ELNS1_3repE0EEENS1_30default_config_static_selectorELNS0_4arch9wavefront6targetE1EEEvT1_
                                        ; -- End function
	.set _ZN7rocprim17ROCPRIM_400000_NS6detail17trampoline_kernelINS0_14default_configENS1_35adjacent_difference_config_selectorILb0ElEEZNS1_24adjacent_difference_implIS3_Lb0ELb0EPlS7_ZN2at6native12_GLOBAL__N_124unique_dim_cuda_templateIfEESt5tupleIJNS8_6TensorESD_SD_EERKSD_lbbbEUlllE1_EE10hipError_tPvRmT2_T3_mT4_P12ihipStream_tbEUlT_E_NS1_11comp_targetILNS1_3genE10ELNS1_11target_archE1201ELNS1_3gpuE5ELNS1_3repE0EEENS1_30default_config_static_selectorELNS0_4arch9wavefront6targetE1EEEvT1_.num_vgpr, 0
	.set _ZN7rocprim17ROCPRIM_400000_NS6detail17trampoline_kernelINS0_14default_configENS1_35adjacent_difference_config_selectorILb0ElEEZNS1_24adjacent_difference_implIS3_Lb0ELb0EPlS7_ZN2at6native12_GLOBAL__N_124unique_dim_cuda_templateIfEESt5tupleIJNS8_6TensorESD_SD_EERKSD_lbbbEUlllE1_EE10hipError_tPvRmT2_T3_mT4_P12ihipStream_tbEUlT_E_NS1_11comp_targetILNS1_3genE10ELNS1_11target_archE1201ELNS1_3gpuE5ELNS1_3repE0EEENS1_30default_config_static_selectorELNS0_4arch9wavefront6targetE1EEEvT1_.num_agpr, 0
	.set _ZN7rocprim17ROCPRIM_400000_NS6detail17trampoline_kernelINS0_14default_configENS1_35adjacent_difference_config_selectorILb0ElEEZNS1_24adjacent_difference_implIS3_Lb0ELb0EPlS7_ZN2at6native12_GLOBAL__N_124unique_dim_cuda_templateIfEESt5tupleIJNS8_6TensorESD_SD_EERKSD_lbbbEUlllE1_EE10hipError_tPvRmT2_T3_mT4_P12ihipStream_tbEUlT_E_NS1_11comp_targetILNS1_3genE10ELNS1_11target_archE1201ELNS1_3gpuE5ELNS1_3repE0EEENS1_30default_config_static_selectorELNS0_4arch9wavefront6targetE1EEEvT1_.numbered_sgpr, 0
	.set _ZN7rocprim17ROCPRIM_400000_NS6detail17trampoline_kernelINS0_14default_configENS1_35adjacent_difference_config_selectorILb0ElEEZNS1_24adjacent_difference_implIS3_Lb0ELb0EPlS7_ZN2at6native12_GLOBAL__N_124unique_dim_cuda_templateIfEESt5tupleIJNS8_6TensorESD_SD_EERKSD_lbbbEUlllE1_EE10hipError_tPvRmT2_T3_mT4_P12ihipStream_tbEUlT_E_NS1_11comp_targetILNS1_3genE10ELNS1_11target_archE1201ELNS1_3gpuE5ELNS1_3repE0EEENS1_30default_config_static_selectorELNS0_4arch9wavefront6targetE1EEEvT1_.num_named_barrier, 0
	.set _ZN7rocprim17ROCPRIM_400000_NS6detail17trampoline_kernelINS0_14default_configENS1_35adjacent_difference_config_selectorILb0ElEEZNS1_24adjacent_difference_implIS3_Lb0ELb0EPlS7_ZN2at6native12_GLOBAL__N_124unique_dim_cuda_templateIfEESt5tupleIJNS8_6TensorESD_SD_EERKSD_lbbbEUlllE1_EE10hipError_tPvRmT2_T3_mT4_P12ihipStream_tbEUlT_E_NS1_11comp_targetILNS1_3genE10ELNS1_11target_archE1201ELNS1_3gpuE5ELNS1_3repE0EEENS1_30default_config_static_selectorELNS0_4arch9wavefront6targetE1EEEvT1_.private_seg_size, 0
	.set _ZN7rocprim17ROCPRIM_400000_NS6detail17trampoline_kernelINS0_14default_configENS1_35adjacent_difference_config_selectorILb0ElEEZNS1_24adjacent_difference_implIS3_Lb0ELb0EPlS7_ZN2at6native12_GLOBAL__N_124unique_dim_cuda_templateIfEESt5tupleIJNS8_6TensorESD_SD_EERKSD_lbbbEUlllE1_EE10hipError_tPvRmT2_T3_mT4_P12ihipStream_tbEUlT_E_NS1_11comp_targetILNS1_3genE10ELNS1_11target_archE1201ELNS1_3gpuE5ELNS1_3repE0EEENS1_30default_config_static_selectorELNS0_4arch9wavefront6targetE1EEEvT1_.uses_vcc, 0
	.set _ZN7rocprim17ROCPRIM_400000_NS6detail17trampoline_kernelINS0_14default_configENS1_35adjacent_difference_config_selectorILb0ElEEZNS1_24adjacent_difference_implIS3_Lb0ELb0EPlS7_ZN2at6native12_GLOBAL__N_124unique_dim_cuda_templateIfEESt5tupleIJNS8_6TensorESD_SD_EERKSD_lbbbEUlllE1_EE10hipError_tPvRmT2_T3_mT4_P12ihipStream_tbEUlT_E_NS1_11comp_targetILNS1_3genE10ELNS1_11target_archE1201ELNS1_3gpuE5ELNS1_3repE0EEENS1_30default_config_static_selectorELNS0_4arch9wavefront6targetE1EEEvT1_.uses_flat_scratch, 0
	.set _ZN7rocprim17ROCPRIM_400000_NS6detail17trampoline_kernelINS0_14default_configENS1_35adjacent_difference_config_selectorILb0ElEEZNS1_24adjacent_difference_implIS3_Lb0ELb0EPlS7_ZN2at6native12_GLOBAL__N_124unique_dim_cuda_templateIfEESt5tupleIJNS8_6TensorESD_SD_EERKSD_lbbbEUlllE1_EE10hipError_tPvRmT2_T3_mT4_P12ihipStream_tbEUlT_E_NS1_11comp_targetILNS1_3genE10ELNS1_11target_archE1201ELNS1_3gpuE5ELNS1_3repE0EEENS1_30default_config_static_selectorELNS0_4arch9wavefront6targetE1EEEvT1_.has_dyn_sized_stack, 0
	.set _ZN7rocprim17ROCPRIM_400000_NS6detail17trampoline_kernelINS0_14default_configENS1_35adjacent_difference_config_selectorILb0ElEEZNS1_24adjacent_difference_implIS3_Lb0ELb0EPlS7_ZN2at6native12_GLOBAL__N_124unique_dim_cuda_templateIfEESt5tupleIJNS8_6TensorESD_SD_EERKSD_lbbbEUlllE1_EE10hipError_tPvRmT2_T3_mT4_P12ihipStream_tbEUlT_E_NS1_11comp_targetILNS1_3genE10ELNS1_11target_archE1201ELNS1_3gpuE5ELNS1_3repE0EEENS1_30default_config_static_selectorELNS0_4arch9wavefront6targetE1EEEvT1_.has_recursion, 0
	.set _ZN7rocprim17ROCPRIM_400000_NS6detail17trampoline_kernelINS0_14default_configENS1_35adjacent_difference_config_selectorILb0ElEEZNS1_24adjacent_difference_implIS3_Lb0ELb0EPlS7_ZN2at6native12_GLOBAL__N_124unique_dim_cuda_templateIfEESt5tupleIJNS8_6TensorESD_SD_EERKSD_lbbbEUlllE1_EE10hipError_tPvRmT2_T3_mT4_P12ihipStream_tbEUlT_E_NS1_11comp_targetILNS1_3genE10ELNS1_11target_archE1201ELNS1_3gpuE5ELNS1_3repE0EEENS1_30default_config_static_selectorELNS0_4arch9wavefront6targetE1EEEvT1_.has_indirect_call, 0
	.section	.AMDGPU.csdata,"",@progbits
; Kernel info:
; codeLenInByte = 0
; TotalNumSgprs: 6
; NumVgprs: 0
; NumAgprs: 0
; TotalNumVgprs: 0
; ScratchSize: 0
; MemoryBound: 0
; FloatMode: 240
; IeeeMode: 1
; LDSByteSize: 0 bytes/workgroup (compile time only)
; SGPRBlocks: 0
; VGPRBlocks: 0
; NumSGPRsForWavesPerEU: 6
; NumVGPRsForWavesPerEU: 1
; AccumOffset: 4
; Occupancy: 8
; WaveLimiterHint : 0
; COMPUTE_PGM_RSRC2:SCRATCH_EN: 0
; COMPUTE_PGM_RSRC2:USER_SGPR: 2
; COMPUTE_PGM_RSRC2:TRAP_HANDLER: 0
; COMPUTE_PGM_RSRC2:TGID_X_EN: 1
; COMPUTE_PGM_RSRC2:TGID_Y_EN: 0
; COMPUTE_PGM_RSRC2:TGID_Z_EN: 0
; COMPUTE_PGM_RSRC2:TIDIG_COMP_CNT: 0
; COMPUTE_PGM_RSRC3_GFX90A:ACCUM_OFFSET: 0
; COMPUTE_PGM_RSRC3_GFX90A:TG_SPLIT: 0
	.section	.text._ZN7rocprim17ROCPRIM_400000_NS6detail17trampoline_kernelINS0_14default_configENS1_35adjacent_difference_config_selectorILb0ElEEZNS1_24adjacent_difference_implIS3_Lb0ELb0EPlS7_ZN2at6native12_GLOBAL__N_124unique_dim_cuda_templateIfEESt5tupleIJNS8_6TensorESD_SD_EERKSD_lbbbEUlllE1_EE10hipError_tPvRmT2_T3_mT4_P12ihipStream_tbEUlT_E_NS1_11comp_targetILNS1_3genE5ELNS1_11target_archE942ELNS1_3gpuE9ELNS1_3repE0EEENS1_30default_config_static_selectorELNS0_4arch9wavefront6targetE1EEEvT1_,"axG",@progbits,_ZN7rocprim17ROCPRIM_400000_NS6detail17trampoline_kernelINS0_14default_configENS1_35adjacent_difference_config_selectorILb0ElEEZNS1_24adjacent_difference_implIS3_Lb0ELb0EPlS7_ZN2at6native12_GLOBAL__N_124unique_dim_cuda_templateIfEESt5tupleIJNS8_6TensorESD_SD_EERKSD_lbbbEUlllE1_EE10hipError_tPvRmT2_T3_mT4_P12ihipStream_tbEUlT_E_NS1_11comp_targetILNS1_3genE5ELNS1_11target_archE942ELNS1_3gpuE9ELNS1_3repE0EEENS1_30default_config_static_selectorELNS0_4arch9wavefront6targetE1EEEvT1_,comdat
	.globl	_ZN7rocprim17ROCPRIM_400000_NS6detail17trampoline_kernelINS0_14default_configENS1_35adjacent_difference_config_selectorILb0ElEEZNS1_24adjacent_difference_implIS3_Lb0ELb0EPlS7_ZN2at6native12_GLOBAL__N_124unique_dim_cuda_templateIfEESt5tupleIJNS8_6TensorESD_SD_EERKSD_lbbbEUlllE1_EE10hipError_tPvRmT2_T3_mT4_P12ihipStream_tbEUlT_E_NS1_11comp_targetILNS1_3genE5ELNS1_11target_archE942ELNS1_3gpuE9ELNS1_3repE0EEENS1_30default_config_static_selectorELNS0_4arch9wavefront6targetE1EEEvT1_ ; -- Begin function _ZN7rocprim17ROCPRIM_400000_NS6detail17trampoline_kernelINS0_14default_configENS1_35adjacent_difference_config_selectorILb0ElEEZNS1_24adjacent_difference_implIS3_Lb0ELb0EPlS7_ZN2at6native12_GLOBAL__N_124unique_dim_cuda_templateIfEESt5tupleIJNS8_6TensorESD_SD_EERKSD_lbbbEUlllE1_EE10hipError_tPvRmT2_T3_mT4_P12ihipStream_tbEUlT_E_NS1_11comp_targetILNS1_3genE5ELNS1_11target_archE942ELNS1_3gpuE9ELNS1_3repE0EEENS1_30default_config_static_selectorELNS0_4arch9wavefront6targetE1EEEvT1_
	.p2align	8
	.type	_ZN7rocprim17ROCPRIM_400000_NS6detail17trampoline_kernelINS0_14default_configENS1_35adjacent_difference_config_selectorILb0ElEEZNS1_24adjacent_difference_implIS3_Lb0ELb0EPlS7_ZN2at6native12_GLOBAL__N_124unique_dim_cuda_templateIfEESt5tupleIJNS8_6TensorESD_SD_EERKSD_lbbbEUlllE1_EE10hipError_tPvRmT2_T3_mT4_P12ihipStream_tbEUlT_E_NS1_11comp_targetILNS1_3genE5ELNS1_11target_archE942ELNS1_3gpuE9ELNS1_3repE0EEENS1_30default_config_static_selectorELNS0_4arch9wavefront6targetE1EEEvT1_,@function
_ZN7rocprim17ROCPRIM_400000_NS6detail17trampoline_kernelINS0_14default_configENS1_35adjacent_difference_config_selectorILb0ElEEZNS1_24adjacent_difference_implIS3_Lb0ELb0EPlS7_ZN2at6native12_GLOBAL__N_124unique_dim_cuda_templateIfEESt5tupleIJNS8_6TensorESD_SD_EERKSD_lbbbEUlllE1_EE10hipError_tPvRmT2_T3_mT4_P12ihipStream_tbEUlT_E_NS1_11comp_targetILNS1_3genE5ELNS1_11target_archE942ELNS1_3gpuE9ELNS1_3repE0EEENS1_30default_config_static_selectorELNS0_4arch9wavefront6targetE1EEEvT1_: ; @_ZN7rocprim17ROCPRIM_400000_NS6detail17trampoline_kernelINS0_14default_configENS1_35adjacent_difference_config_selectorILb0ElEEZNS1_24adjacent_difference_implIS3_Lb0ELb0EPlS7_ZN2at6native12_GLOBAL__N_124unique_dim_cuda_templateIfEESt5tupleIJNS8_6TensorESD_SD_EERKSD_lbbbEUlllE1_EE10hipError_tPvRmT2_T3_mT4_P12ihipStream_tbEUlT_E_NS1_11comp_targetILNS1_3genE5ELNS1_11target_archE942ELNS1_3gpuE9ELNS1_3repE0EEENS1_30default_config_static_selectorELNS0_4arch9wavefront6targetE1EEEvT1_
; %bb.0:
	.section	.rodata,"a",@progbits
	.p2align	6, 0x0
	.amdhsa_kernel _ZN7rocprim17ROCPRIM_400000_NS6detail17trampoline_kernelINS0_14default_configENS1_35adjacent_difference_config_selectorILb0ElEEZNS1_24adjacent_difference_implIS3_Lb0ELb0EPlS7_ZN2at6native12_GLOBAL__N_124unique_dim_cuda_templateIfEESt5tupleIJNS8_6TensorESD_SD_EERKSD_lbbbEUlllE1_EE10hipError_tPvRmT2_T3_mT4_P12ihipStream_tbEUlT_E_NS1_11comp_targetILNS1_3genE5ELNS1_11target_archE942ELNS1_3gpuE9ELNS1_3repE0EEENS1_30default_config_static_selectorELNS0_4arch9wavefront6targetE1EEEvT1_
		.amdhsa_group_segment_fixed_size 0
		.amdhsa_private_segment_fixed_size 0
		.amdhsa_kernarg_size 64
		.amdhsa_user_sgpr_count 2
		.amdhsa_user_sgpr_dispatch_ptr 0
		.amdhsa_user_sgpr_queue_ptr 0
		.amdhsa_user_sgpr_kernarg_segment_ptr 1
		.amdhsa_user_sgpr_dispatch_id 0
		.amdhsa_user_sgpr_kernarg_preload_length 0
		.amdhsa_user_sgpr_kernarg_preload_offset 0
		.amdhsa_user_sgpr_private_segment_size 0
		.amdhsa_uses_dynamic_stack 0
		.amdhsa_enable_private_segment 0
		.amdhsa_system_sgpr_workgroup_id_x 1
		.amdhsa_system_sgpr_workgroup_id_y 0
		.amdhsa_system_sgpr_workgroup_id_z 0
		.amdhsa_system_sgpr_workgroup_info 0
		.amdhsa_system_vgpr_workitem_id 0
		.amdhsa_next_free_vgpr 1
		.amdhsa_next_free_sgpr 0
		.amdhsa_accum_offset 4
		.amdhsa_reserve_vcc 0
		.amdhsa_float_round_mode_32 0
		.amdhsa_float_round_mode_16_64 0
		.amdhsa_float_denorm_mode_32 3
		.amdhsa_float_denorm_mode_16_64 3
		.amdhsa_dx10_clamp 1
		.amdhsa_ieee_mode 1
		.amdhsa_fp16_overflow 0
		.amdhsa_tg_split 0
		.amdhsa_exception_fp_ieee_invalid_op 0
		.amdhsa_exception_fp_denorm_src 0
		.amdhsa_exception_fp_ieee_div_zero 0
		.amdhsa_exception_fp_ieee_overflow 0
		.amdhsa_exception_fp_ieee_underflow 0
		.amdhsa_exception_fp_ieee_inexact 0
		.amdhsa_exception_int_div_zero 0
	.end_amdhsa_kernel
	.section	.text._ZN7rocprim17ROCPRIM_400000_NS6detail17trampoline_kernelINS0_14default_configENS1_35adjacent_difference_config_selectorILb0ElEEZNS1_24adjacent_difference_implIS3_Lb0ELb0EPlS7_ZN2at6native12_GLOBAL__N_124unique_dim_cuda_templateIfEESt5tupleIJNS8_6TensorESD_SD_EERKSD_lbbbEUlllE1_EE10hipError_tPvRmT2_T3_mT4_P12ihipStream_tbEUlT_E_NS1_11comp_targetILNS1_3genE5ELNS1_11target_archE942ELNS1_3gpuE9ELNS1_3repE0EEENS1_30default_config_static_selectorELNS0_4arch9wavefront6targetE1EEEvT1_,"axG",@progbits,_ZN7rocprim17ROCPRIM_400000_NS6detail17trampoline_kernelINS0_14default_configENS1_35adjacent_difference_config_selectorILb0ElEEZNS1_24adjacent_difference_implIS3_Lb0ELb0EPlS7_ZN2at6native12_GLOBAL__N_124unique_dim_cuda_templateIfEESt5tupleIJNS8_6TensorESD_SD_EERKSD_lbbbEUlllE1_EE10hipError_tPvRmT2_T3_mT4_P12ihipStream_tbEUlT_E_NS1_11comp_targetILNS1_3genE5ELNS1_11target_archE942ELNS1_3gpuE9ELNS1_3repE0EEENS1_30default_config_static_selectorELNS0_4arch9wavefront6targetE1EEEvT1_,comdat
.Lfunc_end906:
	.size	_ZN7rocprim17ROCPRIM_400000_NS6detail17trampoline_kernelINS0_14default_configENS1_35adjacent_difference_config_selectorILb0ElEEZNS1_24adjacent_difference_implIS3_Lb0ELb0EPlS7_ZN2at6native12_GLOBAL__N_124unique_dim_cuda_templateIfEESt5tupleIJNS8_6TensorESD_SD_EERKSD_lbbbEUlllE1_EE10hipError_tPvRmT2_T3_mT4_P12ihipStream_tbEUlT_E_NS1_11comp_targetILNS1_3genE5ELNS1_11target_archE942ELNS1_3gpuE9ELNS1_3repE0EEENS1_30default_config_static_selectorELNS0_4arch9wavefront6targetE1EEEvT1_, .Lfunc_end906-_ZN7rocprim17ROCPRIM_400000_NS6detail17trampoline_kernelINS0_14default_configENS1_35adjacent_difference_config_selectorILb0ElEEZNS1_24adjacent_difference_implIS3_Lb0ELb0EPlS7_ZN2at6native12_GLOBAL__N_124unique_dim_cuda_templateIfEESt5tupleIJNS8_6TensorESD_SD_EERKSD_lbbbEUlllE1_EE10hipError_tPvRmT2_T3_mT4_P12ihipStream_tbEUlT_E_NS1_11comp_targetILNS1_3genE5ELNS1_11target_archE942ELNS1_3gpuE9ELNS1_3repE0EEENS1_30default_config_static_selectorELNS0_4arch9wavefront6targetE1EEEvT1_
                                        ; -- End function
	.set _ZN7rocprim17ROCPRIM_400000_NS6detail17trampoline_kernelINS0_14default_configENS1_35adjacent_difference_config_selectorILb0ElEEZNS1_24adjacent_difference_implIS3_Lb0ELb0EPlS7_ZN2at6native12_GLOBAL__N_124unique_dim_cuda_templateIfEESt5tupleIJNS8_6TensorESD_SD_EERKSD_lbbbEUlllE1_EE10hipError_tPvRmT2_T3_mT4_P12ihipStream_tbEUlT_E_NS1_11comp_targetILNS1_3genE5ELNS1_11target_archE942ELNS1_3gpuE9ELNS1_3repE0EEENS1_30default_config_static_selectorELNS0_4arch9wavefront6targetE1EEEvT1_.num_vgpr, 0
	.set _ZN7rocprim17ROCPRIM_400000_NS6detail17trampoline_kernelINS0_14default_configENS1_35adjacent_difference_config_selectorILb0ElEEZNS1_24adjacent_difference_implIS3_Lb0ELb0EPlS7_ZN2at6native12_GLOBAL__N_124unique_dim_cuda_templateIfEESt5tupleIJNS8_6TensorESD_SD_EERKSD_lbbbEUlllE1_EE10hipError_tPvRmT2_T3_mT4_P12ihipStream_tbEUlT_E_NS1_11comp_targetILNS1_3genE5ELNS1_11target_archE942ELNS1_3gpuE9ELNS1_3repE0EEENS1_30default_config_static_selectorELNS0_4arch9wavefront6targetE1EEEvT1_.num_agpr, 0
	.set _ZN7rocprim17ROCPRIM_400000_NS6detail17trampoline_kernelINS0_14default_configENS1_35adjacent_difference_config_selectorILb0ElEEZNS1_24adjacent_difference_implIS3_Lb0ELb0EPlS7_ZN2at6native12_GLOBAL__N_124unique_dim_cuda_templateIfEESt5tupleIJNS8_6TensorESD_SD_EERKSD_lbbbEUlllE1_EE10hipError_tPvRmT2_T3_mT4_P12ihipStream_tbEUlT_E_NS1_11comp_targetILNS1_3genE5ELNS1_11target_archE942ELNS1_3gpuE9ELNS1_3repE0EEENS1_30default_config_static_selectorELNS0_4arch9wavefront6targetE1EEEvT1_.numbered_sgpr, 0
	.set _ZN7rocprim17ROCPRIM_400000_NS6detail17trampoline_kernelINS0_14default_configENS1_35adjacent_difference_config_selectorILb0ElEEZNS1_24adjacent_difference_implIS3_Lb0ELb0EPlS7_ZN2at6native12_GLOBAL__N_124unique_dim_cuda_templateIfEESt5tupleIJNS8_6TensorESD_SD_EERKSD_lbbbEUlllE1_EE10hipError_tPvRmT2_T3_mT4_P12ihipStream_tbEUlT_E_NS1_11comp_targetILNS1_3genE5ELNS1_11target_archE942ELNS1_3gpuE9ELNS1_3repE0EEENS1_30default_config_static_selectorELNS0_4arch9wavefront6targetE1EEEvT1_.num_named_barrier, 0
	.set _ZN7rocprim17ROCPRIM_400000_NS6detail17trampoline_kernelINS0_14default_configENS1_35adjacent_difference_config_selectorILb0ElEEZNS1_24adjacent_difference_implIS3_Lb0ELb0EPlS7_ZN2at6native12_GLOBAL__N_124unique_dim_cuda_templateIfEESt5tupleIJNS8_6TensorESD_SD_EERKSD_lbbbEUlllE1_EE10hipError_tPvRmT2_T3_mT4_P12ihipStream_tbEUlT_E_NS1_11comp_targetILNS1_3genE5ELNS1_11target_archE942ELNS1_3gpuE9ELNS1_3repE0EEENS1_30default_config_static_selectorELNS0_4arch9wavefront6targetE1EEEvT1_.private_seg_size, 0
	.set _ZN7rocprim17ROCPRIM_400000_NS6detail17trampoline_kernelINS0_14default_configENS1_35adjacent_difference_config_selectorILb0ElEEZNS1_24adjacent_difference_implIS3_Lb0ELb0EPlS7_ZN2at6native12_GLOBAL__N_124unique_dim_cuda_templateIfEESt5tupleIJNS8_6TensorESD_SD_EERKSD_lbbbEUlllE1_EE10hipError_tPvRmT2_T3_mT4_P12ihipStream_tbEUlT_E_NS1_11comp_targetILNS1_3genE5ELNS1_11target_archE942ELNS1_3gpuE9ELNS1_3repE0EEENS1_30default_config_static_selectorELNS0_4arch9wavefront6targetE1EEEvT1_.uses_vcc, 0
	.set _ZN7rocprim17ROCPRIM_400000_NS6detail17trampoline_kernelINS0_14default_configENS1_35adjacent_difference_config_selectorILb0ElEEZNS1_24adjacent_difference_implIS3_Lb0ELb0EPlS7_ZN2at6native12_GLOBAL__N_124unique_dim_cuda_templateIfEESt5tupleIJNS8_6TensorESD_SD_EERKSD_lbbbEUlllE1_EE10hipError_tPvRmT2_T3_mT4_P12ihipStream_tbEUlT_E_NS1_11comp_targetILNS1_3genE5ELNS1_11target_archE942ELNS1_3gpuE9ELNS1_3repE0EEENS1_30default_config_static_selectorELNS0_4arch9wavefront6targetE1EEEvT1_.uses_flat_scratch, 0
	.set _ZN7rocprim17ROCPRIM_400000_NS6detail17trampoline_kernelINS0_14default_configENS1_35adjacent_difference_config_selectorILb0ElEEZNS1_24adjacent_difference_implIS3_Lb0ELb0EPlS7_ZN2at6native12_GLOBAL__N_124unique_dim_cuda_templateIfEESt5tupleIJNS8_6TensorESD_SD_EERKSD_lbbbEUlllE1_EE10hipError_tPvRmT2_T3_mT4_P12ihipStream_tbEUlT_E_NS1_11comp_targetILNS1_3genE5ELNS1_11target_archE942ELNS1_3gpuE9ELNS1_3repE0EEENS1_30default_config_static_selectorELNS0_4arch9wavefront6targetE1EEEvT1_.has_dyn_sized_stack, 0
	.set _ZN7rocprim17ROCPRIM_400000_NS6detail17trampoline_kernelINS0_14default_configENS1_35adjacent_difference_config_selectorILb0ElEEZNS1_24adjacent_difference_implIS3_Lb0ELb0EPlS7_ZN2at6native12_GLOBAL__N_124unique_dim_cuda_templateIfEESt5tupleIJNS8_6TensorESD_SD_EERKSD_lbbbEUlllE1_EE10hipError_tPvRmT2_T3_mT4_P12ihipStream_tbEUlT_E_NS1_11comp_targetILNS1_3genE5ELNS1_11target_archE942ELNS1_3gpuE9ELNS1_3repE0EEENS1_30default_config_static_selectorELNS0_4arch9wavefront6targetE1EEEvT1_.has_recursion, 0
	.set _ZN7rocprim17ROCPRIM_400000_NS6detail17trampoline_kernelINS0_14default_configENS1_35adjacent_difference_config_selectorILb0ElEEZNS1_24adjacent_difference_implIS3_Lb0ELb0EPlS7_ZN2at6native12_GLOBAL__N_124unique_dim_cuda_templateIfEESt5tupleIJNS8_6TensorESD_SD_EERKSD_lbbbEUlllE1_EE10hipError_tPvRmT2_T3_mT4_P12ihipStream_tbEUlT_E_NS1_11comp_targetILNS1_3genE5ELNS1_11target_archE942ELNS1_3gpuE9ELNS1_3repE0EEENS1_30default_config_static_selectorELNS0_4arch9wavefront6targetE1EEEvT1_.has_indirect_call, 0
	.section	.AMDGPU.csdata,"",@progbits
; Kernel info:
; codeLenInByte = 0
; TotalNumSgprs: 6
; NumVgprs: 0
; NumAgprs: 0
; TotalNumVgprs: 0
; ScratchSize: 0
; MemoryBound: 0
; FloatMode: 240
; IeeeMode: 1
; LDSByteSize: 0 bytes/workgroup (compile time only)
; SGPRBlocks: 0
; VGPRBlocks: 0
; NumSGPRsForWavesPerEU: 6
; NumVGPRsForWavesPerEU: 1
; AccumOffset: 4
; Occupancy: 8
; WaveLimiterHint : 0
; COMPUTE_PGM_RSRC2:SCRATCH_EN: 0
; COMPUTE_PGM_RSRC2:USER_SGPR: 2
; COMPUTE_PGM_RSRC2:TRAP_HANDLER: 0
; COMPUTE_PGM_RSRC2:TGID_X_EN: 1
; COMPUTE_PGM_RSRC2:TGID_Y_EN: 0
; COMPUTE_PGM_RSRC2:TGID_Z_EN: 0
; COMPUTE_PGM_RSRC2:TIDIG_COMP_CNT: 0
; COMPUTE_PGM_RSRC3_GFX90A:ACCUM_OFFSET: 0
; COMPUTE_PGM_RSRC3_GFX90A:TG_SPLIT: 0
	.section	.text._ZN7rocprim17ROCPRIM_400000_NS6detail17trampoline_kernelINS0_14default_configENS1_35adjacent_difference_config_selectorILb0ElEEZNS1_24adjacent_difference_implIS3_Lb0ELb0EPlS7_ZN2at6native12_GLOBAL__N_124unique_dim_cuda_templateIfEESt5tupleIJNS8_6TensorESD_SD_EERKSD_lbbbEUlllE1_EE10hipError_tPvRmT2_T3_mT4_P12ihipStream_tbEUlT_E_NS1_11comp_targetILNS1_3genE4ELNS1_11target_archE910ELNS1_3gpuE8ELNS1_3repE0EEENS1_30default_config_static_selectorELNS0_4arch9wavefront6targetE1EEEvT1_,"axG",@progbits,_ZN7rocprim17ROCPRIM_400000_NS6detail17trampoline_kernelINS0_14default_configENS1_35adjacent_difference_config_selectorILb0ElEEZNS1_24adjacent_difference_implIS3_Lb0ELb0EPlS7_ZN2at6native12_GLOBAL__N_124unique_dim_cuda_templateIfEESt5tupleIJNS8_6TensorESD_SD_EERKSD_lbbbEUlllE1_EE10hipError_tPvRmT2_T3_mT4_P12ihipStream_tbEUlT_E_NS1_11comp_targetILNS1_3genE4ELNS1_11target_archE910ELNS1_3gpuE8ELNS1_3repE0EEENS1_30default_config_static_selectorELNS0_4arch9wavefront6targetE1EEEvT1_,comdat
	.globl	_ZN7rocprim17ROCPRIM_400000_NS6detail17trampoline_kernelINS0_14default_configENS1_35adjacent_difference_config_selectorILb0ElEEZNS1_24adjacent_difference_implIS3_Lb0ELb0EPlS7_ZN2at6native12_GLOBAL__N_124unique_dim_cuda_templateIfEESt5tupleIJNS8_6TensorESD_SD_EERKSD_lbbbEUlllE1_EE10hipError_tPvRmT2_T3_mT4_P12ihipStream_tbEUlT_E_NS1_11comp_targetILNS1_3genE4ELNS1_11target_archE910ELNS1_3gpuE8ELNS1_3repE0EEENS1_30default_config_static_selectorELNS0_4arch9wavefront6targetE1EEEvT1_ ; -- Begin function _ZN7rocprim17ROCPRIM_400000_NS6detail17trampoline_kernelINS0_14default_configENS1_35adjacent_difference_config_selectorILb0ElEEZNS1_24adjacent_difference_implIS3_Lb0ELb0EPlS7_ZN2at6native12_GLOBAL__N_124unique_dim_cuda_templateIfEESt5tupleIJNS8_6TensorESD_SD_EERKSD_lbbbEUlllE1_EE10hipError_tPvRmT2_T3_mT4_P12ihipStream_tbEUlT_E_NS1_11comp_targetILNS1_3genE4ELNS1_11target_archE910ELNS1_3gpuE8ELNS1_3repE0EEENS1_30default_config_static_selectorELNS0_4arch9wavefront6targetE1EEEvT1_
	.p2align	8
	.type	_ZN7rocprim17ROCPRIM_400000_NS6detail17trampoline_kernelINS0_14default_configENS1_35adjacent_difference_config_selectorILb0ElEEZNS1_24adjacent_difference_implIS3_Lb0ELb0EPlS7_ZN2at6native12_GLOBAL__N_124unique_dim_cuda_templateIfEESt5tupleIJNS8_6TensorESD_SD_EERKSD_lbbbEUlllE1_EE10hipError_tPvRmT2_T3_mT4_P12ihipStream_tbEUlT_E_NS1_11comp_targetILNS1_3genE4ELNS1_11target_archE910ELNS1_3gpuE8ELNS1_3repE0EEENS1_30default_config_static_selectorELNS0_4arch9wavefront6targetE1EEEvT1_,@function
_ZN7rocprim17ROCPRIM_400000_NS6detail17trampoline_kernelINS0_14default_configENS1_35adjacent_difference_config_selectorILb0ElEEZNS1_24adjacent_difference_implIS3_Lb0ELb0EPlS7_ZN2at6native12_GLOBAL__N_124unique_dim_cuda_templateIfEESt5tupleIJNS8_6TensorESD_SD_EERKSD_lbbbEUlllE1_EE10hipError_tPvRmT2_T3_mT4_P12ihipStream_tbEUlT_E_NS1_11comp_targetILNS1_3genE4ELNS1_11target_archE910ELNS1_3gpuE8ELNS1_3repE0EEENS1_30default_config_static_selectorELNS0_4arch9wavefront6targetE1EEEvT1_: ; @_ZN7rocprim17ROCPRIM_400000_NS6detail17trampoline_kernelINS0_14default_configENS1_35adjacent_difference_config_selectorILb0ElEEZNS1_24adjacent_difference_implIS3_Lb0ELb0EPlS7_ZN2at6native12_GLOBAL__N_124unique_dim_cuda_templateIfEESt5tupleIJNS8_6TensorESD_SD_EERKSD_lbbbEUlllE1_EE10hipError_tPvRmT2_T3_mT4_P12ihipStream_tbEUlT_E_NS1_11comp_targetILNS1_3genE4ELNS1_11target_archE910ELNS1_3gpuE8ELNS1_3repE0EEENS1_30default_config_static_selectorELNS0_4arch9wavefront6targetE1EEEvT1_
; %bb.0:
	.section	.rodata,"a",@progbits
	.p2align	6, 0x0
	.amdhsa_kernel _ZN7rocprim17ROCPRIM_400000_NS6detail17trampoline_kernelINS0_14default_configENS1_35adjacent_difference_config_selectorILb0ElEEZNS1_24adjacent_difference_implIS3_Lb0ELb0EPlS7_ZN2at6native12_GLOBAL__N_124unique_dim_cuda_templateIfEESt5tupleIJNS8_6TensorESD_SD_EERKSD_lbbbEUlllE1_EE10hipError_tPvRmT2_T3_mT4_P12ihipStream_tbEUlT_E_NS1_11comp_targetILNS1_3genE4ELNS1_11target_archE910ELNS1_3gpuE8ELNS1_3repE0EEENS1_30default_config_static_selectorELNS0_4arch9wavefront6targetE1EEEvT1_
		.amdhsa_group_segment_fixed_size 0
		.amdhsa_private_segment_fixed_size 0
		.amdhsa_kernarg_size 64
		.amdhsa_user_sgpr_count 2
		.amdhsa_user_sgpr_dispatch_ptr 0
		.amdhsa_user_sgpr_queue_ptr 0
		.amdhsa_user_sgpr_kernarg_segment_ptr 1
		.amdhsa_user_sgpr_dispatch_id 0
		.amdhsa_user_sgpr_kernarg_preload_length 0
		.amdhsa_user_sgpr_kernarg_preload_offset 0
		.amdhsa_user_sgpr_private_segment_size 0
		.amdhsa_uses_dynamic_stack 0
		.amdhsa_enable_private_segment 0
		.amdhsa_system_sgpr_workgroup_id_x 1
		.amdhsa_system_sgpr_workgroup_id_y 0
		.amdhsa_system_sgpr_workgroup_id_z 0
		.amdhsa_system_sgpr_workgroup_info 0
		.amdhsa_system_vgpr_workitem_id 0
		.amdhsa_next_free_vgpr 1
		.amdhsa_next_free_sgpr 0
		.amdhsa_accum_offset 4
		.amdhsa_reserve_vcc 0
		.amdhsa_float_round_mode_32 0
		.amdhsa_float_round_mode_16_64 0
		.amdhsa_float_denorm_mode_32 3
		.amdhsa_float_denorm_mode_16_64 3
		.amdhsa_dx10_clamp 1
		.amdhsa_ieee_mode 1
		.amdhsa_fp16_overflow 0
		.amdhsa_tg_split 0
		.amdhsa_exception_fp_ieee_invalid_op 0
		.amdhsa_exception_fp_denorm_src 0
		.amdhsa_exception_fp_ieee_div_zero 0
		.amdhsa_exception_fp_ieee_overflow 0
		.amdhsa_exception_fp_ieee_underflow 0
		.amdhsa_exception_fp_ieee_inexact 0
		.amdhsa_exception_int_div_zero 0
	.end_amdhsa_kernel
	.section	.text._ZN7rocprim17ROCPRIM_400000_NS6detail17trampoline_kernelINS0_14default_configENS1_35adjacent_difference_config_selectorILb0ElEEZNS1_24adjacent_difference_implIS3_Lb0ELb0EPlS7_ZN2at6native12_GLOBAL__N_124unique_dim_cuda_templateIfEESt5tupleIJNS8_6TensorESD_SD_EERKSD_lbbbEUlllE1_EE10hipError_tPvRmT2_T3_mT4_P12ihipStream_tbEUlT_E_NS1_11comp_targetILNS1_3genE4ELNS1_11target_archE910ELNS1_3gpuE8ELNS1_3repE0EEENS1_30default_config_static_selectorELNS0_4arch9wavefront6targetE1EEEvT1_,"axG",@progbits,_ZN7rocprim17ROCPRIM_400000_NS6detail17trampoline_kernelINS0_14default_configENS1_35adjacent_difference_config_selectorILb0ElEEZNS1_24adjacent_difference_implIS3_Lb0ELb0EPlS7_ZN2at6native12_GLOBAL__N_124unique_dim_cuda_templateIfEESt5tupleIJNS8_6TensorESD_SD_EERKSD_lbbbEUlllE1_EE10hipError_tPvRmT2_T3_mT4_P12ihipStream_tbEUlT_E_NS1_11comp_targetILNS1_3genE4ELNS1_11target_archE910ELNS1_3gpuE8ELNS1_3repE0EEENS1_30default_config_static_selectorELNS0_4arch9wavefront6targetE1EEEvT1_,comdat
.Lfunc_end907:
	.size	_ZN7rocprim17ROCPRIM_400000_NS6detail17trampoline_kernelINS0_14default_configENS1_35adjacent_difference_config_selectorILb0ElEEZNS1_24adjacent_difference_implIS3_Lb0ELb0EPlS7_ZN2at6native12_GLOBAL__N_124unique_dim_cuda_templateIfEESt5tupleIJNS8_6TensorESD_SD_EERKSD_lbbbEUlllE1_EE10hipError_tPvRmT2_T3_mT4_P12ihipStream_tbEUlT_E_NS1_11comp_targetILNS1_3genE4ELNS1_11target_archE910ELNS1_3gpuE8ELNS1_3repE0EEENS1_30default_config_static_selectorELNS0_4arch9wavefront6targetE1EEEvT1_, .Lfunc_end907-_ZN7rocprim17ROCPRIM_400000_NS6detail17trampoline_kernelINS0_14default_configENS1_35adjacent_difference_config_selectorILb0ElEEZNS1_24adjacent_difference_implIS3_Lb0ELb0EPlS7_ZN2at6native12_GLOBAL__N_124unique_dim_cuda_templateIfEESt5tupleIJNS8_6TensorESD_SD_EERKSD_lbbbEUlllE1_EE10hipError_tPvRmT2_T3_mT4_P12ihipStream_tbEUlT_E_NS1_11comp_targetILNS1_3genE4ELNS1_11target_archE910ELNS1_3gpuE8ELNS1_3repE0EEENS1_30default_config_static_selectorELNS0_4arch9wavefront6targetE1EEEvT1_
                                        ; -- End function
	.set _ZN7rocprim17ROCPRIM_400000_NS6detail17trampoline_kernelINS0_14default_configENS1_35adjacent_difference_config_selectorILb0ElEEZNS1_24adjacent_difference_implIS3_Lb0ELb0EPlS7_ZN2at6native12_GLOBAL__N_124unique_dim_cuda_templateIfEESt5tupleIJNS8_6TensorESD_SD_EERKSD_lbbbEUlllE1_EE10hipError_tPvRmT2_T3_mT4_P12ihipStream_tbEUlT_E_NS1_11comp_targetILNS1_3genE4ELNS1_11target_archE910ELNS1_3gpuE8ELNS1_3repE0EEENS1_30default_config_static_selectorELNS0_4arch9wavefront6targetE1EEEvT1_.num_vgpr, 0
	.set _ZN7rocprim17ROCPRIM_400000_NS6detail17trampoline_kernelINS0_14default_configENS1_35adjacent_difference_config_selectorILb0ElEEZNS1_24adjacent_difference_implIS3_Lb0ELb0EPlS7_ZN2at6native12_GLOBAL__N_124unique_dim_cuda_templateIfEESt5tupleIJNS8_6TensorESD_SD_EERKSD_lbbbEUlllE1_EE10hipError_tPvRmT2_T3_mT4_P12ihipStream_tbEUlT_E_NS1_11comp_targetILNS1_3genE4ELNS1_11target_archE910ELNS1_3gpuE8ELNS1_3repE0EEENS1_30default_config_static_selectorELNS0_4arch9wavefront6targetE1EEEvT1_.num_agpr, 0
	.set _ZN7rocprim17ROCPRIM_400000_NS6detail17trampoline_kernelINS0_14default_configENS1_35adjacent_difference_config_selectorILb0ElEEZNS1_24adjacent_difference_implIS3_Lb0ELb0EPlS7_ZN2at6native12_GLOBAL__N_124unique_dim_cuda_templateIfEESt5tupleIJNS8_6TensorESD_SD_EERKSD_lbbbEUlllE1_EE10hipError_tPvRmT2_T3_mT4_P12ihipStream_tbEUlT_E_NS1_11comp_targetILNS1_3genE4ELNS1_11target_archE910ELNS1_3gpuE8ELNS1_3repE0EEENS1_30default_config_static_selectorELNS0_4arch9wavefront6targetE1EEEvT1_.numbered_sgpr, 0
	.set _ZN7rocprim17ROCPRIM_400000_NS6detail17trampoline_kernelINS0_14default_configENS1_35adjacent_difference_config_selectorILb0ElEEZNS1_24adjacent_difference_implIS3_Lb0ELb0EPlS7_ZN2at6native12_GLOBAL__N_124unique_dim_cuda_templateIfEESt5tupleIJNS8_6TensorESD_SD_EERKSD_lbbbEUlllE1_EE10hipError_tPvRmT2_T3_mT4_P12ihipStream_tbEUlT_E_NS1_11comp_targetILNS1_3genE4ELNS1_11target_archE910ELNS1_3gpuE8ELNS1_3repE0EEENS1_30default_config_static_selectorELNS0_4arch9wavefront6targetE1EEEvT1_.num_named_barrier, 0
	.set _ZN7rocprim17ROCPRIM_400000_NS6detail17trampoline_kernelINS0_14default_configENS1_35adjacent_difference_config_selectorILb0ElEEZNS1_24adjacent_difference_implIS3_Lb0ELb0EPlS7_ZN2at6native12_GLOBAL__N_124unique_dim_cuda_templateIfEESt5tupleIJNS8_6TensorESD_SD_EERKSD_lbbbEUlllE1_EE10hipError_tPvRmT2_T3_mT4_P12ihipStream_tbEUlT_E_NS1_11comp_targetILNS1_3genE4ELNS1_11target_archE910ELNS1_3gpuE8ELNS1_3repE0EEENS1_30default_config_static_selectorELNS0_4arch9wavefront6targetE1EEEvT1_.private_seg_size, 0
	.set _ZN7rocprim17ROCPRIM_400000_NS6detail17trampoline_kernelINS0_14default_configENS1_35adjacent_difference_config_selectorILb0ElEEZNS1_24adjacent_difference_implIS3_Lb0ELb0EPlS7_ZN2at6native12_GLOBAL__N_124unique_dim_cuda_templateIfEESt5tupleIJNS8_6TensorESD_SD_EERKSD_lbbbEUlllE1_EE10hipError_tPvRmT2_T3_mT4_P12ihipStream_tbEUlT_E_NS1_11comp_targetILNS1_3genE4ELNS1_11target_archE910ELNS1_3gpuE8ELNS1_3repE0EEENS1_30default_config_static_selectorELNS0_4arch9wavefront6targetE1EEEvT1_.uses_vcc, 0
	.set _ZN7rocprim17ROCPRIM_400000_NS6detail17trampoline_kernelINS0_14default_configENS1_35adjacent_difference_config_selectorILb0ElEEZNS1_24adjacent_difference_implIS3_Lb0ELb0EPlS7_ZN2at6native12_GLOBAL__N_124unique_dim_cuda_templateIfEESt5tupleIJNS8_6TensorESD_SD_EERKSD_lbbbEUlllE1_EE10hipError_tPvRmT2_T3_mT4_P12ihipStream_tbEUlT_E_NS1_11comp_targetILNS1_3genE4ELNS1_11target_archE910ELNS1_3gpuE8ELNS1_3repE0EEENS1_30default_config_static_selectorELNS0_4arch9wavefront6targetE1EEEvT1_.uses_flat_scratch, 0
	.set _ZN7rocprim17ROCPRIM_400000_NS6detail17trampoline_kernelINS0_14default_configENS1_35adjacent_difference_config_selectorILb0ElEEZNS1_24adjacent_difference_implIS3_Lb0ELb0EPlS7_ZN2at6native12_GLOBAL__N_124unique_dim_cuda_templateIfEESt5tupleIJNS8_6TensorESD_SD_EERKSD_lbbbEUlllE1_EE10hipError_tPvRmT2_T3_mT4_P12ihipStream_tbEUlT_E_NS1_11comp_targetILNS1_3genE4ELNS1_11target_archE910ELNS1_3gpuE8ELNS1_3repE0EEENS1_30default_config_static_selectorELNS0_4arch9wavefront6targetE1EEEvT1_.has_dyn_sized_stack, 0
	.set _ZN7rocprim17ROCPRIM_400000_NS6detail17trampoline_kernelINS0_14default_configENS1_35adjacent_difference_config_selectorILb0ElEEZNS1_24adjacent_difference_implIS3_Lb0ELb0EPlS7_ZN2at6native12_GLOBAL__N_124unique_dim_cuda_templateIfEESt5tupleIJNS8_6TensorESD_SD_EERKSD_lbbbEUlllE1_EE10hipError_tPvRmT2_T3_mT4_P12ihipStream_tbEUlT_E_NS1_11comp_targetILNS1_3genE4ELNS1_11target_archE910ELNS1_3gpuE8ELNS1_3repE0EEENS1_30default_config_static_selectorELNS0_4arch9wavefront6targetE1EEEvT1_.has_recursion, 0
	.set _ZN7rocprim17ROCPRIM_400000_NS6detail17trampoline_kernelINS0_14default_configENS1_35adjacent_difference_config_selectorILb0ElEEZNS1_24adjacent_difference_implIS3_Lb0ELb0EPlS7_ZN2at6native12_GLOBAL__N_124unique_dim_cuda_templateIfEESt5tupleIJNS8_6TensorESD_SD_EERKSD_lbbbEUlllE1_EE10hipError_tPvRmT2_T3_mT4_P12ihipStream_tbEUlT_E_NS1_11comp_targetILNS1_3genE4ELNS1_11target_archE910ELNS1_3gpuE8ELNS1_3repE0EEENS1_30default_config_static_selectorELNS0_4arch9wavefront6targetE1EEEvT1_.has_indirect_call, 0
	.section	.AMDGPU.csdata,"",@progbits
; Kernel info:
; codeLenInByte = 0
; TotalNumSgprs: 6
; NumVgprs: 0
; NumAgprs: 0
; TotalNumVgprs: 0
; ScratchSize: 0
; MemoryBound: 0
; FloatMode: 240
; IeeeMode: 1
; LDSByteSize: 0 bytes/workgroup (compile time only)
; SGPRBlocks: 0
; VGPRBlocks: 0
; NumSGPRsForWavesPerEU: 6
; NumVGPRsForWavesPerEU: 1
; AccumOffset: 4
; Occupancy: 8
; WaveLimiterHint : 0
; COMPUTE_PGM_RSRC2:SCRATCH_EN: 0
; COMPUTE_PGM_RSRC2:USER_SGPR: 2
; COMPUTE_PGM_RSRC2:TRAP_HANDLER: 0
; COMPUTE_PGM_RSRC2:TGID_X_EN: 1
; COMPUTE_PGM_RSRC2:TGID_Y_EN: 0
; COMPUTE_PGM_RSRC2:TGID_Z_EN: 0
; COMPUTE_PGM_RSRC2:TIDIG_COMP_CNT: 0
; COMPUTE_PGM_RSRC3_GFX90A:ACCUM_OFFSET: 0
; COMPUTE_PGM_RSRC3_GFX90A:TG_SPLIT: 0
	.section	.text._ZN7rocprim17ROCPRIM_400000_NS6detail17trampoline_kernelINS0_14default_configENS1_35adjacent_difference_config_selectorILb0ElEEZNS1_24adjacent_difference_implIS3_Lb0ELb0EPlS7_ZN2at6native12_GLOBAL__N_124unique_dim_cuda_templateIfEESt5tupleIJNS8_6TensorESD_SD_EERKSD_lbbbEUlllE1_EE10hipError_tPvRmT2_T3_mT4_P12ihipStream_tbEUlT_E_NS1_11comp_targetILNS1_3genE3ELNS1_11target_archE908ELNS1_3gpuE7ELNS1_3repE0EEENS1_30default_config_static_selectorELNS0_4arch9wavefront6targetE1EEEvT1_,"axG",@progbits,_ZN7rocprim17ROCPRIM_400000_NS6detail17trampoline_kernelINS0_14default_configENS1_35adjacent_difference_config_selectorILb0ElEEZNS1_24adjacent_difference_implIS3_Lb0ELb0EPlS7_ZN2at6native12_GLOBAL__N_124unique_dim_cuda_templateIfEESt5tupleIJNS8_6TensorESD_SD_EERKSD_lbbbEUlllE1_EE10hipError_tPvRmT2_T3_mT4_P12ihipStream_tbEUlT_E_NS1_11comp_targetILNS1_3genE3ELNS1_11target_archE908ELNS1_3gpuE7ELNS1_3repE0EEENS1_30default_config_static_selectorELNS0_4arch9wavefront6targetE1EEEvT1_,comdat
	.globl	_ZN7rocprim17ROCPRIM_400000_NS6detail17trampoline_kernelINS0_14default_configENS1_35adjacent_difference_config_selectorILb0ElEEZNS1_24adjacent_difference_implIS3_Lb0ELb0EPlS7_ZN2at6native12_GLOBAL__N_124unique_dim_cuda_templateIfEESt5tupleIJNS8_6TensorESD_SD_EERKSD_lbbbEUlllE1_EE10hipError_tPvRmT2_T3_mT4_P12ihipStream_tbEUlT_E_NS1_11comp_targetILNS1_3genE3ELNS1_11target_archE908ELNS1_3gpuE7ELNS1_3repE0EEENS1_30default_config_static_selectorELNS0_4arch9wavefront6targetE1EEEvT1_ ; -- Begin function _ZN7rocprim17ROCPRIM_400000_NS6detail17trampoline_kernelINS0_14default_configENS1_35adjacent_difference_config_selectorILb0ElEEZNS1_24adjacent_difference_implIS3_Lb0ELb0EPlS7_ZN2at6native12_GLOBAL__N_124unique_dim_cuda_templateIfEESt5tupleIJNS8_6TensorESD_SD_EERKSD_lbbbEUlllE1_EE10hipError_tPvRmT2_T3_mT4_P12ihipStream_tbEUlT_E_NS1_11comp_targetILNS1_3genE3ELNS1_11target_archE908ELNS1_3gpuE7ELNS1_3repE0EEENS1_30default_config_static_selectorELNS0_4arch9wavefront6targetE1EEEvT1_
	.p2align	8
	.type	_ZN7rocprim17ROCPRIM_400000_NS6detail17trampoline_kernelINS0_14default_configENS1_35adjacent_difference_config_selectorILb0ElEEZNS1_24adjacent_difference_implIS3_Lb0ELb0EPlS7_ZN2at6native12_GLOBAL__N_124unique_dim_cuda_templateIfEESt5tupleIJNS8_6TensorESD_SD_EERKSD_lbbbEUlllE1_EE10hipError_tPvRmT2_T3_mT4_P12ihipStream_tbEUlT_E_NS1_11comp_targetILNS1_3genE3ELNS1_11target_archE908ELNS1_3gpuE7ELNS1_3repE0EEENS1_30default_config_static_selectorELNS0_4arch9wavefront6targetE1EEEvT1_,@function
_ZN7rocprim17ROCPRIM_400000_NS6detail17trampoline_kernelINS0_14default_configENS1_35adjacent_difference_config_selectorILb0ElEEZNS1_24adjacent_difference_implIS3_Lb0ELb0EPlS7_ZN2at6native12_GLOBAL__N_124unique_dim_cuda_templateIfEESt5tupleIJNS8_6TensorESD_SD_EERKSD_lbbbEUlllE1_EE10hipError_tPvRmT2_T3_mT4_P12ihipStream_tbEUlT_E_NS1_11comp_targetILNS1_3genE3ELNS1_11target_archE908ELNS1_3gpuE7ELNS1_3repE0EEENS1_30default_config_static_selectorELNS0_4arch9wavefront6targetE1EEEvT1_: ; @_ZN7rocprim17ROCPRIM_400000_NS6detail17trampoline_kernelINS0_14default_configENS1_35adjacent_difference_config_selectorILb0ElEEZNS1_24adjacent_difference_implIS3_Lb0ELb0EPlS7_ZN2at6native12_GLOBAL__N_124unique_dim_cuda_templateIfEESt5tupleIJNS8_6TensorESD_SD_EERKSD_lbbbEUlllE1_EE10hipError_tPvRmT2_T3_mT4_P12ihipStream_tbEUlT_E_NS1_11comp_targetILNS1_3genE3ELNS1_11target_archE908ELNS1_3gpuE7ELNS1_3repE0EEENS1_30default_config_static_selectorELNS0_4arch9wavefront6targetE1EEEvT1_
; %bb.0:
	.section	.rodata,"a",@progbits
	.p2align	6, 0x0
	.amdhsa_kernel _ZN7rocprim17ROCPRIM_400000_NS6detail17trampoline_kernelINS0_14default_configENS1_35adjacent_difference_config_selectorILb0ElEEZNS1_24adjacent_difference_implIS3_Lb0ELb0EPlS7_ZN2at6native12_GLOBAL__N_124unique_dim_cuda_templateIfEESt5tupleIJNS8_6TensorESD_SD_EERKSD_lbbbEUlllE1_EE10hipError_tPvRmT2_T3_mT4_P12ihipStream_tbEUlT_E_NS1_11comp_targetILNS1_3genE3ELNS1_11target_archE908ELNS1_3gpuE7ELNS1_3repE0EEENS1_30default_config_static_selectorELNS0_4arch9wavefront6targetE1EEEvT1_
		.amdhsa_group_segment_fixed_size 0
		.amdhsa_private_segment_fixed_size 0
		.amdhsa_kernarg_size 64
		.amdhsa_user_sgpr_count 2
		.amdhsa_user_sgpr_dispatch_ptr 0
		.amdhsa_user_sgpr_queue_ptr 0
		.amdhsa_user_sgpr_kernarg_segment_ptr 1
		.amdhsa_user_sgpr_dispatch_id 0
		.amdhsa_user_sgpr_kernarg_preload_length 0
		.amdhsa_user_sgpr_kernarg_preload_offset 0
		.amdhsa_user_sgpr_private_segment_size 0
		.amdhsa_uses_dynamic_stack 0
		.amdhsa_enable_private_segment 0
		.amdhsa_system_sgpr_workgroup_id_x 1
		.amdhsa_system_sgpr_workgroup_id_y 0
		.amdhsa_system_sgpr_workgroup_id_z 0
		.amdhsa_system_sgpr_workgroup_info 0
		.amdhsa_system_vgpr_workitem_id 0
		.amdhsa_next_free_vgpr 1
		.amdhsa_next_free_sgpr 0
		.amdhsa_accum_offset 4
		.amdhsa_reserve_vcc 0
		.amdhsa_float_round_mode_32 0
		.amdhsa_float_round_mode_16_64 0
		.amdhsa_float_denorm_mode_32 3
		.amdhsa_float_denorm_mode_16_64 3
		.amdhsa_dx10_clamp 1
		.amdhsa_ieee_mode 1
		.amdhsa_fp16_overflow 0
		.amdhsa_tg_split 0
		.amdhsa_exception_fp_ieee_invalid_op 0
		.amdhsa_exception_fp_denorm_src 0
		.amdhsa_exception_fp_ieee_div_zero 0
		.amdhsa_exception_fp_ieee_overflow 0
		.amdhsa_exception_fp_ieee_underflow 0
		.amdhsa_exception_fp_ieee_inexact 0
		.amdhsa_exception_int_div_zero 0
	.end_amdhsa_kernel
	.section	.text._ZN7rocprim17ROCPRIM_400000_NS6detail17trampoline_kernelINS0_14default_configENS1_35adjacent_difference_config_selectorILb0ElEEZNS1_24adjacent_difference_implIS3_Lb0ELb0EPlS7_ZN2at6native12_GLOBAL__N_124unique_dim_cuda_templateIfEESt5tupleIJNS8_6TensorESD_SD_EERKSD_lbbbEUlllE1_EE10hipError_tPvRmT2_T3_mT4_P12ihipStream_tbEUlT_E_NS1_11comp_targetILNS1_3genE3ELNS1_11target_archE908ELNS1_3gpuE7ELNS1_3repE0EEENS1_30default_config_static_selectorELNS0_4arch9wavefront6targetE1EEEvT1_,"axG",@progbits,_ZN7rocprim17ROCPRIM_400000_NS6detail17trampoline_kernelINS0_14default_configENS1_35adjacent_difference_config_selectorILb0ElEEZNS1_24adjacent_difference_implIS3_Lb0ELb0EPlS7_ZN2at6native12_GLOBAL__N_124unique_dim_cuda_templateIfEESt5tupleIJNS8_6TensorESD_SD_EERKSD_lbbbEUlllE1_EE10hipError_tPvRmT2_T3_mT4_P12ihipStream_tbEUlT_E_NS1_11comp_targetILNS1_3genE3ELNS1_11target_archE908ELNS1_3gpuE7ELNS1_3repE0EEENS1_30default_config_static_selectorELNS0_4arch9wavefront6targetE1EEEvT1_,comdat
.Lfunc_end908:
	.size	_ZN7rocprim17ROCPRIM_400000_NS6detail17trampoline_kernelINS0_14default_configENS1_35adjacent_difference_config_selectorILb0ElEEZNS1_24adjacent_difference_implIS3_Lb0ELb0EPlS7_ZN2at6native12_GLOBAL__N_124unique_dim_cuda_templateIfEESt5tupleIJNS8_6TensorESD_SD_EERKSD_lbbbEUlllE1_EE10hipError_tPvRmT2_T3_mT4_P12ihipStream_tbEUlT_E_NS1_11comp_targetILNS1_3genE3ELNS1_11target_archE908ELNS1_3gpuE7ELNS1_3repE0EEENS1_30default_config_static_selectorELNS0_4arch9wavefront6targetE1EEEvT1_, .Lfunc_end908-_ZN7rocprim17ROCPRIM_400000_NS6detail17trampoline_kernelINS0_14default_configENS1_35adjacent_difference_config_selectorILb0ElEEZNS1_24adjacent_difference_implIS3_Lb0ELb0EPlS7_ZN2at6native12_GLOBAL__N_124unique_dim_cuda_templateIfEESt5tupleIJNS8_6TensorESD_SD_EERKSD_lbbbEUlllE1_EE10hipError_tPvRmT2_T3_mT4_P12ihipStream_tbEUlT_E_NS1_11comp_targetILNS1_3genE3ELNS1_11target_archE908ELNS1_3gpuE7ELNS1_3repE0EEENS1_30default_config_static_selectorELNS0_4arch9wavefront6targetE1EEEvT1_
                                        ; -- End function
	.set _ZN7rocprim17ROCPRIM_400000_NS6detail17trampoline_kernelINS0_14default_configENS1_35adjacent_difference_config_selectorILb0ElEEZNS1_24adjacent_difference_implIS3_Lb0ELb0EPlS7_ZN2at6native12_GLOBAL__N_124unique_dim_cuda_templateIfEESt5tupleIJNS8_6TensorESD_SD_EERKSD_lbbbEUlllE1_EE10hipError_tPvRmT2_T3_mT4_P12ihipStream_tbEUlT_E_NS1_11comp_targetILNS1_3genE3ELNS1_11target_archE908ELNS1_3gpuE7ELNS1_3repE0EEENS1_30default_config_static_selectorELNS0_4arch9wavefront6targetE1EEEvT1_.num_vgpr, 0
	.set _ZN7rocprim17ROCPRIM_400000_NS6detail17trampoline_kernelINS0_14default_configENS1_35adjacent_difference_config_selectorILb0ElEEZNS1_24adjacent_difference_implIS3_Lb0ELb0EPlS7_ZN2at6native12_GLOBAL__N_124unique_dim_cuda_templateIfEESt5tupleIJNS8_6TensorESD_SD_EERKSD_lbbbEUlllE1_EE10hipError_tPvRmT2_T3_mT4_P12ihipStream_tbEUlT_E_NS1_11comp_targetILNS1_3genE3ELNS1_11target_archE908ELNS1_3gpuE7ELNS1_3repE0EEENS1_30default_config_static_selectorELNS0_4arch9wavefront6targetE1EEEvT1_.num_agpr, 0
	.set _ZN7rocprim17ROCPRIM_400000_NS6detail17trampoline_kernelINS0_14default_configENS1_35adjacent_difference_config_selectorILb0ElEEZNS1_24adjacent_difference_implIS3_Lb0ELb0EPlS7_ZN2at6native12_GLOBAL__N_124unique_dim_cuda_templateIfEESt5tupleIJNS8_6TensorESD_SD_EERKSD_lbbbEUlllE1_EE10hipError_tPvRmT2_T3_mT4_P12ihipStream_tbEUlT_E_NS1_11comp_targetILNS1_3genE3ELNS1_11target_archE908ELNS1_3gpuE7ELNS1_3repE0EEENS1_30default_config_static_selectorELNS0_4arch9wavefront6targetE1EEEvT1_.numbered_sgpr, 0
	.set _ZN7rocprim17ROCPRIM_400000_NS6detail17trampoline_kernelINS0_14default_configENS1_35adjacent_difference_config_selectorILb0ElEEZNS1_24adjacent_difference_implIS3_Lb0ELb0EPlS7_ZN2at6native12_GLOBAL__N_124unique_dim_cuda_templateIfEESt5tupleIJNS8_6TensorESD_SD_EERKSD_lbbbEUlllE1_EE10hipError_tPvRmT2_T3_mT4_P12ihipStream_tbEUlT_E_NS1_11comp_targetILNS1_3genE3ELNS1_11target_archE908ELNS1_3gpuE7ELNS1_3repE0EEENS1_30default_config_static_selectorELNS0_4arch9wavefront6targetE1EEEvT1_.num_named_barrier, 0
	.set _ZN7rocprim17ROCPRIM_400000_NS6detail17trampoline_kernelINS0_14default_configENS1_35adjacent_difference_config_selectorILb0ElEEZNS1_24adjacent_difference_implIS3_Lb0ELb0EPlS7_ZN2at6native12_GLOBAL__N_124unique_dim_cuda_templateIfEESt5tupleIJNS8_6TensorESD_SD_EERKSD_lbbbEUlllE1_EE10hipError_tPvRmT2_T3_mT4_P12ihipStream_tbEUlT_E_NS1_11comp_targetILNS1_3genE3ELNS1_11target_archE908ELNS1_3gpuE7ELNS1_3repE0EEENS1_30default_config_static_selectorELNS0_4arch9wavefront6targetE1EEEvT1_.private_seg_size, 0
	.set _ZN7rocprim17ROCPRIM_400000_NS6detail17trampoline_kernelINS0_14default_configENS1_35adjacent_difference_config_selectorILb0ElEEZNS1_24adjacent_difference_implIS3_Lb0ELb0EPlS7_ZN2at6native12_GLOBAL__N_124unique_dim_cuda_templateIfEESt5tupleIJNS8_6TensorESD_SD_EERKSD_lbbbEUlllE1_EE10hipError_tPvRmT2_T3_mT4_P12ihipStream_tbEUlT_E_NS1_11comp_targetILNS1_3genE3ELNS1_11target_archE908ELNS1_3gpuE7ELNS1_3repE0EEENS1_30default_config_static_selectorELNS0_4arch9wavefront6targetE1EEEvT1_.uses_vcc, 0
	.set _ZN7rocprim17ROCPRIM_400000_NS6detail17trampoline_kernelINS0_14default_configENS1_35adjacent_difference_config_selectorILb0ElEEZNS1_24adjacent_difference_implIS3_Lb0ELb0EPlS7_ZN2at6native12_GLOBAL__N_124unique_dim_cuda_templateIfEESt5tupleIJNS8_6TensorESD_SD_EERKSD_lbbbEUlllE1_EE10hipError_tPvRmT2_T3_mT4_P12ihipStream_tbEUlT_E_NS1_11comp_targetILNS1_3genE3ELNS1_11target_archE908ELNS1_3gpuE7ELNS1_3repE0EEENS1_30default_config_static_selectorELNS0_4arch9wavefront6targetE1EEEvT1_.uses_flat_scratch, 0
	.set _ZN7rocprim17ROCPRIM_400000_NS6detail17trampoline_kernelINS0_14default_configENS1_35adjacent_difference_config_selectorILb0ElEEZNS1_24adjacent_difference_implIS3_Lb0ELb0EPlS7_ZN2at6native12_GLOBAL__N_124unique_dim_cuda_templateIfEESt5tupleIJNS8_6TensorESD_SD_EERKSD_lbbbEUlllE1_EE10hipError_tPvRmT2_T3_mT4_P12ihipStream_tbEUlT_E_NS1_11comp_targetILNS1_3genE3ELNS1_11target_archE908ELNS1_3gpuE7ELNS1_3repE0EEENS1_30default_config_static_selectorELNS0_4arch9wavefront6targetE1EEEvT1_.has_dyn_sized_stack, 0
	.set _ZN7rocprim17ROCPRIM_400000_NS6detail17trampoline_kernelINS0_14default_configENS1_35adjacent_difference_config_selectorILb0ElEEZNS1_24adjacent_difference_implIS3_Lb0ELb0EPlS7_ZN2at6native12_GLOBAL__N_124unique_dim_cuda_templateIfEESt5tupleIJNS8_6TensorESD_SD_EERKSD_lbbbEUlllE1_EE10hipError_tPvRmT2_T3_mT4_P12ihipStream_tbEUlT_E_NS1_11comp_targetILNS1_3genE3ELNS1_11target_archE908ELNS1_3gpuE7ELNS1_3repE0EEENS1_30default_config_static_selectorELNS0_4arch9wavefront6targetE1EEEvT1_.has_recursion, 0
	.set _ZN7rocprim17ROCPRIM_400000_NS6detail17trampoline_kernelINS0_14default_configENS1_35adjacent_difference_config_selectorILb0ElEEZNS1_24adjacent_difference_implIS3_Lb0ELb0EPlS7_ZN2at6native12_GLOBAL__N_124unique_dim_cuda_templateIfEESt5tupleIJNS8_6TensorESD_SD_EERKSD_lbbbEUlllE1_EE10hipError_tPvRmT2_T3_mT4_P12ihipStream_tbEUlT_E_NS1_11comp_targetILNS1_3genE3ELNS1_11target_archE908ELNS1_3gpuE7ELNS1_3repE0EEENS1_30default_config_static_selectorELNS0_4arch9wavefront6targetE1EEEvT1_.has_indirect_call, 0
	.section	.AMDGPU.csdata,"",@progbits
; Kernel info:
; codeLenInByte = 0
; TotalNumSgprs: 6
; NumVgprs: 0
; NumAgprs: 0
; TotalNumVgprs: 0
; ScratchSize: 0
; MemoryBound: 0
; FloatMode: 240
; IeeeMode: 1
; LDSByteSize: 0 bytes/workgroup (compile time only)
; SGPRBlocks: 0
; VGPRBlocks: 0
; NumSGPRsForWavesPerEU: 6
; NumVGPRsForWavesPerEU: 1
; AccumOffset: 4
; Occupancy: 8
; WaveLimiterHint : 0
; COMPUTE_PGM_RSRC2:SCRATCH_EN: 0
; COMPUTE_PGM_RSRC2:USER_SGPR: 2
; COMPUTE_PGM_RSRC2:TRAP_HANDLER: 0
; COMPUTE_PGM_RSRC2:TGID_X_EN: 1
; COMPUTE_PGM_RSRC2:TGID_Y_EN: 0
; COMPUTE_PGM_RSRC2:TGID_Z_EN: 0
; COMPUTE_PGM_RSRC2:TIDIG_COMP_CNT: 0
; COMPUTE_PGM_RSRC3_GFX90A:ACCUM_OFFSET: 0
; COMPUTE_PGM_RSRC3_GFX90A:TG_SPLIT: 0
	.section	.text._ZN7rocprim17ROCPRIM_400000_NS6detail17trampoline_kernelINS0_14default_configENS1_35adjacent_difference_config_selectorILb0ElEEZNS1_24adjacent_difference_implIS3_Lb0ELb0EPlS7_ZN2at6native12_GLOBAL__N_124unique_dim_cuda_templateIfEESt5tupleIJNS8_6TensorESD_SD_EERKSD_lbbbEUlllE1_EE10hipError_tPvRmT2_T3_mT4_P12ihipStream_tbEUlT_E_NS1_11comp_targetILNS1_3genE2ELNS1_11target_archE906ELNS1_3gpuE6ELNS1_3repE0EEENS1_30default_config_static_selectorELNS0_4arch9wavefront6targetE1EEEvT1_,"axG",@progbits,_ZN7rocprim17ROCPRIM_400000_NS6detail17trampoline_kernelINS0_14default_configENS1_35adjacent_difference_config_selectorILb0ElEEZNS1_24adjacent_difference_implIS3_Lb0ELb0EPlS7_ZN2at6native12_GLOBAL__N_124unique_dim_cuda_templateIfEESt5tupleIJNS8_6TensorESD_SD_EERKSD_lbbbEUlllE1_EE10hipError_tPvRmT2_T3_mT4_P12ihipStream_tbEUlT_E_NS1_11comp_targetILNS1_3genE2ELNS1_11target_archE906ELNS1_3gpuE6ELNS1_3repE0EEENS1_30default_config_static_selectorELNS0_4arch9wavefront6targetE1EEEvT1_,comdat
	.globl	_ZN7rocprim17ROCPRIM_400000_NS6detail17trampoline_kernelINS0_14default_configENS1_35adjacent_difference_config_selectorILb0ElEEZNS1_24adjacent_difference_implIS3_Lb0ELb0EPlS7_ZN2at6native12_GLOBAL__N_124unique_dim_cuda_templateIfEESt5tupleIJNS8_6TensorESD_SD_EERKSD_lbbbEUlllE1_EE10hipError_tPvRmT2_T3_mT4_P12ihipStream_tbEUlT_E_NS1_11comp_targetILNS1_3genE2ELNS1_11target_archE906ELNS1_3gpuE6ELNS1_3repE0EEENS1_30default_config_static_selectorELNS0_4arch9wavefront6targetE1EEEvT1_ ; -- Begin function _ZN7rocprim17ROCPRIM_400000_NS6detail17trampoline_kernelINS0_14default_configENS1_35adjacent_difference_config_selectorILb0ElEEZNS1_24adjacent_difference_implIS3_Lb0ELb0EPlS7_ZN2at6native12_GLOBAL__N_124unique_dim_cuda_templateIfEESt5tupleIJNS8_6TensorESD_SD_EERKSD_lbbbEUlllE1_EE10hipError_tPvRmT2_T3_mT4_P12ihipStream_tbEUlT_E_NS1_11comp_targetILNS1_3genE2ELNS1_11target_archE906ELNS1_3gpuE6ELNS1_3repE0EEENS1_30default_config_static_selectorELNS0_4arch9wavefront6targetE1EEEvT1_
	.p2align	8
	.type	_ZN7rocprim17ROCPRIM_400000_NS6detail17trampoline_kernelINS0_14default_configENS1_35adjacent_difference_config_selectorILb0ElEEZNS1_24adjacent_difference_implIS3_Lb0ELb0EPlS7_ZN2at6native12_GLOBAL__N_124unique_dim_cuda_templateIfEESt5tupleIJNS8_6TensorESD_SD_EERKSD_lbbbEUlllE1_EE10hipError_tPvRmT2_T3_mT4_P12ihipStream_tbEUlT_E_NS1_11comp_targetILNS1_3genE2ELNS1_11target_archE906ELNS1_3gpuE6ELNS1_3repE0EEENS1_30default_config_static_selectorELNS0_4arch9wavefront6targetE1EEEvT1_,@function
_ZN7rocprim17ROCPRIM_400000_NS6detail17trampoline_kernelINS0_14default_configENS1_35adjacent_difference_config_selectorILb0ElEEZNS1_24adjacent_difference_implIS3_Lb0ELb0EPlS7_ZN2at6native12_GLOBAL__N_124unique_dim_cuda_templateIfEESt5tupleIJNS8_6TensorESD_SD_EERKSD_lbbbEUlllE1_EE10hipError_tPvRmT2_T3_mT4_P12ihipStream_tbEUlT_E_NS1_11comp_targetILNS1_3genE2ELNS1_11target_archE906ELNS1_3gpuE6ELNS1_3repE0EEENS1_30default_config_static_selectorELNS0_4arch9wavefront6targetE1EEEvT1_: ; @_ZN7rocprim17ROCPRIM_400000_NS6detail17trampoline_kernelINS0_14default_configENS1_35adjacent_difference_config_selectorILb0ElEEZNS1_24adjacent_difference_implIS3_Lb0ELb0EPlS7_ZN2at6native12_GLOBAL__N_124unique_dim_cuda_templateIfEESt5tupleIJNS8_6TensorESD_SD_EERKSD_lbbbEUlllE1_EE10hipError_tPvRmT2_T3_mT4_P12ihipStream_tbEUlT_E_NS1_11comp_targetILNS1_3genE2ELNS1_11target_archE906ELNS1_3gpuE6ELNS1_3repE0EEENS1_30default_config_static_selectorELNS0_4arch9wavefront6targetE1EEEvT1_
; %bb.0:
	.section	.rodata,"a",@progbits
	.p2align	6, 0x0
	.amdhsa_kernel _ZN7rocprim17ROCPRIM_400000_NS6detail17trampoline_kernelINS0_14default_configENS1_35adjacent_difference_config_selectorILb0ElEEZNS1_24adjacent_difference_implIS3_Lb0ELb0EPlS7_ZN2at6native12_GLOBAL__N_124unique_dim_cuda_templateIfEESt5tupleIJNS8_6TensorESD_SD_EERKSD_lbbbEUlllE1_EE10hipError_tPvRmT2_T3_mT4_P12ihipStream_tbEUlT_E_NS1_11comp_targetILNS1_3genE2ELNS1_11target_archE906ELNS1_3gpuE6ELNS1_3repE0EEENS1_30default_config_static_selectorELNS0_4arch9wavefront6targetE1EEEvT1_
		.amdhsa_group_segment_fixed_size 0
		.amdhsa_private_segment_fixed_size 0
		.amdhsa_kernarg_size 64
		.amdhsa_user_sgpr_count 2
		.amdhsa_user_sgpr_dispatch_ptr 0
		.amdhsa_user_sgpr_queue_ptr 0
		.amdhsa_user_sgpr_kernarg_segment_ptr 1
		.amdhsa_user_sgpr_dispatch_id 0
		.amdhsa_user_sgpr_kernarg_preload_length 0
		.amdhsa_user_sgpr_kernarg_preload_offset 0
		.amdhsa_user_sgpr_private_segment_size 0
		.amdhsa_uses_dynamic_stack 0
		.amdhsa_enable_private_segment 0
		.amdhsa_system_sgpr_workgroup_id_x 1
		.amdhsa_system_sgpr_workgroup_id_y 0
		.amdhsa_system_sgpr_workgroup_id_z 0
		.amdhsa_system_sgpr_workgroup_info 0
		.amdhsa_system_vgpr_workitem_id 0
		.amdhsa_next_free_vgpr 1
		.amdhsa_next_free_sgpr 0
		.amdhsa_accum_offset 4
		.amdhsa_reserve_vcc 0
		.amdhsa_float_round_mode_32 0
		.amdhsa_float_round_mode_16_64 0
		.amdhsa_float_denorm_mode_32 3
		.amdhsa_float_denorm_mode_16_64 3
		.amdhsa_dx10_clamp 1
		.amdhsa_ieee_mode 1
		.amdhsa_fp16_overflow 0
		.amdhsa_tg_split 0
		.amdhsa_exception_fp_ieee_invalid_op 0
		.amdhsa_exception_fp_denorm_src 0
		.amdhsa_exception_fp_ieee_div_zero 0
		.amdhsa_exception_fp_ieee_overflow 0
		.amdhsa_exception_fp_ieee_underflow 0
		.amdhsa_exception_fp_ieee_inexact 0
		.amdhsa_exception_int_div_zero 0
	.end_amdhsa_kernel
	.section	.text._ZN7rocprim17ROCPRIM_400000_NS6detail17trampoline_kernelINS0_14default_configENS1_35adjacent_difference_config_selectorILb0ElEEZNS1_24adjacent_difference_implIS3_Lb0ELb0EPlS7_ZN2at6native12_GLOBAL__N_124unique_dim_cuda_templateIfEESt5tupleIJNS8_6TensorESD_SD_EERKSD_lbbbEUlllE1_EE10hipError_tPvRmT2_T3_mT4_P12ihipStream_tbEUlT_E_NS1_11comp_targetILNS1_3genE2ELNS1_11target_archE906ELNS1_3gpuE6ELNS1_3repE0EEENS1_30default_config_static_selectorELNS0_4arch9wavefront6targetE1EEEvT1_,"axG",@progbits,_ZN7rocprim17ROCPRIM_400000_NS6detail17trampoline_kernelINS0_14default_configENS1_35adjacent_difference_config_selectorILb0ElEEZNS1_24adjacent_difference_implIS3_Lb0ELb0EPlS7_ZN2at6native12_GLOBAL__N_124unique_dim_cuda_templateIfEESt5tupleIJNS8_6TensorESD_SD_EERKSD_lbbbEUlllE1_EE10hipError_tPvRmT2_T3_mT4_P12ihipStream_tbEUlT_E_NS1_11comp_targetILNS1_3genE2ELNS1_11target_archE906ELNS1_3gpuE6ELNS1_3repE0EEENS1_30default_config_static_selectorELNS0_4arch9wavefront6targetE1EEEvT1_,comdat
.Lfunc_end909:
	.size	_ZN7rocprim17ROCPRIM_400000_NS6detail17trampoline_kernelINS0_14default_configENS1_35adjacent_difference_config_selectorILb0ElEEZNS1_24adjacent_difference_implIS3_Lb0ELb0EPlS7_ZN2at6native12_GLOBAL__N_124unique_dim_cuda_templateIfEESt5tupleIJNS8_6TensorESD_SD_EERKSD_lbbbEUlllE1_EE10hipError_tPvRmT2_T3_mT4_P12ihipStream_tbEUlT_E_NS1_11comp_targetILNS1_3genE2ELNS1_11target_archE906ELNS1_3gpuE6ELNS1_3repE0EEENS1_30default_config_static_selectorELNS0_4arch9wavefront6targetE1EEEvT1_, .Lfunc_end909-_ZN7rocprim17ROCPRIM_400000_NS6detail17trampoline_kernelINS0_14default_configENS1_35adjacent_difference_config_selectorILb0ElEEZNS1_24adjacent_difference_implIS3_Lb0ELb0EPlS7_ZN2at6native12_GLOBAL__N_124unique_dim_cuda_templateIfEESt5tupleIJNS8_6TensorESD_SD_EERKSD_lbbbEUlllE1_EE10hipError_tPvRmT2_T3_mT4_P12ihipStream_tbEUlT_E_NS1_11comp_targetILNS1_3genE2ELNS1_11target_archE906ELNS1_3gpuE6ELNS1_3repE0EEENS1_30default_config_static_selectorELNS0_4arch9wavefront6targetE1EEEvT1_
                                        ; -- End function
	.set _ZN7rocprim17ROCPRIM_400000_NS6detail17trampoline_kernelINS0_14default_configENS1_35adjacent_difference_config_selectorILb0ElEEZNS1_24adjacent_difference_implIS3_Lb0ELb0EPlS7_ZN2at6native12_GLOBAL__N_124unique_dim_cuda_templateIfEESt5tupleIJNS8_6TensorESD_SD_EERKSD_lbbbEUlllE1_EE10hipError_tPvRmT2_T3_mT4_P12ihipStream_tbEUlT_E_NS1_11comp_targetILNS1_3genE2ELNS1_11target_archE906ELNS1_3gpuE6ELNS1_3repE0EEENS1_30default_config_static_selectorELNS0_4arch9wavefront6targetE1EEEvT1_.num_vgpr, 0
	.set _ZN7rocprim17ROCPRIM_400000_NS6detail17trampoline_kernelINS0_14default_configENS1_35adjacent_difference_config_selectorILb0ElEEZNS1_24adjacent_difference_implIS3_Lb0ELb0EPlS7_ZN2at6native12_GLOBAL__N_124unique_dim_cuda_templateIfEESt5tupleIJNS8_6TensorESD_SD_EERKSD_lbbbEUlllE1_EE10hipError_tPvRmT2_T3_mT4_P12ihipStream_tbEUlT_E_NS1_11comp_targetILNS1_3genE2ELNS1_11target_archE906ELNS1_3gpuE6ELNS1_3repE0EEENS1_30default_config_static_selectorELNS0_4arch9wavefront6targetE1EEEvT1_.num_agpr, 0
	.set _ZN7rocprim17ROCPRIM_400000_NS6detail17trampoline_kernelINS0_14default_configENS1_35adjacent_difference_config_selectorILb0ElEEZNS1_24adjacent_difference_implIS3_Lb0ELb0EPlS7_ZN2at6native12_GLOBAL__N_124unique_dim_cuda_templateIfEESt5tupleIJNS8_6TensorESD_SD_EERKSD_lbbbEUlllE1_EE10hipError_tPvRmT2_T3_mT4_P12ihipStream_tbEUlT_E_NS1_11comp_targetILNS1_3genE2ELNS1_11target_archE906ELNS1_3gpuE6ELNS1_3repE0EEENS1_30default_config_static_selectorELNS0_4arch9wavefront6targetE1EEEvT1_.numbered_sgpr, 0
	.set _ZN7rocprim17ROCPRIM_400000_NS6detail17trampoline_kernelINS0_14default_configENS1_35adjacent_difference_config_selectorILb0ElEEZNS1_24adjacent_difference_implIS3_Lb0ELb0EPlS7_ZN2at6native12_GLOBAL__N_124unique_dim_cuda_templateIfEESt5tupleIJNS8_6TensorESD_SD_EERKSD_lbbbEUlllE1_EE10hipError_tPvRmT2_T3_mT4_P12ihipStream_tbEUlT_E_NS1_11comp_targetILNS1_3genE2ELNS1_11target_archE906ELNS1_3gpuE6ELNS1_3repE0EEENS1_30default_config_static_selectorELNS0_4arch9wavefront6targetE1EEEvT1_.num_named_barrier, 0
	.set _ZN7rocprim17ROCPRIM_400000_NS6detail17trampoline_kernelINS0_14default_configENS1_35adjacent_difference_config_selectorILb0ElEEZNS1_24adjacent_difference_implIS3_Lb0ELb0EPlS7_ZN2at6native12_GLOBAL__N_124unique_dim_cuda_templateIfEESt5tupleIJNS8_6TensorESD_SD_EERKSD_lbbbEUlllE1_EE10hipError_tPvRmT2_T3_mT4_P12ihipStream_tbEUlT_E_NS1_11comp_targetILNS1_3genE2ELNS1_11target_archE906ELNS1_3gpuE6ELNS1_3repE0EEENS1_30default_config_static_selectorELNS0_4arch9wavefront6targetE1EEEvT1_.private_seg_size, 0
	.set _ZN7rocprim17ROCPRIM_400000_NS6detail17trampoline_kernelINS0_14default_configENS1_35adjacent_difference_config_selectorILb0ElEEZNS1_24adjacent_difference_implIS3_Lb0ELb0EPlS7_ZN2at6native12_GLOBAL__N_124unique_dim_cuda_templateIfEESt5tupleIJNS8_6TensorESD_SD_EERKSD_lbbbEUlllE1_EE10hipError_tPvRmT2_T3_mT4_P12ihipStream_tbEUlT_E_NS1_11comp_targetILNS1_3genE2ELNS1_11target_archE906ELNS1_3gpuE6ELNS1_3repE0EEENS1_30default_config_static_selectorELNS0_4arch9wavefront6targetE1EEEvT1_.uses_vcc, 0
	.set _ZN7rocprim17ROCPRIM_400000_NS6detail17trampoline_kernelINS0_14default_configENS1_35adjacent_difference_config_selectorILb0ElEEZNS1_24adjacent_difference_implIS3_Lb0ELb0EPlS7_ZN2at6native12_GLOBAL__N_124unique_dim_cuda_templateIfEESt5tupleIJNS8_6TensorESD_SD_EERKSD_lbbbEUlllE1_EE10hipError_tPvRmT2_T3_mT4_P12ihipStream_tbEUlT_E_NS1_11comp_targetILNS1_3genE2ELNS1_11target_archE906ELNS1_3gpuE6ELNS1_3repE0EEENS1_30default_config_static_selectorELNS0_4arch9wavefront6targetE1EEEvT1_.uses_flat_scratch, 0
	.set _ZN7rocprim17ROCPRIM_400000_NS6detail17trampoline_kernelINS0_14default_configENS1_35adjacent_difference_config_selectorILb0ElEEZNS1_24adjacent_difference_implIS3_Lb0ELb0EPlS7_ZN2at6native12_GLOBAL__N_124unique_dim_cuda_templateIfEESt5tupleIJNS8_6TensorESD_SD_EERKSD_lbbbEUlllE1_EE10hipError_tPvRmT2_T3_mT4_P12ihipStream_tbEUlT_E_NS1_11comp_targetILNS1_3genE2ELNS1_11target_archE906ELNS1_3gpuE6ELNS1_3repE0EEENS1_30default_config_static_selectorELNS0_4arch9wavefront6targetE1EEEvT1_.has_dyn_sized_stack, 0
	.set _ZN7rocprim17ROCPRIM_400000_NS6detail17trampoline_kernelINS0_14default_configENS1_35adjacent_difference_config_selectorILb0ElEEZNS1_24adjacent_difference_implIS3_Lb0ELb0EPlS7_ZN2at6native12_GLOBAL__N_124unique_dim_cuda_templateIfEESt5tupleIJNS8_6TensorESD_SD_EERKSD_lbbbEUlllE1_EE10hipError_tPvRmT2_T3_mT4_P12ihipStream_tbEUlT_E_NS1_11comp_targetILNS1_3genE2ELNS1_11target_archE906ELNS1_3gpuE6ELNS1_3repE0EEENS1_30default_config_static_selectorELNS0_4arch9wavefront6targetE1EEEvT1_.has_recursion, 0
	.set _ZN7rocprim17ROCPRIM_400000_NS6detail17trampoline_kernelINS0_14default_configENS1_35adjacent_difference_config_selectorILb0ElEEZNS1_24adjacent_difference_implIS3_Lb0ELb0EPlS7_ZN2at6native12_GLOBAL__N_124unique_dim_cuda_templateIfEESt5tupleIJNS8_6TensorESD_SD_EERKSD_lbbbEUlllE1_EE10hipError_tPvRmT2_T3_mT4_P12ihipStream_tbEUlT_E_NS1_11comp_targetILNS1_3genE2ELNS1_11target_archE906ELNS1_3gpuE6ELNS1_3repE0EEENS1_30default_config_static_selectorELNS0_4arch9wavefront6targetE1EEEvT1_.has_indirect_call, 0
	.section	.AMDGPU.csdata,"",@progbits
; Kernel info:
; codeLenInByte = 0
; TotalNumSgprs: 6
; NumVgprs: 0
; NumAgprs: 0
; TotalNumVgprs: 0
; ScratchSize: 0
; MemoryBound: 0
; FloatMode: 240
; IeeeMode: 1
; LDSByteSize: 0 bytes/workgroup (compile time only)
; SGPRBlocks: 0
; VGPRBlocks: 0
; NumSGPRsForWavesPerEU: 6
; NumVGPRsForWavesPerEU: 1
; AccumOffset: 4
; Occupancy: 8
; WaveLimiterHint : 0
; COMPUTE_PGM_RSRC2:SCRATCH_EN: 0
; COMPUTE_PGM_RSRC2:USER_SGPR: 2
; COMPUTE_PGM_RSRC2:TRAP_HANDLER: 0
; COMPUTE_PGM_RSRC2:TGID_X_EN: 1
; COMPUTE_PGM_RSRC2:TGID_Y_EN: 0
; COMPUTE_PGM_RSRC2:TGID_Z_EN: 0
; COMPUTE_PGM_RSRC2:TIDIG_COMP_CNT: 0
; COMPUTE_PGM_RSRC3_GFX90A:ACCUM_OFFSET: 0
; COMPUTE_PGM_RSRC3_GFX90A:TG_SPLIT: 0
	.section	.text._ZN7rocprim17ROCPRIM_400000_NS6detail17trampoline_kernelINS0_14default_configENS1_35adjacent_difference_config_selectorILb0ElEEZNS1_24adjacent_difference_implIS3_Lb0ELb0EPlS7_ZN2at6native12_GLOBAL__N_124unique_dim_cuda_templateIfEESt5tupleIJNS8_6TensorESD_SD_EERKSD_lbbbEUlllE1_EE10hipError_tPvRmT2_T3_mT4_P12ihipStream_tbEUlT_E_NS1_11comp_targetILNS1_3genE9ELNS1_11target_archE1100ELNS1_3gpuE3ELNS1_3repE0EEENS1_30default_config_static_selectorELNS0_4arch9wavefront6targetE1EEEvT1_,"axG",@progbits,_ZN7rocprim17ROCPRIM_400000_NS6detail17trampoline_kernelINS0_14default_configENS1_35adjacent_difference_config_selectorILb0ElEEZNS1_24adjacent_difference_implIS3_Lb0ELb0EPlS7_ZN2at6native12_GLOBAL__N_124unique_dim_cuda_templateIfEESt5tupleIJNS8_6TensorESD_SD_EERKSD_lbbbEUlllE1_EE10hipError_tPvRmT2_T3_mT4_P12ihipStream_tbEUlT_E_NS1_11comp_targetILNS1_3genE9ELNS1_11target_archE1100ELNS1_3gpuE3ELNS1_3repE0EEENS1_30default_config_static_selectorELNS0_4arch9wavefront6targetE1EEEvT1_,comdat
	.globl	_ZN7rocprim17ROCPRIM_400000_NS6detail17trampoline_kernelINS0_14default_configENS1_35adjacent_difference_config_selectorILb0ElEEZNS1_24adjacent_difference_implIS3_Lb0ELb0EPlS7_ZN2at6native12_GLOBAL__N_124unique_dim_cuda_templateIfEESt5tupleIJNS8_6TensorESD_SD_EERKSD_lbbbEUlllE1_EE10hipError_tPvRmT2_T3_mT4_P12ihipStream_tbEUlT_E_NS1_11comp_targetILNS1_3genE9ELNS1_11target_archE1100ELNS1_3gpuE3ELNS1_3repE0EEENS1_30default_config_static_selectorELNS0_4arch9wavefront6targetE1EEEvT1_ ; -- Begin function _ZN7rocprim17ROCPRIM_400000_NS6detail17trampoline_kernelINS0_14default_configENS1_35adjacent_difference_config_selectorILb0ElEEZNS1_24adjacent_difference_implIS3_Lb0ELb0EPlS7_ZN2at6native12_GLOBAL__N_124unique_dim_cuda_templateIfEESt5tupleIJNS8_6TensorESD_SD_EERKSD_lbbbEUlllE1_EE10hipError_tPvRmT2_T3_mT4_P12ihipStream_tbEUlT_E_NS1_11comp_targetILNS1_3genE9ELNS1_11target_archE1100ELNS1_3gpuE3ELNS1_3repE0EEENS1_30default_config_static_selectorELNS0_4arch9wavefront6targetE1EEEvT1_
	.p2align	8
	.type	_ZN7rocprim17ROCPRIM_400000_NS6detail17trampoline_kernelINS0_14default_configENS1_35adjacent_difference_config_selectorILb0ElEEZNS1_24adjacent_difference_implIS3_Lb0ELb0EPlS7_ZN2at6native12_GLOBAL__N_124unique_dim_cuda_templateIfEESt5tupleIJNS8_6TensorESD_SD_EERKSD_lbbbEUlllE1_EE10hipError_tPvRmT2_T3_mT4_P12ihipStream_tbEUlT_E_NS1_11comp_targetILNS1_3genE9ELNS1_11target_archE1100ELNS1_3gpuE3ELNS1_3repE0EEENS1_30default_config_static_selectorELNS0_4arch9wavefront6targetE1EEEvT1_,@function
_ZN7rocprim17ROCPRIM_400000_NS6detail17trampoline_kernelINS0_14default_configENS1_35adjacent_difference_config_selectorILb0ElEEZNS1_24adjacent_difference_implIS3_Lb0ELb0EPlS7_ZN2at6native12_GLOBAL__N_124unique_dim_cuda_templateIfEESt5tupleIJNS8_6TensorESD_SD_EERKSD_lbbbEUlllE1_EE10hipError_tPvRmT2_T3_mT4_P12ihipStream_tbEUlT_E_NS1_11comp_targetILNS1_3genE9ELNS1_11target_archE1100ELNS1_3gpuE3ELNS1_3repE0EEENS1_30default_config_static_selectorELNS0_4arch9wavefront6targetE1EEEvT1_: ; @_ZN7rocprim17ROCPRIM_400000_NS6detail17trampoline_kernelINS0_14default_configENS1_35adjacent_difference_config_selectorILb0ElEEZNS1_24adjacent_difference_implIS3_Lb0ELb0EPlS7_ZN2at6native12_GLOBAL__N_124unique_dim_cuda_templateIfEESt5tupleIJNS8_6TensorESD_SD_EERKSD_lbbbEUlllE1_EE10hipError_tPvRmT2_T3_mT4_P12ihipStream_tbEUlT_E_NS1_11comp_targetILNS1_3genE9ELNS1_11target_archE1100ELNS1_3gpuE3ELNS1_3repE0EEENS1_30default_config_static_selectorELNS0_4arch9wavefront6targetE1EEEvT1_
; %bb.0:
	.section	.rodata,"a",@progbits
	.p2align	6, 0x0
	.amdhsa_kernel _ZN7rocprim17ROCPRIM_400000_NS6detail17trampoline_kernelINS0_14default_configENS1_35adjacent_difference_config_selectorILb0ElEEZNS1_24adjacent_difference_implIS3_Lb0ELb0EPlS7_ZN2at6native12_GLOBAL__N_124unique_dim_cuda_templateIfEESt5tupleIJNS8_6TensorESD_SD_EERKSD_lbbbEUlllE1_EE10hipError_tPvRmT2_T3_mT4_P12ihipStream_tbEUlT_E_NS1_11comp_targetILNS1_3genE9ELNS1_11target_archE1100ELNS1_3gpuE3ELNS1_3repE0EEENS1_30default_config_static_selectorELNS0_4arch9wavefront6targetE1EEEvT1_
		.amdhsa_group_segment_fixed_size 0
		.amdhsa_private_segment_fixed_size 0
		.amdhsa_kernarg_size 64
		.amdhsa_user_sgpr_count 2
		.amdhsa_user_sgpr_dispatch_ptr 0
		.amdhsa_user_sgpr_queue_ptr 0
		.amdhsa_user_sgpr_kernarg_segment_ptr 1
		.amdhsa_user_sgpr_dispatch_id 0
		.amdhsa_user_sgpr_kernarg_preload_length 0
		.amdhsa_user_sgpr_kernarg_preload_offset 0
		.amdhsa_user_sgpr_private_segment_size 0
		.amdhsa_uses_dynamic_stack 0
		.amdhsa_enable_private_segment 0
		.amdhsa_system_sgpr_workgroup_id_x 1
		.amdhsa_system_sgpr_workgroup_id_y 0
		.amdhsa_system_sgpr_workgroup_id_z 0
		.amdhsa_system_sgpr_workgroup_info 0
		.amdhsa_system_vgpr_workitem_id 0
		.amdhsa_next_free_vgpr 1
		.amdhsa_next_free_sgpr 0
		.amdhsa_accum_offset 4
		.amdhsa_reserve_vcc 0
		.amdhsa_float_round_mode_32 0
		.amdhsa_float_round_mode_16_64 0
		.amdhsa_float_denorm_mode_32 3
		.amdhsa_float_denorm_mode_16_64 3
		.amdhsa_dx10_clamp 1
		.amdhsa_ieee_mode 1
		.amdhsa_fp16_overflow 0
		.amdhsa_tg_split 0
		.amdhsa_exception_fp_ieee_invalid_op 0
		.amdhsa_exception_fp_denorm_src 0
		.amdhsa_exception_fp_ieee_div_zero 0
		.amdhsa_exception_fp_ieee_overflow 0
		.amdhsa_exception_fp_ieee_underflow 0
		.amdhsa_exception_fp_ieee_inexact 0
		.amdhsa_exception_int_div_zero 0
	.end_amdhsa_kernel
	.section	.text._ZN7rocprim17ROCPRIM_400000_NS6detail17trampoline_kernelINS0_14default_configENS1_35adjacent_difference_config_selectorILb0ElEEZNS1_24adjacent_difference_implIS3_Lb0ELb0EPlS7_ZN2at6native12_GLOBAL__N_124unique_dim_cuda_templateIfEESt5tupleIJNS8_6TensorESD_SD_EERKSD_lbbbEUlllE1_EE10hipError_tPvRmT2_T3_mT4_P12ihipStream_tbEUlT_E_NS1_11comp_targetILNS1_3genE9ELNS1_11target_archE1100ELNS1_3gpuE3ELNS1_3repE0EEENS1_30default_config_static_selectorELNS0_4arch9wavefront6targetE1EEEvT1_,"axG",@progbits,_ZN7rocprim17ROCPRIM_400000_NS6detail17trampoline_kernelINS0_14default_configENS1_35adjacent_difference_config_selectorILb0ElEEZNS1_24adjacent_difference_implIS3_Lb0ELb0EPlS7_ZN2at6native12_GLOBAL__N_124unique_dim_cuda_templateIfEESt5tupleIJNS8_6TensorESD_SD_EERKSD_lbbbEUlllE1_EE10hipError_tPvRmT2_T3_mT4_P12ihipStream_tbEUlT_E_NS1_11comp_targetILNS1_3genE9ELNS1_11target_archE1100ELNS1_3gpuE3ELNS1_3repE0EEENS1_30default_config_static_selectorELNS0_4arch9wavefront6targetE1EEEvT1_,comdat
.Lfunc_end910:
	.size	_ZN7rocprim17ROCPRIM_400000_NS6detail17trampoline_kernelINS0_14default_configENS1_35adjacent_difference_config_selectorILb0ElEEZNS1_24adjacent_difference_implIS3_Lb0ELb0EPlS7_ZN2at6native12_GLOBAL__N_124unique_dim_cuda_templateIfEESt5tupleIJNS8_6TensorESD_SD_EERKSD_lbbbEUlllE1_EE10hipError_tPvRmT2_T3_mT4_P12ihipStream_tbEUlT_E_NS1_11comp_targetILNS1_3genE9ELNS1_11target_archE1100ELNS1_3gpuE3ELNS1_3repE0EEENS1_30default_config_static_selectorELNS0_4arch9wavefront6targetE1EEEvT1_, .Lfunc_end910-_ZN7rocprim17ROCPRIM_400000_NS6detail17trampoline_kernelINS0_14default_configENS1_35adjacent_difference_config_selectorILb0ElEEZNS1_24adjacent_difference_implIS3_Lb0ELb0EPlS7_ZN2at6native12_GLOBAL__N_124unique_dim_cuda_templateIfEESt5tupleIJNS8_6TensorESD_SD_EERKSD_lbbbEUlllE1_EE10hipError_tPvRmT2_T3_mT4_P12ihipStream_tbEUlT_E_NS1_11comp_targetILNS1_3genE9ELNS1_11target_archE1100ELNS1_3gpuE3ELNS1_3repE0EEENS1_30default_config_static_selectorELNS0_4arch9wavefront6targetE1EEEvT1_
                                        ; -- End function
	.set _ZN7rocprim17ROCPRIM_400000_NS6detail17trampoline_kernelINS0_14default_configENS1_35adjacent_difference_config_selectorILb0ElEEZNS1_24adjacent_difference_implIS3_Lb0ELb0EPlS7_ZN2at6native12_GLOBAL__N_124unique_dim_cuda_templateIfEESt5tupleIJNS8_6TensorESD_SD_EERKSD_lbbbEUlllE1_EE10hipError_tPvRmT2_T3_mT4_P12ihipStream_tbEUlT_E_NS1_11comp_targetILNS1_3genE9ELNS1_11target_archE1100ELNS1_3gpuE3ELNS1_3repE0EEENS1_30default_config_static_selectorELNS0_4arch9wavefront6targetE1EEEvT1_.num_vgpr, 0
	.set _ZN7rocprim17ROCPRIM_400000_NS6detail17trampoline_kernelINS0_14default_configENS1_35adjacent_difference_config_selectorILb0ElEEZNS1_24adjacent_difference_implIS3_Lb0ELb0EPlS7_ZN2at6native12_GLOBAL__N_124unique_dim_cuda_templateIfEESt5tupleIJNS8_6TensorESD_SD_EERKSD_lbbbEUlllE1_EE10hipError_tPvRmT2_T3_mT4_P12ihipStream_tbEUlT_E_NS1_11comp_targetILNS1_3genE9ELNS1_11target_archE1100ELNS1_3gpuE3ELNS1_3repE0EEENS1_30default_config_static_selectorELNS0_4arch9wavefront6targetE1EEEvT1_.num_agpr, 0
	.set _ZN7rocprim17ROCPRIM_400000_NS6detail17trampoline_kernelINS0_14default_configENS1_35adjacent_difference_config_selectorILb0ElEEZNS1_24adjacent_difference_implIS3_Lb0ELb0EPlS7_ZN2at6native12_GLOBAL__N_124unique_dim_cuda_templateIfEESt5tupleIJNS8_6TensorESD_SD_EERKSD_lbbbEUlllE1_EE10hipError_tPvRmT2_T3_mT4_P12ihipStream_tbEUlT_E_NS1_11comp_targetILNS1_3genE9ELNS1_11target_archE1100ELNS1_3gpuE3ELNS1_3repE0EEENS1_30default_config_static_selectorELNS0_4arch9wavefront6targetE1EEEvT1_.numbered_sgpr, 0
	.set _ZN7rocprim17ROCPRIM_400000_NS6detail17trampoline_kernelINS0_14default_configENS1_35adjacent_difference_config_selectorILb0ElEEZNS1_24adjacent_difference_implIS3_Lb0ELb0EPlS7_ZN2at6native12_GLOBAL__N_124unique_dim_cuda_templateIfEESt5tupleIJNS8_6TensorESD_SD_EERKSD_lbbbEUlllE1_EE10hipError_tPvRmT2_T3_mT4_P12ihipStream_tbEUlT_E_NS1_11comp_targetILNS1_3genE9ELNS1_11target_archE1100ELNS1_3gpuE3ELNS1_3repE0EEENS1_30default_config_static_selectorELNS0_4arch9wavefront6targetE1EEEvT1_.num_named_barrier, 0
	.set _ZN7rocprim17ROCPRIM_400000_NS6detail17trampoline_kernelINS0_14default_configENS1_35adjacent_difference_config_selectorILb0ElEEZNS1_24adjacent_difference_implIS3_Lb0ELb0EPlS7_ZN2at6native12_GLOBAL__N_124unique_dim_cuda_templateIfEESt5tupleIJNS8_6TensorESD_SD_EERKSD_lbbbEUlllE1_EE10hipError_tPvRmT2_T3_mT4_P12ihipStream_tbEUlT_E_NS1_11comp_targetILNS1_3genE9ELNS1_11target_archE1100ELNS1_3gpuE3ELNS1_3repE0EEENS1_30default_config_static_selectorELNS0_4arch9wavefront6targetE1EEEvT1_.private_seg_size, 0
	.set _ZN7rocprim17ROCPRIM_400000_NS6detail17trampoline_kernelINS0_14default_configENS1_35adjacent_difference_config_selectorILb0ElEEZNS1_24adjacent_difference_implIS3_Lb0ELb0EPlS7_ZN2at6native12_GLOBAL__N_124unique_dim_cuda_templateIfEESt5tupleIJNS8_6TensorESD_SD_EERKSD_lbbbEUlllE1_EE10hipError_tPvRmT2_T3_mT4_P12ihipStream_tbEUlT_E_NS1_11comp_targetILNS1_3genE9ELNS1_11target_archE1100ELNS1_3gpuE3ELNS1_3repE0EEENS1_30default_config_static_selectorELNS0_4arch9wavefront6targetE1EEEvT1_.uses_vcc, 0
	.set _ZN7rocprim17ROCPRIM_400000_NS6detail17trampoline_kernelINS0_14default_configENS1_35adjacent_difference_config_selectorILb0ElEEZNS1_24adjacent_difference_implIS3_Lb0ELb0EPlS7_ZN2at6native12_GLOBAL__N_124unique_dim_cuda_templateIfEESt5tupleIJNS8_6TensorESD_SD_EERKSD_lbbbEUlllE1_EE10hipError_tPvRmT2_T3_mT4_P12ihipStream_tbEUlT_E_NS1_11comp_targetILNS1_3genE9ELNS1_11target_archE1100ELNS1_3gpuE3ELNS1_3repE0EEENS1_30default_config_static_selectorELNS0_4arch9wavefront6targetE1EEEvT1_.uses_flat_scratch, 0
	.set _ZN7rocprim17ROCPRIM_400000_NS6detail17trampoline_kernelINS0_14default_configENS1_35adjacent_difference_config_selectorILb0ElEEZNS1_24adjacent_difference_implIS3_Lb0ELb0EPlS7_ZN2at6native12_GLOBAL__N_124unique_dim_cuda_templateIfEESt5tupleIJNS8_6TensorESD_SD_EERKSD_lbbbEUlllE1_EE10hipError_tPvRmT2_T3_mT4_P12ihipStream_tbEUlT_E_NS1_11comp_targetILNS1_3genE9ELNS1_11target_archE1100ELNS1_3gpuE3ELNS1_3repE0EEENS1_30default_config_static_selectorELNS0_4arch9wavefront6targetE1EEEvT1_.has_dyn_sized_stack, 0
	.set _ZN7rocprim17ROCPRIM_400000_NS6detail17trampoline_kernelINS0_14default_configENS1_35adjacent_difference_config_selectorILb0ElEEZNS1_24adjacent_difference_implIS3_Lb0ELb0EPlS7_ZN2at6native12_GLOBAL__N_124unique_dim_cuda_templateIfEESt5tupleIJNS8_6TensorESD_SD_EERKSD_lbbbEUlllE1_EE10hipError_tPvRmT2_T3_mT4_P12ihipStream_tbEUlT_E_NS1_11comp_targetILNS1_3genE9ELNS1_11target_archE1100ELNS1_3gpuE3ELNS1_3repE0EEENS1_30default_config_static_selectorELNS0_4arch9wavefront6targetE1EEEvT1_.has_recursion, 0
	.set _ZN7rocprim17ROCPRIM_400000_NS6detail17trampoline_kernelINS0_14default_configENS1_35adjacent_difference_config_selectorILb0ElEEZNS1_24adjacent_difference_implIS3_Lb0ELb0EPlS7_ZN2at6native12_GLOBAL__N_124unique_dim_cuda_templateIfEESt5tupleIJNS8_6TensorESD_SD_EERKSD_lbbbEUlllE1_EE10hipError_tPvRmT2_T3_mT4_P12ihipStream_tbEUlT_E_NS1_11comp_targetILNS1_3genE9ELNS1_11target_archE1100ELNS1_3gpuE3ELNS1_3repE0EEENS1_30default_config_static_selectorELNS0_4arch9wavefront6targetE1EEEvT1_.has_indirect_call, 0
	.section	.AMDGPU.csdata,"",@progbits
; Kernel info:
; codeLenInByte = 0
; TotalNumSgprs: 6
; NumVgprs: 0
; NumAgprs: 0
; TotalNumVgprs: 0
; ScratchSize: 0
; MemoryBound: 0
; FloatMode: 240
; IeeeMode: 1
; LDSByteSize: 0 bytes/workgroup (compile time only)
; SGPRBlocks: 0
; VGPRBlocks: 0
; NumSGPRsForWavesPerEU: 6
; NumVGPRsForWavesPerEU: 1
; AccumOffset: 4
; Occupancy: 8
; WaveLimiterHint : 0
; COMPUTE_PGM_RSRC2:SCRATCH_EN: 0
; COMPUTE_PGM_RSRC2:USER_SGPR: 2
; COMPUTE_PGM_RSRC2:TRAP_HANDLER: 0
; COMPUTE_PGM_RSRC2:TGID_X_EN: 1
; COMPUTE_PGM_RSRC2:TGID_Y_EN: 0
; COMPUTE_PGM_RSRC2:TGID_Z_EN: 0
; COMPUTE_PGM_RSRC2:TIDIG_COMP_CNT: 0
; COMPUTE_PGM_RSRC3_GFX90A:ACCUM_OFFSET: 0
; COMPUTE_PGM_RSRC3_GFX90A:TG_SPLIT: 0
	.section	.text._ZN7rocprim17ROCPRIM_400000_NS6detail17trampoline_kernelINS0_14default_configENS1_35adjacent_difference_config_selectorILb0ElEEZNS1_24adjacent_difference_implIS3_Lb0ELb0EPlS7_ZN2at6native12_GLOBAL__N_124unique_dim_cuda_templateIfEESt5tupleIJNS8_6TensorESD_SD_EERKSD_lbbbEUlllE1_EE10hipError_tPvRmT2_T3_mT4_P12ihipStream_tbEUlT_E_NS1_11comp_targetILNS1_3genE8ELNS1_11target_archE1030ELNS1_3gpuE2ELNS1_3repE0EEENS1_30default_config_static_selectorELNS0_4arch9wavefront6targetE1EEEvT1_,"axG",@progbits,_ZN7rocprim17ROCPRIM_400000_NS6detail17trampoline_kernelINS0_14default_configENS1_35adjacent_difference_config_selectorILb0ElEEZNS1_24adjacent_difference_implIS3_Lb0ELb0EPlS7_ZN2at6native12_GLOBAL__N_124unique_dim_cuda_templateIfEESt5tupleIJNS8_6TensorESD_SD_EERKSD_lbbbEUlllE1_EE10hipError_tPvRmT2_T3_mT4_P12ihipStream_tbEUlT_E_NS1_11comp_targetILNS1_3genE8ELNS1_11target_archE1030ELNS1_3gpuE2ELNS1_3repE0EEENS1_30default_config_static_selectorELNS0_4arch9wavefront6targetE1EEEvT1_,comdat
	.globl	_ZN7rocprim17ROCPRIM_400000_NS6detail17trampoline_kernelINS0_14default_configENS1_35adjacent_difference_config_selectorILb0ElEEZNS1_24adjacent_difference_implIS3_Lb0ELb0EPlS7_ZN2at6native12_GLOBAL__N_124unique_dim_cuda_templateIfEESt5tupleIJNS8_6TensorESD_SD_EERKSD_lbbbEUlllE1_EE10hipError_tPvRmT2_T3_mT4_P12ihipStream_tbEUlT_E_NS1_11comp_targetILNS1_3genE8ELNS1_11target_archE1030ELNS1_3gpuE2ELNS1_3repE0EEENS1_30default_config_static_selectorELNS0_4arch9wavefront6targetE1EEEvT1_ ; -- Begin function _ZN7rocprim17ROCPRIM_400000_NS6detail17trampoline_kernelINS0_14default_configENS1_35adjacent_difference_config_selectorILb0ElEEZNS1_24adjacent_difference_implIS3_Lb0ELb0EPlS7_ZN2at6native12_GLOBAL__N_124unique_dim_cuda_templateIfEESt5tupleIJNS8_6TensorESD_SD_EERKSD_lbbbEUlllE1_EE10hipError_tPvRmT2_T3_mT4_P12ihipStream_tbEUlT_E_NS1_11comp_targetILNS1_3genE8ELNS1_11target_archE1030ELNS1_3gpuE2ELNS1_3repE0EEENS1_30default_config_static_selectorELNS0_4arch9wavefront6targetE1EEEvT1_
	.p2align	8
	.type	_ZN7rocprim17ROCPRIM_400000_NS6detail17trampoline_kernelINS0_14default_configENS1_35adjacent_difference_config_selectorILb0ElEEZNS1_24adjacent_difference_implIS3_Lb0ELb0EPlS7_ZN2at6native12_GLOBAL__N_124unique_dim_cuda_templateIfEESt5tupleIJNS8_6TensorESD_SD_EERKSD_lbbbEUlllE1_EE10hipError_tPvRmT2_T3_mT4_P12ihipStream_tbEUlT_E_NS1_11comp_targetILNS1_3genE8ELNS1_11target_archE1030ELNS1_3gpuE2ELNS1_3repE0EEENS1_30default_config_static_selectorELNS0_4arch9wavefront6targetE1EEEvT1_,@function
_ZN7rocprim17ROCPRIM_400000_NS6detail17trampoline_kernelINS0_14default_configENS1_35adjacent_difference_config_selectorILb0ElEEZNS1_24adjacent_difference_implIS3_Lb0ELb0EPlS7_ZN2at6native12_GLOBAL__N_124unique_dim_cuda_templateIfEESt5tupleIJNS8_6TensorESD_SD_EERKSD_lbbbEUlllE1_EE10hipError_tPvRmT2_T3_mT4_P12ihipStream_tbEUlT_E_NS1_11comp_targetILNS1_3genE8ELNS1_11target_archE1030ELNS1_3gpuE2ELNS1_3repE0EEENS1_30default_config_static_selectorELNS0_4arch9wavefront6targetE1EEEvT1_: ; @_ZN7rocprim17ROCPRIM_400000_NS6detail17trampoline_kernelINS0_14default_configENS1_35adjacent_difference_config_selectorILb0ElEEZNS1_24adjacent_difference_implIS3_Lb0ELb0EPlS7_ZN2at6native12_GLOBAL__N_124unique_dim_cuda_templateIfEESt5tupleIJNS8_6TensorESD_SD_EERKSD_lbbbEUlllE1_EE10hipError_tPvRmT2_T3_mT4_P12ihipStream_tbEUlT_E_NS1_11comp_targetILNS1_3genE8ELNS1_11target_archE1030ELNS1_3gpuE2ELNS1_3repE0EEENS1_30default_config_static_selectorELNS0_4arch9wavefront6targetE1EEEvT1_
; %bb.0:
	.section	.rodata,"a",@progbits
	.p2align	6, 0x0
	.amdhsa_kernel _ZN7rocprim17ROCPRIM_400000_NS6detail17trampoline_kernelINS0_14default_configENS1_35adjacent_difference_config_selectorILb0ElEEZNS1_24adjacent_difference_implIS3_Lb0ELb0EPlS7_ZN2at6native12_GLOBAL__N_124unique_dim_cuda_templateIfEESt5tupleIJNS8_6TensorESD_SD_EERKSD_lbbbEUlllE1_EE10hipError_tPvRmT2_T3_mT4_P12ihipStream_tbEUlT_E_NS1_11comp_targetILNS1_3genE8ELNS1_11target_archE1030ELNS1_3gpuE2ELNS1_3repE0EEENS1_30default_config_static_selectorELNS0_4arch9wavefront6targetE1EEEvT1_
		.amdhsa_group_segment_fixed_size 0
		.amdhsa_private_segment_fixed_size 0
		.amdhsa_kernarg_size 64
		.amdhsa_user_sgpr_count 2
		.amdhsa_user_sgpr_dispatch_ptr 0
		.amdhsa_user_sgpr_queue_ptr 0
		.amdhsa_user_sgpr_kernarg_segment_ptr 1
		.amdhsa_user_sgpr_dispatch_id 0
		.amdhsa_user_sgpr_kernarg_preload_length 0
		.amdhsa_user_sgpr_kernarg_preload_offset 0
		.amdhsa_user_sgpr_private_segment_size 0
		.amdhsa_uses_dynamic_stack 0
		.amdhsa_enable_private_segment 0
		.amdhsa_system_sgpr_workgroup_id_x 1
		.amdhsa_system_sgpr_workgroup_id_y 0
		.amdhsa_system_sgpr_workgroup_id_z 0
		.amdhsa_system_sgpr_workgroup_info 0
		.amdhsa_system_vgpr_workitem_id 0
		.amdhsa_next_free_vgpr 1
		.amdhsa_next_free_sgpr 0
		.amdhsa_accum_offset 4
		.amdhsa_reserve_vcc 0
		.amdhsa_float_round_mode_32 0
		.amdhsa_float_round_mode_16_64 0
		.amdhsa_float_denorm_mode_32 3
		.amdhsa_float_denorm_mode_16_64 3
		.amdhsa_dx10_clamp 1
		.amdhsa_ieee_mode 1
		.amdhsa_fp16_overflow 0
		.amdhsa_tg_split 0
		.amdhsa_exception_fp_ieee_invalid_op 0
		.amdhsa_exception_fp_denorm_src 0
		.amdhsa_exception_fp_ieee_div_zero 0
		.amdhsa_exception_fp_ieee_overflow 0
		.amdhsa_exception_fp_ieee_underflow 0
		.amdhsa_exception_fp_ieee_inexact 0
		.amdhsa_exception_int_div_zero 0
	.end_amdhsa_kernel
	.section	.text._ZN7rocprim17ROCPRIM_400000_NS6detail17trampoline_kernelINS0_14default_configENS1_35adjacent_difference_config_selectorILb0ElEEZNS1_24adjacent_difference_implIS3_Lb0ELb0EPlS7_ZN2at6native12_GLOBAL__N_124unique_dim_cuda_templateIfEESt5tupleIJNS8_6TensorESD_SD_EERKSD_lbbbEUlllE1_EE10hipError_tPvRmT2_T3_mT4_P12ihipStream_tbEUlT_E_NS1_11comp_targetILNS1_3genE8ELNS1_11target_archE1030ELNS1_3gpuE2ELNS1_3repE0EEENS1_30default_config_static_selectorELNS0_4arch9wavefront6targetE1EEEvT1_,"axG",@progbits,_ZN7rocprim17ROCPRIM_400000_NS6detail17trampoline_kernelINS0_14default_configENS1_35adjacent_difference_config_selectorILb0ElEEZNS1_24adjacent_difference_implIS3_Lb0ELb0EPlS7_ZN2at6native12_GLOBAL__N_124unique_dim_cuda_templateIfEESt5tupleIJNS8_6TensorESD_SD_EERKSD_lbbbEUlllE1_EE10hipError_tPvRmT2_T3_mT4_P12ihipStream_tbEUlT_E_NS1_11comp_targetILNS1_3genE8ELNS1_11target_archE1030ELNS1_3gpuE2ELNS1_3repE0EEENS1_30default_config_static_selectorELNS0_4arch9wavefront6targetE1EEEvT1_,comdat
.Lfunc_end911:
	.size	_ZN7rocprim17ROCPRIM_400000_NS6detail17trampoline_kernelINS0_14default_configENS1_35adjacent_difference_config_selectorILb0ElEEZNS1_24adjacent_difference_implIS3_Lb0ELb0EPlS7_ZN2at6native12_GLOBAL__N_124unique_dim_cuda_templateIfEESt5tupleIJNS8_6TensorESD_SD_EERKSD_lbbbEUlllE1_EE10hipError_tPvRmT2_T3_mT4_P12ihipStream_tbEUlT_E_NS1_11comp_targetILNS1_3genE8ELNS1_11target_archE1030ELNS1_3gpuE2ELNS1_3repE0EEENS1_30default_config_static_selectorELNS0_4arch9wavefront6targetE1EEEvT1_, .Lfunc_end911-_ZN7rocprim17ROCPRIM_400000_NS6detail17trampoline_kernelINS0_14default_configENS1_35adjacent_difference_config_selectorILb0ElEEZNS1_24adjacent_difference_implIS3_Lb0ELb0EPlS7_ZN2at6native12_GLOBAL__N_124unique_dim_cuda_templateIfEESt5tupleIJNS8_6TensorESD_SD_EERKSD_lbbbEUlllE1_EE10hipError_tPvRmT2_T3_mT4_P12ihipStream_tbEUlT_E_NS1_11comp_targetILNS1_3genE8ELNS1_11target_archE1030ELNS1_3gpuE2ELNS1_3repE0EEENS1_30default_config_static_selectorELNS0_4arch9wavefront6targetE1EEEvT1_
                                        ; -- End function
	.set _ZN7rocprim17ROCPRIM_400000_NS6detail17trampoline_kernelINS0_14default_configENS1_35adjacent_difference_config_selectorILb0ElEEZNS1_24adjacent_difference_implIS3_Lb0ELb0EPlS7_ZN2at6native12_GLOBAL__N_124unique_dim_cuda_templateIfEESt5tupleIJNS8_6TensorESD_SD_EERKSD_lbbbEUlllE1_EE10hipError_tPvRmT2_T3_mT4_P12ihipStream_tbEUlT_E_NS1_11comp_targetILNS1_3genE8ELNS1_11target_archE1030ELNS1_3gpuE2ELNS1_3repE0EEENS1_30default_config_static_selectorELNS0_4arch9wavefront6targetE1EEEvT1_.num_vgpr, 0
	.set _ZN7rocprim17ROCPRIM_400000_NS6detail17trampoline_kernelINS0_14default_configENS1_35adjacent_difference_config_selectorILb0ElEEZNS1_24adjacent_difference_implIS3_Lb0ELb0EPlS7_ZN2at6native12_GLOBAL__N_124unique_dim_cuda_templateIfEESt5tupleIJNS8_6TensorESD_SD_EERKSD_lbbbEUlllE1_EE10hipError_tPvRmT2_T3_mT4_P12ihipStream_tbEUlT_E_NS1_11comp_targetILNS1_3genE8ELNS1_11target_archE1030ELNS1_3gpuE2ELNS1_3repE0EEENS1_30default_config_static_selectorELNS0_4arch9wavefront6targetE1EEEvT1_.num_agpr, 0
	.set _ZN7rocprim17ROCPRIM_400000_NS6detail17trampoline_kernelINS0_14default_configENS1_35adjacent_difference_config_selectorILb0ElEEZNS1_24adjacent_difference_implIS3_Lb0ELb0EPlS7_ZN2at6native12_GLOBAL__N_124unique_dim_cuda_templateIfEESt5tupleIJNS8_6TensorESD_SD_EERKSD_lbbbEUlllE1_EE10hipError_tPvRmT2_T3_mT4_P12ihipStream_tbEUlT_E_NS1_11comp_targetILNS1_3genE8ELNS1_11target_archE1030ELNS1_3gpuE2ELNS1_3repE0EEENS1_30default_config_static_selectorELNS0_4arch9wavefront6targetE1EEEvT1_.numbered_sgpr, 0
	.set _ZN7rocprim17ROCPRIM_400000_NS6detail17trampoline_kernelINS0_14default_configENS1_35adjacent_difference_config_selectorILb0ElEEZNS1_24adjacent_difference_implIS3_Lb0ELb0EPlS7_ZN2at6native12_GLOBAL__N_124unique_dim_cuda_templateIfEESt5tupleIJNS8_6TensorESD_SD_EERKSD_lbbbEUlllE1_EE10hipError_tPvRmT2_T3_mT4_P12ihipStream_tbEUlT_E_NS1_11comp_targetILNS1_3genE8ELNS1_11target_archE1030ELNS1_3gpuE2ELNS1_3repE0EEENS1_30default_config_static_selectorELNS0_4arch9wavefront6targetE1EEEvT1_.num_named_barrier, 0
	.set _ZN7rocprim17ROCPRIM_400000_NS6detail17trampoline_kernelINS0_14default_configENS1_35adjacent_difference_config_selectorILb0ElEEZNS1_24adjacent_difference_implIS3_Lb0ELb0EPlS7_ZN2at6native12_GLOBAL__N_124unique_dim_cuda_templateIfEESt5tupleIJNS8_6TensorESD_SD_EERKSD_lbbbEUlllE1_EE10hipError_tPvRmT2_T3_mT4_P12ihipStream_tbEUlT_E_NS1_11comp_targetILNS1_3genE8ELNS1_11target_archE1030ELNS1_3gpuE2ELNS1_3repE0EEENS1_30default_config_static_selectorELNS0_4arch9wavefront6targetE1EEEvT1_.private_seg_size, 0
	.set _ZN7rocprim17ROCPRIM_400000_NS6detail17trampoline_kernelINS0_14default_configENS1_35adjacent_difference_config_selectorILb0ElEEZNS1_24adjacent_difference_implIS3_Lb0ELb0EPlS7_ZN2at6native12_GLOBAL__N_124unique_dim_cuda_templateIfEESt5tupleIJNS8_6TensorESD_SD_EERKSD_lbbbEUlllE1_EE10hipError_tPvRmT2_T3_mT4_P12ihipStream_tbEUlT_E_NS1_11comp_targetILNS1_3genE8ELNS1_11target_archE1030ELNS1_3gpuE2ELNS1_3repE0EEENS1_30default_config_static_selectorELNS0_4arch9wavefront6targetE1EEEvT1_.uses_vcc, 0
	.set _ZN7rocprim17ROCPRIM_400000_NS6detail17trampoline_kernelINS0_14default_configENS1_35adjacent_difference_config_selectorILb0ElEEZNS1_24adjacent_difference_implIS3_Lb0ELb0EPlS7_ZN2at6native12_GLOBAL__N_124unique_dim_cuda_templateIfEESt5tupleIJNS8_6TensorESD_SD_EERKSD_lbbbEUlllE1_EE10hipError_tPvRmT2_T3_mT4_P12ihipStream_tbEUlT_E_NS1_11comp_targetILNS1_3genE8ELNS1_11target_archE1030ELNS1_3gpuE2ELNS1_3repE0EEENS1_30default_config_static_selectorELNS0_4arch9wavefront6targetE1EEEvT1_.uses_flat_scratch, 0
	.set _ZN7rocprim17ROCPRIM_400000_NS6detail17trampoline_kernelINS0_14default_configENS1_35adjacent_difference_config_selectorILb0ElEEZNS1_24adjacent_difference_implIS3_Lb0ELb0EPlS7_ZN2at6native12_GLOBAL__N_124unique_dim_cuda_templateIfEESt5tupleIJNS8_6TensorESD_SD_EERKSD_lbbbEUlllE1_EE10hipError_tPvRmT2_T3_mT4_P12ihipStream_tbEUlT_E_NS1_11comp_targetILNS1_3genE8ELNS1_11target_archE1030ELNS1_3gpuE2ELNS1_3repE0EEENS1_30default_config_static_selectorELNS0_4arch9wavefront6targetE1EEEvT1_.has_dyn_sized_stack, 0
	.set _ZN7rocprim17ROCPRIM_400000_NS6detail17trampoline_kernelINS0_14default_configENS1_35adjacent_difference_config_selectorILb0ElEEZNS1_24adjacent_difference_implIS3_Lb0ELb0EPlS7_ZN2at6native12_GLOBAL__N_124unique_dim_cuda_templateIfEESt5tupleIJNS8_6TensorESD_SD_EERKSD_lbbbEUlllE1_EE10hipError_tPvRmT2_T3_mT4_P12ihipStream_tbEUlT_E_NS1_11comp_targetILNS1_3genE8ELNS1_11target_archE1030ELNS1_3gpuE2ELNS1_3repE0EEENS1_30default_config_static_selectorELNS0_4arch9wavefront6targetE1EEEvT1_.has_recursion, 0
	.set _ZN7rocprim17ROCPRIM_400000_NS6detail17trampoline_kernelINS0_14default_configENS1_35adjacent_difference_config_selectorILb0ElEEZNS1_24adjacent_difference_implIS3_Lb0ELb0EPlS7_ZN2at6native12_GLOBAL__N_124unique_dim_cuda_templateIfEESt5tupleIJNS8_6TensorESD_SD_EERKSD_lbbbEUlllE1_EE10hipError_tPvRmT2_T3_mT4_P12ihipStream_tbEUlT_E_NS1_11comp_targetILNS1_3genE8ELNS1_11target_archE1030ELNS1_3gpuE2ELNS1_3repE0EEENS1_30default_config_static_selectorELNS0_4arch9wavefront6targetE1EEEvT1_.has_indirect_call, 0
	.section	.AMDGPU.csdata,"",@progbits
; Kernel info:
; codeLenInByte = 0
; TotalNumSgprs: 6
; NumVgprs: 0
; NumAgprs: 0
; TotalNumVgprs: 0
; ScratchSize: 0
; MemoryBound: 0
; FloatMode: 240
; IeeeMode: 1
; LDSByteSize: 0 bytes/workgroup (compile time only)
; SGPRBlocks: 0
; VGPRBlocks: 0
; NumSGPRsForWavesPerEU: 6
; NumVGPRsForWavesPerEU: 1
; AccumOffset: 4
; Occupancy: 8
; WaveLimiterHint : 0
; COMPUTE_PGM_RSRC2:SCRATCH_EN: 0
; COMPUTE_PGM_RSRC2:USER_SGPR: 2
; COMPUTE_PGM_RSRC2:TRAP_HANDLER: 0
; COMPUTE_PGM_RSRC2:TGID_X_EN: 1
; COMPUTE_PGM_RSRC2:TGID_Y_EN: 0
; COMPUTE_PGM_RSRC2:TGID_Z_EN: 0
; COMPUTE_PGM_RSRC2:TIDIG_COMP_CNT: 0
; COMPUTE_PGM_RSRC3_GFX90A:ACCUM_OFFSET: 0
; COMPUTE_PGM_RSRC3_GFX90A:TG_SPLIT: 0
	.section	.text._ZN7rocprim17ROCPRIM_400000_NS6detail17trampoline_kernelINS0_14default_configENS1_25transform_config_selectorIlLb0EEEZNS1_14transform_implILb0ES3_S5_NS0_18transform_iteratorINS0_17counting_iteratorImlEEZNS1_24adjacent_difference_implIS3_Lb1ELb0EPlSB_ZN2at6native12_GLOBAL__N_124unique_dim_cuda_templateIfEESt5tupleIJNSC_6TensorESH_SH_EERKSH_lbbbEUlllE1_EE10hipError_tPvRmT2_T3_mT4_P12ihipStream_tbEUlmE_lEESB_NS0_8identityIvEEEESM_SP_SQ_mSR_ST_bEUlT_E_NS1_11comp_targetILNS1_3genE0ELNS1_11target_archE4294967295ELNS1_3gpuE0ELNS1_3repE0EEENS1_30default_config_static_selectorELNS0_4arch9wavefront6targetE1EEEvT1_,"axG",@progbits,_ZN7rocprim17ROCPRIM_400000_NS6detail17trampoline_kernelINS0_14default_configENS1_25transform_config_selectorIlLb0EEEZNS1_14transform_implILb0ES3_S5_NS0_18transform_iteratorINS0_17counting_iteratorImlEEZNS1_24adjacent_difference_implIS3_Lb1ELb0EPlSB_ZN2at6native12_GLOBAL__N_124unique_dim_cuda_templateIfEESt5tupleIJNSC_6TensorESH_SH_EERKSH_lbbbEUlllE1_EE10hipError_tPvRmT2_T3_mT4_P12ihipStream_tbEUlmE_lEESB_NS0_8identityIvEEEESM_SP_SQ_mSR_ST_bEUlT_E_NS1_11comp_targetILNS1_3genE0ELNS1_11target_archE4294967295ELNS1_3gpuE0ELNS1_3repE0EEENS1_30default_config_static_selectorELNS0_4arch9wavefront6targetE1EEEvT1_,comdat
	.globl	_ZN7rocprim17ROCPRIM_400000_NS6detail17trampoline_kernelINS0_14default_configENS1_25transform_config_selectorIlLb0EEEZNS1_14transform_implILb0ES3_S5_NS0_18transform_iteratorINS0_17counting_iteratorImlEEZNS1_24adjacent_difference_implIS3_Lb1ELb0EPlSB_ZN2at6native12_GLOBAL__N_124unique_dim_cuda_templateIfEESt5tupleIJNSC_6TensorESH_SH_EERKSH_lbbbEUlllE1_EE10hipError_tPvRmT2_T3_mT4_P12ihipStream_tbEUlmE_lEESB_NS0_8identityIvEEEESM_SP_SQ_mSR_ST_bEUlT_E_NS1_11comp_targetILNS1_3genE0ELNS1_11target_archE4294967295ELNS1_3gpuE0ELNS1_3repE0EEENS1_30default_config_static_selectorELNS0_4arch9wavefront6targetE1EEEvT1_ ; -- Begin function _ZN7rocprim17ROCPRIM_400000_NS6detail17trampoline_kernelINS0_14default_configENS1_25transform_config_selectorIlLb0EEEZNS1_14transform_implILb0ES3_S5_NS0_18transform_iteratorINS0_17counting_iteratorImlEEZNS1_24adjacent_difference_implIS3_Lb1ELb0EPlSB_ZN2at6native12_GLOBAL__N_124unique_dim_cuda_templateIfEESt5tupleIJNSC_6TensorESH_SH_EERKSH_lbbbEUlllE1_EE10hipError_tPvRmT2_T3_mT4_P12ihipStream_tbEUlmE_lEESB_NS0_8identityIvEEEESM_SP_SQ_mSR_ST_bEUlT_E_NS1_11comp_targetILNS1_3genE0ELNS1_11target_archE4294967295ELNS1_3gpuE0ELNS1_3repE0EEENS1_30default_config_static_selectorELNS0_4arch9wavefront6targetE1EEEvT1_
	.p2align	8
	.type	_ZN7rocprim17ROCPRIM_400000_NS6detail17trampoline_kernelINS0_14default_configENS1_25transform_config_selectorIlLb0EEEZNS1_14transform_implILb0ES3_S5_NS0_18transform_iteratorINS0_17counting_iteratorImlEEZNS1_24adjacent_difference_implIS3_Lb1ELb0EPlSB_ZN2at6native12_GLOBAL__N_124unique_dim_cuda_templateIfEESt5tupleIJNSC_6TensorESH_SH_EERKSH_lbbbEUlllE1_EE10hipError_tPvRmT2_T3_mT4_P12ihipStream_tbEUlmE_lEESB_NS0_8identityIvEEEESM_SP_SQ_mSR_ST_bEUlT_E_NS1_11comp_targetILNS1_3genE0ELNS1_11target_archE4294967295ELNS1_3gpuE0ELNS1_3repE0EEENS1_30default_config_static_selectorELNS0_4arch9wavefront6targetE1EEEvT1_,@function
_ZN7rocprim17ROCPRIM_400000_NS6detail17trampoline_kernelINS0_14default_configENS1_25transform_config_selectorIlLb0EEEZNS1_14transform_implILb0ES3_S5_NS0_18transform_iteratorINS0_17counting_iteratorImlEEZNS1_24adjacent_difference_implIS3_Lb1ELb0EPlSB_ZN2at6native12_GLOBAL__N_124unique_dim_cuda_templateIfEESt5tupleIJNSC_6TensorESH_SH_EERKSH_lbbbEUlllE1_EE10hipError_tPvRmT2_T3_mT4_P12ihipStream_tbEUlmE_lEESB_NS0_8identityIvEEEESM_SP_SQ_mSR_ST_bEUlT_E_NS1_11comp_targetILNS1_3genE0ELNS1_11target_archE4294967295ELNS1_3gpuE0ELNS1_3repE0EEENS1_30default_config_static_selectorELNS0_4arch9wavefront6targetE1EEEvT1_: ; @_ZN7rocprim17ROCPRIM_400000_NS6detail17trampoline_kernelINS0_14default_configENS1_25transform_config_selectorIlLb0EEEZNS1_14transform_implILb0ES3_S5_NS0_18transform_iteratorINS0_17counting_iteratorImlEEZNS1_24adjacent_difference_implIS3_Lb1ELb0EPlSB_ZN2at6native12_GLOBAL__N_124unique_dim_cuda_templateIfEESt5tupleIJNSC_6TensorESH_SH_EERKSH_lbbbEUlllE1_EE10hipError_tPvRmT2_T3_mT4_P12ihipStream_tbEUlmE_lEESB_NS0_8identityIvEEEESM_SP_SQ_mSR_ST_bEUlT_E_NS1_11comp_targetILNS1_3genE0ELNS1_11target_archE4294967295ELNS1_3gpuE0ELNS1_3repE0EEENS1_30default_config_static_selectorELNS0_4arch9wavefront6targetE1EEEvT1_
; %bb.0:
	s_load_dword s3, s[0:1], 0x38
	s_load_dword s5, s[0:1], 0x20
	s_lshl_b32 s4, s2, 7
	s_waitcnt lgkmcnt(0)
	s_add_i32 s3, s3, -1
	s_cmp_lg_u32 s2, s3
	s_cselect_b64 s[2:3], -1, 0
	s_sub_i32 s5, s5, s4
	v_cmp_gt_u32_e32 vcc, s5, v0
	s_or_b64 s[2:3], s[2:3], vcc
	s_and_saveexec_b64 s[6:7], s[2:3]
	s_cbranch_execz .LBB912_2
; %bb.1:
	s_load_dwordx2 s[2:3], s[0:1], 0x18
	s_load_dwordx4 s[8:11], s[0:1], 0x0
	s_load_dwordx2 s[6:7], s[0:1], 0x28
	s_load_dword s5, s[0:1], 0x10
	v_mov_b32_e32 v1, 0
	s_waitcnt lgkmcnt(0)
	s_lshl_b64 s[0:1], s[2:3], 3
	v_mov_b32_e32 v2, s10
	s_add_u32 s6, s6, s0
	s_addc_u32 s7, s7, s1
	s_add_u32 s0, s8, s2
	s_addc_u32 s1, s9, s3
	;; [unrolled: 2-line block ×3, first 2 shown]
	v_lshl_add_u64 v[4:5], s[0:1], 0, v[0:1]
	v_mad_u64_u32 v[6:7], s[0:1], v4, s5, 0
	v_mov_b32_e32 v4, v7
	v_mad_u64_u32 v[4:5], s[0:1], v5, s5, v[4:5]
	v_mov_b32_e32 v3, s11
	v_mov_b32_e32 v7, v4
	v_lshl_add_u64 v[2:3], v[6:7], 3, v[2:3]
	global_load_dwordx2 v[2:3], v[2:3], off
	s_mov_b32 s5, 0
	s_lshl_b64 s[0:1], s[4:5], 3
	s_add_u32 s0, s6, s0
	s_addc_u32 s1, s7, s1
	v_lshl_add_u64 v[0:1], v[0:1], 3, s[0:1]
	s_waitcnt vmcnt(0)
	global_store_dwordx2 v[0:1], v[2:3], off
.LBB912_2:
	s_endpgm
	.section	.rodata,"a",@progbits
	.p2align	6, 0x0
	.amdhsa_kernel _ZN7rocprim17ROCPRIM_400000_NS6detail17trampoline_kernelINS0_14default_configENS1_25transform_config_selectorIlLb0EEEZNS1_14transform_implILb0ES3_S5_NS0_18transform_iteratorINS0_17counting_iteratorImlEEZNS1_24adjacent_difference_implIS3_Lb1ELb0EPlSB_ZN2at6native12_GLOBAL__N_124unique_dim_cuda_templateIfEESt5tupleIJNSC_6TensorESH_SH_EERKSH_lbbbEUlllE1_EE10hipError_tPvRmT2_T3_mT4_P12ihipStream_tbEUlmE_lEESB_NS0_8identityIvEEEESM_SP_SQ_mSR_ST_bEUlT_E_NS1_11comp_targetILNS1_3genE0ELNS1_11target_archE4294967295ELNS1_3gpuE0ELNS1_3repE0EEENS1_30default_config_static_selectorELNS0_4arch9wavefront6targetE1EEEvT1_
		.amdhsa_group_segment_fixed_size 0
		.amdhsa_private_segment_fixed_size 0
		.amdhsa_kernarg_size 312
		.amdhsa_user_sgpr_count 2
		.amdhsa_user_sgpr_dispatch_ptr 0
		.amdhsa_user_sgpr_queue_ptr 0
		.amdhsa_user_sgpr_kernarg_segment_ptr 1
		.amdhsa_user_sgpr_dispatch_id 0
		.amdhsa_user_sgpr_kernarg_preload_length 0
		.amdhsa_user_sgpr_kernarg_preload_offset 0
		.amdhsa_user_sgpr_private_segment_size 0
		.amdhsa_uses_dynamic_stack 0
		.amdhsa_enable_private_segment 0
		.amdhsa_system_sgpr_workgroup_id_x 1
		.amdhsa_system_sgpr_workgroup_id_y 0
		.amdhsa_system_sgpr_workgroup_id_z 0
		.amdhsa_system_sgpr_workgroup_info 0
		.amdhsa_system_vgpr_workitem_id 0
		.amdhsa_next_free_vgpr 8
		.amdhsa_next_free_sgpr 12
		.amdhsa_accum_offset 8
		.amdhsa_reserve_vcc 1
		.amdhsa_float_round_mode_32 0
		.amdhsa_float_round_mode_16_64 0
		.amdhsa_float_denorm_mode_32 3
		.amdhsa_float_denorm_mode_16_64 3
		.amdhsa_dx10_clamp 1
		.amdhsa_ieee_mode 1
		.amdhsa_fp16_overflow 0
		.amdhsa_tg_split 0
		.amdhsa_exception_fp_ieee_invalid_op 0
		.amdhsa_exception_fp_denorm_src 0
		.amdhsa_exception_fp_ieee_div_zero 0
		.amdhsa_exception_fp_ieee_overflow 0
		.amdhsa_exception_fp_ieee_underflow 0
		.amdhsa_exception_fp_ieee_inexact 0
		.amdhsa_exception_int_div_zero 0
	.end_amdhsa_kernel
	.section	.text._ZN7rocprim17ROCPRIM_400000_NS6detail17trampoline_kernelINS0_14default_configENS1_25transform_config_selectorIlLb0EEEZNS1_14transform_implILb0ES3_S5_NS0_18transform_iteratorINS0_17counting_iteratorImlEEZNS1_24adjacent_difference_implIS3_Lb1ELb0EPlSB_ZN2at6native12_GLOBAL__N_124unique_dim_cuda_templateIfEESt5tupleIJNSC_6TensorESH_SH_EERKSH_lbbbEUlllE1_EE10hipError_tPvRmT2_T3_mT4_P12ihipStream_tbEUlmE_lEESB_NS0_8identityIvEEEESM_SP_SQ_mSR_ST_bEUlT_E_NS1_11comp_targetILNS1_3genE0ELNS1_11target_archE4294967295ELNS1_3gpuE0ELNS1_3repE0EEENS1_30default_config_static_selectorELNS0_4arch9wavefront6targetE1EEEvT1_,"axG",@progbits,_ZN7rocprim17ROCPRIM_400000_NS6detail17trampoline_kernelINS0_14default_configENS1_25transform_config_selectorIlLb0EEEZNS1_14transform_implILb0ES3_S5_NS0_18transform_iteratorINS0_17counting_iteratorImlEEZNS1_24adjacent_difference_implIS3_Lb1ELb0EPlSB_ZN2at6native12_GLOBAL__N_124unique_dim_cuda_templateIfEESt5tupleIJNSC_6TensorESH_SH_EERKSH_lbbbEUlllE1_EE10hipError_tPvRmT2_T3_mT4_P12ihipStream_tbEUlmE_lEESB_NS0_8identityIvEEEESM_SP_SQ_mSR_ST_bEUlT_E_NS1_11comp_targetILNS1_3genE0ELNS1_11target_archE4294967295ELNS1_3gpuE0ELNS1_3repE0EEENS1_30default_config_static_selectorELNS0_4arch9wavefront6targetE1EEEvT1_,comdat
.Lfunc_end912:
	.size	_ZN7rocprim17ROCPRIM_400000_NS6detail17trampoline_kernelINS0_14default_configENS1_25transform_config_selectorIlLb0EEEZNS1_14transform_implILb0ES3_S5_NS0_18transform_iteratorINS0_17counting_iteratorImlEEZNS1_24adjacent_difference_implIS3_Lb1ELb0EPlSB_ZN2at6native12_GLOBAL__N_124unique_dim_cuda_templateIfEESt5tupleIJNSC_6TensorESH_SH_EERKSH_lbbbEUlllE1_EE10hipError_tPvRmT2_T3_mT4_P12ihipStream_tbEUlmE_lEESB_NS0_8identityIvEEEESM_SP_SQ_mSR_ST_bEUlT_E_NS1_11comp_targetILNS1_3genE0ELNS1_11target_archE4294967295ELNS1_3gpuE0ELNS1_3repE0EEENS1_30default_config_static_selectorELNS0_4arch9wavefront6targetE1EEEvT1_, .Lfunc_end912-_ZN7rocprim17ROCPRIM_400000_NS6detail17trampoline_kernelINS0_14default_configENS1_25transform_config_selectorIlLb0EEEZNS1_14transform_implILb0ES3_S5_NS0_18transform_iteratorINS0_17counting_iteratorImlEEZNS1_24adjacent_difference_implIS3_Lb1ELb0EPlSB_ZN2at6native12_GLOBAL__N_124unique_dim_cuda_templateIfEESt5tupleIJNSC_6TensorESH_SH_EERKSH_lbbbEUlllE1_EE10hipError_tPvRmT2_T3_mT4_P12ihipStream_tbEUlmE_lEESB_NS0_8identityIvEEEESM_SP_SQ_mSR_ST_bEUlT_E_NS1_11comp_targetILNS1_3genE0ELNS1_11target_archE4294967295ELNS1_3gpuE0ELNS1_3repE0EEENS1_30default_config_static_selectorELNS0_4arch9wavefront6targetE1EEEvT1_
                                        ; -- End function
	.set _ZN7rocprim17ROCPRIM_400000_NS6detail17trampoline_kernelINS0_14default_configENS1_25transform_config_selectorIlLb0EEEZNS1_14transform_implILb0ES3_S5_NS0_18transform_iteratorINS0_17counting_iteratorImlEEZNS1_24adjacent_difference_implIS3_Lb1ELb0EPlSB_ZN2at6native12_GLOBAL__N_124unique_dim_cuda_templateIfEESt5tupleIJNSC_6TensorESH_SH_EERKSH_lbbbEUlllE1_EE10hipError_tPvRmT2_T3_mT4_P12ihipStream_tbEUlmE_lEESB_NS0_8identityIvEEEESM_SP_SQ_mSR_ST_bEUlT_E_NS1_11comp_targetILNS1_3genE0ELNS1_11target_archE4294967295ELNS1_3gpuE0ELNS1_3repE0EEENS1_30default_config_static_selectorELNS0_4arch9wavefront6targetE1EEEvT1_.num_vgpr, 8
	.set _ZN7rocprim17ROCPRIM_400000_NS6detail17trampoline_kernelINS0_14default_configENS1_25transform_config_selectorIlLb0EEEZNS1_14transform_implILb0ES3_S5_NS0_18transform_iteratorINS0_17counting_iteratorImlEEZNS1_24adjacent_difference_implIS3_Lb1ELb0EPlSB_ZN2at6native12_GLOBAL__N_124unique_dim_cuda_templateIfEESt5tupleIJNSC_6TensorESH_SH_EERKSH_lbbbEUlllE1_EE10hipError_tPvRmT2_T3_mT4_P12ihipStream_tbEUlmE_lEESB_NS0_8identityIvEEEESM_SP_SQ_mSR_ST_bEUlT_E_NS1_11comp_targetILNS1_3genE0ELNS1_11target_archE4294967295ELNS1_3gpuE0ELNS1_3repE0EEENS1_30default_config_static_selectorELNS0_4arch9wavefront6targetE1EEEvT1_.num_agpr, 0
	.set _ZN7rocprim17ROCPRIM_400000_NS6detail17trampoline_kernelINS0_14default_configENS1_25transform_config_selectorIlLb0EEEZNS1_14transform_implILb0ES3_S5_NS0_18transform_iteratorINS0_17counting_iteratorImlEEZNS1_24adjacent_difference_implIS3_Lb1ELb0EPlSB_ZN2at6native12_GLOBAL__N_124unique_dim_cuda_templateIfEESt5tupleIJNSC_6TensorESH_SH_EERKSH_lbbbEUlllE1_EE10hipError_tPvRmT2_T3_mT4_P12ihipStream_tbEUlmE_lEESB_NS0_8identityIvEEEESM_SP_SQ_mSR_ST_bEUlT_E_NS1_11comp_targetILNS1_3genE0ELNS1_11target_archE4294967295ELNS1_3gpuE0ELNS1_3repE0EEENS1_30default_config_static_selectorELNS0_4arch9wavefront6targetE1EEEvT1_.numbered_sgpr, 12
	.set _ZN7rocprim17ROCPRIM_400000_NS6detail17trampoline_kernelINS0_14default_configENS1_25transform_config_selectorIlLb0EEEZNS1_14transform_implILb0ES3_S5_NS0_18transform_iteratorINS0_17counting_iteratorImlEEZNS1_24adjacent_difference_implIS3_Lb1ELb0EPlSB_ZN2at6native12_GLOBAL__N_124unique_dim_cuda_templateIfEESt5tupleIJNSC_6TensorESH_SH_EERKSH_lbbbEUlllE1_EE10hipError_tPvRmT2_T3_mT4_P12ihipStream_tbEUlmE_lEESB_NS0_8identityIvEEEESM_SP_SQ_mSR_ST_bEUlT_E_NS1_11comp_targetILNS1_3genE0ELNS1_11target_archE4294967295ELNS1_3gpuE0ELNS1_3repE0EEENS1_30default_config_static_selectorELNS0_4arch9wavefront6targetE1EEEvT1_.num_named_barrier, 0
	.set _ZN7rocprim17ROCPRIM_400000_NS6detail17trampoline_kernelINS0_14default_configENS1_25transform_config_selectorIlLb0EEEZNS1_14transform_implILb0ES3_S5_NS0_18transform_iteratorINS0_17counting_iteratorImlEEZNS1_24adjacent_difference_implIS3_Lb1ELb0EPlSB_ZN2at6native12_GLOBAL__N_124unique_dim_cuda_templateIfEESt5tupleIJNSC_6TensorESH_SH_EERKSH_lbbbEUlllE1_EE10hipError_tPvRmT2_T3_mT4_P12ihipStream_tbEUlmE_lEESB_NS0_8identityIvEEEESM_SP_SQ_mSR_ST_bEUlT_E_NS1_11comp_targetILNS1_3genE0ELNS1_11target_archE4294967295ELNS1_3gpuE0ELNS1_3repE0EEENS1_30default_config_static_selectorELNS0_4arch9wavefront6targetE1EEEvT1_.private_seg_size, 0
	.set _ZN7rocprim17ROCPRIM_400000_NS6detail17trampoline_kernelINS0_14default_configENS1_25transform_config_selectorIlLb0EEEZNS1_14transform_implILb0ES3_S5_NS0_18transform_iteratorINS0_17counting_iteratorImlEEZNS1_24adjacent_difference_implIS3_Lb1ELb0EPlSB_ZN2at6native12_GLOBAL__N_124unique_dim_cuda_templateIfEESt5tupleIJNSC_6TensorESH_SH_EERKSH_lbbbEUlllE1_EE10hipError_tPvRmT2_T3_mT4_P12ihipStream_tbEUlmE_lEESB_NS0_8identityIvEEEESM_SP_SQ_mSR_ST_bEUlT_E_NS1_11comp_targetILNS1_3genE0ELNS1_11target_archE4294967295ELNS1_3gpuE0ELNS1_3repE0EEENS1_30default_config_static_selectorELNS0_4arch9wavefront6targetE1EEEvT1_.uses_vcc, 1
	.set _ZN7rocprim17ROCPRIM_400000_NS6detail17trampoline_kernelINS0_14default_configENS1_25transform_config_selectorIlLb0EEEZNS1_14transform_implILb0ES3_S5_NS0_18transform_iteratorINS0_17counting_iteratorImlEEZNS1_24adjacent_difference_implIS3_Lb1ELb0EPlSB_ZN2at6native12_GLOBAL__N_124unique_dim_cuda_templateIfEESt5tupleIJNSC_6TensorESH_SH_EERKSH_lbbbEUlllE1_EE10hipError_tPvRmT2_T3_mT4_P12ihipStream_tbEUlmE_lEESB_NS0_8identityIvEEEESM_SP_SQ_mSR_ST_bEUlT_E_NS1_11comp_targetILNS1_3genE0ELNS1_11target_archE4294967295ELNS1_3gpuE0ELNS1_3repE0EEENS1_30default_config_static_selectorELNS0_4arch9wavefront6targetE1EEEvT1_.uses_flat_scratch, 0
	.set _ZN7rocprim17ROCPRIM_400000_NS6detail17trampoline_kernelINS0_14default_configENS1_25transform_config_selectorIlLb0EEEZNS1_14transform_implILb0ES3_S5_NS0_18transform_iteratorINS0_17counting_iteratorImlEEZNS1_24adjacent_difference_implIS3_Lb1ELb0EPlSB_ZN2at6native12_GLOBAL__N_124unique_dim_cuda_templateIfEESt5tupleIJNSC_6TensorESH_SH_EERKSH_lbbbEUlllE1_EE10hipError_tPvRmT2_T3_mT4_P12ihipStream_tbEUlmE_lEESB_NS0_8identityIvEEEESM_SP_SQ_mSR_ST_bEUlT_E_NS1_11comp_targetILNS1_3genE0ELNS1_11target_archE4294967295ELNS1_3gpuE0ELNS1_3repE0EEENS1_30default_config_static_selectorELNS0_4arch9wavefront6targetE1EEEvT1_.has_dyn_sized_stack, 0
	.set _ZN7rocprim17ROCPRIM_400000_NS6detail17trampoline_kernelINS0_14default_configENS1_25transform_config_selectorIlLb0EEEZNS1_14transform_implILb0ES3_S5_NS0_18transform_iteratorINS0_17counting_iteratorImlEEZNS1_24adjacent_difference_implIS3_Lb1ELb0EPlSB_ZN2at6native12_GLOBAL__N_124unique_dim_cuda_templateIfEESt5tupleIJNSC_6TensorESH_SH_EERKSH_lbbbEUlllE1_EE10hipError_tPvRmT2_T3_mT4_P12ihipStream_tbEUlmE_lEESB_NS0_8identityIvEEEESM_SP_SQ_mSR_ST_bEUlT_E_NS1_11comp_targetILNS1_3genE0ELNS1_11target_archE4294967295ELNS1_3gpuE0ELNS1_3repE0EEENS1_30default_config_static_selectorELNS0_4arch9wavefront6targetE1EEEvT1_.has_recursion, 0
	.set _ZN7rocprim17ROCPRIM_400000_NS6detail17trampoline_kernelINS0_14default_configENS1_25transform_config_selectorIlLb0EEEZNS1_14transform_implILb0ES3_S5_NS0_18transform_iteratorINS0_17counting_iteratorImlEEZNS1_24adjacent_difference_implIS3_Lb1ELb0EPlSB_ZN2at6native12_GLOBAL__N_124unique_dim_cuda_templateIfEESt5tupleIJNSC_6TensorESH_SH_EERKSH_lbbbEUlllE1_EE10hipError_tPvRmT2_T3_mT4_P12ihipStream_tbEUlmE_lEESB_NS0_8identityIvEEEESM_SP_SQ_mSR_ST_bEUlT_E_NS1_11comp_targetILNS1_3genE0ELNS1_11target_archE4294967295ELNS1_3gpuE0ELNS1_3repE0EEENS1_30default_config_static_selectorELNS0_4arch9wavefront6targetE1EEEvT1_.has_indirect_call, 0
	.section	.AMDGPU.csdata,"",@progbits
; Kernel info:
; codeLenInByte = 220
; TotalNumSgprs: 18
; NumVgprs: 8
; NumAgprs: 0
; TotalNumVgprs: 8
; ScratchSize: 0
; MemoryBound: 0
; FloatMode: 240
; IeeeMode: 1
; LDSByteSize: 0 bytes/workgroup (compile time only)
; SGPRBlocks: 2
; VGPRBlocks: 0
; NumSGPRsForWavesPerEU: 18
; NumVGPRsForWavesPerEU: 8
; AccumOffset: 8
; Occupancy: 8
; WaveLimiterHint : 0
; COMPUTE_PGM_RSRC2:SCRATCH_EN: 0
; COMPUTE_PGM_RSRC2:USER_SGPR: 2
; COMPUTE_PGM_RSRC2:TRAP_HANDLER: 0
; COMPUTE_PGM_RSRC2:TGID_X_EN: 1
; COMPUTE_PGM_RSRC2:TGID_Y_EN: 0
; COMPUTE_PGM_RSRC2:TGID_Z_EN: 0
; COMPUTE_PGM_RSRC2:TIDIG_COMP_CNT: 0
; COMPUTE_PGM_RSRC3_GFX90A:ACCUM_OFFSET: 1
; COMPUTE_PGM_RSRC3_GFX90A:TG_SPLIT: 0
	.section	.text._ZN7rocprim17ROCPRIM_400000_NS6detail17trampoline_kernelINS0_14default_configENS1_25transform_config_selectorIlLb0EEEZNS1_14transform_implILb0ES3_S5_NS0_18transform_iteratorINS0_17counting_iteratorImlEEZNS1_24adjacent_difference_implIS3_Lb1ELb0EPlSB_ZN2at6native12_GLOBAL__N_124unique_dim_cuda_templateIfEESt5tupleIJNSC_6TensorESH_SH_EERKSH_lbbbEUlllE1_EE10hipError_tPvRmT2_T3_mT4_P12ihipStream_tbEUlmE_lEESB_NS0_8identityIvEEEESM_SP_SQ_mSR_ST_bEUlT_E_NS1_11comp_targetILNS1_3genE5ELNS1_11target_archE942ELNS1_3gpuE9ELNS1_3repE0EEENS1_30default_config_static_selectorELNS0_4arch9wavefront6targetE1EEEvT1_,"axG",@progbits,_ZN7rocprim17ROCPRIM_400000_NS6detail17trampoline_kernelINS0_14default_configENS1_25transform_config_selectorIlLb0EEEZNS1_14transform_implILb0ES3_S5_NS0_18transform_iteratorINS0_17counting_iteratorImlEEZNS1_24adjacent_difference_implIS3_Lb1ELb0EPlSB_ZN2at6native12_GLOBAL__N_124unique_dim_cuda_templateIfEESt5tupleIJNSC_6TensorESH_SH_EERKSH_lbbbEUlllE1_EE10hipError_tPvRmT2_T3_mT4_P12ihipStream_tbEUlmE_lEESB_NS0_8identityIvEEEESM_SP_SQ_mSR_ST_bEUlT_E_NS1_11comp_targetILNS1_3genE5ELNS1_11target_archE942ELNS1_3gpuE9ELNS1_3repE0EEENS1_30default_config_static_selectorELNS0_4arch9wavefront6targetE1EEEvT1_,comdat
	.globl	_ZN7rocprim17ROCPRIM_400000_NS6detail17trampoline_kernelINS0_14default_configENS1_25transform_config_selectorIlLb0EEEZNS1_14transform_implILb0ES3_S5_NS0_18transform_iteratorINS0_17counting_iteratorImlEEZNS1_24adjacent_difference_implIS3_Lb1ELb0EPlSB_ZN2at6native12_GLOBAL__N_124unique_dim_cuda_templateIfEESt5tupleIJNSC_6TensorESH_SH_EERKSH_lbbbEUlllE1_EE10hipError_tPvRmT2_T3_mT4_P12ihipStream_tbEUlmE_lEESB_NS0_8identityIvEEEESM_SP_SQ_mSR_ST_bEUlT_E_NS1_11comp_targetILNS1_3genE5ELNS1_11target_archE942ELNS1_3gpuE9ELNS1_3repE0EEENS1_30default_config_static_selectorELNS0_4arch9wavefront6targetE1EEEvT1_ ; -- Begin function _ZN7rocprim17ROCPRIM_400000_NS6detail17trampoline_kernelINS0_14default_configENS1_25transform_config_selectorIlLb0EEEZNS1_14transform_implILb0ES3_S5_NS0_18transform_iteratorINS0_17counting_iteratorImlEEZNS1_24adjacent_difference_implIS3_Lb1ELb0EPlSB_ZN2at6native12_GLOBAL__N_124unique_dim_cuda_templateIfEESt5tupleIJNSC_6TensorESH_SH_EERKSH_lbbbEUlllE1_EE10hipError_tPvRmT2_T3_mT4_P12ihipStream_tbEUlmE_lEESB_NS0_8identityIvEEEESM_SP_SQ_mSR_ST_bEUlT_E_NS1_11comp_targetILNS1_3genE5ELNS1_11target_archE942ELNS1_3gpuE9ELNS1_3repE0EEENS1_30default_config_static_selectorELNS0_4arch9wavefront6targetE1EEEvT1_
	.p2align	8
	.type	_ZN7rocprim17ROCPRIM_400000_NS6detail17trampoline_kernelINS0_14default_configENS1_25transform_config_selectorIlLb0EEEZNS1_14transform_implILb0ES3_S5_NS0_18transform_iteratorINS0_17counting_iteratorImlEEZNS1_24adjacent_difference_implIS3_Lb1ELb0EPlSB_ZN2at6native12_GLOBAL__N_124unique_dim_cuda_templateIfEESt5tupleIJNSC_6TensorESH_SH_EERKSH_lbbbEUlllE1_EE10hipError_tPvRmT2_T3_mT4_P12ihipStream_tbEUlmE_lEESB_NS0_8identityIvEEEESM_SP_SQ_mSR_ST_bEUlT_E_NS1_11comp_targetILNS1_3genE5ELNS1_11target_archE942ELNS1_3gpuE9ELNS1_3repE0EEENS1_30default_config_static_selectorELNS0_4arch9wavefront6targetE1EEEvT1_,@function
_ZN7rocprim17ROCPRIM_400000_NS6detail17trampoline_kernelINS0_14default_configENS1_25transform_config_selectorIlLb0EEEZNS1_14transform_implILb0ES3_S5_NS0_18transform_iteratorINS0_17counting_iteratorImlEEZNS1_24adjacent_difference_implIS3_Lb1ELb0EPlSB_ZN2at6native12_GLOBAL__N_124unique_dim_cuda_templateIfEESt5tupleIJNSC_6TensorESH_SH_EERKSH_lbbbEUlllE1_EE10hipError_tPvRmT2_T3_mT4_P12ihipStream_tbEUlmE_lEESB_NS0_8identityIvEEEESM_SP_SQ_mSR_ST_bEUlT_E_NS1_11comp_targetILNS1_3genE5ELNS1_11target_archE942ELNS1_3gpuE9ELNS1_3repE0EEENS1_30default_config_static_selectorELNS0_4arch9wavefront6targetE1EEEvT1_: ; @_ZN7rocprim17ROCPRIM_400000_NS6detail17trampoline_kernelINS0_14default_configENS1_25transform_config_selectorIlLb0EEEZNS1_14transform_implILb0ES3_S5_NS0_18transform_iteratorINS0_17counting_iteratorImlEEZNS1_24adjacent_difference_implIS3_Lb1ELb0EPlSB_ZN2at6native12_GLOBAL__N_124unique_dim_cuda_templateIfEESt5tupleIJNSC_6TensorESH_SH_EERKSH_lbbbEUlllE1_EE10hipError_tPvRmT2_T3_mT4_P12ihipStream_tbEUlmE_lEESB_NS0_8identityIvEEEESM_SP_SQ_mSR_ST_bEUlT_E_NS1_11comp_targetILNS1_3genE5ELNS1_11target_archE942ELNS1_3gpuE9ELNS1_3repE0EEENS1_30default_config_static_selectorELNS0_4arch9wavefront6targetE1EEEvT1_
; %bb.0:
	.section	.rodata,"a",@progbits
	.p2align	6, 0x0
	.amdhsa_kernel _ZN7rocprim17ROCPRIM_400000_NS6detail17trampoline_kernelINS0_14default_configENS1_25transform_config_selectorIlLb0EEEZNS1_14transform_implILb0ES3_S5_NS0_18transform_iteratorINS0_17counting_iteratorImlEEZNS1_24adjacent_difference_implIS3_Lb1ELb0EPlSB_ZN2at6native12_GLOBAL__N_124unique_dim_cuda_templateIfEESt5tupleIJNSC_6TensorESH_SH_EERKSH_lbbbEUlllE1_EE10hipError_tPvRmT2_T3_mT4_P12ihipStream_tbEUlmE_lEESB_NS0_8identityIvEEEESM_SP_SQ_mSR_ST_bEUlT_E_NS1_11comp_targetILNS1_3genE5ELNS1_11target_archE942ELNS1_3gpuE9ELNS1_3repE0EEENS1_30default_config_static_selectorELNS0_4arch9wavefront6targetE1EEEvT1_
		.amdhsa_group_segment_fixed_size 0
		.amdhsa_private_segment_fixed_size 0
		.amdhsa_kernarg_size 56
		.amdhsa_user_sgpr_count 2
		.amdhsa_user_sgpr_dispatch_ptr 0
		.amdhsa_user_sgpr_queue_ptr 0
		.amdhsa_user_sgpr_kernarg_segment_ptr 1
		.amdhsa_user_sgpr_dispatch_id 0
		.amdhsa_user_sgpr_kernarg_preload_length 0
		.amdhsa_user_sgpr_kernarg_preload_offset 0
		.amdhsa_user_sgpr_private_segment_size 0
		.amdhsa_uses_dynamic_stack 0
		.amdhsa_enable_private_segment 0
		.amdhsa_system_sgpr_workgroup_id_x 1
		.amdhsa_system_sgpr_workgroup_id_y 0
		.amdhsa_system_sgpr_workgroup_id_z 0
		.amdhsa_system_sgpr_workgroup_info 0
		.amdhsa_system_vgpr_workitem_id 0
		.amdhsa_next_free_vgpr 1
		.amdhsa_next_free_sgpr 0
		.amdhsa_accum_offset 4
		.amdhsa_reserve_vcc 0
		.amdhsa_float_round_mode_32 0
		.amdhsa_float_round_mode_16_64 0
		.amdhsa_float_denorm_mode_32 3
		.amdhsa_float_denorm_mode_16_64 3
		.amdhsa_dx10_clamp 1
		.amdhsa_ieee_mode 1
		.amdhsa_fp16_overflow 0
		.amdhsa_tg_split 0
		.amdhsa_exception_fp_ieee_invalid_op 0
		.amdhsa_exception_fp_denorm_src 0
		.amdhsa_exception_fp_ieee_div_zero 0
		.amdhsa_exception_fp_ieee_overflow 0
		.amdhsa_exception_fp_ieee_underflow 0
		.amdhsa_exception_fp_ieee_inexact 0
		.amdhsa_exception_int_div_zero 0
	.end_amdhsa_kernel
	.section	.text._ZN7rocprim17ROCPRIM_400000_NS6detail17trampoline_kernelINS0_14default_configENS1_25transform_config_selectorIlLb0EEEZNS1_14transform_implILb0ES3_S5_NS0_18transform_iteratorINS0_17counting_iteratorImlEEZNS1_24adjacent_difference_implIS3_Lb1ELb0EPlSB_ZN2at6native12_GLOBAL__N_124unique_dim_cuda_templateIfEESt5tupleIJNSC_6TensorESH_SH_EERKSH_lbbbEUlllE1_EE10hipError_tPvRmT2_T3_mT4_P12ihipStream_tbEUlmE_lEESB_NS0_8identityIvEEEESM_SP_SQ_mSR_ST_bEUlT_E_NS1_11comp_targetILNS1_3genE5ELNS1_11target_archE942ELNS1_3gpuE9ELNS1_3repE0EEENS1_30default_config_static_selectorELNS0_4arch9wavefront6targetE1EEEvT1_,"axG",@progbits,_ZN7rocprim17ROCPRIM_400000_NS6detail17trampoline_kernelINS0_14default_configENS1_25transform_config_selectorIlLb0EEEZNS1_14transform_implILb0ES3_S5_NS0_18transform_iteratorINS0_17counting_iteratorImlEEZNS1_24adjacent_difference_implIS3_Lb1ELb0EPlSB_ZN2at6native12_GLOBAL__N_124unique_dim_cuda_templateIfEESt5tupleIJNSC_6TensorESH_SH_EERKSH_lbbbEUlllE1_EE10hipError_tPvRmT2_T3_mT4_P12ihipStream_tbEUlmE_lEESB_NS0_8identityIvEEEESM_SP_SQ_mSR_ST_bEUlT_E_NS1_11comp_targetILNS1_3genE5ELNS1_11target_archE942ELNS1_3gpuE9ELNS1_3repE0EEENS1_30default_config_static_selectorELNS0_4arch9wavefront6targetE1EEEvT1_,comdat
.Lfunc_end913:
	.size	_ZN7rocprim17ROCPRIM_400000_NS6detail17trampoline_kernelINS0_14default_configENS1_25transform_config_selectorIlLb0EEEZNS1_14transform_implILb0ES3_S5_NS0_18transform_iteratorINS0_17counting_iteratorImlEEZNS1_24adjacent_difference_implIS3_Lb1ELb0EPlSB_ZN2at6native12_GLOBAL__N_124unique_dim_cuda_templateIfEESt5tupleIJNSC_6TensorESH_SH_EERKSH_lbbbEUlllE1_EE10hipError_tPvRmT2_T3_mT4_P12ihipStream_tbEUlmE_lEESB_NS0_8identityIvEEEESM_SP_SQ_mSR_ST_bEUlT_E_NS1_11comp_targetILNS1_3genE5ELNS1_11target_archE942ELNS1_3gpuE9ELNS1_3repE0EEENS1_30default_config_static_selectorELNS0_4arch9wavefront6targetE1EEEvT1_, .Lfunc_end913-_ZN7rocprim17ROCPRIM_400000_NS6detail17trampoline_kernelINS0_14default_configENS1_25transform_config_selectorIlLb0EEEZNS1_14transform_implILb0ES3_S5_NS0_18transform_iteratorINS0_17counting_iteratorImlEEZNS1_24adjacent_difference_implIS3_Lb1ELb0EPlSB_ZN2at6native12_GLOBAL__N_124unique_dim_cuda_templateIfEESt5tupleIJNSC_6TensorESH_SH_EERKSH_lbbbEUlllE1_EE10hipError_tPvRmT2_T3_mT4_P12ihipStream_tbEUlmE_lEESB_NS0_8identityIvEEEESM_SP_SQ_mSR_ST_bEUlT_E_NS1_11comp_targetILNS1_3genE5ELNS1_11target_archE942ELNS1_3gpuE9ELNS1_3repE0EEENS1_30default_config_static_selectorELNS0_4arch9wavefront6targetE1EEEvT1_
                                        ; -- End function
	.set _ZN7rocprim17ROCPRIM_400000_NS6detail17trampoline_kernelINS0_14default_configENS1_25transform_config_selectorIlLb0EEEZNS1_14transform_implILb0ES3_S5_NS0_18transform_iteratorINS0_17counting_iteratorImlEEZNS1_24adjacent_difference_implIS3_Lb1ELb0EPlSB_ZN2at6native12_GLOBAL__N_124unique_dim_cuda_templateIfEESt5tupleIJNSC_6TensorESH_SH_EERKSH_lbbbEUlllE1_EE10hipError_tPvRmT2_T3_mT4_P12ihipStream_tbEUlmE_lEESB_NS0_8identityIvEEEESM_SP_SQ_mSR_ST_bEUlT_E_NS1_11comp_targetILNS1_3genE5ELNS1_11target_archE942ELNS1_3gpuE9ELNS1_3repE0EEENS1_30default_config_static_selectorELNS0_4arch9wavefront6targetE1EEEvT1_.num_vgpr, 0
	.set _ZN7rocprim17ROCPRIM_400000_NS6detail17trampoline_kernelINS0_14default_configENS1_25transform_config_selectorIlLb0EEEZNS1_14transform_implILb0ES3_S5_NS0_18transform_iteratorINS0_17counting_iteratorImlEEZNS1_24adjacent_difference_implIS3_Lb1ELb0EPlSB_ZN2at6native12_GLOBAL__N_124unique_dim_cuda_templateIfEESt5tupleIJNSC_6TensorESH_SH_EERKSH_lbbbEUlllE1_EE10hipError_tPvRmT2_T3_mT4_P12ihipStream_tbEUlmE_lEESB_NS0_8identityIvEEEESM_SP_SQ_mSR_ST_bEUlT_E_NS1_11comp_targetILNS1_3genE5ELNS1_11target_archE942ELNS1_3gpuE9ELNS1_3repE0EEENS1_30default_config_static_selectorELNS0_4arch9wavefront6targetE1EEEvT1_.num_agpr, 0
	.set _ZN7rocprim17ROCPRIM_400000_NS6detail17trampoline_kernelINS0_14default_configENS1_25transform_config_selectorIlLb0EEEZNS1_14transform_implILb0ES3_S5_NS0_18transform_iteratorINS0_17counting_iteratorImlEEZNS1_24adjacent_difference_implIS3_Lb1ELb0EPlSB_ZN2at6native12_GLOBAL__N_124unique_dim_cuda_templateIfEESt5tupleIJNSC_6TensorESH_SH_EERKSH_lbbbEUlllE1_EE10hipError_tPvRmT2_T3_mT4_P12ihipStream_tbEUlmE_lEESB_NS0_8identityIvEEEESM_SP_SQ_mSR_ST_bEUlT_E_NS1_11comp_targetILNS1_3genE5ELNS1_11target_archE942ELNS1_3gpuE9ELNS1_3repE0EEENS1_30default_config_static_selectorELNS0_4arch9wavefront6targetE1EEEvT1_.numbered_sgpr, 0
	.set _ZN7rocprim17ROCPRIM_400000_NS6detail17trampoline_kernelINS0_14default_configENS1_25transform_config_selectorIlLb0EEEZNS1_14transform_implILb0ES3_S5_NS0_18transform_iteratorINS0_17counting_iteratorImlEEZNS1_24adjacent_difference_implIS3_Lb1ELb0EPlSB_ZN2at6native12_GLOBAL__N_124unique_dim_cuda_templateIfEESt5tupleIJNSC_6TensorESH_SH_EERKSH_lbbbEUlllE1_EE10hipError_tPvRmT2_T3_mT4_P12ihipStream_tbEUlmE_lEESB_NS0_8identityIvEEEESM_SP_SQ_mSR_ST_bEUlT_E_NS1_11comp_targetILNS1_3genE5ELNS1_11target_archE942ELNS1_3gpuE9ELNS1_3repE0EEENS1_30default_config_static_selectorELNS0_4arch9wavefront6targetE1EEEvT1_.num_named_barrier, 0
	.set _ZN7rocprim17ROCPRIM_400000_NS6detail17trampoline_kernelINS0_14default_configENS1_25transform_config_selectorIlLb0EEEZNS1_14transform_implILb0ES3_S5_NS0_18transform_iteratorINS0_17counting_iteratorImlEEZNS1_24adjacent_difference_implIS3_Lb1ELb0EPlSB_ZN2at6native12_GLOBAL__N_124unique_dim_cuda_templateIfEESt5tupleIJNSC_6TensorESH_SH_EERKSH_lbbbEUlllE1_EE10hipError_tPvRmT2_T3_mT4_P12ihipStream_tbEUlmE_lEESB_NS0_8identityIvEEEESM_SP_SQ_mSR_ST_bEUlT_E_NS1_11comp_targetILNS1_3genE5ELNS1_11target_archE942ELNS1_3gpuE9ELNS1_3repE0EEENS1_30default_config_static_selectorELNS0_4arch9wavefront6targetE1EEEvT1_.private_seg_size, 0
	.set _ZN7rocprim17ROCPRIM_400000_NS6detail17trampoline_kernelINS0_14default_configENS1_25transform_config_selectorIlLb0EEEZNS1_14transform_implILb0ES3_S5_NS0_18transform_iteratorINS0_17counting_iteratorImlEEZNS1_24adjacent_difference_implIS3_Lb1ELb0EPlSB_ZN2at6native12_GLOBAL__N_124unique_dim_cuda_templateIfEESt5tupleIJNSC_6TensorESH_SH_EERKSH_lbbbEUlllE1_EE10hipError_tPvRmT2_T3_mT4_P12ihipStream_tbEUlmE_lEESB_NS0_8identityIvEEEESM_SP_SQ_mSR_ST_bEUlT_E_NS1_11comp_targetILNS1_3genE5ELNS1_11target_archE942ELNS1_3gpuE9ELNS1_3repE0EEENS1_30default_config_static_selectorELNS0_4arch9wavefront6targetE1EEEvT1_.uses_vcc, 0
	.set _ZN7rocprim17ROCPRIM_400000_NS6detail17trampoline_kernelINS0_14default_configENS1_25transform_config_selectorIlLb0EEEZNS1_14transform_implILb0ES3_S5_NS0_18transform_iteratorINS0_17counting_iteratorImlEEZNS1_24adjacent_difference_implIS3_Lb1ELb0EPlSB_ZN2at6native12_GLOBAL__N_124unique_dim_cuda_templateIfEESt5tupleIJNSC_6TensorESH_SH_EERKSH_lbbbEUlllE1_EE10hipError_tPvRmT2_T3_mT4_P12ihipStream_tbEUlmE_lEESB_NS0_8identityIvEEEESM_SP_SQ_mSR_ST_bEUlT_E_NS1_11comp_targetILNS1_3genE5ELNS1_11target_archE942ELNS1_3gpuE9ELNS1_3repE0EEENS1_30default_config_static_selectorELNS0_4arch9wavefront6targetE1EEEvT1_.uses_flat_scratch, 0
	.set _ZN7rocprim17ROCPRIM_400000_NS6detail17trampoline_kernelINS0_14default_configENS1_25transform_config_selectorIlLb0EEEZNS1_14transform_implILb0ES3_S5_NS0_18transform_iteratorINS0_17counting_iteratorImlEEZNS1_24adjacent_difference_implIS3_Lb1ELb0EPlSB_ZN2at6native12_GLOBAL__N_124unique_dim_cuda_templateIfEESt5tupleIJNSC_6TensorESH_SH_EERKSH_lbbbEUlllE1_EE10hipError_tPvRmT2_T3_mT4_P12ihipStream_tbEUlmE_lEESB_NS0_8identityIvEEEESM_SP_SQ_mSR_ST_bEUlT_E_NS1_11comp_targetILNS1_3genE5ELNS1_11target_archE942ELNS1_3gpuE9ELNS1_3repE0EEENS1_30default_config_static_selectorELNS0_4arch9wavefront6targetE1EEEvT1_.has_dyn_sized_stack, 0
	.set _ZN7rocprim17ROCPRIM_400000_NS6detail17trampoline_kernelINS0_14default_configENS1_25transform_config_selectorIlLb0EEEZNS1_14transform_implILb0ES3_S5_NS0_18transform_iteratorINS0_17counting_iteratorImlEEZNS1_24adjacent_difference_implIS3_Lb1ELb0EPlSB_ZN2at6native12_GLOBAL__N_124unique_dim_cuda_templateIfEESt5tupleIJNSC_6TensorESH_SH_EERKSH_lbbbEUlllE1_EE10hipError_tPvRmT2_T3_mT4_P12ihipStream_tbEUlmE_lEESB_NS0_8identityIvEEEESM_SP_SQ_mSR_ST_bEUlT_E_NS1_11comp_targetILNS1_3genE5ELNS1_11target_archE942ELNS1_3gpuE9ELNS1_3repE0EEENS1_30default_config_static_selectorELNS0_4arch9wavefront6targetE1EEEvT1_.has_recursion, 0
	.set _ZN7rocprim17ROCPRIM_400000_NS6detail17trampoline_kernelINS0_14default_configENS1_25transform_config_selectorIlLb0EEEZNS1_14transform_implILb0ES3_S5_NS0_18transform_iteratorINS0_17counting_iteratorImlEEZNS1_24adjacent_difference_implIS3_Lb1ELb0EPlSB_ZN2at6native12_GLOBAL__N_124unique_dim_cuda_templateIfEESt5tupleIJNSC_6TensorESH_SH_EERKSH_lbbbEUlllE1_EE10hipError_tPvRmT2_T3_mT4_P12ihipStream_tbEUlmE_lEESB_NS0_8identityIvEEEESM_SP_SQ_mSR_ST_bEUlT_E_NS1_11comp_targetILNS1_3genE5ELNS1_11target_archE942ELNS1_3gpuE9ELNS1_3repE0EEENS1_30default_config_static_selectorELNS0_4arch9wavefront6targetE1EEEvT1_.has_indirect_call, 0
	.section	.AMDGPU.csdata,"",@progbits
; Kernel info:
; codeLenInByte = 0
; TotalNumSgprs: 6
; NumVgprs: 0
; NumAgprs: 0
; TotalNumVgprs: 0
; ScratchSize: 0
; MemoryBound: 0
; FloatMode: 240
; IeeeMode: 1
; LDSByteSize: 0 bytes/workgroup (compile time only)
; SGPRBlocks: 0
; VGPRBlocks: 0
; NumSGPRsForWavesPerEU: 6
; NumVGPRsForWavesPerEU: 1
; AccumOffset: 4
; Occupancy: 8
; WaveLimiterHint : 0
; COMPUTE_PGM_RSRC2:SCRATCH_EN: 0
; COMPUTE_PGM_RSRC2:USER_SGPR: 2
; COMPUTE_PGM_RSRC2:TRAP_HANDLER: 0
; COMPUTE_PGM_RSRC2:TGID_X_EN: 1
; COMPUTE_PGM_RSRC2:TGID_Y_EN: 0
; COMPUTE_PGM_RSRC2:TGID_Z_EN: 0
; COMPUTE_PGM_RSRC2:TIDIG_COMP_CNT: 0
; COMPUTE_PGM_RSRC3_GFX90A:ACCUM_OFFSET: 0
; COMPUTE_PGM_RSRC3_GFX90A:TG_SPLIT: 0
	.section	.text._ZN7rocprim17ROCPRIM_400000_NS6detail17trampoline_kernelINS0_14default_configENS1_25transform_config_selectorIlLb0EEEZNS1_14transform_implILb0ES3_S5_NS0_18transform_iteratorINS0_17counting_iteratorImlEEZNS1_24adjacent_difference_implIS3_Lb1ELb0EPlSB_ZN2at6native12_GLOBAL__N_124unique_dim_cuda_templateIfEESt5tupleIJNSC_6TensorESH_SH_EERKSH_lbbbEUlllE1_EE10hipError_tPvRmT2_T3_mT4_P12ihipStream_tbEUlmE_lEESB_NS0_8identityIvEEEESM_SP_SQ_mSR_ST_bEUlT_E_NS1_11comp_targetILNS1_3genE4ELNS1_11target_archE910ELNS1_3gpuE8ELNS1_3repE0EEENS1_30default_config_static_selectorELNS0_4arch9wavefront6targetE1EEEvT1_,"axG",@progbits,_ZN7rocprim17ROCPRIM_400000_NS6detail17trampoline_kernelINS0_14default_configENS1_25transform_config_selectorIlLb0EEEZNS1_14transform_implILb0ES3_S5_NS0_18transform_iteratorINS0_17counting_iteratorImlEEZNS1_24adjacent_difference_implIS3_Lb1ELb0EPlSB_ZN2at6native12_GLOBAL__N_124unique_dim_cuda_templateIfEESt5tupleIJNSC_6TensorESH_SH_EERKSH_lbbbEUlllE1_EE10hipError_tPvRmT2_T3_mT4_P12ihipStream_tbEUlmE_lEESB_NS0_8identityIvEEEESM_SP_SQ_mSR_ST_bEUlT_E_NS1_11comp_targetILNS1_3genE4ELNS1_11target_archE910ELNS1_3gpuE8ELNS1_3repE0EEENS1_30default_config_static_selectorELNS0_4arch9wavefront6targetE1EEEvT1_,comdat
	.globl	_ZN7rocprim17ROCPRIM_400000_NS6detail17trampoline_kernelINS0_14default_configENS1_25transform_config_selectorIlLb0EEEZNS1_14transform_implILb0ES3_S5_NS0_18transform_iteratorINS0_17counting_iteratorImlEEZNS1_24adjacent_difference_implIS3_Lb1ELb0EPlSB_ZN2at6native12_GLOBAL__N_124unique_dim_cuda_templateIfEESt5tupleIJNSC_6TensorESH_SH_EERKSH_lbbbEUlllE1_EE10hipError_tPvRmT2_T3_mT4_P12ihipStream_tbEUlmE_lEESB_NS0_8identityIvEEEESM_SP_SQ_mSR_ST_bEUlT_E_NS1_11comp_targetILNS1_3genE4ELNS1_11target_archE910ELNS1_3gpuE8ELNS1_3repE0EEENS1_30default_config_static_selectorELNS0_4arch9wavefront6targetE1EEEvT1_ ; -- Begin function _ZN7rocprim17ROCPRIM_400000_NS6detail17trampoline_kernelINS0_14default_configENS1_25transform_config_selectorIlLb0EEEZNS1_14transform_implILb0ES3_S5_NS0_18transform_iteratorINS0_17counting_iteratorImlEEZNS1_24adjacent_difference_implIS3_Lb1ELb0EPlSB_ZN2at6native12_GLOBAL__N_124unique_dim_cuda_templateIfEESt5tupleIJNSC_6TensorESH_SH_EERKSH_lbbbEUlllE1_EE10hipError_tPvRmT2_T3_mT4_P12ihipStream_tbEUlmE_lEESB_NS0_8identityIvEEEESM_SP_SQ_mSR_ST_bEUlT_E_NS1_11comp_targetILNS1_3genE4ELNS1_11target_archE910ELNS1_3gpuE8ELNS1_3repE0EEENS1_30default_config_static_selectorELNS0_4arch9wavefront6targetE1EEEvT1_
	.p2align	8
	.type	_ZN7rocprim17ROCPRIM_400000_NS6detail17trampoline_kernelINS0_14default_configENS1_25transform_config_selectorIlLb0EEEZNS1_14transform_implILb0ES3_S5_NS0_18transform_iteratorINS0_17counting_iteratorImlEEZNS1_24adjacent_difference_implIS3_Lb1ELb0EPlSB_ZN2at6native12_GLOBAL__N_124unique_dim_cuda_templateIfEESt5tupleIJNSC_6TensorESH_SH_EERKSH_lbbbEUlllE1_EE10hipError_tPvRmT2_T3_mT4_P12ihipStream_tbEUlmE_lEESB_NS0_8identityIvEEEESM_SP_SQ_mSR_ST_bEUlT_E_NS1_11comp_targetILNS1_3genE4ELNS1_11target_archE910ELNS1_3gpuE8ELNS1_3repE0EEENS1_30default_config_static_selectorELNS0_4arch9wavefront6targetE1EEEvT1_,@function
_ZN7rocprim17ROCPRIM_400000_NS6detail17trampoline_kernelINS0_14default_configENS1_25transform_config_selectorIlLb0EEEZNS1_14transform_implILb0ES3_S5_NS0_18transform_iteratorINS0_17counting_iteratorImlEEZNS1_24adjacent_difference_implIS3_Lb1ELb0EPlSB_ZN2at6native12_GLOBAL__N_124unique_dim_cuda_templateIfEESt5tupleIJNSC_6TensorESH_SH_EERKSH_lbbbEUlllE1_EE10hipError_tPvRmT2_T3_mT4_P12ihipStream_tbEUlmE_lEESB_NS0_8identityIvEEEESM_SP_SQ_mSR_ST_bEUlT_E_NS1_11comp_targetILNS1_3genE4ELNS1_11target_archE910ELNS1_3gpuE8ELNS1_3repE0EEENS1_30default_config_static_selectorELNS0_4arch9wavefront6targetE1EEEvT1_: ; @_ZN7rocprim17ROCPRIM_400000_NS6detail17trampoline_kernelINS0_14default_configENS1_25transform_config_selectorIlLb0EEEZNS1_14transform_implILb0ES3_S5_NS0_18transform_iteratorINS0_17counting_iteratorImlEEZNS1_24adjacent_difference_implIS3_Lb1ELb0EPlSB_ZN2at6native12_GLOBAL__N_124unique_dim_cuda_templateIfEESt5tupleIJNSC_6TensorESH_SH_EERKSH_lbbbEUlllE1_EE10hipError_tPvRmT2_T3_mT4_P12ihipStream_tbEUlmE_lEESB_NS0_8identityIvEEEESM_SP_SQ_mSR_ST_bEUlT_E_NS1_11comp_targetILNS1_3genE4ELNS1_11target_archE910ELNS1_3gpuE8ELNS1_3repE0EEENS1_30default_config_static_selectorELNS0_4arch9wavefront6targetE1EEEvT1_
; %bb.0:
	.section	.rodata,"a",@progbits
	.p2align	6, 0x0
	.amdhsa_kernel _ZN7rocprim17ROCPRIM_400000_NS6detail17trampoline_kernelINS0_14default_configENS1_25transform_config_selectorIlLb0EEEZNS1_14transform_implILb0ES3_S5_NS0_18transform_iteratorINS0_17counting_iteratorImlEEZNS1_24adjacent_difference_implIS3_Lb1ELb0EPlSB_ZN2at6native12_GLOBAL__N_124unique_dim_cuda_templateIfEESt5tupleIJNSC_6TensorESH_SH_EERKSH_lbbbEUlllE1_EE10hipError_tPvRmT2_T3_mT4_P12ihipStream_tbEUlmE_lEESB_NS0_8identityIvEEEESM_SP_SQ_mSR_ST_bEUlT_E_NS1_11comp_targetILNS1_3genE4ELNS1_11target_archE910ELNS1_3gpuE8ELNS1_3repE0EEENS1_30default_config_static_selectorELNS0_4arch9wavefront6targetE1EEEvT1_
		.amdhsa_group_segment_fixed_size 0
		.amdhsa_private_segment_fixed_size 0
		.amdhsa_kernarg_size 56
		.amdhsa_user_sgpr_count 2
		.amdhsa_user_sgpr_dispatch_ptr 0
		.amdhsa_user_sgpr_queue_ptr 0
		.amdhsa_user_sgpr_kernarg_segment_ptr 1
		.amdhsa_user_sgpr_dispatch_id 0
		.amdhsa_user_sgpr_kernarg_preload_length 0
		.amdhsa_user_sgpr_kernarg_preload_offset 0
		.amdhsa_user_sgpr_private_segment_size 0
		.amdhsa_uses_dynamic_stack 0
		.amdhsa_enable_private_segment 0
		.amdhsa_system_sgpr_workgroup_id_x 1
		.amdhsa_system_sgpr_workgroup_id_y 0
		.amdhsa_system_sgpr_workgroup_id_z 0
		.amdhsa_system_sgpr_workgroup_info 0
		.amdhsa_system_vgpr_workitem_id 0
		.amdhsa_next_free_vgpr 1
		.amdhsa_next_free_sgpr 0
		.amdhsa_accum_offset 4
		.amdhsa_reserve_vcc 0
		.amdhsa_float_round_mode_32 0
		.amdhsa_float_round_mode_16_64 0
		.amdhsa_float_denorm_mode_32 3
		.amdhsa_float_denorm_mode_16_64 3
		.amdhsa_dx10_clamp 1
		.amdhsa_ieee_mode 1
		.amdhsa_fp16_overflow 0
		.amdhsa_tg_split 0
		.amdhsa_exception_fp_ieee_invalid_op 0
		.amdhsa_exception_fp_denorm_src 0
		.amdhsa_exception_fp_ieee_div_zero 0
		.amdhsa_exception_fp_ieee_overflow 0
		.amdhsa_exception_fp_ieee_underflow 0
		.amdhsa_exception_fp_ieee_inexact 0
		.amdhsa_exception_int_div_zero 0
	.end_amdhsa_kernel
	.section	.text._ZN7rocprim17ROCPRIM_400000_NS6detail17trampoline_kernelINS0_14default_configENS1_25transform_config_selectorIlLb0EEEZNS1_14transform_implILb0ES3_S5_NS0_18transform_iteratorINS0_17counting_iteratorImlEEZNS1_24adjacent_difference_implIS3_Lb1ELb0EPlSB_ZN2at6native12_GLOBAL__N_124unique_dim_cuda_templateIfEESt5tupleIJNSC_6TensorESH_SH_EERKSH_lbbbEUlllE1_EE10hipError_tPvRmT2_T3_mT4_P12ihipStream_tbEUlmE_lEESB_NS0_8identityIvEEEESM_SP_SQ_mSR_ST_bEUlT_E_NS1_11comp_targetILNS1_3genE4ELNS1_11target_archE910ELNS1_3gpuE8ELNS1_3repE0EEENS1_30default_config_static_selectorELNS0_4arch9wavefront6targetE1EEEvT1_,"axG",@progbits,_ZN7rocprim17ROCPRIM_400000_NS6detail17trampoline_kernelINS0_14default_configENS1_25transform_config_selectorIlLb0EEEZNS1_14transform_implILb0ES3_S5_NS0_18transform_iteratorINS0_17counting_iteratorImlEEZNS1_24adjacent_difference_implIS3_Lb1ELb0EPlSB_ZN2at6native12_GLOBAL__N_124unique_dim_cuda_templateIfEESt5tupleIJNSC_6TensorESH_SH_EERKSH_lbbbEUlllE1_EE10hipError_tPvRmT2_T3_mT4_P12ihipStream_tbEUlmE_lEESB_NS0_8identityIvEEEESM_SP_SQ_mSR_ST_bEUlT_E_NS1_11comp_targetILNS1_3genE4ELNS1_11target_archE910ELNS1_3gpuE8ELNS1_3repE0EEENS1_30default_config_static_selectorELNS0_4arch9wavefront6targetE1EEEvT1_,comdat
.Lfunc_end914:
	.size	_ZN7rocprim17ROCPRIM_400000_NS6detail17trampoline_kernelINS0_14default_configENS1_25transform_config_selectorIlLb0EEEZNS1_14transform_implILb0ES3_S5_NS0_18transform_iteratorINS0_17counting_iteratorImlEEZNS1_24adjacent_difference_implIS3_Lb1ELb0EPlSB_ZN2at6native12_GLOBAL__N_124unique_dim_cuda_templateIfEESt5tupleIJNSC_6TensorESH_SH_EERKSH_lbbbEUlllE1_EE10hipError_tPvRmT2_T3_mT4_P12ihipStream_tbEUlmE_lEESB_NS0_8identityIvEEEESM_SP_SQ_mSR_ST_bEUlT_E_NS1_11comp_targetILNS1_3genE4ELNS1_11target_archE910ELNS1_3gpuE8ELNS1_3repE0EEENS1_30default_config_static_selectorELNS0_4arch9wavefront6targetE1EEEvT1_, .Lfunc_end914-_ZN7rocprim17ROCPRIM_400000_NS6detail17trampoline_kernelINS0_14default_configENS1_25transform_config_selectorIlLb0EEEZNS1_14transform_implILb0ES3_S5_NS0_18transform_iteratorINS0_17counting_iteratorImlEEZNS1_24adjacent_difference_implIS3_Lb1ELb0EPlSB_ZN2at6native12_GLOBAL__N_124unique_dim_cuda_templateIfEESt5tupleIJNSC_6TensorESH_SH_EERKSH_lbbbEUlllE1_EE10hipError_tPvRmT2_T3_mT4_P12ihipStream_tbEUlmE_lEESB_NS0_8identityIvEEEESM_SP_SQ_mSR_ST_bEUlT_E_NS1_11comp_targetILNS1_3genE4ELNS1_11target_archE910ELNS1_3gpuE8ELNS1_3repE0EEENS1_30default_config_static_selectorELNS0_4arch9wavefront6targetE1EEEvT1_
                                        ; -- End function
	.set _ZN7rocprim17ROCPRIM_400000_NS6detail17trampoline_kernelINS0_14default_configENS1_25transform_config_selectorIlLb0EEEZNS1_14transform_implILb0ES3_S5_NS0_18transform_iteratorINS0_17counting_iteratorImlEEZNS1_24adjacent_difference_implIS3_Lb1ELb0EPlSB_ZN2at6native12_GLOBAL__N_124unique_dim_cuda_templateIfEESt5tupleIJNSC_6TensorESH_SH_EERKSH_lbbbEUlllE1_EE10hipError_tPvRmT2_T3_mT4_P12ihipStream_tbEUlmE_lEESB_NS0_8identityIvEEEESM_SP_SQ_mSR_ST_bEUlT_E_NS1_11comp_targetILNS1_3genE4ELNS1_11target_archE910ELNS1_3gpuE8ELNS1_3repE0EEENS1_30default_config_static_selectorELNS0_4arch9wavefront6targetE1EEEvT1_.num_vgpr, 0
	.set _ZN7rocprim17ROCPRIM_400000_NS6detail17trampoline_kernelINS0_14default_configENS1_25transform_config_selectorIlLb0EEEZNS1_14transform_implILb0ES3_S5_NS0_18transform_iteratorINS0_17counting_iteratorImlEEZNS1_24adjacent_difference_implIS3_Lb1ELb0EPlSB_ZN2at6native12_GLOBAL__N_124unique_dim_cuda_templateIfEESt5tupleIJNSC_6TensorESH_SH_EERKSH_lbbbEUlllE1_EE10hipError_tPvRmT2_T3_mT4_P12ihipStream_tbEUlmE_lEESB_NS0_8identityIvEEEESM_SP_SQ_mSR_ST_bEUlT_E_NS1_11comp_targetILNS1_3genE4ELNS1_11target_archE910ELNS1_3gpuE8ELNS1_3repE0EEENS1_30default_config_static_selectorELNS0_4arch9wavefront6targetE1EEEvT1_.num_agpr, 0
	.set _ZN7rocprim17ROCPRIM_400000_NS6detail17trampoline_kernelINS0_14default_configENS1_25transform_config_selectorIlLb0EEEZNS1_14transform_implILb0ES3_S5_NS0_18transform_iteratorINS0_17counting_iteratorImlEEZNS1_24adjacent_difference_implIS3_Lb1ELb0EPlSB_ZN2at6native12_GLOBAL__N_124unique_dim_cuda_templateIfEESt5tupleIJNSC_6TensorESH_SH_EERKSH_lbbbEUlllE1_EE10hipError_tPvRmT2_T3_mT4_P12ihipStream_tbEUlmE_lEESB_NS0_8identityIvEEEESM_SP_SQ_mSR_ST_bEUlT_E_NS1_11comp_targetILNS1_3genE4ELNS1_11target_archE910ELNS1_3gpuE8ELNS1_3repE0EEENS1_30default_config_static_selectorELNS0_4arch9wavefront6targetE1EEEvT1_.numbered_sgpr, 0
	.set _ZN7rocprim17ROCPRIM_400000_NS6detail17trampoline_kernelINS0_14default_configENS1_25transform_config_selectorIlLb0EEEZNS1_14transform_implILb0ES3_S5_NS0_18transform_iteratorINS0_17counting_iteratorImlEEZNS1_24adjacent_difference_implIS3_Lb1ELb0EPlSB_ZN2at6native12_GLOBAL__N_124unique_dim_cuda_templateIfEESt5tupleIJNSC_6TensorESH_SH_EERKSH_lbbbEUlllE1_EE10hipError_tPvRmT2_T3_mT4_P12ihipStream_tbEUlmE_lEESB_NS0_8identityIvEEEESM_SP_SQ_mSR_ST_bEUlT_E_NS1_11comp_targetILNS1_3genE4ELNS1_11target_archE910ELNS1_3gpuE8ELNS1_3repE0EEENS1_30default_config_static_selectorELNS0_4arch9wavefront6targetE1EEEvT1_.num_named_barrier, 0
	.set _ZN7rocprim17ROCPRIM_400000_NS6detail17trampoline_kernelINS0_14default_configENS1_25transform_config_selectorIlLb0EEEZNS1_14transform_implILb0ES3_S5_NS0_18transform_iteratorINS0_17counting_iteratorImlEEZNS1_24adjacent_difference_implIS3_Lb1ELb0EPlSB_ZN2at6native12_GLOBAL__N_124unique_dim_cuda_templateIfEESt5tupleIJNSC_6TensorESH_SH_EERKSH_lbbbEUlllE1_EE10hipError_tPvRmT2_T3_mT4_P12ihipStream_tbEUlmE_lEESB_NS0_8identityIvEEEESM_SP_SQ_mSR_ST_bEUlT_E_NS1_11comp_targetILNS1_3genE4ELNS1_11target_archE910ELNS1_3gpuE8ELNS1_3repE0EEENS1_30default_config_static_selectorELNS0_4arch9wavefront6targetE1EEEvT1_.private_seg_size, 0
	.set _ZN7rocprim17ROCPRIM_400000_NS6detail17trampoline_kernelINS0_14default_configENS1_25transform_config_selectorIlLb0EEEZNS1_14transform_implILb0ES3_S5_NS0_18transform_iteratorINS0_17counting_iteratorImlEEZNS1_24adjacent_difference_implIS3_Lb1ELb0EPlSB_ZN2at6native12_GLOBAL__N_124unique_dim_cuda_templateIfEESt5tupleIJNSC_6TensorESH_SH_EERKSH_lbbbEUlllE1_EE10hipError_tPvRmT2_T3_mT4_P12ihipStream_tbEUlmE_lEESB_NS0_8identityIvEEEESM_SP_SQ_mSR_ST_bEUlT_E_NS1_11comp_targetILNS1_3genE4ELNS1_11target_archE910ELNS1_3gpuE8ELNS1_3repE0EEENS1_30default_config_static_selectorELNS0_4arch9wavefront6targetE1EEEvT1_.uses_vcc, 0
	.set _ZN7rocprim17ROCPRIM_400000_NS6detail17trampoline_kernelINS0_14default_configENS1_25transform_config_selectorIlLb0EEEZNS1_14transform_implILb0ES3_S5_NS0_18transform_iteratorINS0_17counting_iteratorImlEEZNS1_24adjacent_difference_implIS3_Lb1ELb0EPlSB_ZN2at6native12_GLOBAL__N_124unique_dim_cuda_templateIfEESt5tupleIJNSC_6TensorESH_SH_EERKSH_lbbbEUlllE1_EE10hipError_tPvRmT2_T3_mT4_P12ihipStream_tbEUlmE_lEESB_NS0_8identityIvEEEESM_SP_SQ_mSR_ST_bEUlT_E_NS1_11comp_targetILNS1_3genE4ELNS1_11target_archE910ELNS1_3gpuE8ELNS1_3repE0EEENS1_30default_config_static_selectorELNS0_4arch9wavefront6targetE1EEEvT1_.uses_flat_scratch, 0
	.set _ZN7rocprim17ROCPRIM_400000_NS6detail17trampoline_kernelINS0_14default_configENS1_25transform_config_selectorIlLb0EEEZNS1_14transform_implILb0ES3_S5_NS0_18transform_iteratorINS0_17counting_iteratorImlEEZNS1_24adjacent_difference_implIS3_Lb1ELb0EPlSB_ZN2at6native12_GLOBAL__N_124unique_dim_cuda_templateIfEESt5tupleIJNSC_6TensorESH_SH_EERKSH_lbbbEUlllE1_EE10hipError_tPvRmT2_T3_mT4_P12ihipStream_tbEUlmE_lEESB_NS0_8identityIvEEEESM_SP_SQ_mSR_ST_bEUlT_E_NS1_11comp_targetILNS1_3genE4ELNS1_11target_archE910ELNS1_3gpuE8ELNS1_3repE0EEENS1_30default_config_static_selectorELNS0_4arch9wavefront6targetE1EEEvT1_.has_dyn_sized_stack, 0
	.set _ZN7rocprim17ROCPRIM_400000_NS6detail17trampoline_kernelINS0_14default_configENS1_25transform_config_selectorIlLb0EEEZNS1_14transform_implILb0ES3_S5_NS0_18transform_iteratorINS0_17counting_iteratorImlEEZNS1_24adjacent_difference_implIS3_Lb1ELb0EPlSB_ZN2at6native12_GLOBAL__N_124unique_dim_cuda_templateIfEESt5tupleIJNSC_6TensorESH_SH_EERKSH_lbbbEUlllE1_EE10hipError_tPvRmT2_T3_mT4_P12ihipStream_tbEUlmE_lEESB_NS0_8identityIvEEEESM_SP_SQ_mSR_ST_bEUlT_E_NS1_11comp_targetILNS1_3genE4ELNS1_11target_archE910ELNS1_3gpuE8ELNS1_3repE0EEENS1_30default_config_static_selectorELNS0_4arch9wavefront6targetE1EEEvT1_.has_recursion, 0
	.set _ZN7rocprim17ROCPRIM_400000_NS6detail17trampoline_kernelINS0_14default_configENS1_25transform_config_selectorIlLb0EEEZNS1_14transform_implILb0ES3_S5_NS0_18transform_iteratorINS0_17counting_iteratorImlEEZNS1_24adjacent_difference_implIS3_Lb1ELb0EPlSB_ZN2at6native12_GLOBAL__N_124unique_dim_cuda_templateIfEESt5tupleIJNSC_6TensorESH_SH_EERKSH_lbbbEUlllE1_EE10hipError_tPvRmT2_T3_mT4_P12ihipStream_tbEUlmE_lEESB_NS0_8identityIvEEEESM_SP_SQ_mSR_ST_bEUlT_E_NS1_11comp_targetILNS1_3genE4ELNS1_11target_archE910ELNS1_3gpuE8ELNS1_3repE0EEENS1_30default_config_static_selectorELNS0_4arch9wavefront6targetE1EEEvT1_.has_indirect_call, 0
	.section	.AMDGPU.csdata,"",@progbits
; Kernel info:
; codeLenInByte = 0
; TotalNumSgprs: 6
; NumVgprs: 0
; NumAgprs: 0
; TotalNumVgprs: 0
; ScratchSize: 0
; MemoryBound: 0
; FloatMode: 240
; IeeeMode: 1
; LDSByteSize: 0 bytes/workgroup (compile time only)
; SGPRBlocks: 0
; VGPRBlocks: 0
; NumSGPRsForWavesPerEU: 6
; NumVGPRsForWavesPerEU: 1
; AccumOffset: 4
; Occupancy: 8
; WaveLimiterHint : 0
; COMPUTE_PGM_RSRC2:SCRATCH_EN: 0
; COMPUTE_PGM_RSRC2:USER_SGPR: 2
; COMPUTE_PGM_RSRC2:TRAP_HANDLER: 0
; COMPUTE_PGM_RSRC2:TGID_X_EN: 1
; COMPUTE_PGM_RSRC2:TGID_Y_EN: 0
; COMPUTE_PGM_RSRC2:TGID_Z_EN: 0
; COMPUTE_PGM_RSRC2:TIDIG_COMP_CNT: 0
; COMPUTE_PGM_RSRC3_GFX90A:ACCUM_OFFSET: 0
; COMPUTE_PGM_RSRC3_GFX90A:TG_SPLIT: 0
	.section	.text._ZN7rocprim17ROCPRIM_400000_NS6detail17trampoline_kernelINS0_14default_configENS1_25transform_config_selectorIlLb0EEEZNS1_14transform_implILb0ES3_S5_NS0_18transform_iteratorINS0_17counting_iteratorImlEEZNS1_24adjacent_difference_implIS3_Lb1ELb0EPlSB_ZN2at6native12_GLOBAL__N_124unique_dim_cuda_templateIfEESt5tupleIJNSC_6TensorESH_SH_EERKSH_lbbbEUlllE1_EE10hipError_tPvRmT2_T3_mT4_P12ihipStream_tbEUlmE_lEESB_NS0_8identityIvEEEESM_SP_SQ_mSR_ST_bEUlT_E_NS1_11comp_targetILNS1_3genE3ELNS1_11target_archE908ELNS1_3gpuE7ELNS1_3repE0EEENS1_30default_config_static_selectorELNS0_4arch9wavefront6targetE1EEEvT1_,"axG",@progbits,_ZN7rocprim17ROCPRIM_400000_NS6detail17trampoline_kernelINS0_14default_configENS1_25transform_config_selectorIlLb0EEEZNS1_14transform_implILb0ES3_S5_NS0_18transform_iteratorINS0_17counting_iteratorImlEEZNS1_24adjacent_difference_implIS3_Lb1ELb0EPlSB_ZN2at6native12_GLOBAL__N_124unique_dim_cuda_templateIfEESt5tupleIJNSC_6TensorESH_SH_EERKSH_lbbbEUlllE1_EE10hipError_tPvRmT2_T3_mT4_P12ihipStream_tbEUlmE_lEESB_NS0_8identityIvEEEESM_SP_SQ_mSR_ST_bEUlT_E_NS1_11comp_targetILNS1_3genE3ELNS1_11target_archE908ELNS1_3gpuE7ELNS1_3repE0EEENS1_30default_config_static_selectorELNS0_4arch9wavefront6targetE1EEEvT1_,comdat
	.globl	_ZN7rocprim17ROCPRIM_400000_NS6detail17trampoline_kernelINS0_14default_configENS1_25transform_config_selectorIlLb0EEEZNS1_14transform_implILb0ES3_S5_NS0_18transform_iteratorINS0_17counting_iteratorImlEEZNS1_24adjacent_difference_implIS3_Lb1ELb0EPlSB_ZN2at6native12_GLOBAL__N_124unique_dim_cuda_templateIfEESt5tupleIJNSC_6TensorESH_SH_EERKSH_lbbbEUlllE1_EE10hipError_tPvRmT2_T3_mT4_P12ihipStream_tbEUlmE_lEESB_NS0_8identityIvEEEESM_SP_SQ_mSR_ST_bEUlT_E_NS1_11comp_targetILNS1_3genE3ELNS1_11target_archE908ELNS1_3gpuE7ELNS1_3repE0EEENS1_30default_config_static_selectorELNS0_4arch9wavefront6targetE1EEEvT1_ ; -- Begin function _ZN7rocprim17ROCPRIM_400000_NS6detail17trampoline_kernelINS0_14default_configENS1_25transform_config_selectorIlLb0EEEZNS1_14transform_implILb0ES3_S5_NS0_18transform_iteratorINS0_17counting_iteratorImlEEZNS1_24adjacent_difference_implIS3_Lb1ELb0EPlSB_ZN2at6native12_GLOBAL__N_124unique_dim_cuda_templateIfEESt5tupleIJNSC_6TensorESH_SH_EERKSH_lbbbEUlllE1_EE10hipError_tPvRmT2_T3_mT4_P12ihipStream_tbEUlmE_lEESB_NS0_8identityIvEEEESM_SP_SQ_mSR_ST_bEUlT_E_NS1_11comp_targetILNS1_3genE3ELNS1_11target_archE908ELNS1_3gpuE7ELNS1_3repE0EEENS1_30default_config_static_selectorELNS0_4arch9wavefront6targetE1EEEvT1_
	.p2align	8
	.type	_ZN7rocprim17ROCPRIM_400000_NS6detail17trampoline_kernelINS0_14default_configENS1_25transform_config_selectorIlLb0EEEZNS1_14transform_implILb0ES3_S5_NS0_18transform_iteratorINS0_17counting_iteratorImlEEZNS1_24adjacent_difference_implIS3_Lb1ELb0EPlSB_ZN2at6native12_GLOBAL__N_124unique_dim_cuda_templateIfEESt5tupleIJNSC_6TensorESH_SH_EERKSH_lbbbEUlllE1_EE10hipError_tPvRmT2_T3_mT4_P12ihipStream_tbEUlmE_lEESB_NS0_8identityIvEEEESM_SP_SQ_mSR_ST_bEUlT_E_NS1_11comp_targetILNS1_3genE3ELNS1_11target_archE908ELNS1_3gpuE7ELNS1_3repE0EEENS1_30default_config_static_selectorELNS0_4arch9wavefront6targetE1EEEvT1_,@function
_ZN7rocprim17ROCPRIM_400000_NS6detail17trampoline_kernelINS0_14default_configENS1_25transform_config_selectorIlLb0EEEZNS1_14transform_implILb0ES3_S5_NS0_18transform_iteratorINS0_17counting_iteratorImlEEZNS1_24adjacent_difference_implIS3_Lb1ELb0EPlSB_ZN2at6native12_GLOBAL__N_124unique_dim_cuda_templateIfEESt5tupleIJNSC_6TensorESH_SH_EERKSH_lbbbEUlllE1_EE10hipError_tPvRmT2_T3_mT4_P12ihipStream_tbEUlmE_lEESB_NS0_8identityIvEEEESM_SP_SQ_mSR_ST_bEUlT_E_NS1_11comp_targetILNS1_3genE3ELNS1_11target_archE908ELNS1_3gpuE7ELNS1_3repE0EEENS1_30default_config_static_selectorELNS0_4arch9wavefront6targetE1EEEvT1_: ; @_ZN7rocprim17ROCPRIM_400000_NS6detail17trampoline_kernelINS0_14default_configENS1_25transform_config_selectorIlLb0EEEZNS1_14transform_implILb0ES3_S5_NS0_18transform_iteratorINS0_17counting_iteratorImlEEZNS1_24adjacent_difference_implIS3_Lb1ELb0EPlSB_ZN2at6native12_GLOBAL__N_124unique_dim_cuda_templateIfEESt5tupleIJNSC_6TensorESH_SH_EERKSH_lbbbEUlllE1_EE10hipError_tPvRmT2_T3_mT4_P12ihipStream_tbEUlmE_lEESB_NS0_8identityIvEEEESM_SP_SQ_mSR_ST_bEUlT_E_NS1_11comp_targetILNS1_3genE3ELNS1_11target_archE908ELNS1_3gpuE7ELNS1_3repE0EEENS1_30default_config_static_selectorELNS0_4arch9wavefront6targetE1EEEvT1_
; %bb.0:
	.section	.rodata,"a",@progbits
	.p2align	6, 0x0
	.amdhsa_kernel _ZN7rocprim17ROCPRIM_400000_NS6detail17trampoline_kernelINS0_14default_configENS1_25transform_config_selectorIlLb0EEEZNS1_14transform_implILb0ES3_S5_NS0_18transform_iteratorINS0_17counting_iteratorImlEEZNS1_24adjacent_difference_implIS3_Lb1ELb0EPlSB_ZN2at6native12_GLOBAL__N_124unique_dim_cuda_templateIfEESt5tupleIJNSC_6TensorESH_SH_EERKSH_lbbbEUlllE1_EE10hipError_tPvRmT2_T3_mT4_P12ihipStream_tbEUlmE_lEESB_NS0_8identityIvEEEESM_SP_SQ_mSR_ST_bEUlT_E_NS1_11comp_targetILNS1_3genE3ELNS1_11target_archE908ELNS1_3gpuE7ELNS1_3repE0EEENS1_30default_config_static_selectorELNS0_4arch9wavefront6targetE1EEEvT1_
		.amdhsa_group_segment_fixed_size 0
		.amdhsa_private_segment_fixed_size 0
		.amdhsa_kernarg_size 56
		.amdhsa_user_sgpr_count 2
		.amdhsa_user_sgpr_dispatch_ptr 0
		.amdhsa_user_sgpr_queue_ptr 0
		.amdhsa_user_sgpr_kernarg_segment_ptr 1
		.amdhsa_user_sgpr_dispatch_id 0
		.amdhsa_user_sgpr_kernarg_preload_length 0
		.amdhsa_user_sgpr_kernarg_preload_offset 0
		.amdhsa_user_sgpr_private_segment_size 0
		.amdhsa_uses_dynamic_stack 0
		.amdhsa_enable_private_segment 0
		.amdhsa_system_sgpr_workgroup_id_x 1
		.amdhsa_system_sgpr_workgroup_id_y 0
		.amdhsa_system_sgpr_workgroup_id_z 0
		.amdhsa_system_sgpr_workgroup_info 0
		.amdhsa_system_vgpr_workitem_id 0
		.amdhsa_next_free_vgpr 1
		.amdhsa_next_free_sgpr 0
		.amdhsa_accum_offset 4
		.amdhsa_reserve_vcc 0
		.amdhsa_float_round_mode_32 0
		.amdhsa_float_round_mode_16_64 0
		.amdhsa_float_denorm_mode_32 3
		.amdhsa_float_denorm_mode_16_64 3
		.amdhsa_dx10_clamp 1
		.amdhsa_ieee_mode 1
		.amdhsa_fp16_overflow 0
		.amdhsa_tg_split 0
		.amdhsa_exception_fp_ieee_invalid_op 0
		.amdhsa_exception_fp_denorm_src 0
		.amdhsa_exception_fp_ieee_div_zero 0
		.amdhsa_exception_fp_ieee_overflow 0
		.amdhsa_exception_fp_ieee_underflow 0
		.amdhsa_exception_fp_ieee_inexact 0
		.amdhsa_exception_int_div_zero 0
	.end_amdhsa_kernel
	.section	.text._ZN7rocprim17ROCPRIM_400000_NS6detail17trampoline_kernelINS0_14default_configENS1_25transform_config_selectorIlLb0EEEZNS1_14transform_implILb0ES3_S5_NS0_18transform_iteratorINS0_17counting_iteratorImlEEZNS1_24adjacent_difference_implIS3_Lb1ELb0EPlSB_ZN2at6native12_GLOBAL__N_124unique_dim_cuda_templateIfEESt5tupleIJNSC_6TensorESH_SH_EERKSH_lbbbEUlllE1_EE10hipError_tPvRmT2_T3_mT4_P12ihipStream_tbEUlmE_lEESB_NS0_8identityIvEEEESM_SP_SQ_mSR_ST_bEUlT_E_NS1_11comp_targetILNS1_3genE3ELNS1_11target_archE908ELNS1_3gpuE7ELNS1_3repE0EEENS1_30default_config_static_selectorELNS0_4arch9wavefront6targetE1EEEvT1_,"axG",@progbits,_ZN7rocprim17ROCPRIM_400000_NS6detail17trampoline_kernelINS0_14default_configENS1_25transform_config_selectorIlLb0EEEZNS1_14transform_implILb0ES3_S5_NS0_18transform_iteratorINS0_17counting_iteratorImlEEZNS1_24adjacent_difference_implIS3_Lb1ELb0EPlSB_ZN2at6native12_GLOBAL__N_124unique_dim_cuda_templateIfEESt5tupleIJNSC_6TensorESH_SH_EERKSH_lbbbEUlllE1_EE10hipError_tPvRmT2_T3_mT4_P12ihipStream_tbEUlmE_lEESB_NS0_8identityIvEEEESM_SP_SQ_mSR_ST_bEUlT_E_NS1_11comp_targetILNS1_3genE3ELNS1_11target_archE908ELNS1_3gpuE7ELNS1_3repE0EEENS1_30default_config_static_selectorELNS0_4arch9wavefront6targetE1EEEvT1_,comdat
.Lfunc_end915:
	.size	_ZN7rocprim17ROCPRIM_400000_NS6detail17trampoline_kernelINS0_14default_configENS1_25transform_config_selectorIlLb0EEEZNS1_14transform_implILb0ES3_S5_NS0_18transform_iteratorINS0_17counting_iteratorImlEEZNS1_24adjacent_difference_implIS3_Lb1ELb0EPlSB_ZN2at6native12_GLOBAL__N_124unique_dim_cuda_templateIfEESt5tupleIJNSC_6TensorESH_SH_EERKSH_lbbbEUlllE1_EE10hipError_tPvRmT2_T3_mT4_P12ihipStream_tbEUlmE_lEESB_NS0_8identityIvEEEESM_SP_SQ_mSR_ST_bEUlT_E_NS1_11comp_targetILNS1_3genE3ELNS1_11target_archE908ELNS1_3gpuE7ELNS1_3repE0EEENS1_30default_config_static_selectorELNS0_4arch9wavefront6targetE1EEEvT1_, .Lfunc_end915-_ZN7rocprim17ROCPRIM_400000_NS6detail17trampoline_kernelINS0_14default_configENS1_25transform_config_selectorIlLb0EEEZNS1_14transform_implILb0ES3_S5_NS0_18transform_iteratorINS0_17counting_iteratorImlEEZNS1_24adjacent_difference_implIS3_Lb1ELb0EPlSB_ZN2at6native12_GLOBAL__N_124unique_dim_cuda_templateIfEESt5tupleIJNSC_6TensorESH_SH_EERKSH_lbbbEUlllE1_EE10hipError_tPvRmT2_T3_mT4_P12ihipStream_tbEUlmE_lEESB_NS0_8identityIvEEEESM_SP_SQ_mSR_ST_bEUlT_E_NS1_11comp_targetILNS1_3genE3ELNS1_11target_archE908ELNS1_3gpuE7ELNS1_3repE0EEENS1_30default_config_static_selectorELNS0_4arch9wavefront6targetE1EEEvT1_
                                        ; -- End function
	.set _ZN7rocprim17ROCPRIM_400000_NS6detail17trampoline_kernelINS0_14default_configENS1_25transform_config_selectorIlLb0EEEZNS1_14transform_implILb0ES3_S5_NS0_18transform_iteratorINS0_17counting_iteratorImlEEZNS1_24adjacent_difference_implIS3_Lb1ELb0EPlSB_ZN2at6native12_GLOBAL__N_124unique_dim_cuda_templateIfEESt5tupleIJNSC_6TensorESH_SH_EERKSH_lbbbEUlllE1_EE10hipError_tPvRmT2_T3_mT4_P12ihipStream_tbEUlmE_lEESB_NS0_8identityIvEEEESM_SP_SQ_mSR_ST_bEUlT_E_NS1_11comp_targetILNS1_3genE3ELNS1_11target_archE908ELNS1_3gpuE7ELNS1_3repE0EEENS1_30default_config_static_selectorELNS0_4arch9wavefront6targetE1EEEvT1_.num_vgpr, 0
	.set _ZN7rocprim17ROCPRIM_400000_NS6detail17trampoline_kernelINS0_14default_configENS1_25transform_config_selectorIlLb0EEEZNS1_14transform_implILb0ES3_S5_NS0_18transform_iteratorINS0_17counting_iteratorImlEEZNS1_24adjacent_difference_implIS3_Lb1ELb0EPlSB_ZN2at6native12_GLOBAL__N_124unique_dim_cuda_templateIfEESt5tupleIJNSC_6TensorESH_SH_EERKSH_lbbbEUlllE1_EE10hipError_tPvRmT2_T3_mT4_P12ihipStream_tbEUlmE_lEESB_NS0_8identityIvEEEESM_SP_SQ_mSR_ST_bEUlT_E_NS1_11comp_targetILNS1_3genE3ELNS1_11target_archE908ELNS1_3gpuE7ELNS1_3repE0EEENS1_30default_config_static_selectorELNS0_4arch9wavefront6targetE1EEEvT1_.num_agpr, 0
	.set _ZN7rocprim17ROCPRIM_400000_NS6detail17trampoline_kernelINS0_14default_configENS1_25transform_config_selectorIlLb0EEEZNS1_14transform_implILb0ES3_S5_NS0_18transform_iteratorINS0_17counting_iteratorImlEEZNS1_24adjacent_difference_implIS3_Lb1ELb0EPlSB_ZN2at6native12_GLOBAL__N_124unique_dim_cuda_templateIfEESt5tupleIJNSC_6TensorESH_SH_EERKSH_lbbbEUlllE1_EE10hipError_tPvRmT2_T3_mT4_P12ihipStream_tbEUlmE_lEESB_NS0_8identityIvEEEESM_SP_SQ_mSR_ST_bEUlT_E_NS1_11comp_targetILNS1_3genE3ELNS1_11target_archE908ELNS1_3gpuE7ELNS1_3repE0EEENS1_30default_config_static_selectorELNS0_4arch9wavefront6targetE1EEEvT1_.numbered_sgpr, 0
	.set _ZN7rocprim17ROCPRIM_400000_NS6detail17trampoline_kernelINS0_14default_configENS1_25transform_config_selectorIlLb0EEEZNS1_14transform_implILb0ES3_S5_NS0_18transform_iteratorINS0_17counting_iteratorImlEEZNS1_24adjacent_difference_implIS3_Lb1ELb0EPlSB_ZN2at6native12_GLOBAL__N_124unique_dim_cuda_templateIfEESt5tupleIJNSC_6TensorESH_SH_EERKSH_lbbbEUlllE1_EE10hipError_tPvRmT2_T3_mT4_P12ihipStream_tbEUlmE_lEESB_NS0_8identityIvEEEESM_SP_SQ_mSR_ST_bEUlT_E_NS1_11comp_targetILNS1_3genE3ELNS1_11target_archE908ELNS1_3gpuE7ELNS1_3repE0EEENS1_30default_config_static_selectorELNS0_4arch9wavefront6targetE1EEEvT1_.num_named_barrier, 0
	.set _ZN7rocprim17ROCPRIM_400000_NS6detail17trampoline_kernelINS0_14default_configENS1_25transform_config_selectorIlLb0EEEZNS1_14transform_implILb0ES3_S5_NS0_18transform_iteratorINS0_17counting_iteratorImlEEZNS1_24adjacent_difference_implIS3_Lb1ELb0EPlSB_ZN2at6native12_GLOBAL__N_124unique_dim_cuda_templateIfEESt5tupleIJNSC_6TensorESH_SH_EERKSH_lbbbEUlllE1_EE10hipError_tPvRmT2_T3_mT4_P12ihipStream_tbEUlmE_lEESB_NS0_8identityIvEEEESM_SP_SQ_mSR_ST_bEUlT_E_NS1_11comp_targetILNS1_3genE3ELNS1_11target_archE908ELNS1_3gpuE7ELNS1_3repE0EEENS1_30default_config_static_selectorELNS0_4arch9wavefront6targetE1EEEvT1_.private_seg_size, 0
	.set _ZN7rocprim17ROCPRIM_400000_NS6detail17trampoline_kernelINS0_14default_configENS1_25transform_config_selectorIlLb0EEEZNS1_14transform_implILb0ES3_S5_NS0_18transform_iteratorINS0_17counting_iteratorImlEEZNS1_24adjacent_difference_implIS3_Lb1ELb0EPlSB_ZN2at6native12_GLOBAL__N_124unique_dim_cuda_templateIfEESt5tupleIJNSC_6TensorESH_SH_EERKSH_lbbbEUlllE1_EE10hipError_tPvRmT2_T3_mT4_P12ihipStream_tbEUlmE_lEESB_NS0_8identityIvEEEESM_SP_SQ_mSR_ST_bEUlT_E_NS1_11comp_targetILNS1_3genE3ELNS1_11target_archE908ELNS1_3gpuE7ELNS1_3repE0EEENS1_30default_config_static_selectorELNS0_4arch9wavefront6targetE1EEEvT1_.uses_vcc, 0
	.set _ZN7rocprim17ROCPRIM_400000_NS6detail17trampoline_kernelINS0_14default_configENS1_25transform_config_selectorIlLb0EEEZNS1_14transform_implILb0ES3_S5_NS0_18transform_iteratorINS0_17counting_iteratorImlEEZNS1_24adjacent_difference_implIS3_Lb1ELb0EPlSB_ZN2at6native12_GLOBAL__N_124unique_dim_cuda_templateIfEESt5tupleIJNSC_6TensorESH_SH_EERKSH_lbbbEUlllE1_EE10hipError_tPvRmT2_T3_mT4_P12ihipStream_tbEUlmE_lEESB_NS0_8identityIvEEEESM_SP_SQ_mSR_ST_bEUlT_E_NS1_11comp_targetILNS1_3genE3ELNS1_11target_archE908ELNS1_3gpuE7ELNS1_3repE0EEENS1_30default_config_static_selectorELNS0_4arch9wavefront6targetE1EEEvT1_.uses_flat_scratch, 0
	.set _ZN7rocprim17ROCPRIM_400000_NS6detail17trampoline_kernelINS0_14default_configENS1_25transform_config_selectorIlLb0EEEZNS1_14transform_implILb0ES3_S5_NS0_18transform_iteratorINS0_17counting_iteratorImlEEZNS1_24adjacent_difference_implIS3_Lb1ELb0EPlSB_ZN2at6native12_GLOBAL__N_124unique_dim_cuda_templateIfEESt5tupleIJNSC_6TensorESH_SH_EERKSH_lbbbEUlllE1_EE10hipError_tPvRmT2_T3_mT4_P12ihipStream_tbEUlmE_lEESB_NS0_8identityIvEEEESM_SP_SQ_mSR_ST_bEUlT_E_NS1_11comp_targetILNS1_3genE3ELNS1_11target_archE908ELNS1_3gpuE7ELNS1_3repE0EEENS1_30default_config_static_selectorELNS0_4arch9wavefront6targetE1EEEvT1_.has_dyn_sized_stack, 0
	.set _ZN7rocprim17ROCPRIM_400000_NS6detail17trampoline_kernelINS0_14default_configENS1_25transform_config_selectorIlLb0EEEZNS1_14transform_implILb0ES3_S5_NS0_18transform_iteratorINS0_17counting_iteratorImlEEZNS1_24adjacent_difference_implIS3_Lb1ELb0EPlSB_ZN2at6native12_GLOBAL__N_124unique_dim_cuda_templateIfEESt5tupleIJNSC_6TensorESH_SH_EERKSH_lbbbEUlllE1_EE10hipError_tPvRmT2_T3_mT4_P12ihipStream_tbEUlmE_lEESB_NS0_8identityIvEEEESM_SP_SQ_mSR_ST_bEUlT_E_NS1_11comp_targetILNS1_3genE3ELNS1_11target_archE908ELNS1_3gpuE7ELNS1_3repE0EEENS1_30default_config_static_selectorELNS0_4arch9wavefront6targetE1EEEvT1_.has_recursion, 0
	.set _ZN7rocprim17ROCPRIM_400000_NS6detail17trampoline_kernelINS0_14default_configENS1_25transform_config_selectorIlLb0EEEZNS1_14transform_implILb0ES3_S5_NS0_18transform_iteratorINS0_17counting_iteratorImlEEZNS1_24adjacent_difference_implIS3_Lb1ELb0EPlSB_ZN2at6native12_GLOBAL__N_124unique_dim_cuda_templateIfEESt5tupleIJNSC_6TensorESH_SH_EERKSH_lbbbEUlllE1_EE10hipError_tPvRmT2_T3_mT4_P12ihipStream_tbEUlmE_lEESB_NS0_8identityIvEEEESM_SP_SQ_mSR_ST_bEUlT_E_NS1_11comp_targetILNS1_3genE3ELNS1_11target_archE908ELNS1_3gpuE7ELNS1_3repE0EEENS1_30default_config_static_selectorELNS0_4arch9wavefront6targetE1EEEvT1_.has_indirect_call, 0
	.section	.AMDGPU.csdata,"",@progbits
; Kernel info:
; codeLenInByte = 0
; TotalNumSgprs: 6
; NumVgprs: 0
; NumAgprs: 0
; TotalNumVgprs: 0
; ScratchSize: 0
; MemoryBound: 0
; FloatMode: 240
; IeeeMode: 1
; LDSByteSize: 0 bytes/workgroup (compile time only)
; SGPRBlocks: 0
; VGPRBlocks: 0
; NumSGPRsForWavesPerEU: 6
; NumVGPRsForWavesPerEU: 1
; AccumOffset: 4
; Occupancy: 8
; WaveLimiterHint : 0
; COMPUTE_PGM_RSRC2:SCRATCH_EN: 0
; COMPUTE_PGM_RSRC2:USER_SGPR: 2
; COMPUTE_PGM_RSRC2:TRAP_HANDLER: 0
; COMPUTE_PGM_RSRC2:TGID_X_EN: 1
; COMPUTE_PGM_RSRC2:TGID_Y_EN: 0
; COMPUTE_PGM_RSRC2:TGID_Z_EN: 0
; COMPUTE_PGM_RSRC2:TIDIG_COMP_CNT: 0
; COMPUTE_PGM_RSRC3_GFX90A:ACCUM_OFFSET: 0
; COMPUTE_PGM_RSRC3_GFX90A:TG_SPLIT: 0
	.section	.text._ZN7rocprim17ROCPRIM_400000_NS6detail17trampoline_kernelINS0_14default_configENS1_25transform_config_selectorIlLb0EEEZNS1_14transform_implILb0ES3_S5_NS0_18transform_iteratorINS0_17counting_iteratorImlEEZNS1_24adjacent_difference_implIS3_Lb1ELb0EPlSB_ZN2at6native12_GLOBAL__N_124unique_dim_cuda_templateIfEESt5tupleIJNSC_6TensorESH_SH_EERKSH_lbbbEUlllE1_EE10hipError_tPvRmT2_T3_mT4_P12ihipStream_tbEUlmE_lEESB_NS0_8identityIvEEEESM_SP_SQ_mSR_ST_bEUlT_E_NS1_11comp_targetILNS1_3genE2ELNS1_11target_archE906ELNS1_3gpuE6ELNS1_3repE0EEENS1_30default_config_static_selectorELNS0_4arch9wavefront6targetE1EEEvT1_,"axG",@progbits,_ZN7rocprim17ROCPRIM_400000_NS6detail17trampoline_kernelINS0_14default_configENS1_25transform_config_selectorIlLb0EEEZNS1_14transform_implILb0ES3_S5_NS0_18transform_iteratorINS0_17counting_iteratorImlEEZNS1_24adjacent_difference_implIS3_Lb1ELb0EPlSB_ZN2at6native12_GLOBAL__N_124unique_dim_cuda_templateIfEESt5tupleIJNSC_6TensorESH_SH_EERKSH_lbbbEUlllE1_EE10hipError_tPvRmT2_T3_mT4_P12ihipStream_tbEUlmE_lEESB_NS0_8identityIvEEEESM_SP_SQ_mSR_ST_bEUlT_E_NS1_11comp_targetILNS1_3genE2ELNS1_11target_archE906ELNS1_3gpuE6ELNS1_3repE0EEENS1_30default_config_static_selectorELNS0_4arch9wavefront6targetE1EEEvT1_,comdat
	.globl	_ZN7rocprim17ROCPRIM_400000_NS6detail17trampoline_kernelINS0_14default_configENS1_25transform_config_selectorIlLb0EEEZNS1_14transform_implILb0ES3_S5_NS0_18transform_iteratorINS0_17counting_iteratorImlEEZNS1_24adjacent_difference_implIS3_Lb1ELb0EPlSB_ZN2at6native12_GLOBAL__N_124unique_dim_cuda_templateIfEESt5tupleIJNSC_6TensorESH_SH_EERKSH_lbbbEUlllE1_EE10hipError_tPvRmT2_T3_mT4_P12ihipStream_tbEUlmE_lEESB_NS0_8identityIvEEEESM_SP_SQ_mSR_ST_bEUlT_E_NS1_11comp_targetILNS1_3genE2ELNS1_11target_archE906ELNS1_3gpuE6ELNS1_3repE0EEENS1_30default_config_static_selectorELNS0_4arch9wavefront6targetE1EEEvT1_ ; -- Begin function _ZN7rocprim17ROCPRIM_400000_NS6detail17trampoline_kernelINS0_14default_configENS1_25transform_config_selectorIlLb0EEEZNS1_14transform_implILb0ES3_S5_NS0_18transform_iteratorINS0_17counting_iteratorImlEEZNS1_24adjacent_difference_implIS3_Lb1ELb0EPlSB_ZN2at6native12_GLOBAL__N_124unique_dim_cuda_templateIfEESt5tupleIJNSC_6TensorESH_SH_EERKSH_lbbbEUlllE1_EE10hipError_tPvRmT2_T3_mT4_P12ihipStream_tbEUlmE_lEESB_NS0_8identityIvEEEESM_SP_SQ_mSR_ST_bEUlT_E_NS1_11comp_targetILNS1_3genE2ELNS1_11target_archE906ELNS1_3gpuE6ELNS1_3repE0EEENS1_30default_config_static_selectorELNS0_4arch9wavefront6targetE1EEEvT1_
	.p2align	8
	.type	_ZN7rocprim17ROCPRIM_400000_NS6detail17trampoline_kernelINS0_14default_configENS1_25transform_config_selectorIlLb0EEEZNS1_14transform_implILb0ES3_S5_NS0_18transform_iteratorINS0_17counting_iteratorImlEEZNS1_24adjacent_difference_implIS3_Lb1ELb0EPlSB_ZN2at6native12_GLOBAL__N_124unique_dim_cuda_templateIfEESt5tupleIJNSC_6TensorESH_SH_EERKSH_lbbbEUlllE1_EE10hipError_tPvRmT2_T3_mT4_P12ihipStream_tbEUlmE_lEESB_NS0_8identityIvEEEESM_SP_SQ_mSR_ST_bEUlT_E_NS1_11comp_targetILNS1_3genE2ELNS1_11target_archE906ELNS1_3gpuE6ELNS1_3repE0EEENS1_30default_config_static_selectorELNS0_4arch9wavefront6targetE1EEEvT1_,@function
_ZN7rocprim17ROCPRIM_400000_NS6detail17trampoline_kernelINS0_14default_configENS1_25transform_config_selectorIlLb0EEEZNS1_14transform_implILb0ES3_S5_NS0_18transform_iteratorINS0_17counting_iteratorImlEEZNS1_24adjacent_difference_implIS3_Lb1ELb0EPlSB_ZN2at6native12_GLOBAL__N_124unique_dim_cuda_templateIfEESt5tupleIJNSC_6TensorESH_SH_EERKSH_lbbbEUlllE1_EE10hipError_tPvRmT2_T3_mT4_P12ihipStream_tbEUlmE_lEESB_NS0_8identityIvEEEESM_SP_SQ_mSR_ST_bEUlT_E_NS1_11comp_targetILNS1_3genE2ELNS1_11target_archE906ELNS1_3gpuE6ELNS1_3repE0EEENS1_30default_config_static_selectorELNS0_4arch9wavefront6targetE1EEEvT1_: ; @_ZN7rocprim17ROCPRIM_400000_NS6detail17trampoline_kernelINS0_14default_configENS1_25transform_config_selectorIlLb0EEEZNS1_14transform_implILb0ES3_S5_NS0_18transform_iteratorINS0_17counting_iteratorImlEEZNS1_24adjacent_difference_implIS3_Lb1ELb0EPlSB_ZN2at6native12_GLOBAL__N_124unique_dim_cuda_templateIfEESt5tupleIJNSC_6TensorESH_SH_EERKSH_lbbbEUlllE1_EE10hipError_tPvRmT2_T3_mT4_P12ihipStream_tbEUlmE_lEESB_NS0_8identityIvEEEESM_SP_SQ_mSR_ST_bEUlT_E_NS1_11comp_targetILNS1_3genE2ELNS1_11target_archE906ELNS1_3gpuE6ELNS1_3repE0EEENS1_30default_config_static_selectorELNS0_4arch9wavefront6targetE1EEEvT1_
; %bb.0:
	.section	.rodata,"a",@progbits
	.p2align	6, 0x0
	.amdhsa_kernel _ZN7rocprim17ROCPRIM_400000_NS6detail17trampoline_kernelINS0_14default_configENS1_25transform_config_selectorIlLb0EEEZNS1_14transform_implILb0ES3_S5_NS0_18transform_iteratorINS0_17counting_iteratorImlEEZNS1_24adjacent_difference_implIS3_Lb1ELb0EPlSB_ZN2at6native12_GLOBAL__N_124unique_dim_cuda_templateIfEESt5tupleIJNSC_6TensorESH_SH_EERKSH_lbbbEUlllE1_EE10hipError_tPvRmT2_T3_mT4_P12ihipStream_tbEUlmE_lEESB_NS0_8identityIvEEEESM_SP_SQ_mSR_ST_bEUlT_E_NS1_11comp_targetILNS1_3genE2ELNS1_11target_archE906ELNS1_3gpuE6ELNS1_3repE0EEENS1_30default_config_static_selectorELNS0_4arch9wavefront6targetE1EEEvT1_
		.amdhsa_group_segment_fixed_size 0
		.amdhsa_private_segment_fixed_size 0
		.amdhsa_kernarg_size 56
		.amdhsa_user_sgpr_count 2
		.amdhsa_user_sgpr_dispatch_ptr 0
		.amdhsa_user_sgpr_queue_ptr 0
		.amdhsa_user_sgpr_kernarg_segment_ptr 1
		.amdhsa_user_sgpr_dispatch_id 0
		.amdhsa_user_sgpr_kernarg_preload_length 0
		.amdhsa_user_sgpr_kernarg_preload_offset 0
		.amdhsa_user_sgpr_private_segment_size 0
		.amdhsa_uses_dynamic_stack 0
		.amdhsa_enable_private_segment 0
		.amdhsa_system_sgpr_workgroup_id_x 1
		.amdhsa_system_sgpr_workgroup_id_y 0
		.amdhsa_system_sgpr_workgroup_id_z 0
		.amdhsa_system_sgpr_workgroup_info 0
		.amdhsa_system_vgpr_workitem_id 0
		.amdhsa_next_free_vgpr 1
		.amdhsa_next_free_sgpr 0
		.amdhsa_accum_offset 4
		.amdhsa_reserve_vcc 0
		.amdhsa_float_round_mode_32 0
		.amdhsa_float_round_mode_16_64 0
		.amdhsa_float_denorm_mode_32 3
		.amdhsa_float_denorm_mode_16_64 3
		.amdhsa_dx10_clamp 1
		.amdhsa_ieee_mode 1
		.amdhsa_fp16_overflow 0
		.amdhsa_tg_split 0
		.amdhsa_exception_fp_ieee_invalid_op 0
		.amdhsa_exception_fp_denorm_src 0
		.amdhsa_exception_fp_ieee_div_zero 0
		.amdhsa_exception_fp_ieee_overflow 0
		.amdhsa_exception_fp_ieee_underflow 0
		.amdhsa_exception_fp_ieee_inexact 0
		.amdhsa_exception_int_div_zero 0
	.end_amdhsa_kernel
	.section	.text._ZN7rocprim17ROCPRIM_400000_NS6detail17trampoline_kernelINS0_14default_configENS1_25transform_config_selectorIlLb0EEEZNS1_14transform_implILb0ES3_S5_NS0_18transform_iteratorINS0_17counting_iteratorImlEEZNS1_24adjacent_difference_implIS3_Lb1ELb0EPlSB_ZN2at6native12_GLOBAL__N_124unique_dim_cuda_templateIfEESt5tupleIJNSC_6TensorESH_SH_EERKSH_lbbbEUlllE1_EE10hipError_tPvRmT2_T3_mT4_P12ihipStream_tbEUlmE_lEESB_NS0_8identityIvEEEESM_SP_SQ_mSR_ST_bEUlT_E_NS1_11comp_targetILNS1_3genE2ELNS1_11target_archE906ELNS1_3gpuE6ELNS1_3repE0EEENS1_30default_config_static_selectorELNS0_4arch9wavefront6targetE1EEEvT1_,"axG",@progbits,_ZN7rocprim17ROCPRIM_400000_NS6detail17trampoline_kernelINS0_14default_configENS1_25transform_config_selectorIlLb0EEEZNS1_14transform_implILb0ES3_S5_NS0_18transform_iteratorINS0_17counting_iteratorImlEEZNS1_24adjacent_difference_implIS3_Lb1ELb0EPlSB_ZN2at6native12_GLOBAL__N_124unique_dim_cuda_templateIfEESt5tupleIJNSC_6TensorESH_SH_EERKSH_lbbbEUlllE1_EE10hipError_tPvRmT2_T3_mT4_P12ihipStream_tbEUlmE_lEESB_NS0_8identityIvEEEESM_SP_SQ_mSR_ST_bEUlT_E_NS1_11comp_targetILNS1_3genE2ELNS1_11target_archE906ELNS1_3gpuE6ELNS1_3repE0EEENS1_30default_config_static_selectorELNS0_4arch9wavefront6targetE1EEEvT1_,comdat
.Lfunc_end916:
	.size	_ZN7rocprim17ROCPRIM_400000_NS6detail17trampoline_kernelINS0_14default_configENS1_25transform_config_selectorIlLb0EEEZNS1_14transform_implILb0ES3_S5_NS0_18transform_iteratorINS0_17counting_iteratorImlEEZNS1_24adjacent_difference_implIS3_Lb1ELb0EPlSB_ZN2at6native12_GLOBAL__N_124unique_dim_cuda_templateIfEESt5tupleIJNSC_6TensorESH_SH_EERKSH_lbbbEUlllE1_EE10hipError_tPvRmT2_T3_mT4_P12ihipStream_tbEUlmE_lEESB_NS0_8identityIvEEEESM_SP_SQ_mSR_ST_bEUlT_E_NS1_11comp_targetILNS1_3genE2ELNS1_11target_archE906ELNS1_3gpuE6ELNS1_3repE0EEENS1_30default_config_static_selectorELNS0_4arch9wavefront6targetE1EEEvT1_, .Lfunc_end916-_ZN7rocprim17ROCPRIM_400000_NS6detail17trampoline_kernelINS0_14default_configENS1_25transform_config_selectorIlLb0EEEZNS1_14transform_implILb0ES3_S5_NS0_18transform_iteratorINS0_17counting_iteratorImlEEZNS1_24adjacent_difference_implIS3_Lb1ELb0EPlSB_ZN2at6native12_GLOBAL__N_124unique_dim_cuda_templateIfEESt5tupleIJNSC_6TensorESH_SH_EERKSH_lbbbEUlllE1_EE10hipError_tPvRmT2_T3_mT4_P12ihipStream_tbEUlmE_lEESB_NS0_8identityIvEEEESM_SP_SQ_mSR_ST_bEUlT_E_NS1_11comp_targetILNS1_3genE2ELNS1_11target_archE906ELNS1_3gpuE6ELNS1_3repE0EEENS1_30default_config_static_selectorELNS0_4arch9wavefront6targetE1EEEvT1_
                                        ; -- End function
	.set _ZN7rocprim17ROCPRIM_400000_NS6detail17trampoline_kernelINS0_14default_configENS1_25transform_config_selectorIlLb0EEEZNS1_14transform_implILb0ES3_S5_NS0_18transform_iteratorINS0_17counting_iteratorImlEEZNS1_24adjacent_difference_implIS3_Lb1ELb0EPlSB_ZN2at6native12_GLOBAL__N_124unique_dim_cuda_templateIfEESt5tupleIJNSC_6TensorESH_SH_EERKSH_lbbbEUlllE1_EE10hipError_tPvRmT2_T3_mT4_P12ihipStream_tbEUlmE_lEESB_NS0_8identityIvEEEESM_SP_SQ_mSR_ST_bEUlT_E_NS1_11comp_targetILNS1_3genE2ELNS1_11target_archE906ELNS1_3gpuE6ELNS1_3repE0EEENS1_30default_config_static_selectorELNS0_4arch9wavefront6targetE1EEEvT1_.num_vgpr, 0
	.set _ZN7rocprim17ROCPRIM_400000_NS6detail17trampoline_kernelINS0_14default_configENS1_25transform_config_selectorIlLb0EEEZNS1_14transform_implILb0ES3_S5_NS0_18transform_iteratorINS0_17counting_iteratorImlEEZNS1_24adjacent_difference_implIS3_Lb1ELb0EPlSB_ZN2at6native12_GLOBAL__N_124unique_dim_cuda_templateIfEESt5tupleIJNSC_6TensorESH_SH_EERKSH_lbbbEUlllE1_EE10hipError_tPvRmT2_T3_mT4_P12ihipStream_tbEUlmE_lEESB_NS0_8identityIvEEEESM_SP_SQ_mSR_ST_bEUlT_E_NS1_11comp_targetILNS1_3genE2ELNS1_11target_archE906ELNS1_3gpuE6ELNS1_3repE0EEENS1_30default_config_static_selectorELNS0_4arch9wavefront6targetE1EEEvT1_.num_agpr, 0
	.set _ZN7rocprim17ROCPRIM_400000_NS6detail17trampoline_kernelINS0_14default_configENS1_25transform_config_selectorIlLb0EEEZNS1_14transform_implILb0ES3_S5_NS0_18transform_iteratorINS0_17counting_iteratorImlEEZNS1_24adjacent_difference_implIS3_Lb1ELb0EPlSB_ZN2at6native12_GLOBAL__N_124unique_dim_cuda_templateIfEESt5tupleIJNSC_6TensorESH_SH_EERKSH_lbbbEUlllE1_EE10hipError_tPvRmT2_T3_mT4_P12ihipStream_tbEUlmE_lEESB_NS0_8identityIvEEEESM_SP_SQ_mSR_ST_bEUlT_E_NS1_11comp_targetILNS1_3genE2ELNS1_11target_archE906ELNS1_3gpuE6ELNS1_3repE0EEENS1_30default_config_static_selectorELNS0_4arch9wavefront6targetE1EEEvT1_.numbered_sgpr, 0
	.set _ZN7rocprim17ROCPRIM_400000_NS6detail17trampoline_kernelINS0_14default_configENS1_25transform_config_selectorIlLb0EEEZNS1_14transform_implILb0ES3_S5_NS0_18transform_iteratorINS0_17counting_iteratorImlEEZNS1_24adjacent_difference_implIS3_Lb1ELb0EPlSB_ZN2at6native12_GLOBAL__N_124unique_dim_cuda_templateIfEESt5tupleIJNSC_6TensorESH_SH_EERKSH_lbbbEUlllE1_EE10hipError_tPvRmT2_T3_mT4_P12ihipStream_tbEUlmE_lEESB_NS0_8identityIvEEEESM_SP_SQ_mSR_ST_bEUlT_E_NS1_11comp_targetILNS1_3genE2ELNS1_11target_archE906ELNS1_3gpuE6ELNS1_3repE0EEENS1_30default_config_static_selectorELNS0_4arch9wavefront6targetE1EEEvT1_.num_named_barrier, 0
	.set _ZN7rocprim17ROCPRIM_400000_NS6detail17trampoline_kernelINS0_14default_configENS1_25transform_config_selectorIlLb0EEEZNS1_14transform_implILb0ES3_S5_NS0_18transform_iteratorINS0_17counting_iteratorImlEEZNS1_24adjacent_difference_implIS3_Lb1ELb0EPlSB_ZN2at6native12_GLOBAL__N_124unique_dim_cuda_templateIfEESt5tupleIJNSC_6TensorESH_SH_EERKSH_lbbbEUlllE1_EE10hipError_tPvRmT2_T3_mT4_P12ihipStream_tbEUlmE_lEESB_NS0_8identityIvEEEESM_SP_SQ_mSR_ST_bEUlT_E_NS1_11comp_targetILNS1_3genE2ELNS1_11target_archE906ELNS1_3gpuE6ELNS1_3repE0EEENS1_30default_config_static_selectorELNS0_4arch9wavefront6targetE1EEEvT1_.private_seg_size, 0
	.set _ZN7rocprim17ROCPRIM_400000_NS6detail17trampoline_kernelINS0_14default_configENS1_25transform_config_selectorIlLb0EEEZNS1_14transform_implILb0ES3_S5_NS0_18transform_iteratorINS0_17counting_iteratorImlEEZNS1_24adjacent_difference_implIS3_Lb1ELb0EPlSB_ZN2at6native12_GLOBAL__N_124unique_dim_cuda_templateIfEESt5tupleIJNSC_6TensorESH_SH_EERKSH_lbbbEUlllE1_EE10hipError_tPvRmT2_T3_mT4_P12ihipStream_tbEUlmE_lEESB_NS0_8identityIvEEEESM_SP_SQ_mSR_ST_bEUlT_E_NS1_11comp_targetILNS1_3genE2ELNS1_11target_archE906ELNS1_3gpuE6ELNS1_3repE0EEENS1_30default_config_static_selectorELNS0_4arch9wavefront6targetE1EEEvT1_.uses_vcc, 0
	.set _ZN7rocprim17ROCPRIM_400000_NS6detail17trampoline_kernelINS0_14default_configENS1_25transform_config_selectorIlLb0EEEZNS1_14transform_implILb0ES3_S5_NS0_18transform_iteratorINS0_17counting_iteratorImlEEZNS1_24adjacent_difference_implIS3_Lb1ELb0EPlSB_ZN2at6native12_GLOBAL__N_124unique_dim_cuda_templateIfEESt5tupleIJNSC_6TensorESH_SH_EERKSH_lbbbEUlllE1_EE10hipError_tPvRmT2_T3_mT4_P12ihipStream_tbEUlmE_lEESB_NS0_8identityIvEEEESM_SP_SQ_mSR_ST_bEUlT_E_NS1_11comp_targetILNS1_3genE2ELNS1_11target_archE906ELNS1_3gpuE6ELNS1_3repE0EEENS1_30default_config_static_selectorELNS0_4arch9wavefront6targetE1EEEvT1_.uses_flat_scratch, 0
	.set _ZN7rocprim17ROCPRIM_400000_NS6detail17trampoline_kernelINS0_14default_configENS1_25transform_config_selectorIlLb0EEEZNS1_14transform_implILb0ES3_S5_NS0_18transform_iteratorINS0_17counting_iteratorImlEEZNS1_24adjacent_difference_implIS3_Lb1ELb0EPlSB_ZN2at6native12_GLOBAL__N_124unique_dim_cuda_templateIfEESt5tupleIJNSC_6TensorESH_SH_EERKSH_lbbbEUlllE1_EE10hipError_tPvRmT2_T3_mT4_P12ihipStream_tbEUlmE_lEESB_NS0_8identityIvEEEESM_SP_SQ_mSR_ST_bEUlT_E_NS1_11comp_targetILNS1_3genE2ELNS1_11target_archE906ELNS1_3gpuE6ELNS1_3repE0EEENS1_30default_config_static_selectorELNS0_4arch9wavefront6targetE1EEEvT1_.has_dyn_sized_stack, 0
	.set _ZN7rocprim17ROCPRIM_400000_NS6detail17trampoline_kernelINS0_14default_configENS1_25transform_config_selectorIlLb0EEEZNS1_14transform_implILb0ES3_S5_NS0_18transform_iteratorINS0_17counting_iteratorImlEEZNS1_24adjacent_difference_implIS3_Lb1ELb0EPlSB_ZN2at6native12_GLOBAL__N_124unique_dim_cuda_templateIfEESt5tupleIJNSC_6TensorESH_SH_EERKSH_lbbbEUlllE1_EE10hipError_tPvRmT2_T3_mT4_P12ihipStream_tbEUlmE_lEESB_NS0_8identityIvEEEESM_SP_SQ_mSR_ST_bEUlT_E_NS1_11comp_targetILNS1_3genE2ELNS1_11target_archE906ELNS1_3gpuE6ELNS1_3repE0EEENS1_30default_config_static_selectorELNS0_4arch9wavefront6targetE1EEEvT1_.has_recursion, 0
	.set _ZN7rocprim17ROCPRIM_400000_NS6detail17trampoline_kernelINS0_14default_configENS1_25transform_config_selectorIlLb0EEEZNS1_14transform_implILb0ES3_S5_NS0_18transform_iteratorINS0_17counting_iteratorImlEEZNS1_24adjacent_difference_implIS3_Lb1ELb0EPlSB_ZN2at6native12_GLOBAL__N_124unique_dim_cuda_templateIfEESt5tupleIJNSC_6TensorESH_SH_EERKSH_lbbbEUlllE1_EE10hipError_tPvRmT2_T3_mT4_P12ihipStream_tbEUlmE_lEESB_NS0_8identityIvEEEESM_SP_SQ_mSR_ST_bEUlT_E_NS1_11comp_targetILNS1_3genE2ELNS1_11target_archE906ELNS1_3gpuE6ELNS1_3repE0EEENS1_30default_config_static_selectorELNS0_4arch9wavefront6targetE1EEEvT1_.has_indirect_call, 0
	.section	.AMDGPU.csdata,"",@progbits
; Kernel info:
; codeLenInByte = 0
; TotalNumSgprs: 6
; NumVgprs: 0
; NumAgprs: 0
; TotalNumVgprs: 0
; ScratchSize: 0
; MemoryBound: 0
; FloatMode: 240
; IeeeMode: 1
; LDSByteSize: 0 bytes/workgroup (compile time only)
; SGPRBlocks: 0
; VGPRBlocks: 0
; NumSGPRsForWavesPerEU: 6
; NumVGPRsForWavesPerEU: 1
; AccumOffset: 4
; Occupancy: 8
; WaveLimiterHint : 0
; COMPUTE_PGM_RSRC2:SCRATCH_EN: 0
; COMPUTE_PGM_RSRC2:USER_SGPR: 2
; COMPUTE_PGM_RSRC2:TRAP_HANDLER: 0
; COMPUTE_PGM_RSRC2:TGID_X_EN: 1
; COMPUTE_PGM_RSRC2:TGID_Y_EN: 0
; COMPUTE_PGM_RSRC2:TGID_Z_EN: 0
; COMPUTE_PGM_RSRC2:TIDIG_COMP_CNT: 0
; COMPUTE_PGM_RSRC3_GFX90A:ACCUM_OFFSET: 0
; COMPUTE_PGM_RSRC3_GFX90A:TG_SPLIT: 0
	.section	.text._ZN7rocprim17ROCPRIM_400000_NS6detail17trampoline_kernelINS0_14default_configENS1_25transform_config_selectorIlLb0EEEZNS1_14transform_implILb0ES3_S5_NS0_18transform_iteratorINS0_17counting_iteratorImlEEZNS1_24adjacent_difference_implIS3_Lb1ELb0EPlSB_ZN2at6native12_GLOBAL__N_124unique_dim_cuda_templateIfEESt5tupleIJNSC_6TensorESH_SH_EERKSH_lbbbEUlllE1_EE10hipError_tPvRmT2_T3_mT4_P12ihipStream_tbEUlmE_lEESB_NS0_8identityIvEEEESM_SP_SQ_mSR_ST_bEUlT_E_NS1_11comp_targetILNS1_3genE10ELNS1_11target_archE1201ELNS1_3gpuE5ELNS1_3repE0EEENS1_30default_config_static_selectorELNS0_4arch9wavefront6targetE1EEEvT1_,"axG",@progbits,_ZN7rocprim17ROCPRIM_400000_NS6detail17trampoline_kernelINS0_14default_configENS1_25transform_config_selectorIlLb0EEEZNS1_14transform_implILb0ES3_S5_NS0_18transform_iteratorINS0_17counting_iteratorImlEEZNS1_24adjacent_difference_implIS3_Lb1ELb0EPlSB_ZN2at6native12_GLOBAL__N_124unique_dim_cuda_templateIfEESt5tupleIJNSC_6TensorESH_SH_EERKSH_lbbbEUlllE1_EE10hipError_tPvRmT2_T3_mT4_P12ihipStream_tbEUlmE_lEESB_NS0_8identityIvEEEESM_SP_SQ_mSR_ST_bEUlT_E_NS1_11comp_targetILNS1_3genE10ELNS1_11target_archE1201ELNS1_3gpuE5ELNS1_3repE0EEENS1_30default_config_static_selectorELNS0_4arch9wavefront6targetE1EEEvT1_,comdat
	.globl	_ZN7rocprim17ROCPRIM_400000_NS6detail17trampoline_kernelINS0_14default_configENS1_25transform_config_selectorIlLb0EEEZNS1_14transform_implILb0ES3_S5_NS0_18transform_iteratorINS0_17counting_iteratorImlEEZNS1_24adjacent_difference_implIS3_Lb1ELb0EPlSB_ZN2at6native12_GLOBAL__N_124unique_dim_cuda_templateIfEESt5tupleIJNSC_6TensorESH_SH_EERKSH_lbbbEUlllE1_EE10hipError_tPvRmT2_T3_mT4_P12ihipStream_tbEUlmE_lEESB_NS0_8identityIvEEEESM_SP_SQ_mSR_ST_bEUlT_E_NS1_11comp_targetILNS1_3genE10ELNS1_11target_archE1201ELNS1_3gpuE5ELNS1_3repE0EEENS1_30default_config_static_selectorELNS0_4arch9wavefront6targetE1EEEvT1_ ; -- Begin function _ZN7rocprim17ROCPRIM_400000_NS6detail17trampoline_kernelINS0_14default_configENS1_25transform_config_selectorIlLb0EEEZNS1_14transform_implILb0ES3_S5_NS0_18transform_iteratorINS0_17counting_iteratorImlEEZNS1_24adjacent_difference_implIS3_Lb1ELb0EPlSB_ZN2at6native12_GLOBAL__N_124unique_dim_cuda_templateIfEESt5tupleIJNSC_6TensorESH_SH_EERKSH_lbbbEUlllE1_EE10hipError_tPvRmT2_T3_mT4_P12ihipStream_tbEUlmE_lEESB_NS0_8identityIvEEEESM_SP_SQ_mSR_ST_bEUlT_E_NS1_11comp_targetILNS1_3genE10ELNS1_11target_archE1201ELNS1_3gpuE5ELNS1_3repE0EEENS1_30default_config_static_selectorELNS0_4arch9wavefront6targetE1EEEvT1_
	.p2align	8
	.type	_ZN7rocprim17ROCPRIM_400000_NS6detail17trampoline_kernelINS0_14default_configENS1_25transform_config_selectorIlLb0EEEZNS1_14transform_implILb0ES3_S5_NS0_18transform_iteratorINS0_17counting_iteratorImlEEZNS1_24adjacent_difference_implIS3_Lb1ELb0EPlSB_ZN2at6native12_GLOBAL__N_124unique_dim_cuda_templateIfEESt5tupleIJNSC_6TensorESH_SH_EERKSH_lbbbEUlllE1_EE10hipError_tPvRmT2_T3_mT4_P12ihipStream_tbEUlmE_lEESB_NS0_8identityIvEEEESM_SP_SQ_mSR_ST_bEUlT_E_NS1_11comp_targetILNS1_3genE10ELNS1_11target_archE1201ELNS1_3gpuE5ELNS1_3repE0EEENS1_30default_config_static_selectorELNS0_4arch9wavefront6targetE1EEEvT1_,@function
_ZN7rocprim17ROCPRIM_400000_NS6detail17trampoline_kernelINS0_14default_configENS1_25transform_config_selectorIlLb0EEEZNS1_14transform_implILb0ES3_S5_NS0_18transform_iteratorINS0_17counting_iteratorImlEEZNS1_24adjacent_difference_implIS3_Lb1ELb0EPlSB_ZN2at6native12_GLOBAL__N_124unique_dim_cuda_templateIfEESt5tupleIJNSC_6TensorESH_SH_EERKSH_lbbbEUlllE1_EE10hipError_tPvRmT2_T3_mT4_P12ihipStream_tbEUlmE_lEESB_NS0_8identityIvEEEESM_SP_SQ_mSR_ST_bEUlT_E_NS1_11comp_targetILNS1_3genE10ELNS1_11target_archE1201ELNS1_3gpuE5ELNS1_3repE0EEENS1_30default_config_static_selectorELNS0_4arch9wavefront6targetE1EEEvT1_: ; @_ZN7rocprim17ROCPRIM_400000_NS6detail17trampoline_kernelINS0_14default_configENS1_25transform_config_selectorIlLb0EEEZNS1_14transform_implILb0ES3_S5_NS0_18transform_iteratorINS0_17counting_iteratorImlEEZNS1_24adjacent_difference_implIS3_Lb1ELb0EPlSB_ZN2at6native12_GLOBAL__N_124unique_dim_cuda_templateIfEESt5tupleIJNSC_6TensorESH_SH_EERKSH_lbbbEUlllE1_EE10hipError_tPvRmT2_T3_mT4_P12ihipStream_tbEUlmE_lEESB_NS0_8identityIvEEEESM_SP_SQ_mSR_ST_bEUlT_E_NS1_11comp_targetILNS1_3genE10ELNS1_11target_archE1201ELNS1_3gpuE5ELNS1_3repE0EEENS1_30default_config_static_selectorELNS0_4arch9wavefront6targetE1EEEvT1_
; %bb.0:
	.section	.rodata,"a",@progbits
	.p2align	6, 0x0
	.amdhsa_kernel _ZN7rocprim17ROCPRIM_400000_NS6detail17trampoline_kernelINS0_14default_configENS1_25transform_config_selectorIlLb0EEEZNS1_14transform_implILb0ES3_S5_NS0_18transform_iteratorINS0_17counting_iteratorImlEEZNS1_24adjacent_difference_implIS3_Lb1ELb0EPlSB_ZN2at6native12_GLOBAL__N_124unique_dim_cuda_templateIfEESt5tupleIJNSC_6TensorESH_SH_EERKSH_lbbbEUlllE1_EE10hipError_tPvRmT2_T3_mT4_P12ihipStream_tbEUlmE_lEESB_NS0_8identityIvEEEESM_SP_SQ_mSR_ST_bEUlT_E_NS1_11comp_targetILNS1_3genE10ELNS1_11target_archE1201ELNS1_3gpuE5ELNS1_3repE0EEENS1_30default_config_static_selectorELNS0_4arch9wavefront6targetE1EEEvT1_
		.amdhsa_group_segment_fixed_size 0
		.amdhsa_private_segment_fixed_size 0
		.amdhsa_kernarg_size 56
		.amdhsa_user_sgpr_count 2
		.amdhsa_user_sgpr_dispatch_ptr 0
		.amdhsa_user_sgpr_queue_ptr 0
		.amdhsa_user_sgpr_kernarg_segment_ptr 1
		.amdhsa_user_sgpr_dispatch_id 0
		.amdhsa_user_sgpr_kernarg_preload_length 0
		.amdhsa_user_sgpr_kernarg_preload_offset 0
		.amdhsa_user_sgpr_private_segment_size 0
		.amdhsa_uses_dynamic_stack 0
		.amdhsa_enable_private_segment 0
		.amdhsa_system_sgpr_workgroup_id_x 1
		.amdhsa_system_sgpr_workgroup_id_y 0
		.amdhsa_system_sgpr_workgroup_id_z 0
		.amdhsa_system_sgpr_workgroup_info 0
		.amdhsa_system_vgpr_workitem_id 0
		.amdhsa_next_free_vgpr 1
		.amdhsa_next_free_sgpr 0
		.amdhsa_accum_offset 4
		.amdhsa_reserve_vcc 0
		.amdhsa_float_round_mode_32 0
		.amdhsa_float_round_mode_16_64 0
		.amdhsa_float_denorm_mode_32 3
		.amdhsa_float_denorm_mode_16_64 3
		.amdhsa_dx10_clamp 1
		.amdhsa_ieee_mode 1
		.amdhsa_fp16_overflow 0
		.amdhsa_tg_split 0
		.amdhsa_exception_fp_ieee_invalid_op 0
		.amdhsa_exception_fp_denorm_src 0
		.amdhsa_exception_fp_ieee_div_zero 0
		.amdhsa_exception_fp_ieee_overflow 0
		.amdhsa_exception_fp_ieee_underflow 0
		.amdhsa_exception_fp_ieee_inexact 0
		.amdhsa_exception_int_div_zero 0
	.end_amdhsa_kernel
	.section	.text._ZN7rocprim17ROCPRIM_400000_NS6detail17trampoline_kernelINS0_14default_configENS1_25transform_config_selectorIlLb0EEEZNS1_14transform_implILb0ES3_S5_NS0_18transform_iteratorINS0_17counting_iteratorImlEEZNS1_24adjacent_difference_implIS3_Lb1ELb0EPlSB_ZN2at6native12_GLOBAL__N_124unique_dim_cuda_templateIfEESt5tupleIJNSC_6TensorESH_SH_EERKSH_lbbbEUlllE1_EE10hipError_tPvRmT2_T3_mT4_P12ihipStream_tbEUlmE_lEESB_NS0_8identityIvEEEESM_SP_SQ_mSR_ST_bEUlT_E_NS1_11comp_targetILNS1_3genE10ELNS1_11target_archE1201ELNS1_3gpuE5ELNS1_3repE0EEENS1_30default_config_static_selectorELNS0_4arch9wavefront6targetE1EEEvT1_,"axG",@progbits,_ZN7rocprim17ROCPRIM_400000_NS6detail17trampoline_kernelINS0_14default_configENS1_25transform_config_selectorIlLb0EEEZNS1_14transform_implILb0ES3_S5_NS0_18transform_iteratorINS0_17counting_iteratorImlEEZNS1_24adjacent_difference_implIS3_Lb1ELb0EPlSB_ZN2at6native12_GLOBAL__N_124unique_dim_cuda_templateIfEESt5tupleIJNSC_6TensorESH_SH_EERKSH_lbbbEUlllE1_EE10hipError_tPvRmT2_T3_mT4_P12ihipStream_tbEUlmE_lEESB_NS0_8identityIvEEEESM_SP_SQ_mSR_ST_bEUlT_E_NS1_11comp_targetILNS1_3genE10ELNS1_11target_archE1201ELNS1_3gpuE5ELNS1_3repE0EEENS1_30default_config_static_selectorELNS0_4arch9wavefront6targetE1EEEvT1_,comdat
.Lfunc_end917:
	.size	_ZN7rocprim17ROCPRIM_400000_NS6detail17trampoline_kernelINS0_14default_configENS1_25transform_config_selectorIlLb0EEEZNS1_14transform_implILb0ES3_S5_NS0_18transform_iteratorINS0_17counting_iteratorImlEEZNS1_24adjacent_difference_implIS3_Lb1ELb0EPlSB_ZN2at6native12_GLOBAL__N_124unique_dim_cuda_templateIfEESt5tupleIJNSC_6TensorESH_SH_EERKSH_lbbbEUlllE1_EE10hipError_tPvRmT2_T3_mT4_P12ihipStream_tbEUlmE_lEESB_NS0_8identityIvEEEESM_SP_SQ_mSR_ST_bEUlT_E_NS1_11comp_targetILNS1_3genE10ELNS1_11target_archE1201ELNS1_3gpuE5ELNS1_3repE0EEENS1_30default_config_static_selectorELNS0_4arch9wavefront6targetE1EEEvT1_, .Lfunc_end917-_ZN7rocprim17ROCPRIM_400000_NS6detail17trampoline_kernelINS0_14default_configENS1_25transform_config_selectorIlLb0EEEZNS1_14transform_implILb0ES3_S5_NS0_18transform_iteratorINS0_17counting_iteratorImlEEZNS1_24adjacent_difference_implIS3_Lb1ELb0EPlSB_ZN2at6native12_GLOBAL__N_124unique_dim_cuda_templateIfEESt5tupleIJNSC_6TensorESH_SH_EERKSH_lbbbEUlllE1_EE10hipError_tPvRmT2_T3_mT4_P12ihipStream_tbEUlmE_lEESB_NS0_8identityIvEEEESM_SP_SQ_mSR_ST_bEUlT_E_NS1_11comp_targetILNS1_3genE10ELNS1_11target_archE1201ELNS1_3gpuE5ELNS1_3repE0EEENS1_30default_config_static_selectorELNS0_4arch9wavefront6targetE1EEEvT1_
                                        ; -- End function
	.set _ZN7rocprim17ROCPRIM_400000_NS6detail17trampoline_kernelINS0_14default_configENS1_25transform_config_selectorIlLb0EEEZNS1_14transform_implILb0ES3_S5_NS0_18transform_iteratorINS0_17counting_iteratorImlEEZNS1_24adjacent_difference_implIS3_Lb1ELb0EPlSB_ZN2at6native12_GLOBAL__N_124unique_dim_cuda_templateIfEESt5tupleIJNSC_6TensorESH_SH_EERKSH_lbbbEUlllE1_EE10hipError_tPvRmT2_T3_mT4_P12ihipStream_tbEUlmE_lEESB_NS0_8identityIvEEEESM_SP_SQ_mSR_ST_bEUlT_E_NS1_11comp_targetILNS1_3genE10ELNS1_11target_archE1201ELNS1_3gpuE5ELNS1_3repE0EEENS1_30default_config_static_selectorELNS0_4arch9wavefront6targetE1EEEvT1_.num_vgpr, 0
	.set _ZN7rocprim17ROCPRIM_400000_NS6detail17trampoline_kernelINS0_14default_configENS1_25transform_config_selectorIlLb0EEEZNS1_14transform_implILb0ES3_S5_NS0_18transform_iteratorINS0_17counting_iteratorImlEEZNS1_24adjacent_difference_implIS3_Lb1ELb0EPlSB_ZN2at6native12_GLOBAL__N_124unique_dim_cuda_templateIfEESt5tupleIJNSC_6TensorESH_SH_EERKSH_lbbbEUlllE1_EE10hipError_tPvRmT2_T3_mT4_P12ihipStream_tbEUlmE_lEESB_NS0_8identityIvEEEESM_SP_SQ_mSR_ST_bEUlT_E_NS1_11comp_targetILNS1_3genE10ELNS1_11target_archE1201ELNS1_3gpuE5ELNS1_3repE0EEENS1_30default_config_static_selectorELNS0_4arch9wavefront6targetE1EEEvT1_.num_agpr, 0
	.set _ZN7rocprim17ROCPRIM_400000_NS6detail17trampoline_kernelINS0_14default_configENS1_25transform_config_selectorIlLb0EEEZNS1_14transform_implILb0ES3_S5_NS0_18transform_iteratorINS0_17counting_iteratorImlEEZNS1_24adjacent_difference_implIS3_Lb1ELb0EPlSB_ZN2at6native12_GLOBAL__N_124unique_dim_cuda_templateIfEESt5tupleIJNSC_6TensorESH_SH_EERKSH_lbbbEUlllE1_EE10hipError_tPvRmT2_T3_mT4_P12ihipStream_tbEUlmE_lEESB_NS0_8identityIvEEEESM_SP_SQ_mSR_ST_bEUlT_E_NS1_11comp_targetILNS1_3genE10ELNS1_11target_archE1201ELNS1_3gpuE5ELNS1_3repE0EEENS1_30default_config_static_selectorELNS0_4arch9wavefront6targetE1EEEvT1_.numbered_sgpr, 0
	.set _ZN7rocprim17ROCPRIM_400000_NS6detail17trampoline_kernelINS0_14default_configENS1_25transform_config_selectorIlLb0EEEZNS1_14transform_implILb0ES3_S5_NS0_18transform_iteratorINS0_17counting_iteratorImlEEZNS1_24adjacent_difference_implIS3_Lb1ELb0EPlSB_ZN2at6native12_GLOBAL__N_124unique_dim_cuda_templateIfEESt5tupleIJNSC_6TensorESH_SH_EERKSH_lbbbEUlllE1_EE10hipError_tPvRmT2_T3_mT4_P12ihipStream_tbEUlmE_lEESB_NS0_8identityIvEEEESM_SP_SQ_mSR_ST_bEUlT_E_NS1_11comp_targetILNS1_3genE10ELNS1_11target_archE1201ELNS1_3gpuE5ELNS1_3repE0EEENS1_30default_config_static_selectorELNS0_4arch9wavefront6targetE1EEEvT1_.num_named_barrier, 0
	.set _ZN7rocprim17ROCPRIM_400000_NS6detail17trampoline_kernelINS0_14default_configENS1_25transform_config_selectorIlLb0EEEZNS1_14transform_implILb0ES3_S5_NS0_18transform_iteratorINS0_17counting_iteratorImlEEZNS1_24adjacent_difference_implIS3_Lb1ELb0EPlSB_ZN2at6native12_GLOBAL__N_124unique_dim_cuda_templateIfEESt5tupleIJNSC_6TensorESH_SH_EERKSH_lbbbEUlllE1_EE10hipError_tPvRmT2_T3_mT4_P12ihipStream_tbEUlmE_lEESB_NS0_8identityIvEEEESM_SP_SQ_mSR_ST_bEUlT_E_NS1_11comp_targetILNS1_3genE10ELNS1_11target_archE1201ELNS1_3gpuE5ELNS1_3repE0EEENS1_30default_config_static_selectorELNS0_4arch9wavefront6targetE1EEEvT1_.private_seg_size, 0
	.set _ZN7rocprim17ROCPRIM_400000_NS6detail17trampoline_kernelINS0_14default_configENS1_25transform_config_selectorIlLb0EEEZNS1_14transform_implILb0ES3_S5_NS0_18transform_iteratorINS0_17counting_iteratorImlEEZNS1_24adjacent_difference_implIS3_Lb1ELb0EPlSB_ZN2at6native12_GLOBAL__N_124unique_dim_cuda_templateIfEESt5tupleIJNSC_6TensorESH_SH_EERKSH_lbbbEUlllE1_EE10hipError_tPvRmT2_T3_mT4_P12ihipStream_tbEUlmE_lEESB_NS0_8identityIvEEEESM_SP_SQ_mSR_ST_bEUlT_E_NS1_11comp_targetILNS1_3genE10ELNS1_11target_archE1201ELNS1_3gpuE5ELNS1_3repE0EEENS1_30default_config_static_selectorELNS0_4arch9wavefront6targetE1EEEvT1_.uses_vcc, 0
	.set _ZN7rocprim17ROCPRIM_400000_NS6detail17trampoline_kernelINS0_14default_configENS1_25transform_config_selectorIlLb0EEEZNS1_14transform_implILb0ES3_S5_NS0_18transform_iteratorINS0_17counting_iteratorImlEEZNS1_24adjacent_difference_implIS3_Lb1ELb0EPlSB_ZN2at6native12_GLOBAL__N_124unique_dim_cuda_templateIfEESt5tupleIJNSC_6TensorESH_SH_EERKSH_lbbbEUlllE1_EE10hipError_tPvRmT2_T3_mT4_P12ihipStream_tbEUlmE_lEESB_NS0_8identityIvEEEESM_SP_SQ_mSR_ST_bEUlT_E_NS1_11comp_targetILNS1_3genE10ELNS1_11target_archE1201ELNS1_3gpuE5ELNS1_3repE0EEENS1_30default_config_static_selectorELNS0_4arch9wavefront6targetE1EEEvT1_.uses_flat_scratch, 0
	.set _ZN7rocprim17ROCPRIM_400000_NS6detail17trampoline_kernelINS0_14default_configENS1_25transform_config_selectorIlLb0EEEZNS1_14transform_implILb0ES3_S5_NS0_18transform_iteratorINS0_17counting_iteratorImlEEZNS1_24adjacent_difference_implIS3_Lb1ELb0EPlSB_ZN2at6native12_GLOBAL__N_124unique_dim_cuda_templateIfEESt5tupleIJNSC_6TensorESH_SH_EERKSH_lbbbEUlllE1_EE10hipError_tPvRmT2_T3_mT4_P12ihipStream_tbEUlmE_lEESB_NS0_8identityIvEEEESM_SP_SQ_mSR_ST_bEUlT_E_NS1_11comp_targetILNS1_3genE10ELNS1_11target_archE1201ELNS1_3gpuE5ELNS1_3repE0EEENS1_30default_config_static_selectorELNS0_4arch9wavefront6targetE1EEEvT1_.has_dyn_sized_stack, 0
	.set _ZN7rocprim17ROCPRIM_400000_NS6detail17trampoline_kernelINS0_14default_configENS1_25transform_config_selectorIlLb0EEEZNS1_14transform_implILb0ES3_S5_NS0_18transform_iteratorINS0_17counting_iteratorImlEEZNS1_24adjacent_difference_implIS3_Lb1ELb0EPlSB_ZN2at6native12_GLOBAL__N_124unique_dim_cuda_templateIfEESt5tupleIJNSC_6TensorESH_SH_EERKSH_lbbbEUlllE1_EE10hipError_tPvRmT2_T3_mT4_P12ihipStream_tbEUlmE_lEESB_NS0_8identityIvEEEESM_SP_SQ_mSR_ST_bEUlT_E_NS1_11comp_targetILNS1_3genE10ELNS1_11target_archE1201ELNS1_3gpuE5ELNS1_3repE0EEENS1_30default_config_static_selectorELNS0_4arch9wavefront6targetE1EEEvT1_.has_recursion, 0
	.set _ZN7rocprim17ROCPRIM_400000_NS6detail17trampoline_kernelINS0_14default_configENS1_25transform_config_selectorIlLb0EEEZNS1_14transform_implILb0ES3_S5_NS0_18transform_iteratorINS0_17counting_iteratorImlEEZNS1_24adjacent_difference_implIS3_Lb1ELb0EPlSB_ZN2at6native12_GLOBAL__N_124unique_dim_cuda_templateIfEESt5tupleIJNSC_6TensorESH_SH_EERKSH_lbbbEUlllE1_EE10hipError_tPvRmT2_T3_mT4_P12ihipStream_tbEUlmE_lEESB_NS0_8identityIvEEEESM_SP_SQ_mSR_ST_bEUlT_E_NS1_11comp_targetILNS1_3genE10ELNS1_11target_archE1201ELNS1_3gpuE5ELNS1_3repE0EEENS1_30default_config_static_selectorELNS0_4arch9wavefront6targetE1EEEvT1_.has_indirect_call, 0
	.section	.AMDGPU.csdata,"",@progbits
; Kernel info:
; codeLenInByte = 0
; TotalNumSgprs: 6
; NumVgprs: 0
; NumAgprs: 0
; TotalNumVgprs: 0
; ScratchSize: 0
; MemoryBound: 0
; FloatMode: 240
; IeeeMode: 1
; LDSByteSize: 0 bytes/workgroup (compile time only)
; SGPRBlocks: 0
; VGPRBlocks: 0
; NumSGPRsForWavesPerEU: 6
; NumVGPRsForWavesPerEU: 1
; AccumOffset: 4
; Occupancy: 8
; WaveLimiterHint : 0
; COMPUTE_PGM_RSRC2:SCRATCH_EN: 0
; COMPUTE_PGM_RSRC2:USER_SGPR: 2
; COMPUTE_PGM_RSRC2:TRAP_HANDLER: 0
; COMPUTE_PGM_RSRC2:TGID_X_EN: 1
; COMPUTE_PGM_RSRC2:TGID_Y_EN: 0
; COMPUTE_PGM_RSRC2:TGID_Z_EN: 0
; COMPUTE_PGM_RSRC2:TIDIG_COMP_CNT: 0
; COMPUTE_PGM_RSRC3_GFX90A:ACCUM_OFFSET: 0
; COMPUTE_PGM_RSRC3_GFX90A:TG_SPLIT: 0
	.section	.text._ZN7rocprim17ROCPRIM_400000_NS6detail17trampoline_kernelINS0_14default_configENS1_25transform_config_selectorIlLb0EEEZNS1_14transform_implILb0ES3_S5_NS0_18transform_iteratorINS0_17counting_iteratorImlEEZNS1_24adjacent_difference_implIS3_Lb1ELb0EPlSB_ZN2at6native12_GLOBAL__N_124unique_dim_cuda_templateIfEESt5tupleIJNSC_6TensorESH_SH_EERKSH_lbbbEUlllE1_EE10hipError_tPvRmT2_T3_mT4_P12ihipStream_tbEUlmE_lEESB_NS0_8identityIvEEEESM_SP_SQ_mSR_ST_bEUlT_E_NS1_11comp_targetILNS1_3genE10ELNS1_11target_archE1200ELNS1_3gpuE4ELNS1_3repE0EEENS1_30default_config_static_selectorELNS0_4arch9wavefront6targetE1EEEvT1_,"axG",@progbits,_ZN7rocprim17ROCPRIM_400000_NS6detail17trampoline_kernelINS0_14default_configENS1_25transform_config_selectorIlLb0EEEZNS1_14transform_implILb0ES3_S5_NS0_18transform_iteratorINS0_17counting_iteratorImlEEZNS1_24adjacent_difference_implIS3_Lb1ELb0EPlSB_ZN2at6native12_GLOBAL__N_124unique_dim_cuda_templateIfEESt5tupleIJNSC_6TensorESH_SH_EERKSH_lbbbEUlllE1_EE10hipError_tPvRmT2_T3_mT4_P12ihipStream_tbEUlmE_lEESB_NS0_8identityIvEEEESM_SP_SQ_mSR_ST_bEUlT_E_NS1_11comp_targetILNS1_3genE10ELNS1_11target_archE1200ELNS1_3gpuE4ELNS1_3repE0EEENS1_30default_config_static_selectorELNS0_4arch9wavefront6targetE1EEEvT1_,comdat
	.globl	_ZN7rocprim17ROCPRIM_400000_NS6detail17trampoline_kernelINS0_14default_configENS1_25transform_config_selectorIlLb0EEEZNS1_14transform_implILb0ES3_S5_NS0_18transform_iteratorINS0_17counting_iteratorImlEEZNS1_24adjacent_difference_implIS3_Lb1ELb0EPlSB_ZN2at6native12_GLOBAL__N_124unique_dim_cuda_templateIfEESt5tupleIJNSC_6TensorESH_SH_EERKSH_lbbbEUlllE1_EE10hipError_tPvRmT2_T3_mT4_P12ihipStream_tbEUlmE_lEESB_NS0_8identityIvEEEESM_SP_SQ_mSR_ST_bEUlT_E_NS1_11comp_targetILNS1_3genE10ELNS1_11target_archE1200ELNS1_3gpuE4ELNS1_3repE0EEENS1_30default_config_static_selectorELNS0_4arch9wavefront6targetE1EEEvT1_ ; -- Begin function _ZN7rocprim17ROCPRIM_400000_NS6detail17trampoline_kernelINS0_14default_configENS1_25transform_config_selectorIlLb0EEEZNS1_14transform_implILb0ES3_S5_NS0_18transform_iteratorINS0_17counting_iteratorImlEEZNS1_24adjacent_difference_implIS3_Lb1ELb0EPlSB_ZN2at6native12_GLOBAL__N_124unique_dim_cuda_templateIfEESt5tupleIJNSC_6TensorESH_SH_EERKSH_lbbbEUlllE1_EE10hipError_tPvRmT2_T3_mT4_P12ihipStream_tbEUlmE_lEESB_NS0_8identityIvEEEESM_SP_SQ_mSR_ST_bEUlT_E_NS1_11comp_targetILNS1_3genE10ELNS1_11target_archE1200ELNS1_3gpuE4ELNS1_3repE0EEENS1_30default_config_static_selectorELNS0_4arch9wavefront6targetE1EEEvT1_
	.p2align	8
	.type	_ZN7rocprim17ROCPRIM_400000_NS6detail17trampoline_kernelINS0_14default_configENS1_25transform_config_selectorIlLb0EEEZNS1_14transform_implILb0ES3_S5_NS0_18transform_iteratorINS0_17counting_iteratorImlEEZNS1_24adjacent_difference_implIS3_Lb1ELb0EPlSB_ZN2at6native12_GLOBAL__N_124unique_dim_cuda_templateIfEESt5tupleIJNSC_6TensorESH_SH_EERKSH_lbbbEUlllE1_EE10hipError_tPvRmT2_T3_mT4_P12ihipStream_tbEUlmE_lEESB_NS0_8identityIvEEEESM_SP_SQ_mSR_ST_bEUlT_E_NS1_11comp_targetILNS1_3genE10ELNS1_11target_archE1200ELNS1_3gpuE4ELNS1_3repE0EEENS1_30default_config_static_selectorELNS0_4arch9wavefront6targetE1EEEvT1_,@function
_ZN7rocprim17ROCPRIM_400000_NS6detail17trampoline_kernelINS0_14default_configENS1_25transform_config_selectorIlLb0EEEZNS1_14transform_implILb0ES3_S5_NS0_18transform_iteratorINS0_17counting_iteratorImlEEZNS1_24adjacent_difference_implIS3_Lb1ELb0EPlSB_ZN2at6native12_GLOBAL__N_124unique_dim_cuda_templateIfEESt5tupleIJNSC_6TensorESH_SH_EERKSH_lbbbEUlllE1_EE10hipError_tPvRmT2_T3_mT4_P12ihipStream_tbEUlmE_lEESB_NS0_8identityIvEEEESM_SP_SQ_mSR_ST_bEUlT_E_NS1_11comp_targetILNS1_3genE10ELNS1_11target_archE1200ELNS1_3gpuE4ELNS1_3repE0EEENS1_30default_config_static_selectorELNS0_4arch9wavefront6targetE1EEEvT1_: ; @_ZN7rocprim17ROCPRIM_400000_NS6detail17trampoline_kernelINS0_14default_configENS1_25transform_config_selectorIlLb0EEEZNS1_14transform_implILb0ES3_S5_NS0_18transform_iteratorINS0_17counting_iteratorImlEEZNS1_24adjacent_difference_implIS3_Lb1ELb0EPlSB_ZN2at6native12_GLOBAL__N_124unique_dim_cuda_templateIfEESt5tupleIJNSC_6TensorESH_SH_EERKSH_lbbbEUlllE1_EE10hipError_tPvRmT2_T3_mT4_P12ihipStream_tbEUlmE_lEESB_NS0_8identityIvEEEESM_SP_SQ_mSR_ST_bEUlT_E_NS1_11comp_targetILNS1_3genE10ELNS1_11target_archE1200ELNS1_3gpuE4ELNS1_3repE0EEENS1_30default_config_static_selectorELNS0_4arch9wavefront6targetE1EEEvT1_
; %bb.0:
	.section	.rodata,"a",@progbits
	.p2align	6, 0x0
	.amdhsa_kernel _ZN7rocprim17ROCPRIM_400000_NS6detail17trampoline_kernelINS0_14default_configENS1_25transform_config_selectorIlLb0EEEZNS1_14transform_implILb0ES3_S5_NS0_18transform_iteratorINS0_17counting_iteratorImlEEZNS1_24adjacent_difference_implIS3_Lb1ELb0EPlSB_ZN2at6native12_GLOBAL__N_124unique_dim_cuda_templateIfEESt5tupleIJNSC_6TensorESH_SH_EERKSH_lbbbEUlllE1_EE10hipError_tPvRmT2_T3_mT4_P12ihipStream_tbEUlmE_lEESB_NS0_8identityIvEEEESM_SP_SQ_mSR_ST_bEUlT_E_NS1_11comp_targetILNS1_3genE10ELNS1_11target_archE1200ELNS1_3gpuE4ELNS1_3repE0EEENS1_30default_config_static_selectorELNS0_4arch9wavefront6targetE1EEEvT1_
		.amdhsa_group_segment_fixed_size 0
		.amdhsa_private_segment_fixed_size 0
		.amdhsa_kernarg_size 56
		.amdhsa_user_sgpr_count 2
		.amdhsa_user_sgpr_dispatch_ptr 0
		.amdhsa_user_sgpr_queue_ptr 0
		.amdhsa_user_sgpr_kernarg_segment_ptr 1
		.amdhsa_user_sgpr_dispatch_id 0
		.amdhsa_user_sgpr_kernarg_preload_length 0
		.amdhsa_user_sgpr_kernarg_preload_offset 0
		.amdhsa_user_sgpr_private_segment_size 0
		.amdhsa_uses_dynamic_stack 0
		.amdhsa_enable_private_segment 0
		.amdhsa_system_sgpr_workgroup_id_x 1
		.amdhsa_system_sgpr_workgroup_id_y 0
		.amdhsa_system_sgpr_workgroup_id_z 0
		.amdhsa_system_sgpr_workgroup_info 0
		.amdhsa_system_vgpr_workitem_id 0
		.amdhsa_next_free_vgpr 1
		.amdhsa_next_free_sgpr 0
		.amdhsa_accum_offset 4
		.amdhsa_reserve_vcc 0
		.amdhsa_float_round_mode_32 0
		.amdhsa_float_round_mode_16_64 0
		.amdhsa_float_denorm_mode_32 3
		.amdhsa_float_denorm_mode_16_64 3
		.amdhsa_dx10_clamp 1
		.amdhsa_ieee_mode 1
		.amdhsa_fp16_overflow 0
		.amdhsa_tg_split 0
		.amdhsa_exception_fp_ieee_invalid_op 0
		.amdhsa_exception_fp_denorm_src 0
		.amdhsa_exception_fp_ieee_div_zero 0
		.amdhsa_exception_fp_ieee_overflow 0
		.amdhsa_exception_fp_ieee_underflow 0
		.amdhsa_exception_fp_ieee_inexact 0
		.amdhsa_exception_int_div_zero 0
	.end_amdhsa_kernel
	.section	.text._ZN7rocprim17ROCPRIM_400000_NS6detail17trampoline_kernelINS0_14default_configENS1_25transform_config_selectorIlLb0EEEZNS1_14transform_implILb0ES3_S5_NS0_18transform_iteratorINS0_17counting_iteratorImlEEZNS1_24adjacent_difference_implIS3_Lb1ELb0EPlSB_ZN2at6native12_GLOBAL__N_124unique_dim_cuda_templateIfEESt5tupleIJNSC_6TensorESH_SH_EERKSH_lbbbEUlllE1_EE10hipError_tPvRmT2_T3_mT4_P12ihipStream_tbEUlmE_lEESB_NS0_8identityIvEEEESM_SP_SQ_mSR_ST_bEUlT_E_NS1_11comp_targetILNS1_3genE10ELNS1_11target_archE1200ELNS1_3gpuE4ELNS1_3repE0EEENS1_30default_config_static_selectorELNS0_4arch9wavefront6targetE1EEEvT1_,"axG",@progbits,_ZN7rocprim17ROCPRIM_400000_NS6detail17trampoline_kernelINS0_14default_configENS1_25transform_config_selectorIlLb0EEEZNS1_14transform_implILb0ES3_S5_NS0_18transform_iteratorINS0_17counting_iteratorImlEEZNS1_24adjacent_difference_implIS3_Lb1ELb0EPlSB_ZN2at6native12_GLOBAL__N_124unique_dim_cuda_templateIfEESt5tupleIJNSC_6TensorESH_SH_EERKSH_lbbbEUlllE1_EE10hipError_tPvRmT2_T3_mT4_P12ihipStream_tbEUlmE_lEESB_NS0_8identityIvEEEESM_SP_SQ_mSR_ST_bEUlT_E_NS1_11comp_targetILNS1_3genE10ELNS1_11target_archE1200ELNS1_3gpuE4ELNS1_3repE0EEENS1_30default_config_static_selectorELNS0_4arch9wavefront6targetE1EEEvT1_,comdat
.Lfunc_end918:
	.size	_ZN7rocprim17ROCPRIM_400000_NS6detail17trampoline_kernelINS0_14default_configENS1_25transform_config_selectorIlLb0EEEZNS1_14transform_implILb0ES3_S5_NS0_18transform_iteratorINS0_17counting_iteratorImlEEZNS1_24adjacent_difference_implIS3_Lb1ELb0EPlSB_ZN2at6native12_GLOBAL__N_124unique_dim_cuda_templateIfEESt5tupleIJNSC_6TensorESH_SH_EERKSH_lbbbEUlllE1_EE10hipError_tPvRmT2_T3_mT4_P12ihipStream_tbEUlmE_lEESB_NS0_8identityIvEEEESM_SP_SQ_mSR_ST_bEUlT_E_NS1_11comp_targetILNS1_3genE10ELNS1_11target_archE1200ELNS1_3gpuE4ELNS1_3repE0EEENS1_30default_config_static_selectorELNS0_4arch9wavefront6targetE1EEEvT1_, .Lfunc_end918-_ZN7rocprim17ROCPRIM_400000_NS6detail17trampoline_kernelINS0_14default_configENS1_25transform_config_selectorIlLb0EEEZNS1_14transform_implILb0ES3_S5_NS0_18transform_iteratorINS0_17counting_iteratorImlEEZNS1_24adjacent_difference_implIS3_Lb1ELb0EPlSB_ZN2at6native12_GLOBAL__N_124unique_dim_cuda_templateIfEESt5tupleIJNSC_6TensorESH_SH_EERKSH_lbbbEUlllE1_EE10hipError_tPvRmT2_T3_mT4_P12ihipStream_tbEUlmE_lEESB_NS0_8identityIvEEEESM_SP_SQ_mSR_ST_bEUlT_E_NS1_11comp_targetILNS1_3genE10ELNS1_11target_archE1200ELNS1_3gpuE4ELNS1_3repE0EEENS1_30default_config_static_selectorELNS0_4arch9wavefront6targetE1EEEvT1_
                                        ; -- End function
	.set _ZN7rocprim17ROCPRIM_400000_NS6detail17trampoline_kernelINS0_14default_configENS1_25transform_config_selectorIlLb0EEEZNS1_14transform_implILb0ES3_S5_NS0_18transform_iteratorINS0_17counting_iteratorImlEEZNS1_24adjacent_difference_implIS3_Lb1ELb0EPlSB_ZN2at6native12_GLOBAL__N_124unique_dim_cuda_templateIfEESt5tupleIJNSC_6TensorESH_SH_EERKSH_lbbbEUlllE1_EE10hipError_tPvRmT2_T3_mT4_P12ihipStream_tbEUlmE_lEESB_NS0_8identityIvEEEESM_SP_SQ_mSR_ST_bEUlT_E_NS1_11comp_targetILNS1_3genE10ELNS1_11target_archE1200ELNS1_3gpuE4ELNS1_3repE0EEENS1_30default_config_static_selectorELNS0_4arch9wavefront6targetE1EEEvT1_.num_vgpr, 0
	.set _ZN7rocprim17ROCPRIM_400000_NS6detail17trampoline_kernelINS0_14default_configENS1_25transform_config_selectorIlLb0EEEZNS1_14transform_implILb0ES3_S5_NS0_18transform_iteratorINS0_17counting_iteratorImlEEZNS1_24adjacent_difference_implIS3_Lb1ELb0EPlSB_ZN2at6native12_GLOBAL__N_124unique_dim_cuda_templateIfEESt5tupleIJNSC_6TensorESH_SH_EERKSH_lbbbEUlllE1_EE10hipError_tPvRmT2_T3_mT4_P12ihipStream_tbEUlmE_lEESB_NS0_8identityIvEEEESM_SP_SQ_mSR_ST_bEUlT_E_NS1_11comp_targetILNS1_3genE10ELNS1_11target_archE1200ELNS1_3gpuE4ELNS1_3repE0EEENS1_30default_config_static_selectorELNS0_4arch9wavefront6targetE1EEEvT1_.num_agpr, 0
	.set _ZN7rocprim17ROCPRIM_400000_NS6detail17trampoline_kernelINS0_14default_configENS1_25transform_config_selectorIlLb0EEEZNS1_14transform_implILb0ES3_S5_NS0_18transform_iteratorINS0_17counting_iteratorImlEEZNS1_24adjacent_difference_implIS3_Lb1ELb0EPlSB_ZN2at6native12_GLOBAL__N_124unique_dim_cuda_templateIfEESt5tupleIJNSC_6TensorESH_SH_EERKSH_lbbbEUlllE1_EE10hipError_tPvRmT2_T3_mT4_P12ihipStream_tbEUlmE_lEESB_NS0_8identityIvEEEESM_SP_SQ_mSR_ST_bEUlT_E_NS1_11comp_targetILNS1_3genE10ELNS1_11target_archE1200ELNS1_3gpuE4ELNS1_3repE0EEENS1_30default_config_static_selectorELNS0_4arch9wavefront6targetE1EEEvT1_.numbered_sgpr, 0
	.set _ZN7rocprim17ROCPRIM_400000_NS6detail17trampoline_kernelINS0_14default_configENS1_25transform_config_selectorIlLb0EEEZNS1_14transform_implILb0ES3_S5_NS0_18transform_iteratorINS0_17counting_iteratorImlEEZNS1_24adjacent_difference_implIS3_Lb1ELb0EPlSB_ZN2at6native12_GLOBAL__N_124unique_dim_cuda_templateIfEESt5tupleIJNSC_6TensorESH_SH_EERKSH_lbbbEUlllE1_EE10hipError_tPvRmT2_T3_mT4_P12ihipStream_tbEUlmE_lEESB_NS0_8identityIvEEEESM_SP_SQ_mSR_ST_bEUlT_E_NS1_11comp_targetILNS1_3genE10ELNS1_11target_archE1200ELNS1_3gpuE4ELNS1_3repE0EEENS1_30default_config_static_selectorELNS0_4arch9wavefront6targetE1EEEvT1_.num_named_barrier, 0
	.set _ZN7rocprim17ROCPRIM_400000_NS6detail17trampoline_kernelINS0_14default_configENS1_25transform_config_selectorIlLb0EEEZNS1_14transform_implILb0ES3_S5_NS0_18transform_iteratorINS0_17counting_iteratorImlEEZNS1_24adjacent_difference_implIS3_Lb1ELb0EPlSB_ZN2at6native12_GLOBAL__N_124unique_dim_cuda_templateIfEESt5tupleIJNSC_6TensorESH_SH_EERKSH_lbbbEUlllE1_EE10hipError_tPvRmT2_T3_mT4_P12ihipStream_tbEUlmE_lEESB_NS0_8identityIvEEEESM_SP_SQ_mSR_ST_bEUlT_E_NS1_11comp_targetILNS1_3genE10ELNS1_11target_archE1200ELNS1_3gpuE4ELNS1_3repE0EEENS1_30default_config_static_selectorELNS0_4arch9wavefront6targetE1EEEvT1_.private_seg_size, 0
	.set _ZN7rocprim17ROCPRIM_400000_NS6detail17trampoline_kernelINS0_14default_configENS1_25transform_config_selectorIlLb0EEEZNS1_14transform_implILb0ES3_S5_NS0_18transform_iteratorINS0_17counting_iteratorImlEEZNS1_24adjacent_difference_implIS3_Lb1ELb0EPlSB_ZN2at6native12_GLOBAL__N_124unique_dim_cuda_templateIfEESt5tupleIJNSC_6TensorESH_SH_EERKSH_lbbbEUlllE1_EE10hipError_tPvRmT2_T3_mT4_P12ihipStream_tbEUlmE_lEESB_NS0_8identityIvEEEESM_SP_SQ_mSR_ST_bEUlT_E_NS1_11comp_targetILNS1_3genE10ELNS1_11target_archE1200ELNS1_3gpuE4ELNS1_3repE0EEENS1_30default_config_static_selectorELNS0_4arch9wavefront6targetE1EEEvT1_.uses_vcc, 0
	.set _ZN7rocprim17ROCPRIM_400000_NS6detail17trampoline_kernelINS0_14default_configENS1_25transform_config_selectorIlLb0EEEZNS1_14transform_implILb0ES3_S5_NS0_18transform_iteratorINS0_17counting_iteratorImlEEZNS1_24adjacent_difference_implIS3_Lb1ELb0EPlSB_ZN2at6native12_GLOBAL__N_124unique_dim_cuda_templateIfEESt5tupleIJNSC_6TensorESH_SH_EERKSH_lbbbEUlllE1_EE10hipError_tPvRmT2_T3_mT4_P12ihipStream_tbEUlmE_lEESB_NS0_8identityIvEEEESM_SP_SQ_mSR_ST_bEUlT_E_NS1_11comp_targetILNS1_3genE10ELNS1_11target_archE1200ELNS1_3gpuE4ELNS1_3repE0EEENS1_30default_config_static_selectorELNS0_4arch9wavefront6targetE1EEEvT1_.uses_flat_scratch, 0
	.set _ZN7rocprim17ROCPRIM_400000_NS6detail17trampoline_kernelINS0_14default_configENS1_25transform_config_selectorIlLb0EEEZNS1_14transform_implILb0ES3_S5_NS0_18transform_iteratorINS0_17counting_iteratorImlEEZNS1_24adjacent_difference_implIS3_Lb1ELb0EPlSB_ZN2at6native12_GLOBAL__N_124unique_dim_cuda_templateIfEESt5tupleIJNSC_6TensorESH_SH_EERKSH_lbbbEUlllE1_EE10hipError_tPvRmT2_T3_mT4_P12ihipStream_tbEUlmE_lEESB_NS0_8identityIvEEEESM_SP_SQ_mSR_ST_bEUlT_E_NS1_11comp_targetILNS1_3genE10ELNS1_11target_archE1200ELNS1_3gpuE4ELNS1_3repE0EEENS1_30default_config_static_selectorELNS0_4arch9wavefront6targetE1EEEvT1_.has_dyn_sized_stack, 0
	.set _ZN7rocprim17ROCPRIM_400000_NS6detail17trampoline_kernelINS0_14default_configENS1_25transform_config_selectorIlLb0EEEZNS1_14transform_implILb0ES3_S5_NS0_18transform_iteratorINS0_17counting_iteratorImlEEZNS1_24adjacent_difference_implIS3_Lb1ELb0EPlSB_ZN2at6native12_GLOBAL__N_124unique_dim_cuda_templateIfEESt5tupleIJNSC_6TensorESH_SH_EERKSH_lbbbEUlllE1_EE10hipError_tPvRmT2_T3_mT4_P12ihipStream_tbEUlmE_lEESB_NS0_8identityIvEEEESM_SP_SQ_mSR_ST_bEUlT_E_NS1_11comp_targetILNS1_3genE10ELNS1_11target_archE1200ELNS1_3gpuE4ELNS1_3repE0EEENS1_30default_config_static_selectorELNS0_4arch9wavefront6targetE1EEEvT1_.has_recursion, 0
	.set _ZN7rocprim17ROCPRIM_400000_NS6detail17trampoline_kernelINS0_14default_configENS1_25transform_config_selectorIlLb0EEEZNS1_14transform_implILb0ES3_S5_NS0_18transform_iteratorINS0_17counting_iteratorImlEEZNS1_24adjacent_difference_implIS3_Lb1ELb0EPlSB_ZN2at6native12_GLOBAL__N_124unique_dim_cuda_templateIfEESt5tupleIJNSC_6TensorESH_SH_EERKSH_lbbbEUlllE1_EE10hipError_tPvRmT2_T3_mT4_P12ihipStream_tbEUlmE_lEESB_NS0_8identityIvEEEESM_SP_SQ_mSR_ST_bEUlT_E_NS1_11comp_targetILNS1_3genE10ELNS1_11target_archE1200ELNS1_3gpuE4ELNS1_3repE0EEENS1_30default_config_static_selectorELNS0_4arch9wavefront6targetE1EEEvT1_.has_indirect_call, 0
	.section	.AMDGPU.csdata,"",@progbits
; Kernel info:
; codeLenInByte = 0
; TotalNumSgprs: 6
; NumVgprs: 0
; NumAgprs: 0
; TotalNumVgprs: 0
; ScratchSize: 0
; MemoryBound: 0
; FloatMode: 240
; IeeeMode: 1
; LDSByteSize: 0 bytes/workgroup (compile time only)
; SGPRBlocks: 0
; VGPRBlocks: 0
; NumSGPRsForWavesPerEU: 6
; NumVGPRsForWavesPerEU: 1
; AccumOffset: 4
; Occupancy: 8
; WaveLimiterHint : 0
; COMPUTE_PGM_RSRC2:SCRATCH_EN: 0
; COMPUTE_PGM_RSRC2:USER_SGPR: 2
; COMPUTE_PGM_RSRC2:TRAP_HANDLER: 0
; COMPUTE_PGM_RSRC2:TGID_X_EN: 1
; COMPUTE_PGM_RSRC2:TGID_Y_EN: 0
; COMPUTE_PGM_RSRC2:TGID_Z_EN: 0
; COMPUTE_PGM_RSRC2:TIDIG_COMP_CNT: 0
; COMPUTE_PGM_RSRC3_GFX90A:ACCUM_OFFSET: 0
; COMPUTE_PGM_RSRC3_GFX90A:TG_SPLIT: 0
	.section	.text._ZN7rocprim17ROCPRIM_400000_NS6detail17trampoline_kernelINS0_14default_configENS1_25transform_config_selectorIlLb0EEEZNS1_14transform_implILb0ES3_S5_NS0_18transform_iteratorINS0_17counting_iteratorImlEEZNS1_24adjacent_difference_implIS3_Lb1ELb0EPlSB_ZN2at6native12_GLOBAL__N_124unique_dim_cuda_templateIfEESt5tupleIJNSC_6TensorESH_SH_EERKSH_lbbbEUlllE1_EE10hipError_tPvRmT2_T3_mT4_P12ihipStream_tbEUlmE_lEESB_NS0_8identityIvEEEESM_SP_SQ_mSR_ST_bEUlT_E_NS1_11comp_targetILNS1_3genE9ELNS1_11target_archE1100ELNS1_3gpuE3ELNS1_3repE0EEENS1_30default_config_static_selectorELNS0_4arch9wavefront6targetE1EEEvT1_,"axG",@progbits,_ZN7rocprim17ROCPRIM_400000_NS6detail17trampoline_kernelINS0_14default_configENS1_25transform_config_selectorIlLb0EEEZNS1_14transform_implILb0ES3_S5_NS0_18transform_iteratorINS0_17counting_iteratorImlEEZNS1_24adjacent_difference_implIS3_Lb1ELb0EPlSB_ZN2at6native12_GLOBAL__N_124unique_dim_cuda_templateIfEESt5tupleIJNSC_6TensorESH_SH_EERKSH_lbbbEUlllE1_EE10hipError_tPvRmT2_T3_mT4_P12ihipStream_tbEUlmE_lEESB_NS0_8identityIvEEEESM_SP_SQ_mSR_ST_bEUlT_E_NS1_11comp_targetILNS1_3genE9ELNS1_11target_archE1100ELNS1_3gpuE3ELNS1_3repE0EEENS1_30default_config_static_selectorELNS0_4arch9wavefront6targetE1EEEvT1_,comdat
	.globl	_ZN7rocprim17ROCPRIM_400000_NS6detail17trampoline_kernelINS0_14default_configENS1_25transform_config_selectorIlLb0EEEZNS1_14transform_implILb0ES3_S5_NS0_18transform_iteratorINS0_17counting_iteratorImlEEZNS1_24adjacent_difference_implIS3_Lb1ELb0EPlSB_ZN2at6native12_GLOBAL__N_124unique_dim_cuda_templateIfEESt5tupleIJNSC_6TensorESH_SH_EERKSH_lbbbEUlllE1_EE10hipError_tPvRmT2_T3_mT4_P12ihipStream_tbEUlmE_lEESB_NS0_8identityIvEEEESM_SP_SQ_mSR_ST_bEUlT_E_NS1_11comp_targetILNS1_3genE9ELNS1_11target_archE1100ELNS1_3gpuE3ELNS1_3repE0EEENS1_30default_config_static_selectorELNS0_4arch9wavefront6targetE1EEEvT1_ ; -- Begin function _ZN7rocprim17ROCPRIM_400000_NS6detail17trampoline_kernelINS0_14default_configENS1_25transform_config_selectorIlLb0EEEZNS1_14transform_implILb0ES3_S5_NS0_18transform_iteratorINS0_17counting_iteratorImlEEZNS1_24adjacent_difference_implIS3_Lb1ELb0EPlSB_ZN2at6native12_GLOBAL__N_124unique_dim_cuda_templateIfEESt5tupleIJNSC_6TensorESH_SH_EERKSH_lbbbEUlllE1_EE10hipError_tPvRmT2_T3_mT4_P12ihipStream_tbEUlmE_lEESB_NS0_8identityIvEEEESM_SP_SQ_mSR_ST_bEUlT_E_NS1_11comp_targetILNS1_3genE9ELNS1_11target_archE1100ELNS1_3gpuE3ELNS1_3repE0EEENS1_30default_config_static_selectorELNS0_4arch9wavefront6targetE1EEEvT1_
	.p2align	8
	.type	_ZN7rocprim17ROCPRIM_400000_NS6detail17trampoline_kernelINS0_14default_configENS1_25transform_config_selectorIlLb0EEEZNS1_14transform_implILb0ES3_S5_NS0_18transform_iteratorINS0_17counting_iteratorImlEEZNS1_24adjacent_difference_implIS3_Lb1ELb0EPlSB_ZN2at6native12_GLOBAL__N_124unique_dim_cuda_templateIfEESt5tupleIJNSC_6TensorESH_SH_EERKSH_lbbbEUlllE1_EE10hipError_tPvRmT2_T3_mT4_P12ihipStream_tbEUlmE_lEESB_NS0_8identityIvEEEESM_SP_SQ_mSR_ST_bEUlT_E_NS1_11comp_targetILNS1_3genE9ELNS1_11target_archE1100ELNS1_3gpuE3ELNS1_3repE0EEENS1_30default_config_static_selectorELNS0_4arch9wavefront6targetE1EEEvT1_,@function
_ZN7rocprim17ROCPRIM_400000_NS6detail17trampoline_kernelINS0_14default_configENS1_25transform_config_selectorIlLb0EEEZNS1_14transform_implILb0ES3_S5_NS0_18transform_iteratorINS0_17counting_iteratorImlEEZNS1_24adjacent_difference_implIS3_Lb1ELb0EPlSB_ZN2at6native12_GLOBAL__N_124unique_dim_cuda_templateIfEESt5tupleIJNSC_6TensorESH_SH_EERKSH_lbbbEUlllE1_EE10hipError_tPvRmT2_T3_mT4_P12ihipStream_tbEUlmE_lEESB_NS0_8identityIvEEEESM_SP_SQ_mSR_ST_bEUlT_E_NS1_11comp_targetILNS1_3genE9ELNS1_11target_archE1100ELNS1_3gpuE3ELNS1_3repE0EEENS1_30default_config_static_selectorELNS0_4arch9wavefront6targetE1EEEvT1_: ; @_ZN7rocprim17ROCPRIM_400000_NS6detail17trampoline_kernelINS0_14default_configENS1_25transform_config_selectorIlLb0EEEZNS1_14transform_implILb0ES3_S5_NS0_18transform_iteratorINS0_17counting_iteratorImlEEZNS1_24adjacent_difference_implIS3_Lb1ELb0EPlSB_ZN2at6native12_GLOBAL__N_124unique_dim_cuda_templateIfEESt5tupleIJNSC_6TensorESH_SH_EERKSH_lbbbEUlllE1_EE10hipError_tPvRmT2_T3_mT4_P12ihipStream_tbEUlmE_lEESB_NS0_8identityIvEEEESM_SP_SQ_mSR_ST_bEUlT_E_NS1_11comp_targetILNS1_3genE9ELNS1_11target_archE1100ELNS1_3gpuE3ELNS1_3repE0EEENS1_30default_config_static_selectorELNS0_4arch9wavefront6targetE1EEEvT1_
; %bb.0:
	.section	.rodata,"a",@progbits
	.p2align	6, 0x0
	.amdhsa_kernel _ZN7rocprim17ROCPRIM_400000_NS6detail17trampoline_kernelINS0_14default_configENS1_25transform_config_selectorIlLb0EEEZNS1_14transform_implILb0ES3_S5_NS0_18transform_iteratorINS0_17counting_iteratorImlEEZNS1_24adjacent_difference_implIS3_Lb1ELb0EPlSB_ZN2at6native12_GLOBAL__N_124unique_dim_cuda_templateIfEESt5tupleIJNSC_6TensorESH_SH_EERKSH_lbbbEUlllE1_EE10hipError_tPvRmT2_T3_mT4_P12ihipStream_tbEUlmE_lEESB_NS0_8identityIvEEEESM_SP_SQ_mSR_ST_bEUlT_E_NS1_11comp_targetILNS1_3genE9ELNS1_11target_archE1100ELNS1_3gpuE3ELNS1_3repE0EEENS1_30default_config_static_selectorELNS0_4arch9wavefront6targetE1EEEvT1_
		.amdhsa_group_segment_fixed_size 0
		.amdhsa_private_segment_fixed_size 0
		.amdhsa_kernarg_size 56
		.amdhsa_user_sgpr_count 2
		.amdhsa_user_sgpr_dispatch_ptr 0
		.amdhsa_user_sgpr_queue_ptr 0
		.amdhsa_user_sgpr_kernarg_segment_ptr 1
		.amdhsa_user_sgpr_dispatch_id 0
		.amdhsa_user_sgpr_kernarg_preload_length 0
		.amdhsa_user_sgpr_kernarg_preload_offset 0
		.amdhsa_user_sgpr_private_segment_size 0
		.amdhsa_uses_dynamic_stack 0
		.amdhsa_enable_private_segment 0
		.amdhsa_system_sgpr_workgroup_id_x 1
		.amdhsa_system_sgpr_workgroup_id_y 0
		.amdhsa_system_sgpr_workgroup_id_z 0
		.amdhsa_system_sgpr_workgroup_info 0
		.amdhsa_system_vgpr_workitem_id 0
		.amdhsa_next_free_vgpr 1
		.amdhsa_next_free_sgpr 0
		.amdhsa_accum_offset 4
		.amdhsa_reserve_vcc 0
		.amdhsa_float_round_mode_32 0
		.amdhsa_float_round_mode_16_64 0
		.amdhsa_float_denorm_mode_32 3
		.amdhsa_float_denorm_mode_16_64 3
		.amdhsa_dx10_clamp 1
		.amdhsa_ieee_mode 1
		.amdhsa_fp16_overflow 0
		.amdhsa_tg_split 0
		.amdhsa_exception_fp_ieee_invalid_op 0
		.amdhsa_exception_fp_denorm_src 0
		.amdhsa_exception_fp_ieee_div_zero 0
		.amdhsa_exception_fp_ieee_overflow 0
		.amdhsa_exception_fp_ieee_underflow 0
		.amdhsa_exception_fp_ieee_inexact 0
		.amdhsa_exception_int_div_zero 0
	.end_amdhsa_kernel
	.section	.text._ZN7rocprim17ROCPRIM_400000_NS6detail17trampoline_kernelINS0_14default_configENS1_25transform_config_selectorIlLb0EEEZNS1_14transform_implILb0ES3_S5_NS0_18transform_iteratorINS0_17counting_iteratorImlEEZNS1_24adjacent_difference_implIS3_Lb1ELb0EPlSB_ZN2at6native12_GLOBAL__N_124unique_dim_cuda_templateIfEESt5tupleIJNSC_6TensorESH_SH_EERKSH_lbbbEUlllE1_EE10hipError_tPvRmT2_T3_mT4_P12ihipStream_tbEUlmE_lEESB_NS0_8identityIvEEEESM_SP_SQ_mSR_ST_bEUlT_E_NS1_11comp_targetILNS1_3genE9ELNS1_11target_archE1100ELNS1_3gpuE3ELNS1_3repE0EEENS1_30default_config_static_selectorELNS0_4arch9wavefront6targetE1EEEvT1_,"axG",@progbits,_ZN7rocprim17ROCPRIM_400000_NS6detail17trampoline_kernelINS0_14default_configENS1_25transform_config_selectorIlLb0EEEZNS1_14transform_implILb0ES3_S5_NS0_18transform_iteratorINS0_17counting_iteratorImlEEZNS1_24adjacent_difference_implIS3_Lb1ELb0EPlSB_ZN2at6native12_GLOBAL__N_124unique_dim_cuda_templateIfEESt5tupleIJNSC_6TensorESH_SH_EERKSH_lbbbEUlllE1_EE10hipError_tPvRmT2_T3_mT4_P12ihipStream_tbEUlmE_lEESB_NS0_8identityIvEEEESM_SP_SQ_mSR_ST_bEUlT_E_NS1_11comp_targetILNS1_3genE9ELNS1_11target_archE1100ELNS1_3gpuE3ELNS1_3repE0EEENS1_30default_config_static_selectorELNS0_4arch9wavefront6targetE1EEEvT1_,comdat
.Lfunc_end919:
	.size	_ZN7rocprim17ROCPRIM_400000_NS6detail17trampoline_kernelINS0_14default_configENS1_25transform_config_selectorIlLb0EEEZNS1_14transform_implILb0ES3_S5_NS0_18transform_iteratorINS0_17counting_iteratorImlEEZNS1_24adjacent_difference_implIS3_Lb1ELb0EPlSB_ZN2at6native12_GLOBAL__N_124unique_dim_cuda_templateIfEESt5tupleIJNSC_6TensorESH_SH_EERKSH_lbbbEUlllE1_EE10hipError_tPvRmT2_T3_mT4_P12ihipStream_tbEUlmE_lEESB_NS0_8identityIvEEEESM_SP_SQ_mSR_ST_bEUlT_E_NS1_11comp_targetILNS1_3genE9ELNS1_11target_archE1100ELNS1_3gpuE3ELNS1_3repE0EEENS1_30default_config_static_selectorELNS0_4arch9wavefront6targetE1EEEvT1_, .Lfunc_end919-_ZN7rocprim17ROCPRIM_400000_NS6detail17trampoline_kernelINS0_14default_configENS1_25transform_config_selectorIlLb0EEEZNS1_14transform_implILb0ES3_S5_NS0_18transform_iteratorINS0_17counting_iteratorImlEEZNS1_24adjacent_difference_implIS3_Lb1ELb0EPlSB_ZN2at6native12_GLOBAL__N_124unique_dim_cuda_templateIfEESt5tupleIJNSC_6TensorESH_SH_EERKSH_lbbbEUlllE1_EE10hipError_tPvRmT2_T3_mT4_P12ihipStream_tbEUlmE_lEESB_NS0_8identityIvEEEESM_SP_SQ_mSR_ST_bEUlT_E_NS1_11comp_targetILNS1_3genE9ELNS1_11target_archE1100ELNS1_3gpuE3ELNS1_3repE0EEENS1_30default_config_static_selectorELNS0_4arch9wavefront6targetE1EEEvT1_
                                        ; -- End function
	.set _ZN7rocprim17ROCPRIM_400000_NS6detail17trampoline_kernelINS0_14default_configENS1_25transform_config_selectorIlLb0EEEZNS1_14transform_implILb0ES3_S5_NS0_18transform_iteratorINS0_17counting_iteratorImlEEZNS1_24adjacent_difference_implIS3_Lb1ELb0EPlSB_ZN2at6native12_GLOBAL__N_124unique_dim_cuda_templateIfEESt5tupleIJNSC_6TensorESH_SH_EERKSH_lbbbEUlllE1_EE10hipError_tPvRmT2_T3_mT4_P12ihipStream_tbEUlmE_lEESB_NS0_8identityIvEEEESM_SP_SQ_mSR_ST_bEUlT_E_NS1_11comp_targetILNS1_3genE9ELNS1_11target_archE1100ELNS1_3gpuE3ELNS1_3repE0EEENS1_30default_config_static_selectorELNS0_4arch9wavefront6targetE1EEEvT1_.num_vgpr, 0
	.set _ZN7rocprim17ROCPRIM_400000_NS6detail17trampoline_kernelINS0_14default_configENS1_25transform_config_selectorIlLb0EEEZNS1_14transform_implILb0ES3_S5_NS0_18transform_iteratorINS0_17counting_iteratorImlEEZNS1_24adjacent_difference_implIS3_Lb1ELb0EPlSB_ZN2at6native12_GLOBAL__N_124unique_dim_cuda_templateIfEESt5tupleIJNSC_6TensorESH_SH_EERKSH_lbbbEUlllE1_EE10hipError_tPvRmT2_T3_mT4_P12ihipStream_tbEUlmE_lEESB_NS0_8identityIvEEEESM_SP_SQ_mSR_ST_bEUlT_E_NS1_11comp_targetILNS1_3genE9ELNS1_11target_archE1100ELNS1_3gpuE3ELNS1_3repE0EEENS1_30default_config_static_selectorELNS0_4arch9wavefront6targetE1EEEvT1_.num_agpr, 0
	.set _ZN7rocprim17ROCPRIM_400000_NS6detail17trampoline_kernelINS0_14default_configENS1_25transform_config_selectorIlLb0EEEZNS1_14transform_implILb0ES3_S5_NS0_18transform_iteratorINS0_17counting_iteratorImlEEZNS1_24adjacent_difference_implIS3_Lb1ELb0EPlSB_ZN2at6native12_GLOBAL__N_124unique_dim_cuda_templateIfEESt5tupleIJNSC_6TensorESH_SH_EERKSH_lbbbEUlllE1_EE10hipError_tPvRmT2_T3_mT4_P12ihipStream_tbEUlmE_lEESB_NS0_8identityIvEEEESM_SP_SQ_mSR_ST_bEUlT_E_NS1_11comp_targetILNS1_3genE9ELNS1_11target_archE1100ELNS1_3gpuE3ELNS1_3repE0EEENS1_30default_config_static_selectorELNS0_4arch9wavefront6targetE1EEEvT1_.numbered_sgpr, 0
	.set _ZN7rocprim17ROCPRIM_400000_NS6detail17trampoline_kernelINS0_14default_configENS1_25transform_config_selectorIlLb0EEEZNS1_14transform_implILb0ES3_S5_NS0_18transform_iteratorINS0_17counting_iteratorImlEEZNS1_24adjacent_difference_implIS3_Lb1ELb0EPlSB_ZN2at6native12_GLOBAL__N_124unique_dim_cuda_templateIfEESt5tupleIJNSC_6TensorESH_SH_EERKSH_lbbbEUlllE1_EE10hipError_tPvRmT2_T3_mT4_P12ihipStream_tbEUlmE_lEESB_NS0_8identityIvEEEESM_SP_SQ_mSR_ST_bEUlT_E_NS1_11comp_targetILNS1_3genE9ELNS1_11target_archE1100ELNS1_3gpuE3ELNS1_3repE0EEENS1_30default_config_static_selectorELNS0_4arch9wavefront6targetE1EEEvT1_.num_named_barrier, 0
	.set _ZN7rocprim17ROCPRIM_400000_NS6detail17trampoline_kernelINS0_14default_configENS1_25transform_config_selectorIlLb0EEEZNS1_14transform_implILb0ES3_S5_NS0_18transform_iteratorINS0_17counting_iteratorImlEEZNS1_24adjacent_difference_implIS3_Lb1ELb0EPlSB_ZN2at6native12_GLOBAL__N_124unique_dim_cuda_templateIfEESt5tupleIJNSC_6TensorESH_SH_EERKSH_lbbbEUlllE1_EE10hipError_tPvRmT2_T3_mT4_P12ihipStream_tbEUlmE_lEESB_NS0_8identityIvEEEESM_SP_SQ_mSR_ST_bEUlT_E_NS1_11comp_targetILNS1_3genE9ELNS1_11target_archE1100ELNS1_3gpuE3ELNS1_3repE0EEENS1_30default_config_static_selectorELNS0_4arch9wavefront6targetE1EEEvT1_.private_seg_size, 0
	.set _ZN7rocprim17ROCPRIM_400000_NS6detail17trampoline_kernelINS0_14default_configENS1_25transform_config_selectorIlLb0EEEZNS1_14transform_implILb0ES3_S5_NS0_18transform_iteratorINS0_17counting_iteratorImlEEZNS1_24adjacent_difference_implIS3_Lb1ELb0EPlSB_ZN2at6native12_GLOBAL__N_124unique_dim_cuda_templateIfEESt5tupleIJNSC_6TensorESH_SH_EERKSH_lbbbEUlllE1_EE10hipError_tPvRmT2_T3_mT4_P12ihipStream_tbEUlmE_lEESB_NS0_8identityIvEEEESM_SP_SQ_mSR_ST_bEUlT_E_NS1_11comp_targetILNS1_3genE9ELNS1_11target_archE1100ELNS1_3gpuE3ELNS1_3repE0EEENS1_30default_config_static_selectorELNS0_4arch9wavefront6targetE1EEEvT1_.uses_vcc, 0
	.set _ZN7rocprim17ROCPRIM_400000_NS6detail17trampoline_kernelINS0_14default_configENS1_25transform_config_selectorIlLb0EEEZNS1_14transform_implILb0ES3_S5_NS0_18transform_iteratorINS0_17counting_iteratorImlEEZNS1_24adjacent_difference_implIS3_Lb1ELb0EPlSB_ZN2at6native12_GLOBAL__N_124unique_dim_cuda_templateIfEESt5tupleIJNSC_6TensorESH_SH_EERKSH_lbbbEUlllE1_EE10hipError_tPvRmT2_T3_mT4_P12ihipStream_tbEUlmE_lEESB_NS0_8identityIvEEEESM_SP_SQ_mSR_ST_bEUlT_E_NS1_11comp_targetILNS1_3genE9ELNS1_11target_archE1100ELNS1_3gpuE3ELNS1_3repE0EEENS1_30default_config_static_selectorELNS0_4arch9wavefront6targetE1EEEvT1_.uses_flat_scratch, 0
	.set _ZN7rocprim17ROCPRIM_400000_NS6detail17trampoline_kernelINS0_14default_configENS1_25transform_config_selectorIlLb0EEEZNS1_14transform_implILb0ES3_S5_NS0_18transform_iteratorINS0_17counting_iteratorImlEEZNS1_24adjacent_difference_implIS3_Lb1ELb0EPlSB_ZN2at6native12_GLOBAL__N_124unique_dim_cuda_templateIfEESt5tupleIJNSC_6TensorESH_SH_EERKSH_lbbbEUlllE1_EE10hipError_tPvRmT2_T3_mT4_P12ihipStream_tbEUlmE_lEESB_NS0_8identityIvEEEESM_SP_SQ_mSR_ST_bEUlT_E_NS1_11comp_targetILNS1_3genE9ELNS1_11target_archE1100ELNS1_3gpuE3ELNS1_3repE0EEENS1_30default_config_static_selectorELNS0_4arch9wavefront6targetE1EEEvT1_.has_dyn_sized_stack, 0
	.set _ZN7rocprim17ROCPRIM_400000_NS6detail17trampoline_kernelINS0_14default_configENS1_25transform_config_selectorIlLb0EEEZNS1_14transform_implILb0ES3_S5_NS0_18transform_iteratorINS0_17counting_iteratorImlEEZNS1_24adjacent_difference_implIS3_Lb1ELb0EPlSB_ZN2at6native12_GLOBAL__N_124unique_dim_cuda_templateIfEESt5tupleIJNSC_6TensorESH_SH_EERKSH_lbbbEUlllE1_EE10hipError_tPvRmT2_T3_mT4_P12ihipStream_tbEUlmE_lEESB_NS0_8identityIvEEEESM_SP_SQ_mSR_ST_bEUlT_E_NS1_11comp_targetILNS1_3genE9ELNS1_11target_archE1100ELNS1_3gpuE3ELNS1_3repE0EEENS1_30default_config_static_selectorELNS0_4arch9wavefront6targetE1EEEvT1_.has_recursion, 0
	.set _ZN7rocprim17ROCPRIM_400000_NS6detail17trampoline_kernelINS0_14default_configENS1_25transform_config_selectorIlLb0EEEZNS1_14transform_implILb0ES3_S5_NS0_18transform_iteratorINS0_17counting_iteratorImlEEZNS1_24adjacent_difference_implIS3_Lb1ELb0EPlSB_ZN2at6native12_GLOBAL__N_124unique_dim_cuda_templateIfEESt5tupleIJNSC_6TensorESH_SH_EERKSH_lbbbEUlllE1_EE10hipError_tPvRmT2_T3_mT4_P12ihipStream_tbEUlmE_lEESB_NS0_8identityIvEEEESM_SP_SQ_mSR_ST_bEUlT_E_NS1_11comp_targetILNS1_3genE9ELNS1_11target_archE1100ELNS1_3gpuE3ELNS1_3repE0EEENS1_30default_config_static_selectorELNS0_4arch9wavefront6targetE1EEEvT1_.has_indirect_call, 0
	.section	.AMDGPU.csdata,"",@progbits
; Kernel info:
; codeLenInByte = 0
; TotalNumSgprs: 6
; NumVgprs: 0
; NumAgprs: 0
; TotalNumVgprs: 0
; ScratchSize: 0
; MemoryBound: 0
; FloatMode: 240
; IeeeMode: 1
; LDSByteSize: 0 bytes/workgroup (compile time only)
; SGPRBlocks: 0
; VGPRBlocks: 0
; NumSGPRsForWavesPerEU: 6
; NumVGPRsForWavesPerEU: 1
; AccumOffset: 4
; Occupancy: 8
; WaveLimiterHint : 0
; COMPUTE_PGM_RSRC2:SCRATCH_EN: 0
; COMPUTE_PGM_RSRC2:USER_SGPR: 2
; COMPUTE_PGM_RSRC2:TRAP_HANDLER: 0
; COMPUTE_PGM_RSRC2:TGID_X_EN: 1
; COMPUTE_PGM_RSRC2:TGID_Y_EN: 0
; COMPUTE_PGM_RSRC2:TGID_Z_EN: 0
; COMPUTE_PGM_RSRC2:TIDIG_COMP_CNT: 0
; COMPUTE_PGM_RSRC3_GFX90A:ACCUM_OFFSET: 0
; COMPUTE_PGM_RSRC3_GFX90A:TG_SPLIT: 0
	.section	.text._ZN7rocprim17ROCPRIM_400000_NS6detail17trampoline_kernelINS0_14default_configENS1_25transform_config_selectorIlLb0EEEZNS1_14transform_implILb0ES3_S5_NS0_18transform_iteratorINS0_17counting_iteratorImlEEZNS1_24adjacent_difference_implIS3_Lb1ELb0EPlSB_ZN2at6native12_GLOBAL__N_124unique_dim_cuda_templateIfEESt5tupleIJNSC_6TensorESH_SH_EERKSH_lbbbEUlllE1_EE10hipError_tPvRmT2_T3_mT4_P12ihipStream_tbEUlmE_lEESB_NS0_8identityIvEEEESM_SP_SQ_mSR_ST_bEUlT_E_NS1_11comp_targetILNS1_3genE8ELNS1_11target_archE1030ELNS1_3gpuE2ELNS1_3repE0EEENS1_30default_config_static_selectorELNS0_4arch9wavefront6targetE1EEEvT1_,"axG",@progbits,_ZN7rocprim17ROCPRIM_400000_NS6detail17trampoline_kernelINS0_14default_configENS1_25transform_config_selectorIlLb0EEEZNS1_14transform_implILb0ES3_S5_NS0_18transform_iteratorINS0_17counting_iteratorImlEEZNS1_24adjacent_difference_implIS3_Lb1ELb0EPlSB_ZN2at6native12_GLOBAL__N_124unique_dim_cuda_templateIfEESt5tupleIJNSC_6TensorESH_SH_EERKSH_lbbbEUlllE1_EE10hipError_tPvRmT2_T3_mT4_P12ihipStream_tbEUlmE_lEESB_NS0_8identityIvEEEESM_SP_SQ_mSR_ST_bEUlT_E_NS1_11comp_targetILNS1_3genE8ELNS1_11target_archE1030ELNS1_3gpuE2ELNS1_3repE0EEENS1_30default_config_static_selectorELNS0_4arch9wavefront6targetE1EEEvT1_,comdat
	.globl	_ZN7rocprim17ROCPRIM_400000_NS6detail17trampoline_kernelINS0_14default_configENS1_25transform_config_selectorIlLb0EEEZNS1_14transform_implILb0ES3_S5_NS0_18transform_iteratorINS0_17counting_iteratorImlEEZNS1_24adjacent_difference_implIS3_Lb1ELb0EPlSB_ZN2at6native12_GLOBAL__N_124unique_dim_cuda_templateIfEESt5tupleIJNSC_6TensorESH_SH_EERKSH_lbbbEUlllE1_EE10hipError_tPvRmT2_T3_mT4_P12ihipStream_tbEUlmE_lEESB_NS0_8identityIvEEEESM_SP_SQ_mSR_ST_bEUlT_E_NS1_11comp_targetILNS1_3genE8ELNS1_11target_archE1030ELNS1_3gpuE2ELNS1_3repE0EEENS1_30default_config_static_selectorELNS0_4arch9wavefront6targetE1EEEvT1_ ; -- Begin function _ZN7rocprim17ROCPRIM_400000_NS6detail17trampoline_kernelINS0_14default_configENS1_25transform_config_selectorIlLb0EEEZNS1_14transform_implILb0ES3_S5_NS0_18transform_iteratorINS0_17counting_iteratorImlEEZNS1_24adjacent_difference_implIS3_Lb1ELb0EPlSB_ZN2at6native12_GLOBAL__N_124unique_dim_cuda_templateIfEESt5tupleIJNSC_6TensorESH_SH_EERKSH_lbbbEUlllE1_EE10hipError_tPvRmT2_T3_mT4_P12ihipStream_tbEUlmE_lEESB_NS0_8identityIvEEEESM_SP_SQ_mSR_ST_bEUlT_E_NS1_11comp_targetILNS1_3genE8ELNS1_11target_archE1030ELNS1_3gpuE2ELNS1_3repE0EEENS1_30default_config_static_selectorELNS0_4arch9wavefront6targetE1EEEvT1_
	.p2align	8
	.type	_ZN7rocprim17ROCPRIM_400000_NS6detail17trampoline_kernelINS0_14default_configENS1_25transform_config_selectorIlLb0EEEZNS1_14transform_implILb0ES3_S5_NS0_18transform_iteratorINS0_17counting_iteratorImlEEZNS1_24adjacent_difference_implIS3_Lb1ELb0EPlSB_ZN2at6native12_GLOBAL__N_124unique_dim_cuda_templateIfEESt5tupleIJNSC_6TensorESH_SH_EERKSH_lbbbEUlllE1_EE10hipError_tPvRmT2_T3_mT4_P12ihipStream_tbEUlmE_lEESB_NS0_8identityIvEEEESM_SP_SQ_mSR_ST_bEUlT_E_NS1_11comp_targetILNS1_3genE8ELNS1_11target_archE1030ELNS1_3gpuE2ELNS1_3repE0EEENS1_30default_config_static_selectorELNS0_4arch9wavefront6targetE1EEEvT1_,@function
_ZN7rocprim17ROCPRIM_400000_NS6detail17trampoline_kernelINS0_14default_configENS1_25transform_config_selectorIlLb0EEEZNS1_14transform_implILb0ES3_S5_NS0_18transform_iteratorINS0_17counting_iteratorImlEEZNS1_24adjacent_difference_implIS3_Lb1ELb0EPlSB_ZN2at6native12_GLOBAL__N_124unique_dim_cuda_templateIfEESt5tupleIJNSC_6TensorESH_SH_EERKSH_lbbbEUlllE1_EE10hipError_tPvRmT2_T3_mT4_P12ihipStream_tbEUlmE_lEESB_NS0_8identityIvEEEESM_SP_SQ_mSR_ST_bEUlT_E_NS1_11comp_targetILNS1_3genE8ELNS1_11target_archE1030ELNS1_3gpuE2ELNS1_3repE0EEENS1_30default_config_static_selectorELNS0_4arch9wavefront6targetE1EEEvT1_: ; @_ZN7rocprim17ROCPRIM_400000_NS6detail17trampoline_kernelINS0_14default_configENS1_25transform_config_selectorIlLb0EEEZNS1_14transform_implILb0ES3_S5_NS0_18transform_iteratorINS0_17counting_iteratorImlEEZNS1_24adjacent_difference_implIS3_Lb1ELb0EPlSB_ZN2at6native12_GLOBAL__N_124unique_dim_cuda_templateIfEESt5tupleIJNSC_6TensorESH_SH_EERKSH_lbbbEUlllE1_EE10hipError_tPvRmT2_T3_mT4_P12ihipStream_tbEUlmE_lEESB_NS0_8identityIvEEEESM_SP_SQ_mSR_ST_bEUlT_E_NS1_11comp_targetILNS1_3genE8ELNS1_11target_archE1030ELNS1_3gpuE2ELNS1_3repE0EEENS1_30default_config_static_selectorELNS0_4arch9wavefront6targetE1EEEvT1_
; %bb.0:
	.section	.rodata,"a",@progbits
	.p2align	6, 0x0
	.amdhsa_kernel _ZN7rocprim17ROCPRIM_400000_NS6detail17trampoline_kernelINS0_14default_configENS1_25transform_config_selectorIlLb0EEEZNS1_14transform_implILb0ES3_S5_NS0_18transform_iteratorINS0_17counting_iteratorImlEEZNS1_24adjacent_difference_implIS3_Lb1ELb0EPlSB_ZN2at6native12_GLOBAL__N_124unique_dim_cuda_templateIfEESt5tupleIJNSC_6TensorESH_SH_EERKSH_lbbbEUlllE1_EE10hipError_tPvRmT2_T3_mT4_P12ihipStream_tbEUlmE_lEESB_NS0_8identityIvEEEESM_SP_SQ_mSR_ST_bEUlT_E_NS1_11comp_targetILNS1_3genE8ELNS1_11target_archE1030ELNS1_3gpuE2ELNS1_3repE0EEENS1_30default_config_static_selectorELNS0_4arch9wavefront6targetE1EEEvT1_
		.amdhsa_group_segment_fixed_size 0
		.amdhsa_private_segment_fixed_size 0
		.amdhsa_kernarg_size 56
		.amdhsa_user_sgpr_count 2
		.amdhsa_user_sgpr_dispatch_ptr 0
		.amdhsa_user_sgpr_queue_ptr 0
		.amdhsa_user_sgpr_kernarg_segment_ptr 1
		.amdhsa_user_sgpr_dispatch_id 0
		.amdhsa_user_sgpr_kernarg_preload_length 0
		.amdhsa_user_sgpr_kernarg_preload_offset 0
		.amdhsa_user_sgpr_private_segment_size 0
		.amdhsa_uses_dynamic_stack 0
		.amdhsa_enable_private_segment 0
		.amdhsa_system_sgpr_workgroup_id_x 1
		.amdhsa_system_sgpr_workgroup_id_y 0
		.amdhsa_system_sgpr_workgroup_id_z 0
		.amdhsa_system_sgpr_workgroup_info 0
		.amdhsa_system_vgpr_workitem_id 0
		.amdhsa_next_free_vgpr 1
		.amdhsa_next_free_sgpr 0
		.amdhsa_accum_offset 4
		.amdhsa_reserve_vcc 0
		.amdhsa_float_round_mode_32 0
		.amdhsa_float_round_mode_16_64 0
		.amdhsa_float_denorm_mode_32 3
		.amdhsa_float_denorm_mode_16_64 3
		.amdhsa_dx10_clamp 1
		.amdhsa_ieee_mode 1
		.amdhsa_fp16_overflow 0
		.amdhsa_tg_split 0
		.amdhsa_exception_fp_ieee_invalid_op 0
		.amdhsa_exception_fp_denorm_src 0
		.amdhsa_exception_fp_ieee_div_zero 0
		.amdhsa_exception_fp_ieee_overflow 0
		.amdhsa_exception_fp_ieee_underflow 0
		.amdhsa_exception_fp_ieee_inexact 0
		.amdhsa_exception_int_div_zero 0
	.end_amdhsa_kernel
	.section	.text._ZN7rocprim17ROCPRIM_400000_NS6detail17trampoline_kernelINS0_14default_configENS1_25transform_config_selectorIlLb0EEEZNS1_14transform_implILb0ES3_S5_NS0_18transform_iteratorINS0_17counting_iteratorImlEEZNS1_24adjacent_difference_implIS3_Lb1ELb0EPlSB_ZN2at6native12_GLOBAL__N_124unique_dim_cuda_templateIfEESt5tupleIJNSC_6TensorESH_SH_EERKSH_lbbbEUlllE1_EE10hipError_tPvRmT2_T3_mT4_P12ihipStream_tbEUlmE_lEESB_NS0_8identityIvEEEESM_SP_SQ_mSR_ST_bEUlT_E_NS1_11comp_targetILNS1_3genE8ELNS1_11target_archE1030ELNS1_3gpuE2ELNS1_3repE0EEENS1_30default_config_static_selectorELNS0_4arch9wavefront6targetE1EEEvT1_,"axG",@progbits,_ZN7rocprim17ROCPRIM_400000_NS6detail17trampoline_kernelINS0_14default_configENS1_25transform_config_selectorIlLb0EEEZNS1_14transform_implILb0ES3_S5_NS0_18transform_iteratorINS0_17counting_iteratorImlEEZNS1_24adjacent_difference_implIS3_Lb1ELb0EPlSB_ZN2at6native12_GLOBAL__N_124unique_dim_cuda_templateIfEESt5tupleIJNSC_6TensorESH_SH_EERKSH_lbbbEUlllE1_EE10hipError_tPvRmT2_T3_mT4_P12ihipStream_tbEUlmE_lEESB_NS0_8identityIvEEEESM_SP_SQ_mSR_ST_bEUlT_E_NS1_11comp_targetILNS1_3genE8ELNS1_11target_archE1030ELNS1_3gpuE2ELNS1_3repE0EEENS1_30default_config_static_selectorELNS0_4arch9wavefront6targetE1EEEvT1_,comdat
.Lfunc_end920:
	.size	_ZN7rocprim17ROCPRIM_400000_NS6detail17trampoline_kernelINS0_14default_configENS1_25transform_config_selectorIlLb0EEEZNS1_14transform_implILb0ES3_S5_NS0_18transform_iteratorINS0_17counting_iteratorImlEEZNS1_24adjacent_difference_implIS3_Lb1ELb0EPlSB_ZN2at6native12_GLOBAL__N_124unique_dim_cuda_templateIfEESt5tupleIJNSC_6TensorESH_SH_EERKSH_lbbbEUlllE1_EE10hipError_tPvRmT2_T3_mT4_P12ihipStream_tbEUlmE_lEESB_NS0_8identityIvEEEESM_SP_SQ_mSR_ST_bEUlT_E_NS1_11comp_targetILNS1_3genE8ELNS1_11target_archE1030ELNS1_3gpuE2ELNS1_3repE0EEENS1_30default_config_static_selectorELNS0_4arch9wavefront6targetE1EEEvT1_, .Lfunc_end920-_ZN7rocprim17ROCPRIM_400000_NS6detail17trampoline_kernelINS0_14default_configENS1_25transform_config_selectorIlLb0EEEZNS1_14transform_implILb0ES3_S5_NS0_18transform_iteratorINS0_17counting_iteratorImlEEZNS1_24adjacent_difference_implIS3_Lb1ELb0EPlSB_ZN2at6native12_GLOBAL__N_124unique_dim_cuda_templateIfEESt5tupleIJNSC_6TensorESH_SH_EERKSH_lbbbEUlllE1_EE10hipError_tPvRmT2_T3_mT4_P12ihipStream_tbEUlmE_lEESB_NS0_8identityIvEEEESM_SP_SQ_mSR_ST_bEUlT_E_NS1_11comp_targetILNS1_3genE8ELNS1_11target_archE1030ELNS1_3gpuE2ELNS1_3repE0EEENS1_30default_config_static_selectorELNS0_4arch9wavefront6targetE1EEEvT1_
                                        ; -- End function
	.set _ZN7rocprim17ROCPRIM_400000_NS6detail17trampoline_kernelINS0_14default_configENS1_25transform_config_selectorIlLb0EEEZNS1_14transform_implILb0ES3_S5_NS0_18transform_iteratorINS0_17counting_iteratorImlEEZNS1_24adjacent_difference_implIS3_Lb1ELb0EPlSB_ZN2at6native12_GLOBAL__N_124unique_dim_cuda_templateIfEESt5tupleIJNSC_6TensorESH_SH_EERKSH_lbbbEUlllE1_EE10hipError_tPvRmT2_T3_mT4_P12ihipStream_tbEUlmE_lEESB_NS0_8identityIvEEEESM_SP_SQ_mSR_ST_bEUlT_E_NS1_11comp_targetILNS1_3genE8ELNS1_11target_archE1030ELNS1_3gpuE2ELNS1_3repE0EEENS1_30default_config_static_selectorELNS0_4arch9wavefront6targetE1EEEvT1_.num_vgpr, 0
	.set _ZN7rocprim17ROCPRIM_400000_NS6detail17trampoline_kernelINS0_14default_configENS1_25transform_config_selectorIlLb0EEEZNS1_14transform_implILb0ES3_S5_NS0_18transform_iteratorINS0_17counting_iteratorImlEEZNS1_24adjacent_difference_implIS3_Lb1ELb0EPlSB_ZN2at6native12_GLOBAL__N_124unique_dim_cuda_templateIfEESt5tupleIJNSC_6TensorESH_SH_EERKSH_lbbbEUlllE1_EE10hipError_tPvRmT2_T3_mT4_P12ihipStream_tbEUlmE_lEESB_NS0_8identityIvEEEESM_SP_SQ_mSR_ST_bEUlT_E_NS1_11comp_targetILNS1_3genE8ELNS1_11target_archE1030ELNS1_3gpuE2ELNS1_3repE0EEENS1_30default_config_static_selectorELNS0_4arch9wavefront6targetE1EEEvT1_.num_agpr, 0
	.set _ZN7rocprim17ROCPRIM_400000_NS6detail17trampoline_kernelINS0_14default_configENS1_25transform_config_selectorIlLb0EEEZNS1_14transform_implILb0ES3_S5_NS0_18transform_iteratorINS0_17counting_iteratorImlEEZNS1_24adjacent_difference_implIS3_Lb1ELb0EPlSB_ZN2at6native12_GLOBAL__N_124unique_dim_cuda_templateIfEESt5tupleIJNSC_6TensorESH_SH_EERKSH_lbbbEUlllE1_EE10hipError_tPvRmT2_T3_mT4_P12ihipStream_tbEUlmE_lEESB_NS0_8identityIvEEEESM_SP_SQ_mSR_ST_bEUlT_E_NS1_11comp_targetILNS1_3genE8ELNS1_11target_archE1030ELNS1_3gpuE2ELNS1_3repE0EEENS1_30default_config_static_selectorELNS0_4arch9wavefront6targetE1EEEvT1_.numbered_sgpr, 0
	.set _ZN7rocprim17ROCPRIM_400000_NS6detail17trampoline_kernelINS0_14default_configENS1_25transform_config_selectorIlLb0EEEZNS1_14transform_implILb0ES3_S5_NS0_18transform_iteratorINS0_17counting_iteratorImlEEZNS1_24adjacent_difference_implIS3_Lb1ELb0EPlSB_ZN2at6native12_GLOBAL__N_124unique_dim_cuda_templateIfEESt5tupleIJNSC_6TensorESH_SH_EERKSH_lbbbEUlllE1_EE10hipError_tPvRmT2_T3_mT4_P12ihipStream_tbEUlmE_lEESB_NS0_8identityIvEEEESM_SP_SQ_mSR_ST_bEUlT_E_NS1_11comp_targetILNS1_3genE8ELNS1_11target_archE1030ELNS1_3gpuE2ELNS1_3repE0EEENS1_30default_config_static_selectorELNS0_4arch9wavefront6targetE1EEEvT1_.num_named_barrier, 0
	.set _ZN7rocprim17ROCPRIM_400000_NS6detail17trampoline_kernelINS0_14default_configENS1_25transform_config_selectorIlLb0EEEZNS1_14transform_implILb0ES3_S5_NS0_18transform_iteratorINS0_17counting_iteratorImlEEZNS1_24adjacent_difference_implIS3_Lb1ELb0EPlSB_ZN2at6native12_GLOBAL__N_124unique_dim_cuda_templateIfEESt5tupleIJNSC_6TensorESH_SH_EERKSH_lbbbEUlllE1_EE10hipError_tPvRmT2_T3_mT4_P12ihipStream_tbEUlmE_lEESB_NS0_8identityIvEEEESM_SP_SQ_mSR_ST_bEUlT_E_NS1_11comp_targetILNS1_3genE8ELNS1_11target_archE1030ELNS1_3gpuE2ELNS1_3repE0EEENS1_30default_config_static_selectorELNS0_4arch9wavefront6targetE1EEEvT1_.private_seg_size, 0
	.set _ZN7rocprim17ROCPRIM_400000_NS6detail17trampoline_kernelINS0_14default_configENS1_25transform_config_selectorIlLb0EEEZNS1_14transform_implILb0ES3_S5_NS0_18transform_iteratorINS0_17counting_iteratorImlEEZNS1_24adjacent_difference_implIS3_Lb1ELb0EPlSB_ZN2at6native12_GLOBAL__N_124unique_dim_cuda_templateIfEESt5tupleIJNSC_6TensorESH_SH_EERKSH_lbbbEUlllE1_EE10hipError_tPvRmT2_T3_mT4_P12ihipStream_tbEUlmE_lEESB_NS0_8identityIvEEEESM_SP_SQ_mSR_ST_bEUlT_E_NS1_11comp_targetILNS1_3genE8ELNS1_11target_archE1030ELNS1_3gpuE2ELNS1_3repE0EEENS1_30default_config_static_selectorELNS0_4arch9wavefront6targetE1EEEvT1_.uses_vcc, 0
	.set _ZN7rocprim17ROCPRIM_400000_NS6detail17trampoline_kernelINS0_14default_configENS1_25transform_config_selectorIlLb0EEEZNS1_14transform_implILb0ES3_S5_NS0_18transform_iteratorINS0_17counting_iteratorImlEEZNS1_24adjacent_difference_implIS3_Lb1ELb0EPlSB_ZN2at6native12_GLOBAL__N_124unique_dim_cuda_templateIfEESt5tupleIJNSC_6TensorESH_SH_EERKSH_lbbbEUlllE1_EE10hipError_tPvRmT2_T3_mT4_P12ihipStream_tbEUlmE_lEESB_NS0_8identityIvEEEESM_SP_SQ_mSR_ST_bEUlT_E_NS1_11comp_targetILNS1_3genE8ELNS1_11target_archE1030ELNS1_3gpuE2ELNS1_3repE0EEENS1_30default_config_static_selectorELNS0_4arch9wavefront6targetE1EEEvT1_.uses_flat_scratch, 0
	.set _ZN7rocprim17ROCPRIM_400000_NS6detail17trampoline_kernelINS0_14default_configENS1_25transform_config_selectorIlLb0EEEZNS1_14transform_implILb0ES3_S5_NS0_18transform_iteratorINS0_17counting_iteratorImlEEZNS1_24adjacent_difference_implIS3_Lb1ELb0EPlSB_ZN2at6native12_GLOBAL__N_124unique_dim_cuda_templateIfEESt5tupleIJNSC_6TensorESH_SH_EERKSH_lbbbEUlllE1_EE10hipError_tPvRmT2_T3_mT4_P12ihipStream_tbEUlmE_lEESB_NS0_8identityIvEEEESM_SP_SQ_mSR_ST_bEUlT_E_NS1_11comp_targetILNS1_3genE8ELNS1_11target_archE1030ELNS1_3gpuE2ELNS1_3repE0EEENS1_30default_config_static_selectorELNS0_4arch9wavefront6targetE1EEEvT1_.has_dyn_sized_stack, 0
	.set _ZN7rocprim17ROCPRIM_400000_NS6detail17trampoline_kernelINS0_14default_configENS1_25transform_config_selectorIlLb0EEEZNS1_14transform_implILb0ES3_S5_NS0_18transform_iteratorINS0_17counting_iteratorImlEEZNS1_24adjacent_difference_implIS3_Lb1ELb0EPlSB_ZN2at6native12_GLOBAL__N_124unique_dim_cuda_templateIfEESt5tupleIJNSC_6TensorESH_SH_EERKSH_lbbbEUlllE1_EE10hipError_tPvRmT2_T3_mT4_P12ihipStream_tbEUlmE_lEESB_NS0_8identityIvEEEESM_SP_SQ_mSR_ST_bEUlT_E_NS1_11comp_targetILNS1_3genE8ELNS1_11target_archE1030ELNS1_3gpuE2ELNS1_3repE0EEENS1_30default_config_static_selectorELNS0_4arch9wavefront6targetE1EEEvT1_.has_recursion, 0
	.set _ZN7rocprim17ROCPRIM_400000_NS6detail17trampoline_kernelINS0_14default_configENS1_25transform_config_selectorIlLb0EEEZNS1_14transform_implILb0ES3_S5_NS0_18transform_iteratorINS0_17counting_iteratorImlEEZNS1_24adjacent_difference_implIS3_Lb1ELb0EPlSB_ZN2at6native12_GLOBAL__N_124unique_dim_cuda_templateIfEESt5tupleIJNSC_6TensorESH_SH_EERKSH_lbbbEUlllE1_EE10hipError_tPvRmT2_T3_mT4_P12ihipStream_tbEUlmE_lEESB_NS0_8identityIvEEEESM_SP_SQ_mSR_ST_bEUlT_E_NS1_11comp_targetILNS1_3genE8ELNS1_11target_archE1030ELNS1_3gpuE2ELNS1_3repE0EEENS1_30default_config_static_selectorELNS0_4arch9wavefront6targetE1EEEvT1_.has_indirect_call, 0
	.section	.AMDGPU.csdata,"",@progbits
; Kernel info:
; codeLenInByte = 0
; TotalNumSgprs: 6
; NumVgprs: 0
; NumAgprs: 0
; TotalNumVgprs: 0
; ScratchSize: 0
; MemoryBound: 0
; FloatMode: 240
; IeeeMode: 1
; LDSByteSize: 0 bytes/workgroup (compile time only)
; SGPRBlocks: 0
; VGPRBlocks: 0
; NumSGPRsForWavesPerEU: 6
; NumVGPRsForWavesPerEU: 1
; AccumOffset: 4
; Occupancy: 8
; WaveLimiterHint : 0
; COMPUTE_PGM_RSRC2:SCRATCH_EN: 0
; COMPUTE_PGM_RSRC2:USER_SGPR: 2
; COMPUTE_PGM_RSRC2:TRAP_HANDLER: 0
; COMPUTE_PGM_RSRC2:TGID_X_EN: 1
; COMPUTE_PGM_RSRC2:TGID_Y_EN: 0
; COMPUTE_PGM_RSRC2:TGID_Z_EN: 0
; COMPUTE_PGM_RSRC2:TIDIG_COMP_CNT: 0
; COMPUTE_PGM_RSRC3_GFX90A:ACCUM_OFFSET: 0
; COMPUTE_PGM_RSRC3_GFX90A:TG_SPLIT: 0
	.section	.text._ZN7rocprim17ROCPRIM_400000_NS6detail17trampoline_kernelINS0_14default_configENS1_35adjacent_difference_config_selectorILb1ElEEZNS1_24adjacent_difference_implIS3_Lb1ELb0EPlS7_ZN2at6native12_GLOBAL__N_124unique_dim_cuda_templateIfEESt5tupleIJNS8_6TensorESD_SD_EERKSD_lbbbEUlllE1_EE10hipError_tPvRmT2_T3_mT4_P12ihipStream_tbEUlT_E_NS1_11comp_targetILNS1_3genE0ELNS1_11target_archE4294967295ELNS1_3gpuE0ELNS1_3repE0EEENS1_30default_config_static_selectorELNS0_4arch9wavefront6targetE1EEEvT1_,"axG",@progbits,_ZN7rocprim17ROCPRIM_400000_NS6detail17trampoline_kernelINS0_14default_configENS1_35adjacent_difference_config_selectorILb1ElEEZNS1_24adjacent_difference_implIS3_Lb1ELb0EPlS7_ZN2at6native12_GLOBAL__N_124unique_dim_cuda_templateIfEESt5tupleIJNS8_6TensorESD_SD_EERKSD_lbbbEUlllE1_EE10hipError_tPvRmT2_T3_mT4_P12ihipStream_tbEUlT_E_NS1_11comp_targetILNS1_3genE0ELNS1_11target_archE4294967295ELNS1_3gpuE0ELNS1_3repE0EEENS1_30default_config_static_selectorELNS0_4arch9wavefront6targetE1EEEvT1_,comdat
	.globl	_ZN7rocprim17ROCPRIM_400000_NS6detail17trampoline_kernelINS0_14default_configENS1_35adjacent_difference_config_selectorILb1ElEEZNS1_24adjacent_difference_implIS3_Lb1ELb0EPlS7_ZN2at6native12_GLOBAL__N_124unique_dim_cuda_templateIfEESt5tupleIJNS8_6TensorESD_SD_EERKSD_lbbbEUlllE1_EE10hipError_tPvRmT2_T3_mT4_P12ihipStream_tbEUlT_E_NS1_11comp_targetILNS1_3genE0ELNS1_11target_archE4294967295ELNS1_3gpuE0ELNS1_3repE0EEENS1_30default_config_static_selectorELNS0_4arch9wavefront6targetE1EEEvT1_ ; -- Begin function _ZN7rocprim17ROCPRIM_400000_NS6detail17trampoline_kernelINS0_14default_configENS1_35adjacent_difference_config_selectorILb1ElEEZNS1_24adjacent_difference_implIS3_Lb1ELb0EPlS7_ZN2at6native12_GLOBAL__N_124unique_dim_cuda_templateIfEESt5tupleIJNS8_6TensorESD_SD_EERKSD_lbbbEUlllE1_EE10hipError_tPvRmT2_T3_mT4_P12ihipStream_tbEUlT_E_NS1_11comp_targetILNS1_3genE0ELNS1_11target_archE4294967295ELNS1_3gpuE0ELNS1_3repE0EEENS1_30default_config_static_selectorELNS0_4arch9wavefront6targetE1EEEvT1_
	.p2align	8
	.type	_ZN7rocprim17ROCPRIM_400000_NS6detail17trampoline_kernelINS0_14default_configENS1_35adjacent_difference_config_selectorILb1ElEEZNS1_24adjacent_difference_implIS3_Lb1ELb0EPlS7_ZN2at6native12_GLOBAL__N_124unique_dim_cuda_templateIfEESt5tupleIJNS8_6TensorESD_SD_EERKSD_lbbbEUlllE1_EE10hipError_tPvRmT2_T3_mT4_P12ihipStream_tbEUlT_E_NS1_11comp_targetILNS1_3genE0ELNS1_11target_archE4294967295ELNS1_3gpuE0ELNS1_3repE0EEENS1_30default_config_static_selectorELNS0_4arch9wavefront6targetE1EEEvT1_,@function
_ZN7rocprim17ROCPRIM_400000_NS6detail17trampoline_kernelINS0_14default_configENS1_35adjacent_difference_config_selectorILb1ElEEZNS1_24adjacent_difference_implIS3_Lb1ELb0EPlS7_ZN2at6native12_GLOBAL__N_124unique_dim_cuda_templateIfEESt5tupleIJNS8_6TensorESD_SD_EERKSD_lbbbEUlllE1_EE10hipError_tPvRmT2_T3_mT4_P12ihipStream_tbEUlT_E_NS1_11comp_targetILNS1_3genE0ELNS1_11target_archE4294967295ELNS1_3gpuE0ELNS1_3repE0EEENS1_30default_config_static_selectorELNS0_4arch9wavefront6targetE1EEEvT1_: ; @_ZN7rocprim17ROCPRIM_400000_NS6detail17trampoline_kernelINS0_14default_configENS1_35adjacent_difference_config_selectorILb1ElEEZNS1_24adjacent_difference_implIS3_Lb1ELb0EPlS7_ZN2at6native12_GLOBAL__N_124unique_dim_cuda_templateIfEESt5tupleIJNS8_6TensorESD_SD_EERKSD_lbbbEUlllE1_EE10hipError_tPvRmT2_T3_mT4_P12ihipStream_tbEUlT_E_NS1_11comp_targetILNS1_3genE0ELNS1_11target_archE4294967295ELNS1_3gpuE0ELNS1_3repE0EEENS1_30default_config_static_selectorELNS0_4arch9wavefront6targetE1EEEvT1_
; %bb.0:
	s_load_dwordx16 s[4:19], s[0:1], 0x0
	s_mov_b32 s25, 0
	s_mov_b64 s[26:27], -1
	s_waitcnt lgkmcnt(0)
	s_lshl_b64 s[6:7], s[6:7], 3
	s_add_u32 s30, s4, s6
	s_addc_u32 s31, s5, s7
	s_lshl_b32 s4, s2, 10
	s_lshr_b64 s[0:1], s[10:11], 10
	s_and_b32 s24, s10, 0x3ff
	s_cmp_lg_u64 s[24:25], 0
	s_cselect_b64 s[20:21], -1, 0
	v_cndmask_b32_e64 v1, 0, 1, s[20:21]
	s_mov_b32 s24, s2
	v_readfirstlane_b32 s3, v1
	s_add_u32 s22, s0, s3
	s_addc_u32 s23, s1, 0
	s_add_u32 s2, s18, s2
	s_addc_u32 s3, s19, 0
	s_add_u32 s20, s22, -1
	s_addc_u32 s21, s23, -1
	v_mov_b64_e32 v[2:3], s[20:21]
	v_cmp_ge_u64_e64 s[0:1], s[2:3], v[2:3]
	s_and_b64 vcc, exec, s[0:1]
	s_cbranch_vccz .LBB921_6
; %bb.1:
	s_lshl_b32 s5, s20, 10
	s_sub_i32 s11, s10, s5
	s_mov_b32 s5, s25
	s_lshl_b64 s[26:27], s[4:5], 3
	s_add_u32 s26, s30, s26
	v_mov_b32_e32 v2, 0
	s_addc_u32 s27, s31, s27
	v_cmp_gt_u32_e32 vcc, s11, v0
	v_mov_b32_e32 v3, v2
	v_mov_b32_e32 v4, v2
	;; [unrolled: 1-line block ×3, first 2 shown]
	s_and_saveexec_b64 s[28:29], vcc
	s_cbranch_execz .LBB921_3
; %bb.2:
	v_lshlrev_b32_e32 v1, 3, v0
	global_load_dwordx2 v[4:5], v1, s[26:27]
	v_mov_b32_e32 v6, v2
	v_mov_b32_e32 v7, v2
	s_waitcnt vmcnt(0)
	v_mov_b64_e32 v[2:3], v[4:5]
	v_mov_b64_e32 v[4:5], v[6:7]
.LBB921_3:
	s_or_b64 exec, exec, s[28:29]
	v_or_b32_e32 v1, 0x200, v0
	v_cmp_gt_u32_e32 vcc, s11, v1
	s_and_saveexec_b64 s[28:29], vcc
	s_cbranch_execz .LBB921_5
; %bb.4:
	v_lshlrev_b32_e32 v4, 3, v1
	global_load_dwordx2 v[4:5], v4, s[26:27]
.LBB921_5:
	s_or_b64 exec, exec, s[28:29]
	v_lshrrev_b32_e32 v6, 2, v0
	v_lshrrev_b32_e32 v1, 2, v1
	v_and_b32_e32 v6, 0x78, v6
	v_lshlrev_b32_e32 v7, 3, v0
	v_and_b32_e32 v1, 0xf8, v1
	v_add_u32_e32 v6, v6, v7
	v_add_u32_e32 v1, v1, v7
	s_mov_b64 s[26:27], 0
	ds_write_b64 v6, v[2:3]
	s_waitcnt vmcnt(0)
	ds_write_b64 v1, v[4:5] offset:4096
	s_waitcnt lgkmcnt(0)
	s_barrier
.LBB921_6:
	s_and_b64 vcc, exec, s[26:27]
	s_cbranch_vccz .LBB921_8
; %bb.7:
	s_mov_b32 s5, 0
	s_lshl_b64 s[26:27], s[4:5], 3
	s_add_u32 s26, s30, s26
	s_addc_u32 s27, s31, s27
	v_lshlrev_b32_e32 v2, 3, v0
	v_mov_b32_e32 v3, 0
	v_lshl_add_u64 v[4:5], s[26:27], 0, v[2:3]
	v_add_co_u32_e32 v4, vcc, 0x1000, v4
	v_lshrrev_b32_e32 v1, 2, v0
	s_nop 0
	v_addc_co_u32_e32 v5, vcc, 0, v5, vcc
	global_load_dwordx2 v[6:7], v2, s[26:27]
	global_load_dwordx2 v[8:9], v[4:5], off
	v_or_b32_e32 v3, 0x200, v0
	v_and_b32_e32 v1, 0x78, v1
	v_lshrrev_b32_e32 v3, 2, v3
	v_add_u32_e32 v1, v1, v2
	v_and_b32_e32 v3, 0xf8, v3
	v_add_u32_e32 v2, v3, v2
	s_waitcnt vmcnt(1)
	ds_write_b64 v1, v[6:7]
	s_waitcnt vmcnt(0)
	ds_write_b64 v2, v[8:9] offset:4096
	s_waitcnt lgkmcnt(0)
	s_barrier
.LBB921_8:
	v_lshrrev_b32_e32 v1, 1, v0
	v_and_b32_e32 v2, 0xf8, v1
	v_lshl_add_u32 v2, v0, 4, v2
	ds_read2_b64 v[2:5], v2 offset1:1
	s_cmp_eq_u64 s[2:3], 0
	s_waitcnt lgkmcnt(0)
	s_barrier
	s_cbranch_scc1 .LBB921_15
; %bb.9:
	s_lshl_b64 s[18:19], s[18:19], 3
	s_add_u32 s5, s16, s18
	s_addc_u32 s11, s17, s19
	s_lshl_b64 s[16:17], s[24:25], 3
	s_add_u32 s5, s5, s16
	s_addc_u32 s11, s11, s17
	s_add_u32 s16, s5, -8
	s_addc_u32 s17, s11, -1
	s_load_dwordx2 s[16:17], s[16:17], 0x0
	s_cmp_eq_u64 s[2:3], s[20:21]
	s_cbranch_scc1 .LBB921_16
; %bb.10:
	v_cmp_lt_i64_e64 s[24:25], s[12:13], 1
	v_lshlrev_b32_e32 v12, 3, v0
	v_mov_b64_e32 v[8:9], 0
	v_cmp_gt_i64_e64 s[18:19], s[12:13], 0
	s_and_b64 vcc, exec, s[24:25]
	ds_write_b64 v12, v[4:5]
	s_cbranch_vccnz .LBB921_18
; %bb.11:
	v_mul_lo_u32 v8, v5, s12
	v_mul_lo_u32 v9, v4, s13
	v_mad_u64_u32 v[6:7], s[24:25], v4, s12, 0
	v_add3_u32 v7, v7, v9, v8
	v_mul_lo_u32 v10, v3, s12
	v_mul_lo_u32 v11, v2, s13
	v_mad_u64_u32 v[8:9], s[24:25], v2, s12, 0
	v_add3_u32 v9, v9, v11, v10
	v_lshl_add_u64 v[6:7], v[6:7], 2, s[14:15]
	v_lshl_add_u64 v[10:11], v[8:9], 2, s[14:15]
	s_mov_b64 s[24:25], 0
	s_mov_b64 s[26:27], s[12:13]
                                        ; implicit-def: $sgpr28_sgpr29
	s_branch .LBB921_13
.LBB921_12:                             ;   in Loop: Header=BB921_13 Depth=1
	s_or_b64 exec, exec, s[30:31]
	s_and_b64 s[30:31], exec, s[28:29]
	s_or_b64 s[24:25], s[30:31], s[24:25]
	s_andn2_b64 exec, exec, s[24:25]
	s_cbranch_execz .LBB921_17
.LBB921_13:                             ; =>This Inner Loop Header: Depth=1
	global_load_dword v13, v[6:7], off
	global_load_dword v14, v[10:11], off
	v_mov_b64_e32 v[8:9], 1
	s_or_b64 s[28:29], s[28:29], exec
	s_waitcnt vmcnt(0)
	v_cmp_eq_f32_e32 vcc, v13, v14
	s_and_saveexec_b64 s[30:31], vcc
	s_cbranch_execz .LBB921_12
; %bb.14:                               ;   in Loop: Header=BB921_13 Depth=1
	s_add_u32 s26, s26, -1
	s_addc_u32 s27, s27, -1
	s_cmp_eq_u64 s[26:27], 0
	s_cselect_b64 s[34:35], -1, 0
	s_andn2_b64 s[28:29], s[28:29], exec
	s_and_b64 s[34:35], s[34:35], exec
	v_lshl_add_u64 v[6:7], v[6:7], 0, 4
	v_lshl_add_u64 v[10:11], v[10:11], 0, 4
	v_mov_b64_e32 v[8:9], 0
	s_or_b64 s[28:29], s[28:29], s[34:35]
	s_branch .LBB921_12
.LBB921_15:
                                        ; implicit-def: $vgpr8_vgpr9
                                        ; implicit-def: $vgpr6_vgpr7
	s_branch .LBB921_47
.LBB921_16:
                                        ; implicit-def: $vgpr8_vgpr9
                                        ; implicit-def: $vgpr6_vgpr7
	s_cbranch_execnz .LBB921_27
	s_branch .LBB921_46
.LBB921_17:
	s_or_b64 exec, exec, s[24:25]
.LBB921_18:
	v_cmp_ne_u32_e32 vcc, 0, v0
	s_waitcnt lgkmcnt(0)
	v_mov_b64_e32 v[6:7], s[16:17]
	s_barrier
	s_and_saveexec_b64 s[24:25], vcc
; %bb.19:
	v_add_u32_e32 v6, -8, v12
	ds_read_b64 v[6:7], v6
; %bb.20:
	s_or_b64 exec, exec, s[24:25]
	s_andn2_b64 vcc, exec, s[18:19]
	s_cbranch_vccnz .LBB921_26
; %bb.21:
	v_mul_lo_u32 v12, v3, s12
	v_mul_lo_u32 v13, v2, s13
	v_mad_u64_u32 v[10:11], s[18:19], v2, s12, 0
	v_add3_u32 v11, v11, v13, v12
	s_waitcnt lgkmcnt(0)
	v_mul_lo_u32 v12, v7, s12
	v_mul_lo_u32 v13, v6, s13
	v_mad_u64_u32 v[6:7], s[18:19], v6, s12, 0
	v_add3_u32 v7, v7, v13, v12
	v_lshl_add_u64 v[10:11], v[10:11], 2, s[14:15]
	v_lshl_add_u64 v[12:13], v[6:7], 2, s[14:15]
	s_mov_b64 s[18:19], 0
	s_mov_b64 s[24:25], s[12:13]
                                        ; implicit-def: $sgpr26_sgpr27
	s_branch .LBB921_23
.LBB921_22:                             ;   in Loop: Header=BB921_23 Depth=1
	s_or_b64 exec, exec, s[28:29]
	s_and_b64 s[28:29], exec, s[26:27]
	s_or_b64 s[18:19], s[28:29], s[18:19]
	s_andn2_b64 exec, exec, s[18:19]
	s_cbranch_execz .LBB921_25
.LBB921_23:                             ; =>This Inner Loop Header: Depth=1
	global_load_dword v14, v[10:11], off
	global_load_dword v15, v[12:13], off
	v_mov_b64_e32 v[6:7], 1
	s_or_b64 s[26:27], s[26:27], exec
	s_waitcnt vmcnt(0)
	v_cmp_eq_f32_e32 vcc, v14, v15
	s_and_saveexec_b64 s[28:29], vcc
	s_cbranch_execz .LBB921_22
; %bb.24:                               ;   in Loop: Header=BB921_23 Depth=1
	s_add_u32 s24, s24, -1
	s_addc_u32 s25, s25, -1
	s_cmp_eq_u64 s[24:25], 0
	s_cselect_b64 s[30:31], -1, 0
	s_andn2_b64 s[26:27], s[26:27], exec
	s_and_b64 s[30:31], s[30:31], exec
	v_lshl_add_u64 v[10:11], v[10:11], 0, 4
	v_lshl_add_u64 v[12:13], v[12:13], 0, 4
	v_mov_b64_e32 v[6:7], 0
	s_or_b64 s[26:27], s[26:27], s[30:31]
	s_branch .LBB921_22
.LBB921_25:
	s_or_b64 exec, exec, s[18:19]
	s_branch .LBB921_46
.LBB921_26:
	s_waitcnt lgkmcnt(0)
	v_mov_b64_e32 v[6:7], 0
	s_branch .LBB921_46
.LBB921_27:
	s_lshl_b32 s2, s2, 10
	v_lshlrev_b32_e32 v14, 1, v0
	s_sub_i32 s5, s10, s2
	v_or_b32_e32 v6, 1, v14
	v_lshlrev_b32_e32 v15, 3, v0
	v_cmp_gt_u32_e32 vcc, s5, v6
	v_mov_b64_e32 v[8:9], v[4:5]
	ds_write_b64 v15, v[4:5]
	v_mov_b64_e32 v[6:7], v[2:3]
	s_and_saveexec_b64 s[2:3], vcc
	s_cbranch_execz .LBB921_35
; %bb.28:
	v_cmp_lt_i64_e64 s[18:19], s[12:13], 1
	s_and_b64 vcc, exec, s[18:19]
	s_cbranch_vccnz .LBB921_34
; %bb.29:
	v_mul_lo_u32 v8, v5, s12
	v_mul_lo_u32 v9, v4, s13
	v_mad_u64_u32 v[6:7], s[18:19], v4, s12, 0
	v_add3_u32 v7, v7, v9, v8
	v_mul_lo_u32 v10, v3, s12
	v_mul_lo_u32 v11, v2, s13
	v_mad_u64_u32 v[8:9], s[18:19], v2, s12, 0
	v_add3_u32 v9, v9, v11, v10
	v_lshl_add_u64 v[6:7], v[6:7], 2, s[14:15]
	v_lshl_add_u64 v[10:11], v[8:9], 2, s[14:15]
	s_mov_b64 s[18:19], 0
	s_mov_b64 s[24:25], s[12:13]
                                        ; implicit-def: $sgpr26_sgpr27
	s_branch .LBB921_31
.LBB921_30:                             ;   in Loop: Header=BB921_31 Depth=1
	s_or_b64 exec, exec, s[28:29]
	s_and_b64 s[28:29], exec, s[26:27]
	s_or_b64 s[18:19], s[28:29], s[18:19]
	s_andn2_b64 exec, exec, s[18:19]
	s_cbranch_execz .LBB921_33
.LBB921_31:                             ; =>This Inner Loop Header: Depth=1
	global_load_dword v12, v[6:7], off
	global_load_dword v13, v[10:11], off
	v_mov_b64_e32 v[8:9], 1
	s_or_b64 s[26:27], s[26:27], exec
	s_waitcnt vmcnt(0)
	v_cmp_eq_f32_e32 vcc, v12, v13
	s_and_saveexec_b64 s[28:29], vcc
	s_cbranch_execz .LBB921_30
; %bb.32:                               ;   in Loop: Header=BB921_31 Depth=1
	s_add_u32 s24, s24, -1
	s_addc_u32 s25, s25, -1
	s_cmp_eq_u64 s[24:25], 0
	s_cselect_b64 s[30:31], -1, 0
	s_andn2_b64 s[26:27], s[26:27], exec
	s_and_b64 s[30:31], s[30:31], exec
	v_lshl_add_u64 v[6:7], v[6:7], 0, 4
	v_lshl_add_u64 v[10:11], v[10:11], 0, 4
	v_mov_b64_e32 v[8:9], 0
	s_or_b64 s[26:27], s[26:27], s[30:31]
	s_branch .LBB921_30
.LBB921_33:
	s_or_b64 exec, exec, s[18:19]
	s_branch .LBB921_35
.LBB921_34:
	v_mov_b64_e32 v[8:9], 0
.LBB921_35:
	s_or_b64 exec, exec, s[2:3]
	v_cmp_ne_u32_e32 vcc, 0, v0
	s_waitcnt lgkmcnt(0)
	v_mov_b64_e32 v[12:13], s[16:17]
	s_barrier
	s_and_saveexec_b64 s[2:3], vcc
; %bb.36:
	v_add_u32_e32 v6, -8, v15
	ds_read_b64 v[12:13], v6
; %bb.37:
	s_or_b64 exec, exec, s[2:3]
	v_cmp_gt_u32_e32 vcc, s5, v14
	v_mov_b64_e32 v[6:7], v[2:3]
	s_and_saveexec_b64 s[2:3], vcc
	s_cbranch_execz .LBB921_45
; %bb.38:
	v_cmp_lt_i64_e64 s[16:17], s[12:13], 1
	s_and_b64 vcc, exec, s[16:17]
	s_cbranch_vccnz .LBB921_44
; %bb.39:
	v_mul_lo_u32 v10, v3, s12
	v_mul_lo_u32 v11, v2, s13
	v_mad_u64_u32 v[6:7], s[16:17], v2, s12, 0
	v_add3_u32 v7, v7, v11, v10
	v_lshl_add_u64 v[10:11], v[6:7], 2, s[14:15]
	s_waitcnt lgkmcnt(0)
	v_mul_lo_u32 v13, v13, s12
	v_mul_lo_u32 v14, v12, s13
	v_mad_u64_u32 v[6:7], s[16:17], v12, s12, 0
	v_add3_u32 v7, v7, v14, v13
	v_lshl_add_u64 v[12:13], v[6:7], 2, s[14:15]
	s_mov_b64 s[16:17], 0
	s_mov_b64 s[18:19], s[12:13]
                                        ; implicit-def: $sgpr24_sgpr25
	s_branch .LBB921_41
.LBB921_40:                             ;   in Loop: Header=BB921_41 Depth=1
	s_or_b64 exec, exec, s[26:27]
	s_and_b64 s[26:27], exec, s[24:25]
	s_or_b64 s[16:17], s[26:27], s[16:17]
	s_andn2_b64 exec, exec, s[16:17]
	s_cbranch_execz .LBB921_43
.LBB921_41:                             ; =>This Inner Loop Header: Depth=1
	global_load_dword v14, v[10:11], off
	global_load_dword v15, v[12:13], off
	v_mov_b64_e32 v[6:7], 1
	s_or_b64 s[24:25], s[24:25], exec
	s_waitcnt vmcnt(0)
	v_cmp_eq_f32_e32 vcc, v14, v15
	s_and_saveexec_b64 s[26:27], vcc
	s_cbranch_execz .LBB921_40
; %bb.42:                               ;   in Loop: Header=BB921_41 Depth=1
	s_add_u32 s18, s18, -1
	s_addc_u32 s19, s19, -1
	s_cmp_eq_u64 s[18:19], 0
	s_cselect_b64 s[28:29], -1, 0
	s_andn2_b64 s[24:25], s[24:25], exec
	s_and_b64 s[28:29], s[28:29], exec
	v_lshl_add_u64 v[10:11], v[10:11], 0, 4
	v_lshl_add_u64 v[12:13], v[12:13], 0, 4
	v_mov_b64_e32 v[6:7], 0
	s_or_b64 s[24:25], s[24:25], s[28:29]
	s_branch .LBB921_40
.LBB921_43:
	s_or_b64 exec, exec, s[16:17]
	s_branch .LBB921_45
.LBB921_44:
	v_mov_b64_e32 v[6:7], 0
.LBB921_45:
	s_or_b64 exec, exec, s[2:3]
.LBB921_46:
	s_cbranch_execnz .LBB921_81
.LBB921_47:
	s_cmp_eq_u64 s[22:23], 1
	s_cbranch_scc1 .LBB921_53
; %bb.48:
	s_waitcnt lgkmcnt(0)
	v_cmp_lt_i64_e64 s[16:17], s[12:13], 1
	v_lshlrev_b32_e32 v12, 3, v0
	v_mov_b64_e32 v[8:9], 0
	v_cmp_gt_i64_e64 s[2:3], s[12:13], 0
	s_and_b64 vcc, exec, s[16:17]
	ds_write_b64 v12, v[4:5]
	s_cbranch_vccnz .LBB921_55
; %bb.49:
	v_mul_lo_u32 v8, v5, s12
	v_mul_lo_u32 v9, v4, s13
	v_mad_u64_u32 v[6:7], s[16:17], v4, s12, 0
	v_add3_u32 v7, v7, v9, v8
	v_mul_lo_u32 v10, v3, s12
	v_mul_lo_u32 v11, v2, s13
	v_mad_u64_u32 v[8:9], s[16:17], v2, s12, 0
	v_add3_u32 v9, v9, v11, v10
	v_lshl_add_u64 v[6:7], v[6:7], 2, s[14:15]
	v_lshl_add_u64 v[10:11], v[8:9], 2, s[14:15]
	s_mov_b64 s[16:17], 0
	s_mov_b64 s[18:19], s[12:13]
                                        ; implicit-def: $sgpr22_sgpr23
	s_branch .LBB921_51
.LBB921_50:                             ;   in Loop: Header=BB921_51 Depth=1
	s_or_b64 exec, exec, s[24:25]
	s_and_b64 s[24:25], exec, s[22:23]
	s_or_b64 s[16:17], s[24:25], s[16:17]
	s_andn2_b64 exec, exec, s[16:17]
	s_cbranch_execz .LBB921_54
.LBB921_51:                             ; =>This Inner Loop Header: Depth=1
	global_load_dword v13, v[6:7], off
	global_load_dword v14, v[10:11], off
	v_mov_b64_e32 v[8:9], 1
	s_or_b64 s[22:23], s[22:23], exec
	s_waitcnt vmcnt(0)
	v_cmp_eq_f32_e32 vcc, v13, v14
	s_and_saveexec_b64 s[24:25], vcc
	s_cbranch_execz .LBB921_50
; %bb.52:                               ;   in Loop: Header=BB921_51 Depth=1
	s_add_u32 s18, s18, -1
	s_addc_u32 s19, s19, -1
	s_cmp_eq_u64 s[18:19], 0
	s_cselect_b64 s[26:27], -1, 0
	s_andn2_b64 s[22:23], s[22:23], exec
	s_and_b64 s[26:27], s[26:27], exec
	v_lshl_add_u64 v[6:7], v[6:7], 0, 4
	v_lshl_add_u64 v[10:11], v[10:11], 0, 4
	v_mov_b64_e32 v[8:9], 0
	s_or_b64 s[22:23], s[22:23], s[26:27]
	s_branch .LBB921_50
.LBB921_53:
                                        ; implicit-def: $vgpr8_vgpr9
                                        ; implicit-def: $vgpr6_vgpr7
	s_cbranch_execnz .LBB921_64
	s_branch .LBB921_81
.LBB921_54:
	s_or_b64 exec, exec, s[16:17]
.LBB921_55:
	v_cmp_ne_u32_e32 vcc, 0, v0
	v_mov_b64_e32 v[6:7], v[2:3]
	s_waitcnt lgkmcnt(0)
	s_barrier
	s_and_saveexec_b64 s[16:17], vcc
	s_cbranch_execz .LBB921_63
; %bb.56:
	s_andn2_b64 vcc, exec, s[2:3]
	s_cbranch_vccnz .LBB921_62
; %bb.57:
	v_add_u32_e32 v6, -8, v12
	ds_read_b64 v[6:7], v6
	v_mul_lo_u32 v12, v3, s12
	v_mul_lo_u32 v13, v2, s13
	v_mad_u64_u32 v[10:11], s[2:3], v2, s12, 0
	v_add3_u32 v11, v11, v13, v12
	s_waitcnt lgkmcnt(0)
	v_mul_lo_u32 v12, s13, v6
	v_mul_lo_u32 v13, s12, v7
	v_mad_u64_u32 v[6:7], s[2:3], s12, v6, 0
	v_add3_u32 v7, v7, v13, v12
	v_lshl_add_u64 v[10:11], v[10:11], 2, s[14:15]
	v_lshl_add_u64 v[12:13], v[6:7], 2, s[14:15]
	s_mov_b64 s[2:3], 0
	s_mov_b64 s[18:19], s[12:13]
                                        ; implicit-def: $sgpr22_sgpr23
	s_branch .LBB921_59
.LBB921_58:                             ;   in Loop: Header=BB921_59 Depth=1
	s_or_b64 exec, exec, s[24:25]
	s_and_b64 s[24:25], exec, s[22:23]
	s_or_b64 s[2:3], s[24:25], s[2:3]
	s_andn2_b64 exec, exec, s[2:3]
	s_cbranch_execz .LBB921_61
.LBB921_59:                             ; =>This Inner Loop Header: Depth=1
	global_load_dword v14, v[10:11], off
	global_load_dword v15, v[12:13], off
	v_mov_b64_e32 v[6:7], 1
	s_or_b64 s[22:23], s[22:23], exec
	s_waitcnt vmcnt(0)
	v_cmp_eq_f32_e32 vcc, v14, v15
	s_and_saveexec_b64 s[24:25], vcc
	s_cbranch_execz .LBB921_58
; %bb.60:                               ;   in Loop: Header=BB921_59 Depth=1
	s_add_u32 s18, s18, -1
	s_addc_u32 s19, s19, -1
	s_cmp_eq_u64 s[18:19], 0
	s_cselect_b64 s[26:27], -1, 0
	s_andn2_b64 s[22:23], s[22:23], exec
	s_and_b64 s[26:27], s[26:27], exec
	v_lshl_add_u64 v[10:11], v[10:11], 0, 4
	v_lshl_add_u64 v[12:13], v[12:13], 0, 4
	v_mov_b64_e32 v[6:7], 0
	s_or_b64 s[22:23], s[22:23], s[26:27]
	s_branch .LBB921_58
.LBB921_61:
	s_or_b64 exec, exec, s[2:3]
	s_branch .LBB921_63
.LBB921_62:
	v_mov_b64_e32 v[6:7], 0
.LBB921_63:
	s_or_b64 exec, exec, s[16:17]
	s_branch .LBB921_81
.LBB921_64:
	v_lshlrev_b32_e32 v11, 1, v0
	v_or_b32_e32 v6, 1, v11
	v_lshlrev_b32_e32 v10, 3, v0
	v_cmp_gt_u32_e32 vcc, s10, v6
	v_mov_b64_e32 v[8:9], v[4:5]
	ds_write_b64 v10, v[4:5]
	v_mov_b64_e32 v[6:7], v[2:3]
	s_and_saveexec_b64 s[2:3], vcc
	s_cbranch_execz .LBB921_72
; %bb.65:
	s_waitcnt lgkmcnt(0)
	v_cmp_lt_i64_e64 s[16:17], s[12:13], 1
	s_and_b64 vcc, exec, s[16:17]
	s_cbranch_vccnz .LBB921_71
; %bb.66:
	v_mul_lo_u32 v6, v5, s12
	v_mul_lo_u32 v7, v4, s13
	v_mad_u64_u32 v[4:5], s[16:17], v4, s12, 0
	v_add3_u32 v5, v5, v7, v6
	v_mul_lo_u32 v8, v3, s12
	v_mul_lo_u32 v9, v2, s13
	v_mad_u64_u32 v[6:7], s[16:17], v2, s12, 0
	v_add3_u32 v7, v7, v9, v8
	v_lshl_add_u64 v[4:5], v[4:5], 2, s[14:15]
	v_lshl_add_u64 v[6:7], v[6:7], 2, s[14:15]
	s_mov_b64 s[16:17], 0
	s_mov_b64 s[18:19], s[12:13]
                                        ; implicit-def: $sgpr22_sgpr23
	s_branch .LBB921_68
.LBB921_67:                             ;   in Loop: Header=BB921_68 Depth=1
	s_or_b64 exec, exec, s[24:25]
	s_and_b64 s[24:25], exec, s[22:23]
	s_or_b64 s[16:17], s[24:25], s[16:17]
	s_andn2_b64 exec, exec, s[16:17]
	s_cbranch_execz .LBB921_70
.LBB921_68:                             ; =>This Inner Loop Header: Depth=1
	global_load_dword v12, v[4:5], off
	global_load_dword v13, v[6:7], off
	v_mov_b64_e32 v[8:9], 1
	s_or_b64 s[22:23], s[22:23], exec
	s_waitcnt vmcnt(0)
	v_cmp_eq_f32_e32 vcc, v12, v13
	s_and_saveexec_b64 s[24:25], vcc
	s_cbranch_execz .LBB921_67
; %bb.69:                               ;   in Loop: Header=BB921_68 Depth=1
	s_add_u32 s18, s18, -1
	s_addc_u32 s19, s19, -1
	s_cmp_eq_u64 s[18:19], 0
	s_cselect_b64 s[26:27], -1, 0
	s_andn2_b64 s[22:23], s[22:23], exec
	s_and_b64 s[26:27], s[26:27], exec
	v_lshl_add_u64 v[4:5], v[4:5], 0, 4
	v_lshl_add_u64 v[6:7], v[6:7], 0, 4
	v_mov_b64_e32 v[8:9], 0
	s_or_b64 s[22:23], s[22:23], s[26:27]
	s_branch .LBB921_67
.LBB921_70:
	s_or_b64 exec, exec, s[16:17]
	s_branch .LBB921_72
.LBB921_71:
	v_mov_b64_e32 v[8:9], 0
.LBB921_72:
	s_or_b64 exec, exec, s[2:3]
	v_cmp_ne_u32_e32 vcc, 0, v0
	v_cmp_gt_u32_e64 s[2:3], s10, v11
	s_waitcnt lgkmcnt(0)
	s_and_b64 s[16:17], vcc, s[2:3]
	s_barrier
	s_and_saveexec_b64 s[2:3], s[16:17]
	s_cbranch_execz .LBB921_80
; %bb.73:
	v_cmp_lt_i64_e64 s[16:17], s[12:13], 1
	s_and_b64 vcc, exec, s[16:17]
	s_cbranch_vccnz .LBB921_79
; %bb.74:
	v_add_u32_e32 v4, -8, v10
	ds_read_b64 v[6:7], v4
	v_mul_lo_u32 v4, v3, s12
	v_mul_lo_u32 v5, v2, s13
	v_mad_u64_u32 v[2:3], s[16:17], v2, s12, 0
	v_add3_u32 v3, v3, v5, v4
	v_lshl_add_u64 v[4:5], v[2:3], 2, s[14:15]
	s_waitcnt lgkmcnt(0)
	v_mul_lo_u32 v10, s13, v6
	v_mul_lo_u32 v7, s12, v7
	v_mad_u64_u32 v[2:3], s[16:17], s12, v6, 0
	v_add3_u32 v3, v3, v7, v10
	v_lshl_add_u64 v[6:7], v[2:3], 2, s[14:15]
	s_mov_b64 s[14:15], 0
                                        ; implicit-def: $sgpr16_sgpr17
	s_branch .LBB921_76
.LBB921_75:                             ;   in Loop: Header=BB921_76 Depth=1
	s_or_b64 exec, exec, s[18:19]
	s_and_b64 s[18:19], exec, s[16:17]
	s_or_b64 s[14:15], s[18:19], s[14:15]
	s_andn2_b64 exec, exec, s[14:15]
	s_cbranch_execz .LBB921_78
.LBB921_76:                             ; =>This Inner Loop Header: Depth=1
	global_load_dword v10, v[4:5], off
	global_load_dword v11, v[6:7], off
	v_mov_b64_e32 v[2:3], 1
	s_or_b64 s[16:17], s[16:17], exec
	s_waitcnt vmcnt(0)
	v_cmp_eq_f32_e32 vcc, v10, v11
	s_and_saveexec_b64 s[18:19], vcc
	s_cbranch_execz .LBB921_75
; %bb.77:                               ;   in Loop: Header=BB921_76 Depth=1
	s_add_u32 s12, s12, -1
	s_addc_u32 s13, s13, -1
	s_cmp_eq_u64 s[12:13], 0
	s_cselect_b64 s[22:23], -1, 0
	s_andn2_b64 s[16:17], s[16:17], exec
	s_and_b64 s[22:23], s[22:23], exec
	v_lshl_add_u64 v[4:5], v[4:5], 0, 4
	v_lshl_add_u64 v[6:7], v[6:7], 0, 4
	v_mov_b64_e32 v[2:3], 0
	s_or_b64 s[16:17], s[16:17], s[22:23]
	s_branch .LBB921_75
.LBB921_78:
	s_or_b64 exec, exec, s[14:15]
	s_branch .LBB921_80
.LBB921_79:
	v_mov_b64_e32 v[2:3], 0
.LBB921_80:
	s_or_b64 exec, exec, s[2:3]
	v_mov_b64_e32 v[6:7], v[2:3]
.LBB921_81:
	s_add_u32 s6, s8, s6
	s_addc_u32 s7, s9, s7
	s_and_b64 vcc, exec, s[0:1]
	s_waitcnt lgkmcnt(0)
	s_barrier
	s_cbranch_vccz .LBB921_85
; %bb.82:
	v_and_b32_e32 v2, 0xf8, v1
	v_lshl_add_u32 v2, v0, 4, v2
	v_or_b32_e32 v10, 0x200, v0
	ds_write2_b64 v2, v[6:7], v[8:9] offset1:1
	v_lshrrev_b32_e32 v2, 2, v10
	v_and_b32_e32 v2, 0xf8, v2
	v_lshlrev_b32_e32 v4, 3, v0
	v_add_u32_e32 v2, v2, v4
	s_lshl_b32 s0, s20, 10
	s_mov_b32 s5, 0
	s_waitcnt lgkmcnt(0)
	s_barrier
	ds_read_b64 v[2:3], v2 offset:4096
	s_sub_i32 s2, s10, s0
	s_lshl_b64 s[0:1], s[4:5], 3
	s_add_u32 s0, s6, s0
	s_addc_u32 s1, s7, s1
	v_mov_b32_e32 v5, 0
	v_lshl_add_u64 v[4:5], s[0:1], 0, v[4:5]
	v_cmp_gt_u32_e32 vcc, s2, v0
	s_and_saveexec_b64 s[0:1], vcc
	s_cbranch_execz .LBB921_84
; %bb.83:
	v_lshrrev_b32_e32 v11, 2, v0
	v_and_b32_e32 v11, 0x78, v11
	v_lshl_add_u32 v11, v0, 3, v11
	ds_read_b64 v[12:13], v11
	s_waitcnt lgkmcnt(0)
	global_store_dwordx2 v[4:5], v[12:13], off
.LBB921_84:
	s_or_b64 exec, exec, s[0:1]
	v_cmp_gt_u32_e64 s[0:1], s2, v10
	s_branch .LBB921_87
.LBB921_85:
	s_mov_b64 s[0:1], 0
                                        ; implicit-def: $vgpr2_vgpr3
                                        ; implicit-def: $vgpr4_vgpr5
	s_cbranch_execz .LBB921_87
; %bb.86:
	v_and_b32_e32 v1, 0xf8, v1
	v_lshl_add_u32 v1, v0, 4, v1
	ds_write2_b64 v1, v[6:7], v[8:9] offset1:1
	v_lshrrev_b32_e32 v1, 2, v0
	v_lshlrev_b32_e32 v6, 3, v0
	v_or_b32_e32 v0, 0x200, v0
	v_lshrrev_b32_e32 v0, 2, v0
	v_and_b32_e32 v1, 0x78, v1
	v_and_b32_e32 v0, 0xf8, v0
	v_add_u32_e32 v1, v1, v6
	v_add_u32_e32 v0, v0, v6
	s_mov_b32 s5, 0
	s_waitcnt lgkmcnt(0)
	s_barrier
	ds_read_b64 v[8:9], v1
	ds_read_b64 v[2:3], v0 offset:4096
	s_lshl_b64 s[2:3], s[4:5], 3
	s_add_u32 s2, s6, s2
	s_addc_u32 s3, s7, s3
	v_mov_b32_e32 v7, 0
	v_lshl_add_u64 v[4:5], s[2:3], 0, v[6:7]
	s_or_b64 s[0:1], s[0:1], exec
	s_waitcnt lgkmcnt(1)
	global_store_dwordx2 v6, v[8:9], s[2:3]
.LBB921_87:
	s_and_saveexec_b64 s[2:3], s[0:1]
	s_cbranch_execnz .LBB921_89
; %bb.88:
	s_endpgm
.LBB921_89:
	v_add_co_u32_e32 v0, vcc, 0x1000, v4
	s_nop 1
	v_addc_co_u32_e32 v1, vcc, 0, v5, vcc
	s_waitcnt lgkmcnt(0)
	global_store_dwordx2 v[0:1], v[2:3], off
	s_endpgm
	.section	.rodata,"a",@progbits
	.p2align	6, 0x0
	.amdhsa_kernel _ZN7rocprim17ROCPRIM_400000_NS6detail17trampoline_kernelINS0_14default_configENS1_35adjacent_difference_config_selectorILb1ElEEZNS1_24adjacent_difference_implIS3_Lb1ELb0EPlS7_ZN2at6native12_GLOBAL__N_124unique_dim_cuda_templateIfEESt5tupleIJNS8_6TensorESD_SD_EERKSD_lbbbEUlllE1_EE10hipError_tPvRmT2_T3_mT4_P12ihipStream_tbEUlT_E_NS1_11comp_targetILNS1_3genE0ELNS1_11target_archE4294967295ELNS1_3gpuE0ELNS1_3repE0EEENS1_30default_config_static_selectorELNS0_4arch9wavefront6targetE1EEEvT1_
		.amdhsa_group_segment_fixed_size 8448
		.amdhsa_private_segment_fixed_size 0
		.amdhsa_kernarg_size 64
		.amdhsa_user_sgpr_count 2
		.amdhsa_user_sgpr_dispatch_ptr 0
		.amdhsa_user_sgpr_queue_ptr 0
		.amdhsa_user_sgpr_kernarg_segment_ptr 1
		.amdhsa_user_sgpr_dispatch_id 0
		.amdhsa_user_sgpr_kernarg_preload_length 0
		.amdhsa_user_sgpr_kernarg_preload_offset 0
		.amdhsa_user_sgpr_private_segment_size 0
		.amdhsa_uses_dynamic_stack 0
		.amdhsa_enable_private_segment 0
		.amdhsa_system_sgpr_workgroup_id_x 1
		.amdhsa_system_sgpr_workgroup_id_y 0
		.amdhsa_system_sgpr_workgroup_id_z 0
		.amdhsa_system_sgpr_workgroup_info 0
		.amdhsa_system_vgpr_workitem_id 0
		.amdhsa_next_free_vgpr 16
		.amdhsa_next_free_sgpr 36
		.amdhsa_accum_offset 16
		.amdhsa_reserve_vcc 1
		.amdhsa_float_round_mode_32 0
		.amdhsa_float_round_mode_16_64 0
		.amdhsa_float_denorm_mode_32 3
		.amdhsa_float_denorm_mode_16_64 3
		.amdhsa_dx10_clamp 1
		.amdhsa_ieee_mode 1
		.amdhsa_fp16_overflow 0
		.amdhsa_tg_split 0
		.amdhsa_exception_fp_ieee_invalid_op 0
		.amdhsa_exception_fp_denorm_src 0
		.amdhsa_exception_fp_ieee_div_zero 0
		.amdhsa_exception_fp_ieee_overflow 0
		.amdhsa_exception_fp_ieee_underflow 0
		.amdhsa_exception_fp_ieee_inexact 0
		.amdhsa_exception_int_div_zero 0
	.end_amdhsa_kernel
	.section	.text._ZN7rocprim17ROCPRIM_400000_NS6detail17trampoline_kernelINS0_14default_configENS1_35adjacent_difference_config_selectorILb1ElEEZNS1_24adjacent_difference_implIS3_Lb1ELb0EPlS7_ZN2at6native12_GLOBAL__N_124unique_dim_cuda_templateIfEESt5tupleIJNS8_6TensorESD_SD_EERKSD_lbbbEUlllE1_EE10hipError_tPvRmT2_T3_mT4_P12ihipStream_tbEUlT_E_NS1_11comp_targetILNS1_3genE0ELNS1_11target_archE4294967295ELNS1_3gpuE0ELNS1_3repE0EEENS1_30default_config_static_selectorELNS0_4arch9wavefront6targetE1EEEvT1_,"axG",@progbits,_ZN7rocprim17ROCPRIM_400000_NS6detail17trampoline_kernelINS0_14default_configENS1_35adjacent_difference_config_selectorILb1ElEEZNS1_24adjacent_difference_implIS3_Lb1ELb0EPlS7_ZN2at6native12_GLOBAL__N_124unique_dim_cuda_templateIfEESt5tupleIJNS8_6TensorESD_SD_EERKSD_lbbbEUlllE1_EE10hipError_tPvRmT2_T3_mT4_P12ihipStream_tbEUlT_E_NS1_11comp_targetILNS1_3genE0ELNS1_11target_archE4294967295ELNS1_3gpuE0ELNS1_3repE0EEENS1_30default_config_static_selectorELNS0_4arch9wavefront6targetE1EEEvT1_,comdat
.Lfunc_end921:
	.size	_ZN7rocprim17ROCPRIM_400000_NS6detail17trampoline_kernelINS0_14default_configENS1_35adjacent_difference_config_selectorILb1ElEEZNS1_24adjacent_difference_implIS3_Lb1ELb0EPlS7_ZN2at6native12_GLOBAL__N_124unique_dim_cuda_templateIfEESt5tupleIJNS8_6TensorESD_SD_EERKSD_lbbbEUlllE1_EE10hipError_tPvRmT2_T3_mT4_P12ihipStream_tbEUlT_E_NS1_11comp_targetILNS1_3genE0ELNS1_11target_archE4294967295ELNS1_3gpuE0ELNS1_3repE0EEENS1_30default_config_static_selectorELNS0_4arch9wavefront6targetE1EEEvT1_, .Lfunc_end921-_ZN7rocprim17ROCPRIM_400000_NS6detail17trampoline_kernelINS0_14default_configENS1_35adjacent_difference_config_selectorILb1ElEEZNS1_24adjacent_difference_implIS3_Lb1ELb0EPlS7_ZN2at6native12_GLOBAL__N_124unique_dim_cuda_templateIfEESt5tupleIJNS8_6TensorESD_SD_EERKSD_lbbbEUlllE1_EE10hipError_tPvRmT2_T3_mT4_P12ihipStream_tbEUlT_E_NS1_11comp_targetILNS1_3genE0ELNS1_11target_archE4294967295ELNS1_3gpuE0ELNS1_3repE0EEENS1_30default_config_static_selectorELNS0_4arch9wavefront6targetE1EEEvT1_
                                        ; -- End function
	.set _ZN7rocprim17ROCPRIM_400000_NS6detail17trampoline_kernelINS0_14default_configENS1_35adjacent_difference_config_selectorILb1ElEEZNS1_24adjacent_difference_implIS3_Lb1ELb0EPlS7_ZN2at6native12_GLOBAL__N_124unique_dim_cuda_templateIfEESt5tupleIJNS8_6TensorESD_SD_EERKSD_lbbbEUlllE1_EE10hipError_tPvRmT2_T3_mT4_P12ihipStream_tbEUlT_E_NS1_11comp_targetILNS1_3genE0ELNS1_11target_archE4294967295ELNS1_3gpuE0ELNS1_3repE0EEENS1_30default_config_static_selectorELNS0_4arch9wavefront6targetE1EEEvT1_.num_vgpr, 16
	.set _ZN7rocprim17ROCPRIM_400000_NS6detail17trampoline_kernelINS0_14default_configENS1_35adjacent_difference_config_selectorILb1ElEEZNS1_24adjacent_difference_implIS3_Lb1ELb0EPlS7_ZN2at6native12_GLOBAL__N_124unique_dim_cuda_templateIfEESt5tupleIJNS8_6TensorESD_SD_EERKSD_lbbbEUlllE1_EE10hipError_tPvRmT2_T3_mT4_P12ihipStream_tbEUlT_E_NS1_11comp_targetILNS1_3genE0ELNS1_11target_archE4294967295ELNS1_3gpuE0ELNS1_3repE0EEENS1_30default_config_static_selectorELNS0_4arch9wavefront6targetE1EEEvT1_.num_agpr, 0
	.set _ZN7rocprim17ROCPRIM_400000_NS6detail17trampoline_kernelINS0_14default_configENS1_35adjacent_difference_config_selectorILb1ElEEZNS1_24adjacent_difference_implIS3_Lb1ELb0EPlS7_ZN2at6native12_GLOBAL__N_124unique_dim_cuda_templateIfEESt5tupleIJNS8_6TensorESD_SD_EERKSD_lbbbEUlllE1_EE10hipError_tPvRmT2_T3_mT4_P12ihipStream_tbEUlT_E_NS1_11comp_targetILNS1_3genE0ELNS1_11target_archE4294967295ELNS1_3gpuE0ELNS1_3repE0EEENS1_30default_config_static_selectorELNS0_4arch9wavefront6targetE1EEEvT1_.numbered_sgpr, 36
	.set _ZN7rocprim17ROCPRIM_400000_NS6detail17trampoline_kernelINS0_14default_configENS1_35adjacent_difference_config_selectorILb1ElEEZNS1_24adjacent_difference_implIS3_Lb1ELb0EPlS7_ZN2at6native12_GLOBAL__N_124unique_dim_cuda_templateIfEESt5tupleIJNS8_6TensorESD_SD_EERKSD_lbbbEUlllE1_EE10hipError_tPvRmT2_T3_mT4_P12ihipStream_tbEUlT_E_NS1_11comp_targetILNS1_3genE0ELNS1_11target_archE4294967295ELNS1_3gpuE0ELNS1_3repE0EEENS1_30default_config_static_selectorELNS0_4arch9wavefront6targetE1EEEvT1_.num_named_barrier, 0
	.set _ZN7rocprim17ROCPRIM_400000_NS6detail17trampoline_kernelINS0_14default_configENS1_35adjacent_difference_config_selectorILb1ElEEZNS1_24adjacent_difference_implIS3_Lb1ELb0EPlS7_ZN2at6native12_GLOBAL__N_124unique_dim_cuda_templateIfEESt5tupleIJNS8_6TensorESD_SD_EERKSD_lbbbEUlllE1_EE10hipError_tPvRmT2_T3_mT4_P12ihipStream_tbEUlT_E_NS1_11comp_targetILNS1_3genE0ELNS1_11target_archE4294967295ELNS1_3gpuE0ELNS1_3repE0EEENS1_30default_config_static_selectorELNS0_4arch9wavefront6targetE1EEEvT1_.private_seg_size, 0
	.set _ZN7rocprim17ROCPRIM_400000_NS6detail17trampoline_kernelINS0_14default_configENS1_35adjacent_difference_config_selectorILb1ElEEZNS1_24adjacent_difference_implIS3_Lb1ELb0EPlS7_ZN2at6native12_GLOBAL__N_124unique_dim_cuda_templateIfEESt5tupleIJNS8_6TensorESD_SD_EERKSD_lbbbEUlllE1_EE10hipError_tPvRmT2_T3_mT4_P12ihipStream_tbEUlT_E_NS1_11comp_targetILNS1_3genE0ELNS1_11target_archE4294967295ELNS1_3gpuE0ELNS1_3repE0EEENS1_30default_config_static_selectorELNS0_4arch9wavefront6targetE1EEEvT1_.uses_vcc, 1
	.set _ZN7rocprim17ROCPRIM_400000_NS6detail17trampoline_kernelINS0_14default_configENS1_35adjacent_difference_config_selectorILb1ElEEZNS1_24adjacent_difference_implIS3_Lb1ELb0EPlS7_ZN2at6native12_GLOBAL__N_124unique_dim_cuda_templateIfEESt5tupleIJNS8_6TensorESD_SD_EERKSD_lbbbEUlllE1_EE10hipError_tPvRmT2_T3_mT4_P12ihipStream_tbEUlT_E_NS1_11comp_targetILNS1_3genE0ELNS1_11target_archE4294967295ELNS1_3gpuE0ELNS1_3repE0EEENS1_30default_config_static_selectorELNS0_4arch9wavefront6targetE1EEEvT1_.uses_flat_scratch, 0
	.set _ZN7rocprim17ROCPRIM_400000_NS6detail17trampoline_kernelINS0_14default_configENS1_35adjacent_difference_config_selectorILb1ElEEZNS1_24adjacent_difference_implIS3_Lb1ELb0EPlS7_ZN2at6native12_GLOBAL__N_124unique_dim_cuda_templateIfEESt5tupleIJNS8_6TensorESD_SD_EERKSD_lbbbEUlllE1_EE10hipError_tPvRmT2_T3_mT4_P12ihipStream_tbEUlT_E_NS1_11comp_targetILNS1_3genE0ELNS1_11target_archE4294967295ELNS1_3gpuE0ELNS1_3repE0EEENS1_30default_config_static_selectorELNS0_4arch9wavefront6targetE1EEEvT1_.has_dyn_sized_stack, 0
	.set _ZN7rocprim17ROCPRIM_400000_NS6detail17trampoline_kernelINS0_14default_configENS1_35adjacent_difference_config_selectorILb1ElEEZNS1_24adjacent_difference_implIS3_Lb1ELb0EPlS7_ZN2at6native12_GLOBAL__N_124unique_dim_cuda_templateIfEESt5tupleIJNS8_6TensorESD_SD_EERKSD_lbbbEUlllE1_EE10hipError_tPvRmT2_T3_mT4_P12ihipStream_tbEUlT_E_NS1_11comp_targetILNS1_3genE0ELNS1_11target_archE4294967295ELNS1_3gpuE0ELNS1_3repE0EEENS1_30default_config_static_selectorELNS0_4arch9wavefront6targetE1EEEvT1_.has_recursion, 0
	.set _ZN7rocprim17ROCPRIM_400000_NS6detail17trampoline_kernelINS0_14default_configENS1_35adjacent_difference_config_selectorILb1ElEEZNS1_24adjacent_difference_implIS3_Lb1ELb0EPlS7_ZN2at6native12_GLOBAL__N_124unique_dim_cuda_templateIfEESt5tupleIJNS8_6TensorESD_SD_EERKSD_lbbbEUlllE1_EE10hipError_tPvRmT2_T3_mT4_P12ihipStream_tbEUlT_E_NS1_11comp_targetILNS1_3genE0ELNS1_11target_archE4294967295ELNS1_3gpuE0ELNS1_3repE0EEENS1_30default_config_static_selectorELNS0_4arch9wavefront6targetE1EEEvT1_.has_indirect_call, 0
	.section	.AMDGPU.csdata,"",@progbits
; Kernel info:
; codeLenInByte = 3144
; TotalNumSgprs: 42
; NumVgprs: 16
; NumAgprs: 0
; TotalNumVgprs: 16
; ScratchSize: 0
; MemoryBound: 0
; FloatMode: 240
; IeeeMode: 1
; LDSByteSize: 8448 bytes/workgroup (compile time only)
; SGPRBlocks: 5
; VGPRBlocks: 1
; NumSGPRsForWavesPerEU: 42
; NumVGPRsForWavesPerEU: 16
; AccumOffset: 16
; Occupancy: 8
; WaveLimiterHint : 1
; COMPUTE_PGM_RSRC2:SCRATCH_EN: 0
; COMPUTE_PGM_RSRC2:USER_SGPR: 2
; COMPUTE_PGM_RSRC2:TRAP_HANDLER: 0
; COMPUTE_PGM_RSRC2:TGID_X_EN: 1
; COMPUTE_PGM_RSRC2:TGID_Y_EN: 0
; COMPUTE_PGM_RSRC2:TGID_Z_EN: 0
; COMPUTE_PGM_RSRC2:TIDIG_COMP_CNT: 0
; COMPUTE_PGM_RSRC3_GFX90A:ACCUM_OFFSET: 3
; COMPUTE_PGM_RSRC3_GFX90A:TG_SPLIT: 0
	.section	.text._ZN7rocprim17ROCPRIM_400000_NS6detail17trampoline_kernelINS0_14default_configENS1_35adjacent_difference_config_selectorILb1ElEEZNS1_24adjacent_difference_implIS3_Lb1ELb0EPlS7_ZN2at6native12_GLOBAL__N_124unique_dim_cuda_templateIfEESt5tupleIJNS8_6TensorESD_SD_EERKSD_lbbbEUlllE1_EE10hipError_tPvRmT2_T3_mT4_P12ihipStream_tbEUlT_E_NS1_11comp_targetILNS1_3genE10ELNS1_11target_archE1201ELNS1_3gpuE5ELNS1_3repE0EEENS1_30default_config_static_selectorELNS0_4arch9wavefront6targetE1EEEvT1_,"axG",@progbits,_ZN7rocprim17ROCPRIM_400000_NS6detail17trampoline_kernelINS0_14default_configENS1_35adjacent_difference_config_selectorILb1ElEEZNS1_24adjacent_difference_implIS3_Lb1ELb0EPlS7_ZN2at6native12_GLOBAL__N_124unique_dim_cuda_templateIfEESt5tupleIJNS8_6TensorESD_SD_EERKSD_lbbbEUlllE1_EE10hipError_tPvRmT2_T3_mT4_P12ihipStream_tbEUlT_E_NS1_11comp_targetILNS1_3genE10ELNS1_11target_archE1201ELNS1_3gpuE5ELNS1_3repE0EEENS1_30default_config_static_selectorELNS0_4arch9wavefront6targetE1EEEvT1_,comdat
	.globl	_ZN7rocprim17ROCPRIM_400000_NS6detail17trampoline_kernelINS0_14default_configENS1_35adjacent_difference_config_selectorILb1ElEEZNS1_24adjacent_difference_implIS3_Lb1ELb0EPlS7_ZN2at6native12_GLOBAL__N_124unique_dim_cuda_templateIfEESt5tupleIJNS8_6TensorESD_SD_EERKSD_lbbbEUlllE1_EE10hipError_tPvRmT2_T3_mT4_P12ihipStream_tbEUlT_E_NS1_11comp_targetILNS1_3genE10ELNS1_11target_archE1201ELNS1_3gpuE5ELNS1_3repE0EEENS1_30default_config_static_selectorELNS0_4arch9wavefront6targetE1EEEvT1_ ; -- Begin function _ZN7rocprim17ROCPRIM_400000_NS6detail17trampoline_kernelINS0_14default_configENS1_35adjacent_difference_config_selectorILb1ElEEZNS1_24adjacent_difference_implIS3_Lb1ELb0EPlS7_ZN2at6native12_GLOBAL__N_124unique_dim_cuda_templateIfEESt5tupleIJNS8_6TensorESD_SD_EERKSD_lbbbEUlllE1_EE10hipError_tPvRmT2_T3_mT4_P12ihipStream_tbEUlT_E_NS1_11comp_targetILNS1_3genE10ELNS1_11target_archE1201ELNS1_3gpuE5ELNS1_3repE0EEENS1_30default_config_static_selectorELNS0_4arch9wavefront6targetE1EEEvT1_
	.p2align	8
	.type	_ZN7rocprim17ROCPRIM_400000_NS6detail17trampoline_kernelINS0_14default_configENS1_35adjacent_difference_config_selectorILb1ElEEZNS1_24adjacent_difference_implIS3_Lb1ELb0EPlS7_ZN2at6native12_GLOBAL__N_124unique_dim_cuda_templateIfEESt5tupleIJNS8_6TensorESD_SD_EERKSD_lbbbEUlllE1_EE10hipError_tPvRmT2_T3_mT4_P12ihipStream_tbEUlT_E_NS1_11comp_targetILNS1_3genE10ELNS1_11target_archE1201ELNS1_3gpuE5ELNS1_3repE0EEENS1_30default_config_static_selectorELNS0_4arch9wavefront6targetE1EEEvT1_,@function
_ZN7rocprim17ROCPRIM_400000_NS6detail17trampoline_kernelINS0_14default_configENS1_35adjacent_difference_config_selectorILb1ElEEZNS1_24adjacent_difference_implIS3_Lb1ELb0EPlS7_ZN2at6native12_GLOBAL__N_124unique_dim_cuda_templateIfEESt5tupleIJNS8_6TensorESD_SD_EERKSD_lbbbEUlllE1_EE10hipError_tPvRmT2_T3_mT4_P12ihipStream_tbEUlT_E_NS1_11comp_targetILNS1_3genE10ELNS1_11target_archE1201ELNS1_3gpuE5ELNS1_3repE0EEENS1_30default_config_static_selectorELNS0_4arch9wavefront6targetE1EEEvT1_: ; @_ZN7rocprim17ROCPRIM_400000_NS6detail17trampoline_kernelINS0_14default_configENS1_35adjacent_difference_config_selectorILb1ElEEZNS1_24adjacent_difference_implIS3_Lb1ELb0EPlS7_ZN2at6native12_GLOBAL__N_124unique_dim_cuda_templateIfEESt5tupleIJNS8_6TensorESD_SD_EERKSD_lbbbEUlllE1_EE10hipError_tPvRmT2_T3_mT4_P12ihipStream_tbEUlT_E_NS1_11comp_targetILNS1_3genE10ELNS1_11target_archE1201ELNS1_3gpuE5ELNS1_3repE0EEENS1_30default_config_static_selectorELNS0_4arch9wavefront6targetE1EEEvT1_
; %bb.0:
	.section	.rodata,"a",@progbits
	.p2align	6, 0x0
	.amdhsa_kernel _ZN7rocprim17ROCPRIM_400000_NS6detail17trampoline_kernelINS0_14default_configENS1_35adjacent_difference_config_selectorILb1ElEEZNS1_24adjacent_difference_implIS3_Lb1ELb0EPlS7_ZN2at6native12_GLOBAL__N_124unique_dim_cuda_templateIfEESt5tupleIJNS8_6TensorESD_SD_EERKSD_lbbbEUlllE1_EE10hipError_tPvRmT2_T3_mT4_P12ihipStream_tbEUlT_E_NS1_11comp_targetILNS1_3genE10ELNS1_11target_archE1201ELNS1_3gpuE5ELNS1_3repE0EEENS1_30default_config_static_selectorELNS0_4arch9wavefront6targetE1EEEvT1_
		.amdhsa_group_segment_fixed_size 0
		.amdhsa_private_segment_fixed_size 0
		.amdhsa_kernarg_size 64
		.amdhsa_user_sgpr_count 2
		.amdhsa_user_sgpr_dispatch_ptr 0
		.amdhsa_user_sgpr_queue_ptr 0
		.amdhsa_user_sgpr_kernarg_segment_ptr 1
		.amdhsa_user_sgpr_dispatch_id 0
		.amdhsa_user_sgpr_kernarg_preload_length 0
		.amdhsa_user_sgpr_kernarg_preload_offset 0
		.amdhsa_user_sgpr_private_segment_size 0
		.amdhsa_uses_dynamic_stack 0
		.amdhsa_enable_private_segment 0
		.amdhsa_system_sgpr_workgroup_id_x 1
		.amdhsa_system_sgpr_workgroup_id_y 0
		.amdhsa_system_sgpr_workgroup_id_z 0
		.amdhsa_system_sgpr_workgroup_info 0
		.amdhsa_system_vgpr_workitem_id 0
		.amdhsa_next_free_vgpr 1
		.amdhsa_next_free_sgpr 0
		.amdhsa_accum_offset 4
		.amdhsa_reserve_vcc 0
		.amdhsa_float_round_mode_32 0
		.amdhsa_float_round_mode_16_64 0
		.amdhsa_float_denorm_mode_32 3
		.amdhsa_float_denorm_mode_16_64 3
		.amdhsa_dx10_clamp 1
		.amdhsa_ieee_mode 1
		.amdhsa_fp16_overflow 0
		.amdhsa_tg_split 0
		.amdhsa_exception_fp_ieee_invalid_op 0
		.amdhsa_exception_fp_denorm_src 0
		.amdhsa_exception_fp_ieee_div_zero 0
		.amdhsa_exception_fp_ieee_overflow 0
		.amdhsa_exception_fp_ieee_underflow 0
		.amdhsa_exception_fp_ieee_inexact 0
		.amdhsa_exception_int_div_zero 0
	.end_amdhsa_kernel
	.section	.text._ZN7rocprim17ROCPRIM_400000_NS6detail17trampoline_kernelINS0_14default_configENS1_35adjacent_difference_config_selectorILb1ElEEZNS1_24adjacent_difference_implIS3_Lb1ELb0EPlS7_ZN2at6native12_GLOBAL__N_124unique_dim_cuda_templateIfEESt5tupleIJNS8_6TensorESD_SD_EERKSD_lbbbEUlllE1_EE10hipError_tPvRmT2_T3_mT4_P12ihipStream_tbEUlT_E_NS1_11comp_targetILNS1_3genE10ELNS1_11target_archE1201ELNS1_3gpuE5ELNS1_3repE0EEENS1_30default_config_static_selectorELNS0_4arch9wavefront6targetE1EEEvT1_,"axG",@progbits,_ZN7rocprim17ROCPRIM_400000_NS6detail17trampoline_kernelINS0_14default_configENS1_35adjacent_difference_config_selectorILb1ElEEZNS1_24adjacent_difference_implIS3_Lb1ELb0EPlS7_ZN2at6native12_GLOBAL__N_124unique_dim_cuda_templateIfEESt5tupleIJNS8_6TensorESD_SD_EERKSD_lbbbEUlllE1_EE10hipError_tPvRmT2_T3_mT4_P12ihipStream_tbEUlT_E_NS1_11comp_targetILNS1_3genE10ELNS1_11target_archE1201ELNS1_3gpuE5ELNS1_3repE0EEENS1_30default_config_static_selectorELNS0_4arch9wavefront6targetE1EEEvT1_,comdat
.Lfunc_end922:
	.size	_ZN7rocprim17ROCPRIM_400000_NS6detail17trampoline_kernelINS0_14default_configENS1_35adjacent_difference_config_selectorILb1ElEEZNS1_24adjacent_difference_implIS3_Lb1ELb0EPlS7_ZN2at6native12_GLOBAL__N_124unique_dim_cuda_templateIfEESt5tupleIJNS8_6TensorESD_SD_EERKSD_lbbbEUlllE1_EE10hipError_tPvRmT2_T3_mT4_P12ihipStream_tbEUlT_E_NS1_11comp_targetILNS1_3genE10ELNS1_11target_archE1201ELNS1_3gpuE5ELNS1_3repE0EEENS1_30default_config_static_selectorELNS0_4arch9wavefront6targetE1EEEvT1_, .Lfunc_end922-_ZN7rocprim17ROCPRIM_400000_NS6detail17trampoline_kernelINS0_14default_configENS1_35adjacent_difference_config_selectorILb1ElEEZNS1_24adjacent_difference_implIS3_Lb1ELb0EPlS7_ZN2at6native12_GLOBAL__N_124unique_dim_cuda_templateIfEESt5tupleIJNS8_6TensorESD_SD_EERKSD_lbbbEUlllE1_EE10hipError_tPvRmT2_T3_mT4_P12ihipStream_tbEUlT_E_NS1_11comp_targetILNS1_3genE10ELNS1_11target_archE1201ELNS1_3gpuE5ELNS1_3repE0EEENS1_30default_config_static_selectorELNS0_4arch9wavefront6targetE1EEEvT1_
                                        ; -- End function
	.set _ZN7rocprim17ROCPRIM_400000_NS6detail17trampoline_kernelINS0_14default_configENS1_35adjacent_difference_config_selectorILb1ElEEZNS1_24adjacent_difference_implIS3_Lb1ELb0EPlS7_ZN2at6native12_GLOBAL__N_124unique_dim_cuda_templateIfEESt5tupleIJNS8_6TensorESD_SD_EERKSD_lbbbEUlllE1_EE10hipError_tPvRmT2_T3_mT4_P12ihipStream_tbEUlT_E_NS1_11comp_targetILNS1_3genE10ELNS1_11target_archE1201ELNS1_3gpuE5ELNS1_3repE0EEENS1_30default_config_static_selectorELNS0_4arch9wavefront6targetE1EEEvT1_.num_vgpr, 0
	.set _ZN7rocprim17ROCPRIM_400000_NS6detail17trampoline_kernelINS0_14default_configENS1_35adjacent_difference_config_selectorILb1ElEEZNS1_24adjacent_difference_implIS3_Lb1ELb0EPlS7_ZN2at6native12_GLOBAL__N_124unique_dim_cuda_templateIfEESt5tupleIJNS8_6TensorESD_SD_EERKSD_lbbbEUlllE1_EE10hipError_tPvRmT2_T3_mT4_P12ihipStream_tbEUlT_E_NS1_11comp_targetILNS1_3genE10ELNS1_11target_archE1201ELNS1_3gpuE5ELNS1_3repE0EEENS1_30default_config_static_selectorELNS0_4arch9wavefront6targetE1EEEvT1_.num_agpr, 0
	.set _ZN7rocprim17ROCPRIM_400000_NS6detail17trampoline_kernelINS0_14default_configENS1_35adjacent_difference_config_selectorILb1ElEEZNS1_24adjacent_difference_implIS3_Lb1ELb0EPlS7_ZN2at6native12_GLOBAL__N_124unique_dim_cuda_templateIfEESt5tupleIJNS8_6TensorESD_SD_EERKSD_lbbbEUlllE1_EE10hipError_tPvRmT2_T3_mT4_P12ihipStream_tbEUlT_E_NS1_11comp_targetILNS1_3genE10ELNS1_11target_archE1201ELNS1_3gpuE5ELNS1_3repE0EEENS1_30default_config_static_selectorELNS0_4arch9wavefront6targetE1EEEvT1_.numbered_sgpr, 0
	.set _ZN7rocprim17ROCPRIM_400000_NS6detail17trampoline_kernelINS0_14default_configENS1_35adjacent_difference_config_selectorILb1ElEEZNS1_24adjacent_difference_implIS3_Lb1ELb0EPlS7_ZN2at6native12_GLOBAL__N_124unique_dim_cuda_templateIfEESt5tupleIJNS8_6TensorESD_SD_EERKSD_lbbbEUlllE1_EE10hipError_tPvRmT2_T3_mT4_P12ihipStream_tbEUlT_E_NS1_11comp_targetILNS1_3genE10ELNS1_11target_archE1201ELNS1_3gpuE5ELNS1_3repE0EEENS1_30default_config_static_selectorELNS0_4arch9wavefront6targetE1EEEvT1_.num_named_barrier, 0
	.set _ZN7rocprim17ROCPRIM_400000_NS6detail17trampoline_kernelINS0_14default_configENS1_35adjacent_difference_config_selectorILb1ElEEZNS1_24adjacent_difference_implIS3_Lb1ELb0EPlS7_ZN2at6native12_GLOBAL__N_124unique_dim_cuda_templateIfEESt5tupleIJNS8_6TensorESD_SD_EERKSD_lbbbEUlllE1_EE10hipError_tPvRmT2_T3_mT4_P12ihipStream_tbEUlT_E_NS1_11comp_targetILNS1_3genE10ELNS1_11target_archE1201ELNS1_3gpuE5ELNS1_3repE0EEENS1_30default_config_static_selectorELNS0_4arch9wavefront6targetE1EEEvT1_.private_seg_size, 0
	.set _ZN7rocprim17ROCPRIM_400000_NS6detail17trampoline_kernelINS0_14default_configENS1_35adjacent_difference_config_selectorILb1ElEEZNS1_24adjacent_difference_implIS3_Lb1ELb0EPlS7_ZN2at6native12_GLOBAL__N_124unique_dim_cuda_templateIfEESt5tupleIJNS8_6TensorESD_SD_EERKSD_lbbbEUlllE1_EE10hipError_tPvRmT2_T3_mT4_P12ihipStream_tbEUlT_E_NS1_11comp_targetILNS1_3genE10ELNS1_11target_archE1201ELNS1_3gpuE5ELNS1_3repE0EEENS1_30default_config_static_selectorELNS0_4arch9wavefront6targetE1EEEvT1_.uses_vcc, 0
	.set _ZN7rocprim17ROCPRIM_400000_NS6detail17trampoline_kernelINS0_14default_configENS1_35adjacent_difference_config_selectorILb1ElEEZNS1_24adjacent_difference_implIS3_Lb1ELb0EPlS7_ZN2at6native12_GLOBAL__N_124unique_dim_cuda_templateIfEESt5tupleIJNS8_6TensorESD_SD_EERKSD_lbbbEUlllE1_EE10hipError_tPvRmT2_T3_mT4_P12ihipStream_tbEUlT_E_NS1_11comp_targetILNS1_3genE10ELNS1_11target_archE1201ELNS1_3gpuE5ELNS1_3repE0EEENS1_30default_config_static_selectorELNS0_4arch9wavefront6targetE1EEEvT1_.uses_flat_scratch, 0
	.set _ZN7rocprim17ROCPRIM_400000_NS6detail17trampoline_kernelINS0_14default_configENS1_35adjacent_difference_config_selectorILb1ElEEZNS1_24adjacent_difference_implIS3_Lb1ELb0EPlS7_ZN2at6native12_GLOBAL__N_124unique_dim_cuda_templateIfEESt5tupleIJNS8_6TensorESD_SD_EERKSD_lbbbEUlllE1_EE10hipError_tPvRmT2_T3_mT4_P12ihipStream_tbEUlT_E_NS1_11comp_targetILNS1_3genE10ELNS1_11target_archE1201ELNS1_3gpuE5ELNS1_3repE0EEENS1_30default_config_static_selectorELNS0_4arch9wavefront6targetE1EEEvT1_.has_dyn_sized_stack, 0
	.set _ZN7rocprim17ROCPRIM_400000_NS6detail17trampoline_kernelINS0_14default_configENS1_35adjacent_difference_config_selectorILb1ElEEZNS1_24adjacent_difference_implIS3_Lb1ELb0EPlS7_ZN2at6native12_GLOBAL__N_124unique_dim_cuda_templateIfEESt5tupleIJNS8_6TensorESD_SD_EERKSD_lbbbEUlllE1_EE10hipError_tPvRmT2_T3_mT4_P12ihipStream_tbEUlT_E_NS1_11comp_targetILNS1_3genE10ELNS1_11target_archE1201ELNS1_3gpuE5ELNS1_3repE0EEENS1_30default_config_static_selectorELNS0_4arch9wavefront6targetE1EEEvT1_.has_recursion, 0
	.set _ZN7rocprim17ROCPRIM_400000_NS6detail17trampoline_kernelINS0_14default_configENS1_35adjacent_difference_config_selectorILb1ElEEZNS1_24adjacent_difference_implIS3_Lb1ELb0EPlS7_ZN2at6native12_GLOBAL__N_124unique_dim_cuda_templateIfEESt5tupleIJNS8_6TensorESD_SD_EERKSD_lbbbEUlllE1_EE10hipError_tPvRmT2_T3_mT4_P12ihipStream_tbEUlT_E_NS1_11comp_targetILNS1_3genE10ELNS1_11target_archE1201ELNS1_3gpuE5ELNS1_3repE0EEENS1_30default_config_static_selectorELNS0_4arch9wavefront6targetE1EEEvT1_.has_indirect_call, 0
	.section	.AMDGPU.csdata,"",@progbits
; Kernel info:
; codeLenInByte = 0
; TotalNumSgprs: 6
; NumVgprs: 0
; NumAgprs: 0
; TotalNumVgprs: 0
; ScratchSize: 0
; MemoryBound: 0
; FloatMode: 240
; IeeeMode: 1
; LDSByteSize: 0 bytes/workgroup (compile time only)
; SGPRBlocks: 0
; VGPRBlocks: 0
; NumSGPRsForWavesPerEU: 6
; NumVGPRsForWavesPerEU: 1
; AccumOffset: 4
; Occupancy: 8
; WaveLimiterHint : 0
; COMPUTE_PGM_RSRC2:SCRATCH_EN: 0
; COMPUTE_PGM_RSRC2:USER_SGPR: 2
; COMPUTE_PGM_RSRC2:TRAP_HANDLER: 0
; COMPUTE_PGM_RSRC2:TGID_X_EN: 1
; COMPUTE_PGM_RSRC2:TGID_Y_EN: 0
; COMPUTE_PGM_RSRC2:TGID_Z_EN: 0
; COMPUTE_PGM_RSRC2:TIDIG_COMP_CNT: 0
; COMPUTE_PGM_RSRC3_GFX90A:ACCUM_OFFSET: 0
; COMPUTE_PGM_RSRC3_GFX90A:TG_SPLIT: 0
	.section	.text._ZN7rocprim17ROCPRIM_400000_NS6detail17trampoline_kernelINS0_14default_configENS1_35adjacent_difference_config_selectorILb1ElEEZNS1_24adjacent_difference_implIS3_Lb1ELb0EPlS7_ZN2at6native12_GLOBAL__N_124unique_dim_cuda_templateIfEESt5tupleIJNS8_6TensorESD_SD_EERKSD_lbbbEUlllE1_EE10hipError_tPvRmT2_T3_mT4_P12ihipStream_tbEUlT_E_NS1_11comp_targetILNS1_3genE5ELNS1_11target_archE942ELNS1_3gpuE9ELNS1_3repE0EEENS1_30default_config_static_selectorELNS0_4arch9wavefront6targetE1EEEvT1_,"axG",@progbits,_ZN7rocprim17ROCPRIM_400000_NS6detail17trampoline_kernelINS0_14default_configENS1_35adjacent_difference_config_selectorILb1ElEEZNS1_24adjacent_difference_implIS3_Lb1ELb0EPlS7_ZN2at6native12_GLOBAL__N_124unique_dim_cuda_templateIfEESt5tupleIJNS8_6TensorESD_SD_EERKSD_lbbbEUlllE1_EE10hipError_tPvRmT2_T3_mT4_P12ihipStream_tbEUlT_E_NS1_11comp_targetILNS1_3genE5ELNS1_11target_archE942ELNS1_3gpuE9ELNS1_3repE0EEENS1_30default_config_static_selectorELNS0_4arch9wavefront6targetE1EEEvT1_,comdat
	.globl	_ZN7rocprim17ROCPRIM_400000_NS6detail17trampoline_kernelINS0_14default_configENS1_35adjacent_difference_config_selectorILb1ElEEZNS1_24adjacent_difference_implIS3_Lb1ELb0EPlS7_ZN2at6native12_GLOBAL__N_124unique_dim_cuda_templateIfEESt5tupleIJNS8_6TensorESD_SD_EERKSD_lbbbEUlllE1_EE10hipError_tPvRmT2_T3_mT4_P12ihipStream_tbEUlT_E_NS1_11comp_targetILNS1_3genE5ELNS1_11target_archE942ELNS1_3gpuE9ELNS1_3repE0EEENS1_30default_config_static_selectorELNS0_4arch9wavefront6targetE1EEEvT1_ ; -- Begin function _ZN7rocprim17ROCPRIM_400000_NS6detail17trampoline_kernelINS0_14default_configENS1_35adjacent_difference_config_selectorILb1ElEEZNS1_24adjacent_difference_implIS3_Lb1ELb0EPlS7_ZN2at6native12_GLOBAL__N_124unique_dim_cuda_templateIfEESt5tupleIJNS8_6TensorESD_SD_EERKSD_lbbbEUlllE1_EE10hipError_tPvRmT2_T3_mT4_P12ihipStream_tbEUlT_E_NS1_11comp_targetILNS1_3genE5ELNS1_11target_archE942ELNS1_3gpuE9ELNS1_3repE0EEENS1_30default_config_static_selectorELNS0_4arch9wavefront6targetE1EEEvT1_
	.p2align	8
	.type	_ZN7rocprim17ROCPRIM_400000_NS6detail17trampoline_kernelINS0_14default_configENS1_35adjacent_difference_config_selectorILb1ElEEZNS1_24adjacent_difference_implIS3_Lb1ELb0EPlS7_ZN2at6native12_GLOBAL__N_124unique_dim_cuda_templateIfEESt5tupleIJNS8_6TensorESD_SD_EERKSD_lbbbEUlllE1_EE10hipError_tPvRmT2_T3_mT4_P12ihipStream_tbEUlT_E_NS1_11comp_targetILNS1_3genE5ELNS1_11target_archE942ELNS1_3gpuE9ELNS1_3repE0EEENS1_30default_config_static_selectorELNS0_4arch9wavefront6targetE1EEEvT1_,@function
_ZN7rocprim17ROCPRIM_400000_NS6detail17trampoline_kernelINS0_14default_configENS1_35adjacent_difference_config_selectorILb1ElEEZNS1_24adjacent_difference_implIS3_Lb1ELb0EPlS7_ZN2at6native12_GLOBAL__N_124unique_dim_cuda_templateIfEESt5tupleIJNS8_6TensorESD_SD_EERKSD_lbbbEUlllE1_EE10hipError_tPvRmT2_T3_mT4_P12ihipStream_tbEUlT_E_NS1_11comp_targetILNS1_3genE5ELNS1_11target_archE942ELNS1_3gpuE9ELNS1_3repE0EEENS1_30default_config_static_selectorELNS0_4arch9wavefront6targetE1EEEvT1_: ; @_ZN7rocprim17ROCPRIM_400000_NS6detail17trampoline_kernelINS0_14default_configENS1_35adjacent_difference_config_selectorILb1ElEEZNS1_24adjacent_difference_implIS3_Lb1ELb0EPlS7_ZN2at6native12_GLOBAL__N_124unique_dim_cuda_templateIfEESt5tupleIJNS8_6TensorESD_SD_EERKSD_lbbbEUlllE1_EE10hipError_tPvRmT2_T3_mT4_P12ihipStream_tbEUlT_E_NS1_11comp_targetILNS1_3genE5ELNS1_11target_archE942ELNS1_3gpuE9ELNS1_3repE0EEENS1_30default_config_static_selectorELNS0_4arch9wavefront6targetE1EEEvT1_
; %bb.0:
	.section	.rodata,"a",@progbits
	.p2align	6, 0x0
	.amdhsa_kernel _ZN7rocprim17ROCPRIM_400000_NS6detail17trampoline_kernelINS0_14default_configENS1_35adjacent_difference_config_selectorILb1ElEEZNS1_24adjacent_difference_implIS3_Lb1ELb0EPlS7_ZN2at6native12_GLOBAL__N_124unique_dim_cuda_templateIfEESt5tupleIJNS8_6TensorESD_SD_EERKSD_lbbbEUlllE1_EE10hipError_tPvRmT2_T3_mT4_P12ihipStream_tbEUlT_E_NS1_11comp_targetILNS1_3genE5ELNS1_11target_archE942ELNS1_3gpuE9ELNS1_3repE0EEENS1_30default_config_static_selectorELNS0_4arch9wavefront6targetE1EEEvT1_
		.amdhsa_group_segment_fixed_size 0
		.amdhsa_private_segment_fixed_size 0
		.amdhsa_kernarg_size 64
		.amdhsa_user_sgpr_count 2
		.amdhsa_user_sgpr_dispatch_ptr 0
		.amdhsa_user_sgpr_queue_ptr 0
		.amdhsa_user_sgpr_kernarg_segment_ptr 1
		.amdhsa_user_sgpr_dispatch_id 0
		.amdhsa_user_sgpr_kernarg_preload_length 0
		.amdhsa_user_sgpr_kernarg_preload_offset 0
		.amdhsa_user_sgpr_private_segment_size 0
		.amdhsa_uses_dynamic_stack 0
		.amdhsa_enable_private_segment 0
		.amdhsa_system_sgpr_workgroup_id_x 1
		.amdhsa_system_sgpr_workgroup_id_y 0
		.amdhsa_system_sgpr_workgroup_id_z 0
		.amdhsa_system_sgpr_workgroup_info 0
		.amdhsa_system_vgpr_workitem_id 0
		.amdhsa_next_free_vgpr 1
		.amdhsa_next_free_sgpr 0
		.amdhsa_accum_offset 4
		.amdhsa_reserve_vcc 0
		.amdhsa_float_round_mode_32 0
		.amdhsa_float_round_mode_16_64 0
		.amdhsa_float_denorm_mode_32 3
		.amdhsa_float_denorm_mode_16_64 3
		.amdhsa_dx10_clamp 1
		.amdhsa_ieee_mode 1
		.amdhsa_fp16_overflow 0
		.amdhsa_tg_split 0
		.amdhsa_exception_fp_ieee_invalid_op 0
		.amdhsa_exception_fp_denorm_src 0
		.amdhsa_exception_fp_ieee_div_zero 0
		.amdhsa_exception_fp_ieee_overflow 0
		.amdhsa_exception_fp_ieee_underflow 0
		.amdhsa_exception_fp_ieee_inexact 0
		.amdhsa_exception_int_div_zero 0
	.end_amdhsa_kernel
	.section	.text._ZN7rocprim17ROCPRIM_400000_NS6detail17trampoline_kernelINS0_14default_configENS1_35adjacent_difference_config_selectorILb1ElEEZNS1_24adjacent_difference_implIS3_Lb1ELb0EPlS7_ZN2at6native12_GLOBAL__N_124unique_dim_cuda_templateIfEESt5tupleIJNS8_6TensorESD_SD_EERKSD_lbbbEUlllE1_EE10hipError_tPvRmT2_T3_mT4_P12ihipStream_tbEUlT_E_NS1_11comp_targetILNS1_3genE5ELNS1_11target_archE942ELNS1_3gpuE9ELNS1_3repE0EEENS1_30default_config_static_selectorELNS0_4arch9wavefront6targetE1EEEvT1_,"axG",@progbits,_ZN7rocprim17ROCPRIM_400000_NS6detail17trampoline_kernelINS0_14default_configENS1_35adjacent_difference_config_selectorILb1ElEEZNS1_24adjacent_difference_implIS3_Lb1ELb0EPlS7_ZN2at6native12_GLOBAL__N_124unique_dim_cuda_templateIfEESt5tupleIJNS8_6TensorESD_SD_EERKSD_lbbbEUlllE1_EE10hipError_tPvRmT2_T3_mT4_P12ihipStream_tbEUlT_E_NS1_11comp_targetILNS1_3genE5ELNS1_11target_archE942ELNS1_3gpuE9ELNS1_3repE0EEENS1_30default_config_static_selectorELNS0_4arch9wavefront6targetE1EEEvT1_,comdat
.Lfunc_end923:
	.size	_ZN7rocprim17ROCPRIM_400000_NS6detail17trampoline_kernelINS0_14default_configENS1_35adjacent_difference_config_selectorILb1ElEEZNS1_24adjacent_difference_implIS3_Lb1ELb0EPlS7_ZN2at6native12_GLOBAL__N_124unique_dim_cuda_templateIfEESt5tupleIJNS8_6TensorESD_SD_EERKSD_lbbbEUlllE1_EE10hipError_tPvRmT2_T3_mT4_P12ihipStream_tbEUlT_E_NS1_11comp_targetILNS1_3genE5ELNS1_11target_archE942ELNS1_3gpuE9ELNS1_3repE0EEENS1_30default_config_static_selectorELNS0_4arch9wavefront6targetE1EEEvT1_, .Lfunc_end923-_ZN7rocprim17ROCPRIM_400000_NS6detail17trampoline_kernelINS0_14default_configENS1_35adjacent_difference_config_selectorILb1ElEEZNS1_24adjacent_difference_implIS3_Lb1ELb0EPlS7_ZN2at6native12_GLOBAL__N_124unique_dim_cuda_templateIfEESt5tupleIJNS8_6TensorESD_SD_EERKSD_lbbbEUlllE1_EE10hipError_tPvRmT2_T3_mT4_P12ihipStream_tbEUlT_E_NS1_11comp_targetILNS1_3genE5ELNS1_11target_archE942ELNS1_3gpuE9ELNS1_3repE0EEENS1_30default_config_static_selectorELNS0_4arch9wavefront6targetE1EEEvT1_
                                        ; -- End function
	.set _ZN7rocprim17ROCPRIM_400000_NS6detail17trampoline_kernelINS0_14default_configENS1_35adjacent_difference_config_selectorILb1ElEEZNS1_24adjacent_difference_implIS3_Lb1ELb0EPlS7_ZN2at6native12_GLOBAL__N_124unique_dim_cuda_templateIfEESt5tupleIJNS8_6TensorESD_SD_EERKSD_lbbbEUlllE1_EE10hipError_tPvRmT2_T3_mT4_P12ihipStream_tbEUlT_E_NS1_11comp_targetILNS1_3genE5ELNS1_11target_archE942ELNS1_3gpuE9ELNS1_3repE0EEENS1_30default_config_static_selectorELNS0_4arch9wavefront6targetE1EEEvT1_.num_vgpr, 0
	.set _ZN7rocprim17ROCPRIM_400000_NS6detail17trampoline_kernelINS0_14default_configENS1_35adjacent_difference_config_selectorILb1ElEEZNS1_24adjacent_difference_implIS3_Lb1ELb0EPlS7_ZN2at6native12_GLOBAL__N_124unique_dim_cuda_templateIfEESt5tupleIJNS8_6TensorESD_SD_EERKSD_lbbbEUlllE1_EE10hipError_tPvRmT2_T3_mT4_P12ihipStream_tbEUlT_E_NS1_11comp_targetILNS1_3genE5ELNS1_11target_archE942ELNS1_3gpuE9ELNS1_3repE0EEENS1_30default_config_static_selectorELNS0_4arch9wavefront6targetE1EEEvT1_.num_agpr, 0
	.set _ZN7rocprim17ROCPRIM_400000_NS6detail17trampoline_kernelINS0_14default_configENS1_35adjacent_difference_config_selectorILb1ElEEZNS1_24adjacent_difference_implIS3_Lb1ELb0EPlS7_ZN2at6native12_GLOBAL__N_124unique_dim_cuda_templateIfEESt5tupleIJNS8_6TensorESD_SD_EERKSD_lbbbEUlllE1_EE10hipError_tPvRmT2_T3_mT4_P12ihipStream_tbEUlT_E_NS1_11comp_targetILNS1_3genE5ELNS1_11target_archE942ELNS1_3gpuE9ELNS1_3repE0EEENS1_30default_config_static_selectorELNS0_4arch9wavefront6targetE1EEEvT1_.numbered_sgpr, 0
	.set _ZN7rocprim17ROCPRIM_400000_NS6detail17trampoline_kernelINS0_14default_configENS1_35adjacent_difference_config_selectorILb1ElEEZNS1_24adjacent_difference_implIS3_Lb1ELb0EPlS7_ZN2at6native12_GLOBAL__N_124unique_dim_cuda_templateIfEESt5tupleIJNS8_6TensorESD_SD_EERKSD_lbbbEUlllE1_EE10hipError_tPvRmT2_T3_mT4_P12ihipStream_tbEUlT_E_NS1_11comp_targetILNS1_3genE5ELNS1_11target_archE942ELNS1_3gpuE9ELNS1_3repE0EEENS1_30default_config_static_selectorELNS0_4arch9wavefront6targetE1EEEvT1_.num_named_barrier, 0
	.set _ZN7rocprim17ROCPRIM_400000_NS6detail17trampoline_kernelINS0_14default_configENS1_35adjacent_difference_config_selectorILb1ElEEZNS1_24adjacent_difference_implIS3_Lb1ELb0EPlS7_ZN2at6native12_GLOBAL__N_124unique_dim_cuda_templateIfEESt5tupleIJNS8_6TensorESD_SD_EERKSD_lbbbEUlllE1_EE10hipError_tPvRmT2_T3_mT4_P12ihipStream_tbEUlT_E_NS1_11comp_targetILNS1_3genE5ELNS1_11target_archE942ELNS1_3gpuE9ELNS1_3repE0EEENS1_30default_config_static_selectorELNS0_4arch9wavefront6targetE1EEEvT1_.private_seg_size, 0
	.set _ZN7rocprim17ROCPRIM_400000_NS6detail17trampoline_kernelINS0_14default_configENS1_35adjacent_difference_config_selectorILb1ElEEZNS1_24adjacent_difference_implIS3_Lb1ELb0EPlS7_ZN2at6native12_GLOBAL__N_124unique_dim_cuda_templateIfEESt5tupleIJNS8_6TensorESD_SD_EERKSD_lbbbEUlllE1_EE10hipError_tPvRmT2_T3_mT4_P12ihipStream_tbEUlT_E_NS1_11comp_targetILNS1_3genE5ELNS1_11target_archE942ELNS1_3gpuE9ELNS1_3repE0EEENS1_30default_config_static_selectorELNS0_4arch9wavefront6targetE1EEEvT1_.uses_vcc, 0
	.set _ZN7rocprim17ROCPRIM_400000_NS6detail17trampoline_kernelINS0_14default_configENS1_35adjacent_difference_config_selectorILb1ElEEZNS1_24adjacent_difference_implIS3_Lb1ELb0EPlS7_ZN2at6native12_GLOBAL__N_124unique_dim_cuda_templateIfEESt5tupleIJNS8_6TensorESD_SD_EERKSD_lbbbEUlllE1_EE10hipError_tPvRmT2_T3_mT4_P12ihipStream_tbEUlT_E_NS1_11comp_targetILNS1_3genE5ELNS1_11target_archE942ELNS1_3gpuE9ELNS1_3repE0EEENS1_30default_config_static_selectorELNS0_4arch9wavefront6targetE1EEEvT1_.uses_flat_scratch, 0
	.set _ZN7rocprim17ROCPRIM_400000_NS6detail17trampoline_kernelINS0_14default_configENS1_35adjacent_difference_config_selectorILb1ElEEZNS1_24adjacent_difference_implIS3_Lb1ELb0EPlS7_ZN2at6native12_GLOBAL__N_124unique_dim_cuda_templateIfEESt5tupleIJNS8_6TensorESD_SD_EERKSD_lbbbEUlllE1_EE10hipError_tPvRmT2_T3_mT4_P12ihipStream_tbEUlT_E_NS1_11comp_targetILNS1_3genE5ELNS1_11target_archE942ELNS1_3gpuE9ELNS1_3repE0EEENS1_30default_config_static_selectorELNS0_4arch9wavefront6targetE1EEEvT1_.has_dyn_sized_stack, 0
	.set _ZN7rocprim17ROCPRIM_400000_NS6detail17trampoline_kernelINS0_14default_configENS1_35adjacent_difference_config_selectorILb1ElEEZNS1_24adjacent_difference_implIS3_Lb1ELb0EPlS7_ZN2at6native12_GLOBAL__N_124unique_dim_cuda_templateIfEESt5tupleIJNS8_6TensorESD_SD_EERKSD_lbbbEUlllE1_EE10hipError_tPvRmT2_T3_mT4_P12ihipStream_tbEUlT_E_NS1_11comp_targetILNS1_3genE5ELNS1_11target_archE942ELNS1_3gpuE9ELNS1_3repE0EEENS1_30default_config_static_selectorELNS0_4arch9wavefront6targetE1EEEvT1_.has_recursion, 0
	.set _ZN7rocprim17ROCPRIM_400000_NS6detail17trampoline_kernelINS0_14default_configENS1_35adjacent_difference_config_selectorILb1ElEEZNS1_24adjacent_difference_implIS3_Lb1ELb0EPlS7_ZN2at6native12_GLOBAL__N_124unique_dim_cuda_templateIfEESt5tupleIJNS8_6TensorESD_SD_EERKSD_lbbbEUlllE1_EE10hipError_tPvRmT2_T3_mT4_P12ihipStream_tbEUlT_E_NS1_11comp_targetILNS1_3genE5ELNS1_11target_archE942ELNS1_3gpuE9ELNS1_3repE0EEENS1_30default_config_static_selectorELNS0_4arch9wavefront6targetE1EEEvT1_.has_indirect_call, 0
	.section	.AMDGPU.csdata,"",@progbits
; Kernel info:
; codeLenInByte = 0
; TotalNumSgprs: 6
; NumVgprs: 0
; NumAgprs: 0
; TotalNumVgprs: 0
; ScratchSize: 0
; MemoryBound: 0
; FloatMode: 240
; IeeeMode: 1
; LDSByteSize: 0 bytes/workgroup (compile time only)
; SGPRBlocks: 0
; VGPRBlocks: 0
; NumSGPRsForWavesPerEU: 6
; NumVGPRsForWavesPerEU: 1
; AccumOffset: 4
; Occupancy: 8
; WaveLimiterHint : 0
; COMPUTE_PGM_RSRC2:SCRATCH_EN: 0
; COMPUTE_PGM_RSRC2:USER_SGPR: 2
; COMPUTE_PGM_RSRC2:TRAP_HANDLER: 0
; COMPUTE_PGM_RSRC2:TGID_X_EN: 1
; COMPUTE_PGM_RSRC2:TGID_Y_EN: 0
; COMPUTE_PGM_RSRC2:TGID_Z_EN: 0
; COMPUTE_PGM_RSRC2:TIDIG_COMP_CNT: 0
; COMPUTE_PGM_RSRC3_GFX90A:ACCUM_OFFSET: 0
; COMPUTE_PGM_RSRC3_GFX90A:TG_SPLIT: 0
	.section	.text._ZN7rocprim17ROCPRIM_400000_NS6detail17trampoline_kernelINS0_14default_configENS1_35adjacent_difference_config_selectorILb1ElEEZNS1_24adjacent_difference_implIS3_Lb1ELb0EPlS7_ZN2at6native12_GLOBAL__N_124unique_dim_cuda_templateIfEESt5tupleIJNS8_6TensorESD_SD_EERKSD_lbbbEUlllE1_EE10hipError_tPvRmT2_T3_mT4_P12ihipStream_tbEUlT_E_NS1_11comp_targetILNS1_3genE4ELNS1_11target_archE910ELNS1_3gpuE8ELNS1_3repE0EEENS1_30default_config_static_selectorELNS0_4arch9wavefront6targetE1EEEvT1_,"axG",@progbits,_ZN7rocprim17ROCPRIM_400000_NS6detail17trampoline_kernelINS0_14default_configENS1_35adjacent_difference_config_selectorILb1ElEEZNS1_24adjacent_difference_implIS3_Lb1ELb0EPlS7_ZN2at6native12_GLOBAL__N_124unique_dim_cuda_templateIfEESt5tupleIJNS8_6TensorESD_SD_EERKSD_lbbbEUlllE1_EE10hipError_tPvRmT2_T3_mT4_P12ihipStream_tbEUlT_E_NS1_11comp_targetILNS1_3genE4ELNS1_11target_archE910ELNS1_3gpuE8ELNS1_3repE0EEENS1_30default_config_static_selectorELNS0_4arch9wavefront6targetE1EEEvT1_,comdat
	.globl	_ZN7rocprim17ROCPRIM_400000_NS6detail17trampoline_kernelINS0_14default_configENS1_35adjacent_difference_config_selectorILb1ElEEZNS1_24adjacent_difference_implIS3_Lb1ELb0EPlS7_ZN2at6native12_GLOBAL__N_124unique_dim_cuda_templateIfEESt5tupleIJNS8_6TensorESD_SD_EERKSD_lbbbEUlllE1_EE10hipError_tPvRmT2_T3_mT4_P12ihipStream_tbEUlT_E_NS1_11comp_targetILNS1_3genE4ELNS1_11target_archE910ELNS1_3gpuE8ELNS1_3repE0EEENS1_30default_config_static_selectorELNS0_4arch9wavefront6targetE1EEEvT1_ ; -- Begin function _ZN7rocprim17ROCPRIM_400000_NS6detail17trampoline_kernelINS0_14default_configENS1_35adjacent_difference_config_selectorILb1ElEEZNS1_24adjacent_difference_implIS3_Lb1ELb0EPlS7_ZN2at6native12_GLOBAL__N_124unique_dim_cuda_templateIfEESt5tupleIJNS8_6TensorESD_SD_EERKSD_lbbbEUlllE1_EE10hipError_tPvRmT2_T3_mT4_P12ihipStream_tbEUlT_E_NS1_11comp_targetILNS1_3genE4ELNS1_11target_archE910ELNS1_3gpuE8ELNS1_3repE0EEENS1_30default_config_static_selectorELNS0_4arch9wavefront6targetE1EEEvT1_
	.p2align	8
	.type	_ZN7rocprim17ROCPRIM_400000_NS6detail17trampoline_kernelINS0_14default_configENS1_35adjacent_difference_config_selectorILb1ElEEZNS1_24adjacent_difference_implIS3_Lb1ELb0EPlS7_ZN2at6native12_GLOBAL__N_124unique_dim_cuda_templateIfEESt5tupleIJNS8_6TensorESD_SD_EERKSD_lbbbEUlllE1_EE10hipError_tPvRmT2_T3_mT4_P12ihipStream_tbEUlT_E_NS1_11comp_targetILNS1_3genE4ELNS1_11target_archE910ELNS1_3gpuE8ELNS1_3repE0EEENS1_30default_config_static_selectorELNS0_4arch9wavefront6targetE1EEEvT1_,@function
_ZN7rocprim17ROCPRIM_400000_NS6detail17trampoline_kernelINS0_14default_configENS1_35adjacent_difference_config_selectorILb1ElEEZNS1_24adjacent_difference_implIS3_Lb1ELb0EPlS7_ZN2at6native12_GLOBAL__N_124unique_dim_cuda_templateIfEESt5tupleIJNS8_6TensorESD_SD_EERKSD_lbbbEUlllE1_EE10hipError_tPvRmT2_T3_mT4_P12ihipStream_tbEUlT_E_NS1_11comp_targetILNS1_3genE4ELNS1_11target_archE910ELNS1_3gpuE8ELNS1_3repE0EEENS1_30default_config_static_selectorELNS0_4arch9wavefront6targetE1EEEvT1_: ; @_ZN7rocprim17ROCPRIM_400000_NS6detail17trampoline_kernelINS0_14default_configENS1_35adjacent_difference_config_selectorILb1ElEEZNS1_24adjacent_difference_implIS3_Lb1ELb0EPlS7_ZN2at6native12_GLOBAL__N_124unique_dim_cuda_templateIfEESt5tupleIJNS8_6TensorESD_SD_EERKSD_lbbbEUlllE1_EE10hipError_tPvRmT2_T3_mT4_P12ihipStream_tbEUlT_E_NS1_11comp_targetILNS1_3genE4ELNS1_11target_archE910ELNS1_3gpuE8ELNS1_3repE0EEENS1_30default_config_static_selectorELNS0_4arch9wavefront6targetE1EEEvT1_
; %bb.0:
	.section	.rodata,"a",@progbits
	.p2align	6, 0x0
	.amdhsa_kernel _ZN7rocprim17ROCPRIM_400000_NS6detail17trampoline_kernelINS0_14default_configENS1_35adjacent_difference_config_selectorILb1ElEEZNS1_24adjacent_difference_implIS3_Lb1ELb0EPlS7_ZN2at6native12_GLOBAL__N_124unique_dim_cuda_templateIfEESt5tupleIJNS8_6TensorESD_SD_EERKSD_lbbbEUlllE1_EE10hipError_tPvRmT2_T3_mT4_P12ihipStream_tbEUlT_E_NS1_11comp_targetILNS1_3genE4ELNS1_11target_archE910ELNS1_3gpuE8ELNS1_3repE0EEENS1_30default_config_static_selectorELNS0_4arch9wavefront6targetE1EEEvT1_
		.amdhsa_group_segment_fixed_size 0
		.amdhsa_private_segment_fixed_size 0
		.amdhsa_kernarg_size 64
		.amdhsa_user_sgpr_count 2
		.amdhsa_user_sgpr_dispatch_ptr 0
		.amdhsa_user_sgpr_queue_ptr 0
		.amdhsa_user_sgpr_kernarg_segment_ptr 1
		.amdhsa_user_sgpr_dispatch_id 0
		.amdhsa_user_sgpr_kernarg_preload_length 0
		.amdhsa_user_sgpr_kernarg_preload_offset 0
		.amdhsa_user_sgpr_private_segment_size 0
		.amdhsa_uses_dynamic_stack 0
		.amdhsa_enable_private_segment 0
		.amdhsa_system_sgpr_workgroup_id_x 1
		.amdhsa_system_sgpr_workgroup_id_y 0
		.amdhsa_system_sgpr_workgroup_id_z 0
		.amdhsa_system_sgpr_workgroup_info 0
		.amdhsa_system_vgpr_workitem_id 0
		.amdhsa_next_free_vgpr 1
		.amdhsa_next_free_sgpr 0
		.amdhsa_accum_offset 4
		.amdhsa_reserve_vcc 0
		.amdhsa_float_round_mode_32 0
		.amdhsa_float_round_mode_16_64 0
		.amdhsa_float_denorm_mode_32 3
		.amdhsa_float_denorm_mode_16_64 3
		.amdhsa_dx10_clamp 1
		.amdhsa_ieee_mode 1
		.amdhsa_fp16_overflow 0
		.amdhsa_tg_split 0
		.amdhsa_exception_fp_ieee_invalid_op 0
		.amdhsa_exception_fp_denorm_src 0
		.amdhsa_exception_fp_ieee_div_zero 0
		.amdhsa_exception_fp_ieee_overflow 0
		.amdhsa_exception_fp_ieee_underflow 0
		.amdhsa_exception_fp_ieee_inexact 0
		.amdhsa_exception_int_div_zero 0
	.end_amdhsa_kernel
	.section	.text._ZN7rocprim17ROCPRIM_400000_NS6detail17trampoline_kernelINS0_14default_configENS1_35adjacent_difference_config_selectorILb1ElEEZNS1_24adjacent_difference_implIS3_Lb1ELb0EPlS7_ZN2at6native12_GLOBAL__N_124unique_dim_cuda_templateIfEESt5tupleIJNS8_6TensorESD_SD_EERKSD_lbbbEUlllE1_EE10hipError_tPvRmT2_T3_mT4_P12ihipStream_tbEUlT_E_NS1_11comp_targetILNS1_3genE4ELNS1_11target_archE910ELNS1_3gpuE8ELNS1_3repE0EEENS1_30default_config_static_selectorELNS0_4arch9wavefront6targetE1EEEvT1_,"axG",@progbits,_ZN7rocprim17ROCPRIM_400000_NS6detail17trampoline_kernelINS0_14default_configENS1_35adjacent_difference_config_selectorILb1ElEEZNS1_24adjacent_difference_implIS3_Lb1ELb0EPlS7_ZN2at6native12_GLOBAL__N_124unique_dim_cuda_templateIfEESt5tupleIJNS8_6TensorESD_SD_EERKSD_lbbbEUlllE1_EE10hipError_tPvRmT2_T3_mT4_P12ihipStream_tbEUlT_E_NS1_11comp_targetILNS1_3genE4ELNS1_11target_archE910ELNS1_3gpuE8ELNS1_3repE0EEENS1_30default_config_static_selectorELNS0_4arch9wavefront6targetE1EEEvT1_,comdat
.Lfunc_end924:
	.size	_ZN7rocprim17ROCPRIM_400000_NS6detail17trampoline_kernelINS0_14default_configENS1_35adjacent_difference_config_selectorILb1ElEEZNS1_24adjacent_difference_implIS3_Lb1ELb0EPlS7_ZN2at6native12_GLOBAL__N_124unique_dim_cuda_templateIfEESt5tupleIJNS8_6TensorESD_SD_EERKSD_lbbbEUlllE1_EE10hipError_tPvRmT2_T3_mT4_P12ihipStream_tbEUlT_E_NS1_11comp_targetILNS1_3genE4ELNS1_11target_archE910ELNS1_3gpuE8ELNS1_3repE0EEENS1_30default_config_static_selectorELNS0_4arch9wavefront6targetE1EEEvT1_, .Lfunc_end924-_ZN7rocprim17ROCPRIM_400000_NS6detail17trampoline_kernelINS0_14default_configENS1_35adjacent_difference_config_selectorILb1ElEEZNS1_24adjacent_difference_implIS3_Lb1ELb0EPlS7_ZN2at6native12_GLOBAL__N_124unique_dim_cuda_templateIfEESt5tupleIJNS8_6TensorESD_SD_EERKSD_lbbbEUlllE1_EE10hipError_tPvRmT2_T3_mT4_P12ihipStream_tbEUlT_E_NS1_11comp_targetILNS1_3genE4ELNS1_11target_archE910ELNS1_3gpuE8ELNS1_3repE0EEENS1_30default_config_static_selectorELNS0_4arch9wavefront6targetE1EEEvT1_
                                        ; -- End function
	.set _ZN7rocprim17ROCPRIM_400000_NS6detail17trampoline_kernelINS0_14default_configENS1_35adjacent_difference_config_selectorILb1ElEEZNS1_24adjacent_difference_implIS3_Lb1ELb0EPlS7_ZN2at6native12_GLOBAL__N_124unique_dim_cuda_templateIfEESt5tupleIJNS8_6TensorESD_SD_EERKSD_lbbbEUlllE1_EE10hipError_tPvRmT2_T3_mT4_P12ihipStream_tbEUlT_E_NS1_11comp_targetILNS1_3genE4ELNS1_11target_archE910ELNS1_3gpuE8ELNS1_3repE0EEENS1_30default_config_static_selectorELNS0_4arch9wavefront6targetE1EEEvT1_.num_vgpr, 0
	.set _ZN7rocprim17ROCPRIM_400000_NS6detail17trampoline_kernelINS0_14default_configENS1_35adjacent_difference_config_selectorILb1ElEEZNS1_24adjacent_difference_implIS3_Lb1ELb0EPlS7_ZN2at6native12_GLOBAL__N_124unique_dim_cuda_templateIfEESt5tupleIJNS8_6TensorESD_SD_EERKSD_lbbbEUlllE1_EE10hipError_tPvRmT2_T3_mT4_P12ihipStream_tbEUlT_E_NS1_11comp_targetILNS1_3genE4ELNS1_11target_archE910ELNS1_3gpuE8ELNS1_3repE0EEENS1_30default_config_static_selectorELNS0_4arch9wavefront6targetE1EEEvT1_.num_agpr, 0
	.set _ZN7rocprim17ROCPRIM_400000_NS6detail17trampoline_kernelINS0_14default_configENS1_35adjacent_difference_config_selectorILb1ElEEZNS1_24adjacent_difference_implIS3_Lb1ELb0EPlS7_ZN2at6native12_GLOBAL__N_124unique_dim_cuda_templateIfEESt5tupleIJNS8_6TensorESD_SD_EERKSD_lbbbEUlllE1_EE10hipError_tPvRmT2_T3_mT4_P12ihipStream_tbEUlT_E_NS1_11comp_targetILNS1_3genE4ELNS1_11target_archE910ELNS1_3gpuE8ELNS1_3repE0EEENS1_30default_config_static_selectorELNS0_4arch9wavefront6targetE1EEEvT1_.numbered_sgpr, 0
	.set _ZN7rocprim17ROCPRIM_400000_NS6detail17trampoline_kernelINS0_14default_configENS1_35adjacent_difference_config_selectorILb1ElEEZNS1_24adjacent_difference_implIS3_Lb1ELb0EPlS7_ZN2at6native12_GLOBAL__N_124unique_dim_cuda_templateIfEESt5tupleIJNS8_6TensorESD_SD_EERKSD_lbbbEUlllE1_EE10hipError_tPvRmT2_T3_mT4_P12ihipStream_tbEUlT_E_NS1_11comp_targetILNS1_3genE4ELNS1_11target_archE910ELNS1_3gpuE8ELNS1_3repE0EEENS1_30default_config_static_selectorELNS0_4arch9wavefront6targetE1EEEvT1_.num_named_barrier, 0
	.set _ZN7rocprim17ROCPRIM_400000_NS6detail17trampoline_kernelINS0_14default_configENS1_35adjacent_difference_config_selectorILb1ElEEZNS1_24adjacent_difference_implIS3_Lb1ELb0EPlS7_ZN2at6native12_GLOBAL__N_124unique_dim_cuda_templateIfEESt5tupleIJNS8_6TensorESD_SD_EERKSD_lbbbEUlllE1_EE10hipError_tPvRmT2_T3_mT4_P12ihipStream_tbEUlT_E_NS1_11comp_targetILNS1_3genE4ELNS1_11target_archE910ELNS1_3gpuE8ELNS1_3repE0EEENS1_30default_config_static_selectorELNS0_4arch9wavefront6targetE1EEEvT1_.private_seg_size, 0
	.set _ZN7rocprim17ROCPRIM_400000_NS6detail17trampoline_kernelINS0_14default_configENS1_35adjacent_difference_config_selectorILb1ElEEZNS1_24adjacent_difference_implIS3_Lb1ELb0EPlS7_ZN2at6native12_GLOBAL__N_124unique_dim_cuda_templateIfEESt5tupleIJNS8_6TensorESD_SD_EERKSD_lbbbEUlllE1_EE10hipError_tPvRmT2_T3_mT4_P12ihipStream_tbEUlT_E_NS1_11comp_targetILNS1_3genE4ELNS1_11target_archE910ELNS1_3gpuE8ELNS1_3repE0EEENS1_30default_config_static_selectorELNS0_4arch9wavefront6targetE1EEEvT1_.uses_vcc, 0
	.set _ZN7rocprim17ROCPRIM_400000_NS6detail17trampoline_kernelINS0_14default_configENS1_35adjacent_difference_config_selectorILb1ElEEZNS1_24adjacent_difference_implIS3_Lb1ELb0EPlS7_ZN2at6native12_GLOBAL__N_124unique_dim_cuda_templateIfEESt5tupleIJNS8_6TensorESD_SD_EERKSD_lbbbEUlllE1_EE10hipError_tPvRmT2_T3_mT4_P12ihipStream_tbEUlT_E_NS1_11comp_targetILNS1_3genE4ELNS1_11target_archE910ELNS1_3gpuE8ELNS1_3repE0EEENS1_30default_config_static_selectorELNS0_4arch9wavefront6targetE1EEEvT1_.uses_flat_scratch, 0
	.set _ZN7rocprim17ROCPRIM_400000_NS6detail17trampoline_kernelINS0_14default_configENS1_35adjacent_difference_config_selectorILb1ElEEZNS1_24adjacent_difference_implIS3_Lb1ELb0EPlS7_ZN2at6native12_GLOBAL__N_124unique_dim_cuda_templateIfEESt5tupleIJNS8_6TensorESD_SD_EERKSD_lbbbEUlllE1_EE10hipError_tPvRmT2_T3_mT4_P12ihipStream_tbEUlT_E_NS1_11comp_targetILNS1_3genE4ELNS1_11target_archE910ELNS1_3gpuE8ELNS1_3repE0EEENS1_30default_config_static_selectorELNS0_4arch9wavefront6targetE1EEEvT1_.has_dyn_sized_stack, 0
	.set _ZN7rocprim17ROCPRIM_400000_NS6detail17trampoline_kernelINS0_14default_configENS1_35adjacent_difference_config_selectorILb1ElEEZNS1_24adjacent_difference_implIS3_Lb1ELb0EPlS7_ZN2at6native12_GLOBAL__N_124unique_dim_cuda_templateIfEESt5tupleIJNS8_6TensorESD_SD_EERKSD_lbbbEUlllE1_EE10hipError_tPvRmT2_T3_mT4_P12ihipStream_tbEUlT_E_NS1_11comp_targetILNS1_3genE4ELNS1_11target_archE910ELNS1_3gpuE8ELNS1_3repE0EEENS1_30default_config_static_selectorELNS0_4arch9wavefront6targetE1EEEvT1_.has_recursion, 0
	.set _ZN7rocprim17ROCPRIM_400000_NS6detail17trampoline_kernelINS0_14default_configENS1_35adjacent_difference_config_selectorILb1ElEEZNS1_24adjacent_difference_implIS3_Lb1ELb0EPlS7_ZN2at6native12_GLOBAL__N_124unique_dim_cuda_templateIfEESt5tupleIJNS8_6TensorESD_SD_EERKSD_lbbbEUlllE1_EE10hipError_tPvRmT2_T3_mT4_P12ihipStream_tbEUlT_E_NS1_11comp_targetILNS1_3genE4ELNS1_11target_archE910ELNS1_3gpuE8ELNS1_3repE0EEENS1_30default_config_static_selectorELNS0_4arch9wavefront6targetE1EEEvT1_.has_indirect_call, 0
	.section	.AMDGPU.csdata,"",@progbits
; Kernel info:
; codeLenInByte = 0
; TotalNumSgprs: 6
; NumVgprs: 0
; NumAgprs: 0
; TotalNumVgprs: 0
; ScratchSize: 0
; MemoryBound: 0
; FloatMode: 240
; IeeeMode: 1
; LDSByteSize: 0 bytes/workgroup (compile time only)
; SGPRBlocks: 0
; VGPRBlocks: 0
; NumSGPRsForWavesPerEU: 6
; NumVGPRsForWavesPerEU: 1
; AccumOffset: 4
; Occupancy: 8
; WaveLimiterHint : 0
; COMPUTE_PGM_RSRC2:SCRATCH_EN: 0
; COMPUTE_PGM_RSRC2:USER_SGPR: 2
; COMPUTE_PGM_RSRC2:TRAP_HANDLER: 0
; COMPUTE_PGM_RSRC2:TGID_X_EN: 1
; COMPUTE_PGM_RSRC2:TGID_Y_EN: 0
; COMPUTE_PGM_RSRC2:TGID_Z_EN: 0
; COMPUTE_PGM_RSRC2:TIDIG_COMP_CNT: 0
; COMPUTE_PGM_RSRC3_GFX90A:ACCUM_OFFSET: 0
; COMPUTE_PGM_RSRC3_GFX90A:TG_SPLIT: 0
	.section	.text._ZN7rocprim17ROCPRIM_400000_NS6detail17trampoline_kernelINS0_14default_configENS1_35adjacent_difference_config_selectorILb1ElEEZNS1_24adjacent_difference_implIS3_Lb1ELb0EPlS7_ZN2at6native12_GLOBAL__N_124unique_dim_cuda_templateIfEESt5tupleIJNS8_6TensorESD_SD_EERKSD_lbbbEUlllE1_EE10hipError_tPvRmT2_T3_mT4_P12ihipStream_tbEUlT_E_NS1_11comp_targetILNS1_3genE3ELNS1_11target_archE908ELNS1_3gpuE7ELNS1_3repE0EEENS1_30default_config_static_selectorELNS0_4arch9wavefront6targetE1EEEvT1_,"axG",@progbits,_ZN7rocprim17ROCPRIM_400000_NS6detail17trampoline_kernelINS0_14default_configENS1_35adjacent_difference_config_selectorILb1ElEEZNS1_24adjacent_difference_implIS3_Lb1ELb0EPlS7_ZN2at6native12_GLOBAL__N_124unique_dim_cuda_templateIfEESt5tupleIJNS8_6TensorESD_SD_EERKSD_lbbbEUlllE1_EE10hipError_tPvRmT2_T3_mT4_P12ihipStream_tbEUlT_E_NS1_11comp_targetILNS1_3genE3ELNS1_11target_archE908ELNS1_3gpuE7ELNS1_3repE0EEENS1_30default_config_static_selectorELNS0_4arch9wavefront6targetE1EEEvT1_,comdat
	.globl	_ZN7rocprim17ROCPRIM_400000_NS6detail17trampoline_kernelINS0_14default_configENS1_35adjacent_difference_config_selectorILb1ElEEZNS1_24adjacent_difference_implIS3_Lb1ELb0EPlS7_ZN2at6native12_GLOBAL__N_124unique_dim_cuda_templateIfEESt5tupleIJNS8_6TensorESD_SD_EERKSD_lbbbEUlllE1_EE10hipError_tPvRmT2_T3_mT4_P12ihipStream_tbEUlT_E_NS1_11comp_targetILNS1_3genE3ELNS1_11target_archE908ELNS1_3gpuE7ELNS1_3repE0EEENS1_30default_config_static_selectorELNS0_4arch9wavefront6targetE1EEEvT1_ ; -- Begin function _ZN7rocprim17ROCPRIM_400000_NS6detail17trampoline_kernelINS0_14default_configENS1_35adjacent_difference_config_selectorILb1ElEEZNS1_24adjacent_difference_implIS3_Lb1ELb0EPlS7_ZN2at6native12_GLOBAL__N_124unique_dim_cuda_templateIfEESt5tupleIJNS8_6TensorESD_SD_EERKSD_lbbbEUlllE1_EE10hipError_tPvRmT2_T3_mT4_P12ihipStream_tbEUlT_E_NS1_11comp_targetILNS1_3genE3ELNS1_11target_archE908ELNS1_3gpuE7ELNS1_3repE0EEENS1_30default_config_static_selectorELNS0_4arch9wavefront6targetE1EEEvT1_
	.p2align	8
	.type	_ZN7rocprim17ROCPRIM_400000_NS6detail17trampoline_kernelINS0_14default_configENS1_35adjacent_difference_config_selectorILb1ElEEZNS1_24adjacent_difference_implIS3_Lb1ELb0EPlS7_ZN2at6native12_GLOBAL__N_124unique_dim_cuda_templateIfEESt5tupleIJNS8_6TensorESD_SD_EERKSD_lbbbEUlllE1_EE10hipError_tPvRmT2_T3_mT4_P12ihipStream_tbEUlT_E_NS1_11comp_targetILNS1_3genE3ELNS1_11target_archE908ELNS1_3gpuE7ELNS1_3repE0EEENS1_30default_config_static_selectorELNS0_4arch9wavefront6targetE1EEEvT1_,@function
_ZN7rocprim17ROCPRIM_400000_NS6detail17trampoline_kernelINS0_14default_configENS1_35adjacent_difference_config_selectorILb1ElEEZNS1_24adjacent_difference_implIS3_Lb1ELb0EPlS7_ZN2at6native12_GLOBAL__N_124unique_dim_cuda_templateIfEESt5tupleIJNS8_6TensorESD_SD_EERKSD_lbbbEUlllE1_EE10hipError_tPvRmT2_T3_mT4_P12ihipStream_tbEUlT_E_NS1_11comp_targetILNS1_3genE3ELNS1_11target_archE908ELNS1_3gpuE7ELNS1_3repE0EEENS1_30default_config_static_selectorELNS0_4arch9wavefront6targetE1EEEvT1_: ; @_ZN7rocprim17ROCPRIM_400000_NS6detail17trampoline_kernelINS0_14default_configENS1_35adjacent_difference_config_selectorILb1ElEEZNS1_24adjacent_difference_implIS3_Lb1ELb0EPlS7_ZN2at6native12_GLOBAL__N_124unique_dim_cuda_templateIfEESt5tupleIJNS8_6TensorESD_SD_EERKSD_lbbbEUlllE1_EE10hipError_tPvRmT2_T3_mT4_P12ihipStream_tbEUlT_E_NS1_11comp_targetILNS1_3genE3ELNS1_11target_archE908ELNS1_3gpuE7ELNS1_3repE0EEENS1_30default_config_static_selectorELNS0_4arch9wavefront6targetE1EEEvT1_
; %bb.0:
	.section	.rodata,"a",@progbits
	.p2align	6, 0x0
	.amdhsa_kernel _ZN7rocprim17ROCPRIM_400000_NS6detail17trampoline_kernelINS0_14default_configENS1_35adjacent_difference_config_selectorILb1ElEEZNS1_24adjacent_difference_implIS3_Lb1ELb0EPlS7_ZN2at6native12_GLOBAL__N_124unique_dim_cuda_templateIfEESt5tupleIJNS8_6TensorESD_SD_EERKSD_lbbbEUlllE1_EE10hipError_tPvRmT2_T3_mT4_P12ihipStream_tbEUlT_E_NS1_11comp_targetILNS1_3genE3ELNS1_11target_archE908ELNS1_3gpuE7ELNS1_3repE0EEENS1_30default_config_static_selectorELNS0_4arch9wavefront6targetE1EEEvT1_
		.amdhsa_group_segment_fixed_size 0
		.amdhsa_private_segment_fixed_size 0
		.amdhsa_kernarg_size 64
		.amdhsa_user_sgpr_count 2
		.amdhsa_user_sgpr_dispatch_ptr 0
		.amdhsa_user_sgpr_queue_ptr 0
		.amdhsa_user_sgpr_kernarg_segment_ptr 1
		.amdhsa_user_sgpr_dispatch_id 0
		.amdhsa_user_sgpr_kernarg_preload_length 0
		.amdhsa_user_sgpr_kernarg_preload_offset 0
		.amdhsa_user_sgpr_private_segment_size 0
		.amdhsa_uses_dynamic_stack 0
		.amdhsa_enable_private_segment 0
		.amdhsa_system_sgpr_workgroup_id_x 1
		.amdhsa_system_sgpr_workgroup_id_y 0
		.amdhsa_system_sgpr_workgroup_id_z 0
		.amdhsa_system_sgpr_workgroup_info 0
		.amdhsa_system_vgpr_workitem_id 0
		.amdhsa_next_free_vgpr 1
		.amdhsa_next_free_sgpr 0
		.amdhsa_accum_offset 4
		.amdhsa_reserve_vcc 0
		.amdhsa_float_round_mode_32 0
		.amdhsa_float_round_mode_16_64 0
		.amdhsa_float_denorm_mode_32 3
		.amdhsa_float_denorm_mode_16_64 3
		.amdhsa_dx10_clamp 1
		.amdhsa_ieee_mode 1
		.amdhsa_fp16_overflow 0
		.amdhsa_tg_split 0
		.amdhsa_exception_fp_ieee_invalid_op 0
		.amdhsa_exception_fp_denorm_src 0
		.amdhsa_exception_fp_ieee_div_zero 0
		.amdhsa_exception_fp_ieee_overflow 0
		.amdhsa_exception_fp_ieee_underflow 0
		.amdhsa_exception_fp_ieee_inexact 0
		.amdhsa_exception_int_div_zero 0
	.end_amdhsa_kernel
	.section	.text._ZN7rocprim17ROCPRIM_400000_NS6detail17trampoline_kernelINS0_14default_configENS1_35adjacent_difference_config_selectorILb1ElEEZNS1_24adjacent_difference_implIS3_Lb1ELb0EPlS7_ZN2at6native12_GLOBAL__N_124unique_dim_cuda_templateIfEESt5tupleIJNS8_6TensorESD_SD_EERKSD_lbbbEUlllE1_EE10hipError_tPvRmT2_T3_mT4_P12ihipStream_tbEUlT_E_NS1_11comp_targetILNS1_3genE3ELNS1_11target_archE908ELNS1_3gpuE7ELNS1_3repE0EEENS1_30default_config_static_selectorELNS0_4arch9wavefront6targetE1EEEvT1_,"axG",@progbits,_ZN7rocprim17ROCPRIM_400000_NS6detail17trampoline_kernelINS0_14default_configENS1_35adjacent_difference_config_selectorILb1ElEEZNS1_24adjacent_difference_implIS3_Lb1ELb0EPlS7_ZN2at6native12_GLOBAL__N_124unique_dim_cuda_templateIfEESt5tupleIJNS8_6TensorESD_SD_EERKSD_lbbbEUlllE1_EE10hipError_tPvRmT2_T3_mT4_P12ihipStream_tbEUlT_E_NS1_11comp_targetILNS1_3genE3ELNS1_11target_archE908ELNS1_3gpuE7ELNS1_3repE0EEENS1_30default_config_static_selectorELNS0_4arch9wavefront6targetE1EEEvT1_,comdat
.Lfunc_end925:
	.size	_ZN7rocprim17ROCPRIM_400000_NS6detail17trampoline_kernelINS0_14default_configENS1_35adjacent_difference_config_selectorILb1ElEEZNS1_24adjacent_difference_implIS3_Lb1ELb0EPlS7_ZN2at6native12_GLOBAL__N_124unique_dim_cuda_templateIfEESt5tupleIJNS8_6TensorESD_SD_EERKSD_lbbbEUlllE1_EE10hipError_tPvRmT2_T3_mT4_P12ihipStream_tbEUlT_E_NS1_11comp_targetILNS1_3genE3ELNS1_11target_archE908ELNS1_3gpuE7ELNS1_3repE0EEENS1_30default_config_static_selectorELNS0_4arch9wavefront6targetE1EEEvT1_, .Lfunc_end925-_ZN7rocprim17ROCPRIM_400000_NS6detail17trampoline_kernelINS0_14default_configENS1_35adjacent_difference_config_selectorILb1ElEEZNS1_24adjacent_difference_implIS3_Lb1ELb0EPlS7_ZN2at6native12_GLOBAL__N_124unique_dim_cuda_templateIfEESt5tupleIJNS8_6TensorESD_SD_EERKSD_lbbbEUlllE1_EE10hipError_tPvRmT2_T3_mT4_P12ihipStream_tbEUlT_E_NS1_11comp_targetILNS1_3genE3ELNS1_11target_archE908ELNS1_3gpuE7ELNS1_3repE0EEENS1_30default_config_static_selectorELNS0_4arch9wavefront6targetE1EEEvT1_
                                        ; -- End function
	.set _ZN7rocprim17ROCPRIM_400000_NS6detail17trampoline_kernelINS0_14default_configENS1_35adjacent_difference_config_selectorILb1ElEEZNS1_24adjacent_difference_implIS3_Lb1ELb0EPlS7_ZN2at6native12_GLOBAL__N_124unique_dim_cuda_templateIfEESt5tupleIJNS8_6TensorESD_SD_EERKSD_lbbbEUlllE1_EE10hipError_tPvRmT2_T3_mT4_P12ihipStream_tbEUlT_E_NS1_11comp_targetILNS1_3genE3ELNS1_11target_archE908ELNS1_3gpuE7ELNS1_3repE0EEENS1_30default_config_static_selectorELNS0_4arch9wavefront6targetE1EEEvT1_.num_vgpr, 0
	.set _ZN7rocprim17ROCPRIM_400000_NS6detail17trampoline_kernelINS0_14default_configENS1_35adjacent_difference_config_selectorILb1ElEEZNS1_24adjacent_difference_implIS3_Lb1ELb0EPlS7_ZN2at6native12_GLOBAL__N_124unique_dim_cuda_templateIfEESt5tupleIJNS8_6TensorESD_SD_EERKSD_lbbbEUlllE1_EE10hipError_tPvRmT2_T3_mT4_P12ihipStream_tbEUlT_E_NS1_11comp_targetILNS1_3genE3ELNS1_11target_archE908ELNS1_3gpuE7ELNS1_3repE0EEENS1_30default_config_static_selectorELNS0_4arch9wavefront6targetE1EEEvT1_.num_agpr, 0
	.set _ZN7rocprim17ROCPRIM_400000_NS6detail17trampoline_kernelINS0_14default_configENS1_35adjacent_difference_config_selectorILb1ElEEZNS1_24adjacent_difference_implIS3_Lb1ELb0EPlS7_ZN2at6native12_GLOBAL__N_124unique_dim_cuda_templateIfEESt5tupleIJNS8_6TensorESD_SD_EERKSD_lbbbEUlllE1_EE10hipError_tPvRmT2_T3_mT4_P12ihipStream_tbEUlT_E_NS1_11comp_targetILNS1_3genE3ELNS1_11target_archE908ELNS1_3gpuE7ELNS1_3repE0EEENS1_30default_config_static_selectorELNS0_4arch9wavefront6targetE1EEEvT1_.numbered_sgpr, 0
	.set _ZN7rocprim17ROCPRIM_400000_NS6detail17trampoline_kernelINS0_14default_configENS1_35adjacent_difference_config_selectorILb1ElEEZNS1_24adjacent_difference_implIS3_Lb1ELb0EPlS7_ZN2at6native12_GLOBAL__N_124unique_dim_cuda_templateIfEESt5tupleIJNS8_6TensorESD_SD_EERKSD_lbbbEUlllE1_EE10hipError_tPvRmT2_T3_mT4_P12ihipStream_tbEUlT_E_NS1_11comp_targetILNS1_3genE3ELNS1_11target_archE908ELNS1_3gpuE7ELNS1_3repE0EEENS1_30default_config_static_selectorELNS0_4arch9wavefront6targetE1EEEvT1_.num_named_barrier, 0
	.set _ZN7rocprim17ROCPRIM_400000_NS6detail17trampoline_kernelINS0_14default_configENS1_35adjacent_difference_config_selectorILb1ElEEZNS1_24adjacent_difference_implIS3_Lb1ELb0EPlS7_ZN2at6native12_GLOBAL__N_124unique_dim_cuda_templateIfEESt5tupleIJNS8_6TensorESD_SD_EERKSD_lbbbEUlllE1_EE10hipError_tPvRmT2_T3_mT4_P12ihipStream_tbEUlT_E_NS1_11comp_targetILNS1_3genE3ELNS1_11target_archE908ELNS1_3gpuE7ELNS1_3repE0EEENS1_30default_config_static_selectorELNS0_4arch9wavefront6targetE1EEEvT1_.private_seg_size, 0
	.set _ZN7rocprim17ROCPRIM_400000_NS6detail17trampoline_kernelINS0_14default_configENS1_35adjacent_difference_config_selectorILb1ElEEZNS1_24adjacent_difference_implIS3_Lb1ELb0EPlS7_ZN2at6native12_GLOBAL__N_124unique_dim_cuda_templateIfEESt5tupleIJNS8_6TensorESD_SD_EERKSD_lbbbEUlllE1_EE10hipError_tPvRmT2_T3_mT4_P12ihipStream_tbEUlT_E_NS1_11comp_targetILNS1_3genE3ELNS1_11target_archE908ELNS1_3gpuE7ELNS1_3repE0EEENS1_30default_config_static_selectorELNS0_4arch9wavefront6targetE1EEEvT1_.uses_vcc, 0
	.set _ZN7rocprim17ROCPRIM_400000_NS6detail17trampoline_kernelINS0_14default_configENS1_35adjacent_difference_config_selectorILb1ElEEZNS1_24adjacent_difference_implIS3_Lb1ELb0EPlS7_ZN2at6native12_GLOBAL__N_124unique_dim_cuda_templateIfEESt5tupleIJNS8_6TensorESD_SD_EERKSD_lbbbEUlllE1_EE10hipError_tPvRmT2_T3_mT4_P12ihipStream_tbEUlT_E_NS1_11comp_targetILNS1_3genE3ELNS1_11target_archE908ELNS1_3gpuE7ELNS1_3repE0EEENS1_30default_config_static_selectorELNS0_4arch9wavefront6targetE1EEEvT1_.uses_flat_scratch, 0
	.set _ZN7rocprim17ROCPRIM_400000_NS6detail17trampoline_kernelINS0_14default_configENS1_35adjacent_difference_config_selectorILb1ElEEZNS1_24adjacent_difference_implIS3_Lb1ELb0EPlS7_ZN2at6native12_GLOBAL__N_124unique_dim_cuda_templateIfEESt5tupleIJNS8_6TensorESD_SD_EERKSD_lbbbEUlllE1_EE10hipError_tPvRmT2_T3_mT4_P12ihipStream_tbEUlT_E_NS1_11comp_targetILNS1_3genE3ELNS1_11target_archE908ELNS1_3gpuE7ELNS1_3repE0EEENS1_30default_config_static_selectorELNS0_4arch9wavefront6targetE1EEEvT1_.has_dyn_sized_stack, 0
	.set _ZN7rocprim17ROCPRIM_400000_NS6detail17trampoline_kernelINS0_14default_configENS1_35adjacent_difference_config_selectorILb1ElEEZNS1_24adjacent_difference_implIS3_Lb1ELb0EPlS7_ZN2at6native12_GLOBAL__N_124unique_dim_cuda_templateIfEESt5tupleIJNS8_6TensorESD_SD_EERKSD_lbbbEUlllE1_EE10hipError_tPvRmT2_T3_mT4_P12ihipStream_tbEUlT_E_NS1_11comp_targetILNS1_3genE3ELNS1_11target_archE908ELNS1_3gpuE7ELNS1_3repE0EEENS1_30default_config_static_selectorELNS0_4arch9wavefront6targetE1EEEvT1_.has_recursion, 0
	.set _ZN7rocprim17ROCPRIM_400000_NS6detail17trampoline_kernelINS0_14default_configENS1_35adjacent_difference_config_selectorILb1ElEEZNS1_24adjacent_difference_implIS3_Lb1ELb0EPlS7_ZN2at6native12_GLOBAL__N_124unique_dim_cuda_templateIfEESt5tupleIJNS8_6TensorESD_SD_EERKSD_lbbbEUlllE1_EE10hipError_tPvRmT2_T3_mT4_P12ihipStream_tbEUlT_E_NS1_11comp_targetILNS1_3genE3ELNS1_11target_archE908ELNS1_3gpuE7ELNS1_3repE0EEENS1_30default_config_static_selectorELNS0_4arch9wavefront6targetE1EEEvT1_.has_indirect_call, 0
	.section	.AMDGPU.csdata,"",@progbits
; Kernel info:
; codeLenInByte = 0
; TotalNumSgprs: 6
; NumVgprs: 0
; NumAgprs: 0
; TotalNumVgprs: 0
; ScratchSize: 0
; MemoryBound: 0
; FloatMode: 240
; IeeeMode: 1
; LDSByteSize: 0 bytes/workgroup (compile time only)
; SGPRBlocks: 0
; VGPRBlocks: 0
; NumSGPRsForWavesPerEU: 6
; NumVGPRsForWavesPerEU: 1
; AccumOffset: 4
; Occupancy: 8
; WaveLimiterHint : 0
; COMPUTE_PGM_RSRC2:SCRATCH_EN: 0
; COMPUTE_PGM_RSRC2:USER_SGPR: 2
; COMPUTE_PGM_RSRC2:TRAP_HANDLER: 0
; COMPUTE_PGM_RSRC2:TGID_X_EN: 1
; COMPUTE_PGM_RSRC2:TGID_Y_EN: 0
; COMPUTE_PGM_RSRC2:TGID_Z_EN: 0
; COMPUTE_PGM_RSRC2:TIDIG_COMP_CNT: 0
; COMPUTE_PGM_RSRC3_GFX90A:ACCUM_OFFSET: 0
; COMPUTE_PGM_RSRC3_GFX90A:TG_SPLIT: 0
	.section	.text._ZN7rocprim17ROCPRIM_400000_NS6detail17trampoline_kernelINS0_14default_configENS1_35adjacent_difference_config_selectorILb1ElEEZNS1_24adjacent_difference_implIS3_Lb1ELb0EPlS7_ZN2at6native12_GLOBAL__N_124unique_dim_cuda_templateIfEESt5tupleIJNS8_6TensorESD_SD_EERKSD_lbbbEUlllE1_EE10hipError_tPvRmT2_T3_mT4_P12ihipStream_tbEUlT_E_NS1_11comp_targetILNS1_3genE2ELNS1_11target_archE906ELNS1_3gpuE6ELNS1_3repE0EEENS1_30default_config_static_selectorELNS0_4arch9wavefront6targetE1EEEvT1_,"axG",@progbits,_ZN7rocprim17ROCPRIM_400000_NS6detail17trampoline_kernelINS0_14default_configENS1_35adjacent_difference_config_selectorILb1ElEEZNS1_24adjacent_difference_implIS3_Lb1ELb0EPlS7_ZN2at6native12_GLOBAL__N_124unique_dim_cuda_templateIfEESt5tupleIJNS8_6TensorESD_SD_EERKSD_lbbbEUlllE1_EE10hipError_tPvRmT2_T3_mT4_P12ihipStream_tbEUlT_E_NS1_11comp_targetILNS1_3genE2ELNS1_11target_archE906ELNS1_3gpuE6ELNS1_3repE0EEENS1_30default_config_static_selectorELNS0_4arch9wavefront6targetE1EEEvT1_,comdat
	.globl	_ZN7rocprim17ROCPRIM_400000_NS6detail17trampoline_kernelINS0_14default_configENS1_35adjacent_difference_config_selectorILb1ElEEZNS1_24adjacent_difference_implIS3_Lb1ELb0EPlS7_ZN2at6native12_GLOBAL__N_124unique_dim_cuda_templateIfEESt5tupleIJNS8_6TensorESD_SD_EERKSD_lbbbEUlllE1_EE10hipError_tPvRmT2_T3_mT4_P12ihipStream_tbEUlT_E_NS1_11comp_targetILNS1_3genE2ELNS1_11target_archE906ELNS1_3gpuE6ELNS1_3repE0EEENS1_30default_config_static_selectorELNS0_4arch9wavefront6targetE1EEEvT1_ ; -- Begin function _ZN7rocprim17ROCPRIM_400000_NS6detail17trampoline_kernelINS0_14default_configENS1_35adjacent_difference_config_selectorILb1ElEEZNS1_24adjacent_difference_implIS3_Lb1ELb0EPlS7_ZN2at6native12_GLOBAL__N_124unique_dim_cuda_templateIfEESt5tupleIJNS8_6TensorESD_SD_EERKSD_lbbbEUlllE1_EE10hipError_tPvRmT2_T3_mT4_P12ihipStream_tbEUlT_E_NS1_11comp_targetILNS1_3genE2ELNS1_11target_archE906ELNS1_3gpuE6ELNS1_3repE0EEENS1_30default_config_static_selectorELNS0_4arch9wavefront6targetE1EEEvT1_
	.p2align	8
	.type	_ZN7rocprim17ROCPRIM_400000_NS6detail17trampoline_kernelINS0_14default_configENS1_35adjacent_difference_config_selectorILb1ElEEZNS1_24adjacent_difference_implIS3_Lb1ELb0EPlS7_ZN2at6native12_GLOBAL__N_124unique_dim_cuda_templateIfEESt5tupleIJNS8_6TensorESD_SD_EERKSD_lbbbEUlllE1_EE10hipError_tPvRmT2_T3_mT4_P12ihipStream_tbEUlT_E_NS1_11comp_targetILNS1_3genE2ELNS1_11target_archE906ELNS1_3gpuE6ELNS1_3repE0EEENS1_30default_config_static_selectorELNS0_4arch9wavefront6targetE1EEEvT1_,@function
_ZN7rocprim17ROCPRIM_400000_NS6detail17trampoline_kernelINS0_14default_configENS1_35adjacent_difference_config_selectorILb1ElEEZNS1_24adjacent_difference_implIS3_Lb1ELb0EPlS7_ZN2at6native12_GLOBAL__N_124unique_dim_cuda_templateIfEESt5tupleIJNS8_6TensorESD_SD_EERKSD_lbbbEUlllE1_EE10hipError_tPvRmT2_T3_mT4_P12ihipStream_tbEUlT_E_NS1_11comp_targetILNS1_3genE2ELNS1_11target_archE906ELNS1_3gpuE6ELNS1_3repE0EEENS1_30default_config_static_selectorELNS0_4arch9wavefront6targetE1EEEvT1_: ; @_ZN7rocprim17ROCPRIM_400000_NS6detail17trampoline_kernelINS0_14default_configENS1_35adjacent_difference_config_selectorILb1ElEEZNS1_24adjacent_difference_implIS3_Lb1ELb0EPlS7_ZN2at6native12_GLOBAL__N_124unique_dim_cuda_templateIfEESt5tupleIJNS8_6TensorESD_SD_EERKSD_lbbbEUlllE1_EE10hipError_tPvRmT2_T3_mT4_P12ihipStream_tbEUlT_E_NS1_11comp_targetILNS1_3genE2ELNS1_11target_archE906ELNS1_3gpuE6ELNS1_3repE0EEENS1_30default_config_static_selectorELNS0_4arch9wavefront6targetE1EEEvT1_
; %bb.0:
	.section	.rodata,"a",@progbits
	.p2align	6, 0x0
	.amdhsa_kernel _ZN7rocprim17ROCPRIM_400000_NS6detail17trampoline_kernelINS0_14default_configENS1_35adjacent_difference_config_selectorILb1ElEEZNS1_24adjacent_difference_implIS3_Lb1ELb0EPlS7_ZN2at6native12_GLOBAL__N_124unique_dim_cuda_templateIfEESt5tupleIJNS8_6TensorESD_SD_EERKSD_lbbbEUlllE1_EE10hipError_tPvRmT2_T3_mT4_P12ihipStream_tbEUlT_E_NS1_11comp_targetILNS1_3genE2ELNS1_11target_archE906ELNS1_3gpuE6ELNS1_3repE0EEENS1_30default_config_static_selectorELNS0_4arch9wavefront6targetE1EEEvT1_
		.amdhsa_group_segment_fixed_size 0
		.amdhsa_private_segment_fixed_size 0
		.amdhsa_kernarg_size 64
		.amdhsa_user_sgpr_count 2
		.amdhsa_user_sgpr_dispatch_ptr 0
		.amdhsa_user_sgpr_queue_ptr 0
		.amdhsa_user_sgpr_kernarg_segment_ptr 1
		.amdhsa_user_sgpr_dispatch_id 0
		.amdhsa_user_sgpr_kernarg_preload_length 0
		.amdhsa_user_sgpr_kernarg_preload_offset 0
		.amdhsa_user_sgpr_private_segment_size 0
		.amdhsa_uses_dynamic_stack 0
		.amdhsa_enable_private_segment 0
		.amdhsa_system_sgpr_workgroup_id_x 1
		.amdhsa_system_sgpr_workgroup_id_y 0
		.amdhsa_system_sgpr_workgroup_id_z 0
		.amdhsa_system_sgpr_workgroup_info 0
		.amdhsa_system_vgpr_workitem_id 0
		.amdhsa_next_free_vgpr 1
		.amdhsa_next_free_sgpr 0
		.amdhsa_accum_offset 4
		.amdhsa_reserve_vcc 0
		.amdhsa_float_round_mode_32 0
		.amdhsa_float_round_mode_16_64 0
		.amdhsa_float_denorm_mode_32 3
		.amdhsa_float_denorm_mode_16_64 3
		.amdhsa_dx10_clamp 1
		.amdhsa_ieee_mode 1
		.amdhsa_fp16_overflow 0
		.amdhsa_tg_split 0
		.amdhsa_exception_fp_ieee_invalid_op 0
		.amdhsa_exception_fp_denorm_src 0
		.amdhsa_exception_fp_ieee_div_zero 0
		.amdhsa_exception_fp_ieee_overflow 0
		.amdhsa_exception_fp_ieee_underflow 0
		.amdhsa_exception_fp_ieee_inexact 0
		.amdhsa_exception_int_div_zero 0
	.end_amdhsa_kernel
	.section	.text._ZN7rocprim17ROCPRIM_400000_NS6detail17trampoline_kernelINS0_14default_configENS1_35adjacent_difference_config_selectorILb1ElEEZNS1_24adjacent_difference_implIS3_Lb1ELb0EPlS7_ZN2at6native12_GLOBAL__N_124unique_dim_cuda_templateIfEESt5tupleIJNS8_6TensorESD_SD_EERKSD_lbbbEUlllE1_EE10hipError_tPvRmT2_T3_mT4_P12ihipStream_tbEUlT_E_NS1_11comp_targetILNS1_3genE2ELNS1_11target_archE906ELNS1_3gpuE6ELNS1_3repE0EEENS1_30default_config_static_selectorELNS0_4arch9wavefront6targetE1EEEvT1_,"axG",@progbits,_ZN7rocprim17ROCPRIM_400000_NS6detail17trampoline_kernelINS0_14default_configENS1_35adjacent_difference_config_selectorILb1ElEEZNS1_24adjacent_difference_implIS3_Lb1ELb0EPlS7_ZN2at6native12_GLOBAL__N_124unique_dim_cuda_templateIfEESt5tupleIJNS8_6TensorESD_SD_EERKSD_lbbbEUlllE1_EE10hipError_tPvRmT2_T3_mT4_P12ihipStream_tbEUlT_E_NS1_11comp_targetILNS1_3genE2ELNS1_11target_archE906ELNS1_3gpuE6ELNS1_3repE0EEENS1_30default_config_static_selectorELNS0_4arch9wavefront6targetE1EEEvT1_,comdat
.Lfunc_end926:
	.size	_ZN7rocprim17ROCPRIM_400000_NS6detail17trampoline_kernelINS0_14default_configENS1_35adjacent_difference_config_selectorILb1ElEEZNS1_24adjacent_difference_implIS3_Lb1ELb0EPlS7_ZN2at6native12_GLOBAL__N_124unique_dim_cuda_templateIfEESt5tupleIJNS8_6TensorESD_SD_EERKSD_lbbbEUlllE1_EE10hipError_tPvRmT2_T3_mT4_P12ihipStream_tbEUlT_E_NS1_11comp_targetILNS1_3genE2ELNS1_11target_archE906ELNS1_3gpuE6ELNS1_3repE0EEENS1_30default_config_static_selectorELNS0_4arch9wavefront6targetE1EEEvT1_, .Lfunc_end926-_ZN7rocprim17ROCPRIM_400000_NS6detail17trampoline_kernelINS0_14default_configENS1_35adjacent_difference_config_selectorILb1ElEEZNS1_24adjacent_difference_implIS3_Lb1ELb0EPlS7_ZN2at6native12_GLOBAL__N_124unique_dim_cuda_templateIfEESt5tupleIJNS8_6TensorESD_SD_EERKSD_lbbbEUlllE1_EE10hipError_tPvRmT2_T3_mT4_P12ihipStream_tbEUlT_E_NS1_11comp_targetILNS1_3genE2ELNS1_11target_archE906ELNS1_3gpuE6ELNS1_3repE0EEENS1_30default_config_static_selectorELNS0_4arch9wavefront6targetE1EEEvT1_
                                        ; -- End function
	.set _ZN7rocprim17ROCPRIM_400000_NS6detail17trampoline_kernelINS0_14default_configENS1_35adjacent_difference_config_selectorILb1ElEEZNS1_24adjacent_difference_implIS3_Lb1ELb0EPlS7_ZN2at6native12_GLOBAL__N_124unique_dim_cuda_templateIfEESt5tupleIJNS8_6TensorESD_SD_EERKSD_lbbbEUlllE1_EE10hipError_tPvRmT2_T3_mT4_P12ihipStream_tbEUlT_E_NS1_11comp_targetILNS1_3genE2ELNS1_11target_archE906ELNS1_3gpuE6ELNS1_3repE0EEENS1_30default_config_static_selectorELNS0_4arch9wavefront6targetE1EEEvT1_.num_vgpr, 0
	.set _ZN7rocprim17ROCPRIM_400000_NS6detail17trampoline_kernelINS0_14default_configENS1_35adjacent_difference_config_selectorILb1ElEEZNS1_24adjacent_difference_implIS3_Lb1ELb0EPlS7_ZN2at6native12_GLOBAL__N_124unique_dim_cuda_templateIfEESt5tupleIJNS8_6TensorESD_SD_EERKSD_lbbbEUlllE1_EE10hipError_tPvRmT2_T3_mT4_P12ihipStream_tbEUlT_E_NS1_11comp_targetILNS1_3genE2ELNS1_11target_archE906ELNS1_3gpuE6ELNS1_3repE0EEENS1_30default_config_static_selectorELNS0_4arch9wavefront6targetE1EEEvT1_.num_agpr, 0
	.set _ZN7rocprim17ROCPRIM_400000_NS6detail17trampoline_kernelINS0_14default_configENS1_35adjacent_difference_config_selectorILb1ElEEZNS1_24adjacent_difference_implIS3_Lb1ELb0EPlS7_ZN2at6native12_GLOBAL__N_124unique_dim_cuda_templateIfEESt5tupleIJNS8_6TensorESD_SD_EERKSD_lbbbEUlllE1_EE10hipError_tPvRmT2_T3_mT4_P12ihipStream_tbEUlT_E_NS1_11comp_targetILNS1_3genE2ELNS1_11target_archE906ELNS1_3gpuE6ELNS1_3repE0EEENS1_30default_config_static_selectorELNS0_4arch9wavefront6targetE1EEEvT1_.numbered_sgpr, 0
	.set _ZN7rocprim17ROCPRIM_400000_NS6detail17trampoline_kernelINS0_14default_configENS1_35adjacent_difference_config_selectorILb1ElEEZNS1_24adjacent_difference_implIS3_Lb1ELb0EPlS7_ZN2at6native12_GLOBAL__N_124unique_dim_cuda_templateIfEESt5tupleIJNS8_6TensorESD_SD_EERKSD_lbbbEUlllE1_EE10hipError_tPvRmT2_T3_mT4_P12ihipStream_tbEUlT_E_NS1_11comp_targetILNS1_3genE2ELNS1_11target_archE906ELNS1_3gpuE6ELNS1_3repE0EEENS1_30default_config_static_selectorELNS0_4arch9wavefront6targetE1EEEvT1_.num_named_barrier, 0
	.set _ZN7rocprim17ROCPRIM_400000_NS6detail17trampoline_kernelINS0_14default_configENS1_35adjacent_difference_config_selectorILb1ElEEZNS1_24adjacent_difference_implIS3_Lb1ELb0EPlS7_ZN2at6native12_GLOBAL__N_124unique_dim_cuda_templateIfEESt5tupleIJNS8_6TensorESD_SD_EERKSD_lbbbEUlllE1_EE10hipError_tPvRmT2_T3_mT4_P12ihipStream_tbEUlT_E_NS1_11comp_targetILNS1_3genE2ELNS1_11target_archE906ELNS1_3gpuE6ELNS1_3repE0EEENS1_30default_config_static_selectorELNS0_4arch9wavefront6targetE1EEEvT1_.private_seg_size, 0
	.set _ZN7rocprim17ROCPRIM_400000_NS6detail17trampoline_kernelINS0_14default_configENS1_35adjacent_difference_config_selectorILb1ElEEZNS1_24adjacent_difference_implIS3_Lb1ELb0EPlS7_ZN2at6native12_GLOBAL__N_124unique_dim_cuda_templateIfEESt5tupleIJNS8_6TensorESD_SD_EERKSD_lbbbEUlllE1_EE10hipError_tPvRmT2_T3_mT4_P12ihipStream_tbEUlT_E_NS1_11comp_targetILNS1_3genE2ELNS1_11target_archE906ELNS1_3gpuE6ELNS1_3repE0EEENS1_30default_config_static_selectorELNS0_4arch9wavefront6targetE1EEEvT1_.uses_vcc, 0
	.set _ZN7rocprim17ROCPRIM_400000_NS6detail17trampoline_kernelINS0_14default_configENS1_35adjacent_difference_config_selectorILb1ElEEZNS1_24adjacent_difference_implIS3_Lb1ELb0EPlS7_ZN2at6native12_GLOBAL__N_124unique_dim_cuda_templateIfEESt5tupleIJNS8_6TensorESD_SD_EERKSD_lbbbEUlllE1_EE10hipError_tPvRmT2_T3_mT4_P12ihipStream_tbEUlT_E_NS1_11comp_targetILNS1_3genE2ELNS1_11target_archE906ELNS1_3gpuE6ELNS1_3repE0EEENS1_30default_config_static_selectorELNS0_4arch9wavefront6targetE1EEEvT1_.uses_flat_scratch, 0
	.set _ZN7rocprim17ROCPRIM_400000_NS6detail17trampoline_kernelINS0_14default_configENS1_35adjacent_difference_config_selectorILb1ElEEZNS1_24adjacent_difference_implIS3_Lb1ELb0EPlS7_ZN2at6native12_GLOBAL__N_124unique_dim_cuda_templateIfEESt5tupleIJNS8_6TensorESD_SD_EERKSD_lbbbEUlllE1_EE10hipError_tPvRmT2_T3_mT4_P12ihipStream_tbEUlT_E_NS1_11comp_targetILNS1_3genE2ELNS1_11target_archE906ELNS1_3gpuE6ELNS1_3repE0EEENS1_30default_config_static_selectorELNS0_4arch9wavefront6targetE1EEEvT1_.has_dyn_sized_stack, 0
	.set _ZN7rocprim17ROCPRIM_400000_NS6detail17trampoline_kernelINS0_14default_configENS1_35adjacent_difference_config_selectorILb1ElEEZNS1_24adjacent_difference_implIS3_Lb1ELb0EPlS7_ZN2at6native12_GLOBAL__N_124unique_dim_cuda_templateIfEESt5tupleIJNS8_6TensorESD_SD_EERKSD_lbbbEUlllE1_EE10hipError_tPvRmT2_T3_mT4_P12ihipStream_tbEUlT_E_NS1_11comp_targetILNS1_3genE2ELNS1_11target_archE906ELNS1_3gpuE6ELNS1_3repE0EEENS1_30default_config_static_selectorELNS0_4arch9wavefront6targetE1EEEvT1_.has_recursion, 0
	.set _ZN7rocprim17ROCPRIM_400000_NS6detail17trampoline_kernelINS0_14default_configENS1_35adjacent_difference_config_selectorILb1ElEEZNS1_24adjacent_difference_implIS3_Lb1ELb0EPlS7_ZN2at6native12_GLOBAL__N_124unique_dim_cuda_templateIfEESt5tupleIJNS8_6TensorESD_SD_EERKSD_lbbbEUlllE1_EE10hipError_tPvRmT2_T3_mT4_P12ihipStream_tbEUlT_E_NS1_11comp_targetILNS1_3genE2ELNS1_11target_archE906ELNS1_3gpuE6ELNS1_3repE0EEENS1_30default_config_static_selectorELNS0_4arch9wavefront6targetE1EEEvT1_.has_indirect_call, 0
	.section	.AMDGPU.csdata,"",@progbits
; Kernel info:
; codeLenInByte = 0
; TotalNumSgprs: 6
; NumVgprs: 0
; NumAgprs: 0
; TotalNumVgprs: 0
; ScratchSize: 0
; MemoryBound: 0
; FloatMode: 240
; IeeeMode: 1
; LDSByteSize: 0 bytes/workgroup (compile time only)
; SGPRBlocks: 0
; VGPRBlocks: 0
; NumSGPRsForWavesPerEU: 6
; NumVGPRsForWavesPerEU: 1
; AccumOffset: 4
; Occupancy: 8
; WaveLimiterHint : 0
; COMPUTE_PGM_RSRC2:SCRATCH_EN: 0
; COMPUTE_PGM_RSRC2:USER_SGPR: 2
; COMPUTE_PGM_RSRC2:TRAP_HANDLER: 0
; COMPUTE_PGM_RSRC2:TGID_X_EN: 1
; COMPUTE_PGM_RSRC2:TGID_Y_EN: 0
; COMPUTE_PGM_RSRC2:TGID_Z_EN: 0
; COMPUTE_PGM_RSRC2:TIDIG_COMP_CNT: 0
; COMPUTE_PGM_RSRC3_GFX90A:ACCUM_OFFSET: 0
; COMPUTE_PGM_RSRC3_GFX90A:TG_SPLIT: 0
	.section	.text._ZN7rocprim17ROCPRIM_400000_NS6detail17trampoline_kernelINS0_14default_configENS1_35adjacent_difference_config_selectorILb1ElEEZNS1_24adjacent_difference_implIS3_Lb1ELb0EPlS7_ZN2at6native12_GLOBAL__N_124unique_dim_cuda_templateIfEESt5tupleIJNS8_6TensorESD_SD_EERKSD_lbbbEUlllE1_EE10hipError_tPvRmT2_T3_mT4_P12ihipStream_tbEUlT_E_NS1_11comp_targetILNS1_3genE9ELNS1_11target_archE1100ELNS1_3gpuE3ELNS1_3repE0EEENS1_30default_config_static_selectorELNS0_4arch9wavefront6targetE1EEEvT1_,"axG",@progbits,_ZN7rocprim17ROCPRIM_400000_NS6detail17trampoline_kernelINS0_14default_configENS1_35adjacent_difference_config_selectorILb1ElEEZNS1_24adjacent_difference_implIS3_Lb1ELb0EPlS7_ZN2at6native12_GLOBAL__N_124unique_dim_cuda_templateIfEESt5tupleIJNS8_6TensorESD_SD_EERKSD_lbbbEUlllE1_EE10hipError_tPvRmT2_T3_mT4_P12ihipStream_tbEUlT_E_NS1_11comp_targetILNS1_3genE9ELNS1_11target_archE1100ELNS1_3gpuE3ELNS1_3repE0EEENS1_30default_config_static_selectorELNS0_4arch9wavefront6targetE1EEEvT1_,comdat
	.globl	_ZN7rocprim17ROCPRIM_400000_NS6detail17trampoline_kernelINS0_14default_configENS1_35adjacent_difference_config_selectorILb1ElEEZNS1_24adjacent_difference_implIS3_Lb1ELb0EPlS7_ZN2at6native12_GLOBAL__N_124unique_dim_cuda_templateIfEESt5tupleIJNS8_6TensorESD_SD_EERKSD_lbbbEUlllE1_EE10hipError_tPvRmT2_T3_mT4_P12ihipStream_tbEUlT_E_NS1_11comp_targetILNS1_3genE9ELNS1_11target_archE1100ELNS1_3gpuE3ELNS1_3repE0EEENS1_30default_config_static_selectorELNS0_4arch9wavefront6targetE1EEEvT1_ ; -- Begin function _ZN7rocprim17ROCPRIM_400000_NS6detail17trampoline_kernelINS0_14default_configENS1_35adjacent_difference_config_selectorILb1ElEEZNS1_24adjacent_difference_implIS3_Lb1ELb0EPlS7_ZN2at6native12_GLOBAL__N_124unique_dim_cuda_templateIfEESt5tupleIJNS8_6TensorESD_SD_EERKSD_lbbbEUlllE1_EE10hipError_tPvRmT2_T3_mT4_P12ihipStream_tbEUlT_E_NS1_11comp_targetILNS1_3genE9ELNS1_11target_archE1100ELNS1_3gpuE3ELNS1_3repE0EEENS1_30default_config_static_selectorELNS0_4arch9wavefront6targetE1EEEvT1_
	.p2align	8
	.type	_ZN7rocprim17ROCPRIM_400000_NS6detail17trampoline_kernelINS0_14default_configENS1_35adjacent_difference_config_selectorILb1ElEEZNS1_24adjacent_difference_implIS3_Lb1ELb0EPlS7_ZN2at6native12_GLOBAL__N_124unique_dim_cuda_templateIfEESt5tupleIJNS8_6TensorESD_SD_EERKSD_lbbbEUlllE1_EE10hipError_tPvRmT2_T3_mT4_P12ihipStream_tbEUlT_E_NS1_11comp_targetILNS1_3genE9ELNS1_11target_archE1100ELNS1_3gpuE3ELNS1_3repE0EEENS1_30default_config_static_selectorELNS0_4arch9wavefront6targetE1EEEvT1_,@function
_ZN7rocprim17ROCPRIM_400000_NS6detail17trampoline_kernelINS0_14default_configENS1_35adjacent_difference_config_selectorILb1ElEEZNS1_24adjacent_difference_implIS3_Lb1ELb0EPlS7_ZN2at6native12_GLOBAL__N_124unique_dim_cuda_templateIfEESt5tupleIJNS8_6TensorESD_SD_EERKSD_lbbbEUlllE1_EE10hipError_tPvRmT2_T3_mT4_P12ihipStream_tbEUlT_E_NS1_11comp_targetILNS1_3genE9ELNS1_11target_archE1100ELNS1_3gpuE3ELNS1_3repE0EEENS1_30default_config_static_selectorELNS0_4arch9wavefront6targetE1EEEvT1_: ; @_ZN7rocprim17ROCPRIM_400000_NS6detail17trampoline_kernelINS0_14default_configENS1_35adjacent_difference_config_selectorILb1ElEEZNS1_24adjacent_difference_implIS3_Lb1ELb0EPlS7_ZN2at6native12_GLOBAL__N_124unique_dim_cuda_templateIfEESt5tupleIJNS8_6TensorESD_SD_EERKSD_lbbbEUlllE1_EE10hipError_tPvRmT2_T3_mT4_P12ihipStream_tbEUlT_E_NS1_11comp_targetILNS1_3genE9ELNS1_11target_archE1100ELNS1_3gpuE3ELNS1_3repE0EEENS1_30default_config_static_selectorELNS0_4arch9wavefront6targetE1EEEvT1_
; %bb.0:
	.section	.rodata,"a",@progbits
	.p2align	6, 0x0
	.amdhsa_kernel _ZN7rocprim17ROCPRIM_400000_NS6detail17trampoline_kernelINS0_14default_configENS1_35adjacent_difference_config_selectorILb1ElEEZNS1_24adjacent_difference_implIS3_Lb1ELb0EPlS7_ZN2at6native12_GLOBAL__N_124unique_dim_cuda_templateIfEESt5tupleIJNS8_6TensorESD_SD_EERKSD_lbbbEUlllE1_EE10hipError_tPvRmT2_T3_mT4_P12ihipStream_tbEUlT_E_NS1_11comp_targetILNS1_3genE9ELNS1_11target_archE1100ELNS1_3gpuE3ELNS1_3repE0EEENS1_30default_config_static_selectorELNS0_4arch9wavefront6targetE1EEEvT1_
		.amdhsa_group_segment_fixed_size 0
		.amdhsa_private_segment_fixed_size 0
		.amdhsa_kernarg_size 64
		.amdhsa_user_sgpr_count 2
		.amdhsa_user_sgpr_dispatch_ptr 0
		.amdhsa_user_sgpr_queue_ptr 0
		.amdhsa_user_sgpr_kernarg_segment_ptr 1
		.amdhsa_user_sgpr_dispatch_id 0
		.amdhsa_user_sgpr_kernarg_preload_length 0
		.amdhsa_user_sgpr_kernarg_preload_offset 0
		.amdhsa_user_sgpr_private_segment_size 0
		.amdhsa_uses_dynamic_stack 0
		.amdhsa_enable_private_segment 0
		.amdhsa_system_sgpr_workgroup_id_x 1
		.amdhsa_system_sgpr_workgroup_id_y 0
		.amdhsa_system_sgpr_workgroup_id_z 0
		.amdhsa_system_sgpr_workgroup_info 0
		.amdhsa_system_vgpr_workitem_id 0
		.amdhsa_next_free_vgpr 1
		.amdhsa_next_free_sgpr 0
		.amdhsa_accum_offset 4
		.amdhsa_reserve_vcc 0
		.amdhsa_float_round_mode_32 0
		.amdhsa_float_round_mode_16_64 0
		.amdhsa_float_denorm_mode_32 3
		.amdhsa_float_denorm_mode_16_64 3
		.amdhsa_dx10_clamp 1
		.amdhsa_ieee_mode 1
		.amdhsa_fp16_overflow 0
		.amdhsa_tg_split 0
		.amdhsa_exception_fp_ieee_invalid_op 0
		.amdhsa_exception_fp_denorm_src 0
		.amdhsa_exception_fp_ieee_div_zero 0
		.amdhsa_exception_fp_ieee_overflow 0
		.amdhsa_exception_fp_ieee_underflow 0
		.amdhsa_exception_fp_ieee_inexact 0
		.amdhsa_exception_int_div_zero 0
	.end_amdhsa_kernel
	.section	.text._ZN7rocprim17ROCPRIM_400000_NS6detail17trampoline_kernelINS0_14default_configENS1_35adjacent_difference_config_selectorILb1ElEEZNS1_24adjacent_difference_implIS3_Lb1ELb0EPlS7_ZN2at6native12_GLOBAL__N_124unique_dim_cuda_templateIfEESt5tupleIJNS8_6TensorESD_SD_EERKSD_lbbbEUlllE1_EE10hipError_tPvRmT2_T3_mT4_P12ihipStream_tbEUlT_E_NS1_11comp_targetILNS1_3genE9ELNS1_11target_archE1100ELNS1_3gpuE3ELNS1_3repE0EEENS1_30default_config_static_selectorELNS0_4arch9wavefront6targetE1EEEvT1_,"axG",@progbits,_ZN7rocprim17ROCPRIM_400000_NS6detail17trampoline_kernelINS0_14default_configENS1_35adjacent_difference_config_selectorILb1ElEEZNS1_24adjacent_difference_implIS3_Lb1ELb0EPlS7_ZN2at6native12_GLOBAL__N_124unique_dim_cuda_templateIfEESt5tupleIJNS8_6TensorESD_SD_EERKSD_lbbbEUlllE1_EE10hipError_tPvRmT2_T3_mT4_P12ihipStream_tbEUlT_E_NS1_11comp_targetILNS1_3genE9ELNS1_11target_archE1100ELNS1_3gpuE3ELNS1_3repE0EEENS1_30default_config_static_selectorELNS0_4arch9wavefront6targetE1EEEvT1_,comdat
.Lfunc_end927:
	.size	_ZN7rocprim17ROCPRIM_400000_NS6detail17trampoline_kernelINS0_14default_configENS1_35adjacent_difference_config_selectorILb1ElEEZNS1_24adjacent_difference_implIS3_Lb1ELb0EPlS7_ZN2at6native12_GLOBAL__N_124unique_dim_cuda_templateIfEESt5tupleIJNS8_6TensorESD_SD_EERKSD_lbbbEUlllE1_EE10hipError_tPvRmT2_T3_mT4_P12ihipStream_tbEUlT_E_NS1_11comp_targetILNS1_3genE9ELNS1_11target_archE1100ELNS1_3gpuE3ELNS1_3repE0EEENS1_30default_config_static_selectorELNS0_4arch9wavefront6targetE1EEEvT1_, .Lfunc_end927-_ZN7rocprim17ROCPRIM_400000_NS6detail17trampoline_kernelINS0_14default_configENS1_35adjacent_difference_config_selectorILb1ElEEZNS1_24adjacent_difference_implIS3_Lb1ELb0EPlS7_ZN2at6native12_GLOBAL__N_124unique_dim_cuda_templateIfEESt5tupleIJNS8_6TensorESD_SD_EERKSD_lbbbEUlllE1_EE10hipError_tPvRmT2_T3_mT4_P12ihipStream_tbEUlT_E_NS1_11comp_targetILNS1_3genE9ELNS1_11target_archE1100ELNS1_3gpuE3ELNS1_3repE0EEENS1_30default_config_static_selectorELNS0_4arch9wavefront6targetE1EEEvT1_
                                        ; -- End function
	.set _ZN7rocprim17ROCPRIM_400000_NS6detail17trampoline_kernelINS0_14default_configENS1_35adjacent_difference_config_selectorILb1ElEEZNS1_24adjacent_difference_implIS3_Lb1ELb0EPlS7_ZN2at6native12_GLOBAL__N_124unique_dim_cuda_templateIfEESt5tupleIJNS8_6TensorESD_SD_EERKSD_lbbbEUlllE1_EE10hipError_tPvRmT2_T3_mT4_P12ihipStream_tbEUlT_E_NS1_11comp_targetILNS1_3genE9ELNS1_11target_archE1100ELNS1_3gpuE3ELNS1_3repE0EEENS1_30default_config_static_selectorELNS0_4arch9wavefront6targetE1EEEvT1_.num_vgpr, 0
	.set _ZN7rocprim17ROCPRIM_400000_NS6detail17trampoline_kernelINS0_14default_configENS1_35adjacent_difference_config_selectorILb1ElEEZNS1_24adjacent_difference_implIS3_Lb1ELb0EPlS7_ZN2at6native12_GLOBAL__N_124unique_dim_cuda_templateIfEESt5tupleIJNS8_6TensorESD_SD_EERKSD_lbbbEUlllE1_EE10hipError_tPvRmT2_T3_mT4_P12ihipStream_tbEUlT_E_NS1_11comp_targetILNS1_3genE9ELNS1_11target_archE1100ELNS1_3gpuE3ELNS1_3repE0EEENS1_30default_config_static_selectorELNS0_4arch9wavefront6targetE1EEEvT1_.num_agpr, 0
	.set _ZN7rocprim17ROCPRIM_400000_NS6detail17trampoline_kernelINS0_14default_configENS1_35adjacent_difference_config_selectorILb1ElEEZNS1_24adjacent_difference_implIS3_Lb1ELb0EPlS7_ZN2at6native12_GLOBAL__N_124unique_dim_cuda_templateIfEESt5tupleIJNS8_6TensorESD_SD_EERKSD_lbbbEUlllE1_EE10hipError_tPvRmT2_T3_mT4_P12ihipStream_tbEUlT_E_NS1_11comp_targetILNS1_3genE9ELNS1_11target_archE1100ELNS1_3gpuE3ELNS1_3repE0EEENS1_30default_config_static_selectorELNS0_4arch9wavefront6targetE1EEEvT1_.numbered_sgpr, 0
	.set _ZN7rocprim17ROCPRIM_400000_NS6detail17trampoline_kernelINS0_14default_configENS1_35adjacent_difference_config_selectorILb1ElEEZNS1_24adjacent_difference_implIS3_Lb1ELb0EPlS7_ZN2at6native12_GLOBAL__N_124unique_dim_cuda_templateIfEESt5tupleIJNS8_6TensorESD_SD_EERKSD_lbbbEUlllE1_EE10hipError_tPvRmT2_T3_mT4_P12ihipStream_tbEUlT_E_NS1_11comp_targetILNS1_3genE9ELNS1_11target_archE1100ELNS1_3gpuE3ELNS1_3repE0EEENS1_30default_config_static_selectorELNS0_4arch9wavefront6targetE1EEEvT1_.num_named_barrier, 0
	.set _ZN7rocprim17ROCPRIM_400000_NS6detail17trampoline_kernelINS0_14default_configENS1_35adjacent_difference_config_selectorILb1ElEEZNS1_24adjacent_difference_implIS3_Lb1ELb0EPlS7_ZN2at6native12_GLOBAL__N_124unique_dim_cuda_templateIfEESt5tupleIJNS8_6TensorESD_SD_EERKSD_lbbbEUlllE1_EE10hipError_tPvRmT2_T3_mT4_P12ihipStream_tbEUlT_E_NS1_11comp_targetILNS1_3genE9ELNS1_11target_archE1100ELNS1_3gpuE3ELNS1_3repE0EEENS1_30default_config_static_selectorELNS0_4arch9wavefront6targetE1EEEvT1_.private_seg_size, 0
	.set _ZN7rocprim17ROCPRIM_400000_NS6detail17trampoline_kernelINS0_14default_configENS1_35adjacent_difference_config_selectorILb1ElEEZNS1_24adjacent_difference_implIS3_Lb1ELb0EPlS7_ZN2at6native12_GLOBAL__N_124unique_dim_cuda_templateIfEESt5tupleIJNS8_6TensorESD_SD_EERKSD_lbbbEUlllE1_EE10hipError_tPvRmT2_T3_mT4_P12ihipStream_tbEUlT_E_NS1_11comp_targetILNS1_3genE9ELNS1_11target_archE1100ELNS1_3gpuE3ELNS1_3repE0EEENS1_30default_config_static_selectorELNS0_4arch9wavefront6targetE1EEEvT1_.uses_vcc, 0
	.set _ZN7rocprim17ROCPRIM_400000_NS6detail17trampoline_kernelINS0_14default_configENS1_35adjacent_difference_config_selectorILb1ElEEZNS1_24adjacent_difference_implIS3_Lb1ELb0EPlS7_ZN2at6native12_GLOBAL__N_124unique_dim_cuda_templateIfEESt5tupleIJNS8_6TensorESD_SD_EERKSD_lbbbEUlllE1_EE10hipError_tPvRmT2_T3_mT4_P12ihipStream_tbEUlT_E_NS1_11comp_targetILNS1_3genE9ELNS1_11target_archE1100ELNS1_3gpuE3ELNS1_3repE0EEENS1_30default_config_static_selectorELNS0_4arch9wavefront6targetE1EEEvT1_.uses_flat_scratch, 0
	.set _ZN7rocprim17ROCPRIM_400000_NS6detail17trampoline_kernelINS0_14default_configENS1_35adjacent_difference_config_selectorILb1ElEEZNS1_24adjacent_difference_implIS3_Lb1ELb0EPlS7_ZN2at6native12_GLOBAL__N_124unique_dim_cuda_templateIfEESt5tupleIJNS8_6TensorESD_SD_EERKSD_lbbbEUlllE1_EE10hipError_tPvRmT2_T3_mT4_P12ihipStream_tbEUlT_E_NS1_11comp_targetILNS1_3genE9ELNS1_11target_archE1100ELNS1_3gpuE3ELNS1_3repE0EEENS1_30default_config_static_selectorELNS0_4arch9wavefront6targetE1EEEvT1_.has_dyn_sized_stack, 0
	.set _ZN7rocprim17ROCPRIM_400000_NS6detail17trampoline_kernelINS0_14default_configENS1_35adjacent_difference_config_selectorILb1ElEEZNS1_24adjacent_difference_implIS3_Lb1ELb0EPlS7_ZN2at6native12_GLOBAL__N_124unique_dim_cuda_templateIfEESt5tupleIJNS8_6TensorESD_SD_EERKSD_lbbbEUlllE1_EE10hipError_tPvRmT2_T3_mT4_P12ihipStream_tbEUlT_E_NS1_11comp_targetILNS1_3genE9ELNS1_11target_archE1100ELNS1_3gpuE3ELNS1_3repE0EEENS1_30default_config_static_selectorELNS0_4arch9wavefront6targetE1EEEvT1_.has_recursion, 0
	.set _ZN7rocprim17ROCPRIM_400000_NS6detail17trampoline_kernelINS0_14default_configENS1_35adjacent_difference_config_selectorILb1ElEEZNS1_24adjacent_difference_implIS3_Lb1ELb0EPlS7_ZN2at6native12_GLOBAL__N_124unique_dim_cuda_templateIfEESt5tupleIJNS8_6TensorESD_SD_EERKSD_lbbbEUlllE1_EE10hipError_tPvRmT2_T3_mT4_P12ihipStream_tbEUlT_E_NS1_11comp_targetILNS1_3genE9ELNS1_11target_archE1100ELNS1_3gpuE3ELNS1_3repE0EEENS1_30default_config_static_selectorELNS0_4arch9wavefront6targetE1EEEvT1_.has_indirect_call, 0
	.section	.AMDGPU.csdata,"",@progbits
; Kernel info:
; codeLenInByte = 0
; TotalNumSgprs: 6
; NumVgprs: 0
; NumAgprs: 0
; TotalNumVgprs: 0
; ScratchSize: 0
; MemoryBound: 0
; FloatMode: 240
; IeeeMode: 1
; LDSByteSize: 0 bytes/workgroup (compile time only)
; SGPRBlocks: 0
; VGPRBlocks: 0
; NumSGPRsForWavesPerEU: 6
; NumVGPRsForWavesPerEU: 1
; AccumOffset: 4
; Occupancy: 8
; WaveLimiterHint : 0
; COMPUTE_PGM_RSRC2:SCRATCH_EN: 0
; COMPUTE_PGM_RSRC2:USER_SGPR: 2
; COMPUTE_PGM_RSRC2:TRAP_HANDLER: 0
; COMPUTE_PGM_RSRC2:TGID_X_EN: 1
; COMPUTE_PGM_RSRC2:TGID_Y_EN: 0
; COMPUTE_PGM_RSRC2:TGID_Z_EN: 0
; COMPUTE_PGM_RSRC2:TIDIG_COMP_CNT: 0
; COMPUTE_PGM_RSRC3_GFX90A:ACCUM_OFFSET: 0
; COMPUTE_PGM_RSRC3_GFX90A:TG_SPLIT: 0
	.section	.text._ZN7rocprim17ROCPRIM_400000_NS6detail17trampoline_kernelINS0_14default_configENS1_35adjacent_difference_config_selectorILb1ElEEZNS1_24adjacent_difference_implIS3_Lb1ELb0EPlS7_ZN2at6native12_GLOBAL__N_124unique_dim_cuda_templateIfEESt5tupleIJNS8_6TensorESD_SD_EERKSD_lbbbEUlllE1_EE10hipError_tPvRmT2_T3_mT4_P12ihipStream_tbEUlT_E_NS1_11comp_targetILNS1_3genE8ELNS1_11target_archE1030ELNS1_3gpuE2ELNS1_3repE0EEENS1_30default_config_static_selectorELNS0_4arch9wavefront6targetE1EEEvT1_,"axG",@progbits,_ZN7rocprim17ROCPRIM_400000_NS6detail17trampoline_kernelINS0_14default_configENS1_35adjacent_difference_config_selectorILb1ElEEZNS1_24adjacent_difference_implIS3_Lb1ELb0EPlS7_ZN2at6native12_GLOBAL__N_124unique_dim_cuda_templateIfEESt5tupleIJNS8_6TensorESD_SD_EERKSD_lbbbEUlllE1_EE10hipError_tPvRmT2_T3_mT4_P12ihipStream_tbEUlT_E_NS1_11comp_targetILNS1_3genE8ELNS1_11target_archE1030ELNS1_3gpuE2ELNS1_3repE0EEENS1_30default_config_static_selectorELNS0_4arch9wavefront6targetE1EEEvT1_,comdat
	.globl	_ZN7rocprim17ROCPRIM_400000_NS6detail17trampoline_kernelINS0_14default_configENS1_35adjacent_difference_config_selectorILb1ElEEZNS1_24adjacent_difference_implIS3_Lb1ELb0EPlS7_ZN2at6native12_GLOBAL__N_124unique_dim_cuda_templateIfEESt5tupleIJNS8_6TensorESD_SD_EERKSD_lbbbEUlllE1_EE10hipError_tPvRmT2_T3_mT4_P12ihipStream_tbEUlT_E_NS1_11comp_targetILNS1_3genE8ELNS1_11target_archE1030ELNS1_3gpuE2ELNS1_3repE0EEENS1_30default_config_static_selectorELNS0_4arch9wavefront6targetE1EEEvT1_ ; -- Begin function _ZN7rocprim17ROCPRIM_400000_NS6detail17trampoline_kernelINS0_14default_configENS1_35adjacent_difference_config_selectorILb1ElEEZNS1_24adjacent_difference_implIS3_Lb1ELb0EPlS7_ZN2at6native12_GLOBAL__N_124unique_dim_cuda_templateIfEESt5tupleIJNS8_6TensorESD_SD_EERKSD_lbbbEUlllE1_EE10hipError_tPvRmT2_T3_mT4_P12ihipStream_tbEUlT_E_NS1_11comp_targetILNS1_3genE8ELNS1_11target_archE1030ELNS1_3gpuE2ELNS1_3repE0EEENS1_30default_config_static_selectorELNS0_4arch9wavefront6targetE1EEEvT1_
	.p2align	8
	.type	_ZN7rocprim17ROCPRIM_400000_NS6detail17trampoline_kernelINS0_14default_configENS1_35adjacent_difference_config_selectorILb1ElEEZNS1_24adjacent_difference_implIS3_Lb1ELb0EPlS7_ZN2at6native12_GLOBAL__N_124unique_dim_cuda_templateIfEESt5tupleIJNS8_6TensorESD_SD_EERKSD_lbbbEUlllE1_EE10hipError_tPvRmT2_T3_mT4_P12ihipStream_tbEUlT_E_NS1_11comp_targetILNS1_3genE8ELNS1_11target_archE1030ELNS1_3gpuE2ELNS1_3repE0EEENS1_30default_config_static_selectorELNS0_4arch9wavefront6targetE1EEEvT1_,@function
_ZN7rocprim17ROCPRIM_400000_NS6detail17trampoline_kernelINS0_14default_configENS1_35adjacent_difference_config_selectorILb1ElEEZNS1_24adjacent_difference_implIS3_Lb1ELb0EPlS7_ZN2at6native12_GLOBAL__N_124unique_dim_cuda_templateIfEESt5tupleIJNS8_6TensorESD_SD_EERKSD_lbbbEUlllE1_EE10hipError_tPvRmT2_T3_mT4_P12ihipStream_tbEUlT_E_NS1_11comp_targetILNS1_3genE8ELNS1_11target_archE1030ELNS1_3gpuE2ELNS1_3repE0EEENS1_30default_config_static_selectorELNS0_4arch9wavefront6targetE1EEEvT1_: ; @_ZN7rocprim17ROCPRIM_400000_NS6detail17trampoline_kernelINS0_14default_configENS1_35adjacent_difference_config_selectorILb1ElEEZNS1_24adjacent_difference_implIS3_Lb1ELb0EPlS7_ZN2at6native12_GLOBAL__N_124unique_dim_cuda_templateIfEESt5tupleIJNS8_6TensorESD_SD_EERKSD_lbbbEUlllE1_EE10hipError_tPvRmT2_T3_mT4_P12ihipStream_tbEUlT_E_NS1_11comp_targetILNS1_3genE8ELNS1_11target_archE1030ELNS1_3gpuE2ELNS1_3repE0EEENS1_30default_config_static_selectorELNS0_4arch9wavefront6targetE1EEEvT1_
; %bb.0:
	.section	.rodata,"a",@progbits
	.p2align	6, 0x0
	.amdhsa_kernel _ZN7rocprim17ROCPRIM_400000_NS6detail17trampoline_kernelINS0_14default_configENS1_35adjacent_difference_config_selectorILb1ElEEZNS1_24adjacent_difference_implIS3_Lb1ELb0EPlS7_ZN2at6native12_GLOBAL__N_124unique_dim_cuda_templateIfEESt5tupleIJNS8_6TensorESD_SD_EERKSD_lbbbEUlllE1_EE10hipError_tPvRmT2_T3_mT4_P12ihipStream_tbEUlT_E_NS1_11comp_targetILNS1_3genE8ELNS1_11target_archE1030ELNS1_3gpuE2ELNS1_3repE0EEENS1_30default_config_static_selectorELNS0_4arch9wavefront6targetE1EEEvT1_
		.amdhsa_group_segment_fixed_size 0
		.amdhsa_private_segment_fixed_size 0
		.amdhsa_kernarg_size 64
		.amdhsa_user_sgpr_count 2
		.amdhsa_user_sgpr_dispatch_ptr 0
		.amdhsa_user_sgpr_queue_ptr 0
		.amdhsa_user_sgpr_kernarg_segment_ptr 1
		.amdhsa_user_sgpr_dispatch_id 0
		.amdhsa_user_sgpr_kernarg_preload_length 0
		.amdhsa_user_sgpr_kernarg_preload_offset 0
		.amdhsa_user_sgpr_private_segment_size 0
		.amdhsa_uses_dynamic_stack 0
		.amdhsa_enable_private_segment 0
		.amdhsa_system_sgpr_workgroup_id_x 1
		.amdhsa_system_sgpr_workgroup_id_y 0
		.amdhsa_system_sgpr_workgroup_id_z 0
		.amdhsa_system_sgpr_workgroup_info 0
		.amdhsa_system_vgpr_workitem_id 0
		.amdhsa_next_free_vgpr 1
		.amdhsa_next_free_sgpr 0
		.amdhsa_accum_offset 4
		.amdhsa_reserve_vcc 0
		.amdhsa_float_round_mode_32 0
		.amdhsa_float_round_mode_16_64 0
		.amdhsa_float_denorm_mode_32 3
		.amdhsa_float_denorm_mode_16_64 3
		.amdhsa_dx10_clamp 1
		.amdhsa_ieee_mode 1
		.amdhsa_fp16_overflow 0
		.amdhsa_tg_split 0
		.amdhsa_exception_fp_ieee_invalid_op 0
		.amdhsa_exception_fp_denorm_src 0
		.amdhsa_exception_fp_ieee_div_zero 0
		.amdhsa_exception_fp_ieee_overflow 0
		.amdhsa_exception_fp_ieee_underflow 0
		.amdhsa_exception_fp_ieee_inexact 0
		.amdhsa_exception_int_div_zero 0
	.end_amdhsa_kernel
	.section	.text._ZN7rocprim17ROCPRIM_400000_NS6detail17trampoline_kernelINS0_14default_configENS1_35adjacent_difference_config_selectorILb1ElEEZNS1_24adjacent_difference_implIS3_Lb1ELb0EPlS7_ZN2at6native12_GLOBAL__N_124unique_dim_cuda_templateIfEESt5tupleIJNS8_6TensorESD_SD_EERKSD_lbbbEUlllE1_EE10hipError_tPvRmT2_T3_mT4_P12ihipStream_tbEUlT_E_NS1_11comp_targetILNS1_3genE8ELNS1_11target_archE1030ELNS1_3gpuE2ELNS1_3repE0EEENS1_30default_config_static_selectorELNS0_4arch9wavefront6targetE1EEEvT1_,"axG",@progbits,_ZN7rocprim17ROCPRIM_400000_NS6detail17trampoline_kernelINS0_14default_configENS1_35adjacent_difference_config_selectorILb1ElEEZNS1_24adjacent_difference_implIS3_Lb1ELb0EPlS7_ZN2at6native12_GLOBAL__N_124unique_dim_cuda_templateIfEESt5tupleIJNS8_6TensorESD_SD_EERKSD_lbbbEUlllE1_EE10hipError_tPvRmT2_T3_mT4_P12ihipStream_tbEUlT_E_NS1_11comp_targetILNS1_3genE8ELNS1_11target_archE1030ELNS1_3gpuE2ELNS1_3repE0EEENS1_30default_config_static_selectorELNS0_4arch9wavefront6targetE1EEEvT1_,comdat
.Lfunc_end928:
	.size	_ZN7rocprim17ROCPRIM_400000_NS6detail17trampoline_kernelINS0_14default_configENS1_35adjacent_difference_config_selectorILb1ElEEZNS1_24adjacent_difference_implIS3_Lb1ELb0EPlS7_ZN2at6native12_GLOBAL__N_124unique_dim_cuda_templateIfEESt5tupleIJNS8_6TensorESD_SD_EERKSD_lbbbEUlllE1_EE10hipError_tPvRmT2_T3_mT4_P12ihipStream_tbEUlT_E_NS1_11comp_targetILNS1_3genE8ELNS1_11target_archE1030ELNS1_3gpuE2ELNS1_3repE0EEENS1_30default_config_static_selectorELNS0_4arch9wavefront6targetE1EEEvT1_, .Lfunc_end928-_ZN7rocprim17ROCPRIM_400000_NS6detail17trampoline_kernelINS0_14default_configENS1_35adjacent_difference_config_selectorILb1ElEEZNS1_24adjacent_difference_implIS3_Lb1ELb0EPlS7_ZN2at6native12_GLOBAL__N_124unique_dim_cuda_templateIfEESt5tupleIJNS8_6TensorESD_SD_EERKSD_lbbbEUlllE1_EE10hipError_tPvRmT2_T3_mT4_P12ihipStream_tbEUlT_E_NS1_11comp_targetILNS1_3genE8ELNS1_11target_archE1030ELNS1_3gpuE2ELNS1_3repE0EEENS1_30default_config_static_selectorELNS0_4arch9wavefront6targetE1EEEvT1_
                                        ; -- End function
	.set _ZN7rocprim17ROCPRIM_400000_NS6detail17trampoline_kernelINS0_14default_configENS1_35adjacent_difference_config_selectorILb1ElEEZNS1_24adjacent_difference_implIS3_Lb1ELb0EPlS7_ZN2at6native12_GLOBAL__N_124unique_dim_cuda_templateIfEESt5tupleIJNS8_6TensorESD_SD_EERKSD_lbbbEUlllE1_EE10hipError_tPvRmT2_T3_mT4_P12ihipStream_tbEUlT_E_NS1_11comp_targetILNS1_3genE8ELNS1_11target_archE1030ELNS1_3gpuE2ELNS1_3repE0EEENS1_30default_config_static_selectorELNS0_4arch9wavefront6targetE1EEEvT1_.num_vgpr, 0
	.set _ZN7rocprim17ROCPRIM_400000_NS6detail17trampoline_kernelINS0_14default_configENS1_35adjacent_difference_config_selectorILb1ElEEZNS1_24adjacent_difference_implIS3_Lb1ELb0EPlS7_ZN2at6native12_GLOBAL__N_124unique_dim_cuda_templateIfEESt5tupleIJNS8_6TensorESD_SD_EERKSD_lbbbEUlllE1_EE10hipError_tPvRmT2_T3_mT4_P12ihipStream_tbEUlT_E_NS1_11comp_targetILNS1_3genE8ELNS1_11target_archE1030ELNS1_3gpuE2ELNS1_3repE0EEENS1_30default_config_static_selectorELNS0_4arch9wavefront6targetE1EEEvT1_.num_agpr, 0
	.set _ZN7rocprim17ROCPRIM_400000_NS6detail17trampoline_kernelINS0_14default_configENS1_35adjacent_difference_config_selectorILb1ElEEZNS1_24adjacent_difference_implIS3_Lb1ELb0EPlS7_ZN2at6native12_GLOBAL__N_124unique_dim_cuda_templateIfEESt5tupleIJNS8_6TensorESD_SD_EERKSD_lbbbEUlllE1_EE10hipError_tPvRmT2_T3_mT4_P12ihipStream_tbEUlT_E_NS1_11comp_targetILNS1_3genE8ELNS1_11target_archE1030ELNS1_3gpuE2ELNS1_3repE0EEENS1_30default_config_static_selectorELNS0_4arch9wavefront6targetE1EEEvT1_.numbered_sgpr, 0
	.set _ZN7rocprim17ROCPRIM_400000_NS6detail17trampoline_kernelINS0_14default_configENS1_35adjacent_difference_config_selectorILb1ElEEZNS1_24adjacent_difference_implIS3_Lb1ELb0EPlS7_ZN2at6native12_GLOBAL__N_124unique_dim_cuda_templateIfEESt5tupleIJNS8_6TensorESD_SD_EERKSD_lbbbEUlllE1_EE10hipError_tPvRmT2_T3_mT4_P12ihipStream_tbEUlT_E_NS1_11comp_targetILNS1_3genE8ELNS1_11target_archE1030ELNS1_3gpuE2ELNS1_3repE0EEENS1_30default_config_static_selectorELNS0_4arch9wavefront6targetE1EEEvT1_.num_named_barrier, 0
	.set _ZN7rocprim17ROCPRIM_400000_NS6detail17trampoline_kernelINS0_14default_configENS1_35adjacent_difference_config_selectorILb1ElEEZNS1_24adjacent_difference_implIS3_Lb1ELb0EPlS7_ZN2at6native12_GLOBAL__N_124unique_dim_cuda_templateIfEESt5tupleIJNS8_6TensorESD_SD_EERKSD_lbbbEUlllE1_EE10hipError_tPvRmT2_T3_mT4_P12ihipStream_tbEUlT_E_NS1_11comp_targetILNS1_3genE8ELNS1_11target_archE1030ELNS1_3gpuE2ELNS1_3repE0EEENS1_30default_config_static_selectorELNS0_4arch9wavefront6targetE1EEEvT1_.private_seg_size, 0
	.set _ZN7rocprim17ROCPRIM_400000_NS6detail17trampoline_kernelINS0_14default_configENS1_35adjacent_difference_config_selectorILb1ElEEZNS1_24adjacent_difference_implIS3_Lb1ELb0EPlS7_ZN2at6native12_GLOBAL__N_124unique_dim_cuda_templateIfEESt5tupleIJNS8_6TensorESD_SD_EERKSD_lbbbEUlllE1_EE10hipError_tPvRmT2_T3_mT4_P12ihipStream_tbEUlT_E_NS1_11comp_targetILNS1_3genE8ELNS1_11target_archE1030ELNS1_3gpuE2ELNS1_3repE0EEENS1_30default_config_static_selectorELNS0_4arch9wavefront6targetE1EEEvT1_.uses_vcc, 0
	.set _ZN7rocprim17ROCPRIM_400000_NS6detail17trampoline_kernelINS0_14default_configENS1_35adjacent_difference_config_selectorILb1ElEEZNS1_24adjacent_difference_implIS3_Lb1ELb0EPlS7_ZN2at6native12_GLOBAL__N_124unique_dim_cuda_templateIfEESt5tupleIJNS8_6TensorESD_SD_EERKSD_lbbbEUlllE1_EE10hipError_tPvRmT2_T3_mT4_P12ihipStream_tbEUlT_E_NS1_11comp_targetILNS1_3genE8ELNS1_11target_archE1030ELNS1_3gpuE2ELNS1_3repE0EEENS1_30default_config_static_selectorELNS0_4arch9wavefront6targetE1EEEvT1_.uses_flat_scratch, 0
	.set _ZN7rocprim17ROCPRIM_400000_NS6detail17trampoline_kernelINS0_14default_configENS1_35adjacent_difference_config_selectorILb1ElEEZNS1_24adjacent_difference_implIS3_Lb1ELb0EPlS7_ZN2at6native12_GLOBAL__N_124unique_dim_cuda_templateIfEESt5tupleIJNS8_6TensorESD_SD_EERKSD_lbbbEUlllE1_EE10hipError_tPvRmT2_T3_mT4_P12ihipStream_tbEUlT_E_NS1_11comp_targetILNS1_3genE8ELNS1_11target_archE1030ELNS1_3gpuE2ELNS1_3repE0EEENS1_30default_config_static_selectorELNS0_4arch9wavefront6targetE1EEEvT1_.has_dyn_sized_stack, 0
	.set _ZN7rocprim17ROCPRIM_400000_NS6detail17trampoline_kernelINS0_14default_configENS1_35adjacent_difference_config_selectorILb1ElEEZNS1_24adjacent_difference_implIS3_Lb1ELb0EPlS7_ZN2at6native12_GLOBAL__N_124unique_dim_cuda_templateIfEESt5tupleIJNS8_6TensorESD_SD_EERKSD_lbbbEUlllE1_EE10hipError_tPvRmT2_T3_mT4_P12ihipStream_tbEUlT_E_NS1_11comp_targetILNS1_3genE8ELNS1_11target_archE1030ELNS1_3gpuE2ELNS1_3repE0EEENS1_30default_config_static_selectorELNS0_4arch9wavefront6targetE1EEEvT1_.has_recursion, 0
	.set _ZN7rocprim17ROCPRIM_400000_NS6detail17trampoline_kernelINS0_14default_configENS1_35adjacent_difference_config_selectorILb1ElEEZNS1_24adjacent_difference_implIS3_Lb1ELb0EPlS7_ZN2at6native12_GLOBAL__N_124unique_dim_cuda_templateIfEESt5tupleIJNS8_6TensorESD_SD_EERKSD_lbbbEUlllE1_EE10hipError_tPvRmT2_T3_mT4_P12ihipStream_tbEUlT_E_NS1_11comp_targetILNS1_3genE8ELNS1_11target_archE1030ELNS1_3gpuE2ELNS1_3repE0EEENS1_30default_config_static_selectorELNS0_4arch9wavefront6targetE1EEEvT1_.has_indirect_call, 0
	.section	.AMDGPU.csdata,"",@progbits
; Kernel info:
; codeLenInByte = 0
; TotalNumSgprs: 6
; NumVgprs: 0
; NumAgprs: 0
; TotalNumVgprs: 0
; ScratchSize: 0
; MemoryBound: 0
; FloatMode: 240
; IeeeMode: 1
; LDSByteSize: 0 bytes/workgroup (compile time only)
; SGPRBlocks: 0
; VGPRBlocks: 0
; NumSGPRsForWavesPerEU: 6
; NumVGPRsForWavesPerEU: 1
; AccumOffset: 4
; Occupancy: 8
; WaveLimiterHint : 0
; COMPUTE_PGM_RSRC2:SCRATCH_EN: 0
; COMPUTE_PGM_RSRC2:USER_SGPR: 2
; COMPUTE_PGM_RSRC2:TRAP_HANDLER: 0
; COMPUTE_PGM_RSRC2:TGID_X_EN: 1
; COMPUTE_PGM_RSRC2:TGID_Y_EN: 0
; COMPUTE_PGM_RSRC2:TGID_Z_EN: 0
; COMPUTE_PGM_RSRC2:TIDIG_COMP_CNT: 0
; COMPUTE_PGM_RSRC3_GFX90A:ACCUM_OFFSET: 0
; COMPUTE_PGM_RSRC3_GFX90A:TG_SPLIT: 0
	.section	.text._ZN7rocprim17ROCPRIM_400000_NS6detail17trampoline_kernelINS0_14default_configENS1_25partition_config_selectorILNS1_17partition_subalgoE8ElNS0_10empty_typeEbEEZZNS1_14partition_implILS5_8ELb0ES3_jPlPS6_PKS6_NS0_5tupleIJS9_S6_EEENSD_IJSA_SA_EEENS0_18inequality_wrapperIZN2at6native12_GLOBAL__N_124unique_dim_cuda_templateIfEESt5tupleIJNSH_6TensorESM_SM_EERKSM_lbbbEUlllE0_EEPmJS6_EEE10hipError_tPvRmT3_T4_T5_T6_T7_T9_mT8_P12ihipStream_tbDpT10_ENKUlT_T0_E_clISt17integral_constantIbLb0EES1C_EEDaS17_S18_EUlS17_E_NS1_11comp_targetILNS1_3genE0ELNS1_11target_archE4294967295ELNS1_3gpuE0ELNS1_3repE0EEENS1_30default_config_static_selectorELNS0_4arch9wavefront6targetE1EEEvT1_,"axG",@progbits,_ZN7rocprim17ROCPRIM_400000_NS6detail17trampoline_kernelINS0_14default_configENS1_25partition_config_selectorILNS1_17partition_subalgoE8ElNS0_10empty_typeEbEEZZNS1_14partition_implILS5_8ELb0ES3_jPlPS6_PKS6_NS0_5tupleIJS9_S6_EEENSD_IJSA_SA_EEENS0_18inequality_wrapperIZN2at6native12_GLOBAL__N_124unique_dim_cuda_templateIfEESt5tupleIJNSH_6TensorESM_SM_EERKSM_lbbbEUlllE0_EEPmJS6_EEE10hipError_tPvRmT3_T4_T5_T6_T7_T9_mT8_P12ihipStream_tbDpT10_ENKUlT_T0_E_clISt17integral_constantIbLb0EES1C_EEDaS17_S18_EUlS17_E_NS1_11comp_targetILNS1_3genE0ELNS1_11target_archE4294967295ELNS1_3gpuE0ELNS1_3repE0EEENS1_30default_config_static_selectorELNS0_4arch9wavefront6targetE1EEEvT1_,comdat
	.globl	_ZN7rocprim17ROCPRIM_400000_NS6detail17trampoline_kernelINS0_14default_configENS1_25partition_config_selectorILNS1_17partition_subalgoE8ElNS0_10empty_typeEbEEZZNS1_14partition_implILS5_8ELb0ES3_jPlPS6_PKS6_NS0_5tupleIJS9_S6_EEENSD_IJSA_SA_EEENS0_18inequality_wrapperIZN2at6native12_GLOBAL__N_124unique_dim_cuda_templateIfEESt5tupleIJNSH_6TensorESM_SM_EERKSM_lbbbEUlllE0_EEPmJS6_EEE10hipError_tPvRmT3_T4_T5_T6_T7_T9_mT8_P12ihipStream_tbDpT10_ENKUlT_T0_E_clISt17integral_constantIbLb0EES1C_EEDaS17_S18_EUlS17_E_NS1_11comp_targetILNS1_3genE0ELNS1_11target_archE4294967295ELNS1_3gpuE0ELNS1_3repE0EEENS1_30default_config_static_selectorELNS0_4arch9wavefront6targetE1EEEvT1_ ; -- Begin function _ZN7rocprim17ROCPRIM_400000_NS6detail17trampoline_kernelINS0_14default_configENS1_25partition_config_selectorILNS1_17partition_subalgoE8ElNS0_10empty_typeEbEEZZNS1_14partition_implILS5_8ELb0ES3_jPlPS6_PKS6_NS0_5tupleIJS9_S6_EEENSD_IJSA_SA_EEENS0_18inequality_wrapperIZN2at6native12_GLOBAL__N_124unique_dim_cuda_templateIfEESt5tupleIJNSH_6TensorESM_SM_EERKSM_lbbbEUlllE0_EEPmJS6_EEE10hipError_tPvRmT3_T4_T5_T6_T7_T9_mT8_P12ihipStream_tbDpT10_ENKUlT_T0_E_clISt17integral_constantIbLb0EES1C_EEDaS17_S18_EUlS17_E_NS1_11comp_targetILNS1_3genE0ELNS1_11target_archE4294967295ELNS1_3gpuE0ELNS1_3repE0EEENS1_30default_config_static_selectorELNS0_4arch9wavefront6targetE1EEEvT1_
	.p2align	8
	.type	_ZN7rocprim17ROCPRIM_400000_NS6detail17trampoline_kernelINS0_14default_configENS1_25partition_config_selectorILNS1_17partition_subalgoE8ElNS0_10empty_typeEbEEZZNS1_14partition_implILS5_8ELb0ES3_jPlPS6_PKS6_NS0_5tupleIJS9_S6_EEENSD_IJSA_SA_EEENS0_18inequality_wrapperIZN2at6native12_GLOBAL__N_124unique_dim_cuda_templateIfEESt5tupleIJNSH_6TensorESM_SM_EERKSM_lbbbEUlllE0_EEPmJS6_EEE10hipError_tPvRmT3_T4_T5_T6_T7_T9_mT8_P12ihipStream_tbDpT10_ENKUlT_T0_E_clISt17integral_constantIbLb0EES1C_EEDaS17_S18_EUlS17_E_NS1_11comp_targetILNS1_3genE0ELNS1_11target_archE4294967295ELNS1_3gpuE0ELNS1_3repE0EEENS1_30default_config_static_selectorELNS0_4arch9wavefront6targetE1EEEvT1_,@function
_ZN7rocprim17ROCPRIM_400000_NS6detail17trampoline_kernelINS0_14default_configENS1_25partition_config_selectorILNS1_17partition_subalgoE8ElNS0_10empty_typeEbEEZZNS1_14partition_implILS5_8ELb0ES3_jPlPS6_PKS6_NS0_5tupleIJS9_S6_EEENSD_IJSA_SA_EEENS0_18inequality_wrapperIZN2at6native12_GLOBAL__N_124unique_dim_cuda_templateIfEESt5tupleIJNSH_6TensorESM_SM_EERKSM_lbbbEUlllE0_EEPmJS6_EEE10hipError_tPvRmT3_T4_T5_T6_T7_T9_mT8_P12ihipStream_tbDpT10_ENKUlT_T0_E_clISt17integral_constantIbLb0EES1C_EEDaS17_S18_EUlS17_E_NS1_11comp_targetILNS1_3genE0ELNS1_11target_archE4294967295ELNS1_3gpuE0ELNS1_3repE0EEENS1_30default_config_static_selectorELNS0_4arch9wavefront6targetE1EEEvT1_: ; @_ZN7rocprim17ROCPRIM_400000_NS6detail17trampoline_kernelINS0_14default_configENS1_25partition_config_selectorILNS1_17partition_subalgoE8ElNS0_10empty_typeEbEEZZNS1_14partition_implILS5_8ELb0ES3_jPlPS6_PKS6_NS0_5tupleIJS9_S6_EEENSD_IJSA_SA_EEENS0_18inequality_wrapperIZN2at6native12_GLOBAL__N_124unique_dim_cuda_templateIfEESt5tupleIJNSH_6TensorESM_SM_EERKSM_lbbbEUlllE0_EEPmJS6_EEE10hipError_tPvRmT3_T4_T5_T6_T7_T9_mT8_P12ihipStream_tbDpT10_ENKUlT_T0_E_clISt17integral_constantIbLb0EES1C_EEDaS17_S18_EUlS17_E_NS1_11comp_targetILNS1_3genE0ELNS1_11target_archE4294967295ELNS1_3gpuE0ELNS1_3repE0EEENS1_30default_config_static_selectorELNS0_4arch9wavefront6targetE1EEEvT1_
; %bb.0:
	s_load_dwordx4 s[4:7], s[0:1], 0x8
	s_load_dwordx8 s[24:31], s[0:1], 0x40
	s_load_dwordx4 s[20:23], s[0:1], 0x60
	s_load_dword s3, s[0:1], 0x70
	v_lshlrev_b32_e32 v18, 3, v0
	s_waitcnt lgkmcnt(0)
	s_lshl_b64 s[8:9], s[6:7], 3
	s_add_u32 s12, s4, s8
	s_addc_u32 s13, s5, s9
	s_mul_i32 s8, s3, 0xe00
	s_add_i32 s10, s3, -1
	s_add_i32 s3, s8, s6
	s_sub_i32 s3, s28, s3
	s_add_u32 s8, s6, s8
	s_addc_u32 s9, s7, 0
	v_mov_b64_e32 v[2:3], s[8:9]
	s_cmp_eq_u32 s2, s10
	s_load_dwordx2 s[26:27], s[26:27], 0x0
	v_cmp_le_u64_e32 vcc, s[28:29], v[2:3]
	s_cselect_b64 s[28:29], -1, 0
	s_mul_i32 s4, s2, 0xe00
	s_mov_b32 s5, 0
	s_and_b64 s[8:9], s[28:29], vcc
	s_xor_b64 s[34:35], s[8:9], -1
	s_lshl_b64 s[4:5], s[4:5], 3
	s_add_u32 s4, s12, s4
	s_mov_b64 s[10:11], -1
	s_addc_u32 s5, s13, s5
	s_and_b64 vcc, exec, s[34:35]
	s_cbranch_vccz .LBB929_2
; %bb.1:
	v_lshlrev_b32_e32 v2, 3, v0
	v_mov_b32_e32 v3, 0
	v_lshl_add_u64 v[4:5], s[4:5], 0, v[2:3]
	v_add_co_u32_e32 v8, vcc, 0x1000, v4
	global_load_dwordx2 v[6:7], v2, s[4:5]
	s_nop 0
	v_addc_co_u32_e32 v9, vcc, 0, v5, vcc
	v_add_co_u32_e32 v10, vcc, 0x2000, v4
	s_mov_b64 s[10:11], 0
	s_nop 0
	v_addc_co_u32_e32 v11, vcc, 0, v5, vcc
	v_add_co_u32_e32 v12, vcc, 0x3000, v4
	s_nop 1
	v_addc_co_u32_e32 v13, vcc, 0, v5, vcc
	v_add_co_u32_e32 v14, vcc, 0x4000, v4
	s_nop 1
	v_addc_co_u32_e32 v15, vcc, 0, v5, vcc
	global_load_dwordx2 v[16:17], v[8:9], off
	global_load_dwordx2 v[20:21], v[10:11], off
	;; [unrolled: 1-line block ×4, first 2 shown]
	v_add_co_u32_e32 v8, vcc, 0x5000, v4
	s_nop 1
	v_addc_co_u32_e32 v9, vcc, 0, v5, vcc
	v_add_co_u32_e32 v4, vcc, 0x6000, v4
	s_nop 1
	v_addc_co_u32_e32 v5, vcc, 0, v5, vcc
	global_load_dwordx2 v[10:11], v[8:9], off
	global_load_dwordx2 v[12:13], v[4:5], off
	s_waitcnt vmcnt(5)
	ds_write2st64_b64 v2, v[6:7], v[16:17] offset1:8
	s_waitcnt vmcnt(3)
	ds_write2st64_b64 v2, v[20:21], v[22:23] offset0:16 offset1:24
	s_waitcnt vmcnt(1)
	ds_write2st64_b64 v2, v[24:25], v[10:11] offset0:32 offset1:40
	s_waitcnt vmcnt(0)
	ds_write_b64 v2, v[12:13] offset:24576
	s_waitcnt lgkmcnt(0)
	s_barrier
.LBB929_2:
	s_andn2_b64 vcc, exec, s[10:11]
	s_addk_i32 s3, 0xe00
	s_cbranch_vccnz .LBB929_18
; %bb.3:
	v_mov_b32_e32 v2, 0
	v_cmp_gt_u32_e32 vcc, s3, v0
	v_mov_b32_e32 v3, v2
	v_mov_b32_e32 v4, v2
	;; [unrolled: 1-line block ×13, first 2 shown]
	s_and_saveexec_b64 s[10:11], vcc
	s_cbranch_execz .LBB929_5
; %bb.4:
	v_lshlrev_b32_e32 v1, 3, v0
	global_load_dwordx2 v[4:5], v1, s[4:5]
	v_mov_b32_e32 v6, v2
	v_mov_b32_e32 v7, v2
	;; [unrolled: 1-line block ×12, first 2 shown]
	s_waitcnt vmcnt(0)
	v_mov_b64_e32 v[2:3], v[4:5]
	v_mov_b64_e32 v[4:5], v[6:7]
	;; [unrolled: 1-line block ×8, first 2 shown]
.LBB929_5:
	s_or_b64 exec, exec, s[10:11]
	v_or_b32_e32 v1, 0x200, v0
	v_cmp_gt_u32_e32 vcc, s3, v1
	s_and_saveexec_b64 s[10:11], vcc
	s_cbranch_execz .LBB929_7
; %bb.6:
	v_lshlrev_b32_e32 v1, 3, v1
	global_load_dwordx2 v[4:5], v1, s[4:5]
.LBB929_7:
	s_or_b64 exec, exec, s[10:11]
	v_or_b32_e32 v1, 0x400, v0
	v_cmp_gt_u32_e32 vcc, s3, v1
	s_and_saveexec_b64 s[10:11], vcc
	s_cbranch_execz .LBB929_9
; %bb.8:
	v_lshlrev_b32_e32 v1, 3, v1
	global_load_dwordx2 v[6:7], v1, s[4:5]
.LBB929_9:
	s_or_b64 exec, exec, s[10:11]
	v_or_b32_e32 v1, 0x600, v0
	v_cmp_gt_u32_e32 vcc, s3, v1
	s_and_saveexec_b64 s[10:11], vcc
	s_cbranch_execz .LBB929_11
; %bb.10:
	v_lshlrev_b32_e32 v1, 3, v1
	global_load_dwordx2 v[8:9], v1, s[4:5]
.LBB929_11:
	s_or_b64 exec, exec, s[10:11]
	v_or_b32_e32 v1, 0x800, v0
	v_cmp_gt_u32_e32 vcc, s3, v1
	s_and_saveexec_b64 s[10:11], vcc
	s_cbranch_execz .LBB929_13
; %bb.12:
	v_lshlrev_b32_e32 v1, 3, v1
	global_load_dwordx2 v[10:11], v1, s[4:5]
.LBB929_13:
	s_or_b64 exec, exec, s[10:11]
	v_or_b32_e32 v1, 0xa00, v0
	v_cmp_gt_u32_e32 vcc, s3, v1
	s_and_saveexec_b64 s[10:11], vcc
	s_cbranch_execz .LBB929_15
; %bb.14:
	v_lshlrev_b32_e32 v1, 3, v1
	global_load_dwordx2 v[12:13], v1, s[4:5]
.LBB929_15:
	s_or_b64 exec, exec, s[10:11]
	v_or_b32_e32 v1, 0xc00, v0
	v_cmp_gt_u32_e32 vcc, s3, v1
	s_and_saveexec_b64 s[10:11], vcc
	s_cbranch_execz .LBB929_17
; %bb.16:
	v_lshlrev_b32_e32 v1, 3, v1
	global_load_dwordx2 v[14:15], v1, s[4:5]
.LBB929_17:
	s_or_b64 exec, exec, s[10:11]
	v_lshlrev_b32_e32 v1, 3, v0
	s_waitcnt vmcnt(0)
	ds_write2st64_b64 v1, v[2:3], v[4:5] offset1:8
	ds_write2st64_b64 v1, v[6:7], v[8:9] offset0:16 offset1:24
	ds_write2st64_b64 v1, v[10:11], v[12:13] offset0:32 offset1:40
	ds_write_b64 v1, v[14:15] offset:24576
	s_waitcnt lgkmcnt(0)
	s_barrier
.LBB929_18:
	v_mul_u32_u24_e32 v1, 7, v0
	v_lshlrev_b32_e32 v24, 3, v1
	s_waitcnt lgkmcnt(0)
	ds_read2_b64 v[10:13], v24 offset1:1
	ds_read2_b64 v[6:9], v24 offset0:2 offset1:3
	ds_read2_b64 v[2:5], v24 offset0:4 offset1:5
	ds_read_b64 v[14:15], v24 offset:48
	s_cmp_lg_u32 s2, 0
	s_cselect_b64 s[16:17], -1, 0
	s_cmp_lg_u64 s[6:7], 0
	s_cselect_b64 s[6:7], -1, 0
	s_or_b64 s[6:7], s[16:17], s[6:7]
	s_mov_b64 s[10:11], 0
	s_and_b64 vcc, exec, s[6:7]
	v_cmp_gt_i64_e64 s[12:13], s[30:31], 0
	s_waitcnt lgkmcnt(0)
	s_barrier
	s_cbranch_vccz .LBB929_34
; %bb.19:
	s_add_u32 s4, s4, -8
	s_addc_u32 s5, s5, -1
	s_load_dwordx2 s[10:11], s[4:5], 0x0
	v_cndmask_b32_e64 v16, 0, 1, s[12:13]
	v_lshlrev_b32_e32 v25, 3, v0
	s_mov_b64 s[6:7], 0
	s_and_b64 vcc, exec, s[34:35]
	v_cmp_ne_u32_e64 s[4:5], 1, v16
	ds_write_b64 v25, v[14:15]
	s_cbranch_vccz .LBB929_36
; %bb.20:
	s_and_b64 vcc, exec, s[4:5]
	s_cbranch_vccnz .LBB929_37
; %bb.21:
	v_mul_lo_u32 v19, v5, s30
	v_mul_lo_u32 v20, v4, s31
	v_mad_u64_u32 v[16:17], s[6:7], v4, s30, 0
	v_add3_u32 v17, v17, v20, v19
	v_mul_lo_u32 v19, v15, s30
	v_mul_lo_u32 v22, v14, s31
	v_mad_u64_u32 v[20:21], s[6:7], v14, s30, 0
	s_add_u32 s14, s30, -1
	v_lshl_add_u64 v[16:17], v[16:17], 2, s[20:21]
	v_add3_u32 v21, v21, v22, v19
	s_addc_u32 s15, s31, -1
	v_lshl_add_u64 v[20:21], v[20:21], 2, s[20:21]
	s_mov_b64 s[18:19], 0
	s_mov_b64 s[36:37], s[14:15]
	v_mov_b64_e32 v[22:23], v[16:17]
                                        ; implicit-def: $sgpr12_sgpr13
.LBB929_22:                             ; =>This Inner Loop Header: Depth=1
	global_load_dword v19, v[22:23], off
	global_load_dword v26, v[20:21], off
	s_add_u32 s6, s36, -1
	s_addc_u32 s7, s37, -1
	s_cmp_eq_u64 s[36:37], 0
	s_mov_b64 s[36:37], s[6:7]
	s_cselect_b64 s[38:39], -1, 0
	v_lshl_add_u64 v[22:23], v[22:23], 0, 4
	v_lshl_add_u64 v[20:21], v[20:21], 0, 4
	s_waitcnt vmcnt(0)
	v_cmp_neq_f32_e64 s[6:7], v19, v26
	s_or_b64 s[6:7], s[6:7], s[38:39]
	s_and_b64 s[6:7], exec, s[6:7]
	v_cmp_eq_f32_e32 vcc, v19, v26
	s_or_b64 s[18:19], s[6:7], s[18:19]
	s_andn2_b64 s[6:7], s[12:13], exec
	s_and_b64 s[12:13], vcc, exec
	s_or_b64 s[12:13], s[6:7], s[12:13]
	s_andn2_b64 exec, exec, s[18:19]
	s_cbranch_execnz .LBB929_22
; %bb.23:
	s_or_b64 exec, exec, s[18:19]
	v_mul_lo_u32 v19, v3, s30
	v_mul_lo_u32 v22, v2, s31
	v_mad_u64_u32 v[20:21], s[6:7], v2, s30, 0
	v_add3_u32 v21, v21, v22, v19
	v_lshl_add_u64 v[20:21], v[20:21], 2, s[20:21]
	s_mov_b64 s[36:37], 0
	s_mov_b64 s[38:39], s[14:15]
	v_mov_b64_e32 v[22:23], v[20:21]
                                        ; implicit-def: $sgpr18_sgpr19
.LBB929_24:                             ; =>This Inner Loop Header: Depth=1
	global_load_dword v19, v[22:23], off
	global_load_dword v26, v[16:17], off
	s_add_u32 s6, s38, -1
	s_addc_u32 s7, s39, -1
	s_cmp_eq_u64 s[38:39], 0
	s_mov_b64 s[38:39], s[6:7]
	s_cselect_b64 s[40:41], -1, 0
	v_lshl_add_u64 v[22:23], v[22:23], 0, 4
	v_lshl_add_u64 v[16:17], v[16:17], 0, 4
	s_waitcnt vmcnt(0)
	v_cmp_neq_f32_e64 s[6:7], v19, v26
	s_or_b64 s[6:7], s[6:7], s[40:41]
	s_and_b64 s[6:7], exec, s[6:7]
	v_cmp_eq_f32_e32 vcc, v19, v26
	s_or_b64 s[36:37], s[6:7], s[36:37]
	s_andn2_b64 s[6:7], s[18:19], exec
	s_and_b64 s[18:19], vcc, exec
	s_or_b64 s[18:19], s[6:7], s[18:19]
	s_andn2_b64 exec, exec, s[36:37]
	s_cbranch_execnz .LBB929_24
; %bb.25:
	s_or_b64 exec, exec, s[36:37]
	v_mul_lo_u32 v19, v9, s30
	v_mul_lo_u32 v22, v8, s31
	v_mad_u64_u32 v[16:17], s[6:7], v8, s30, 0
	v_add3_u32 v17, v17, v22, v19
	v_lshl_add_u64 v[16:17], v[16:17], 2, s[20:21]
	s_mov_b64 s[38:39], 0
	s_mov_b64 s[40:41], s[14:15]
	v_mov_b64_e32 v[22:23], v[16:17]
                                        ; implicit-def: $sgpr36_sgpr37
.LBB929_26:                             ; =>This Inner Loop Header: Depth=1
	global_load_dword v19, v[22:23], off
	global_load_dword v26, v[20:21], off
	s_add_u32 s6, s40, -1
	s_addc_u32 s7, s41, -1
	s_cmp_eq_u64 s[40:41], 0
	s_mov_b64 s[40:41], s[6:7]
	s_cselect_b64 s[42:43], -1, 0
	v_lshl_add_u64 v[22:23], v[22:23], 0, 4
	v_lshl_add_u64 v[20:21], v[20:21], 0, 4
	s_waitcnt vmcnt(0)
	v_cmp_neq_f32_e64 s[6:7], v19, v26
	s_or_b64 s[6:7], s[6:7], s[42:43]
	s_and_b64 s[6:7], exec, s[6:7]
	v_cmp_eq_f32_e32 vcc, v19, v26
	s_or_b64 s[38:39], s[6:7], s[38:39]
	s_andn2_b64 s[6:7], s[36:37], exec
	s_and_b64 s[36:37], vcc, exec
	s_or_b64 s[36:37], s[6:7], s[36:37]
	s_andn2_b64 exec, exec, s[38:39]
	s_cbranch_execnz .LBB929_26
; %bb.27:
	s_or_b64 exec, exec, s[38:39]
	v_mul_lo_u32 v19, v7, s30
	v_mul_lo_u32 v22, v6, s31
	v_mad_u64_u32 v[20:21], s[6:7], v6, s30, 0
	v_add3_u32 v21, v21, v22, v19
	v_lshl_add_u64 v[20:21], v[20:21], 2, s[20:21]
	s_mov_b64 s[40:41], 0
	s_mov_b64 s[42:43], s[14:15]
	v_mov_b64_e32 v[22:23], v[20:21]
                                        ; implicit-def: $sgpr38_sgpr39
.LBB929_28:                             ; =>This Inner Loop Header: Depth=1
	global_load_dword v19, v[22:23], off
	global_load_dword v26, v[16:17], off
	s_add_u32 s6, s42, -1
	s_addc_u32 s7, s43, -1
	s_cmp_eq_u64 s[42:43], 0
	s_mov_b64 s[42:43], s[6:7]
	s_cselect_b64 s[44:45], -1, 0
	v_lshl_add_u64 v[22:23], v[22:23], 0, 4
	v_lshl_add_u64 v[16:17], v[16:17], 0, 4
	s_waitcnt vmcnt(0)
	v_cmp_neq_f32_e64 s[6:7], v19, v26
	s_or_b64 s[6:7], s[6:7], s[44:45]
	s_and_b64 s[6:7], exec, s[6:7]
	v_cmp_eq_f32_e32 vcc, v19, v26
	s_or_b64 s[40:41], s[6:7], s[40:41]
	s_andn2_b64 s[6:7], s[38:39], exec
	s_and_b64 s[38:39], vcc, exec
	s_or_b64 s[38:39], s[6:7], s[38:39]
	s_andn2_b64 exec, exec, s[40:41]
	s_cbranch_execnz .LBB929_28
; %bb.29:
	s_or_b64 exec, exec, s[40:41]
	v_mul_lo_u32 v19, v13, s30
	v_mul_lo_u32 v22, v12, s31
	v_mad_u64_u32 v[16:17], s[6:7], v12, s30, 0
	v_add3_u32 v17, v17, v22, v19
	v_lshl_add_u64 v[16:17], v[16:17], 2, s[20:21]
	s_mov_b64 s[42:43], 0
	s_mov_b64 s[44:45], s[14:15]
	v_mov_b64_e32 v[22:23], v[16:17]
                                        ; implicit-def: $sgpr40_sgpr41
.LBB929_30:                             ; =>This Inner Loop Header: Depth=1
	global_load_dword v19, v[22:23], off
	global_load_dword v26, v[20:21], off
	s_add_u32 s6, s44, -1
	s_addc_u32 s7, s45, -1
	s_cmp_eq_u64 s[44:45], 0
	s_mov_b64 s[44:45], s[6:7]
	s_cselect_b64 s[46:47], -1, 0
	v_lshl_add_u64 v[22:23], v[22:23], 0, 4
	v_lshl_add_u64 v[20:21], v[20:21], 0, 4
	s_waitcnt vmcnt(0)
	v_cmp_neq_f32_e64 s[6:7], v19, v26
	s_or_b64 s[6:7], s[6:7], s[46:47]
	s_and_b64 s[6:7], exec, s[6:7]
	v_cmp_eq_f32_e32 vcc, v19, v26
	s_or_b64 s[42:43], s[6:7], s[42:43]
	s_andn2_b64 s[6:7], s[40:41], exec
	s_and_b64 s[40:41], vcc, exec
	s_or_b64 s[40:41], s[6:7], s[40:41]
	s_andn2_b64 exec, exec, s[42:43]
	s_cbranch_execnz .LBB929_30
; %bb.31:
	s_or_b64 exec, exec, s[42:43]
	v_mul_lo_u32 v19, v11, s30
	v_mul_lo_u32 v22, v10, s31
	v_mad_u64_u32 v[20:21], s[6:7], v10, s30, 0
	v_add3_u32 v21, v21, v22, v19
	v_lshl_add_u64 v[20:21], v[20:21], 2, s[20:21]
	s_mov_b64 s[44:45], 0
                                        ; implicit-def: $sgpr42_sgpr43
.LBB929_32:                             ; =>This Inner Loop Header: Depth=1
	global_load_dword v19, v[20:21], off
	global_load_dword v22, v[16:17], off
	s_add_u32 s6, s14, -1
	s_addc_u32 s7, s15, -1
	s_cmp_eq_u64 s[14:15], 0
	s_mov_b64 s[14:15], s[6:7]
	s_cselect_b64 s[46:47], -1, 0
	v_lshl_add_u64 v[20:21], v[20:21], 0, 4
	v_lshl_add_u64 v[16:17], v[16:17], 0, 4
	s_waitcnt vmcnt(0)
	v_cmp_neq_f32_e64 s[6:7], v19, v22
	s_or_b64 s[6:7], s[6:7], s[46:47]
	s_and_b64 s[6:7], exec, s[6:7]
	v_cmp_eq_f32_e32 vcc, v19, v22
	s_or_b64 s[44:45], s[6:7], s[44:45]
	s_andn2_b64 s[6:7], s[42:43], exec
	s_and_b64 s[42:43], vcc, exec
	s_or_b64 s[42:43], s[6:7], s[42:43]
	s_andn2_b64 exec, exec, s[44:45]
	s_cbranch_execnz .LBB929_32
; %bb.33:
	s_or_b64 exec, exec, s[44:45]
	s_xor_b64 s[6:7], s[18:19], -1
	v_cndmask_b32_e64 v40, 0, 1, s[6:7]
	s_xor_b64 s[6:7], s[38:39], -1
	v_cndmask_b32_e64 v16, 0, 1, s[6:7]
	v_lshlrev_b16_e32 v16, 8, v16
	s_xor_b64 s[6:7], s[12:13], -1
	v_lshrrev_b32_e32 v16, 8, v16
	v_mov_b32_e32 v20, 1
	s_xor_b64 s[12:13], s[40:41], -1
	v_cndmask_b32_e64 v19, 0, 1, s[6:7]
	s_xor_b64 s[6:7], s[36:37], -1
	v_and_b32_sdwa v16, v16, v20 dst_sel:BYTE_1 dst_unused:UNUSED_PAD src0_sel:DWORD src1_sel:DWORD
	v_cndmask_b32_e64 v20, 0, 1, s[12:13]
	v_cndmask_b32_e64 v17, 0, 1, s[6:7]
	s_xor_b64 s[6:7], s[42:43], -1
	v_or_b32_sdwa v22, v20, v16 dst_sel:WORD_1 dst_unused:UNUSED_PAD src0_sel:DWORD src1_sel:DWORD
	s_branch .LBB929_38
.LBB929_34:
                                        ; implicit-def: $sgpr6_sgpr7
                                        ; implicit-def: $vgpr19
                                        ; implicit-def: $vgpr40
                                        ; implicit-def: $vgpr17
                                        ; implicit-def: $vgpr21
	s_branch .LBB929_91
.LBB929_35:
                                        ; implicit-def: $vgpr42
                                        ; implicit-def: $vgpr41
                                        ; implicit-def: $vgpr20
	s_branch .LBB929_160
.LBB929_36:
                                        ; implicit-def: $sgpr6_sgpr7
                                        ; implicit-def: $vgpr19
                                        ; implicit-def: $vgpr40
                                        ; implicit-def: $vgpr17
                                        ; implicit-def: $vgpr21
	s_cbranch_execnz .LBB929_45
	s_branch .LBB929_90
.LBB929_37:
	v_mov_b32_e32 v22, 0
	v_mov_b32_e32 v19, 0
	v_mov_b32_e32 v40, 0
	v_mov_b32_e32 v17, 0
.LBB929_38:
	v_cmp_ne_u32_e32 vcc, 0, v0
	s_waitcnt lgkmcnt(0)
	v_mov_b64_e32 v[20:21], s[10:11]
	s_barrier
	s_and_saveexec_b64 s[12:13], vcc
; %bb.39:
	v_add_u32_e32 v16, -8, v25
	ds_read_b64 v[20:21], v16
; %bb.40:
	s_or_b64 exec, exec, s[12:13]
	v_cndmask_b32_e64 v23, 0, 1, s[6:7]
	v_lshrrev_b32_e32 v16, 16, v22
	s_mov_b32 s6, 0xc0c0304
	v_perm_b32 v16, v16, v22, s6
	v_lshlrev_b16_e32 v23, 8, v23
	s_movk_i32 s6, 0xff
	v_bitop3_b16 v22, v22, v23, s6 bitop3:0xec
	v_and_b32_e32 v26, 0xffff, v22
	s_mov_b64 s[12:13], 0
	s_and_b64 vcc, exec, s[4:5]
	s_mov_b64 s[6:7], 0
	s_cbranch_vccnz .LBB929_44
; %bb.41:
	s_waitcnt lgkmcnt(0)
	v_mul_lo_u32 v22, v21, s30
	v_mul_lo_u32 v23, v20, s31
	v_mad_u64_u32 v[20:21], s[6:7], v20, s30, 0
	v_add3_u32 v21, v21, v23, v22
	v_mul_lo_u32 v27, v11, s30
	v_mul_lo_u32 v28, v10, s31
	v_mad_u64_u32 v[22:23], s[6:7], v10, s30, 0
	v_add3_u32 v23, v23, v28, v27
	s_add_u32 s36, s30, -1
	v_lshl_add_u64 v[20:21], v[20:21], 2, s[20:21]
	v_lshl_add_u64 v[22:23], v[22:23], 2, s[20:21]
	s_addc_u32 s37, s31, -1
	s_mov_b64 s[14:15], 0
                                        ; implicit-def: $sgpr18_sgpr19
.LBB929_42:                             ; =>This Inner Loop Header: Depth=1
	global_load_dword v27, v[20:21], off
	global_load_dword v28, v[22:23], off
	s_add_u32 s6, s36, -1
	s_addc_u32 s7, s37, -1
	s_cmp_eq_u64 s[36:37], 0
	s_mov_b64 s[36:37], s[6:7]
	s_cselect_b64 s[38:39], -1, 0
	v_lshl_add_u64 v[20:21], v[20:21], 0, 4
	v_lshl_add_u64 v[22:23], v[22:23], 0, 4
	s_waitcnt vmcnt(0)
	v_cmp_neq_f32_e64 s[6:7], v27, v28
	s_or_b64 s[6:7], s[6:7], s[38:39]
	s_and_b64 s[6:7], exec, s[6:7]
	v_cmp_eq_f32_e32 vcc, v27, v28
	s_or_b64 s[14:15], s[6:7], s[14:15]
	s_andn2_b64 s[6:7], s[18:19], exec
	s_and_b64 s[18:19], vcc, exec
	s_or_b64 s[18:19], s[6:7], s[18:19]
	s_andn2_b64 exec, exec, s[14:15]
	s_cbranch_execnz .LBB929_42
; %bb.43:
	s_or_b64 exec, exec, s[14:15]
	s_xor_b64 s[6:7], s[18:19], -1
.LBB929_44:
	s_waitcnt lgkmcnt(0)
	v_lshl_or_b32 v21, v16, 16, v26
	s_and_b64 vcc, exec, s[12:13]
	s_cbranch_vccz .LBB929_90
.LBB929_45:
	v_add_u32_e32 v16, 6, v1
	v_cmp_gt_u32_e32 vcc, s3, v16
	s_mov_b64 s[14:15], 0
	s_mov_b64 s[12:13], 0
	s_and_saveexec_b64 s[18:19], vcc
	s_cbranch_execz .LBB929_51
; %bb.46:
	s_and_b64 vcc, exec, s[4:5]
	s_mov_b64 s[6:7], 0
	s_cbranch_vccnz .LBB929_50
; %bb.47:
	v_mul_lo_u32 v19, v5, s30
	v_mul_lo_u32 v20, v4, s31
	v_mad_u64_u32 v[16:17], s[6:7], v4, s30, 0
	v_add3_u32 v17, v17, v20, v19
	v_mul_lo_u32 v19, v15, s30
	v_mul_lo_u32 v22, v14, s31
	v_mad_u64_u32 v[20:21], s[6:7], v14, s30, 0
	v_add3_u32 v21, v21, v22, v19
	s_add_u32 s38, s30, -1
	v_lshl_add_u64 v[16:17], v[16:17], 2, s[20:21]
	v_lshl_add_u64 v[20:21], v[20:21], 2, s[20:21]
	s_addc_u32 s39, s31, -1
                                        ; implicit-def: $sgpr36_sgpr37
.LBB929_48:                             ; =>This Inner Loop Header: Depth=1
	global_load_dword v19, v[16:17], off
	global_load_dword v22, v[20:21], off
	s_add_u32 s6, s38, -1
	s_addc_u32 s7, s39, -1
	s_cmp_eq_u64 s[38:39], 0
	s_mov_b64 s[38:39], s[6:7]
	s_cselect_b64 s[40:41], -1, 0
	v_lshl_add_u64 v[16:17], v[16:17], 0, 4
	v_lshl_add_u64 v[20:21], v[20:21], 0, 4
	s_waitcnt vmcnt(0)
	v_cmp_neq_f32_e64 s[6:7], v19, v22
	s_or_b64 s[6:7], s[6:7], s[40:41]
	s_and_b64 s[6:7], exec, s[6:7]
	v_cmp_eq_f32_e32 vcc, v19, v22
	s_or_b64 s[12:13], s[6:7], s[12:13]
	s_andn2_b64 s[6:7], s[36:37], exec
	s_and_b64 s[36:37], vcc, exec
	s_or_b64 s[36:37], s[6:7], s[36:37]
	s_andn2_b64 exec, exec, s[12:13]
	s_cbranch_execnz .LBB929_48
; %bb.49:
	s_or_b64 exec, exec, s[12:13]
	s_xor_b64 s[6:7], s[36:37], -1
.LBB929_50:
	s_and_b64 s[12:13], s[6:7], exec
.LBB929_51:
	s_or_b64 exec, exec, s[18:19]
	v_add_u32_e32 v16, 5, v1
	v_cmp_gt_u32_e32 vcc, s3, v16
	s_and_saveexec_b64 s[18:19], vcc
	s_cbranch_execz .LBB929_57
; %bb.52:
	s_and_b64 vcc, exec, s[4:5]
	s_mov_b64 s[6:7], 0
	s_cbranch_vccnz .LBB929_56
; %bb.53:
	v_mul_lo_u32 v19, v3, s30
	v_mul_lo_u32 v20, v2, s31
	v_mad_u64_u32 v[16:17], s[6:7], v2, s30, 0
	v_add3_u32 v17, v17, v20, v19
	v_mul_lo_u32 v19, v5, s30
	v_mul_lo_u32 v22, v4, s31
	v_mad_u64_u32 v[20:21], s[6:7], v4, s30, 0
	v_add3_u32 v21, v21, v22, v19
	s_add_u32 s38, s30, -1
	v_lshl_add_u64 v[16:17], v[16:17], 2, s[20:21]
	v_lshl_add_u64 v[20:21], v[20:21], 2, s[20:21]
	s_addc_u32 s39, s31, -1
	s_mov_b64 s[14:15], 0
                                        ; implicit-def: $sgpr36_sgpr37
.LBB929_54:                             ; =>This Inner Loop Header: Depth=1
	global_load_dword v19, v[16:17], off
	global_load_dword v22, v[20:21], off
	s_add_u32 s6, s38, -1
	s_addc_u32 s7, s39, -1
	s_cmp_eq_u64 s[38:39], 0
	s_mov_b64 s[38:39], s[6:7]
	s_cselect_b64 s[40:41], -1, 0
	v_lshl_add_u64 v[16:17], v[16:17], 0, 4
	v_lshl_add_u64 v[20:21], v[20:21], 0, 4
	s_waitcnt vmcnt(0)
	v_cmp_neq_f32_e64 s[6:7], v19, v22
	s_or_b64 s[6:7], s[6:7], s[40:41]
	s_and_b64 s[6:7], exec, s[6:7]
	v_cmp_eq_f32_e32 vcc, v19, v22
	s_or_b64 s[14:15], s[6:7], s[14:15]
	s_andn2_b64 s[6:7], s[36:37], exec
	s_and_b64 s[36:37], vcc, exec
	s_or_b64 s[36:37], s[6:7], s[36:37]
	s_andn2_b64 exec, exec, s[14:15]
	s_cbranch_execnz .LBB929_54
; %bb.55:
	s_or_b64 exec, exec, s[14:15]
	s_xor_b64 s[6:7], s[36:37], -1
.LBB929_56:
	s_and_b64 s[14:15], s[6:7], exec
.LBB929_57:
	s_or_b64 exec, exec, s[18:19]
	v_add_u32_e32 v16, 4, v1
	v_cmp_gt_u32_e32 vcc, s3, v16
	s_mov_b64 s[36:37], 0
	s_mov_b64 s[18:19], 0
	s_and_saveexec_b64 s[38:39], vcc
	s_cbranch_execz .LBB929_63
; %bb.58:
	s_and_b64 vcc, exec, s[4:5]
	s_mov_b64 s[6:7], 0
	s_cbranch_vccnz .LBB929_62
; %bb.59:
	v_mul_lo_u32 v19, v9, s30
	v_mul_lo_u32 v20, v8, s31
	v_mad_u64_u32 v[16:17], s[6:7], v8, s30, 0
	v_add3_u32 v17, v17, v20, v19
	v_mul_lo_u32 v19, v3, s30
	v_mul_lo_u32 v22, v2, s31
	v_mad_u64_u32 v[20:21], s[6:7], v2, s30, 0
	v_add3_u32 v21, v21, v22, v19
	s_add_u32 s42, s30, -1
	v_lshl_add_u64 v[16:17], v[16:17], 2, s[20:21]
	v_lshl_add_u64 v[20:21], v[20:21], 2, s[20:21]
	s_addc_u32 s43, s31, -1
                                        ; implicit-def: $sgpr40_sgpr41
.LBB929_60:                             ; =>This Inner Loop Header: Depth=1
	global_load_dword v19, v[16:17], off
	global_load_dword v22, v[20:21], off
	s_add_u32 s6, s42, -1
	s_addc_u32 s7, s43, -1
	s_cmp_eq_u64 s[42:43], 0
	s_mov_b64 s[42:43], s[6:7]
	s_cselect_b64 s[44:45], -1, 0
	v_lshl_add_u64 v[16:17], v[16:17], 0, 4
	v_lshl_add_u64 v[20:21], v[20:21], 0, 4
	s_waitcnt vmcnt(0)
	v_cmp_neq_f32_e64 s[6:7], v19, v22
	s_or_b64 s[6:7], s[6:7], s[44:45]
	s_and_b64 s[6:7], exec, s[6:7]
	v_cmp_eq_f32_e32 vcc, v19, v22
	s_or_b64 s[18:19], s[6:7], s[18:19]
	s_andn2_b64 s[6:7], s[40:41], exec
	s_and_b64 s[40:41], vcc, exec
	s_or_b64 s[40:41], s[6:7], s[40:41]
	s_andn2_b64 exec, exec, s[18:19]
	s_cbranch_execnz .LBB929_60
; %bb.61:
	s_or_b64 exec, exec, s[18:19]
	s_xor_b64 s[6:7], s[40:41], -1
.LBB929_62:
	s_and_b64 s[18:19], s[6:7], exec
.LBB929_63:
	s_or_b64 exec, exec, s[38:39]
	v_add_u32_e32 v16, 3, v1
	v_cmp_gt_u32_e32 vcc, s3, v16
	s_and_saveexec_b64 s[38:39], vcc
	s_cbranch_execz .LBB929_69
; %bb.64:
	s_and_b64 vcc, exec, s[4:5]
	s_mov_b64 s[6:7], 0
	s_cbranch_vccnz .LBB929_68
; %bb.65:
	v_mul_lo_u32 v19, v7, s30
	v_mul_lo_u32 v20, v6, s31
	v_mad_u64_u32 v[16:17], s[6:7], v6, s30, 0
	v_add3_u32 v17, v17, v20, v19
	v_mul_lo_u32 v19, v9, s30
	v_mul_lo_u32 v22, v8, s31
	v_mad_u64_u32 v[20:21], s[6:7], v8, s30, 0
	v_add3_u32 v21, v21, v22, v19
	s_add_u32 s42, s30, -1
	v_lshl_add_u64 v[16:17], v[16:17], 2, s[20:21]
	v_lshl_add_u64 v[20:21], v[20:21], 2, s[20:21]
	s_addc_u32 s43, s31, -1
	s_mov_b64 s[36:37], 0
                                        ; implicit-def: $sgpr40_sgpr41
.LBB929_66:                             ; =>This Inner Loop Header: Depth=1
	global_load_dword v19, v[16:17], off
	global_load_dword v22, v[20:21], off
	s_add_u32 s6, s42, -1
	s_addc_u32 s7, s43, -1
	s_cmp_eq_u64 s[42:43], 0
	s_mov_b64 s[42:43], s[6:7]
	s_cselect_b64 s[44:45], -1, 0
	v_lshl_add_u64 v[16:17], v[16:17], 0, 4
	v_lshl_add_u64 v[20:21], v[20:21], 0, 4
	s_waitcnt vmcnt(0)
	v_cmp_neq_f32_e64 s[6:7], v19, v22
	s_or_b64 s[6:7], s[6:7], s[44:45]
	s_and_b64 s[6:7], exec, s[6:7]
	v_cmp_eq_f32_e32 vcc, v19, v22
	s_or_b64 s[36:37], s[6:7], s[36:37]
	s_andn2_b64 s[6:7], s[40:41], exec
	s_and_b64 s[40:41], vcc, exec
	s_or_b64 s[40:41], s[6:7], s[40:41]
	s_andn2_b64 exec, exec, s[36:37]
	s_cbranch_execnz .LBB929_66
; %bb.67:
	s_or_b64 exec, exec, s[36:37]
	s_xor_b64 s[6:7], s[40:41], -1
.LBB929_68:
	s_and_b64 s[36:37], s[6:7], exec
.LBB929_69:
	s_or_b64 exec, exec, s[38:39]
	v_add_u32_e32 v16, 2, v1
	v_cmp_gt_u32_e32 vcc, s3, v16
	s_mov_b64 s[38:39], 0
	s_mov_b64 s[40:41], 0
	s_and_saveexec_b64 s[42:43], vcc
	s_cbranch_execz .LBB929_75
; %bb.70:
	s_and_b64 vcc, exec, s[4:5]
	s_mov_b64 s[6:7], 0
	s_cbranch_vccnz .LBB929_74
; %bb.71:
	v_mul_lo_u32 v19, v13, s30
	v_mul_lo_u32 v20, v12, s31
	v_mad_u64_u32 v[16:17], s[6:7], v12, s30, 0
	v_add3_u32 v17, v17, v20, v19
	v_mul_lo_u32 v19, v7, s30
	v_mul_lo_u32 v22, v6, s31
	v_mad_u64_u32 v[20:21], s[6:7], v6, s30, 0
	v_add3_u32 v21, v21, v22, v19
	s_add_u32 s46, s30, -1
	v_lshl_add_u64 v[16:17], v[16:17], 2, s[20:21]
	v_lshl_add_u64 v[20:21], v[20:21], 2, s[20:21]
	s_addc_u32 s47, s31, -1
                                        ; implicit-def: $sgpr44_sgpr45
.LBB929_72:                             ; =>This Inner Loop Header: Depth=1
	global_load_dword v19, v[16:17], off
	global_load_dword v22, v[20:21], off
	s_add_u32 s6, s46, -1
	s_addc_u32 s7, s47, -1
	s_cmp_eq_u64 s[46:47], 0
	s_mov_b64 s[46:47], s[6:7]
	s_cselect_b64 s[48:49], -1, 0
	v_lshl_add_u64 v[16:17], v[16:17], 0, 4
	v_lshl_add_u64 v[20:21], v[20:21], 0, 4
	s_waitcnt vmcnt(0)
	v_cmp_neq_f32_e64 s[6:7], v19, v22
	s_or_b64 s[6:7], s[6:7], s[48:49]
	s_and_b64 s[6:7], exec, s[6:7]
	v_cmp_eq_f32_e32 vcc, v19, v22
	s_or_b64 s[40:41], s[6:7], s[40:41]
	s_andn2_b64 s[6:7], s[44:45], exec
	s_and_b64 s[44:45], vcc, exec
	s_or_b64 s[44:45], s[6:7], s[44:45]
	s_andn2_b64 exec, exec, s[40:41]
	s_cbranch_execnz .LBB929_72
; %bb.73:
	s_or_b64 exec, exec, s[40:41]
	s_xor_b64 s[6:7], s[44:45], -1
.LBB929_74:
	s_and_b64 s[40:41], s[6:7], exec
.LBB929_75:
	s_or_b64 exec, exec, s[42:43]
	v_add_u32_e32 v16, 1, v1
	v_cmp_gt_u32_e32 vcc, s3, v16
	s_and_saveexec_b64 s[42:43], vcc
	s_cbranch_execz .LBB929_81
; %bb.76:
	s_and_b64 vcc, exec, s[4:5]
	s_mov_b64 s[6:7], 0
	s_cbranch_vccnz .LBB929_80
; %bb.77:
	v_mul_lo_u32 v19, v11, s30
	v_mul_lo_u32 v20, v10, s31
	v_mad_u64_u32 v[16:17], s[6:7], v10, s30, 0
	v_add3_u32 v17, v17, v20, v19
	v_mul_lo_u32 v19, v13, s30
	v_mul_lo_u32 v22, v12, s31
	v_mad_u64_u32 v[20:21], s[6:7], v12, s30, 0
	v_add3_u32 v21, v21, v22, v19
	s_add_u32 s46, s30, -1
	v_lshl_add_u64 v[16:17], v[16:17], 2, s[20:21]
	v_lshl_add_u64 v[20:21], v[20:21], 2, s[20:21]
	s_addc_u32 s47, s31, -1
	s_mov_b64 s[38:39], 0
                                        ; implicit-def: $sgpr44_sgpr45
.LBB929_78:                             ; =>This Inner Loop Header: Depth=1
	global_load_dword v19, v[16:17], off
	global_load_dword v22, v[20:21], off
	s_add_u32 s6, s46, -1
	s_addc_u32 s7, s47, -1
	s_cmp_eq_u64 s[46:47], 0
	s_mov_b64 s[46:47], s[6:7]
	s_cselect_b64 s[48:49], -1, 0
	v_lshl_add_u64 v[16:17], v[16:17], 0, 4
	v_lshl_add_u64 v[20:21], v[20:21], 0, 4
	s_waitcnt vmcnt(0)
	v_cmp_neq_f32_e64 s[6:7], v19, v22
	s_or_b64 s[6:7], s[6:7], s[48:49]
	s_and_b64 s[6:7], exec, s[6:7]
	v_cmp_eq_f32_e32 vcc, v19, v22
	s_or_b64 s[38:39], s[6:7], s[38:39]
	s_andn2_b64 s[6:7], s[44:45], exec
	s_and_b64 s[44:45], vcc, exec
	s_or_b64 s[44:45], s[6:7], s[44:45]
	s_andn2_b64 exec, exec, s[38:39]
	s_cbranch_execnz .LBB929_78
; %bb.79:
	s_or_b64 exec, exec, s[38:39]
	s_xor_b64 s[6:7], s[44:45], -1
.LBB929_80:
	s_and_b64 s[38:39], s[6:7], exec
.LBB929_81:
	s_or_b64 exec, exec, s[42:43]
	v_cmp_ne_u32_e32 vcc, 0, v0
	s_waitcnt lgkmcnt(0)
	v_mov_b64_e32 v[16:17], s[10:11]
	s_barrier
	s_and_saveexec_b64 s[6:7], vcc
; %bb.82:
	v_add_u32_e32 v16, -8, v25
	ds_read_b64 v[16:17], v16
; %bb.83:
	s_or_b64 exec, exec, s[6:7]
	v_cndmask_b32_e64 v20, 0, 1, s[36:37]
	v_cndmask_b32_e64 v19, 0, 1, s[40:41]
	v_cndmask_b32_e64 v21, 0, 1, s[38:39]
	v_lshlrev_b16_e32 v20, 8, v20
	v_cmp_gt_u32_e32 vcc, s3, v1
	v_lshlrev_b16_e32 v22, 8, v21
	v_or_b32_sdwa v23, v19, v20 dst_sel:WORD_1 dst_unused:UNUSED_PAD src0_sel:DWORD src1_sel:DWORD
	s_mov_b64 s[6:7], 0
	s_and_saveexec_b64 s[10:11], vcc
	s_cbranch_execz .LBB929_89
; %bb.84:
	s_and_b64 vcc, exec, s[4:5]
	s_mov_b64 s[4:5], 0
	s_cbranch_vccnz .LBB929_88
; %bb.85:
	s_waitcnt lgkmcnt(0)
	v_mul_lo_u32 v19, v17, s30
	v_mul_lo_u32 v20, v16, s31
	v_mad_u64_u32 v[16:17], s[4:5], v16, s30, 0
	v_add3_u32 v17, v17, v20, v19
	v_mul_lo_u32 v19, v11, s30
	v_mul_lo_u32 v25, v10, s31
	v_mad_u64_u32 v[20:21], s[4:5], v10, s30, 0
	v_add3_u32 v21, v21, v25, v19
	s_add_u32 s38, s30, -1
	v_lshl_add_u64 v[16:17], v[16:17], 2, s[20:21]
	v_lshl_add_u64 v[20:21], v[20:21], 2, s[20:21]
	s_addc_u32 s39, s31, -1
                                        ; implicit-def: $sgpr36_sgpr37
.LBB929_86:                             ; =>This Inner Loop Header: Depth=1
	global_load_dword v19, v[16:17], off
	global_load_dword v25, v[20:21], off
	s_add_u32 s4, s38, -1
	s_addc_u32 s5, s39, -1
	s_cmp_eq_u64 s[38:39], 0
	s_mov_b64 s[38:39], s[4:5]
	s_cselect_b64 s[40:41], -1, 0
	v_lshl_add_u64 v[16:17], v[16:17], 0, 4
	v_lshl_add_u64 v[20:21], v[20:21], 0, 4
	s_waitcnt vmcnt(0)
	v_cmp_neq_f32_e64 s[4:5], v19, v25
	s_or_b64 s[4:5], s[4:5], s[40:41]
	s_and_b64 s[4:5], exec, s[4:5]
	v_cmp_eq_f32_e32 vcc, v19, v25
	s_or_b64 s[6:7], s[4:5], s[6:7]
	s_andn2_b64 s[4:5], s[36:37], exec
	s_and_b64 s[36:37], vcc, exec
	s_or_b64 s[36:37], s[4:5], s[36:37]
	s_andn2_b64 exec, exec, s[6:7]
	s_cbranch_execnz .LBB929_86
; %bb.87:
	s_or_b64 exec, exec, s[6:7]
	s_xor_b64 s[4:5], s[36:37], -1
.LBB929_88:
	s_and_b64 s[6:7], s[4:5], exec
.LBB929_89:
	s_or_b64 exec, exec, s[10:11]
	s_waitcnt lgkmcnt(0)
	v_cndmask_b32_e64 v17, 0, 1, s[18:19]
	v_cndmask_b32_e64 v40, 0, 1, s[14:15]
	;; [unrolled: 1-line block ×3, first 2 shown]
	v_or_b32_e32 v21, v22, v23
.LBB929_90:
	s_waitcnt lgkmcnt(0)
	s_mov_b64 s[10:11], -1
	s_cbranch_execnz .LBB929_35
.LBB929_91:
	s_movk_i32 s4, 0xffd0
	v_mad_i32_i24 v26, v0, s4, v24
	s_mov_b64 s[6:7], 0
	v_cmp_gt_i64_e64 s[12:13], s[30:31], 0
	s_and_b64 vcc, exec, s[34:35]
	ds_write_b64 v26, v[14:15]
	s_cbranch_vccz .LBB929_106
; %bb.92:
	v_cndmask_b32_e64 v16, 0, 1, s[12:13]
	v_cmp_ne_u32_e64 s[4:5], 1, v16
	s_andn2_b64 vcc, exec, s[12:13]
	s_cbranch_vccnz .LBB929_107
; %bb.93:
	v_mul_lo_u32 v19, v5, s30
	v_mul_lo_u32 v20, v4, s31
	v_mad_u64_u32 v[16:17], s[6:7], v4, s30, 0
	v_add3_u32 v17, v17, v20, v19
	v_mul_lo_u32 v19, v15, s30
	v_mul_lo_u32 v22, v14, s31
	v_mad_u64_u32 v[20:21], s[6:7], v14, s30, 0
	s_add_u32 s18, s30, -1
	v_lshl_add_u64 v[16:17], v[16:17], 2, s[20:21]
	v_add3_u32 v21, v21, v22, v19
	s_addc_u32 s19, s31, -1
	v_lshl_add_u64 v[20:21], v[20:21], 2, s[20:21]
	s_mov_b64 s[36:37], 0
	s_mov_b64 s[38:39], s[18:19]
	v_mov_b64_e32 v[22:23], v[16:17]
                                        ; implicit-def: $sgpr14_sgpr15
.LBB929_94:                             ; =>This Inner Loop Header: Depth=1
	global_load_dword v19, v[22:23], off
	global_load_dword v24, v[20:21], off
	s_add_u32 s6, s38, -1
	s_addc_u32 s7, s39, -1
	s_cmp_eq_u64 s[38:39], 0
	s_mov_b64 s[38:39], s[6:7]
	s_cselect_b64 s[40:41], -1, 0
	v_lshl_add_u64 v[22:23], v[22:23], 0, 4
	v_lshl_add_u64 v[20:21], v[20:21], 0, 4
	s_waitcnt vmcnt(0)
	v_cmp_neq_f32_e64 s[6:7], v19, v24
	s_or_b64 s[6:7], s[6:7], s[40:41]
	s_and_b64 s[6:7], exec, s[6:7]
	v_cmp_eq_f32_e32 vcc, v19, v24
	s_or_b64 s[36:37], s[6:7], s[36:37]
	s_andn2_b64 s[6:7], s[14:15], exec
	s_and_b64 s[14:15], vcc, exec
	s_or_b64 s[14:15], s[6:7], s[14:15]
	s_andn2_b64 exec, exec, s[36:37]
	s_cbranch_execnz .LBB929_94
; %bb.95:
	s_or_b64 exec, exec, s[36:37]
	v_mul_lo_u32 v19, v3, s30
	v_mul_lo_u32 v22, v2, s31
	v_mad_u64_u32 v[20:21], s[6:7], v2, s30, 0
	v_add3_u32 v21, v21, v22, v19
	v_lshl_add_u64 v[20:21], v[20:21], 2, s[20:21]
	s_mov_b64 s[38:39], 0
	s_mov_b64 s[40:41], s[18:19]
	v_mov_b64_e32 v[22:23], v[20:21]
                                        ; implicit-def: $sgpr36_sgpr37
.LBB929_96:                             ; =>This Inner Loop Header: Depth=1
	global_load_dword v19, v[22:23], off
	global_load_dword v24, v[16:17], off
	s_add_u32 s6, s40, -1
	s_addc_u32 s7, s41, -1
	s_cmp_eq_u64 s[40:41], 0
	s_mov_b64 s[40:41], s[6:7]
	s_cselect_b64 s[42:43], -1, 0
	v_lshl_add_u64 v[22:23], v[22:23], 0, 4
	v_lshl_add_u64 v[16:17], v[16:17], 0, 4
	s_waitcnt vmcnt(0)
	v_cmp_neq_f32_e64 s[6:7], v19, v24
	s_or_b64 s[6:7], s[6:7], s[42:43]
	s_and_b64 s[6:7], exec, s[6:7]
	v_cmp_eq_f32_e32 vcc, v19, v24
	s_or_b64 s[38:39], s[6:7], s[38:39]
	s_andn2_b64 s[6:7], s[36:37], exec
	s_and_b64 s[36:37], vcc, exec
	s_or_b64 s[36:37], s[6:7], s[36:37]
	s_andn2_b64 exec, exec, s[38:39]
	s_cbranch_execnz .LBB929_96
; %bb.97:
	s_or_b64 exec, exec, s[38:39]
	v_mul_lo_u32 v19, v9, s30
	v_mul_lo_u32 v22, v8, s31
	v_mad_u64_u32 v[16:17], s[6:7], v8, s30, 0
	v_add3_u32 v17, v17, v22, v19
	v_lshl_add_u64 v[16:17], v[16:17], 2, s[20:21]
	s_mov_b64 s[40:41], 0
	s_mov_b64 s[42:43], s[18:19]
	v_mov_b64_e32 v[22:23], v[16:17]
                                        ; implicit-def: $sgpr38_sgpr39
.LBB929_98:                             ; =>This Inner Loop Header: Depth=1
	global_load_dword v19, v[22:23], off
	global_load_dword v24, v[20:21], off
	s_add_u32 s6, s42, -1
	s_addc_u32 s7, s43, -1
	s_cmp_eq_u64 s[42:43], 0
	s_mov_b64 s[42:43], s[6:7]
	s_cselect_b64 s[44:45], -1, 0
	v_lshl_add_u64 v[22:23], v[22:23], 0, 4
	v_lshl_add_u64 v[20:21], v[20:21], 0, 4
	s_waitcnt vmcnt(0)
	v_cmp_neq_f32_e64 s[6:7], v19, v24
	s_or_b64 s[6:7], s[6:7], s[44:45]
	s_and_b64 s[6:7], exec, s[6:7]
	v_cmp_eq_f32_e32 vcc, v19, v24
	s_or_b64 s[40:41], s[6:7], s[40:41]
	s_andn2_b64 s[6:7], s[38:39], exec
	s_and_b64 s[38:39], vcc, exec
	s_or_b64 s[38:39], s[6:7], s[38:39]
	s_andn2_b64 exec, exec, s[40:41]
	s_cbranch_execnz .LBB929_98
; %bb.99:
	s_or_b64 exec, exec, s[40:41]
	v_mul_lo_u32 v19, v7, s30
	v_mul_lo_u32 v22, v6, s31
	v_mad_u64_u32 v[20:21], s[6:7], v6, s30, 0
	v_add3_u32 v21, v21, v22, v19
	v_lshl_add_u64 v[20:21], v[20:21], 2, s[20:21]
	s_mov_b64 s[42:43], 0
	s_mov_b64 s[44:45], s[18:19]
	v_mov_b64_e32 v[22:23], v[20:21]
                                        ; implicit-def: $sgpr40_sgpr41
.LBB929_100:                            ; =>This Inner Loop Header: Depth=1
	global_load_dword v19, v[22:23], off
	global_load_dword v24, v[16:17], off
	s_add_u32 s6, s44, -1
	s_addc_u32 s7, s45, -1
	s_cmp_eq_u64 s[44:45], 0
	s_mov_b64 s[44:45], s[6:7]
	s_cselect_b64 s[46:47], -1, 0
	v_lshl_add_u64 v[22:23], v[22:23], 0, 4
	v_lshl_add_u64 v[16:17], v[16:17], 0, 4
	s_waitcnt vmcnt(0)
	v_cmp_neq_f32_e64 s[6:7], v19, v24
	s_or_b64 s[6:7], s[6:7], s[46:47]
	s_and_b64 s[6:7], exec, s[6:7]
	v_cmp_eq_f32_e32 vcc, v19, v24
	s_or_b64 s[42:43], s[6:7], s[42:43]
	s_andn2_b64 s[6:7], s[40:41], exec
	s_and_b64 s[40:41], vcc, exec
	s_or_b64 s[40:41], s[6:7], s[40:41]
	s_andn2_b64 exec, exec, s[42:43]
	s_cbranch_execnz .LBB929_100
; %bb.101:
	s_or_b64 exec, exec, s[42:43]
	v_mul_lo_u32 v19, v13, s30
	v_mul_lo_u32 v22, v12, s31
	v_mad_u64_u32 v[16:17], s[6:7], v12, s30, 0
	v_add3_u32 v17, v17, v22, v19
	v_lshl_add_u64 v[16:17], v[16:17], 2, s[20:21]
	s_mov_b64 s[44:45], 0
	s_mov_b64 s[46:47], s[18:19]
	v_mov_b64_e32 v[22:23], v[16:17]
                                        ; implicit-def: $sgpr42_sgpr43
.LBB929_102:                            ; =>This Inner Loop Header: Depth=1
	global_load_dword v19, v[22:23], off
	global_load_dword v24, v[20:21], off
	s_add_u32 s6, s46, -1
	s_addc_u32 s7, s47, -1
	s_cmp_eq_u64 s[46:47], 0
	s_mov_b64 s[46:47], s[6:7]
	s_cselect_b64 s[48:49], -1, 0
	v_lshl_add_u64 v[22:23], v[22:23], 0, 4
	v_lshl_add_u64 v[20:21], v[20:21], 0, 4
	s_waitcnt vmcnt(0)
	v_cmp_neq_f32_e64 s[6:7], v19, v24
	s_or_b64 s[6:7], s[6:7], s[48:49]
	s_and_b64 s[6:7], exec, s[6:7]
	v_cmp_eq_f32_e32 vcc, v19, v24
	s_or_b64 s[44:45], s[6:7], s[44:45]
	s_andn2_b64 s[6:7], s[42:43], exec
	s_and_b64 s[42:43], vcc, exec
	s_or_b64 s[42:43], s[6:7], s[42:43]
	s_andn2_b64 exec, exec, s[44:45]
	s_cbranch_execnz .LBB929_102
; %bb.103:
	s_or_b64 exec, exec, s[44:45]
	v_mul_lo_u32 v19, v11, s30
	v_mul_lo_u32 v22, v10, s31
	v_mad_u64_u32 v[20:21], s[6:7], v10, s30, 0
	v_add3_u32 v21, v21, v22, v19
	v_lshl_add_u64 v[20:21], v[20:21], 2, s[20:21]
	s_mov_b64 s[46:47], 0
                                        ; implicit-def: $sgpr44_sgpr45
.LBB929_104:                            ; =>This Inner Loop Header: Depth=1
	global_load_dword v19, v[20:21], off
	global_load_dword v22, v[16:17], off
	s_add_u32 s6, s18, -1
	s_addc_u32 s7, s19, -1
	s_cmp_eq_u64 s[18:19], 0
	s_mov_b64 s[18:19], s[6:7]
	s_cselect_b64 s[48:49], -1, 0
	v_lshl_add_u64 v[20:21], v[20:21], 0, 4
	v_lshl_add_u64 v[16:17], v[16:17], 0, 4
	s_waitcnt vmcnt(0)
	v_cmp_neq_f32_e64 s[6:7], v19, v22
	s_or_b64 s[6:7], s[6:7], s[48:49]
	s_and_b64 s[6:7], exec, s[6:7]
	v_cmp_eq_f32_e32 vcc, v19, v22
	s_or_b64 s[46:47], s[6:7], s[46:47]
	s_andn2_b64 s[6:7], s[44:45], exec
	s_and_b64 s[44:45], vcc, exec
	s_or_b64 s[44:45], s[6:7], s[44:45]
	s_andn2_b64 exec, exec, s[46:47]
	s_cbranch_execnz .LBB929_104
; %bb.105:
	s_or_b64 exec, exec, s[46:47]
	s_xor_b64 s[6:7], s[36:37], -1
	v_cndmask_b32_e64 v40, 0, 1, s[6:7]
	s_xor_b64 s[6:7], s[40:41], -1
	v_cndmask_b32_e64 v16, 0, 1, s[6:7]
	v_lshlrev_b16_e32 v16, 8, v16
	s_xor_b64 s[6:7], s[14:15], -1
	v_lshrrev_b32_e32 v16, 8, v16
	v_mov_b32_e32 v20, 1
	s_xor_b64 s[14:15], s[42:43], -1
	v_cndmask_b32_e64 v19, 0, 1, s[6:7]
	s_xor_b64 s[6:7], s[38:39], -1
	v_and_b32_sdwa v16, v16, v20 dst_sel:BYTE_1 dst_unused:UNUSED_PAD src0_sel:DWORD src1_sel:DWORD
	v_cndmask_b32_e64 v20, 0, 1, s[14:15]
	v_cndmask_b32_e64 v17, 0, 1, s[6:7]
	s_xor_b64 s[6:7], s[44:45], -1
	v_or_b32_sdwa v16, v20, v16 dst_sel:WORD_1 dst_unused:UNUSED_PAD src0_sel:DWORD src1_sel:DWORD
	s_branch .LBB929_108
.LBB929_106:
                                        ; implicit-def: $sgpr6_sgpr7
                                        ; implicit-def: $vgpr19
                                        ; implicit-def: $vgpr40
                                        ; implicit-def: $vgpr17
                                        ; implicit-def: $vgpr21
                                        ; implicit-def: $vgpr42
                                        ; implicit-def: $vgpr41
                                        ; implicit-def: $vgpr20
	s_cbranch_execnz .LBB929_115
	s_branch .LBB929_160
.LBB929_107:
	v_mov_b32_e32 v16, 0
	v_mov_b32_e32 v19, 0
	;; [unrolled: 1-line block ×4, first 2 shown]
.LBB929_108:
	v_lshrrev_b32_e32 v41, 16, v16
	v_lshrrev_b32_e32 v20, 24, v16
	v_cndmask_b32_e64 v42, 0, 1, s[6:7]
	v_mov_b32_e32 v16, 1
	v_cmp_ne_u32_e32 vcc, 0, v0
	s_waitcnt lgkmcnt(0)
	s_barrier
                                        ; implicit-def: $sgpr6_sgpr7
                                        ; implicit-def: $vgpr21
	s_and_saveexec_b64 s[14:15], vcc
	s_xor_b64 s[14:15], exec, s[14:15]
	s_cbranch_execz .LBB929_114
; %bb.109:
	v_lshlrev_b16_e32 v21, 8, v20
	s_movk_i32 s6, 0xff
	v_bitop3_b16 v21, v41, v21, s6 bitop3:0xec
	v_lshlrev_b16_e32 v22, 8, v42
	v_lshlrev_b32_e32 v21, 16, v21
	v_or_b32_e32 v22, 1, v22
	v_or_b32_sdwa v21, v22, v21 dst_sel:DWORD dst_unused:UNUSED_PAD src0_sel:WORD_0 src1_sel:DWORD
	s_mov_b32 s33, 0x3020104
	s_and_b64 vcc, exec, s[4:5]
	s_mov_b64 s[6:7], 0
	s_cbranch_vccnz .LBB929_113
; %bb.110:
	v_add_u32_e32 v22, -8, v26
	ds_read_b64 v[22:23], v22
	v_mul_lo_u32 v27, v11, s30
	v_mul_lo_u32 v28, v10, s31
	s_add_u32 s36, s30, -1
	s_addc_u32 s37, s31, -1
	s_waitcnt lgkmcnt(0)
	v_mul_lo_u32 v24, v23, s30
	v_mul_lo_u32 v25, v22, s31
	v_mad_u64_u32 v[22:23], s[4:5], v22, s30, 0
	v_add3_u32 v23, v23, v25, v24
	v_mad_u64_u32 v[24:25], s[4:5], v10, s30, 0
	v_add3_u32 v25, v25, v28, v27
	v_lshl_add_u64 v[22:23], v[22:23], 2, s[20:21]
	v_lshl_add_u64 v[24:25], v[24:25], 2, s[20:21]
                                        ; implicit-def: $sgpr18_sgpr19
.LBB929_111:                            ; =>This Inner Loop Header: Depth=1
	global_load_dword v27, v[22:23], off
	global_load_dword v28, v[24:25], off
	s_add_u32 s4, s36, -1
	s_addc_u32 s5, s37, -1
	s_cmp_eq_u64 s[36:37], 0
	s_mov_b64 s[36:37], s[4:5]
	s_cselect_b64 s[38:39], -1, 0
	v_lshl_add_u64 v[22:23], v[22:23], 0, 4
	v_lshl_add_u64 v[24:25], v[24:25], 0, 4
	s_waitcnt vmcnt(0)
	v_cmp_neq_f32_e64 s[4:5], v27, v28
	s_or_b64 s[4:5], s[4:5], s[38:39]
	s_and_b64 s[4:5], exec, s[4:5]
	v_cmp_eq_f32_e32 vcc, v27, v28
	s_or_b64 s[6:7], s[4:5], s[6:7]
	s_andn2_b64 s[4:5], s[18:19], exec
	s_and_b64 s[18:19], vcc, exec
	s_or_b64 s[18:19], s[4:5], s[18:19]
	s_andn2_b64 exec, exec, s[6:7]
	s_cbranch_execnz .LBB929_111
; %bb.112:
	s_or_b64 exec, exec, s[6:7]
	s_xor_b64 s[6:7], s[18:19], -1
.LBB929_113:
	v_perm_b32 v21, v21, v21, s33
	s_or_b64 s[10:11], s[10:11], exec
.LBB929_114:
	s_or_b64 exec, exec, s[14:15]
	s_branch .LBB929_160
.LBB929_115:
	v_add_u32_e32 v16, 6, v1
	v_cmp_gt_u32_e32 vcc, s3, v16
	s_mov_b64 s[14:15], 0
	s_mov_b64 s[6:7], 0
	s_and_saveexec_b64 s[18:19], vcc
	s_cbranch_execz .LBB929_121
; %bb.116:
	s_andn2_b64 vcc, exec, s[12:13]
	s_mov_b64 s[4:5], 0
	s_cbranch_vccnz .LBB929_120
; %bb.117:
	v_mul_lo_u32 v19, v5, s30
	v_mul_lo_u32 v20, v4, s31
	v_mad_u64_u32 v[16:17], s[4:5], v4, s30, 0
	v_add3_u32 v17, v17, v20, v19
	v_mul_lo_u32 v19, v15, s30
	v_mul_lo_u32 v22, v14, s31
	v_mad_u64_u32 v[20:21], s[4:5], v14, s30, 0
	v_add3_u32 v21, v21, v22, v19
	s_add_u32 s38, s30, -1
	v_lshl_add_u64 v[16:17], v[16:17], 2, s[20:21]
	v_lshl_add_u64 v[20:21], v[20:21], 2, s[20:21]
	s_addc_u32 s39, s31, -1
                                        ; implicit-def: $sgpr36_sgpr37
.LBB929_118:                            ; =>This Inner Loop Header: Depth=1
	global_load_dword v19, v[16:17], off
	global_load_dword v22, v[20:21], off
	s_add_u32 s4, s38, -1
	s_addc_u32 s5, s39, -1
	s_cmp_eq_u64 s[38:39], 0
	s_mov_b64 s[38:39], s[4:5]
	s_cselect_b64 s[40:41], -1, 0
	v_lshl_add_u64 v[16:17], v[16:17], 0, 4
	v_lshl_add_u64 v[20:21], v[20:21], 0, 4
	s_waitcnt vmcnt(0)
	v_cmp_neq_f32_e64 s[4:5], v19, v22
	s_or_b64 s[4:5], s[4:5], s[40:41]
	s_and_b64 s[4:5], exec, s[4:5]
	v_cmp_eq_f32_e32 vcc, v19, v22
	s_or_b64 s[6:7], s[4:5], s[6:7]
	s_andn2_b64 s[4:5], s[36:37], exec
	s_and_b64 s[36:37], vcc, exec
	s_or_b64 s[36:37], s[4:5], s[36:37]
	s_andn2_b64 exec, exec, s[6:7]
	s_cbranch_execnz .LBB929_118
; %bb.119:
	s_or_b64 exec, exec, s[6:7]
	s_xor_b64 s[4:5], s[36:37], -1
.LBB929_120:
	s_and_b64 s[6:7], s[4:5], exec
.LBB929_121:
	s_or_b64 exec, exec, s[18:19]
	v_add_u32_e32 v16, 5, v1
	v_cmp_gt_u32_e32 vcc, s3, v16
	s_and_saveexec_b64 s[18:19], vcc
	s_cbranch_execz .LBB929_127
; %bb.122:
	s_andn2_b64 vcc, exec, s[12:13]
	s_mov_b64 s[4:5], 0
	s_cbranch_vccnz .LBB929_126
; %bb.123:
	v_mul_lo_u32 v19, v3, s30
	v_mul_lo_u32 v20, v2, s31
	v_mad_u64_u32 v[16:17], s[4:5], v2, s30, 0
	v_add3_u32 v17, v17, v20, v19
	v_mul_lo_u32 v19, v5, s30
	v_mul_lo_u32 v22, v4, s31
	v_mad_u64_u32 v[20:21], s[4:5], v4, s30, 0
	v_add3_u32 v21, v21, v22, v19
	s_add_u32 s38, s30, -1
	v_lshl_add_u64 v[16:17], v[16:17], 2, s[20:21]
	v_lshl_add_u64 v[20:21], v[20:21], 2, s[20:21]
	s_addc_u32 s39, s31, -1
	s_mov_b64 s[14:15], 0
                                        ; implicit-def: $sgpr36_sgpr37
.LBB929_124:                            ; =>This Inner Loop Header: Depth=1
	global_load_dword v19, v[16:17], off
	global_load_dword v22, v[20:21], off
	s_add_u32 s4, s38, -1
	s_addc_u32 s5, s39, -1
	s_cmp_eq_u64 s[38:39], 0
	s_mov_b64 s[38:39], s[4:5]
	s_cselect_b64 s[40:41], -1, 0
	v_lshl_add_u64 v[16:17], v[16:17], 0, 4
	v_lshl_add_u64 v[20:21], v[20:21], 0, 4
	s_waitcnt vmcnt(0)
	v_cmp_neq_f32_e64 s[4:5], v19, v22
	s_or_b64 s[4:5], s[4:5], s[40:41]
	s_and_b64 s[4:5], exec, s[4:5]
	v_cmp_eq_f32_e32 vcc, v19, v22
	s_or_b64 s[14:15], s[4:5], s[14:15]
	s_andn2_b64 s[4:5], s[36:37], exec
	s_and_b64 s[36:37], vcc, exec
	s_or_b64 s[36:37], s[4:5], s[36:37]
	s_andn2_b64 exec, exec, s[14:15]
	s_cbranch_execnz .LBB929_124
; %bb.125:
	s_or_b64 exec, exec, s[14:15]
	s_xor_b64 s[4:5], s[36:37], -1
.LBB929_126:
	s_and_b64 s[14:15], s[4:5], exec
.LBB929_127:
	s_or_b64 exec, exec, s[18:19]
	v_add_u32_e32 v16, 4, v1
	v_cmp_gt_u32_e32 vcc, s3, v16
	s_mov_b64 s[18:19], 0
	s_mov_b64 s[36:37], 0
	s_and_saveexec_b64 s[38:39], vcc
	s_cbranch_execz .LBB929_133
; %bb.128:
	s_andn2_b64 vcc, exec, s[12:13]
	s_mov_b64 s[4:5], 0
	s_cbranch_vccnz .LBB929_132
; %bb.129:
	v_mul_lo_u32 v19, v9, s30
	v_mul_lo_u32 v20, v8, s31
	v_mad_u64_u32 v[16:17], s[4:5], v8, s30, 0
	v_add3_u32 v17, v17, v20, v19
	v_mul_lo_u32 v19, v3, s30
	v_mul_lo_u32 v22, v2, s31
	v_mad_u64_u32 v[20:21], s[4:5], v2, s30, 0
	v_add3_u32 v21, v21, v22, v19
	s_add_u32 s42, s30, -1
	v_lshl_add_u64 v[16:17], v[16:17], 2, s[20:21]
	v_lshl_add_u64 v[20:21], v[20:21], 2, s[20:21]
	s_addc_u32 s43, s31, -1
                                        ; implicit-def: $sgpr40_sgpr41
.LBB929_130:                            ; =>This Inner Loop Header: Depth=1
	global_load_dword v19, v[16:17], off
	global_load_dword v22, v[20:21], off
	s_add_u32 s4, s42, -1
	s_addc_u32 s5, s43, -1
	s_cmp_eq_u64 s[42:43], 0
	s_mov_b64 s[42:43], s[4:5]
	s_cselect_b64 s[44:45], -1, 0
	v_lshl_add_u64 v[16:17], v[16:17], 0, 4
	v_lshl_add_u64 v[20:21], v[20:21], 0, 4
	s_waitcnt vmcnt(0)
	v_cmp_neq_f32_e64 s[4:5], v19, v22
	s_or_b64 s[4:5], s[4:5], s[44:45]
	s_and_b64 s[4:5], exec, s[4:5]
	v_cmp_eq_f32_e32 vcc, v19, v22
	s_or_b64 s[36:37], s[4:5], s[36:37]
	s_andn2_b64 s[4:5], s[40:41], exec
	s_and_b64 s[40:41], vcc, exec
	s_or_b64 s[40:41], s[4:5], s[40:41]
	s_andn2_b64 exec, exec, s[36:37]
	s_cbranch_execnz .LBB929_130
; %bb.131:
	s_or_b64 exec, exec, s[36:37]
	s_xor_b64 s[4:5], s[40:41], -1
.LBB929_132:
	s_and_b64 s[36:37], s[4:5], exec
.LBB929_133:
	s_or_b64 exec, exec, s[38:39]
	v_add_u32_e32 v16, 3, v1
	v_cmp_gt_u32_e32 vcc, s3, v16
	s_and_saveexec_b64 s[38:39], vcc
	s_cbranch_execz .LBB929_139
; %bb.134:
	s_andn2_b64 vcc, exec, s[12:13]
	s_mov_b64 s[4:5], 0
	s_cbranch_vccnz .LBB929_138
; %bb.135:
	v_mul_lo_u32 v19, v7, s30
	v_mul_lo_u32 v20, v6, s31
	v_mad_u64_u32 v[16:17], s[4:5], v6, s30, 0
	v_add3_u32 v17, v17, v20, v19
	v_mul_lo_u32 v19, v9, s30
	v_mul_lo_u32 v22, v8, s31
	v_mad_u64_u32 v[20:21], s[4:5], v8, s30, 0
	v_add3_u32 v21, v21, v22, v19
	s_add_u32 s42, s30, -1
	v_lshl_add_u64 v[16:17], v[16:17], 2, s[20:21]
	v_lshl_add_u64 v[20:21], v[20:21], 2, s[20:21]
	s_addc_u32 s43, s31, -1
	s_mov_b64 s[18:19], 0
                                        ; implicit-def: $sgpr40_sgpr41
.LBB929_136:                            ; =>This Inner Loop Header: Depth=1
	global_load_dword v19, v[16:17], off
	global_load_dword v22, v[20:21], off
	s_add_u32 s4, s42, -1
	s_addc_u32 s5, s43, -1
	s_cmp_eq_u64 s[42:43], 0
	s_mov_b64 s[42:43], s[4:5]
	s_cselect_b64 s[44:45], -1, 0
	v_lshl_add_u64 v[16:17], v[16:17], 0, 4
	v_lshl_add_u64 v[20:21], v[20:21], 0, 4
	s_waitcnt vmcnt(0)
	v_cmp_neq_f32_e64 s[4:5], v19, v22
	s_or_b64 s[4:5], s[4:5], s[44:45]
	s_and_b64 s[4:5], exec, s[4:5]
	v_cmp_eq_f32_e32 vcc, v19, v22
	s_or_b64 s[18:19], s[4:5], s[18:19]
	s_andn2_b64 s[4:5], s[40:41], exec
	s_and_b64 s[40:41], vcc, exec
	s_or_b64 s[40:41], s[4:5], s[40:41]
	s_andn2_b64 exec, exec, s[18:19]
	s_cbranch_execnz .LBB929_136
; %bb.137:
	s_or_b64 exec, exec, s[18:19]
	s_xor_b64 s[4:5], s[40:41], -1
.LBB929_138:
	s_and_b64 s[18:19], s[4:5], exec
.LBB929_139:
	s_or_b64 exec, exec, s[38:39]
	v_add_u32_e32 v16, 2, v1
	v_cmp_gt_u32_e32 vcc, s3, v16
	s_mov_b64 s[38:39], 0
	s_mov_b64 s[40:41], 0
	s_and_saveexec_b64 s[42:43], vcc
	s_cbranch_execz .LBB929_145
; %bb.140:
	s_andn2_b64 vcc, exec, s[12:13]
	s_mov_b64 s[4:5], 0
	s_cbranch_vccnz .LBB929_144
; %bb.141:
	v_mul_lo_u32 v19, v13, s30
	v_mul_lo_u32 v20, v12, s31
	v_mad_u64_u32 v[16:17], s[4:5], v12, s30, 0
	v_add3_u32 v17, v17, v20, v19
	v_mul_lo_u32 v19, v7, s30
	v_mul_lo_u32 v22, v6, s31
	v_mad_u64_u32 v[20:21], s[4:5], v6, s30, 0
	v_add3_u32 v21, v21, v22, v19
	s_add_u32 s46, s30, -1
	v_lshl_add_u64 v[16:17], v[16:17], 2, s[20:21]
	v_lshl_add_u64 v[20:21], v[20:21], 2, s[20:21]
	s_addc_u32 s47, s31, -1
                                        ; implicit-def: $sgpr44_sgpr45
.LBB929_142:                            ; =>This Inner Loop Header: Depth=1
	global_load_dword v19, v[16:17], off
	global_load_dword v22, v[20:21], off
	s_add_u32 s4, s46, -1
	s_addc_u32 s5, s47, -1
	s_cmp_eq_u64 s[46:47], 0
	s_mov_b64 s[46:47], s[4:5]
	s_cselect_b64 s[48:49], -1, 0
	v_lshl_add_u64 v[16:17], v[16:17], 0, 4
	v_lshl_add_u64 v[20:21], v[20:21], 0, 4
	s_waitcnt vmcnt(0)
	v_cmp_neq_f32_e64 s[4:5], v19, v22
	s_or_b64 s[4:5], s[4:5], s[48:49]
	s_and_b64 s[4:5], exec, s[4:5]
	v_cmp_eq_f32_e32 vcc, v19, v22
	s_or_b64 s[40:41], s[4:5], s[40:41]
	s_andn2_b64 s[4:5], s[44:45], exec
	s_and_b64 s[44:45], vcc, exec
	s_or_b64 s[44:45], s[4:5], s[44:45]
	s_andn2_b64 exec, exec, s[40:41]
	s_cbranch_execnz .LBB929_142
; %bb.143:
	s_or_b64 exec, exec, s[40:41]
	s_xor_b64 s[4:5], s[44:45], -1
.LBB929_144:
	s_and_b64 s[40:41], s[4:5], exec
.LBB929_145:
	s_or_b64 exec, exec, s[42:43]
	v_add_u32_e32 v16, 1, v1
	v_cmp_gt_u32_e32 vcc, s3, v16
	s_and_saveexec_b64 s[42:43], vcc
	s_cbranch_execz .LBB929_151
; %bb.146:
	s_andn2_b64 vcc, exec, s[12:13]
	s_mov_b64 s[4:5], 0
	s_cbranch_vccnz .LBB929_150
; %bb.147:
	v_mul_lo_u32 v19, v11, s30
	v_mul_lo_u32 v20, v10, s31
	v_mad_u64_u32 v[16:17], s[4:5], v10, s30, 0
	v_add3_u32 v17, v17, v20, v19
	v_mul_lo_u32 v19, v13, s30
	v_mul_lo_u32 v22, v12, s31
	v_mad_u64_u32 v[20:21], s[4:5], v12, s30, 0
	v_add3_u32 v21, v21, v22, v19
	s_add_u32 s46, s30, -1
	v_lshl_add_u64 v[16:17], v[16:17], 2, s[20:21]
	v_lshl_add_u64 v[20:21], v[20:21], 2, s[20:21]
	s_addc_u32 s47, s31, -1
	s_mov_b64 s[38:39], 0
                                        ; implicit-def: $sgpr44_sgpr45
.LBB929_148:                            ; =>This Inner Loop Header: Depth=1
	global_load_dword v19, v[16:17], off
	global_load_dword v22, v[20:21], off
	s_add_u32 s4, s46, -1
	s_addc_u32 s5, s47, -1
	s_cmp_eq_u64 s[46:47], 0
	s_mov_b64 s[46:47], s[4:5]
	s_cselect_b64 s[48:49], -1, 0
	v_lshl_add_u64 v[16:17], v[16:17], 0, 4
	v_lshl_add_u64 v[20:21], v[20:21], 0, 4
	s_waitcnt vmcnt(0)
	v_cmp_neq_f32_e64 s[4:5], v19, v22
	s_or_b64 s[4:5], s[4:5], s[48:49]
	s_and_b64 s[4:5], exec, s[4:5]
	v_cmp_eq_f32_e32 vcc, v19, v22
	s_or_b64 s[38:39], s[4:5], s[38:39]
	s_andn2_b64 s[4:5], s[44:45], exec
	s_and_b64 s[44:45], vcc, exec
	s_or_b64 s[44:45], s[4:5], s[44:45]
	s_andn2_b64 exec, exec, s[38:39]
	s_cbranch_execnz .LBB929_148
; %bb.149:
	s_or_b64 exec, exec, s[38:39]
	s_xor_b64 s[4:5], s[44:45], -1
.LBB929_150:
	s_and_b64 s[38:39], s[4:5], exec
.LBB929_151:
	s_or_b64 exec, exec, s[42:43]
	v_cndmask_b32_e64 v17, 0, 1, s[36:37]
	v_cndmask_b32_e64 v40, 0, 1, s[14:15]
	;; [unrolled: 1-line block ×6, first 2 shown]
	v_mov_b32_e32 v16, 1
	v_cmp_ne_u32_e32 vcc, 0, v0
	s_waitcnt lgkmcnt(0)
	s_barrier
                                        ; implicit-def: $sgpr6_sgpr7
                                        ; implicit-def: $vgpr21
	s_and_saveexec_b64 s[14:15], vcc
	s_cbranch_execz .LBB929_159
; %bb.152:
	v_lshlrev_b16_e32 v21, 8, v42
	v_lshlrev_b16_e32 v22, 8, v20
	v_or_b32_e32 v21, 1, v21
	v_or_b32_sdwa v22, v41, v22 dst_sel:WORD_1 dst_unused:UNUSED_PAD src0_sel:DWORD src1_sel:DWORD
	v_cmp_gt_u32_e32 vcc, s3, v1
	v_or_b32_sdwa v21, v21, v22 dst_sel:DWORD dst_unused:UNUSED_PAD src0_sel:WORD_0 src1_sel:DWORD
	s_mov_b32 s33, 0x3020104
	s_mov_b64 s[6:7], 0
	s_and_saveexec_b64 s[18:19], vcc
	s_cbranch_execz .LBB929_158
; %bb.153:
	s_andn2_b64 vcc, exec, s[12:13]
	s_mov_b64 s[4:5], 0
	s_cbranch_vccnz .LBB929_157
; %bb.154:
	v_add_u32_e32 v22, -8, v26
	ds_read_b64 v[22:23], v22
	v_mul_lo_u32 v26, v11, s30
	v_mul_lo_u32 v27, v10, s31
                                        ; implicit-def: $sgpr12_sgpr13
	s_waitcnt lgkmcnt(0)
	v_mul_lo_u32 v24, v23, s30
	v_mul_lo_u32 v25, v22, s31
	v_mad_u64_u32 v[22:23], s[4:5], v22, s30, 0
	v_add3_u32 v23, v23, v25, v24
	v_mad_u64_u32 v[24:25], s[4:5], v10, s30, 0
	v_add3_u32 v25, v25, v27, v26
	v_lshl_add_u64 v[22:23], v[22:23], 2, s[20:21]
	v_lshl_add_u64 v[24:25], v[24:25], 2, s[20:21]
	s_add_u32 s20, s30, -1
	s_addc_u32 s21, s31, -1
.LBB929_155:                            ; =>This Inner Loop Header: Depth=1
	global_load_dword v26, v[22:23], off
	global_load_dword v27, v[24:25], off
	s_add_u32 s4, s20, -1
	s_addc_u32 s5, s21, -1
	s_cmp_eq_u64 s[20:21], 0
	s_mov_b64 s[20:21], s[4:5]
	s_cselect_b64 s[30:31], -1, 0
	v_lshl_add_u64 v[22:23], v[22:23], 0, 4
	v_lshl_add_u64 v[24:25], v[24:25], 0, 4
	s_waitcnt vmcnt(0)
	v_cmp_neq_f32_e64 s[4:5], v26, v27
	s_or_b64 s[4:5], s[4:5], s[30:31]
	s_and_b64 s[4:5], exec, s[4:5]
	v_cmp_eq_f32_e32 vcc, v26, v27
	s_or_b64 s[6:7], s[4:5], s[6:7]
	s_andn2_b64 s[4:5], s[12:13], exec
	s_and_b64 s[12:13], vcc, exec
	s_or_b64 s[12:13], s[4:5], s[12:13]
	s_andn2_b64 exec, exec, s[6:7]
	s_cbranch_execnz .LBB929_155
; %bb.156:
	s_or_b64 exec, exec, s[6:7]
	s_xor_b64 s[4:5], s[12:13], -1
.LBB929_157:
	s_and_b64 s[6:7], s[4:5], exec
.LBB929_158:
	s_or_b64 exec, exec, s[18:19]
	v_perm_b32 v21, v21, v21, s33
	s_or_b64 s[10:11], s[10:11], exec
.LBB929_159:
	s_or_b64 exec, exec, s[14:15]
.LBB929_160:
	s_and_saveexec_b64 s[4:5], s[10:11]
; %bb.161:
	v_lshrrev_b32_e32 v20, 24, v21
	v_lshrrev_b32_e32 v41, 16, v21
	;; [unrolled: 1-line block ×3, first 2 shown]
	v_cndmask_b32_e64 v16, 0, 1, s[6:7]
; %bb.162:
	s_or_b64 exec, exec, s[4:5]
	s_andn2_b64 vcc, exec, s[8:9]
	s_cbranch_vccnz .LBB929_166
; %bb.163:
	s_mov_b32 s4, 0xc0c0004
	v_perm_b32 v20, v41, v20, s4
	v_perm_b32 v16, v16, v42, s4
	v_lshlrev_b32_e32 v20, 16, v20
	v_or_b32_e32 v16, v16, v20
	v_cmp_gt_u32_e32 vcc, s3, v1
	v_add_u32_e32 v22, 1, v1
	v_perm_b32 v17, v17, v40, s4
	v_cndmask_b32_e32 v20, v20, v16, vcc
	v_and_b32_e32 v20, 0xffff00ff, v20
	v_cmp_gt_u32_e32 vcc, s3, v22
	v_add_u32_e32 v22, 2, v1
	s_mov_b32 s4, 0x40c0100
	v_cndmask_b32_e32 v20, v20, v16, vcc
	v_lshrrev_b32_e32 v23, 24, v20
	v_and_b32_e32 v19, 0xff, v19
	v_perm_b32 v20, v23, v20, s4
	v_cmp_gt_u32_e32 vcc, s3, v22
	v_lshlrev_b32_e32 v19, 16, v19
	v_add_u32_e32 v22, 3, v1
	v_cndmask_b32_e32 v20, v20, v16, vcc
	s_mov_b32 s4, 0xffff00
	v_or_b32_e32 v21, v17, v19
	v_and_b32_e32 v20, 0xffffff, v20
	v_cmp_gt_u32_e32 vcc, s3, v22
	v_bitop3_b32 v17, v17, s4, v19 bitop3:0xc8
	v_add_u32_e32 v19, 4, v1
	v_cndmask_b32_e32 v20, v20, v16, vcc
	v_cmp_gt_u32_e32 vcc, s3, v19
	v_add_u32_e32 v19, 5, v1
	v_cmp_gt_u32_e64 s[4:5], s3, v19
	v_cndmask_b32_e32 v17, v17, v21, vcc
	v_and_b32_e32 v17, 0xffff00ff, v17
	s_or_b64 vcc, s[4:5], vcc
	v_cndmask_b32_e64 v17, v17, v21, s[4:5]
	v_cndmask_b32_e32 v16, v20, v16, vcc
	v_add_u32_e32 v1, 6, v1
	v_lshrrev_b32_e32 v41, 16, v16
	v_lshrrev_b32_e32 v42, 8, v16
	v_lshrrev_b64 v[20:21], 24, v[16:17]
	v_lshrrev_b32_e32 v19, 16, v17
	v_lshrrev_b32_e32 v40, 8, v17
	v_cmp_le_u32_e32 vcc, s3, v1
	s_and_saveexec_b64 s[4:5], vcc
; %bb.164:
	v_mov_b32_e32 v19, 0
; %bb.165:
	s_or_b64 exec, exec, s[4:5]
.LBB929_166:
	v_and_b32_e32 v1, 0xff, v16
	v_and_b32_e32 v21, 0xff, v42
	;; [unrolled: 1-line block ×5, first 2 shown]
	v_add3_u32 v23, v21, v1, v33
	v_and_b32_e32 v39, 0xff, v40
	v_and_b32_e32 v22, 0xff, v19
	v_add3_u32 v23, v23, v35, v37
	v_add3_u32 v45, v23, v39, v22
	v_mbcnt_lo_u32_b32 v22, -1, 0
	v_mbcnt_hi_u32_b32 v43, -1, v22
	v_and_b32_e32 v22, 15, v43
	v_cmp_eq_u32_e64 s[14:15], 0, v22
	v_cmp_lt_u32_e64 s[12:13], 1, v22
	v_cmp_lt_u32_e64 s[10:11], 3, v22
	;; [unrolled: 1-line block ×3, first 2 shown]
	v_and_b32_e32 v22, 16, v43
	v_cmp_eq_u32_e64 s[6:7], 0, v22
	v_or_b32_e32 v22, 63, v0
	v_cmp_lt_u32_e64 s[18:19], 31, v43
	v_lshrrev_b32_e32 v44, 6, v0
	v_cmp_eq_u32_e64 s[4:5], v0, v22
	s_and_b64 vcc, exec, s[16:17]
	s_waitcnt lgkmcnt(0)
	s_barrier
	s_cbranch_vccz .LBB929_188
; %bb.167:
	v_mov_b32_dpp v22, v45 row_shr:1 row_mask:0xf bank_mask:0xf
	v_cndmask_b32_e64 v22, v22, 0, s[14:15]
	v_add_u32_e32 v22, v22, v45
	s_nop 1
	v_mov_b32_dpp v23, v22 row_shr:2 row_mask:0xf bank_mask:0xf
	v_cndmask_b32_e64 v23, 0, v23, s[12:13]
	v_add_u32_e32 v22, v22, v23
	s_nop 1
	;; [unrolled: 4-line block ×4, first 2 shown]
	v_mov_b32_dpp v23, v22 row_bcast:15 row_mask:0xf bank_mask:0xf
	v_cndmask_b32_e64 v23, v23, 0, s[6:7]
	v_add_u32_e32 v22, v22, v23
	s_nop 1
	v_mov_b32_dpp v23, v22 row_bcast:31 row_mask:0xf bank_mask:0xf
	v_cndmask_b32_e64 v23, 0, v23, s[18:19]
	v_add_u32_e32 v22, v22, v23
	s_and_saveexec_b64 s[16:17], s[4:5]
; %bb.168:
	v_lshlrev_b32_e32 v23, 2, v44
	ds_write_b32 v23, v22
; %bb.169:
	s_or_b64 exec, exec, s[16:17]
	v_cmp_gt_u32_e32 vcc, 8, v0
	s_waitcnt lgkmcnt(0)
	s_barrier
	s_and_saveexec_b64 s[16:17], vcc
	s_cbranch_execz .LBB929_171
; %bb.170:
	v_lshlrev_b32_e32 v23, 2, v0
	ds_read_b32 v24, v23
	v_and_b32_e32 v25, 7, v43
	v_cmp_ne_u32_e32 vcc, 0, v25
	s_waitcnt lgkmcnt(0)
	v_mov_b32_dpp v26, v24 row_shr:1 row_mask:0xf bank_mask:0xf
	v_cndmask_b32_e32 v26, 0, v26, vcc
	v_add_u32_e32 v24, v26, v24
	v_cmp_lt_u32_e32 vcc, 1, v25
	s_nop 0
	v_mov_b32_dpp v26, v24 row_shr:2 row_mask:0xf bank_mask:0xf
	v_cndmask_b32_e32 v26, 0, v26, vcc
	v_add_u32_e32 v24, v24, v26
	v_cmp_lt_u32_e32 vcc, 3, v25
	s_nop 0
	v_mov_b32_dpp v26, v24 row_shr:4 row_mask:0xf bank_mask:0xf
	v_cndmask_b32_e32 v25, 0, v26, vcc
	v_add_u32_e32 v24, v24, v25
	ds_write_b32 v23, v24
.LBB929_171:
	s_or_b64 exec, exec, s[16:17]
	v_cmp_gt_u32_e32 vcc, 64, v0
	v_cmp_lt_u32_e64 s[16:17], 63, v0
	s_waitcnt lgkmcnt(0)
	s_barrier
                                        ; implicit-def: $vgpr32
	s_and_saveexec_b64 s[20:21], s[16:17]
	s_cbranch_execz .LBB929_173
; %bb.172:
	v_lshl_add_u32 v23, v44, 2, -4
	ds_read_b32 v32, v23
	s_waitcnt lgkmcnt(0)
	v_add_u32_e32 v22, v32, v22
.LBB929_173:
	s_or_b64 exec, exec, s[20:21]
	v_subrev_co_u32_e64 v23, s[16:17], 1, v43
	v_and_b32_e32 v24, 64, v43
	v_cmp_lt_i32_e64 s[20:21], v23, v24
	s_nop 1
	v_cndmask_b32_e64 v23, v23, v43, s[20:21]
	v_lshlrev_b32_e32 v23, 2, v23
	ds_bpermute_b32 v34, v23, v22
	s_and_saveexec_b64 s[20:21], vcc
	s_cbranch_execz .LBB929_193
; %bb.174:
	v_mov_b32_e32 v29, 0
	ds_read_b32 v22, v29 offset:28
	s_and_saveexec_b64 s[30:31], s[16:17]
	s_cbranch_execz .LBB929_176
; %bb.175:
	s_add_i32 s36, s2, 64
	s_mov_b32 s37, 0
	s_lshl_b64 s[36:37], s[36:37], 3
	s_add_u32 s36, s22, s36
	v_mov_b32_e32 v23, 1
	s_addc_u32 s37, s23, s37
	s_waitcnt lgkmcnt(0)
	global_store_dwordx2 v29, v[22:23], s[36:37] sc1
.LBB929_176:
	s_or_b64 exec, exec, s[30:31]
	v_xad_u32 v24, v43, -1, s2
	v_add_u32_e32 v28, 64, v24
	v_lshl_add_u64 v[30:31], v[28:29], 3, s[22:23]
	global_load_dwordx2 v[26:27], v[30:31], off sc1
	s_waitcnt vmcnt(0)
	v_cmp_eq_u16_sdwa s[36:37], v27, v29 src0_sel:BYTE_0 src1_sel:DWORD
	s_and_saveexec_b64 s[30:31], s[36:37]
	s_cbranch_execz .LBB929_180
; %bb.177:
	s_mov_b64 s[36:37], 0
	v_mov_b32_e32 v23, 0
.LBB929_178:                            ; =>This Inner Loop Header: Depth=1
	global_load_dwordx2 v[26:27], v[30:31], off sc1
	s_waitcnt vmcnt(0)
	v_cmp_ne_u16_sdwa s[38:39], v27, v23 src0_sel:BYTE_0 src1_sel:DWORD
	s_or_b64 s[36:37], s[38:39], s[36:37]
	s_andn2_b64 exec, exec, s[36:37]
	s_cbranch_execnz .LBB929_178
; %bb.179:
	s_or_b64 exec, exec, s[36:37]
.LBB929_180:
	s_or_b64 exec, exec, s[30:31]
	v_and_b32_e32 v38, 63, v43
	v_mov_b32_e32 v36, 2
	v_cmp_ne_u32_e32 vcc, 63, v38
	v_cmp_eq_u16_sdwa s[30:31], v27, v36 src0_sel:BYTE_0 src1_sel:DWORD
	v_lshlrev_b64 v[28:29], v43, -1
	v_addc_co_u32_e32 v30, vcc, 0, v43, vcc
	v_and_b32_e32 v23, s31, v29
	v_lshlrev_b32_e32 v46, 2, v30
	v_or_b32_e32 v23, 0x80000000, v23
	ds_bpermute_b32 v30, v46, v26
	v_and_b32_e32 v25, s30, v28
	v_ffbl_b32_e32 v23, v23
	v_add_u32_e32 v23, 32, v23
	v_ffbl_b32_e32 v25, v25
	v_min_u32_e32 v23, v25, v23
	v_cmp_lt_u32_e32 vcc, v38, v23
	v_add_u32_e32 v48, 2, v38
	v_add_u32_e32 v50, 4, v38
	s_waitcnt lgkmcnt(0)
	v_cndmask_b32_e32 v25, 0, v30, vcc
	v_cmp_gt_u32_e32 vcc, 62, v38
	v_add_u32_e32 v25, v25, v26
	v_add_u32_e32 v52, 8, v38
	v_cndmask_b32_e64 v26, 0, 2, vcc
	v_add_lshl_u32 v47, v26, v43, 2
	ds_bpermute_b32 v26, v47, v25
	v_cmp_le_u32_e32 vcc, v48, v23
	v_add_u32_e32 v54, 16, v38
	v_add_u32_e32 v56, 32, v38
	s_waitcnt lgkmcnt(0)
	v_cndmask_b32_e32 v26, 0, v26, vcc
	v_cmp_gt_u32_e32 vcc, 60, v38
	v_add_u32_e32 v25, v25, v26
	s_nop 0
	v_cndmask_b32_e64 v26, 0, 4, vcc
	v_add_lshl_u32 v49, v26, v43, 2
	ds_bpermute_b32 v26, v49, v25
	v_cmp_le_u32_e32 vcc, v50, v23
	s_waitcnt lgkmcnt(0)
	s_nop 0
	v_cndmask_b32_e32 v26, 0, v26, vcc
	v_cmp_gt_u32_e32 vcc, 56, v38
	v_add_u32_e32 v25, v25, v26
	s_nop 0
	v_cndmask_b32_e64 v26, 0, 8, vcc
	v_add_lshl_u32 v51, v26, v43, 2
	ds_bpermute_b32 v26, v51, v25
	v_cmp_le_u32_e32 vcc, v52, v23
	s_waitcnt lgkmcnt(0)
	s_nop 0
	;; [unrolled: 10-line block ×3, first 2 shown]
	v_cndmask_b32_e32 v26, 0, v26, vcc
	v_add_u32_e32 v25, v25, v26
	v_mov_b32_e32 v26, 0x80
	v_lshl_or_b32 v55, v43, 2, v26
	ds_bpermute_b32 v26, v55, v25
	v_cmp_le_u32_e32 vcc, v56, v23
	s_waitcnt lgkmcnt(0)
	s_nop 0
	v_cndmask_b32_e32 v23, 0, v26, vcc
	v_add_u32_e32 v26, v25, v23
	v_mov_b32_e32 v25, 0
	s_branch .LBB929_183
.LBB929_181:                            ;   in Loop: Header=BB929_183 Depth=1
	s_or_b64 exec, exec, s[30:31]
	v_cmp_eq_u16_sdwa s[30:31], v27, v36 src0_sel:BYTE_0 src1_sel:DWORD
	ds_bpermute_b32 v57, v46, v26
	v_subrev_u32_e32 v24, 64, v24
	v_and_b32_e32 v30, s31, v29
	v_or_b32_e32 v30, 0x80000000, v30
	v_and_b32_e32 v31, s30, v28
	v_ffbl_b32_e32 v30, v30
	v_add_u32_e32 v30, 32, v30
	v_ffbl_b32_e32 v31, v31
	v_min_u32_e32 v30, v31, v30
	v_cmp_lt_u32_e32 vcc, v38, v30
	s_mov_b64 s[30:31], 0
	s_waitcnt lgkmcnt(0)
	v_cndmask_b32_e32 v31, 0, v57, vcc
	v_add_u32_e32 v26, v31, v26
	ds_bpermute_b32 v31, v47, v26
	v_cmp_le_u32_e32 vcc, v48, v30
	s_waitcnt lgkmcnt(0)
	s_nop 0
	v_cndmask_b32_e32 v31, 0, v31, vcc
	v_add_u32_e32 v26, v26, v31
	ds_bpermute_b32 v31, v49, v26
	v_cmp_le_u32_e32 vcc, v50, v30
	s_waitcnt lgkmcnt(0)
	s_nop 0
	;; [unrolled: 6-line block ×5, first 2 shown]
	v_cndmask_b32_e32 v30, 0, v31, vcc
	v_add3_u32 v26, v30, v23, v26
.LBB929_182:                            ;   in Loop: Header=BB929_183 Depth=1
	s_and_b64 vcc, exec, s[30:31]
	s_cbranch_vccnz .LBB929_189
.LBB929_183:                            ; =>This Loop Header: Depth=1
                                        ;     Child Loop BB929_186 Depth 2
	v_cmp_ne_u16_sdwa s[30:31], v27, v36 src0_sel:BYTE_0 src1_sel:DWORD
	v_mov_b32_e32 v23, v26
	s_cmp_lg_u64 s[30:31], exec
	s_mov_b64 s[30:31], -1
                                        ; implicit-def: $vgpr26
                                        ; implicit-def: $vgpr27
	s_cbranch_scc1 .LBB929_182
; %bb.184:                              ;   in Loop: Header=BB929_183 Depth=1
	v_lshl_add_u64 v[30:31], v[24:25], 3, s[22:23]
	global_load_dwordx2 v[26:27], v[30:31], off sc1
	s_waitcnt vmcnt(0)
	v_cmp_eq_u16_sdwa s[36:37], v27, v25 src0_sel:BYTE_0 src1_sel:DWORD
	s_and_saveexec_b64 s[30:31], s[36:37]
	s_cbranch_execz .LBB929_181
; %bb.185:                              ;   in Loop: Header=BB929_183 Depth=1
	s_mov_b64 s[36:37], 0
.LBB929_186:                            ;   Parent Loop BB929_183 Depth=1
                                        ; =>  This Inner Loop Header: Depth=2
	global_load_dwordx2 v[26:27], v[30:31], off sc1
	s_waitcnt vmcnt(0)
	v_cmp_ne_u16_sdwa s[38:39], v27, v25 src0_sel:BYTE_0 src1_sel:DWORD
	s_or_b64 s[36:37], s[38:39], s[36:37]
	s_andn2_b64 exec, exec, s[36:37]
	s_cbranch_execnz .LBB929_186
; %bb.187:                              ;   in Loop: Header=BB929_183 Depth=1
	s_or_b64 exec, exec, s[36:37]
	s_branch .LBB929_181
.LBB929_188:
                                        ; implicit-def: $vgpr26
                                        ; implicit-def: $vgpr28
                                        ; implicit-def: $vgpr30
                                        ; implicit-def: $vgpr32
                                        ; implicit-def: $vgpr34
                                        ; implicit-def: $vgpr36
                                        ; implicit-def: $vgpr38
                                        ; implicit-def: $vgpr24
                                        ; implicit-def: $vgpr22
	s_load_dwordx2 s[2:3], s[0:1], 0x28
	s_cbranch_execnz .LBB929_194
	s_branch .LBB929_203
.LBB929_189:
	s_and_saveexec_b64 s[30:31], s[16:17]
	s_cbranch_execz .LBB929_191
; %bb.190:
	s_add_i32 s2, s2, 64
	s_mov_b32 s3, 0
	s_lshl_b64 s[2:3], s[2:3], 3
	s_add_u32 s2, s22, s2
	v_add_u32_e32 v24, v23, v22
	v_mov_b32_e32 v25, 2
	s_addc_u32 s3, s23, s3
	v_mov_b32_e32 v26, 0
	global_store_dwordx2 v26, v[24:25], s[2:3] sc1
	ds_write_b64 v26, v[22:23] offset:28672
.LBB929_191:
	s_or_b64 exec, exec, s[30:31]
	v_cmp_eq_u32_e32 vcc, 0, v0
	s_and_b64 exec, exec, vcc
; %bb.192:
	v_mov_b32_e32 v22, 0
	ds_write_b32 v22, v23 offset:28
.LBB929_193:
	s_or_b64 exec, exec, s[20:21]
	v_mov_b32_e32 v22, 0
	s_waitcnt lgkmcnt(0)
	s_barrier
	ds_read_b32 v23, v22 offset:28
	v_cndmask_b32_e64 v24, v34, v32, s[16:17]
	v_cmp_ne_u32_e32 vcc, 0, v0
	s_waitcnt lgkmcnt(0)
	s_barrier
	v_cndmask_b32_e32 v24, 0, v24, vcc
	v_add_u32_e32 v38, v23, v24
	v_add_u32_e32 v36, v38, v1
	ds_read_b64 v[22:23], v22 offset:28672
	v_add_u32_e32 v34, v36, v21
	v_add_u32_e32 v32, v34, v33
	;; [unrolled: 1-line block ×5, first 2 shown]
	s_waitcnt lgkmcnt(0)
	v_mov_b32_e32 v24, v23
	s_load_dwordx2 s[2:3], s[0:1], 0x28
	s_branch .LBB929_203
.LBB929_194:
	v_mov_b32_dpp v22, v45 row_shr:1 row_mask:0xf bank_mask:0xf
	v_cndmask_b32_e64 v22, v22, 0, s[14:15]
	v_add_u32_e32 v22, v22, v45
	s_nop 1
	v_mov_b32_dpp v23, v22 row_shr:2 row_mask:0xf bank_mask:0xf
	v_cndmask_b32_e64 v23, 0, v23, s[12:13]
	v_add_u32_e32 v22, v22, v23
	s_nop 1
	;; [unrolled: 4-line block ×4, first 2 shown]
	v_mov_b32_dpp v23, v22 row_bcast:15 row_mask:0xf bank_mask:0xf
	v_cndmask_b32_e64 v23, v23, 0, s[6:7]
	v_add_u32_e32 v22, v22, v23
	s_nop 1
	v_mov_b32_dpp v23, v22 row_bcast:31 row_mask:0xf bank_mask:0xf
	v_cndmask_b32_e64 v23, 0, v23, s[18:19]
	v_add_u32_e32 v22, v22, v23
	s_and_saveexec_b64 s[0:1], s[4:5]
; %bb.195:
	v_lshlrev_b32_e32 v23, 2, v44
	ds_write_b32 v23, v22
; %bb.196:
	s_or_b64 exec, exec, s[0:1]
	v_cmp_gt_u32_e32 vcc, 8, v0
	s_waitcnt lgkmcnt(0)
	s_barrier
	s_and_saveexec_b64 s[0:1], vcc
	s_cbranch_execz .LBB929_198
; %bb.197:
	v_lshlrev_b32_e32 v23, 2, v0
	ds_read_b32 v24, v23
	v_and_b32_e32 v25, 7, v43
	v_cmp_ne_u32_e32 vcc, 0, v25
	s_waitcnt lgkmcnt(0)
	v_mov_b32_dpp v26, v24 row_shr:1 row_mask:0xf bank_mask:0xf
	v_cndmask_b32_e32 v26, 0, v26, vcc
	v_add_u32_e32 v24, v26, v24
	v_cmp_lt_u32_e32 vcc, 1, v25
	s_nop 0
	v_mov_b32_dpp v26, v24 row_shr:2 row_mask:0xf bank_mask:0xf
	v_cndmask_b32_e32 v26, 0, v26, vcc
	v_add_u32_e32 v24, v24, v26
	v_cmp_lt_u32_e32 vcc, 3, v25
	s_nop 0
	v_mov_b32_dpp v26, v24 row_shr:4 row_mask:0xf bank_mask:0xf
	v_cndmask_b32_e32 v25, 0, v26, vcc
	v_add_u32_e32 v24, v24, v25
	ds_write_b32 v23, v24
.LBB929_198:
	s_or_b64 exec, exec, s[0:1]
	v_cmp_lt_u32_e32 vcc, 63, v0
	v_mov_b32_e32 v23, 0
	v_mov_b32_e32 v24, 0
	s_waitcnt lgkmcnt(0)
	s_barrier
	s_and_saveexec_b64 s[0:1], vcc
; %bb.199:
	v_lshl_add_u32 v24, v44, 2, -4
	ds_read_b32 v24, v24
; %bb.200:
	s_or_b64 exec, exec, s[0:1]
	v_subrev_co_u32_e32 v25, vcc, 1, v43
	v_and_b32_e32 v26, 64, v43
	v_cmp_lt_i32_e64 s[0:1], v25, v26
	s_waitcnt lgkmcnt(0)
	v_add_u32_e32 v22, v24, v22
	v_cndmask_b32_e64 v25, v25, v43, s[0:1]
	v_lshlrev_b32_e32 v25, 2, v25
	ds_bpermute_b32 v25, v25, v22
	ds_read_b32 v22, v23 offset:28
	v_cmp_eq_u32_e64 s[0:1], 0, v0
	s_and_saveexec_b64 s[4:5], s[0:1]
	s_cbranch_execz .LBB929_202
; %bb.201:
	v_mov_b32_e32 v26, 0
	v_mov_b32_e32 v23, 2
	s_waitcnt lgkmcnt(0)
	global_store_dwordx2 v26, v[22:23], s[22:23] offset:512 sc1
.LBB929_202:
	s_or_b64 exec, exec, s[4:5]
	s_waitcnt lgkmcnt(1)
	v_cndmask_b32_e32 v23, v25, v24, vcc
	v_cndmask_b32_e64 v38, v23, 0, s[0:1]
	v_add_u32_e32 v36, v38, v1
	v_add_u32_e32 v34, v36, v21
	;; [unrolled: 1-line block ×6, first 2 shown]
	s_waitcnt lgkmcnt(0)
	s_barrier
	v_mov_b32_e32 v24, 0
.LBB929_203:
	s_movk_i32 s0, 0x201
	v_cmp_gt_u32_e32 vcc, s0, v22
	v_and_b32_e32 v1, 1, v16
	s_mov_b64 s[4:5], -1
	v_cmp_eq_u32_e64 s[0:1], 1, v1
	s_cbranch_vccnz .LBB929_207
; %bb.204:
	s_and_b64 vcc, exec, s[4:5]
	s_cbranch_vccnz .LBB929_222
.LBB929_205:
	v_cmp_eq_u32_e32 vcc, 0, v0
	s_and_b64 s[0:1], vcc, s[28:29]
	s_waitcnt lgkmcnt(0)
	s_and_saveexec_b64 s[2:3], s[0:1]
	s_cbranch_execnz .LBB929_239
.LBB929_206:
	s_endpgm
.LBB929_207:
	v_add_u32_e32 v16, v24, v22
	v_cmp_lt_u32_e32 vcc, v38, v16
	s_or_b64 s[4:5], s[34:35], vcc
	s_and_b64 s[4:5], s[4:5], s[0:1]
	s_and_saveexec_b64 s[0:1], s[4:5]
	s_cbranch_execz .LBB929_209
; %bb.208:
	s_lshl_b64 s[4:5], s[26:27], 3
	s_waitcnt lgkmcnt(0)
	s_add_u32 s4, s2, s4
	s_addc_u32 s5, s3, s5
	v_mov_b32_e32 v39, 0
	v_lshl_add_u64 v[44:45], v[38:39], 3, s[4:5]
	global_store_dwordx2 v[44:45], v[10:11], off
.LBB929_209:
	s_or_b64 exec, exec, s[0:1]
	v_cmp_lt_u32_e32 vcc, v36, v16
	v_and_b32_e32 v21, 1, v42
	s_or_b64 s[0:1], s[34:35], vcc
	v_cmp_eq_u32_e32 vcc, 1, v21
	s_and_b64 s[4:5], s[0:1], vcc
	s_and_saveexec_b64 s[0:1], s[4:5]
	s_cbranch_execz .LBB929_211
; %bb.210:
	s_lshl_b64 s[4:5], s[26:27], 3
	s_waitcnt lgkmcnt(0)
	s_add_u32 s4, s2, s4
	s_addc_u32 s5, s3, s5
	v_mov_b32_e32 v37, 0
	v_lshl_add_u64 v[44:45], v[36:37], 3, s[4:5]
	global_store_dwordx2 v[44:45], v[12:13], off
.LBB929_211:
	s_or_b64 exec, exec, s[0:1]
	v_cmp_lt_u32_e32 vcc, v34, v16
	v_and_b32_e32 v21, 1, v41
	s_or_b64 s[0:1], s[34:35], vcc
	v_cmp_eq_u32_e32 vcc, 1, v21
	s_and_b64 s[4:5], s[0:1], vcc
	;; [unrolled: 17-line block ×6, first 2 shown]
	s_and_saveexec_b64 s[0:1], s[4:5]
	s_cbranch_execz .LBB929_221
; %bb.220:
	s_lshl_b64 s[4:5], s[26:27], 3
	s_waitcnt lgkmcnt(0)
	s_add_u32 s4, s2, s4
	s_addc_u32 s5, s3, s5
	v_mov_b32_e32 v27, 0
	v_lshl_add_u64 v[44:45], v[26:27], 3, s[4:5]
	global_store_dwordx2 v[44:45], v[14:15], off
.LBB929_221:
	s_or_b64 exec, exec, s[0:1]
	s_branch .LBB929_205
.LBB929_222:
	v_cmp_eq_u32_e32 vcc, 1, v1
	s_and_saveexec_b64 s[0:1], vcc
; %bb.223:
	v_sub_u32_e32 v1, v38, v24
	v_lshlrev_b32_e32 v1, 3, v1
	ds_write_b64 v1, v[10:11]
; %bb.224:
	s_or_b64 exec, exec, s[0:1]
	v_and_b32_e32 v1, 1, v42
	v_cmp_eq_u32_e32 vcc, 1, v1
	s_and_saveexec_b64 s[0:1], vcc
; %bb.225:
	v_sub_u32_e32 v1, v36, v24
	v_lshlrev_b32_e32 v1, 3, v1
	ds_write_b64 v1, v[12:13]
; %bb.226:
	s_or_b64 exec, exec, s[0:1]
	v_and_b32_e32 v1, 1, v41
	;; [unrolled: 9-line block ×6, first 2 shown]
	v_cmp_eq_u32_e32 vcc, 1, v1
	s_and_saveexec_b64 s[0:1], vcc
; %bb.235:
	v_sub_u32_e32 v1, v26, v24
	v_lshlrev_b32_e32 v1, 3, v1
	ds_write_b64 v1, v[14:15]
; %bb.236:
	s_or_b64 exec, exec, s[0:1]
	v_mov_b32_e32 v25, 0
	s_lshl_b64 s[0:1], s[26:27], 3
	v_lshlrev_b64 v[2:3], 3, v[24:25]
	v_lshl_add_u64 v[2:3], s[0:1], 0, v[2:3]
	v_mov_b32_e32 v19, v25
	s_waitcnt lgkmcnt(0)
	v_lshl_add_u64 v[2:3], s[2:3], 0, v[2:3]
	v_lshl_add_u64 v[2:3], v[2:3], 0, v[18:19]
	s_mov_b64 s[0:1], 0
	s_mov_b64 s[2:3], 0x1000
	v_mov_b32_e32 v1, v0
	s_barrier
.LBB929_237:                            ; =>This Inner Loop Header: Depth=1
	ds_read_b64 v[4:5], v18
	v_add_u32_e32 v1, 0x200, v1
	v_cmp_ge_u32_e32 vcc, v1, v22
	v_add_u32_e32 v18, 0x1000, v18
	s_or_b64 s[0:1], vcc, s[0:1]
	s_waitcnt lgkmcnt(0)
	global_store_dwordx2 v[2:3], v[4:5], off
	v_lshl_add_u64 v[2:3], v[2:3], 0, s[2:3]
	s_andn2_b64 exec, exec, s[0:1]
	s_cbranch_execnz .LBB929_237
; %bb.238:
	s_or_b64 exec, exec, s[0:1]
	v_cmp_eq_u32_e32 vcc, 0, v0
	s_and_b64 s[0:1], vcc, s[28:29]
	s_and_saveexec_b64 s[2:3], s[0:1]
	s_cbranch_execz .LBB929_206
.LBB929_239:
	v_mov_b32_e32 v23, 0
	v_lshl_add_u64 v[0:1], s[26:27], 0, v[22:23]
	v_mov_b32_e32 v25, v23
	v_lshl_add_u64 v[0:1], v[0:1], 0, v[24:25]
	global_store_dwordx2 v23, v[0:1], s[24:25]
	s_endpgm
	.section	.rodata,"a",@progbits
	.p2align	6, 0x0
	.amdhsa_kernel _ZN7rocprim17ROCPRIM_400000_NS6detail17trampoline_kernelINS0_14default_configENS1_25partition_config_selectorILNS1_17partition_subalgoE8ElNS0_10empty_typeEbEEZZNS1_14partition_implILS5_8ELb0ES3_jPlPS6_PKS6_NS0_5tupleIJS9_S6_EEENSD_IJSA_SA_EEENS0_18inequality_wrapperIZN2at6native12_GLOBAL__N_124unique_dim_cuda_templateIfEESt5tupleIJNSH_6TensorESM_SM_EERKSM_lbbbEUlllE0_EEPmJS6_EEE10hipError_tPvRmT3_T4_T5_T6_T7_T9_mT8_P12ihipStream_tbDpT10_ENKUlT_T0_E_clISt17integral_constantIbLb0EES1C_EEDaS17_S18_EUlS17_E_NS1_11comp_targetILNS1_3genE0ELNS1_11target_archE4294967295ELNS1_3gpuE0ELNS1_3repE0EEENS1_30default_config_static_selectorELNS0_4arch9wavefront6targetE1EEEvT1_
		.amdhsa_group_segment_fixed_size 28680
		.amdhsa_private_segment_fixed_size 0
		.amdhsa_kernarg_size 120
		.amdhsa_user_sgpr_count 2
		.amdhsa_user_sgpr_dispatch_ptr 0
		.amdhsa_user_sgpr_queue_ptr 0
		.amdhsa_user_sgpr_kernarg_segment_ptr 1
		.amdhsa_user_sgpr_dispatch_id 0
		.amdhsa_user_sgpr_kernarg_preload_length 0
		.amdhsa_user_sgpr_kernarg_preload_offset 0
		.amdhsa_user_sgpr_private_segment_size 0
		.amdhsa_uses_dynamic_stack 0
		.amdhsa_enable_private_segment 0
		.amdhsa_system_sgpr_workgroup_id_x 1
		.amdhsa_system_sgpr_workgroup_id_y 0
		.amdhsa_system_sgpr_workgroup_id_z 0
		.amdhsa_system_sgpr_workgroup_info 0
		.amdhsa_system_vgpr_workitem_id 0
		.amdhsa_next_free_vgpr 58
		.amdhsa_next_free_sgpr 50
		.amdhsa_accum_offset 60
		.amdhsa_reserve_vcc 1
		.amdhsa_float_round_mode_32 0
		.amdhsa_float_round_mode_16_64 0
		.amdhsa_float_denorm_mode_32 3
		.amdhsa_float_denorm_mode_16_64 3
		.amdhsa_dx10_clamp 1
		.amdhsa_ieee_mode 1
		.amdhsa_fp16_overflow 0
		.amdhsa_tg_split 0
		.amdhsa_exception_fp_ieee_invalid_op 0
		.amdhsa_exception_fp_denorm_src 0
		.amdhsa_exception_fp_ieee_div_zero 0
		.amdhsa_exception_fp_ieee_overflow 0
		.amdhsa_exception_fp_ieee_underflow 0
		.amdhsa_exception_fp_ieee_inexact 0
		.amdhsa_exception_int_div_zero 0
	.end_amdhsa_kernel
	.section	.text._ZN7rocprim17ROCPRIM_400000_NS6detail17trampoline_kernelINS0_14default_configENS1_25partition_config_selectorILNS1_17partition_subalgoE8ElNS0_10empty_typeEbEEZZNS1_14partition_implILS5_8ELb0ES3_jPlPS6_PKS6_NS0_5tupleIJS9_S6_EEENSD_IJSA_SA_EEENS0_18inequality_wrapperIZN2at6native12_GLOBAL__N_124unique_dim_cuda_templateIfEESt5tupleIJNSH_6TensorESM_SM_EERKSM_lbbbEUlllE0_EEPmJS6_EEE10hipError_tPvRmT3_T4_T5_T6_T7_T9_mT8_P12ihipStream_tbDpT10_ENKUlT_T0_E_clISt17integral_constantIbLb0EES1C_EEDaS17_S18_EUlS17_E_NS1_11comp_targetILNS1_3genE0ELNS1_11target_archE4294967295ELNS1_3gpuE0ELNS1_3repE0EEENS1_30default_config_static_selectorELNS0_4arch9wavefront6targetE1EEEvT1_,"axG",@progbits,_ZN7rocprim17ROCPRIM_400000_NS6detail17trampoline_kernelINS0_14default_configENS1_25partition_config_selectorILNS1_17partition_subalgoE8ElNS0_10empty_typeEbEEZZNS1_14partition_implILS5_8ELb0ES3_jPlPS6_PKS6_NS0_5tupleIJS9_S6_EEENSD_IJSA_SA_EEENS0_18inequality_wrapperIZN2at6native12_GLOBAL__N_124unique_dim_cuda_templateIfEESt5tupleIJNSH_6TensorESM_SM_EERKSM_lbbbEUlllE0_EEPmJS6_EEE10hipError_tPvRmT3_T4_T5_T6_T7_T9_mT8_P12ihipStream_tbDpT10_ENKUlT_T0_E_clISt17integral_constantIbLb0EES1C_EEDaS17_S18_EUlS17_E_NS1_11comp_targetILNS1_3genE0ELNS1_11target_archE4294967295ELNS1_3gpuE0ELNS1_3repE0EEENS1_30default_config_static_selectorELNS0_4arch9wavefront6targetE1EEEvT1_,comdat
.Lfunc_end929:
	.size	_ZN7rocprim17ROCPRIM_400000_NS6detail17trampoline_kernelINS0_14default_configENS1_25partition_config_selectorILNS1_17partition_subalgoE8ElNS0_10empty_typeEbEEZZNS1_14partition_implILS5_8ELb0ES3_jPlPS6_PKS6_NS0_5tupleIJS9_S6_EEENSD_IJSA_SA_EEENS0_18inequality_wrapperIZN2at6native12_GLOBAL__N_124unique_dim_cuda_templateIfEESt5tupleIJNSH_6TensorESM_SM_EERKSM_lbbbEUlllE0_EEPmJS6_EEE10hipError_tPvRmT3_T4_T5_T6_T7_T9_mT8_P12ihipStream_tbDpT10_ENKUlT_T0_E_clISt17integral_constantIbLb0EES1C_EEDaS17_S18_EUlS17_E_NS1_11comp_targetILNS1_3genE0ELNS1_11target_archE4294967295ELNS1_3gpuE0ELNS1_3repE0EEENS1_30default_config_static_selectorELNS0_4arch9wavefront6targetE1EEEvT1_, .Lfunc_end929-_ZN7rocprim17ROCPRIM_400000_NS6detail17trampoline_kernelINS0_14default_configENS1_25partition_config_selectorILNS1_17partition_subalgoE8ElNS0_10empty_typeEbEEZZNS1_14partition_implILS5_8ELb0ES3_jPlPS6_PKS6_NS0_5tupleIJS9_S6_EEENSD_IJSA_SA_EEENS0_18inequality_wrapperIZN2at6native12_GLOBAL__N_124unique_dim_cuda_templateIfEESt5tupleIJNSH_6TensorESM_SM_EERKSM_lbbbEUlllE0_EEPmJS6_EEE10hipError_tPvRmT3_T4_T5_T6_T7_T9_mT8_P12ihipStream_tbDpT10_ENKUlT_T0_E_clISt17integral_constantIbLb0EES1C_EEDaS17_S18_EUlS17_E_NS1_11comp_targetILNS1_3genE0ELNS1_11target_archE4294967295ELNS1_3gpuE0ELNS1_3repE0EEENS1_30default_config_static_selectorELNS0_4arch9wavefront6targetE1EEEvT1_
                                        ; -- End function
	.set _ZN7rocprim17ROCPRIM_400000_NS6detail17trampoline_kernelINS0_14default_configENS1_25partition_config_selectorILNS1_17partition_subalgoE8ElNS0_10empty_typeEbEEZZNS1_14partition_implILS5_8ELb0ES3_jPlPS6_PKS6_NS0_5tupleIJS9_S6_EEENSD_IJSA_SA_EEENS0_18inequality_wrapperIZN2at6native12_GLOBAL__N_124unique_dim_cuda_templateIfEESt5tupleIJNSH_6TensorESM_SM_EERKSM_lbbbEUlllE0_EEPmJS6_EEE10hipError_tPvRmT3_T4_T5_T6_T7_T9_mT8_P12ihipStream_tbDpT10_ENKUlT_T0_E_clISt17integral_constantIbLb0EES1C_EEDaS17_S18_EUlS17_E_NS1_11comp_targetILNS1_3genE0ELNS1_11target_archE4294967295ELNS1_3gpuE0ELNS1_3repE0EEENS1_30default_config_static_selectorELNS0_4arch9wavefront6targetE1EEEvT1_.num_vgpr, 58
	.set _ZN7rocprim17ROCPRIM_400000_NS6detail17trampoline_kernelINS0_14default_configENS1_25partition_config_selectorILNS1_17partition_subalgoE8ElNS0_10empty_typeEbEEZZNS1_14partition_implILS5_8ELb0ES3_jPlPS6_PKS6_NS0_5tupleIJS9_S6_EEENSD_IJSA_SA_EEENS0_18inequality_wrapperIZN2at6native12_GLOBAL__N_124unique_dim_cuda_templateIfEESt5tupleIJNSH_6TensorESM_SM_EERKSM_lbbbEUlllE0_EEPmJS6_EEE10hipError_tPvRmT3_T4_T5_T6_T7_T9_mT8_P12ihipStream_tbDpT10_ENKUlT_T0_E_clISt17integral_constantIbLb0EES1C_EEDaS17_S18_EUlS17_E_NS1_11comp_targetILNS1_3genE0ELNS1_11target_archE4294967295ELNS1_3gpuE0ELNS1_3repE0EEENS1_30default_config_static_selectorELNS0_4arch9wavefront6targetE1EEEvT1_.num_agpr, 0
	.set _ZN7rocprim17ROCPRIM_400000_NS6detail17trampoline_kernelINS0_14default_configENS1_25partition_config_selectorILNS1_17partition_subalgoE8ElNS0_10empty_typeEbEEZZNS1_14partition_implILS5_8ELb0ES3_jPlPS6_PKS6_NS0_5tupleIJS9_S6_EEENSD_IJSA_SA_EEENS0_18inequality_wrapperIZN2at6native12_GLOBAL__N_124unique_dim_cuda_templateIfEESt5tupleIJNSH_6TensorESM_SM_EERKSM_lbbbEUlllE0_EEPmJS6_EEE10hipError_tPvRmT3_T4_T5_T6_T7_T9_mT8_P12ihipStream_tbDpT10_ENKUlT_T0_E_clISt17integral_constantIbLb0EES1C_EEDaS17_S18_EUlS17_E_NS1_11comp_targetILNS1_3genE0ELNS1_11target_archE4294967295ELNS1_3gpuE0ELNS1_3repE0EEENS1_30default_config_static_selectorELNS0_4arch9wavefront6targetE1EEEvT1_.numbered_sgpr, 50
	.set _ZN7rocprim17ROCPRIM_400000_NS6detail17trampoline_kernelINS0_14default_configENS1_25partition_config_selectorILNS1_17partition_subalgoE8ElNS0_10empty_typeEbEEZZNS1_14partition_implILS5_8ELb0ES3_jPlPS6_PKS6_NS0_5tupleIJS9_S6_EEENSD_IJSA_SA_EEENS0_18inequality_wrapperIZN2at6native12_GLOBAL__N_124unique_dim_cuda_templateIfEESt5tupleIJNSH_6TensorESM_SM_EERKSM_lbbbEUlllE0_EEPmJS6_EEE10hipError_tPvRmT3_T4_T5_T6_T7_T9_mT8_P12ihipStream_tbDpT10_ENKUlT_T0_E_clISt17integral_constantIbLb0EES1C_EEDaS17_S18_EUlS17_E_NS1_11comp_targetILNS1_3genE0ELNS1_11target_archE4294967295ELNS1_3gpuE0ELNS1_3repE0EEENS1_30default_config_static_selectorELNS0_4arch9wavefront6targetE1EEEvT1_.num_named_barrier, 0
	.set _ZN7rocprim17ROCPRIM_400000_NS6detail17trampoline_kernelINS0_14default_configENS1_25partition_config_selectorILNS1_17partition_subalgoE8ElNS0_10empty_typeEbEEZZNS1_14partition_implILS5_8ELb0ES3_jPlPS6_PKS6_NS0_5tupleIJS9_S6_EEENSD_IJSA_SA_EEENS0_18inequality_wrapperIZN2at6native12_GLOBAL__N_124unique_dim_cuda_templateIfEESt5tupleIJNSH_6TensorESM_SM_EERKSM_lbbbEUlllE0_EEPmJS6_EEE10hipError_tPvRmT3_T4_T5_T6_T7_T9_mT8_P12ihipStream_tbDpT10_ENKUlT_T0_E_clISt17integral_constantIbLb0EES1C_EEDaS17_S18_EUlS17_E_NS1_11comp_targetILNS1_3genE0ELNS1_11target_archE4294967295ELNS1_3gpuE0ELNS1_3repE0EEENS1_30default_config_static_selectorELNS0_4arch9wavefront6targetE1EEEvT1_.private_seg_size, 0
	.set _ZN7rocprim17ROCPRIM_400000_NS6detail17trampoline_kernelINS0_14default_configENS1_25partition_config_selectorILNS1_17partition_subalgoE8ElNS0_10empty_typeEbEEZZNS1_14partition_implILS5_8ELb0ES3_jPlPS6_PKS6_NS0_5tupleIJS9_S6_EEENSD_IJSA_SA_EEENS0_18inequality_wrapperIZN2at6native12_GLOBAL__N_124unique_dim_cuda_templateIfEESt5tupleIJNSH_6TensorESM_SM_EERKSM_lbbbEUlllE0_EEPmJS6_EEE10hipError_tPvRmT3_T4_T5_T6_T7_T9_mT8_P12ihipStream_tbDpT10_ENKUlT_T0_E_clISt17integral_constantIbLb0EES1C_EEDaS17_S18_EUlS17_E_NS1_11comp_targetILNS1_3genE0ELNS1_11target_archE4294967295ELNS1_3gpuE0ELNS1_3repE0EEENS1_30default_config_static_selectorELNS0_4arch9wavefront6targetE1EEEvT1_.uses_vcc, 1
	.set _ZN7rocprim17ROCPRIM_400000_NS6detail17trampoline_kernelINS0_14default_configENS1_25partition_config_selectorILNS1_17partition_subalgoE8ElNS0_10empty_typeEbEEZZNS1_14partition_implILS5_8ELb0ES3_jPlPS6_PKS6_NS0_5tupleIJS9_S6_EEENSD_IJSA_SA_EEENS0_18inequality_wrapperIZN2at6native12_GLOBAL__N_124unique_dim_cuda_templateIfEESt5tupleIJNSH_6TensorESM_SM_EERKSM_lbbbEUlllE0_EEPmJS6_EEE10hipError_tPvRmT3_T4_T5_T6_T7_T9_mT8_P12ihipStream_tbDpT10_ENKUlT_T0_E_clISt17integral_constantIbLb0EES1C_EEDaS17_S18_EUlS17_E_NS1_11comp_targetILNS1_3genE0ELNS1_11target_archE4294967295ELNS1_3gpuE0ELNS1_3repE0EEENS1_30default_config_static_selectorELNS0_4arch9wavefront6targetE1EEEvT1_.uses_flat_scratch, 0
	.set _ZN7rocprim17ROCPRIM_400000_NS6detail17trampoline_kernelINS0_14default_configENS1_25partition_config_selectorILNS1_17partition_subalgoE8ElNS0_10empty_typeEbEEZZNS1_14partition_implILS5_8ELb0ES3_jPlPS6_PKS6_NS0_5tupleIJS9_S6_EEENSD_IJSA_SA_EEENS0_18inequality_wrapperIZN2at6native12_GLOBAL__N_124unique_dim_cuda_templateIfEESt5tupleIJNSH_6TensorESM_SM_EERKSM_lbbbEUlllE0_EEPmJS6_EEE10hipError_tPvRmT3_T4_T5_T6_T7_T9_mT8_P12ihipStream_tbDpT10_ENKUlT_T0_E_clISt17integral_constantIbLb0EES1C_EEDaS17_S18_EUlS17_E_NS1_11comp_targetILNS1_3genE0ELNS1_11target_archE4294967295ELNS1_3gpuE0ELNS1_3repE0EEENS1_30default_config_static_selectorELNS0_4arch9wavefront6targetE1EEEvT1_.has_dyn_sized_stack, 0
	.set _ZN7rocprim17ROCPRIM_400000_NS6detail17trampoline_kernelINS0_14default_configENS1_25partition_config_selectorILNS1_17partition_subalgoE8ElNS0_10empty_typeEbEEZZNS1_14partition_implILS5_8ELb0ES3_jPlPS6_PKS6_NS0_5tupleIJS9_S6_EEENSD_IJSA_SA_EEENS0_18inequality_wrapperIZN2at6native12_GLOBAL__N_124unique_dim_cuda_templateIfEESt5tupleIJNSH_6TensorESM_SM_EERKSM_lbbbEUlllE0_EEPmJS6_EEE10hipError_tPvRmT3_T4_T5_T6_T7_T9_mT8_P12ihipStream_tbDpT10_ENKUlT_T0_E_clISt17integral_constantIbLb0EES1C_EEDaS17_S18_EUlS17_E_NS1_11comp_targetILNS1_3genE0ELNS1_11target_archE4294967295ELNS1_3gpuE0ELNS1_3repE0EEENS1_30default_config_static_selectorELNS0_4arch9wavefront6targetE1EEEvT1_.has_recursion, 0
	.set _ZN7rocprim17ROCPRIM_400000_NS6detail17trampoline_kernelINS0_14default_configENS1_25partition_config_selectorILNS1_17partition_subalgoE8ElNS0_10empty_typeEbEEZZNS1_14partition_implILS5_8ELb0ES3_jPlPS6_PKS6_NS0_5tupleIJS9_S6_EEENSD_IJSA_SA_EEENS0_18inequality_wrapperIZN2at6native12_GLOBAL__N_124unique_dim_cuda_templateIfEESt5tupleIJNSH_6TensorESM_SM_EERKSM_lbbbEUlllE0_EEPmJS6_EEE10hipError_tPvRmT3_T4_T5_T6_T7_T9_mT8_P12ihipStream_tbDpT10_ENKUlT_T0_E_clISt17integral_constantIbLb0EES1C_EEDaS17_S18_EUlS17_E_NS1_11comp_targetILNS1_3genE0ELNS1_11target_archE4294967295ELNS1_3gpuE0ELNS1_3repE0EEENS1_30default_config_static_selectorELNS0_4arch9wavefront6targetE1EEEvT1_.has_indirect_call, 0
	.section	.AMDGPU.csdata,"",@progbits
; Kernel info:
; codeLenInByte = 10796
; TotalNumSgprs: 56
; NumVgprs: 58
; NumAgprs: 0
; TotalNumVgprs: 58
; ScratchSize: 0
; MemoryBound: 0
; FloatMode: 240
; IeeeMode: 1
; LDSByteSize: 28680 bytes/workgroup (compile time only)
; SGPRBlocks: 6
; VGPRBlocks: 7
; NumSGPRsForWavesPerEU: 56
; NumVGPRsForWavesPerEU: 58
; AccumOffset: 60
; Occupancy: 8
; WaveLimiterHint : 1
; COMPUTE_PGM_RSRC2:SCRATCH_EN: 0
; COMPUTE_PGM_RSRC2:USER_SGPR: 2
; COMPUTE_PGM_RSRC2:TRAP_HANDLER: 0
; COMPUTE_PGM_RSRC2:TGID_X_EN: 1
; COMPUTE_PGM_RSRC2:TGID_Y_EN: 0
; COMPUTE_PGM_RSRC2:TGID_Z_EN: 0
; COMPUTE_PGM_RSRC2:TIDIG_COMP_CNT: 0
; COMPUTE_PGM_RSRC3_GFX90A:ACCUM_OFFSET: 14
; COMPUTE_PGM_RSRC3_GFX90A:TG_SPLIT: 0
	.section	.text._ZN7rocprim17ROCPRIM_400000_NS6detail17trampoline_kernelINS0_14default_configENS1_25partition_config_selectorILNS1_17partition_subalgoE8ElNS0_10empty_typeEbEEZZNS1_14partition_implILS5_8ELb0ES3_jPlPS6_PKS6_NS0_5tupleIJS9_S6_EEENSD_IJSA_SA_EEENS0_18inequality_wrapperIZN2at6native12_GLOBAL__N_124unique_dim_cuda_templateIfEESt5tupleIJNSH_6TensorESM_SM_EERKSM_lbbbEUlllE0_EEPmJS6_EEE10hipError_tPvRmT3_T4_T5_T6_T7_T9_mT8_P12ihipStream_tbDpT10_ENKUlT_T0_E_clISt17integral_constantIbLb0EES1C_EEDaS17_S18_EUlS17_E_NS1_11comp_targetILNS1_3genE5ELNS1_11target_archE942ELNS1_3gpuE9ELNS1_3repE0EEENS1_30default_config_static_selectorELNS0_4arch9wavefront6targetE1EEEvT1_,"axG",@progbits,_ZN7rocprim17ROCPRIM_400000_NS6detail17trampoline_kernelINS0_14default_configENS1_25partition_config_selectorILNS1_17partition_subalgoE8ElNS0_10empty_typeEbEEZZNS1_14partition_implILS5_8ELb0ES3_jPlPS6_PKS6_NS0_5tupleIJS9_S6_EEENSD_IJSA_SA_EEENS0_18inequality_wrapperIZN2at6native12_GLOBAL__N_124unique_dim_cuda_templateIfEESt5tupleIJNSH_6TensorESM_SM_EERKSM_lbbbEUlllE0_EEPmJS6_EEE10hipError_tPvRmT3_T4_T5_T6_T7_T9_mT8_P12ihipStream_tbDpT10_ENKUlT_T0_E_clISt17integral_constantIbLb0EES1C_EEDaS17_S18_EUlS17_E_NS1_11comp_targetILNS1_3genE5ELNS1_11target_archE942ELNS1_3gpuE9ELNS1_3repE0EEENS1_30default_config_static_selectorELNS0_4arch9wavefront6targetE1EEEvT1_,comdat
	.globl	_ZN7rocprim17ROCPRIM_400000_NS6detail17trampoline_kernelINS0_14default_configENS1_25partition_config_selectorILNS1_17partition_subalgoE8ElNS0_10empty_typeEbEEZZNS1_14partition_implILS5_8ELb0ES3_jPlPS6_PKS6_NS0_5tupleIJS9_S6_EEENSD_IJSA_SA_EEENS0_18inequality_wrapperIZN2at6native12_GLOBAL__N_124unique_dim_cuda_templateIfEESt5tupleIJNSH_6TensorESM_SM_EERKSM_lbbbEUlllE0_EEPmJS6_EEE10hipError_tPvRmT3_T4_T5_T6_T7_T9_mT8_P12ihipStream_tbDpT10_ENKUlT_T0_E_clISt17integral_constantIbLb0EES1C_EEDaS17_S18_EUlS17_E_NS1_11comp_targetILNS1_3genE5ELNS1_11target_archE942ELNS1_3gpuE9ELNS1_3repE0EEENS1_30default_config_static_selectorELNS0_4arch9wavefront6targetE1EEEvT1_ ; -- Begin function _ZN7rocprim17ROCPRIM_400000_NS6detail17trampoline_kernelINS0_14default_configENS1_25partition_config_selectorILNS1_17partition_subalgoE8ElNS0_10empty_typeEbEEZZNS1_14partition_implILS5_8ELb0ES3_jPlPS6_PKS6_NS0_5tupleIJS9_S6_EEENSD_IJSA_SA_EEENS0_18inequality_wrapperIZN2at6native12_GLOBAL__N_124unique_dim_cuda_templateIfEESt5tupleIJNSH_6TensorESM_SM_EERKSM_lbbbEUlllE0_EEPmJS6_EEE10hipError_tPvRmT3_T4_T5_T6_T7_T9_mT8_P12ihipStream_tbDpT10_ENKUlT_T0_E_clISt17integral_constantIbLb0EES1C_EEDaS17_S18_EUlS17_E_NS1_11comp_targetILNS1_3genE5ELNS1_11target_archE942ELNS1_3gpuE9ELNS1_3repE0EEENS1_30default_config_static_selectorELNS0_4arch9wavefront6targetE1EEEvT1_
	.p2align	8
	.type	_ZN7rocprim17ROCPRIM_400000_NS6detail17trampoline_kernelINS0_14default_configENS1_25partition_config_selectorILNS1_17partition_subalgoE8ElNS0_10empty_typeEbEEZZNS1_14partition_implILS5_8ELb0ES3_jPlPS6_PKS6_NS0_5tupleIJS9_S6_EEENSD_IJSA_SA_EEENS0_18inequality_wrapperIZN2at6native12_GLOBAL__N_124unique_dim_cuda_templateIfEESt5tupleIJNSH_6TensorESM_SM_EERKSM_lbbbEUlllE0_EEPmJS6_EEE10hipError_tPvRmT3_T4_T5_T6_T7_T9_mT8_P12ihipStream_tbDpT10_ENKUlT_T0_E_clISt17integral_constantIbLb0EES1C_EEDaS17_S18_EUlS17_E_NS1_11comp_targetILNS1_3genE5ELNS1_11target_archE942ELNS1_3gpuE9ELNS1_3repE0EEENS1_30default_config_static_selectorELNS0_4arch9wavefront6targetE1EEEvT1_,@function
_ZN7rocprim17ROCPRIM_400000_NS6detail17trampoline_kernelINS0_14default_configENS1_25partition_config_selectorILNS1_17partition_subalgoE8ElNS0_10empty_typeEbEEZZNS1_14partition_implILS5_8ELb0ES3_jPlPS6_PKS6_NS0_5tupleIJS9_S6_EEENSD_IJSA_SA_EEENS0_18inequality_wrapperIZN2at6native12_GLOBAL__N_124unique_dim_cuda_templateIfEESt5tupleIJNSH_6TensorESM_SM_EERKSM_lbbbEUlllE0_EEPmJS6_EEE10hipError_tPvRmT3_T4_T5_T6_T7_T9_mT8_P12ihipStream_tbDpT10_ENKUlT_T0_E_clISt17integral_constantIbLb0EES1C_EEDaS17_S18_EUlS17_E_NS1_11comp_targetILNS1_3genE5ELNS1_11target_archE942ELNS1_3gpuE9ELNS1_3repE0EEENS1_30default_config_static_selectorELNS0_4arch9wavefront6targetE1EEEvT1_: ; @_ZN7rocprim17ROCPRIM_400000_NS6detail17trampoline_kernelINS0_14default_configENS1_25partition_config_selectorILNS1_17partition_subalgoE8ElNS0_10empty_typeEbEEZZNS1_14partition_implILS5_8ELb0ES3_jPlPS6_PKS6_NS0_5tupleIJS9_S6_EEENSD_IJSA_SA_EEENS0_18inequality_wrapperIZN2at6native12_GLOBAL__N_124unique_dim_cuda_templateIfEESt5tupleIJNSH_6TensorESM_SM_EERKSM_lbbbEUlllE0_EEPmJS6_EEE10hipError_tPvRmT3_T4_T5_T6_T7_T9_mT8_P12ihipStream_tbDpT10_ENKUlT_T0_E_clISt17integral_constantIbLb0EES1C_EEDaS17_S18_EUlS17_E_NS1_11comp_targetILNS1_3genE5ELNS1_11target_archE942ELNS1_3gpuE9ELNS1_3repE0EEENS1_30default_config_static_selectorELNS0_4arch9wavefront6targetE1EEEvT1_
; %bb.0:
	.section	.rodata,"a",@progbits
	.p2align	6, 0x0
	.amdhsa_kernel _ZN7rocprim17ROCPRIM_400000_NS6detail17trampoline_kernelINS0_14default_configENS1_25partition_config_selectorILNS1_17partition_subalgoE8ElNS0_10empty_typeEbEEZZNS1_14partition_implILS5_8ELb0ES3_jPlPS6_PKS6_NS0_5tupleIJS9_S6_EEENSD_IJSA_SA_EEENS0_18inequality_wrapperIZN2at6native12_GLOBAL__N_124unique_dim_cuda_templateIfEESt5tupleIJNSH_6TensorESM_SM_EERKSM_lbbbEUlllE0_EEPmJS6_EEE10hipError_tPvRmT3_T4_T5_T6_T7_T9_mT8_P12ihipStream_tbDpT10_ENKUlT_T0_E_clISt17integral_constantIbLb0EES1C_EEDaS17_S18_EUlS17_E_NS1_11comp_targetILNS1_3genE5ELNS1_11target_archE942ELNS1_3gpuE9ELNS1_3repE0EEENS1_30default_config_static_selectorELNS0_4arch9wavefront6targetE1EEEvT1_
		.amdhsa_group_segment_fixed_size 0
		.amdhsa_private_segment_fixed_size 0
		.amdhsa_kernarg_size 120
		.amdhsa_user_sgpr_count 2
		.amdhsa_user_sgpr_dispatch_ptr 0
		.amdhsa_user_sgpr_queue_ptr 0
		.amdhsa_user_sgpr_kernarg_segment_ptr 1
		.amdhsa_user_sgpr_dispatch_id 0
		.amdhsa_user_sgpr_kernarg_preload_length 0
		.amdhsa_user_sgpr_kernarg_preload_offset 0
		.amdhsa_user_sgpr_private_segment_size 0
		.amdhsa_uses_dynamic_stack 0
		.amdhsa_enable_private_segment 0
		.amdhsa_system_sgpr_workgroup_id_x 1
		.amdhsa_system_sgpr_workgroup_id_y 0
		.amdhsa_system_sgpr_workgroup_id_z 0
		.amdhsa_system_sgpr_workgroup_info 0
		.amdhsa_system_vgpr_workitem_id 0
		.amdhsa_next_free_vgpr 1
		.amdhsa_next_free_sgpr 0
		.amdhsa_accum_offset 4
		.amdhsa_reserve_vcc 0
		.amdhsa_float_round_mode_32 0
		.amdhsa_float_round_mode_16_64 0
		.amdhsa_float_denorm_mode_32 3
		.amdhsa_float_denorm_mode_16_64 3
		.amdhsa_dx10_clamp 1
		.amdhsa_ieee_mode 1
		.amdhsa_fp16_overflow 0
		.amdhsa_tg_split 0
		.amdhsa_exception_fp_ieee_invalid_op 0
		.amdhsa_exception_fp_denorm_src 0
		.amdhsa_exception_fp_ieee_div_zero 0
		.amdhsa_exception_fp_ieee_overflow 0
		.amdhsa_exception_fp_ieee_underflow 0
		.amdhsa_exception_fp_ieee_inexact 0
		.amdhsa_exception_int_div_zero 0
	.end_amdhsa_kernel
	.section	.text._ZN7rocprim17ROCPRIM_400000_NS6detail17trampoline_kernelINS0_14default_configENS1_25partition_config_selectorILNS1_17partition_subalgoE8ElNS0_10empty_typeEbEEZZNS1_14partition_implILS5_8ELb0ES3_jPlPS6_PKS6_NS0_5tupleIJS9_S6_EEENSD_IJSA_SA_EEENS0_18inequality_wrapperIZN2at6native12_GLOBAL__N_124unique_dim_cuda_templateIfEESt5tupleIJNSH_6TensorESM_SM_EERKSM_lbbbEUlllE0_EEPmJS6_EEE10hipError_tPvRmT3_T4_T5_T6_T7_T9_mT8_P12ihipStream_tbDpT10_ENKUlT_T0_E_clISt17integral_constantIbLb0EES1C_EEDaS17_S18_EUlS17_E_NS1_11comp_targetILNS1_3genE5ELNS1_11target_archE942ELNS1_3gpuE9ELNS1_3repE0EEENS1_30default_config_static_selectorELNS0_4arch9wavefront6targetE1EEEvT1_,"axG",@progbits,_ZN7rocprim17ROCPRIM_400000_NS6detail17trampoline_kernelINS0_14default_configENS1_25partition_config_selectorILNS1_17partition_subalgoE8ElNS0_10empty_typeEbEEZZNS1_14partition_implILS5_8ELb0ES3_jPlPS6_PKS6_NS0_5tupleIJS9_S6_EEENSD_IJSA_SA_EEENS0_18inequality_wrapperIZN2at6native12_GLOBAL__N_124unique_dim_cuda_templateIfEESt5tupleIJNSH_6TensorESM_SM_EERKSM_lbbbEUlllE0_EEPmJS6_EEE10hipError_tPvRmT3_T4_T5_T6_T7_T9_mT8_P12ihipStream_tbDpT10_ENKUlT_T0_E_clISt17integral_constantIbLb0EES1C_EEDaS17_S18_EUlS17_E_NS1_11comp_targetILNS1_3genE5ELNS1_11target_archE942ELNS1_3gpuE9ELNS1_3repE0EEENS1_30default_config_static_selectorELNS0_4arch9wavefront6targetE1EEEvT1_,comdat
.Lfunc_end930:
	.size	_ZN7rocprim17ROCPRIM_400000_NS6detail17trampoline_kernelINS0_14default_configENS1_25partition_config_selectorILNS1_17partition_subalgoE8ElNS0_10empty_typeEbEEZZNS1_14partition_implILS5_8ELb0ES3_jPlPS6_PKS6_NS0_5tupleIJS9_S6_EEENSD_IJSA_SA_EEENS0_18inequality_wrapperIZN2at6native12_GLOBAL__N_124unique_dim_cuda_templateIfEESt5tupleIJNSH_6TensorESM_SM_EERKSM_lbbbEUlllE0_EEPmJS6_EEE10hipError_tPvRmT3_T4_T5_T6_T7_T9_mT8_P12ihipStream_tbDpT10_ENKUlT_T0_E_clISt17integral_constantIbLb0EES1C_EEDaS17_S18_EUlS17_E_NS1_11comp_targetILNS1_3genE5ELNS1_11target_archE942ELNS1_3gpuE9ELNS1_3repE0EEENS1_30default_config_static_selectorELNS0_4arch9wavefront6targetE1EEEvT1_, .Lfunc_end930-_ZN7rocprim17ROCPRIM_400000_NS6detail17trampoline_kernelINS0_14default_configENS1_25partition_config_selectorILNS1_17partition_subalgoE8ElNS0_10empty_typeEbEEZZNS1_14partition_implILS5_8ELb0ES3_jPlPS6_PKS6_NS0_5tupleIJS9_S6_EEENSD_IJSA_SA_EEENS0_18inequality_wrapperIZN2at6native12_GLOBAL__N_124unique_dim_cuda_templateIfEESt5tupleIJNSH_6TensorESM_SM_EERKSM_lbbbEUlllE0_EEPmJS6_EEE10hipError_tPvRmT3_T4_T5_T6_T7_T9_mT8_P12ihipStream_tbDpT10_ENKUlT_T0_E_clISt17integral_constantIbLb0EES1C_EEDaS17_S18_EUlS17_E_NS1_11comp_targetILNS1_3genE5ELNS1_11target_archE942ELNS1_3gpuE9ELNS1_3repE0EEENS1_30default_config_static_selectorELNS0_4arch9wavefront6targetE1EEEvT1_
                                        ; -- End function
	.set _ZN7rocprim17ROCPRIM_400000_NS6detail17trampoline_kernelINS0_14default_configENS1_25partition_config_selectorILNS1_17partition_subalgoE8ElNS0_10empty_typeEbEEZZNS1_14partition_implILS5_8ELb0ES3_jPlPS6_PKS6_NS0_5tupleIJS9_S6_EEENSD_IJSA_SA_EEENS0_18inequality_wrapperIZN2at6native12_GLOBAL__N_124unique_dim_cuda_templateIfEESt5tupleIJNSH_6TensorESM_SM_EERKSM_lbbbEUlllE0_EEPmJS6_EEE10hipError_tPvRmT3_T4_T5_T6_T7_T9_mT8_P12ihipStream_tbDpT10_ENKUlT_T0_E_clISt17integral_constantIbLb0EES1C_EEDaS17_S18_EUlS17_E_NS1_11comp_targetILNS1_3genE5ELNS1_11target_archE942ELNS1_3gpuE9ELNS1_3repE0EEENS1_30default_config_static_selectorELNS0_4arch9wavefront6targetE1EEEvT1_.num_vgpr, 0
	.set _ZN7rocprim17ROCPRIM_400000_NS6detail17trampoline_kernelINS0_14default_configENS1_25partition_config_selectorILNS1_17partition_subalgoE8ElNS0_10empty_typeEbEEZZNS1_14partition_implILS5_8ELb0ES3_jPlPS6_PKS6_NS0_5tupleIJS9_S6_EEENSD_IJSA_SA_EEENS0_18inequality_wrapperIZN2at6native12_GLOBAL__N_124unique_dim_cuda_templateIfEESt5tupleIJNSH_6TensorESM_SM_EERKSM_lbbbEUlllE0_EEPmJS6_EEE10hipError_tPvRmT3_T4_T5_T6_T7_T9_mT8_P12ihipStream_tbDpT10_ENKUlT_T0_E_clISt17integral_constantIbLb0EES1C_EEDaS17_S18_EUlS17_E_NS1_11comp_targetILNS1_3genE5ELNS1_11target_archE942ELNS1_3gpuE9ELNS1_3repE0EEENS1_30default_config_static_selectorELNS0_4arch9wavefront6targetE1EEEvT1_.num_agpr, 0
	.set _ZN7rocprim17ROCPRIM_400000_NS6detail17trampoline_kernelINS0_14default_configENS1_25partition_config_selectorILNS1_17partition_subalgoE8ElNS0_10empty_typeEbEEZZNS1_14partition_implILS5_8ELb0ES3_jPlPS6_PKS6_NS0_5tupleIJS9_S6_EEENSD_IJSA_SA_EEENS0_18inequality_wrapperIZN2at6native12_GLOBAL__N_124unique_dim_cuda_templateIfEESt5tupleIJNSH_6TensorESM_SM_EERKSM_lbbbEUlllE0_EEPmJS6_EEE10hipError_tPvRmT3_T4_T5_T6_T7_T9_mT8_P12ihipStream_tbDpT10_ENKUlT_T0_E_clISt17integral_constantIbLb0EES1C_EEDaS17_S18_EUlS17_E_NS1_11comp_targetILNS1_3genE5ELNS1_11target_archE942ELNS1_3gpuE9ELNS1_3repE0EEENS1_30default_config_static_selectorELNS0_4arch9wavefront6targetE1EEEvT1_.numbered_sgpr, 0
	.set _ZN7rocprim17ROCPRIM_400000_NS6detail17trampoline_kernelINS0_14default_configENS1_25partition_config_selectorILNS1_17partition_subalgoE8ElNS0_10empty_typeEbEEZZNS1_14partition_implILS5_8ELb0ES3_jPlPS6_PKS6_NS0_5tupleIJS9_S6_EEENSD_IJSA_SA_EEENS0_18inequality_wrapperIZN2at6native12_GLOBAL__N_124unique_dim_cuda_templateIfEESt5tupleIJNSH_6TensorESM_SM_EERKSM_lbbbEUlllE0_EEPmJS6_EEE10hipError_tPvRmT3_T4_T5_T6_T7_T9_mT8_P12ihipStream_tbDpT10_ENKUlT_T0_E_clISt17integral_constantIbLb0EES1C_EEDaS17_S18_EUlS17_E_NS1_11comp_targetILNS1_3genE5ELNS1_11target_archE942ELNS1_3gpuE9ELNS1_3repE0EEENS1_30default_config_static_selectorELNS0_4arch9wavefront6targetE1EEEvT1_.num_named_barrier, 0
	.set _ZN7rocprim17ROCPRIM_400000_NS6detail17trampoline_kernelINS0_14default_configENS1_25partition_config_selectorILNS1_17partition_subalgoE8ElNS0_10empty_typeEbEEZZNS1_14partition_implILS5_8ELb0ES3_jPlPS6_PKS6_NS0_5tupleIJS9_S6_EEENSD_IJSA_SA_EEENS0_18inequality_wrapperIZN2at6native12_GLOBAL__N_124unique_dim_cuda_templateIfEESt5tupleIJNSH_6TensorESM_SM_EERKSM_lbbbEUlllE0_EEPmJS6_EEE10hipError_tPvRmT3_T4_T5_T6_T7_T9_mT8_P12ihipStream_tbDpT10_ENKUlT_T0_E_clISt17integral_constantIbLb0EES1C_EEDaS17_S18_EUlS17_E_NS1_11comp_targetILNS1_3genE5ELNS1_11target_archE942ELNS1_3gpuE9ELNS1_3repE0EEENS1_30default_config_static_selectorELNS0_4arch9wavefront6targetE1EEEvT1_.private_seg_size, 0
	.set _ZN7rocprim17ROCPRIM_400000_NS6detail17trampoline_kernelINS0_14default_configENS1_25partition_config_selectorILNS1_17partition_subalgoE8ElNS0_10empty_typeEbEEZZNS1_14partition_implILS5_8ELb0ES3_jPlPS6_PKS6_NS0_5tupleIJS9_S6_EEENSD_IJSA_SA_EEENS0_18inequality_wrapperIZN2at6native12_GLOBAL__N_124unique_dim_cuda_templateIfEESt5tupleIJNSH_6TensorESM_SM_EERKSM_lbbbEUlllE0_EEPmJS6_EEE10hipError_tPvRmT3_T4_T5_T6_T7_T9_mT8_P12ihipStream_tbDpT10_ENKUlT_T0_E_clISt17integral_constantIbLb0EES1C_EEDaS17_S18_EUlS17_E_NS1_11comp_targetILNS1_3genE5ELNS1_11target_archE942ELNS1_3gpuE9ELNS1_3repE0EEENS1_30default_config_static_selectorELNS0_4arch9wavefront6targetE1EEEvT1_.uses_vcc, 0
	.set _ZN7rocprim17ROCPRIM_400000_NS6detail17trampoline_kernelINS0_14default_configENS1_25partition_config_selectorILNS1_17partition_subalgoE8ElNS0_10empty_typeEbEEZZNS1_14partition_implILS5_8ELb0ES3_jPlPS6_PKS6_NS0_5tupleIJS9_S6_EEENSD_IJSA_SA_EEENS0_18inequality_wrapperIZN2at6native12_GLOBAL__N_124unique_dim_cuda_templateIfEESt5tupleIJNSH_6TensorESM_SM_EERKSM_lbbbEUlllE0_EEPmJS6_EEE10hipError_tPvRmT3_T4_T5_T6_T7_T9_mT8_P12ihipStream_tbDpT10_ENKUlT_T0_E_clISt17integral_constantIbLb0EES1C_EEDaS17_S18_EUlS17_E_NS1_11comp_targetILNS1_3genE5ELNS1_11target_archE942ELNS1_3gpuE9ELNS1_3repE0EEENS1_30default_config_static_selectorELNS0_4arch9wavefront6targetE1EEEvT1_.uses_flat_scratch, 0
	.set _ZN7rocprim17ROCPRIM_400000_NS6detail17trampoline_kernelINS0_14default_configENS1_25partition_config_selectorILNS1_17partition_subalgoE8ElNS0_10empty_typeEbEEZZNS1_14partition_implILS5_8ELb0ES3_jPlPS6_PKS6_NS0_5tupleIJS9_S6_EEENSD_IJSA_SA_EEENS0_18inequality_wrapperIZN2at6native12_GLOBAL__N_124unique_dim_cuda_templateIfEESt5tupleIJNSH_6TensorESM_SM_EERKSM_lbbbEUlllE0_EEPmJS6_EEE10hipError_tPvRmT3_T4_T5_T6_T7_T9_mT8_P12ihipStream_tbDpT10_ENKUlT_T0_E_clISt17integral_constantIbLb0EES1C_EEDaS17_S18_EUlS17_E_NS1_11comp_targetILNS1_3genE5ELNS1_11target_archE942ELNS1_3gpuE9ELNS1_3repE0EEENS1_30default_config_static_selectorELNS0_4arch9wavefront6targetE1EEEvT1_.has_dyn_sized_stack, 0
	.set _ZN7rocprim17ROCPRIM_400000_NS6detail17trampoline_kernelINS0_14default_configENS1_25partition_config_selectorILNS1_17partition_subalgoE8ElNS0_10empty_typeEbEEZZNS1_14partition_implILS5_8ELb0ES3_jPlPS6_PKS6_NS0_5tupleIJS9_S6_EEENSD_IJSA_SA_EEENS0_18inequality_wrapperIZN2at6native12_GLOBAL__N_124unique_dim_cuda_templateIfEESt5tupleIJNSH_6TensorESM_SM_EERKSM_lbbbEUlllE0_EEPmJS6_EEE10hipError_tPvRmT3_T4_T5_T6_T7_T9_mT8_P12ihipStream_tbDpT10_ENKUlT_T0_E_clISt17integral_constantIbLb0EES1C_EEDaS17_S18_EUlS17_E_NS1_11comp_targetILNS1_3genE5ELNS1_11target_archE942ELNS1_3gpuE9ELNS1_3repE0EEENS1_30default_config_static_selectorELNS0_4arch9wavefront6targetE1EEEvT1_.has_recursion, 0
	.set _ZN7rocprim17ROCPRIM_400000_NS6detail17trampoline_kernelINS0_14default_configENS1_25partition_config_selectorILNS1_17partition_subalgoE8ElNS0_10empty_typeEbEEZZNS1_14partition_implILS5_8ELb0ES3_jPlPS6_PKS6_NS0_5tupleIJS9_S6_EEENSD_IJSA_SA_EEENS0_18inequality_wrapperIZN2at6native12_GLOBAL__N_124unique_dim_cuda_templateIfEESt5tupleIJNSH_6TensorESM_SM_EERKSM_lbbbEUlllE0_EEPmJS6_EEE10hipError_tPvRmT3_T4_T5_T6_T7_T9_mT8_P12ihipStream_tbDpT10_ENKUlT_T0_E_clISt17integral_constantIbLb0EES1C_EEDaS17_S18_EUlS17_E_NS1_11comp_targetILNS1_3genE5ELNS1_11target_archE942ELNS1_3gpuE9ELNS1_3repE0EEENS1_30default_config_static_selectorELNS0_4arch9wavefront6targetE1EEEvT1_.has_indirect_call, 0
	.section	.AMDGPU.csdata,"",@progbits
; Kernel info:
; codeLenInByte = 0
; TotalNumSgprs: 6
; NumVgprs: 0
; NumAgprs: 0
; TotalNumVgprs: 0
; ScratchSize: 0
; MemoryBound: 0
; FloatMode: 240
; IeeeMode: 1
; LDSByteSize: 0 bytes/workgroup (compile time only)
; SGPRBlocks: 0
; VGPRBlocks: 0
; NumSGPRsForWavesPerEU: 6
; NumVGPRsForWavesPerEU: 1
; AccumOffset: 4
; Occupancy: 8
; WaveLimiterHint : 0
; COMPUTE_PGM_RSRC2:SCRATCH_EN: 0
; COMPUTE_PGM_RSRC2:USER_SGPR: 2
; COMPUTE_PGM_RSRC2:TRAP_HANDLER: 0
; COMPUTE_PGM_RSRC2:TGID_X_EN: 1
; COMPUTE_PGM_RSRC2:TGID_Y_EN: 0
; COMPUTE_PGM_RSRC2:TGID_Z_EN: 0
; COMPUTE_PGM_RSRC2:TIDIG_COMP_CNT: 0
; COMPUTE_PGM_RSRC3_GFX90A:ACCUM_OFFSET: 0
; COMPUTE_PGM_RSRC3_GFX90A:TG_SPLIT: 0
	.section	.text._ZN7rocprim17ROCPRIM_400000_NS6detail17trampoline_kernelINS0_14default_configENS1_25partition_config_selectorILNS1_17partition_subalgoE8ElNS0_10empty_typeEbEEZZNS1_14partition_implILS5_8ELb0ES3_jPlPS6_PKS6_NS0_5tupleIJS9_S6_EEENSD_IJSA_SA_EEENS0_18inequality_wrapperIZN2at6native12_GLOBAL__N_124unique_dim_cuda_templateIfEESt5tupleIJNSH_6TensorESM_SM_EERKSM_lbbbEUlllE0_EEPmJS6_EEE10hipError_tPvRmT3_T4_T5_T6_T7_T9_mT8_P12ihipStream_tbDpT10_ENKUlT_T0_E_clISt17integral_constantIbLb0EES1C_EEDaS17_S18_EUlS17_E_NS1_11comp_targetILNS1_3genE4ELNS1_11target_archE910ELNS1_3gpuE8ELNS1_3repE0EEENS1_30default_config_static_selectorELNS0_4arch9wavefront6targetE1EEEvT1_,"axG",@progbits,_ZN7rocprim17ROCPRIM_400000_NS6detail17trampoline_kernelINS0_14default_configENS1_25partition_config_selectorILNS1_17partition_subalgoE8ElNS0_10empty_typeEbEEZZNS1_14partition_implILS5_8ELb0ES3_jPlPS6_PKS6_NS0_5tupleIJS9_S6_EEENSD_IJSA_SA_EEENS0_18inequality_wrapperIZN2at6native12_GLOBAL__N_124unique_dim_cuda_templateIfEESt5tupleIJNSH_6TensorESM_SM_EERKSM_lbbbEUlllE0_EEPmJS6_EEE10hipError_tPvRmT3_T4_T5_T6_T7_T9_mT8_P12ihipStream_tbDpT10_ENKUlT_T0_E_clISt17integral_constantIbLb0EES1C_EEDaS17_S18_EUlS17_E_NS1_11comp_targetILNS1_3genE4ELNS1_11target_archE910ELNS1_3gpuE8ELNS1_3repE0EEENS1_30default_config_static_selectorELNS0_4arch9wavefront6targetE1EEEvT1_,comdat
	.globl	_ZN7rocprim17ROCPRIM_400000_NS6detail17trampoline_kernelINS0_14default_configENS1_25partition_config_selectorILNS1_17partition_subalgoE8ElNS0_10empty_typeEbEEZZNS1_14partition_implILS5_8ELb0ES3_jPlPS6_PKS6_NS0_5tupleIJS9_S6_EEENSD_IJSA_SA_EEENS0_18inequality_wrapperIZN2at6native12_GLOBAL__N_124unique_dim_cuda_templateIfEESt5tupleIJNSH_6TensorESM_SM_EERKSM_lbbbEUlllE0_EEPmJS6_EEE10hipError_tPvRmT3_T4_T5_T6_T7_T9_mT8_P12ihipStream_tbDpT10_ENKUlT_T0_E_clISt17integral_constantIbLb0EES1C_EEDaS17_S18_EUlS17_E_NS1_11comp_targetILNS1_3genE4ELNS1_11target_archE910ELNS1_3gpuE8ELNS1_3repE0EEENS1_30default_config_static_selectorELNS0_4arch9wavefront6targetE1EEEvT1_ ; -- Begin function _ZN7rocprim17ROCPRIM_400000_NS6detail17trampoline_kernelINS0_14default_configENS1_25partition_config_selectorILNS1_17partition_subalgoE8ElNS0_10empty_typeEbEEZZNS1_14partition_implILS5_8ELb0ES3_jPlPS6_PKS6_NS0_5tupleIJS9_S6_EEENSD_IJSA_SA_EEENS0_18inequality_wrapperIZN2at6native12_GLOBAL__N_124unique_dim_cuda_templateIfEESt5tupleIJNSH_6TensorESM_SM_EERKSM_lbbbEUlllE0_EEPmJS6_EEE10hipError_tPvRmT3_T4_T5_T6_T7_T9_mT8_P12ihipStream_tbDpT10_ENKUlT_T0_E_clISt17integral_constantIbLb0EES1C_EEDaS17_S18_EUlS17_E_NS1_11comp_targetILNS1_3genE4ELNS1_11target_archE910ELNS1_3gpuE8ELNS1_3repE0EEENS1_30default_config_static_selectorELNS0_4arch9wavefront6targetE1EEEvT1_
	.p2align	8
	.type	_ZN7rocprim17ROCPRIM_400000_NS6detail17trampoline_kernelINS0_14default_configENS1_25partition_config_selectorILNS1_17partition_subalgoE8ElNS0_10empty_typeEbEEZZNS1_14partition_implILS5_8ELb0ES3_jPlPS6_PKS6_NS0_5tupleIJS9_S6_EEENSD_IJSA_SA_EEENS0_18inequality_wrapperIZN2at6native12_GLOBAL__N_124unique_dim_cuda_templateIfEESt5tupleIJNSH_6TensorESM_SM_EERKSM_lbbbEUlllE0_EEPmJS6_EEE10hipError_tPvRmT3_T4_T5_T6_T7_T9_mT8_P12ihipStream_tbDpT10_ENKUlT_T0_E_clISt17integral_constantIbLb0EES1C_EEDaS17_S18_EUlS17_E_NS1_11comp_targetILNS1_3genE4ELNS1_11target_archE910ELNS1_3gpuE8ELNS1_3repE0EEENS1_30default_config_static_selectorELNS0_4arch9wavefront6targetE1EEEvT1_,@function
_ZN7rocprim17ROCPRIM_400000_NS6detail17trampoline_kernelINS0_14default_configENS1_25partition_config_selectorILNS1_17partition_subalgoE8ElNS0_10empty_typeEbEEZZNS1_14partition_implILS5_8ELb0ES3_jPlPS6_PKS6_NS0_5tupleIJS9_S6_EEENSD_IJSA_SA_EEENS0_18inequality_wrapperIZN2at6native12_GLOBAL__N_124unique_dim_cuda_templateIfEESt5tupleIJNSH_6TensorESM_SM_EERKSM_lbbbEUlllE0_EEPmJS6_EEE10hipError_tPvRmT3_T4_T5_T6_T7_T9_mT8_P12ihipStream_tbDpT10_ENKUlT_T0_E_clISt17integral_constantIbLb0EES1C_EEDaS17_S18_EUlS17_E_NS1_11comp_targetILNS1_3genE4ELNS1_11target_archE910ELNS1_3gpuE8ELNS1_3repE0EEENS1_30default_config_static_selectorELNS0_4arch9wavefront6targetE1EEEvT1_: ; @_ZN7rocprim17ROCPRIM_400000_NS6detail17trampoline_kernelINS0_14default_configENS1_25partition_config_selectorILNS1_17partition_subalgoE8ElNS0_10empty_typeEbEEZZNS1_14partition_implILS5_8ELb0ES3_jPlPS6_PKS6_NS0_5tupleIJS9_S6_EEENSD_IJSA_SA_EEENS0_18inequality_wrapperIZN2at6native12_GLOBAL__N_124unique_dim_cuda_templateIfEESt5tupleIJNSH_6TensorESM_SM_EERKSM_lbbbEUlllE0_EEPmJS6_EEE10hipError_tPvRmT3_T4_T5_T6_T7_T9_mT8_P12ihipStream_tbDpT10_ENKUlT_T0_E_clISt17integral_constantIbLb0EES1C_EEDaS17_S18_EUlS17_E_NS1_11comp_targetILNS1_3genE4ELNS1_11target_archE910ELNS1_3gpuE8ELNS1_3repE0EEENS1_30default_config_static_selectorELNS0_4arch9wavefront6targetE1EEEvT1_
; %bb.0:
	.section	.rodata,"a",@progbits
	.p2align	6, 0x0
	.amdhsa_kernel _ZN7rocprim17ROCPRIM_400000_NS6detail17trampoline_kernelINS0_14default_configENS1_25partition_config_selectorILNS1_17partition_subalgoE8ElNS0_10empty_typeEbEEZZNS1_14partition_implILS5_8ELb0ES3_jPlPS6_PKS6_NS0_5tupleIJS9_S6_EEENSD_IJSA_SA_EEENS0_18inequality_wrapperIZN2at6native12_GLOBAL__N_124unique_dim_cuda_templateIfEESt5tupleIJNSH_6TensorESM_SM_EERKSM_lbbbEUlllE0_EEPmJS6_EEE10hipError_tPvRmT3_T4_T5_T6_T7_T9_mT8_P12ihipStream_tbDpT10_ENKUlT_T0_E_clISt17integral_constantIbLb0EES1C_EEDaS17_S18_EUlS17_E_NS1_11comp_targetILNS1_3genE4ELNS1_11target_archE910ELNS1_3gpuE8ELNS1_3repE0EEENS1_30default_config_static_selectorELNS0_4arch9wavefront6targetE1EEEvT1_
		.amdhsa_group_segment_fixed_size 0
		.amdhsa_private_segment_fixed_size 0
		.amdhsa_kernarg_size 120
		.amdhsa_user_sgpr_count 2
		.amdhsa_user_sgpr_dispatch_ptr 0
		.amdhsa_user_sgpr_queue_ptr 0
		.amdhsa_user_sgpr_kernarg_segment_ptr 1
		.amdhsa_user_sgpr_dispatch_id 0
		.amdhsa_user_sgpr_kernarg_preload_length 0
		.amdhsa_user_sgpr_kernarg_preload_offset 0
		.amdhsa_user_sgpr_private_segment_size 0
		.amdhsa_uses_dynamic_stack 0
		.amdhsa_enable_private_segment 0
		.amdhsa_system_sgpr_workgroup_id_x 1
		.amdhsa_system_sgpr_workgroup_id_y 0
		.amdhsa_system_sgpr_workgroup_id_z 0
		.amdhsa_system_sgpr_workgroup_info 0
		.amdhsa_system_vgpr_workitem_id 0
		.amdhsa_next_free_vgpr 1
		.amdhsa_next_free_sgpr 0
		.amdhsa_accum_offset 4
		.amdhsa_reserve_vcc 0
		.amdhsa_float_round_mode_32 0
		.amdhsa_float_round_mode_16_64 0
		.amdhsa_float_denorm_mode_32 3
		.amdhsa_float_denorm_mode_16_64 3
		.amdhsa_dx10_clamp 1
		.amdhsa_ieee_mode 1
		.amdhsa_fp16_overflow 0
		.amdhsa_tg_split 0
		.amdhsa_exception_fp_ieee_invalid_op 0
		.amdhsa_exception_fp_denorm_src 0
		.amdhsa_exception_fp_ieee_div_zero 0
		.amdhsa_exception_fp_ieee_overflow 0
		.amdhsa_exception_fp_ieee_underflow 0
		.amdhsa_exception_fp_ieee_inexact 0
		.amdhsa_exception_int_div_zero 0
	.end_amdhsa_kernel
	.section	.text._ZN7rocprim17ROCPRIM_400000_NS6detail17trampoline_kernelINS0_14default_configENS1_25partition_config_selectorILNS1_17partition_subalgoE8ElNS0_10empty_typeEbEEZZNS1_14partition_implILS5_8ELb0ES3_jPlPS6_PKS6_NS0_5tupleIJS9_S6_EEENSD_IJSA_SA_EEENS0_18inequality_wrapperIZN2at6native12_GLOBAL__N_124unique_dim_cuda_templateIfEESt5tupleIJNSH_6TensorESM_SM_EERKSM_lbbbEUlllE0_EEPmJS6_EEE10hipError_tPvRmT3_T4_T5_T6_T7_T9_mT8_P12ihipStream_tbDpT10_ENKUlT_T0_E_clISt17integral_constantIbLb0EES1C_EEDaS17_S18_EUlS17_E_NS1_11comp_targetILNS1_3genE4ELNS1_11target_archE910ELNS1_3gpuE8ELNS1_3repE0EEENS1_30default_config_static_selectorELNS0_4arch9wavefront6targetE1EEEvT1_,"axG",@progbits,_ZN7rocprim17ROCPRIM_400000_NS6detail17trampoline_kernelINS0_14default_configENS1_25partition_config_selectorILNS1_17partition_subalgoE8ElNS0_10empty_typeEbEEZZNS1_14partition_implILS5_8ELb0ES3_jPlPS6_PKS6_NS0_5tupleIJS9_S6_EEENSD_IJSA_SA_EEENS0_18inequality_wrapperIZN2at6native12_GLOBAL__N_124unique_dim_cuda_templateIfEESt5tupleIJNSH_6TensorESM_SM_EERKSM_lbbbEUlllE0_EEPmJS6_EEE10hipError_tPvRmT3_T4_T5_T6_T7_T9_mT8_P12ihipStream_tbDpT10_ENKUlT_T0_E_clISt17integral_constantIbLb0EES1C_EEDaS17_S18_EUlS17_E_NS1_11comp_targetILNS1_3genE4ELNS1_11target_archE910ELNS1_3gpuE8ELNS1_3repE0EEENS1_30default_config_static_selectorELNS0_4arch9wavefront6targetE1EEEvT1_,comdat
.Lfunc_end931:
	.size	_ZN7rocprim17ROCPRIM_400000_NS6detail17trampoline_kernelINS0_14default_configENS1_25partition_config_selectorILNS1_17partition_subalgoE8ElNS0_10empty_typeEbEEZZNS1_14partition_implILS5_8ELb0ES3_jPlPS6_PKS6_NS0_5tupleIJS9_S6_EEENSD_IJSA_SA_EEENS0_18inequality_wrapperIZN2at6native12_GLOBAL__N_124unique_dim_cuda_templateIfEESt5tupleIJNSH_6TensorESM_SM_EERKSM_lbbbEUlllE0_EEPmJS6_EEE10hipError_tPvRmT3_T4_T5_T6_T7_T9_mT8_P12ihipStream_tbDpT10_ENKUlT_T0_E_clISt17integral_constantIbLb0EES1C_EEDaS17_S18_EUlS17_E_NS1_11comp_targetILNS1_3genE4ELNS1_11target_archE910ELNS1_3gpuE8ELNS1_3repE0EEENS1_30default_config_static_selectorELNS0_4arch9wavefront6targetE1EEEvT1_, .Lfunc_end931-_ZN7rocprim17ROCPRIM_400000_NS6detail17trampoline_kernelINS0_14default_configENS1_25partition_config_selectorILNS1_17partition_subalgoE8ElNS0_10empty_typeEbEEZZNS1_14partition_implILS5_8ELb0ES3_jPlPS6_PKS6_NS0_5tupleIJS9_S6_EEENSD_IJSA_SA_EEENS0_18inequality_wrapperIZN2at6native12_GLOBAL__N_124unique_dim_cuda_templateIfEESt5tupleIJNSH_6TensorESM_SM_EERKSM_lbbbEUlllE0_EEPmJS6_EEE10hipError_tPvRmT3_T4_T5_T6_T7_T9_mT8_P12ihipStream_tbDpT10_ENKUlT_T0_E_clISt17integral_constantIbLb0EES1C_EEDaS17_S18_EUlS17_E_NS1_11comp_targetILNS1_3genE4ELNS1_11target_archE910ELNS1_3gpuE8ELNS1_3repE0EEENS1_30default_config_static_selectorELNS0_4arch9wavefront6targetE1EEEvT1_
                                        ; -- End function
	.set _ZN7rocprim17ROCPRIM_400000_NS6detail17trampoline_kernelINS0_14default_configENS1_25partition_config_selectorILNS1_17partition_subalgoE8ElNS0_10empty_typeEbEEZZNS1_14partition_implILS5_8ELb0ES3_jPlPS6_PKS6_NS0_5tupleIJS9_S6_EEENSD_IJSA_SA_EEENS0_18inequality_wrapperIZN2at6native12_GLOBAL__N_124unique_dim_cuda_templateIfEESt5tupleIJNSH_6TensorESM_SM_EERKSM_lbbbEUlllE0_EEPmJS6_EEE10hipError_tPvRmT3_T4_T5_T6_T7_T9_mT8_P12ihipStream_tbDpT10_ENKUlT_T0_E_clISt17integral_constantIbLb0EES1C_EEDaS17_S18_EUlS17_E_NS1_11comp_targetILNS1_3genE4ELNS1_11target_archE910ELNS1_3gpuE8ELNS1_3repE0EEENS1_30default_config_static_selectorELNS0_4arch9wavefront6targetE1EEEvT1_.num_vgpr, 0
	.set _ZN7rocprim17ROCPRIM_400000_NS6detail17trampoline_kernelINS0_14default_configENS1_25partition_config_selectorILNS1_17partition_subalgoE8ElNS0_10empty_typeEbEEZZNS1_14partition_implILS5_8ELb0ES3_jPlPS6_PKS6_NS0_5tupleIJS9_S6_EEENSD_IJSA_SA_EEENS0_18inequality_wrapperIZN2at6native12_GLOBAL__N_124unique_dim_cuda_templateIfEESt5tupleIJNSH_6TensorESM_SM_EERKSM_lbbbEUlllE0_EEPmJS6_EEE10hipError_tPvRmT3_T4_T5_T6_T7_T9_mT8_P12ihipStream_tbDpT10_ENKUlT_T0_E_clISt17integral_constantIbLb0EES1C_EEDaS17_S18_EUlS17_E_NS1_11comp_targetILNS1_3genE4ELNS1_11target_archE910ELNS1_3gpuE8ELNS1_3repE0EEENS1_30default_config_static_selectorELNS0_4arch9wavefront6targetE1EEEvT1_.num_agpr, 0
	.set _ZN7rocprim17ROCPRIM_400000_NS6detail17trampoline_kernelINS0_14default_configENS1_25partition_config_selectorILNS1_17partition_subalgoE8ElNS0_10empty_typeEbEEZZNS1_14partition_implILS5_8ELb0ES3_jPlPS6_PKS6_NS0_5tupleIJS9_S6_EEENSD_IJSA_SA_EEENS0_18inequality_wrapperIZN2at6native12_GLOBAL__N_124unique_dim_cuda_templateIfEESt5tupleIJNSH_6TensorESM_SM_EERKSM_lbbbEUlllE0_EEPmJS6_EEE10hipError_tPvRmT3_T4_T5_T6_T7_T9_mT8_P12ihipStream_tbDpT10_ENKUlT_T0_E_clISt17integral_constantIbLb0EES1C_EEDaS17_S18_EUlS17_E_NS1_11comp_targetILNS1_3genE4ELNS1_11target_archE910ELNS1_3gpuE8ELNS1_3repE0EEENS1_30default_config_static_selectorELNS0_4arch9wavefront6targetE1EEEvT1_.numbered_sgpr, 0
	.set _ZN7rocprim17ROCPRIM_400000_NS6detail17trampoline_kernelINS0_14default_configENS1_25partition_config_selectorILNS1_17partition_subalgoE8ElNS0_10empty_typeEbEEZZNS1_14partition_implILS5_8ELb0ES3_jPlPS6_PKS6_NS0_5tupleIJS9_S6_EEENSD_IJSA_SA_EEENS0_18inequality_wrapperIZN2at6native12_GLOBAL__N_124unique_dim_cuda_templateIfEESt5tupleIJNSH_6TensorESM_SM_EERKSM_lbbbEUlllE0_EEPmJS6_EEE10hipError_tPvRmT3_T4_T5_T6_T7_T9_mT8_P12ihipStream_tbDpT10_ENKUlT_T0_E_clISt17integral_constantIbLb0EES1C_EEDaS17_S18_EUlS17_E_NS1_11comp_targetILNS1_3genE4ELNS1_11target_archE910ELNS1_3gpuE8ELNS1_3repE0EEENS1_30default_config_static_selectorELNS0_4arch9wavefront6targetE1EEEvT1_.num_named_barrier, 0
	.set _ZN7rocprim17ROCPRIM_400000_NS6detail17trampoline_kernelINS0_14default_configENS1_25partition_config_selectorILNS1_17partition_subalgoE8ElNS0_10empty_typeEbEEZZNS1_14partition_implILS5_8ELb0ES3_jPlPS6_PKS6_NS0_5tupleIJS9_S6_EEENSD_IJSA_SA_EEENS0_18inequality_wrapperIZN2at6native12_GLOBAL__N_124unique_dim_cuda_templateIfEESt5tupleIJNSH_6TensorESM_SM_EERKSM_lbbbEUlllE0_EEPmJS6_EEE10hipError_tPvRmT3_T4_T5_T6_T7_T9_mT8_P12ihipStream_tbDpT10_ENKUlT_T0_E_clISt17integral_constantIbLb0EES1C_EEDaS17_S18_EUlS17_E_NS1_11comp_targetILNS1_3genE4ELNS1_11target_archE910ELNS1_3gpuE8ELNS1_3repE0EEENS1_30default_config_static_selectorELNS0_4arch9wavefront6targetE1EEEvT1_.private_seg_size, 0
	.set _ZN7rocprim17ROCPRIM_400000_NS6detail17trampoline_kernelINS0_14default_configENS1_25partition_config_selectorILNS1_17partition_subalgoE8ElNS0_10empty_typeEbEEZZNS1_14partition_implILS5_8ELb0ES3_jPlPS6_PKS6_NS0_5tupleIJS9_S6_EEENSD_IJSA_SA_EEENS0_18inequality_wrapperIZN2at6native12_GLOBAL__N_124unique_dim_cuda_templateIfEESt5tupleIJNSH_6TensorESM_SM_EERKSM_lbbbEUlllE0_EEPmJS6_EEE10hipError_tPvRmT3_T4_T5_T6_T7_T9_mT8_P12ihipStream_tbDpT10_ENKUlT_T0_E_clISt17integral_constantIbLb0EES1C_EEDaS17_S18_EUlS17_E_NS1_11comp_targetILNS1_3genE4ELNS1_11target_archE910ELNS1_3gpuE8ELNS1_3repE0EEENS1_30default_config_static_selectorELNS0_4arch9wavefront6targetE1EEEvT1_.uses_vcc, 0
	.set _ZN7rocprim17ROCPRIM_400000_NS6detail17trampoline_kernelINS0_14default_configENS1_25partition_config_selectorILNS1_17partition_subalgoE8ElNS0_10empty_typeEbEEZZNS1_14partition_implILS5_8ELb0ES3_jPlPS6_PKS6_NS0_5tupleIJS9_S6_EEENSD_IJSA_SA_EEENS0_18inequality_wrapperIZN2at6native12_GLOBAL__N_124unique_dim_cuda_templateIfEESt5tupleIJNSH_6TensorESM_SM_EERKSM_lbbbEUlllE0_EEPmJS6_EEE10hipError_tPvRmT3_T4_T5_T6_T7_T9_mT8_P12ihipStream_tbDpT10_ENKUlT_T0_E_clISt17integral_constantIbLb0EES1C_EEDaS17_S18_EUlS17_E_NS1_11comp_targetILNS1_3genE4ELNS1_11target_archE910ELNS1_3gpuE8ELNS1_3repE0EEENS1_30default_config_static_selectorELNS0_4arch9wavefront6targetE1EEEvT1_.uses_flat_scratch, 0
	.set _ZN7rocprim17ROCPRIM_400000_NS6detail17trampoline_kernelINS0_14default_configENS1_25partition_config_selectorILNS1_17partition_subalgoE8ElNS0_10empty_typeEbEEZZNS1_14partition_implILS5_8ELb0ES3_jPlPS6_PKS6_NS0_5tupleIJS9_S6_EEENSD_IJSA_SA_EEENS0_18inequality_wrapperIZN2at6native12_GLOBAL__N_124unique_dim_cuda_templateIfEESt5tupleIJNSH_6TensorESM_SM_EERKSM_lbbbEUlllE0_EEPmJS6_EEE10hipError_tPvRmT3_T4_T5_T6_T7_T9_mT8_P12ihipStream_tbDpT10_ENKUlT_T0_E_clISt17integral_constantIbLb0EES1C_EEDaS17_S18_EUlS17_E_NS1_11comp_targetILNS1_3genE4ELNS1_11target_archE910ELNS1_3gpuE8ELNS1_3repE0EEENS1_30default_config_static_selectorELNS0_4arch9wavefront6targetE1EEEvT1_.has_dyn_sized_stack, 0
	.set _ZN7rocprim17ROCPRIM_400000_NS6detail17trampoline_kernelINS0_14default_configENS1_25partition_config_selectorILNS1_17partition_subalgoE8ElNS0_10empty_typeEbEEZZNS1_14partition_implILS5_8ELb0ES3_jPlPS6_PKS6_NS0_5tupleIJS9_S6_EEENSD_IJSA_SA_EEENS0_18inequality_wrapperIZN2at6native12_GLOBAL__N_124unique_dim_cuda_templateIfEESt5tupleIJNSH_6TensorESM_SM_EERKSM_lbbbEUlllE0_EEPmJS6_EEE10hipError_tPvRmT3_T4_T5_T6_T7_T9_mT8_P12ihipStream_tbDpT10_ENKUlT_T0_E_clISt17integral_constantIbLb0EES1C_EEDaS17_S18_EUlS17_E_NS1_11comp_targetILNS1_3genE4ELNS1_11target_archE910ELNS1_3gpuE8ELNS1_3repE0EEENS1_30default_config_static_selectorELNS0_4arch9wavefront6targetE1EEEvT1_.has_recursion, 0
	.set _ZN7rocprim17ROCPRIM_400000_NS6detail17trampoline_kernelINS0_14default_configENS1_25partition_config_selectorILNS1_17partition_subalgoE8ElNS0_10empty_typeEbEEZZNS1_14partition_implILS5_8ELb0ES3_jPlPS6_PKS6_NS0_5tupleIJS9_S6_EEENSD_IJSA_SA_EEENS0_18inequality_wrapperIZN2at6native12_GLOBAL__N_124unique_dim_cuda_templateIfEESt5tupleIJNSH_6TensorESM_SM_EERKSM_lbbbEUlllE0_EEPmJS6_EEE10hipError_tPvRmT3_T4_T5_T6_T7_T9_mT8_P12ihipStream_tbDpT10_ENKUlT_T0_E_clISt17integral_constantIbLb0EES1C_EEDaS17_S18_EUlS17_E_NS1_11comp_targetILNS1_3genE4ELNS1_11target_archE910ELNS1_3gpuE8ELNS1_3repE0EEENS1_30default_config_static_selectorELNS0_4arch9wavefront6targetE1EEEvT1_.has_indirect_call, 0
	.section	.AMDGPU.csdata,"",@progbits
; Kernel info:
; codeLenInByte = 0
; TotalNumSgprs: 6
; NumVgprs: 0
; NumAgprs: 0
; TotalNumVgprs: 0
; ScratchSize: 0
; MemoryBound: 0
; FloatMode: 240
; IeeeMode: 1
; LDSByteSize: 0 bytes/workgroup (compile time only)
; SGPRBlocks: 0
; VGPRBlocks: 0
; NumSGPRsForWavesPerEU: 6
; NumVGPRsForWavesPerEU: 1
; AccumOffset: 4
; Occupancy: 8
; WaveLimiterHint : 0
; COMPUTE_PGM_RSRC2:SCRATCH_EN: 0
; COMPUTE_PGM_RSRC2:USER_SGPR: 2
; COMPUTE_PGM_RSRC2:TRAP_HANDLER: 0
; COMPUTE_PGM_RSRC2:TGID_X_EN: 1
; COMPUTE_PGM_RSRC2:TGID_Y_EN: 0
; COMPUTE_PGM_RSRC2:TGID_Z_EN: 0
; COMPUTE_PGM_RSRC2:TIDIG_COMP_CNT: 0
; COMPUTE_PGM_RSRC3_GFX90A:ACCUM_OFFSET: 0
; COMPUTE_PGM_RSRC3_GFX90A:TG_SPLIT: 0
	.section	.text._ZN7rocprim17ROCPRIM_400000_NS6detail17trampoline_kernelINS0_14default_configENS1_25partition_config_selectorILNS1_17partition_subalgoE8ElNS0_10empty_typeEbEEZZNS1_14partition_implILS5_8ELb0ES3_jPlPS6_PKS6_NS0_5tupleIJS9_S6_EEENSD_IJSA_SA_EEENS0_18inequality_wrapperIZN2at6native12_GLOBAL__N_124unique_dim_cuda_templateIfEESt5tupleIJNSH_6TensorESM_SM_EERKSM_lbbbEUlllE0_EEPmJS6_EEE10hipError_tPvRmT3_T4_T5_T6_T7_T9_mT8_P12ihipStream_tbDpT10_ENKUlT_T0_E_clISt17integral_constantIbLb0EES1C_EEDaS17_S18_EUlS17_E_NS1_11comp_targetILNS1_3genE3ELNS1_11target_archE908ELNS1_3gpuE7ELNS1_3repE0EEENS1_30default_config_static_selectorELNS0_4arch9wavefront6targetE1EEEvT1_,"axG",@progbits,_ZN7rocprim17ROCPRIM_400000_NS6detail17trampoline_kernelINS0_14default_configENS1_25partition_config_selectorILNS1_17partition_subalgoE8ElNS0_10empty_typeEbEEZZNS1_14partition_implILS5_8ELb0ES3_jPlPS6_PKS6_NS0_5tupleIJS9_S6_EEENSD_IJSA_SA_EEENS0_18inequality_wrapperIZN2at6native12_GLOBAL__N_124unique_dim_cuda_templateIfEESt5tupleIJNSH_6TensorESM_SM_EERKSM_lbbbEUlllE0_EEPmJS6_EEE10hipError_tPvRmT3_T4_T5_T6_T7_T9_mT8_P12ihipStream_tbDpT10_ENKUlT_T0_E_clISt17integral_constantIbLb0EES1C_EEDaS17_S18_EUlS17_E_NS1_11comp_targetILNS1_3genE3ELNS1_11target_archE908ELNS1_3gpuE7ELNS1_3repE0EEENS1_30default_config_static_selectorELNS0_4arch9wavefront6targetE1EEEvT1_,comdat
	.globl	_ZN7rocprim17ROCPRIM_400000_NS6detail17trampoline_kernelINS0_14default_configENS1_25partition_config_selectorILNS1_17partition_subalgoE8ElNS0_10empty_typeEbEEZZNS1_14partition_implILS5_8ELb0ES3_jPlPS6_PKS6_NS0_5tupleIJS9_S6_EEENSD_IJSA_SA_EEENS0_18inequality_wrapperIZN2at6native12_GLOBAL__N_124unique_dim_cuda_templateIfEESt5tupleIJNSH_6TensorESM_SM_EERKSM_lbbbEUlllE0_EEPmJS6_EEE10hipError_tPvRmT3_T4_T5_T6_T7_T9_mT8_P12ihipStream_tbDpT10_ENKUlT_T0_E_clISt17integral_constantIbLb0EES1C_EEDaS17_S18_EUlS17_E_NS1_11comp_targetILNS1_3genE3ELNS1_11target_archE908ELNS1_3gpuE7ELNS1_3repE0EEENS1_30default_config_static_selectorELNS0_4arch9wavefront6targetE1EEEvT1_ ; -- Begin function _ZN7rocprim17ROCPRIM_400000_NS6detail17trampoline_kernelINS0_14default_configENS1_25partition_config_selectorILNS1_17partition_subalgoE8ElNS0_10empty_typeEbEEZZNS1_14partition_implILS5_8ELb0ES3_jPlPS6_PKS6_NS0_5tupleIJS9_S6_EEENSD_IJSA_SA_EEENS0_18inequality_wrapperIZN2at6native12_GLOBAL__N_124unique_dim_cuda_templateIfEESt5tupleIJNSH_6TensorESM_SM_EERKSM_lbbbEUlllE0_EEPmJS6_EEE10hipError_tPvRmT3_T4_T5_T6_T7_T9_mT8_P12ihipStream_tbDpT10_ENKUlT_T0_E_clISt17integral_constantIbLb0EES1C_EEDaS17_S18_EUlS17_E_NS1_11comp_targetILNS1_3genE3ELNS1_11target_archE908ELNS1_3gpuE7ELNS1_3repE0EEENS1_30default_config_static_selectorELNS0_4arch9wavefront6targetE1EEEvT1_
	.p2align	8
	.type	_ZN7rocprim17ROCPRIM_400000_NS6detail17trampoline_kernelINS0_14default_configENS1_25partition_config_selectorILNS1_17partition_subalgoE8ElNS0_10empty_typeEbEEZZNS1_14partition_implILS5_8ELb0ES3_jPlPS6_PKS6_NS0_5tupleIJS9_S6_EEENSD_IJSA_SA_EEENS0_18inequality_wrapperIZN2at6native12_GLOBAL__N_124unique_dim_cuda_templateIfEESt5tupleIJNSH_6TensorESM_SM_EERKSM_lbbbEUlllE0_EEPmJS6_EEE10hipError_tPvRmT3_T4_T5_T6_T7_T9_mT8_P12ihipStream_tbDpT10_ENKUlT_T0_E_clISt17integral_constantIbLb0EES1C_EEDaS17_S18_EUlS17_E_NS1_11comp_targetILNS1_3genE3ELNS1_11target_archE908ELNS1_3gpuE7ELNS1_3repE0EEENS1_30default_config_static_selectorELNS0_4arch9wavefront6targetE1EEEvT1_,@function
_ZN7rocprim17ROCPRIM_400000_NS6detail17trampoline_kernelINS0_14default_configENS1_25partition_config_selectorILNS1_17partition_subalgoE8ElNS0_10empty_typeEbEEZZNS1_14partition_implILS5_8ELb0ES3_jPlPS6_PKS6_NS0_5tupleIJS9_S6_EEENSD_IJSA_SA_EEENS0_18inequality_wrapperIZN2at6native12_GLOBAL__N_124unique_dim_cuda_templateIfEESt5tupleIJNSH_6TensorESM_SM_EERKSM_lbbbEUlllE0_EEPmJS6_EEE10hipError_tPvRmT3_T4_T5_T6_T7_T9_mT8_P12ihipStream_tbDpT10_ENKUlT_T0_E_clISt17integral_constantIbLb0EES1C_EEDaS17_S18_EUlS17_E_NS1_11comp_targetILNS1_3genE3ELNS1_11target_archE908ELNS1_3gpuE7ELNS1_3repE0EEENS1_30default_config_static_selectorELNS0_4arch9wavefront6targetE1EEEvT1_: ; @_ZN7rocprim17ROCPRIM_400000_NS6detail17trampoline_kernelINS0_14default_configENS1_25partition_config_selectorILNS1_17partition_subalgoE8ElNS0_10empty_typeEbEEZZNS1_14partition_implILS5_8ELb0ES3_jPlPS6_PKS6_NS0_5tupleIJS9_S6_EEENSD_IJSA_SA_EEENS0_18inequality_wrapperIZN2at6native12_GLOBAL__N_124unique_dim_cuda_templateIfEESt5tupleIJNSH_6TensorESM_SM_EERKSM_lbbbEUlllE0_EEPmJS6_EEE10hipError_tPvRmT3_T4_T5_T6_T7_T9_mT8_P12ihipStream_tbDpT10_ENKUlT_T0_E_clISt17integral_constantIbLb0EES1C_EEDaS17_S18_EUlS17_E_NS1_11comp_targetILNS1_3genE3ELNS1_11target_archE908ELNS1_3gpuE7ELNS1_3repE0EEENS1_30default_config_static_selectorELNS0_4arch9wavefront6targetE1EEEvT1_
; %bb.0:
	.section	.rodata,"a",@progbits
	.p2align	6, 0x0
	.amdhsa_kernel _ZN7rocprim17ROCPRIM_400000_NS6detail17trampoline_kernelINS0_14default_configENS1_25partition_config_selectorILNS1_17partition_subalgoE8ElNS0_10empty_typeEbEEZZNS1_14partition_implILS5_8ELb0ES3_jPlPS6_PKS6_NS0_5tupleIJS9_S6_EEENSD_IJSA_SA_EEENS0_18inequality_wrapperIZN2at6native12_GLOBAL__N_124unique_dim_cuda_templateIfEESt5tupleIJNSH_6TensorESM_SM_EERKSM_lbbbEUlllE0_EEPmJS6_EEE10hipError_tPvRmT3_T4_T5_T6_T7_T9_mT8_P12ihipStream_tbDpT10_ENKUlT_T0_E_clISt17integral_constantIbLb0EES1C_EEDaS17_S18_EUlS17_E_NS1_11comp_targetILNS1_3genE3ELNS1_11target_archE908ELNS1_3gpuE7ELNS1_3repE0EEENS1_30default_config_static_selectorELNS0_4arch9wavefront6targetE1EEEvT1_
		.amdhsa_group_segment_fixed_size 0
		.amdhsa_private_segment_fixed_size 0
		.amdhsa_kernarg_size 120
		.amdhsa_user_sgpr_count 2
		.amdhsa_user_sgpr_dispatch_ptr 0
		.amdhsa_user_sgpr_queue_ptr 0
		.amdhsa_user_sgpr_kernarg_segment_ptr 1
		.amdhsa_user_sgpr_dispatch_id 0
		.amdhsa_user_sgpr_kernarg_preload_length 0
		.amdhsa_user_sgpr_kernarg_preload_offset 0
		.amdhsa_user_sgpr_private_segment_size 0
		.amdhsa_uses_dynamic_stack 0
		.amdhsa_enable_private_segment 0
		.amdhsa_system_sgpr_workgroup_id_x 1
		.amdhsa_system_sgpr_workgroup_id_y 0
		.amdhsa_system_sgpr_workgroup_id_z 0
		.amdhsa_system_sgpr_workgroup_info 0
		.amdhsa_system_vgpr_workitem_id 0
		.amdhsa_next_free_vgpr 1
		.amdhsa_next_free_sgpr 0
		.amdhsa_accum_offset 4
		.amdhsa_reserve_vcc 0
		.amdhsa_float_round_mode_32 0
		.amdhsa_float_round_mode_16_64 0
		.amdhsa_float_denorm_mode_32 3
		.amdhsa_float_denorm_mode_16_64 3
		.amdhsa_dx10_clamp 1
		.amdhsa_ieee_mode 1
		.amdhsa_fp16_overflow 0
		.amdhsa_tg_split 0
		.amdhsa_exception_fp_ieee_invalid_op 0
		.amdhsa_exception_fp_denorm_src 0
		.amdhsa_exception_fp_ieee_div_zero 0
		.amdhsa_exception_fp_ieee_overflow 0
		.amdhsa_exception_fp_ieee_underflow 0
		.amdhsa_exception_fp_ieee_inexact 0
		.amdhsa_exception_int_div_zero 0
	.end_amdhsa_kernel
	.section	.text._ZN7rocprim17ROCPRIM_400000_NS6detail17trampoline_kernelINS0_14default_configENS1_25partition_config_selectorILNS1_17partition_subalgoE8ElNS0_10empty_typeEbEEZZNS1_14partition_implILS5_8ELb0ES3_jPlPS6_PKS6_NS0_5tupleIJS9_S6_EEENSD_IJSA_SA_EEENS0_18inequality_wrapperIZN2at6native12_GLOBAL__N_124unique_dim_cuda_templateIfEESt5tupleIJNSH_6TensorESM_SM_EERKSM_lbbbEUlllE0_EEPmJS6_EEE10hipError_tPvRmT3_T4_T5_T6_T7_T9_mT8_P12ihipStream_tbDpT10_ENKUlT_T0_E_clISt17integral_constantIbLb0EES1C_EEDaS17_S18_EUlS17_E_NS1_11comp_targetILNS1_3genE3ELNS1_11target_archE908ELNS1_3gpuE7ELNS1_3repE0EEENS1_30default_config_static_selectorELNS0_4arch9wavefront6targetE1EEEvT1_,"axG",@progbits,_ZN7rocprim17ROCPRIM_400000_NS6detail17trampoline_kernelINS0_14default_configENS1_25partition_config_selectorILNS1_17partition_subalgoE8ElNS0_10empty_typeEbEEZZNS1_14partition_implILS5_8ELb0ES3_jPlPS6_PKS6_NS0_5tupleIJS9_S6_EEENSD_IJSA_SA_EEENS0_18inequality_wrapperIZN2at6native12_GLOBAL__N_124unique_dim_cuda_templateIfEESt5tupleIJNSH_6TensorESM_SM_EERKSM_lbbbEUlllE0_EEPmJS6_EEE10hipError_tPvRmT3_T4_T5_T6_T7_T9_mT8_P12ihipStream_tbDpT10_ENKUlT_T0_E_clISt17integral_constantIbLb0EES1C_EEDaS17_S18_EUlS17_E_NS1_11comp_targetILNS1_3genE3ELNS1_11target_archE908ELNS1_3gpuE7ELNS1_3repE0EEENS1_30default_config_static_selectorELNS0_4arch9wavefront6targetE1EEEvT1_,comdat
.Lfunc_end932:
	.size	_ZN7rocprim17ROCPRIM_400000_NS6detail17trampoline_kernelINS0_14default_configENS1_25partition_config_selectorILNS1_17partition_subalgoE8ElNS0_10empty_typeEbEEZZNS1_14partition_implILS5_8ELb0ES3_jPlPS6_PKS6_NS0_5tupleIJS9_S6_EEENSD_IJSA_SA_EEENS0_18inequality_wrapperIZN2at6native12_GLOBAL__N_124unique_dim_cuda_templateIfEESt5tupleIJNSH_6TensorESM_SM_EERKSM_lbbbEUlllE0_EEPmJS6_EEE10hipError_tPvRmT3_T4_T5_T6_T7_T9_mT8_P12ihipStream_tbDpT10_ENKUlT_T0_E_clISt17integral_constantIbLb0EES1C_EEDaS17_S18_EUlS17_E_NS1_11comp_targetILNS1_3genE3ELNS1_11target_archE908ELNS1_3gpuE7ELNS1_3repE0EEENS1_30default_config_static_selectorELNS0_4arch9wavefront6targetE1EEEvT1_, .Lfunc_end932-_ZN7rocprim17ROCPRIM_400000_NS6detail17trampoline_kernelINS0_14default_configENS1_25partition_config_selectorILNS1_17partition_subalgoE8ElNS0_10empty_typeEbEEZZNS1_14partition_implILS5_8ELb0ES3_jPlPS6_PKS6_NS0_5tupleIJS9_S6_EEENSD_IJSA_SA_EEENS0_18inequality_wrapperIZN2at6native12_GLOBAL__N_124unique_dim_cuda_templateIfEESt5tupleIJNSH_6TensorESM_SM_EERKSM_lbbbEUlllE0_EEPmJS6_EEE10hipError_tPvRmT3_T4_T5_T6_T7_T9_mT8_P12ihipStream_tbDpT10_ENKUlT_T0_E_clISt17integral_constantIbLb0EES1C_EEDaS17_S18_EUlS17_E_NS1_11comp_targetILNS1_3genE3ELNS1_11target_archE908ELNS1_3gpuE7ELNS1_3repE0EEENS1_30default_config_static_selectorELNS0_4arch9wavefront6targetE1EEEvT1_
                                        ; -- End function
	.set _ZN7rocprim17ROCPRIM_400000_NS6detail17trampoline_kernelINS0_14default_configENS1_25partition_config_selectorILNS1_17partition_subalgoE8ElNS0_10empty_typeEbEEZZNS1_14partition_implILS5_8ELb0ES3_jPlPS6_PKS6_NS0_5tupleIJS9_S6_EEENSD_IJSA_SA_EEENS0_18inequality_wrapperIZN2at6native12_GLOBAL__N_124unique_dim_cuda_templateIfEESt5tupleIJNSH_6TensorESM_SM_EERKSM_lbbbEUlllE0_EEPmJS6_EEE10hipError_tPvRmT3_T4_T5_T6_T7_T9_mT8_P12ihipStream_tbDpT10_ENKUlT_T0_E_clISt17integral_constantIbLb0EES1C_EEDaS17_S18_EUlS17_E_NS1_11comp_targetILNS1_3genE3ELNS1_11target_archE908ELNS1_3gpuE7ELNS1_3repE0EEENS1_30default_config_static_selectorELNS0_4arch9wavefront6targetE1EEEvT1_.num_vgpr, 0
	.set _ZN7rocprim17ROCPRIM_400000_NS6detail17trampoline_kernelINS0_14default_configENS1_25partition_config_selectorILNS1_17partition_subalgoE8ElNS0_10empty_typeEbEEZZNS1_14partition_implILS5_8ELb0ES3_jPlPS6_PKS6_NS0_5tupleIJS9_S6_EEENSD_IJSA_SA_EEENS0_18inequality_wrapperIZN2at6native12_GLOBAL__N_124unique_dim_cuda_templateIfEESt5tupleIJNSH_6TensorESM_SM_EERKSM_lbbbEUlllE0_EEPmJS6_EEE10hipError_tPvRmT3_T4_T5_T6_T7_T9_mT8_P12ihipStream_tbDpT10_ENKUlT_T0_E_clISt17integral_constantIbLb0EES1C_EEDaS17_S18_EUlS17_E_NS1_11comp_targetILNS1_3genE3ELNS1_11target_archE908ELNS1_3gpuE7ELNS1_3repE0EEENS1_30default_config_static_selectorELNS0_4arch9wavefront6targetE1EEEvT1_.num_agpr, 0
	.set _ZN7rocprim17ROCPRIM_400000_NS6detail17trampoline_kernelINS0_14default_configENS1_25partition_config_selectorILNS1_17partition_subalgoE8ElNS0_10empty_typeEbEEZZNS1_14partition_implILS5_8ELb0ES3_jPlPS6_PKS6_NS0_5tupleIJS9_S6_EEENSD_IJSA_SA_EEENS0_18inequality_wrapperIZN2at6native12_GLOBAL__N_124unique_dim_cuda_templateIfEESt5tupleIJNSH_6TensorESM_SM_EERKSM_lbbbEUlllE0_EEPmJS6_EEE10hipError_tPvRmT3_T4_T5_T6_T7_T9_mT8_P12ihipStream_tbDpT10_ENKUlT_T0_E_clISt17integral_constantIbLb0EES1C_EEDaS17_S18_EUlS17_E_NS1_11comp_targetILNS1_3genE3ELNS1_11target_archE908ELNS1_3gpuE7ELNS1_3repE0EEENS1_30default_config_static_selectorELNS0_4arch9wavefront6targetE1EEEvT1_.numbered_sgpr, 0
	.set _ZN7rocprim17ROCPRIM_400000_NS6detail17trampoline_kernelINS0_14default_configENS1_25partition_config_selectorILNS1_17partition_subalgoE8ElNS0_10empty_typeEbEEZZNS1_14partition_implILS5_8ELb0ES3_jPlPS6_PKS6_NS0_5tupleIJS9_S6_EEENSD_IJSA_SA_EEENS0_18inequality_wrapperIZN2at6native12_GLOBAL__N_124unique_dim_cuda_templateIfEESt5tupleIJNSH_6TensorESM_SM_EERKSM_lbbbEUlllE0_EEPmJS6_EEE10hipError_tPvRmT3_T4_T5_T6_T7_T9_mT8_P12ihipStream_tbDpT10_ENKUlT_T0_E_clISt17integral_constantIbLb0EES1C_EEDaS17_S18_EUlS17_E_NS1_11comp_targetILNS1_3genE3ELNS1_11target_archE908ELNS1_3gpuE7ELNS1_3repE0EEENS1_30default_config_static_selectorELNS0_4arch9wavefront6targetE1EEEvT1_.num_named_barrier, 0
	.set _ZN7rocprim17ROCPRIM_400000_NS6detail17trampoline_kernelINS0_14default_configENS1_25partition_config_selectorILNS1_17partition_subalgoE8ElNS0_10empty_typeEbEEZZNS1_14partition_implILS5_8ELb0ES3_jPlPS6_PKS6_NS0_5tupleIJS9_S6_EEENSD_IJSA_SA_EEENS0_18inequality_wrapperIZN2at6native12_GLOBAL__N_124unique_dim_cuda_templateIfEESt5tupleIJNSH_6TensorESM_SM_EERKSM_lbbbEUlllE0_EEPmJS6_EEE10hipError_tPvRmT3_T4_T5_T6_T7_T9_mT8_P12ihipStream_tbDpT10_ENKUlT_T0_E_clISt17integral_constantIbLb0EES1C_EEDaS17_S18_EUlS17_E_NS1_11comp_targetILNS1_3genE3ELNS1_11target_archE908ELNS1_3gpuE7ELNS1_3repE0EEENS1_30default_config_static_selectorELNS0_4arch9wavefront6targetE1EEEvT1_.private_seg_size, 0
	.set _ZN7rocprim17ROCPRIM_400000_NS6detail17trampoline_kernelINS0_14default_configENS1_25partition_config_selectorILNS1_17partition_subalgoE8ElNS0_10empty_typeEbEEZZNS1_14partition_implILS5_8ELb0ES3_jPlPS6_PKS6_NS0_5tupleIJS9_S6_EEENSD_IJSA_SA_EEENS0_18inequality_wrapperIZN2at6native12_GLOBAL__N_124unique_dim_cuda_templateIfEESt5tupleIJNSH_6TensorESM_SM_EERKSM_lbbbEUlllE0_EEPmJS6_EEE10hipError_tPvRmT3_T4_T5_T6_T7_T9_mT8_P12ihipStream_tbDpT10_ENKUlT_T0_E_clISt17integral_constantIbLb0EES1C_EEDaS17_S18_EUlS17_E_NS1_11comp_targetILNS1_3genE3ELNS1_11target_archE908ELNS1_3gpuE7ELNS1_3repE0EEENS1_30default_config_static_selectorELNS0_4arch9wavefront6targetE1EEEvT1_.uses_vcc, 0
	.set _ZN7rocprim17ROCPRIM_400000_NS6detail17trampoline_kernelINS0_14default_configENS1_25partition_config_selectorILNS1_17partition_subalgoE8ElNS0_10empty_typeEbEEZZNS1_14partition_implILS5_8ELb0ES3_jPlPS6_PKS6_NS0_5tupleIJS9_S6_EEENSD_IJSA_SA_EEENS0_18inequality_wrapperIZN2at6native12_GLOBAL__N_124unique_dim_cuda_templateIfEESt5tupleIJNSH_6TensorESM_SM_EERKSM_lbbbEUlllE0_EEPmJS6_EEE10hipError_tPvRmT3_T4_T5_T6_T7_T9_mT8_P12ihipStream_tbDpT10_ENKUlT_T0_E_clISt17integral_constantIbLb0EES1C_EEDaS17_S18_EUlS17_E_NS1_11comp_targetILNS1_3genE3ELNS1_11target_archE908ELNS1_3gpuE7ELNS1_3repE0EEENS1_30default_config_static_selectorELNS0_4arch9wavefront6targetE1EEEvT1_.uses_flat_scratch, 0
	.set _ZN7rocprim17ROCPRIM_400000_NS6detail17trampoline_kernelINS0_14default_configENS1_25partition_config_selectorILNS1_17partition_subalgoE8ElNS0_10empty_typeEbEEZZNS1_14partition_implILS5_8ELb0ES3_jPlPS6_PKS6_NS0_5tupleIJS9_S6_EEENSD_IJSA_SA_EEENS0_18inequality_wrapperIZN2at6native12_GLOBAL__N_124unique_dim_cuda_templateIfEESt5tupleIJNSH_6TensorESM_SM_EERKSM_lbbbEUlllE0_EEPmJS6_EEE10hipError_tPvRmT3_T4_T5_T6_T7_T9_mT8_P12ihipStream_tbDpT10_ENKUlT_T0_E_clISt17integral_constantIbLb0EES1C_EEDaS17_S18_EUlS17_E_NS1_11comp_targetILNS1_3genE3ELNS1_11target_archE908ELNS1_3gpuE7ELNS1_3repE0EEENS1_30default_config_static_selectorELNS0_4arch9wavefront6targetE1EEEvT1_.has_dyn_sized_stack, 0
	.set _ZN7rocprim17ROCPRIM_400000_NS6detail17trampoline_kernelINS0_14default_configENS1_25partition_config_selectorILNS1_17partition_subalgoE8ElNS0_10empty_typeEbEEZZNS1_14partition_implILS5_8ELb0ES3_jPlPS6_PKS6_NS0_5tupleIJS9_S6_EEENSD_IJSA_SA_EEENS0_18inequality_wrapperIZN2at6native12_GLOBAL__N_124unique_dim_cuda_templateIfEESt5tupleIJNSH_6TensorESM_SM_EERKSM_lbbbEUlllE0_EEPmJS6_EEE10hipError_tPvRmT3_T4_T5_T6_T7_T9_mT8_P12ihipStream_tbDpT10_ENKUlT_T0_E_clISt17integral_constantIbLb0EES1C_EEDaS17_S18_EUlS17_E_NS1_11comp_targetILNS1_3genE3ELNS1_11target_archE908ELNS1_3gpuE7ELNS1_3repE0EEENS1_30default_config_static_selectorELNS0_4arch9wavefront6targetE1EEEvT1_.has_recursion, 0
	.set _ZN7rocprim17ROCPRIM_400000_NS6detail17trampoline_kernelINS0_14default_configENS1_25partition_config_selectorILNS1_17partition_subalgoE8ElNS0_10empty_typeEbEEZZNS1_14partition_implILS5_8ELb0ES3_jPlPS6_PKS6_NS0_5tupleIJS9_S6_EEENSD_IJSA_SA_EEENS0_18inequality_wrapperIZN2at6native12_GLOBAL__N_124unique_dim_cuda_templateIfEESt5tupleIJNSH_6TensorESM_SM_EERKSM_lbbbEUlllE0_EEPmJS6_EEE10hipError_tPvRmT3_T4_T5_T6_T7_T9_mT8_P12ihipStream_tbDpT10_ENKUlT_T0_E_clISt17integral_constantIbLb0EES1C_EEDaS17_S18_EUlS17_E_NS1_11comp_targetILNS1_3genE3ELNS1_11target_archE908ELNS1_3gpuE7ELNS1_3repE0EEENS1_30default_config_static_selectorELNS0_4arch9wavefront6targetE1EEEvT1_.has_indirect_call, 0
	.section	.AMDGPU.csdata,"",@progbits
; Kernel info:
; codeLenInByte = 0
; TotalNumSgprs: 6
; NumVgprs: 0
; NumAgprs: 0
; TotalNumVgprs: 0
; ScratchSize: 0
; MemoryBound: 0
; FloatMode: 240
; IeeeMode: 1
; LDSByteSize: 0 bytes/workgroup (compile time only)
; SGPRBlocks: 0
; VGPRBlocks: 0
; NumSGPRsForWavesPerEU: 6
; NumVGPRsForWavesPerEU: 1
; AccumOffset: 4
; Occupancy: 8
; WaveLimiterHint : 0
; COMPUTE_PGM_RSRC2:SCRATCH_EN: 0
; COMPUTE_PGM_RSRC2:USER_SGPR: 2
; COMPUTE_PGM_RSRC2:TRAP_HANDLER: 0
; COMPUTE_PGM_RSRC2:TGID_X_EN: 1
; COMPUTE_PGM_RSRC2:TGID_Y_EN: 0
; COMPUTE_PGM_RSRC2:TGID_Z_EN: 0
; COMPUTE_PGM_RSRC2:TIDIG_COMP_CNT: 0
; COMPUTE_PGM_RSRC3_GFX90A:ACCUM_OFFSET: 0
; COMPUTE_PGM_RSRC3_GFX90A:TG_SPLIT: 0
	.section	.text._ZN7rocprim17ROCPRIM_400000_NS6detail17trampoline_kernelINS0_14default_configENS1_25partition_config_selectorILNS1_17partition_subalgoE8ElNS0_10empty_typeEbEEZZNS1_14partition_implILS5_8ELb0ES3_jPlPS6_PKS6_NS0_5tupleIJS9_S6_EEENSD_IJSA_SA_EEENS0_18inequality_wrapperIZN2at6native12_GLOBAL__N_124unique_dim_cuda_templateIfEESt5tupleIJNSH_6TensorESM_SM_EERKSM_lbbbEUlllE0_EEPmJS6_EEE10hipError_tPvRmT3_T4_T5_T6_T7_T9_mT8_P12ihipStream_tbDpT10_ENKUlT_T0_E_clISt17integral_constantIbLb0EES1C_EEDaS17_S18_EUlS17_E_NS1_11comp_targetILNS1_3genE2ELNS1_11target_archE906ELNS1_3gpuE6ELNS1_3repE0EEENS1_30default_config_static_selectorELNS0_4arch9wavefront6targetE1EEEvT1_,"axG",@progbits,_ZN7rocprim17ROCPRIM_400000_NS6detail17trampoline_kernelINS0_14default_configENS1_25partition_config_selectorILNS1_17partition_subalgoE8ElNS0_10empty_typeEbEEZZNS1_14partition_implILS5_8ELb0ES3_jPlPS6_PKS6_NS0_5tupleIJS9_S6_EEENSD_IJSA_SA_EEENS0_18inequality_wrapperIZN2at6native12_GLOBAL__N_124unique_dim_cuda_templateIfEESt5tupleIJNSH_6TensorESM_SM_EERKSM_lbbbEUlllE0_EEPmJS6_EEE10hipError_tPvRmT3_T4_T5_T6_T7_T9_mT8_P12ihipStream_tbDpT10_ENKUlT_T0_E_clISt17integral_constantIbLb0EES1C_EEDaS17_S18_EUlS17_E_NS1_11comp_targetILNS1_3genE2ELNS1_11target_archE906ELNS1_3gpuE6ELNS1_3repE0EEENS1_30default_config_static_selectorELNS0_4arch9wavefront6targetE1EEEvT1_,comdat
	.globl	_ZN7rocprim17ROCPRIM_400000_NS6detail17trampoline_kernelINS0_14default_configENS1_25partition_config_selectorILNS1_17partition_subalgoE8ElNS0_10empty_typeEbEEZZNS1_14partition_implILS5_8ELb0ES3_jPlPS6_PKS6_NS0_5tupleIJS9_S6_EEENSD_IJSA_SA_EEENS0_18inequality_wrapperIZN2at6native12_GLOBAL__N_124unique_dim_cuda_templateIfEESt5tupleIJNSH_6TensorESM_SM_EERKSM_lbbbEUlllE0_EEPmJS6_EEE10hipError_tPvRmT3_T4_T5_T6_T7_T9_mT8_P12ihipStream_tbDpT10_ENKUlT_T0_E_clISt17integral_constantIbLb0EES1C_EEDaS17_S18_EUlS17_E_NS1_11comp_targetILNS1_3genE2ELNS1_11target_archE906ELNS1_3gpuE6ELNS1_3repE0EEENS1_30default_config_static_selectorELNS0_4arch9wavefront6targetE1EEEvT1_ ; -- Begin function _ZN7rocprim17ROCPRIM_400000_NS6detail17trampoline_kernelINS0_14default_configENS1_25partition_config_selectorILNS1_17partition_subalgoE8ElNS0_10empty_typeEbEEZZNS1_14partition_implILS5_8ELb0ES3_jPlPS6_PKS6_NS0_5tupleIJS9_S6_EEENSD_IJSA_SA_EEENS0_18inequality_wrapperIZN2at6native12_GLOBAL__N_124unique_dim_cuda_templateIfEESt5tupleIJNSH_6TensorESM_SM_EERKSM_lbbbEUlllE0_EEPmJS6_EEE10hipError_tPvRmT3_T4_T5_T6_T7_T9_mT8_P12ihipStream_tbDpT10_ENKUlT_T0_E_clISt17integral_constantIbLb0EES1C_EEDaS17_S18_EUlS17_E_NS1_11comp_targetILNS1_3genE2ELNS1_11target_archE906ELNS1_3gpuE6ELNS1_3repE0EEENS1_30default_config_static_selectorELNS0_4arch9wavefront6targetE1EEEvT1_
	.p2align	8
	.type	_ZN7rocprim17ROCPRIM_400000_NS6detail17trampoline_kernelINS0_14default_configENS1_25partition_config_selectorILNS1_17partition_subalgoE8ElNS0_10empty_typeEbEEZZNS1_14partition_implILS5_8ELb0ES3_jPlPS6_PKS6_NS0_5tupleIJS9_S6_EEENSD_IJSA_SA_EEENS0_18inequality_wrapperIZN2at6native12_GLOBAL__N_124unique_dim_cuda_templateIfEESt5tupleIJNSH_6TensorESM_SM_EERKSM_lbbbEUlllE0_EEPmJS6_EEE10hipError_tPvRmT3_T4_T5_T6_T7_T9_mT8_P12ihipStream_tbDpT10_ENKUlT_T0_E_clISt17integral_constantIbLb0EES1C_EEDaS17_S18_EUlS17_E_NS1_11comp_targetILNS1_3genE2ELNS1_11target_archE906ELNS1_3gpuE6ELNS1_3repE0EEENS1_30default_config_static_selectorELNS0_4arch9wavefront6targetE1EEEvT1_,@function
_ZN7rocprim17ROCPRIM_400000_NS6detail17trampoline_kernelINS0_14default_configENS1_25partition_config_selectorILNS1_17partition_subalgoE8ElNS0_10empty_typeEbEEZZNS1_14partition_implILS5_8ELb0ES3_jPlPS6_PKS6_NS0_5tupleIJS9_S6_EEENSD_IJSA_SA_EEENS0_18inequality_wrapperIZN2at6native12_GLOBAL__N_124unique_dim_cuda_templateIfEESt5tupleIJNSH_6TensorESM_SM_EERKSM_lbbbEUlllE0_EEPmJS6_EEE10hipError_tPvRmT3_T4_T5_T6_T7_T9_mT8_P12ihipStream_tbDpT10_ENKUlT_T0_E_clISt17integral_constantIbLb0EES1C_EEDaS17_S18_EUlS17_E_NS1_11comp_targetILNS1_3genE2ELNS1_11target_archE906ELNS1_3gpuE6ELNS1_3repE0EEENS1_30default_config_static_selectorELNS0_4arch9wavefront6targetE1EEEvT1_: ; @_ZN7rocprim17ROCPRIM_400000_NS6detail17trampoline_kernelINS0_14default_configENS1_25partition_config_selectorILNS1_17partition_subalgoE8ElNS0_10empty_typeEbEEZZNS1_14partition_implILS5_8ELb0ES3_jPlPS6_PKS6_NS0_5tupleIJS9_S6_EEENSD_IJSA_SA_EEENS0_18inequality_wrapperIZN2at6native12_GLOBAL__N_124unique_dim_cuda_templateIfEESt5tupleIJNSH_6TensorESM_SM_EERKSM_lbbbEUlllE0_EEPmJS6_EEE10hipError_tPvRmT3_T4_T5_T6_T7_T9_mT8_P12ihipStream_tbDpT10_ENKUlT_T0_E_clISt17integral_constantIbLb0EES1C_EEDaS17_S18_EUlS17_E_NS1_11comp_targetILNS1_3genE2ELNS1_11target_archE906ELNS1_3gpuE6ELNS1_3repE0EEENS1_30default_config_static_selectorELNS0_4arch9wavefront6targetE1EEEvT1_
; %bb.0:
	.section	.rodata,"a",@progbits
	.p2align	6, 0x0
	.amdhsa_kernel _ZN7rocprim17ROCPRIM_400000_NS6detail17trampoline_kernelINS0_14default_configENS1_25partition_config_selectorILNS1_17partition_subalgoE8ElNS0_10empty_typeEbEEZZNS1_14partition_implILS5_8ELb0ES3_jPlPS6_PKS6_NS0_5tupleIJS9_S6_EEENSD_IJSA_SA_EEENS0_18inequality_wrapperIZN2at6native12_GLOBAL__N_124unique_dim_cuda_templateIfEESt5tupleIJNSH_6TensorESM_SM_EERKSM_lbbbEUlllE0_EEPmJS6_EEE10hipError_tPvRmT3_T4_T5_T6_T7_T9_mT8_P12ihipStream_tbDpT10_ENKUlT_T0_E_clISt17integral_constantIbLb0EES1C_EEDaS17_S18_EUlS17_E_NS1_11comp_targetILNS1_3genE2ELNS1_11target_archE906ELNS1_3gpuE6ELNS1_3repE0EEENS1_30default_config_static_selectorELNS0_4arch9wavefront6targetE1EEEvT1_
		.amdhsa_group_segment_fixed_size 0
		.amdhsa_private_segment_fixed_size 0
		.amdhsa_kernarg_size 120
		.amdhsa_user_sgpr_count 2
		.amdhsa_user_sgpr_dispatch_ptr 0
		.amdhsa_user_sgpr_queue_ptr 0
		.amdhsa_user_sgpr_kernarg_segment_ptr 1
		.amdhsa_user_sgpr_dispatch_id 0
		.amdhsa_user_sgpr_kernarg_preload_length 0
		.amdhsa_user_sgpr_kernarg_preload_offset 0
		.amdhsa_user_sgpr_private_segment_size 0
		.amdhsa_uses_dynamic_stack 0
		.amdhsa_enable_private_segment 0
		.amdhsa_system_sgpr_workgroup_id_x 1
		.amdhsa_system_sgpr_workgroup_id_y 0
		.amdhsa_system_sgpr_workgroup_id_z 0
		.amdhsa_system_sgpr_workgroup_info 0
		.amdhsa_system_vgpr_workitem_id 0
		.amdhsa_next_free_vgpr 1
		.amdhsa_next_free_sgpr 0
		.amdhsa_accum_offset 4
		.amdhsa_reserve_vcc 0
		.amdhsa_float_round_mode_32 0
		.amdhsa_float_round_mode_16_64 0
		.amdhsa_float_denorm_mode_32 3
		.amdhsa_float_denorm_mode_16_64 3
		.amdhsa_dx10_clamp 1
		.amdhsa_ieee_mode 1
		.amdhsa_fp16_overflow 0
		.amdhsa_tg_split 0
		.amdhsa_exception_fp_ieee_invalid_op 0
		.amdhsa_exception_fp_denorm_src 0
		.amdhsa_exception_fp_ieee_div_zero 0
		.amdhsa_exception_fp_ieee_overflow 0
		.amdhsa_exception_fp_ieee_underflow 0
		.amdhsa_exception_fp_ieee_inexact 0
		.amdhsa_exception_int_div_zero 0
	.end_amdhsa_kernel
	.section	.text._ZN7rocprim17ROCPRIM_400000_NS6detail17trampoline_kernelINS0_14default_configENS1_25partition_config_selectorILNS1_17partition_subalgoE8ElNS0_10empty_typeEbEEZZNS1_14partition_implILS5_8ELb0ES3_jPlPS6_PKS6_NS0_5tupleIJS9_S6_EEENSD_IJSA_SA_EEENS0_18inequality_wrapperIZN2at6native12_GLOBAL__N_124unique_dim_cuda_templateIfEESt5tupleIJNSH_6TensorESM_SM_EERKSM_lbbbEUlllE0_EEPmJS6_EEE10hipError_tPvRmT3_T4_T5_T6_T7_T9_mT8_P12ihipStream_tbDpT10_ENKUlT_T0_E_clISt17integral_constantIbLb0EES1C_EEDaS17_S18_EUlS17_E_NS1_11comp_targetILNS1_3genE2ELNS1_11target_archE906ELNS1_3gpuE6ELNS1_3repE0EEENS1_30default_config_static_selectorELNS0_4arch9wavefront6targetE1EEEvT1_,"axG",@progbits,_ZN7rocprim17ROCPRIM_400000_NS6detail17trampoline_kernelINS0_14default_configENS1_25partition_config_selectorILNS1_17partition_subalgoE8ElNS0_10empty_typeEbEEZZNS1_14partition_implILS5_8ELb0ES3_jPlPS6_PKS6_NS0_5tupleIJS9_S6_EEENSD_IJSA_SA_EEENS0_18inequality_wrapperIZN2at6native12_GLOBAL__N_124unique_dim_cuda_templateIfEESt5tupleIJNSH_6TensorESM_SM_EERKSM_lbbbEUlllE0_EEPmJS6_EEE10hipError_tPvRmT3_T4_T5_T6_T7_T9_mT8_P12ihipStream_tbDpT10_ENKUlT_T0_E_clISt17integral_constantIbLb0EES1C_EEDaS17_S18_EUlS17_E_NS1_11comp_targetILNS1_3genE2ELNS1_11target_archE906ELNS1_3gpuE6ELNS1_3repE0EEENS1_30default_config_static_selectorELNS0_4arch9wavefront6targetE1EEEvT1_,comdat
.Lfunc_end933:
	.size	_ZN7rocprim17ROCPRIM_400000_NS6detail17trampoline_kernelINS0_14default_configENS1_25partition_config_selectorILNS1_17partition_subalgoE8ElNS0_10empty_typeEbEEZZNS1_14partition_implILS5_8ELb0ES3_jPlPS6_PKS6_NS0_5tupleIJS9_S6_EEENSD_IJSA_SA_EEENS0_18inequality_wrapperIZN2at6native12_GLOBAL__N_124unique_dim_cuda_templateIfEESt5tupleIJNSH_6TensorESM_SM_EERKSM_lbbbEUlllE0_EEPmJS6_EEE10hipError_tPvRmT3_T4_T5_T6_T7_T9_mT8_P12ihipStream_tbDpT10_ENKUlT_T0_E_clISt17integral_constantIbLb0EES1C_EEDaS17_S18_EUlS17_E_NS1_11comp_targetILNS1_3genE2ELNS1_11target_archE906ELNS1_3gpuE6ELNS1_3repE0EEENS1_30default_config_static_selectorELNS0_4arch9wavefront6targetE1EEEvT1_, .Lfunc_end933-_ZN7rocprim17ROCPRIM_400000_NS6detail17trampoline_kernelINS0_14default_configENS1_25partition_config_selectorILNS1_17partition_subalgoE8ElNS0_10empty_typeEbEEZZNS1_14partition_implILS5_8ELb0ES3_jPlPS6_PKS6_NS0_5tupleIJS9_S6_EEENSD_IJSA_SA_EEENS0_18inequality_wrapperIZN2at6native12_GLOBAL__N_124unique_dim_cuda_templateIfEESt5tupleIJNSH_6TensorESM_SM_EERKSM_lbbbEUlllE0_EEPmJS6_EEE10hipError_tPvRmT3_T4_T5_T6_T7_T9_mT8_P12ihipStream_tbDpT10_ENKUlT_T0_E_clISt17integral_constantIbLb0EES1C_EEDaS17_S18_EUlS17_E_NS1_11comp_targetILNS1_3genE2ELNS1_11target_archE906ELNS1_3gpuE6ELNS1_3repE0EEENS1_30default_config_static_selectorELNS0_4arch9wavefront6targetE1EEEvT1_
                                        ; -- End function
	.set _ZN7rocprim17ROCPRIM_400000_NS6detail17trampoline_kernelINS0_14default_configENS1_25partition_config_selectorILNS1_17partition_subalgoE8ElNS0_10empty_typeEbEEZZNS1_14partition_implILS5_8ELb0ES3_jPlPS6_PKS6_NS0_5tupleIJS9_S6_EEENSD_IJSA_SA_EEENS0_18inequality_wrapperIZN2at6native12_GLOBAL__N_124unique_dim_cuda_templateIfEESt5tupleIJNSH_6TensorESM_SM_EERKSM_lbbbEUlllE0_EEPmJS6_EEE10hipError_tPvRmT3_T4_T5_T6_T7_T9_mT8_P12ihipStream_tbDpT10_ENKUlT_T0_E_clISt17integral_constantIbLb0EES1C_EEDaS17_S18_EUlS17_E_NS1_11comp_targetILNS1_3genE2ELNS1_11target_archE906ELNS1_3gpuE6ELNS1_3repE0EEENS1_30default_config_static_selectorELNS0_4arch9wavefront6targetE1EEEvT1_.num_vgpr, 0
	.set _ZN7rocprim17ROCPRIM_400000_NS6detail17trampoline_kernelINS0_14default_configENS1_25partition_config_selectorILNS1_17partition_subalgoE8ElNS0_10empty_typeEbEEZZNS1_14partition_implILS5_8ELb0ES3_jPlPS6_PKS6_NS0_5tupleIJS9_S6_EEENSD_IJSA_SA_EEENS0_18inequality_wrapperIZN2at6native12_GLOBAL__N_124unique_dim_cuda_templateIfEESt5tupleIJNSH_6TensorESM_SM_EERKSM_lbbbEUlllE0_EEPmJS6_EEE10hipError_tPvRmT3_T4_T5_T6_T7_T9_mT8_P12ihipStream_tbDpT10_ENKUlT_T0_E_clISt17integral_constantIbLb0EES1C_EEDaS17_S18_EUlS17_E_NS1_11comp_targetILNS1_3genE2ELNS1_11target_archE906ELNS1_3gpuE6ELNS1_3repE0EEENS1_30default_config_static_selectorELNS0_4arch9wavefront6targetE1EEEvT1_.num_agpr, 0
	.set _ZN7rocprim17ROCPRIM_400000_NS6detail17trampoline_kernelINS0_14default_configENS1_25partition_config_selectorILNS1_17partition_subalgoE8ElNS0_10empty_typeEbEEZZNS1_14partition_implILS5_8ELb0ES3_jPlPS6_PKS6_NS0_5tupleIJS9_S6_EEENSD_IJSA_SA_EEENS0_18inequality_wrapperIZN2at6native12_GLOBAL__N_124unique_dim_cuda_templateIfEESt5tupleIJNSH_6TensorESM_SM_EERKSM_lbbbEUlllE0_EEPmJS6_EEE10hipError_tPvRmT3_T4_T5_T6_T7_T9_mT8_P12ihipStream_tbDpT10_ENKUlT_T0_E_clISt17integral_constantIbLb0EES1C_EEDaS17_S18_EUlS17_E_NS1_11comp_targetILNS1_3genE2ELNS1_11target_archE906ELNS1_3gpuE6ELNS1_3repE0EEENS1_30default_config_static_selectorELNS0_4arch9wavefront6targetE1EEEvT1_.numbered_sgpr, 0
	.set _ZN7rocprim17ROCPRIM_400000_NS6detail17trampoline_kernelINS0_14default_configENS1_25partition_config_selectorILNS1_17partition_subalgoE8ElNS0_10empty_typeEbEEZZNS1_14partition_implILS5_8ELb0ES3_jPlPS6_PKS6_NS0_5tupleIJS9_S6_EEENSD_IJSA_SA_EEENS0_18inequality_wrapperIZN2at6native12_GLOBAL__N_124unique_dim_cuda_templateIfEESt5tupleIJNSH_6TensorESM_SM_EERKSM_lbbbEUlllE0_EEPmJS6_EEE10hipError_tPvRmT3_T4_T5_T6_T7_T9_mT8_P12ihipStream_tbDpT10_ENKUlT_T0_E_clISt17integral_constantIbLb0EES1C_EEDaS17_S18_EUlS17_E_NS1_11comp_targetILNS1_3genE2ELNS1_11target_archE906ELNS1_3gpuE6ELNS1_3repE0EEENS1_30default_config_static_selectorELNS0_4arch9wavefront6targetE1EEEvT1_.num_named_barrier, 0
	.set _ZN7rocprim17ROCPRIM_400000_NS6detail17trampoline_kernelINS0_14default_configENS1_25partition_config_selectorILNS1_17partition_subalgoE8ElNS0_10empty_typeEbEEZZNS1_14partition_implILS5_8ELb0ES3_jPlPS6_PKS6_NS0_5tupleIJS9_S6_EEENSD_IJSA_SA_EEENS0_18inequality_wrapperIZN2at6native12_GLOBAL__N_124unique_dim_cuda_templateIfEESt5tupleIJNSH_6TensorESM_SM_EERKSM_lbbbEUlllE0_EEPmJS6_EEE10hipError_tPvRmT3_T4_T5_T6_T7_T9_mT8_P12ihipStream_tbDpT10_ENKUlT_T0_E_clISt17integral_constantIbLb0EES1C_EEDaS17_S18_EUlS17_E_NS1_11comp_targetILNS1_3genE2ELNS1_11target_archE906ELNS1_3gpuE6ELNS1_3repE0EEENS1_30default_config_static_selectorELNS0_4arch9wavefront6targetE1EEEvT1_.private_seg_size, 0
	.set _ZN7rocprim17ROCPRIM_400000_NS6detail17trampoline_kernelINS0_14default_configENS1_25partition_config_selectorILNS1_17partition_subalgoE8ElNS0_10empty_typeEbEEZZNS1_14partition_implILS5_8ELb0ES3_jPlPS6_PKS6_NS0_5tupleIJS9_S6_EEENSD_IJSA_SA_EEENS0_18inequality_wrapperIZN2at6native12_GLOBAL__N_124unique_dim_cuda_templateIfEESt5tupleIJNSH_6TensorESM_SM_EERKSM_lbbbEUlllE0_EEPmJS6_EEE10hipError_tPvRmT3_T4_T5_T6_T7_T9_mT8_P12ihipStream_tbDpT10_ENKUlT_T0_E_clISt17integral_constantIbLb0EES1C_EEDaS17_S18_EUlS17_E_NS1_11comp_targetILNS1_3genE2ELNS1_11target_archE906ELNS1_3gpuE6ELNS1_3repE0EEENS1_30default_config_static_selectorELNS0_4arch9wavefront6targetE1EEEvT1_.uses_vcc, 0
	.set _ZN7rocprim17ROCPRIM_400000_NS6detail17trampoline_kernelINS0_14default_configENS1_25partition_config_selectorILNS1_17partition_subalgoE8ElNS0_10empty_typeEbEEZZNS1_14partition_implILS5_8ELb0ES3_jPlPS6_PKS6_NS0_5tupleIJS9_S6_EEENSD_IJSA_SA_EEENS0_18inequality_wrapperIZN2at6native12_GLOBAL__N_124unique_dim_cuda_templateIfEESt5tupleIJNSH_6TensorESM_SM_EERKSM_lbbbEUlllE0_EEPmJS6_EEE10hipError_tPvRmT3_T4_T5_T6_T7_T9_mT8_P12ihipStream_tbDpT10_ENKUlT_T0_E_clISt17integral_constantIbLb0EES1C_EEDaS17_S18_EUlS17_E_NS1_11comp_targetILNS1_3genE2ELNS1_11target_archE906ELNS1_3gpuE6ELNS1_3repE0EEENS1_30default_config_static_selectorELNS0_4arch9wavefront6targetE1EEEvT1_.uses_flat_scratch, 0
	.set _ZN7rocprim17ROCPRIM_400000_NS6detail17trampoline_kernelINS0_14default_configENS1_25partition_config_selectorILNS1_17partition_subalgoE8ElNS0_10empty_typeEbEEZZNS1_14partition_implILS5_8ELb0ES3_jPlPS6_PKS6_NS0_5tupleIJS9_S6_EEENSD_IJSA_SA_EEENS0_18inequality_wrapperIZN2at6native12_GLOBAL__N_124unique_dim_cuda_templateIfEESt5tupleIJNSH_6TensorESM_SM_EERKSM_lbbbEUlllE0_EEPmJS6_EEE10hipError_tPvRmT3_T4_T5_T6_T7_T9_mT8_P12ihipStream_tbDpT10_ENKUlT_T0_E_clISt17integral_constantIbLb0EES1C_EEDaS17_S18_EUlS17_E_NS1_11comp_targetILNS1_3genE2ELNS1_11target_archE906ELNS1_3gpuE6ELNS1_3repE0EEENS1_30default_config_static_selectorELNS0_4arch9wavefront6targetE1EEEvT1_.has_dyn_sized_stack, 0
	.set _ZN7rocprim17ROCPRIM_400000_NS6detail17trampoline_kernelINS0_14default_configENS1_25partition_config_selectorILNS1_17partition_subalgoE8ElNS0_10empty_typeEbEEZZNS1_14partition_implILS5_8ELb0ES3_jPlPS6_PKS6_NS0_5tupleIJS9_S6_EEENSD_IJSA_SA_EEENS0_18inequality_wrapperIZN2at6native12_GLOBAL__N_124unique_dim_cuda_templateIfEESt5tupleIJNSH_6TensorESM_SM_EERKSM_lbbbEUlllE0_EEPmJS6_EEE10hipError_tPvRmT3_T4_T5_T6_T7_T9_mT8_P12ihipStream_tbDpT10_ENKUlT_T0_E_clISt17integral_constantIbLb0EES1C_EEDaS17_S18_EUlS17_E_NS1_11comp_targetILNS1_3genE2ELNS1_11target_archE906ELNS1_3gpuE6ELNS1_3repE0EEENS1_30default_config_static_selectorELNS0_4arch9wavefront6targetE1EEEvT1_.has_recursion, 0
	.set _ZN7rocprim17ROCPRIM_400000_NS6detail17trampoline_kernelINS0_14default_configENS1_25partition_config_selectorILNS1_17partition_subalgoE8ElNS0_10empty_typeEbEEZZNS1_14partition_implILS5_8ELb0ES3_jPlPS6_PKS6_NS0_5tupleIJS9_S6_EEENSD_IJSA_SA_EEENS0_18inequality_wrapperIZN2at6native12_GLOBAL__N_124unique_dim_cuda_templateIfEESt5tupleIJNSH_6TensorESM_SM_EERKSM_lbbbEUlllE0_EEPmJS6_EEE10hipError_tPvRmT3_T4_T5_T6_T7_T9_mT8_P12ihipStream_tbDpT10_ENKUlT_T0_E_clISt17integral_constantIbLb0EES1C_EEDaS17_S18_EUlS17_E_NS1_11comp_targetILNS1_3genE2ELNS1_11target_archE906ELNS1_3gpuE6ELNS1_3repE0EEENS1_30default_config_static_selectorELNS0_4arch9wavefront6targetE1EEEvT1_.has_indirect_call, 0
	.section	.AMDGPU.csdata,"",@progbits
; Kernel info:
; codeLenInByte = 0
; TotalNumSgprs: 6
; NumVgprs: 0
; NumAgprs: 0
; TotalNumVgprs: 0
; ScratchSize: 0
; MemoryBound: 0
; FloatMode: 240
; IeeeMode: 1
; LDSByteSize: 0 bytes/workgroup (compile time only)
; SGPRBlocks: 0
; VGPRBlocks: 0
; NumSGPRsForWavesPerEU: 6
; NumVGPRsForWavesPerEU: 1
; AccumOffset: 4
; Occupancy: 8
; WaveLimiterHint : 0
; COMPUTE_PGM_RSRC2:SCRATCH_EN: 0
; COMPUTE_PGM_RSRC2:USER_SGPR: 2
; COMPUTE_PGM_RSRC2:TRAP_HANDLER: 0
; COMPUTE_PGM_RSRC2:TGID_X_EN: 1
; COMPUTE_PGM_RSRC2:TGID_Y_EN: 0
; COMPUTE_PGM_RSRC2:TGID_Z_EN: 0
; COMPUTE_PGM_RSRC2:TIDIG_COMP_CNT: 0
; COMPUTE_PGM_RSRC3_GFX90A:ACCUM_OFFSET: 0
; COMPUTE_PGM_RSRC3_GFX90A:TG_SPLIT: 0
	.section	.text._ZN7rocprim17ROCPRIM_400000_NS6detail17trampoline_kernelINS0_14default_configENS1_25partition_config_selectorILNS1_17partition_subalgoE8ElNS0_10empty_typeEbEEZZNS1_14partition_implILS5_8ELb0ES3_jPlPS6_PKS6_NS0_5tupleIJS9_S6_EEENSD_IJSA_SA_EEENS0_18inequality_wrapperIZN2at6native12_GLOBAL__N_124unique_dim_cuda_templateIfEESt5tupleIJNSH_6TensorESM_SM_EERKSM_lbbbEUlllE0_EEPmJS6_EEE10hipError_tPvRmT3_T4_T5_T6_T7_T9_mT8_P12ihipStream_tbDpT10_ENKUlT_T0_E_clISt17integral_constantIbLb0EES1C_EEDaS17_S18_EUlS17_E_NS1_11comp_targetILNS1_3genE10ELNS1_11target_archE1200ELNS1_3gpuE4ELNS1_3repE0EEENS1_30default_config_static_selectorELNS0_4arch9wavefront6targetE1EEEvT1_,"axG",@progbits,_ZN7rocprim17ROCPRIM_400000_NS6detail17trampoline_kernelINS0_14default_configENS1_25partition_config_selectorILNS1_17partition_subalgoE8ElNS0_10empty_typeEbEEZZNS1_14partition_implILS5_8ELb0ES3_jPlPS6_PKS6_NS0_5tupleIJS9_S6_EEENSD_IJSA_SA_EEENS0_18inequality_wrapperIZN2at6native12_GLOBAL__N_124unique_dim_cuda_templateIfEESt5tupleIJNSH_6TensorESM_SM_EERKSM_lbbbEUlllE0_EEPmJS6_EEE10hipError_tPvRmT3_T4_T5_T6_T7_T9_mT8_P12ihipStream_tbDpT10_ENKUlT_T0_E_clISt17integral_constantIbLb0EES1C_EEDaS17_S18_EUlS17_E_NS1_11comp_targetILNS1_3genE10ELNS1_11target_archE1200ELNS1_3gpuE4ELNS1_3repE0EEENS1_30default_config_static_selectorELNS0_4arch9wavefront6targetE1EEEvT1_,comdat
	.globl	_ZN7rocprim17ROCPRIM_400000_NS6detail17trampoline_kernelINS0_14default_configENS1_25partition_config_selectorILNS1_17partition_subalgoE8ElNS0_10empty_typeEbEEZZNS1_14partition_implILS5_8ELb0ES3_jPlPS6_PKS6_NS0_5tupleIJS9_S6_EEENSD_IJSA_SA_EEENS0_18inequality_wrapperIZN2at6native12_GLOBAL__N_124unique_dim_cuda_templateIfEESt5tupleIJNSH_6TensorESM_SM_EERKSM_lbbbEUlllE0_EEPmJS6_EEE10hipError_tPvRmT3_T4_T5_T6_T7_T9_mT8_P12ihipStream_tbDpT10_ENKUlT_T0_E_clISt17integral_constantIbLb0EES1C_EEDaS17_S18_EUlS17_E_NS1_11comp_targetILNS1_3genE10ELNS1_11target_archE1200ELNS1_3gpuE4ELNS1_3repE0EEENS1_30default_config_static_selectorELNS0_4arch9wavefront6targetE1EEEvT1_ ; -- Begin function _ZN7rocprim17ROCPRIM_400000_NS6detail17trampoline_kernelINS0_14default_configENS1_25partition_config_selectorILNS1_17partition_subalgoE8ElNS0_10empty_typeEbEEZZNS1_14partition_implILS5_8ELb0ES3_jPlPS6_PKS6_NS0_5tupleIJS9_S6_EEENSD_IJSA_SA_EEENS0_18inequality_wrapperIZN2at6native12_GLOBAL__N_124unique_dim_cuda_templateIfEESt5tupleIJNSH_6TensorESM_SM_EERKSM_lbbbEUlllE0_EEPmJS6_EEE10hipError_tPvRmT3_T4_T5_T6_T7_T9_mT8_P12ihipStream_tbDpT10_ENKUlT_T0_E_clISt17integral_constantIbLb0EES1C_EEDaS17_S18_EUlS17_E_NS1_11comp_targetILNS1_3genE10ELNS1_11target_archE1200ELNS1_3gpuE4ELNS1_3repE0EEENS1_30default_config_static_selectorELNS0_4arch9wavefront6targetE1EEEvT1_
	.p2align	8
	.type	_ZN7rocprim17ROCPRIM_400000_NS6detail17trampoline_kernelINS0_14default_configENS1_25partition_config_selectorILNS1_17partition_subalgoE8ElNS0_10empty_typeEbEEZZNS1_14partition_implILS5_8ELb0ES3_jPlPS6_PKS6_NS0_5tupleIJS9_S6_EEENSD_IJSA_SA_EEENS0_18inequality_wrapperIZN2at6native12_GLOBAL__N_124unique_dim_cuda_templateIfEESt5tupleIJNSH_6TensorESM_SM_EERKSM_lbbbEUlllE0_EEPmJS6_EEE10hipError_tPvRmT3_T4_T5_T6_T7_T9_mT8_P12ihipStream_tbDpT10_ENKUlT_T0_E_clISt17integral_constantIbLb0EES1C_EEDaS17_S18_EUlS17_E_NS1_11comp_targetILNS1_3genE10ELNS1_11target_archE1200ELNS1_3gpuE4ELNS1_3repE0EEENS1_30default_config_static_selectorELNS0_4arch9wavefront6targetE1EEEvT1_,@function
_ZN7rocprim17ROCPRIM_400000_NS6detail17trampoline_kernelINS0_14default_configENS1_25partition_config_selectorILNS1_17partition_subalgoE8ElNS0_10empty_typeEbEEZZNS1_14partition_implILS5_8ELb0ES3_jPlPS6_PKS6_NS0_5tupleIJS9_S6_EEENSD_IJSA_SA_EEENS0_18inequality_wrapperIZN2at6native12_GLOBAL__N_124unique_dim_cuda_templateIfEESt5tupleIJNSH_6TensorESM_SM_EERKSM_lbbbEUlllE0_EEPmJS6_EEE10hipError_tPvRmT3_T4_T5_T6_T7_T9_mT8_P12ihipStream_tbDpT10_ENKUlT_T0_E_clISt17integral_constantIbLb0EES1C_EEDaS17_S18_EUlS17_E_NS1_11comp_targetILNS1_3genE10ELNS1_11target_archE1200ELNS1_3gpuE4ELNS1_3repE0EEENS1_30default_config_static_selectorELNS0_4arch9wavefront6targetE1EEEvT1_: ; @_ZN7rocprim17ROCPRIM_400000_NS6detail17trampoline_kernelINS0_14default_configENS1_25partition_config_selectorILNS1_17partition_subalgoE8ElNS0_10empty_typeEbEEZZNS1_14partition_implILS5_8ELb0ES3_jPlPS6_PKS6_NS0_5tupleIJS9_S6_EEENSD_IJSA_SA_EEENS0_18inequality_wrapperIZN2at6native12_GLOBAL__N_124unique_dim_cuda_templateIfEESt5tupleIJNSH_6TensorESM_SM_EERKSM_lbbbEUlllE0_EEPmJS6_EEE10hipError_tPvRmT3_T4_T5_T6_T7_T9_mT8_P12ihipStream_tbDpT10_ENKUlT_T0_E_clISt17integral_constantIbLb0EES1C_EEDaS17_S18_EUlS17_E_NS1_11comp_targetILNS1_3genE10ELNS1_11target_archE1200ELNS1_3gpuE4ELNS1_3repE0EEENS1_30default_config_static_selectorELNS0_4arch9wavefront6targetE1EEEvT1_
; %bb.0:
	.section	.rodata,"a",@progbits
	.p2align	6, 0x0
	.amdhsa_kernel _ZN7rocprim17ROCPRIM_400000_NS6detail17trampoline_kernelINS0_14default_configENS1_25partition_config_selectorILNS1_17partition_subalgoE8ElNS0_10empty_typeEbEEZZNS1_14partition_implILS5_8ELb0ES3_jPlPS6_PKS6_NS0_5tupleIJS9_S6_EEENSD_IJSA_SA_EEENS0_18inequality_wrapperIZN2at6native12_GLOBAL__N_124unique_dim_cuda_templateIfEESt5tupleIJNSH_6TensorESM_SM_EERKSM_lbbbEUlllE0_EEPmJS6_EEE10hipError_tPvRmT3_T4_T5_T6_T7_T9_mT8_P12ihipStream_tbDpT10_ENKUlT_T0_E_clISt17integral_constantIbLb0EES1C_EEDaS17_S18_EUlS17_E_NS1_11comp_targetILNS1_3genE10ELNS1_11target_archE1200ELNS1_3gpuE4ELNS1_3repE0EEENS1_30default_config_static_selectorELNS0_4arch9wavefront6targetE1EEEvT1_
		.amdhsa_group_segment_fixed_size 0
		.amdhsa_private_segment_fixed_size 0
		.amdhsa_kernarg_size 120
		.amdhsa_user_sgpr_count 2
		.amdhsa_user_sgpr_dispatch_ptr 0
		.amdhsa_user_sgpr_queue_ptr 0
		.amdhsa_user_sgpr_kernarg_segment_ptr 1
		.amdhsa_user_sgpr_dispatch_id 0
		.amdhsa_user_sgpr_kernarg_preload_length 0
		.amdhsa_user_sgpr_kernarg_preload_offset 0
		.amdhsa_user_sgpr_private_segment_size 0
		.amdhsa_uses_dynamic_stack 0
		.amdhsa_enable_private_segment 0
		.amdhsa_system_sgpr_workgroup_id_x 1
		.amdhsa_system_sgpr_workgroup_id_y 0
		.amdhsa_system_sgpr_workgroup_id_z 0
		.amdhsa_system_sgpr_workgroup_info 0
		.amdhsa_system_vgpr_workitem_id 0
		.amdhsa_next_free_vgpr 1
		.amdhsa_next_free_sgpr 0
		.amdhsa_accum_offset 4
		.amdhsa_reserve_vcc 0
		.amdhsa_float_round_mode_32 0
		.amdhsa_float_round_mode_16_64 0
		.amdhsa_float_denorm_mode_32 3
		.amdhsa_float_denorm_mode_16_64 3
		.amdhsa_dx10_clamp 1
		.amdhsa_ieee_mode 1
		.amdhsa_fp16_overflow 0
		.amdhsa_tg_split 0
		.amdhsa_exception_fp_ieee_invalid_op 0
		.amdhsa_exception_fp_denorm_src 0
		.amdhsa_exception_fp_ieee_div_zero 0
		.amdhsa_exception_fp_ieee_overflow 0
		.amdhsa_exception_fp_ieee_underflow 0
		.amdhsa_exception_fp_ieee_inexact 0
		.amdhsa_exception_int_div_zero 0
	.end_amdhsa_kernel
	.section	.text._ZN7rocprim17ROCPRIM_400000_NS6detail17trampoline_kernelINS0_14default_configENS1_25partition_config_selectorILNS1_17partition_subalgoE8ElNS0_10empty_typeEbEEZZNS1_14partition_implILS5_8ELb0ES3_jPlPS6_PKS6_NS0_5tupleIJS9_S6_EEENSD_IJSA_SA_EEENS0_18inequality_wrapperIZN2at6native12_GLOBAL__N_124unique_dim_cuda_templateIfEESt5tupleIJNSH_6TensorESM_SM_EERKSM_lbbbEUlllE0_EEPmJS6_EEE10hipError_tPvRmT3_T4_T5_T6_T7_T9_mT8_P12ihipStream_tbDpT10_ENKUlT_T0_E_clISt17integral_constantIbLb0EES1C_EEDaS17_S18_EUlS17_E_NS1_11comp_targetILNS1_3genE10ELNS1_11target_archE1200ELNS1_3gpuE4ELNS1_3repE0EEENS1_30default_config_static_selectorELNS0_4arch9wavefront6targetE1EEEvT1_,"axG",@progbits,_ZN7rocprim17ROCPRIM_400000_NS6detail17trampoline_kernelINS0_14default_configENS1_25partition_config_selectorILNS1_17partition_subalgoE8ElNS0_10empty_typeEbEEZZNS1_14partition_implILS5_8ELb0ES3_jPlPS6_PKS6_NS0_5tupleIJS9_S6_EEENSD_IJSA_SA_EEENS0_18inequality_wrapperIZN2at6native12_GLOBAL__N_124unique_dim_cuda_templateIfEESt5tupleIJNSH_6TensorESM_SM_EERKSM_lbbbEUlllE0_EEPmJS6_EEE10hipError_tPvRmT3_T4_T5_T6_T7_T9_mT8_P12ihipStream_tbDpT10_ENKUlT_T0_E_clISt17integral_constantIbLb0EES1C_EEDaS17_S18_EUlS17_E_NS1_11comp_targetILNS1_3genE10ELNS1_11target_archE1200ELNS1_3gpuE4ELNS1_3repE0EEENS1_30default_config_static_selectorELNS0_4arch9wavefront6targetE1EEEvT1_,comdat
.Lfunc_end934:
	.size	_ZN7rocprim17ROCPRIM_400000_NS6detail17trampoline_kernelINS0_14default_configENS1_25partition_config_selectorILNS1_17partition_subalgoE8ElNS0_10empty_typeEbEEZZNS1_14partition_implILS5_8ELb0ES3_jPlPS6_PKS6_NS0_5tupleIJS9_S6_EEENSD_IJSA_SA_EEENS0_18inequality_wrapperIZN2at6native12_GLOBAL__N_124unique_dim_cuda_templateIfEESt5tupleIJNSH_6TensorESM_SM_EERKSM_lbbbEUlllE0_EEPmJS6_EEE10hipError_tPvRmT3_T4_T5_T6_T7_T9_mT8_P12ihipStream_tbDpT10_ENKUlT_T0_E_clISt17integral_constantIbLb0EES1C_EEDaS17_S18_EUlS17_E_NS1_11comp_targetILNS1_3genE10ELNS1_11target_archE1200ELNS1_3gpuE4ELNS1_3repE0EEENS1_30default_config_static_selectorELNS0_4arch9wavefront6targetE1EEEvT1_, .Lfunc_end934-_ZN7rocprim17ROCPRIM_400000_NS6detail17trampoline_kernelINS0_14default_configENS1_25partition_config_selectorILNS1_17partition_subalgoE8ElNS0_10empty_typeEbEEZZNS1_14partition_implILS5_8ELb0ES3_jPlPS6_PKS6_NS0_5tupleIJS9_S6_EEENSD_IJSA_SA_EEENS0_18inequality_wrapperIZN2at6native12_GLOBAL__N_124unique_dim_cuda_templateIfEESt5tupleIJNSH_6TensorESM_SM_EERKSM_lbbbEUlllE0_EEPmJS6_EEE10hipError_tPvRmT3_T4_T5_T6_T7_T9_mT8_P12ihipStream_tbDpT10_ENKUlT_T0_E_clISt17integral_constantIbLb0EES1C_EEDaS17_S18_EUlS17_E_NS1_11comp_targetILNS1_3genE10ELNS1_11target_archE1200ELNS1_3gpuE4ELNS1_3repE0EEENS1_30default_config_static_selectorELNS0_4arch9wavefront6targetE1EEEvT1_
                                        ; -- End function
	.set _ZN7rocprim17ROCPRIM_400000_NS6detail17trampoline_kernelINS0_14default_configENS1_25partition_config_selectorILNS1_17partition_subalgoE8ElNS0_10empty_typeEbEEZZNS1_14partition_implILS5_8ELb0ES3_jPlPS6_PKS6_NS0_5tupleIJS9_S6_EEENSD_IJSA_SA_EEENS0_18inequality_wrapperIZN2at6native12_GLOBAL__N_124unique_dim_cuda_templateIfEESt5tupleIJNSH_6TensorESM_SM_EERKSM_lbbbEUlllE0_EEPmJS6_EEE10hipError_tPvRmT3_T4_T5_T6_T7_T9_mT8_P12ihipStream_tbDpT10_ENKUlT_T0_E_clISt17integral_constantIbLb0EES1C_EEDaS17_S18_EUlS17_E_NS1_11comp_targetILNS1_3genE10ELNS1_11target_archE1200ELNS1_3gpuE4ELNS1_3repE0EEENS1_30default_config_static_selectorELNS0_4arch9wavefront6targetE1EEEvT1_.num_vgpr, 0
	.set _ZN7rocprim17ROCPRIM_400000_NS6detail17trampoline_kernelINS0_14default_configENS1_25partition_config_selectorILNS1_17partition_subalgoE8ElNS0_10empty_typeEbEEZZNS1_14partition_implILS5_8ELb0ES3_jPlPS6_PKS6_NS0_5tupleIJS9_S6_EEENSD_IJSA_SA_EEENS0_18inequality_wrapperIZN2at6native12_GLOBAL__N_124unique_dim_cuda_templateIfEESt5tupleIJNSH_6TensorESM_SM_EERKSM_lbbbEUlllE0_EEPmJS6_EEE10hipError_tPvRmT3_T4_T5_T6_T7_T9_mT8_P12ihipStream_tbDpT10_ENKUlT_T0_E_clISt17integral_constantIbLb0EES1C_EEDaS17_S18_EUlS17_E_NS1_11comp_targetILNS1_3genE10ELNS1_11target_archE1200ELNS1_3gpuE4ELNS1_3repE0EEENS1_30default_config_static_selectorELNS0_4arch9wavefront6targetE1EEEvT1_.num_agpr, 0
	.set _ZN7rocprim17ROCPRIM_400000_NS6detail17trampoline_kernelINS0_14default_configENS1_25partition_config_selectorILNS1_17partition_subalgoE8ElNS0_10empty_typeEbEEZZNS1_14partition_implILS5_8ELb0ES3_jPlPS6_PKS6_NS0_5tupleIJS9_S6_EEENSD_IJSA_SA_EEENS0_18inequality_wrapperIZN2at6native12_GLOBAL__N_124unique_dim_cuda_templateIfEESt5tupleIJNSH_6TensorESM_SM_EERKSM_lbbbEUlllE0_EEPmJS6_EEE10hipError_tPvRmT3_T4_T5_T6_T7_T9_mT8_P12ihipStream_tbDpT10_ENKUlT_T0_E_clISt17integral_constantIbLb0EES1C_EEDaS17_S18_EUlS17_E_NS1_11comp_targetILNS1_3genE10ELNS1_11target_archE1200ELNS1_3gpuE4ELNS1_3repE0EEENS1_30default_config_static_selectorELNS0_4arch9wavefront6targetE1EEEvT1_.numbered_sgpr, 0
	.set _ZN7rocprim17ROCPRIM_400000_NS6detail17trampoline_kernelINS0_14default_configENS1_25partition_config_selectorILNS1_17partition_subalgoE8ElNS0_10empty_typeEbEEZZNS1_14partition_implILS5_8ELb0ES3_jPlPS6_PKS6_NS0_5tupleIJS9_S6_EEENSD_IJSA_SA_EEENS0_18inequality_wrapperIZN2at6native12_GLOBAL__N_124unique_dim_cuda_templateIfEESt5tupleIJNSH_6TensorESM_SM_EERKSM_lbbbEUlllE0_EEPmJS6_EEE10hipError_tPvRmT3_T4_T5_T6_T7_T9_mT8_P12ihipStream_tbDpT10_ENKUlT_T0_E_clISt17integral_constantIbLb0EES1C_EEDaS17_S18_EUlS17_E_NS1_11comp_targetILNS1_3genE10ELNS1_11target_archE1200ELNS1_3gpuE4ELNS1_3repE0EEENS1_30default_config_static_selectorELNS0_4arch9wavefront6targetE1EEEvT1_.num_named_barrier, 0
	.set _ZN7rocprim17ROCPRIM_400000_NS6detail17trampoline_kernelINS0_14default_configENS1_25partition_config_selectorILNS1_17partition_subalgoE8ElNS0_10empty_typeEbEEZZNS1_14partition_implILS5_8ELb0ES3_jPlPS6_PKS6_NS0_5tupleIJS9_S6_EEENSD_IJSA_SA_EEENS0_18inequality_wrapperIZN2at6native12_GLOBAL__N_124unique_dim_cuda_templateIfEESt5tupleIJNSH_6TensorESM_SM_EERKSM_lbbbEUlllE0_EEPmJS6_EEE10hipError_tPvRmT3_T4_T5_T6_T7_T9_mT8_P12ihipStream_tbDpT10_ENKUlT_T0_E_clISt17integral_constantIbLb0EES1C_EEDaS17_S18_EUlS17_E_NS1_11comp_targetILNS1_3genE10ELNS1_11target_archE1200ELNS1_3gpuE4ELNS1_3repE0EEENS1_30default_config_static_selectorELNS0_4arch9wavefront6targetE1EEEvT1_.private_seg_size, 0
	.set _ZN7rocprim17ROCPRIM_400000_NS6detail17trampoline_kernelINS0_14default_configENS1_25partition_config_selectorILNS1_17partition_subalgoE8ElNS0_10empty_typeEbEEZZNS1_14partition_implILS5_8ELb0ES3_jPlPS6_PKS6_NS0_5tupleIJS9_S6_EEENSD_IJSA_SA_EEENS0_18inequality_wrapperIZN2at6native12_GLOBAL__N_124unique_dim_cuda_templateIfEESt5tupleIJNSH_6TensorESM_SM_EERKSM_lbbbEUlllE0_EEPmJS6_EEE10hipError_tPvRmT3_T4_T5_T6_T7_T9_mT8_P12ihipStream_tbDpT10_ENKUlT_T0_E_clISt17integral_constantIbLb0EES1C_EEDaS17_S18_EUlS17_E_NS1_11comp_targetILNS1_3genE10ELNS1_11target_archE1200ELNS1_3gpuE4ELNS1_3repE0EEENS1_30default_config_static_selectorELNS0_4arch9wavefront6targetE1EEEvT1_.uses_vcc, 0
	.set _ZN7rocprim17ROCPRIM_400000_NS6detail17trampoline_kernelINS0_14default_configENS1_25partition_config_selectorILNS1_17partition_subalgoE8ElNS0_10empty_typeEbEEZZNS1_14partition_implILS5_8ELb0ES3_jPlPS6_PKS6_NS0_5tupleIJS9_S6_EEENSD_IJSA_SA_EEENS0_18inequality_wrapperIZN2at6native12_GLOBAL__N_124unique_dim_cuda_templateIfEESt5tupleIJNSH_6TensorESM_SM_EERKSM_lbbbEUlllE0_EEPmJS6_EEE10hipError_tPvRmT3_T4_T5_T6_T7_T9_mT8_P12ihipStream_tbDpT10_ENKUlT_T0_E_clISt17integral_constantIbLb0EES1C_EEDaS17_S18_EUlS17_E_NS1_11comp_targetILNS1_3genE10ELNS1_11target_archE1200ELNS1_3gpuE4ELNS1_3repE0EEENS1_30default_config_static_selectorELNS0_4arch9wavefront6targetE1EEEvT1_.uses_flat_scratch, 0
	.set _ZN7rocprim17ROCPRIM_400000_NS6detail17trampoline_kernelINS0_14default_configENS1_25partition_config_selectorILNS1_17partition_subalgoE8ElNS0_10empty_typeEbEEZZNS1_14partition_implILS5_8ELb0ES3_jPlPS6_PKS6_NS0_5tupleIJS9_S6_EEENSD_IJSA_SA_EEENS0_18inequality_wrapperIZN2at6native12_GLOBAL__N_124unique_dim_cuda_templateIfEESt5tupleIJNSH_6TensorESM_SM_EERKSM_lbbbEUlllE0_EEPmJS6_EEE10hipError_tPvRmT3_T4_T5_T6_T7_T9_mT8_P12ihipStream_tbDpT10_ENKUlT_T0_E_clISt17integral_constantIbLb0EES1C_EEDaS17_S18_EUlS17_E_NS1_11comp_targetILNS1_3genE10ELNS1_11target_archE1200ELNS1_3gpuE4ELNS1_3repE0EEENS1_30default_config_static_selectorELNS0_4arch9wavefront6targetE1EEEvT1_.has_dyn_sized_stack, 0
	.set _ZN7rocprim17ROCPRIM_400000_NS6detail17trampoline_kernelINS0_14default_configENS1_25partition_config_selectorILNS1_17partition_subalgoE8ElNS0_10empty_typeEbEEZZNS1_14partition_implILS5_8ELb0ES3_jPlPS6_PKS6_NS0_5tupleIJS9_S6_EEENSD_IJSA_SA_EEENS0_18inequality_wrapperIZN2at6native12_GLOBAL__N_124unique_dim_cuda_templateIfEESt5tupleIJNSH_6TensorESM_SM_EERKSM_lbbbEUlllE0_EEPmJS6_EEE10hipError_tPvRmT3_T4_T5_T6_T7_T9_mT8_P12ihipStream_tbDpT10_ENKUlT_T0_E_clISt17integral_constantIbLb0EES1C_EEDaS17_S18_EUlS17_E_NS1_11comp_targetILNS1_3genE10ELNS1_11target_archE1200ELNS1_3gpuE4ELNS1_3repE0EEENS1_30default_config_static_selectorELNS0_4arch9wavefront6targetE1EEEvT1_.has_recursion, 0
	.set _ZN7rocprim17ROCPRIM_400000_NS6detail17trampoline_kernelINS0_14default_configENS1_25partition_config_selectorILNS1_17partition_subalgoE8ElNS0_10empty_typeEbEEZZNS1_14partition_implILS5_8ELb0ES3_jPlPS6_PKS6_NS0_5tupleIJS9_S6_EEENSD_IJSA_SA_EEENS0_18inequality_wrapperIZN2at6native12_GLOBAL__N_124unique_dim_cuda_templateIfEESt5tupleIJNSH_6TensorESM_SM_EERKSM_lbbbEUlllE0_EEPmJS6_EEE10hipError_tPvRmT3_T4_T5_T6_T7_T9_mT8_P12ihipStream_tbDpT10_ENKUlT_T0_E_clISt17integral_constantIbLb0EES1C_EEDaS17_S18_EUlS17_E_NS1_11comp_targetILNS1_3genE10ELNS1_11target_archE1200ELNS1_3gpuE4ELNS1_3repE0EEENS1_30default_config_static_selectorELNS0_4arch9wavefront6targetE1EEEvT1_.has_indirect_call, 0
	.section	.AMDGPU.csdata,"",@progbits
; Kernel info:
; codeLenInByte = 0
; TotalNumSgprs: 6
; NumVgprs: 0
; NumAgprs: 0
; TotalNumVgprs: 0
; ScratchSize: 0
; MemoryBound: 0
; FloatMode: 240
; IeeeMode: 1
; LDSByteSize: 0 bytes/workgroup (compile time only)
; SGPRBlocks: 0
; VGPRBlocks: 0
; NumSGPRsForWavesPerEU: 6
; NumVGPRsForWavesPerEU: 1
; AccumOffset: 4
; Occupancy: 8
; WaveLimiterHint : 0
; COMPUTE_PGM_RSRC2:SCRATCH_EN: 0
; COMPUTE_PGM_RSRC2:USER_SGPR: 2
; COMPUTE_PGM_RSRC2:TRAP_HANDLER: 0
; COMPUTE_PGM_RSRC2:TGID_X_EN: 1
; COMPUTE_PGM_RSRC2:TGID_Y_EN: 0
; COMPUTE_PGM_RSRC2:TGID_Z_EN: 0
; COMPUTE_PGM_RSRC2:TIDIG_COMP_CNT: 0
; COMPUTE_PGM_RSRC3_GFX90A:ACCUM_OFFSET: 0
; COMPUTE_PGM_RSRC3_GFX90A:TG_SPLIT: 0
	.section	.text._ZN7rocprim17ROCPRIM_400000_NS6detail17trampoline_kernelINS0_14default_configENS1_25partition_config_selectorILNS1_17partition_subalgoE8ElNS0_10empty_typeEbEEZZNS1_14partition_implILS5_8ELb0ES3_jPlPS6_PKS6_NS0_5tupleIJS9_S6_EEENSD_IJSA_SA_EEENS0_18inequality_wrapperIZN2at6native12_GLOBAL__N_124unique_dim_cuda_templateIfEESt5tupleIJNSH_6TensorESM_SM_EERKSM_lbbbEUlllE0_EEPmJS6_EEE10hipError_tPvRmT3_T4_T5_T6_T7_T9_mT8_P12ihipStream_tbDpT10_ENKUlT_T0_E_clISt17integral_constantIbLb0EES1C_EEDaS17_S18_EUlS17_E_NS1_11comp_targetILNS1_3genE9ELNS1_11target_archE1100ELNS1_3gpuE3ELNS1_3repE0EEENS1_30default_config_static_selectorELNS0_4arch9wavefront6targetE1EEEvT1_,"axG",@progbits,_ZN7rocprim17ROCPRIM_400000_NS6detail17trampoline_kernelINS0_14default_configENS1_25partition_config_selectorILNS1_17partition_subalgoE8ElNS0_10empty_typeEbEEZZNS1_14partition_implILS5_8ELb0ES3_jPlPS6_PKS6_NS0_5tupleIJS9_S6_EEENSD_IJSA_SA_EEENS0_18inequality_wrapperIZN2at6native12_GLOBAL__N_124unique_dim_cuda_templateIfEESt5tupleIJNSH_6TensorESM_SM_EERKSM_lbbbEUlllE0_EEPmJS6_EEE10hipError_tPvRmT3_T4_T5_T6_T7_T9_mT8_P12ihipStream_tbDpT10_ENKUlT_T0_E_clISt17integral_constantIbLb0EES1C_EEDaS17_S18_EUlS17_E_NS1_11comp_targetILNS1_3genE9ELNS1_11target_archE1100ELNS1_3gpuE3ELNS1_3repE0EEENS1_30default_config_static_selectorELNS0_4arch9wavefront6targetE1EEEvT1_,comdat
	.globl	_ZN7rocprim17ROCPRIM_400000_NS6detail17trampoline_kernelINS0_14default_configENS1_25partition_config_selectorILNS1_17partition_subalgoE8ElNS0_10empty_typeEbEEZZNS1_14partition_implILS5_8ELb0ES3_jPlPS6_PKS6_NS0_5tupleIJS9_S6_EEENSD_IJSA_SA_EEENS0_18inequality_wrapperIZN2at6native12_GLOBAL__N_124unique_dim_cuda_templateIfEESt5tupleIJNSH_6TensorESM_SM_EERKSM_lbbbEUlllE0_EEPmJS6_EEE10hipError_tPvRmT3_T4_T5_T6_T7_T9_mT8_P12ihipStream_tbDpT10_ENKUlT_T0_E_clISt17integral_constantIbLb0EES1C_EEDaS17_S18_EUlS17_E_NS1_11comp_targetILNS1_3genE9ELNS1_11target_archE1100ELNS1_3gpuE3ELNS1_3repE0EEENS1_30default_config_static_selectorELNS0_4arch9wavefront6targetE1EEEvT1_ ; -- Begin function _ZN7rocprim17ROCPRIM_400000_NS6detail17trampoline_kernelINS0_14default_configENS1_25partition_config_selectorILNS1_17partition_subalgoE8ElNS0_10empty_typeEbEEZZNS1_14partition_implILS5_8ELb0ES3_jPlPS6_PKS6_NS0_5tupleIJS9_S6_EEENSD_IJSA_SA_EEENS0_18inequality_wrapperIZN2at6native12_GLOBAL__N_124unique_dim_cuda_templateIfEESt5tupleIJNSH_6TensorESM_SM_EERKSM_lbbbEUlllE0_EEPmJS6_EEE10hipError_tPvRmT3_T4_T5_T6_T7_T9_mT8_P12ihipStream_tbDpT10_ENKUlT_T0_E_clISt17integral_constantIbLb0EES1C_EEDaS17_S18_EUlS17_E_NS1_11comp_targetILNS1_3genE9ELNS1_11target_archE1100ELNS1_3gpuE3ELNS1_3repE0EEENS1_30default_config_static_selectorELNS0_4arch9wavefront6targetE1EEEvT1_
	.p2align	8
	.type	_ZN7rocprim17ROCPRIM_400000_NS6detail17trampoline_kernelINS0_14default_configENS1_25partition_config_selectorILNS1_17partition_subalgoE8ElNS0_10empty_typeEbEEZZNS1_14partition_implILS5_8ELb0ES3_jPlPS6_PKS6_NS0_5tupleIJS9_S6_EEENSD_IJSA_SA_EEENS0_18inequality_wrapperIZN2at6native12_GLOBAL__N_124unique_dim_cuda_templateIfEESt5tupleIJNSH_6TensorESM_SM_EERKSM_lbbbEUlllE0_EEPmJS6_EEE10hipError_tPvRmT3_T4_T5_T6_T7_T9_mT8_P12ihipStream_tbDpT10_ENKUlT_T0_E_clISt17integral_constantIbLb0EES1C_EEDaS17_S18_EUlS17_E_NS1_11comp_targetILNS1_3genE9ELNS1_11target_archE1100ELNS1_3gpuE3ELNS1_3repE0EEENS1_30default_config_static_selectorELNS0_4arch9wavefront6targetE1EEEvT1_,@function
_ZN7rocprim17ROCPRIM_400000_NS6detail17trampoline_kernelINS0_14default_configENS1_25partition_config_selectorILNS1_17partition_subalgoE8ElNS0_10empty_typeEbEEZZNS1_14partition_implILS5_8ELb0ES3_jPlPS6_PKS6_NS0_5tupleIJS9_S6_EEENSD_IJSA_SA_EEENS0_18inequality_wrapperIZN2at6native12_GLOBAL__N_124unique_dim_cuda_templateIfEESt5tupleIJNSH_6TensorESM_SM_EERKSM_lbbbEUlllE0_EEPmJS6_EEE10hipError_tPvRmT3_T4_T5_T6_T7_T9_mT8_P12ihipStream_tbDpT10_ENKUlT_T0_E_clISt17integral_constantIbLb0EES1C_EEDaS17_S18_EUlS17_E_NS1_11comp_targetILNS1_3genE9ELNS1_11target_archE1100ELNS1_3gpuE3ELNS1_3repE0EEENS1_30default_config_static_selectorELNS0_4arch9wavefront6targetE1EEEvT1_: ; @_ZN7rocprim17ROCPRIM_400000_NS6detail17trampoline_kernelINS0_14default_configENS1_25partition_config_selectorILNS1_17partition_subalgoE8ElNS0_10empty_typeEbEEZZNS1_14partition_implILS5_8ELb0ES3_jPlPS6_PKS6_NS0_5tupleIJS9_S6_EEENSD_IJSA_SA_EEENS0_18inequality_wrapperIZN2at6native12_GLOBAL__N_124unique_dim_cuda_templateIfEESt5tupleIJNSH_6TensorESM_SM_EERKSM_lbbbEUlllE0_EEPmJS6_EEE10hipError_tPvRmT3_T4_T5_T6_T7_T9_mT8_P12ihipStream_tbDpT10_ENKUlT_T0_E_clISt17integral_constantIbLb0EES1C_EEDaS17_S18_EUlS17_E_NS1_11comp_targetILNS1_3genE9ELNS1_11target_archE1100ELNS1_3gpuE3ELNS1_3repE0EEENS1_30default_config_static_selectorELNS0_4arch9wavefront6targetE1EEEvT1_
; %bb.0:
	.section	.rodata,"a",@progbits
	.p2align	6, 0x0
	.amdhsa_kernel _ZN7rocprim17ROCPRIM_400000_NS6detail17trampoline_kernelINS0_14default_configENS1_25partition_config_selectorILNS1_17partition_subalgoE8ElNS0_10empty_typeEbEEZZNS1_14partition_implILS5_8ELb0ES3_jPlPS6_PKS6_NS0_5tupleIJS9_S6_EEENSD_IJSA_SA_EEENS0_18inequality_wrapperIZN2at6native12_GLOBAL__N_124unique_dim_cuda_templateIfEESt5tupleIJNSH_6TensorESM_SM_EERKSM_lbbbEUlllE0_EEPmJS6_EEE10hipError_tPvRmT3_T4_T5_T6_T7_T9_mT8_P12ihipStream_tbDpT10_ENKUlT_T0_E_clISt17integral_constantIbLb0EES1C_EEDaS17_S18_EUlS17_E_NS1_11comp_targetILNS1_3genE9ELNS1_11target_archE1100ELNS1_3gpuE3ELNS1_3repE0EEENS1_30default_config_static_selectorELNS0_4arch9wavefront6targetE1EEEvT1_
		.amdhsa_group_segment_fixed_size 0
		.amdhsa_private_segment_fixed_size 0
		.amdhsa_kernarg_size 120
		.amdhsa_user_sgpr_count 2
		.amdhsa_user_sgpr_dispatch_ptr 0
		.amdhsa_user_sgpr_queue_ptr 0
		.amdhsa_user_sgpr_kernarg_segment_ptr 1
		.amdhsa_user_sgpr_dispatch_id 0
		.amdhsa_user_sgpr_kernarg_preload_length 0
		.amdhsa_user_sgpr_kernarg_preload_offset 0
		.amdhsa_user_sgpr_private_segment_size 0
		.amdhsa_uses_dynamic_stack 0
		.amdhsa_enable_private_segment 0
		.amdhsa_system_sgpr_workgroup_id_x 1
		.amdhsa_system_sgpr_workgroup_id_y 0
		.amdhsa_system_sgpr_workgroup_id_z 0
		.amdhsa_system_sgpr_workgroup_info 0
		.amdhsa_system_vgpr_workitem_id 0
		.amdhsa_next_free_vgpr 1
		.amdhsa_next_free_sgpr 0
		.amdhsa_accum_offset 4
		.amdhsa_reserve_vcc 0
		.amdhsa_float_round_mode_32 0
		.amdhsa_float_round_mode_16_64 0
		.amdhsa_float_denorm_mode_32 3
		.amdhsa_float_denorm_mode_16_64 3
		.amdhsa_dx10_clamp 1
		.amdhsa_ieee_mode 1
		.amdhsa_fp16_overflow 0
		.amdhsa_tg_split 0
		.amdhsa_exception_fp_ieee_invalid_op 0
		.amdhsa_exception_fp_denorm_src 0
		.amdhsa_exception_fp_ieee_div_zero 0
		.amdhsa_exception_fp_ieee_overflow 0
		.amdhsa_exception_fp_ieee_underflow 0
		.amdhsa_exception_fp_ieee_inexact 0
		.amdhsa_exception_int_div_zero 0
	.end_amdhsa_kernel
	.section	.text._ZN7rocprim17ROCPRIM_400000_NS6detail17trampoline_kernelINS0_14default_configENS1_25partition_config_selectorILNS1_17partition_subalgoE8ElNS0_10empty_typeEbEEZZNS1_14partition_implILS5_8ELb0ES3_jPlPS6_PKS6_NS0_5tupleIJS9_S6_EEENSD_IJSA_SA_EEENS0_18inequality_wrapperIZN2at6native12_GLOBAL__N_124unique_dim_cuda_templateIfEESt5tupleIJNSH_6TensorESM_SM_EERKSM_lbbbEUlllE0_EEPmJS6_EEE10hipError_tPvRmT3_T4_T5_T6_T7_T9_mT8_P12ihipStream_tbDpT10_ENKUlT_T0_E_clISt17integral_constantIbLb0EES1C_EEDaS17_S18_EUlS17_E_NS1_11comp_targetILNS1_3genE9ELNS1_11target_archE1100ELNS1_3gpuE3ELNS1_3repE0EEENS1_30default_config_static_selectorELNS0_4arch9wavefront6targetE1EEEvT1_,"axG",@progbits,_ZN7rocprim17ROCPRIM_400000_NS6detail17trampoline_kernelINS0_14default_configENS1_25partition_config_selectorILNS1_17partition_subalgoE8ElNS0_10empty_typeEbEEZZNS1_14partition_implILS5_8ELb0ES3_jPlPS6_PKS6_NS0_5tupleIJS9_S6_EEENSD_IJSA_SA_EEENS0_18inequality_wrapperIZN2at6native12_GLOBAL__N_124unique_dim_cuda_templateIfEESt5tupleIJNSH_6TensorESM_SM_EERKSM_lbbbEUlllE0_EEPmJS6_EEE10hipError_tPvRmT3_T4_T5_T6_T7_T9_mT8_P12ihipStream_tbDpT10_ENKUlT_T0_E_clISt17integral_constantIbLb0EES1C_EEDaS17_S18_EUlS17_E_NS1_11comp_targetILNS1_3genE9ELNS1_11target_archE1100ELNS1_3gpuE3ELNS1_3repE0EEENS1_30default_config_static_selectorELNS0_4arch9wavefront6targetE1EEEvT1_,comdat
.Lfunc_end935:
	.size	_ZN7rocprim17ROCPRIM_400000_NS6detail17trampoline_kernelINS0_14default_configENS1_25partition_config_selectorILNS1_17partition_subalgoE8ElNS0_10empty_typeEbEEZZNS1_14partition_implILS5_8ELb0ES3_jPlPS6_PKS6_NS0_5tupleIJS9_S6_EEENSD_IJSA_SA_EEENS0_18inequality_wrapperIZN2at6native12_GLOBAL__N_124unique_dim_cuda_templateIfEESt5tupleIJNSH_6TensorESM_SM_EERKSM_lbbbEUlllE0_EEPmJS6_EEE10hipError_tPvRmT3_T4_T5_T6_T7_T9_mT8_P12ihipStream_tbDpT10_ENKUlT_T0_E_clISt17integral_constantIbLb0EES1C_EEDaS17_S18_EUlS17_E_NS1_11comp_targetILNS1_3genE9ELNS1_11target_archE1100ELNS1_3gpuE3ELNS1_3repE0EEENS1_30default_config_static_selectorELNS0_4arch9wavefront6targetE1EEEvT1_, .Lfunc_end935-_ZN7rocprim17ROCPRIM_400000_NS6detail17trampoline_kernelINS0_14default_configENS1_25partition_config_selectorILNS1_17partition_subalgoE8ElNS0_10empty_typeEbEEZZNS1_14partition_implILS5_8ELb0ES3_jPlPS6_PKS6_NS0_5tupleIJS9_S6_EEENSD_IJSA_SA_EEENS0_18inequality_wrapperIZN2at6native12_GLOBAL__N_124unique_dim_cuda_templateIfEESt5tupleIJNSH_6TensorESM_SM_EERKSM_lbbbEUlllE0_EEPmJS6_EEE10hipError_tPvRmT3_T4_T5_T6_T7_T9_mT8_P12ihipStream_tbDpT10_ENKUlT_T0_E_clISt17integral_constantIbLb0EES1C_EEDaS17_S18_EUlS17_E_NS1_11comp_targetILNS1_3genE9ELNS1_11target_archE1100ELNS1_3gpuE3ELNS1_3repE0EEENS1_30default_config_static_selectorELNS0_4arch9wavefront6targetE1EEEvT1_
                                        ; -- End function
	.set _ZN7rocprim17ROCPRIM_400000_NS6detail17trampoline_kernelINS0_14default_configENS1_25partition_config_selectorILNS1_17partition_subalgoE8ElNS0_10empty_typeEbEEZZNS1_14partition_implILS5_8ELb0ES3_jPlPS6_PKS6_NS0_5tupleIJS9_S6_EEENSD_IJSA_SA_EEENS0_18inequality_wrapperIZN2at6native12_GLOBAL__N_124unique_dim_cuda_templateIfEESt5tupleIJNSH_6TensorESM_SM_EERKSM_lbbbEUlllE0_EEPmJS6_EEE10hipError_tPvRmT3_T4_T5_T6_T7_T9_mT8_P12ihipStream_tbDpT10_ENKUlT_T0_E_clISt17integral_constantIbLb0EES1C_EEDaS17_S18_EUlS17_E_NS1_11comp_targetILNS1_3genE9ELNS1_11target_archE1100ELNS1_3gpuE3ELNS1_3repE0EEENS1_30default_config_static_selectorELNS0_4arch9wavefront6targetE1EEEvT1_.num_vgpr, 0
	.set _ZN7rocprim17ROCPRIM_400000_NS6detail17trampoline_kernelINS0_14default_configENS1_25partition_config_selectorILNS1_17partition_subalgoE8ElNS0_10empty_typeEbEEZZNS1_14partition_implILS5_8ELb0ES3_jPlPS6_PKS6_NS0_5tupleIJS9_S6_EEENSD_IJSA_SA_EEENS0_18inequality_wrapperIZN2at6native12_GLOBAL__N_124unique_dim_cuda_templateIfEESt5tupleIJNSH_6TensorESM_SM_EERKSM_lbbbEUlllE0_EEPmJS6_EEE10hipError_tPvRmT3_T4_T5_T6_T7_T9_mT8_P12ihipStream_tbDpT10_ENKUlT_T0_E_clISt17integral_constantIbLb0EES1C_EEDaS17_S18_EUlS17_E_NS1_11comp_targetILNS1_3genE9ELNS1_11target_archE1100ELNS1_3gpuE3ELNS1_3repE0EEENS1_30default_config_static_selectorELNS0_4arch9wavefront6targetE1EEEvT1_.num_agpr, 0
	.set _ZN7rocprim17ROCPRIM_400000_NS6detail17trampoline_kernelINS0_14default_configENS1_25partition_config_selectorILNS1_17partition_subalgoE8ElNS0_10empty_typeEbEEZZNS1_14partition_implILS5_8ELb0ES3_jPlPS6_PKS6_NS0_5tupleIJS9_S6_EEENSD_IJSA_SA_EEENS0_18inequality_wrapperIZN2at6native12_GLOBAL__N_124unique_dim_cuda_templateIfEESt5tupleIJNSH_6TensorESM_SM_EERKSM_lbbbEUlllE0_EEPmJS6_EEE10hipError_tPvRmT3_T4_T5_T6_T7_T9_mT8_P12ihipStream_tbDpT10_ENKUlT_T0_E_clISt17integral_constantIbLb0EES1C_EEDaS17_S18_EUlS17_E_NS1_11comp_targetILNS1_3genE9ELNS1_11target_archE1100ELNS1_3gpuE3ELNS1_3repE0EEENS1_30default_config_static_selectorELNS0_4arch9wavefront6targetE1EEEvT1_.numbered_sgpr, 0
	.set _ZN7rocprim17ROCPRIM_400000_NS6detail17trampoline_kernelINS0_14default_configENS1_25partition_config_selectorILNS1_17partition_subalgoE8ElNS0_10empty_typeEbEEZZNS1_14partition_implILS5_8ELb0ES3_jPlPS6_PKS6_NS0_5tupleIJS9_S6_EEENSD_IJSA_SA_EEENS0_18inequality_wrapperIZN2at6native12_GLOBAL__N_124unique_dim_cuda_templateIfEESt5tupleIJNSH_6TensorESM_SM_EERKSM_lbbbEUlllE0_EEPmJS6_EEE10hipError_tPvRmT3_T4_T5_T6_T7_T9_mT8_P12ihipStream_tbDpT10_ENKUlT_T0_E_clISt17integral_constantIbLb0EES1C_EEDaS17_S18_EUlS17_E_NS1_11comp_targetILNS1_3genE9ELNS1_11target_archE1100ELNS1_3gpuE3ELNS1_3repE0EEENS1_30default_config_static_selectorELNS0_4arch9wavefront6targetE1EEEvT1_.num_named_barrier, 0
	.set _ZN7rocprim17ROCPRIM_400000_NS6detail17trampoline_kernelINS0_14default_configENS1_25partition_config_selectorILNS1_17partition_subalgoE8ElNS0_10empty_typeEbEEZZNS1_14partition_implILS5_8ELb0ES3_jPlPS6_PKS6_NS0_5tupleIJS9_S6_EEENSD_IJSA_SA_EEENS0_18inequality_wrapperIZN2at6native12_GLOBAL__N_124unique_dim_cuda_templateIfEESt5tupleIJNSH_6TensorESM_SM_EERKSM_lbbbEUlllE0_EEPmJS6_EEE10hipError_tPvRmT3_T4_T5_T6_T7_T9_mT8_P12ihipStream_tbDpT10_ENKUlT_T0_E_clISt17integral_constantIbLb0EES1C_EEDaS17_S18_EUlS17_E_NS1_11comp_targetILNS1_3genE9ELNS1_11target_archE1100ELNS1_3gpuE3ELNS1_3repE0EEENS1_30default_config_static_selectorELNS0_4arch9wavefront6targetE1EEEvT1_.private_seg_size, 0
	.set _ZN7rocprim17ROCPRIM_400000_NS6detail17trampoline_kernelINS0_14default_configENS1_25partition_config_selectorILNS1_17partition_subalgoE8ElNS0_10empty_typeEbEEZZNS1_14partition_implILS5_8ELb0ES3_jPlPS6_PKS6_NS0_5tupleIJS9_S6_EEENSD_IJSA_SA_EEENS0_18inequality_wrapperIZN2at6native12_GLOBAL__N_124unique_dim_cuda_templateIfEESt5tupleIJNSH_6TensorESM_SM_EERKSM_lbbbEUlllE0_EEPmJS6_EEE10hipError_tPvRmT3_T4_T5_T6_T7_T9_mT8_P12ihipStream_tbDpT10_ENKUlT_T0_E_clISt17integral_constantIbLb0EES1C_EEDaS17_S18_EUlS17_E_NS1_11comp_targetILNS1_3genE9ELNS1_11target_archE1100ELNS1_3gpuE3ELNS1_3repE0EEENS1_30default_config_static_selectorELNS0_4arch9wavefront6targetE1EEEvT1_.uses_vcc, 0
	.set _ZN7rocprim17ROCPRIM_400000_NS6detail17trampoline_kernelINS0_14default_configENS1_25partition_config_selectorILNS1_17partition_subalgoE8ElNS0_10empty_typeEbEEZZNS1_14partition_implILS5_8ELb0ES3_jPlPS6_PKS6_NS0_5tupleIJS9_S6_EEENSD_IJSA_SA_EEENS0_18inequality_wrapperIZN2at6native12_GLOBAL__N_124unique_dim_cuda_templateIfEESt5tupleIJNSH_6TensorESM_SM_EERKSM_lbbbEUlllE0_EEPmJS6_EEE10hipError_tPvRmT3_T4_T5_T6_T7_T9_mT8_P12ihipStream_tbDpT10_ENKUlT_T0_E_clISt17integral_constantIbLb0EES1C_EEDaS17_S18_EUlS17_E_NS1_11comp_targetILNS1_3genE9ELNS1_11target_archE1100ELNS1_3gpuE3ELNS1_3repE0EEENS1_30default_config_static_selectorELNS0_4arch9wavefront6targetE1EEEvT1_.uses_flat_scratch, 0
	.set _ZN7rocprim17ROCPRIM_400000_NS6detail17trampoline_kernelINS0_14default_configENS1_25partition_config_selectorILNS1_17partition_subalgoE8ElNS0_10empty_typeEbEEZZNS1_14partition_implILS5_8ELb0ES3_jPlPS6_PKS6_NS0_5tupleIJS9_S6_EEENSD_IJSA_SA_EEENS0_18inequality_wrapperIZN2at6native12_GLOBAL__N_124unique_dim_cuda_templateIfEESt5tupleIJNSH_6TensorESM_SM_EERKSM_lbbbEUlllE0_EEPmJS6_EEE10hipError_tPvRmT3_T4_T5_T6_T7_T9_mT8_P12ihipStream_tbDpT10_ENKUlT_T0_E_clISt17integral_constantIbLb0EES1C_EEDaS17_S18_EUlS17_E_NS1_11comp_targetILNS1_3genE9ELNS1_11target_archE1100ELNS1_3gpuE3ELNS1_3repE0EEENS1_30default_config_static_selectorELNS0_4arch9wavefront6targetE1EEEvT1_.has_dyn_sized_stack, 0
	.set _ZN7rocprim17ROCPRIM_400000_NS6detail17trampoline_kernelINS0_14default_configENS1_25partition_config_selectorILNS1_17partition_subalgoE8ElNS0_10empty_typeEbEEZZNS1_14partition_implILS5_8ELb0ES3_jPlPS6_PKS6_NS0_5tupleIJS9_S6_EEENSD_IJSA_SA_EEENS0_18inequality_wrapperIZN2at6native12_GLOBAL__N_124unique_dim_cuda_templateIfEESt5tupleIJNSH_6TensorESM_SM_EERKSM_lbbbEUlllE0_EEPmJS6_EEE10hipError_tPvRmT3_T4_T5_T6_T7_T9_mT8_P12ihipStream_tbDpT10_ENKUlT_T0_E_clISt17integral_constantIbLb0EES1C_EEDaS17_S18_EUlS17_E_NS1_11comp_targetILNS1_3genE9ELNS1_11target_archE1100ELNS1_3gpuE3ELNS1_3repE0EEENS1_30default_config_static_selectorELNS0_4arch9wavefront6targetE1EEEvT1_.has_recursion, 0
	.set _ZN7rocprim17ROCPRIM_400000_NS6detail17trampoline_kernelINS0_14default_configENS1_25partition_config_selectorILNS1_17partition_subalgoE8ElNS0_10empty_typeEbEEZZNS1_14partition_implILS5_8ELb0ES3_jPlPS6_PKS6_NS0_5tupleIJS9_S6_EEENSD_IJSA_SA_EEENS0_18inequality_wrapperIZN2at6native12_GLOBAL__N_124unique_dim_cuda_templateIfEESt5tupleIJNSH_6TensorESM_SM_EERKSM_lbbbEUlllE0_EEPmJS6_EEE10hipError_tPvRmT3_T4_T5_T6_T7_T9_mT8_P12ihipStream_tbDpT10_ENKUlT_T0_E_clISt17integral_constantIbLb0EES1C_EEDaS17_S18_EUlS17_E_NS1_11comp_targetILNS1_3genE9ELNS1_11target_archE1100ELNS1_3gpuE3ELNS1_3repE0EEENS1_30default_config_static_selectorELNS0_4arch9wavefront6targetE1EEEvT1_.has_indirect_call, 0
	.section	.AMDGPU.csdata,"",@progbits
; Kernel info:
; codeLenInByte = 0
; TotalNumSgprs: 6
; NumVgprs: 0
; NumAgprs: 0
; TotalNumVgprs: 0
; ScratchSize: 0
; MemoryBound: 0
; FloatMode: 240
; IeeeMode: 1
; LDSByteSize: 0 bytes/workgroup (compile time only)
; SGPRBlocks: 0
; VGPRBlocks: 0
; NumSGPRsForWavesPerEU: 6
; NumVGPRsForWavesPerEU: 1
; AccumOffset: 4
; Occupancy: 8
; WaveLimiterHint : 0
; COMPUTE_PGM_RSRC2:SCRATCH_EN: 0
; COMPUTE_PGM_RSRC2:USER_SGPR: 2
; COMPUTE_PGM_RSRC2:TRAP_HANDLER: 0
; COMPUTE_PGM_RSRC2:TGID_X_EN: 1
; COMPUTE_PGM_RSRC2:TGID_Y_EN: 0
; COMPUTE_PGM_RSRC2:TGID_Z_EN: 0
; COMPUTE_PGM_RSRC2:TIDIG_COMP_CNT: 0
; COMPUTE_PGM_RSRC3_GFX90A:ACCUM_OFFSET: 0
; COMPUTE_PGM_RSRC3_GFX90A:TG_SPLIT: 0
	.section	.text._ZN7rocprim17ROCPRIM_400000_NS6detail17trampoline_kernelINS0_14default_configENS1_25partition_config_selectorILNS1_17partition_subalgoE8ElNS0_10empty_typeEbEEZZNS1_14partition_implILS5_8ELb0ES3_jPlPS6_PKS6_NS0_5tupleIJS9_S6_EEENSD_IJSA_SA_EEENS0_18inequality_wrapperIZN2at6native12_GLOBAL__N_124unique_dim_cuda_templateIfEESt5tupleIJNSH_6TensorESM_SM_EERKSM_lbbbEUlllE0_EEPmJS6_EEE10hipError_tPvRmT3_T4_T5_T6_T7_T9_mT8_P12ihipStream_tbDpT10_ENKUlT_T0_E_clISt17integral_constantIbLb0EES1C_EEDaS17_S18_EUlS17_E_NS1_11comp_targetILNS1_3genE8ELNS1_11target_archE1030ELNS1_3gpuE2ELNS1_3repE0EEENS1_30default_config_static_selectorELNS0_4arch9wavefront6targetE1EEEvT1_,"axG",@progbits,_ZN7rocprim17ROCPRIM_400000_NS6detail17trampoline_kernelINS0_14default_configENS1_25partition_config_selectorILNS1_17partition_subalgoE8ElNS0_10empty_typeEbEEZZNS1_14partition_implILS5_8ELb0ES3_jPlPS6_PKS6_NS0_5tupleIJS9_S6_EEENSD_IJSA_SA_EEENS0_18inequality_wrapperIZN2at6native12_GLOBAL__N_124unique_dim_cuda_templateIfEESt5tupleIJNSH_6TensorESM_SM_EERKSM_lbbbEUlllE0_EEPmJS6_EEE10hipError_tPvRmT3_T4_T5_T6_T7_T9_mT8_P12ihipStream_tbDpT10_ENKUlT_T0_E_clISt17integral_constantIbLb0EES1C_EEDaS17_S18_EUlS17_E_NS1_11comp_targetILNS1_3genE8ELNS1_11target_archE1030ELNS1_3gpuE2ELNS1_3repE0EEENS1_30default_config_static_selectorELNS0_4arch9wavefront6targetE1EEEvT1_,comdat
	.globl	_ZN7rocprim17ROCPRIM_400000_NS6detail17trampoline_kernelINS0_14default_configENS1_25partition_config_selectorILNS1_17partition_subalgoE8ElNS0_10empty_typeEbEEZZNS1_14partition_implILS5_8ELb0ES3_jPlPS6_PKS6_NS0_5tupleIJS9_S6_EEENSD_IJSA_SA_EEENS0_18inequality_wrapperIZN2at6native12_GLOBAL__N_124unique_dim_cuda_templateIfEESt5tupleIJNSH_6TensorESM_SM_EERKSM_lbbbEUlllE0_EEPmJS6_EEE10hipError_tPvRmT3_T4_T5_T6_T7_T9_mT8_P12ihipStream_tbDpT10_ENKUlT_T0_E_clISt17integral_constantIbLb0EES1C_EEDaS17_S18_EUlS17_E_NS1_11comp_targetILNS1_3genE8ELNS1_11target_archE1030ELNS1_3gpuE2ELNS1_3repE0EEENS1_30default_config_static_selectorELNS0_4arch9wavefront6targetE1EEEvT1_ ; -- Begin function _ZN7rocprim17ROCPRIM_400000_NS6detail17trampoline_kernelINS0_14default_configENS1_25partition_config_selectorILNS1_17partition_subalgoE8ElNS0_10empty_typeEbEEZZNS1_14partition_implILS5_8ELb0ES3_jPlPS6_PKS6_NS0_5tupleIJS9_S6_EEENSD_IJSA_SA_EEENS0_18inequality_wrapperIZN2at6native12_GLOBAL__N_124unique_dim_cuda_templateIfEESt5tupleIJNSH_6TensorESM_SM_EERKSM_lbbbEUlllE0_EEPmJS6_EEE10hipError_tPvRmT3_T4_T5_T6_T7_T9_mT8_P12ihipStream_tbDpT10_ENKUlT_T0_E_clISt17integral_constantIbLb0EES1C_EEDaS17_S18_EUlS17_E_NS1_11comp_targetILNS1_3genE8ELNS1_11target_archE1030ELNS1_3gpuE2ELNS1_3repE0EEENS1_30default_config_static_selectorELNS0_4arch9wavefront6targetE1EEEvT1_
	.p2align	8
	.type	_ZN7rocprim17ROCPRIM_400000_NS6detail17trampoline_kernelINS0_14default_configENS1_25partition_config_selectorILNS1_17partition_subalgoE8ElNS0_10empty_typeEbEEZZNS1_14partition_implILS5_8ELb0ES3_jPlPS6_PKS6_NS0_5tupleIJS9_S6_EEENSD_IJSA_SA_EEENS0_18inequality_wrapperIZN2at6native12_GLOBAL__N_124unique_dim_cuda_templateIfEESt5tupleIJNSH_6TensorESM_SM_EERKSM_lbbbEUlllE0_EEPmJS6_EEE10hipError_tPvRmT3_T4_T5_T6_T7_T9_mT8_P12ihipStream_tbDpT10_ENKUlT_T0_E_clISt17integral_constantIbLb0EES1C_EEDaS17_S18_EUlS17_E_NS1_11comp_targetILNS1_3genE8ELNS1_11target_archE1030ELNS1_3gpuE2ELNS1_3repE0EEENS1_30default_config_static_selectorELNS0_4arch9wavefront6targetE1EEEvT1_,@function
_ZN7rocprim17ROCPRIM_400000_NS6detail17trampoline_kernelINS0_14default_configENS1_25partition_config_selectorILNS1_17partition_subalgoE8ElNS0_10empty_typeEbEEZZNS1_14partition_implILS5_8ELb0ES3_jPlPS6_PKS6_NS0_5tupleIJS9_S6_EEENSD_IJSA_SA_EEENS0_18inequality_wrapperIZN2at6native12_GLOBAL__N_124unique_dim_cuda_templateIfEESt5tupleIJNSH_6TensorESM_SM_EERKSM_lbbbEUlllE0_EEPmJS6_EEE10hipError_tPvRmT3_T4_T5_T6_T7_T9_mT8_P12ihipStream_tbDpT10_ENKUlT_T0_E_clISt17integral_constantIbLb0EES1C_EEDaS17_S18_EUlS17_E_NS1_11comp_targetILNS1_3genE8ELNS1_11target_archE1030ELNS1_3gpuE2ELNS1_3repE0EEENS1_30default_config_static_selectorELNS0_4arch9wavefront6targetE1EEEvT1_: ; @_ZN7rocprim17ROCPRIM_400000_NS6detail17trampoline_kernelINS0_14default_configENS1_25partition_config_selectorILNS1_17partition_subalgoE8ElNS0_10empty_typeEbEEZZNS1_14partition_implILS5_8ELb0ES3_jPlPS6_PKS6_NS0_5tupleIJS9_S6_EEENSD_IJSA_SA_EEENS0_18inequality_wrapperIZN2at6native12_GLOBAL__N_124unique_dim_cuda_templateIfEESt5tupleIJNSH_6TensorESM_SM_EERKSM_lbbbEUlllE0_EEPmJS6_EEE10hipError_tPvRmT3_T4_T5_T6_T7_T9_mT8_P12ihipStream_tbDpT10_ENKUlT_T0_E_clISt17integral_constantIbLb0EES1C_EEDaS17_S18_EUlS17_E_NS1_11comp_targetILNS1_3genE8ELNS1_11target_archE1030ELNS1_3gpuE2ELNS1_3repE0EEENS1_30default_config_static_selectorELNS0_4arch9wavefront6targetE1EEEvT1_
; %bb.0:
	.section	.rodata,"a",@progbits
	.p2align	6, 0x0
	.amdhsa_kernel _ZN7rocprim17ROCPRIM_400000_NS6detail17trampoline_kernelINS0_14default_configENS1_25partition_config_selectorILNS1_17partition_subalgoE8ElNS0_10empty_typeEbEEZZNS1_14partition_implILS5_8ELb0ES3_jPlPS6_PKS6_NS0_5tupleIJS9_S6_EEENSD_IJSA_SA_EEENS0_18inequality_wrapperIZN2at6native12_GLOBAL__N_124unique_dim_cuda_templateIfEESt5tupleIJNSH_6TensorESM_SM_EERKSM_lbbbEUlllE0_EEPmJS6_EEE10hipError_tPvRmT3_T4_T5_T6_T7_T9_mT8_P12ihipStream_tbDpT10_ENKUlT_T0_E_clISt17integral_constantIbLb0EES1C_EEDaS17_S18_EUlS17_E_NS1_11comp_targetILNS1_3genE8ELNS1_11target_archE1030ELNS1_3gpuE2ELNS1_3repE0EEENS1_30default_config_static_selectorELNS0_4arch9wavefront6targetE1EEEvT1_
		.amdhsa_group_segment_fixed_size 0
		.amdhsa_private_segment_fixed_size 0
		.amdhsa_kernarg_size 120
		.amdhsa_user_sgpr_count 2
		.amdhsa_user_sgpr_dispatch_ptr 0
		.amdhsa_user_sgpr_queue_ptr 0
		.amdhsa_user_sgpr_kernarg_segment_ptr 1
		.amdhsa_user_sgpr_dispatch_id 0
		.amdhsa_user_sgpr_kernarg_preload_length 0
		.amdhsa_user_sgpr_kernarg_preload_offset 0
		.amdhsa_user_sgpr_private_segment_size 0
		.amdhsa_uses_dynamic_stack 0
		.amdhsa_enable_private_segment 0
		.amdhsa_system_sgpr_workgroup_id_x 1
		.amdhsa_system_sgpr_workgroup_id_y 0
		.amdhsa_system_sgpr_workgroup_id_z 0
		.amdhsa_system_sgpr_workgroup_info 0
		.amdhsa_system_vgpr_workitem_id 0
		.amdhsa_next_free_vgpr 1
		.amdhsa_next_free_sgpr 0
		.amdhsa_accum_offset 4
		.amdhsa_reserve_vcc 0
		.amdhsa_float_round_mode_32 0
		.amdhsa_float_round_mode_16_64 0
		.amdhsa_float_denorm_mode_32 3
		.amdhsa_float_denorm_mode_16_64 3
		.amdhsa_dx10_clamp 1
		.amdhsa_ieee_mode 1
		.amdhsa_fp16_overflow 0
		.amdhsa_tg_split 0
		.amdhsa_exception_fp_ieee_invalid_op 0
		.amdhsa_exception_fp_denorm_src 0
		.amdhsa_exception_fp_ieee_div_zero 0
		.amdhsa_exception_fp_ieee_overflow 0
		.amdhsa_exception_fp_ieee_underflow 0
		.amdhsa_exception_fp_ieee_inexact 0
		.amdhsa_exception_int_div_zero 0
	.end_amdhsa_kernel
	.section	.text._ZN7rocprim17ROCPRIM_400000_NS6detail17trampoline_kernelINS0_14default_configENS1_25partition_config_selectorILNS1_17partition_subalgoE8ElNS0_10empty_typeEbEEZZNS1_14partition_implILS5_8ELb0ES3_jPlPS6_PKS6_NS0_5tupleIJS9_S6_EEENSD_IJSA_SA_EEENS0_18inequality_wrapperIZN2at6native12_GLOBAL__N_124unique_dim_cuda_templateIfEESt5tupleIJNSH_6TensorESM_SM_EERKSM_lbbbEUlllE0_EEPmJS6_EEE10hipError_tPvRmT3_T4_T5_T6_T7_T9_mT8_P12ihipStream_tbDpT10_ENKUlT_T0_E_clISt17integral_constantIbLb0EES1C_EEDaS17_S18_EUlS17_E_NS1_11comp_targetILNS1_3genE8ELNS1_11target_archE1030ELNS1_3gpuE2ELNS1_3repE0EEENS1_30default_config_static_selectorELNS0_4arch9wavefront6targetE1EEEvT1_,"axG",@progbits,_ZN7rocprim17ROCPRIM_400000_NS6detail17trampoline_kernelINS0_14default_configENS1_25partition_config_selectorILNS1_17partition_subalgoE8ElNS0_10empty_typeEbEEZZNS1_14partition_implILS5_8ELb0ES3_jPlPS6_PKS6_NS0_5tupleIJS9_S6_EEENSD_IJSA_SA_EEENS0_18inequality_wrapperIZN2at6native12_GLOBAL__N_124unique_dim_cuda_templateIfEESt5tupleIJNSH_6TensorESM_SM_EERKSM_lbbbEUlllE0_EEPmJS6_EEE10hipError_tPvRmT3_T4_T5_T6_T7_T9_mT8_P12ihipStream_tbDpT10_ENKUlT_T0_E_clISt17integral_constantIbLb0EES1C_EEDaS17_S18_EUlS17_E_NS1_11comp_targetILNS1_3genE8ELNS1_11target_archE1030ELNS1_3gpuE2ELNS1_3repE0EEENS1_30default_config_static_selectorELNS0_4arch9wavefront6targetE1EEEvT1_,comdat
.Lfunc_end936:
	.size	_ZN7rocprim17ROCPRIM_400000_NS6detail17trampoline_kernelINS0_14default_configENS1_25partition_config_selectorILNS1_17partition_subalgoE8ElNS0_10empty_typeEbEEZZNS1_14partition_implILS5_8ELb0ES3_jPlPS6_PKS6_NS0_5tupleIJS9_S6_EEENSD_IJSA_SA_EEENS0_18inequality_wrapperIZN2at6native12_GLOBAL__N_124unique_dim_cuda_templateIfEESt5tupleIJNSH_6TensorESM_SM_EERKSM_lbbbEUlllE0_EEPmJS6_EEE10hipError_tPvRmT3_T4_T5_T6_T7_T9_mT8_P12ihipStream_tbDpT10_ENKUlT_T0_E_clISt17integral_constantIbLb0EES1C_EEDaS17_S18_EUlS17_E_NS1_11comp_targetILNS1_3genE8ELNS1_11target_archE1030ELNS1_3gpuE2ELNS1_3repE0EEENS1_30default_config_static_selectorELNS0_4arch9wavefront6targetE1EEEvT1_, .Lfunc_end936-_ZN7rocprim17ROCPRIM_400000_NS6detail17trampoline_kernelINS0_14default_configENS1_25partition_config_selectorILNS1_17partition_subalgoE8ElNS0_10empty_typeEbEEZZNS1_14partition_implILS5_8ELb0ES3_jPlPS6_PKS6_NS0_5tupleIJS9_S6_EEENSD_IJSA_SA_EEENS0_18inequality_wrapperIZN2at6native12_GLOBAL__N_124unique_dim_cuda_templateIfEESt5tupleIJNSH_6TensorESM_SM_EERKSM_lbbbEUlllE0_EEPmJS6_EEE10hipError_tPvRmT3_T4_T5_T6_T7_T9_mT8_P12ihipStream_tbDpT10_ENKUlT_T0_E_clISt17integral_constantIbLb0EES1C_EEDaS17_S18_EUlS17_E_NS1_11comp_targetILNS1_3genE8ELNS1_11target_archE1030ELNS1_3gpuE2ELNS1_3repE0EEENS1_30default_config_static_selectorELNS0_4arch9wavefront6targetE1EEEvT1_
                                        ; -- End function
	.set _ZN7rocprim17ROCPRIM_400000_NS6detail17trampoline_kernelINS0_14default_configENS1_25partition_config_selectorILNS1_17partition_subalgoE8ElNS0_10empty_typeEbEEZZNS1_14partition_implILS5_8ELb0ES3_jPlPS6_PKS6_NS0_5tupleIJS9_S6_EEENSD_IJSA_SA_EEENS0_18inequality_wrapperIZN2at6native12_GLOBAL__N_124unique_dim_cuda_templateIfEESt5tupleIJNSH_6TensorESM_SM_EERKSM_lbbbEUlllE0_EEPmJS6_EEE10hipError_tPvRmT3_T4_T5_T6_T7_T9_mT8_P12ihipStream_tbDpT10_ENKUlT_T0_E_clISt17integral_constantIbLb0EES1C_EEDaS17_S18_EUlS17_E_NS1_11comp_targetILNS1_3genE8ELNS1_11target_archE1030ELNS1_3gpuE2ELNS1_3repE0EEENS1_30default_config_static_selectorELNS0_4arch9wavefront6targetE1EEEvT1_.num_vgpr, 0
	.set _ZN7rocprim17ROCPRIM_400000_NS6detail17trampoline_kernelINS0_14default_configENS1_25partition_config_selectorILNS1_17partition_subalgoE8ElNS0_10empty_typeEbEEZZNS1_14partition_implILS5_8ELb0ES3_jPlPS6_PKS6_NS0_5tupleIJS9_S6_EEENSD_IJSA_SA_EEENS0_18inequality_wrapperIZN2at6native12_GLOBAL__N_124unique_dim_cuda_templateIfEESt5tupleIJNSH_6TensorESM_SM_EERKSM_lbbbEUlllE0_EEPmJS6_EEE10hipError_tPvRmT3_T4_T5_T6_T7_T9_mT8_P12ihipStream_tbDpT10_ENKUlT_T0_E_clISt17integral_constantIbLb0EES1C_EEDaS17_S18_EUlS17_E_NS1_11comp_targetILNS1_3genE8ELNS1_11target_archE1030ELNS1_3gpuE2ELNS1_3repE0EEENS1_30default_config_static_selectorELNS0_4arch9wavefront6targetE1EEEvT1_.num_agpr, 0
	.set _ZN7rocprim17ROCPRIM_400000_NS6detail17trampoline_kernelINS0_14default_configENS1_25partition_config_selectorILNS1_17partition_subalgoE8ElNS0_10empty_typeEbEEZZNS1_14partition_implILS5_8ELb0ES3_jPlPS6_PKS6_NS0_5tupleIJS9_S6_EEENSD_IJSA_SA_EEENS0_18inequality_wrapperIZN2at6native12_GLOBAL__N_124unique_dim_cuda_templateIfEESt5tupleIJNSH_6TensorESM_SM_EERKSM_lbbbEUlllE0_EEPmJS6_EEE10hipError_tPvRmT3_T4_T5_T6_T7_T9_mT8_P12ihipStream_tbDpT10_ENKUlT_T0_E_clISt17integral_constantIbLb0EES1C_EEDaS17_S18_EUlS17_E_NS1_11comp_targetILNS1_3genE8ELNS1_11target_archE1030ELNS1_3gpuE2ELNS1_3repE0EEENS1_30default_config_static_selectorELNS0_4arch9wavefront6targetE1EEEvT1_.numbered_sgpr, 0
	.set _ZN7rocprim17ROCPRIM_400000_NS6detail17trampoline_kernelINS0_14default_configENS1_25partition_config_selectorILNS1_17partition_subalgoE8ElNS0_10empty_typeEbEEZZNS1_14partition_implILS5_8ELb0ES3_jPlPS6_PKS6_NS0_5tupleIJS9_S6_EEENSD_IJSA_SA_EEENS0_18inequality_wrapperIZN2at6native12_GLOBAL__N_124unique_dim_cuda_templateIfEESt5tupleIJNSH_6TensorESM_SM_EERKSM_lbbbEUlllE0_EEPmJS6_EEE10hipError_tPvRmT3_T4_T5_T6_T7_T9_mT8_P12ihipStream_tbDpT10_ENKUlT_T0_E_clISt17integral_constantIbLb0EES1C_EEDaS17_S18_EUlS17_E_NS1_11comp_targetILNS1_3genE8ELNS1_11target_archE1030ELNS1_3gpuE2ELNS1_3repE0EEENS1_30default_config_static_selectorELNS0_4arch9wavefront6targetE1EEEvT1_.num_named_barrier, 0
	.set _ZN7rocprim17ROCPRIM_400000_NS6detail17trampoline_kernelINS0_14default_configENS1_25partition_config_selectorILNS1_17partition_subalgoE8ElNS0_10empty_typeEbEEZZNS1_14partition_implILS5_8ELb0ES3_jPlPS6_PKS6_NS0_5tupleIJS9_S6_EEENSD_IJSA_SA_EEENS0_18inequality_wrapperIZN2at6native12_GLOBAL__N_124unique_dim_cuda_templateIfEESt5tupleIJNSH_6TensorESM_SM_EERKSM_lbbbEUlllE0_EEPmJS6_EEE10hipError_tPvRmT3_T4_T5_T6_T7_T9_mT8_P12ihipStream_tbDpT10_ENKUlT_T0_E_clISt17integral_constantIbLb0EES1C_EEDaS17_S18_EUlS17_E_NS1_11comp_targetILNS1_3genE8ELNS1_11target_archE1030ELNS1_3gpuE2ELNS1_3repE0EEENS1_30default_config_static_selectorELNS0_4arch9wavefront6targetE1EEEvT1_.private_seg_size, 0
	.set _ZN7rocprim17ROCPRIM_400000_NS6detail17trampoline_kernelINS0_14default_configENS1_25partition_config_selectorILNS1_17partition_subalgoE8ElNS0_10empty_typeEbEEZZNS1_14partition_implILS5_8ELb0ES3_jPlPS6_PKS6_NS0_5tupleIJS9_S6_EEENSD_IJSA_SA_EEENS0_18inequality_wrapperIZN2at6native12_GLOBAL__N_124unique_dim_cuda_templateIfEESt5tupleIJNSH_6TensorESM_SM_EERKSM_lbbbEUlllE0_EEPmJS6_EEE10hipError_tPvRmT3_T4_T5_T6_T7_T9_mT8_P12ihipStream_tbDpT10_ENKUlT_T0_E_clISt17integral_constantIbLb0EES1C_EEDaS17_S18_EUlS17_E_NS1_11comp_targetILNS1_3genE8ELNS1_11target_archE1030ELNS1_3gpuE2ELNS1_3repE0EEENS1_30default_config_static_selectorELNS0_4arch9wavefront6targetE1EEEvT1_.uses_vcc, 0
	.set _ZN7rocprim17ROCPRIM_400000_NS6detail17trampoline_kernelINS0_14default_configENS1_25partition_config_selectorILNS1_17partition_subalgoE8ElNS0_10empty_typeEbEEZZNS1_14partition_implILS5_8ELb0ES3_jPlPS6_PKS6_NS0_5tupleIJS9_S6_EEENSD_IJSA_SA_EEENS0_18inequality_wrapperIZN2at6native12_GLOBAL__N_124unique_dim_cuda_templateIfEESt5tupleIJNSH_6TensorESM_SM_EERKSM_lbbbEUlllE0_EEPmJS6_EEE10hipError_tPvRmT3_T4_T5_T6_T7_T9_mT8_P12ihipStream_tbDpT10_ENKUlT_T0_E_clISt17integral_constantIbLb0EES1C_EEDaS17_S18_EUlS17_E_NS1_11comp_targetILNS1_3genE8ELNS1_11target_archE1030ELNS1_3gpuE2ELNS1_3repE0EEENS1_30default_config_static_selectorELNS0_4arch9wavefront6targetE1EEEvT1_.uses_flat_scratch, 0
	.set _ZN7rocprim17ROCPRIM_400000_NS6detail17trampoline_kernelINS0_14default_configENS1_25partition_config_selectorILNS1_17partition_subalgoE8ElNS0_10empty_typeEbEEZZNS1_14partition_implILS5_8ELb0ES3_jPlPS6_PKS6_NS0_5tupleIJS9_S6_EEENSD_IJSA_SA_EEENS0_18inequality_wrapperIZN2at6native12_GLOBAL__N_124unique_dim_cuda_templateIfEESt5tupleIJNSH_6TensorESM_SM_EERKSM_lbbbEUlllE0_EEPmJS6_EEE10hipError_tPvRmT3_T4_T5_T6_T7_T9_mT8_P12ihipStream_tbDpT10_ENKUlT_T0_E_clISt17integral_constantIbLb0EES1C_EEDaS17_S18_EUlS17_E_NS1_11comp_targetILNS1_3genE8ELNS1_11target_archE1030ELNS1_3gpuE2ELNS1_3repE0EEENS1_30default_config_static_selectorELNS0_4arch9wavefront6targetE1EEEvT1_.has_dyn_sized_stack, 0
	.set _ZN7rocprim17ROCPRIM_400000_NS6detail17trampoline_kernelINS0_14default_configENS1_25partition_config_selectorILNS1_17partition_subalgoE8ElNS0_10empty_typeEbEEZZNS1_14partition_implILS5_8ELb0ES3_jPlPS6_PKS6_NS0_5tupleIJS9_S6_EEENSD_IJSA_SA_EEENS0_18inequality_wrapperIZN2at6native12_GLOBAL__N_124unique_dim_cuda_templateIfEESt5tupleIJNSH_6TensorESM_SM_EERKSM_lbbbEUlllE0_EEPmJS6_EEE10hipError_tPvRmT3_T4_T5_T6_T7_T9_mT8_P12ihipStream_tbDpT10_ENKUlT_T0_E_clISt17integral_constantIbLb0EES1C_EEDaS17_S18_EUlS17_E_NS1_11comp_targetILNS1_3genE8ELNS1_11target_archE1030ELNS1_3gpuE2ELNS1_3repE0EEENS1_30default_config_static_selectorELNS0_4arch9wavefront6targetE1EEEvT1_.has_recursion, 0
	.set _ZN7rocprim17ROCPRIM_400000_NS6detail17trampoline_kernelINS0_14default_configENS1_25partition_config_selectorILNS1_17partition_subalgoE8ElNS0_10empty_typeEbEEZZNS1_14partition_implILS5_8ELb0ES3_jPlPS6_PKS6_NS0_5tupleIJS9_S6_EEENSD_IJSA_SA_EEENS0_18inequality_wrapperIZN2at6native12_GLOBAL__N_124unique_dim_cuda_templateIfEESt5tupleIJNSH_6TensorESM_SM_EERKSM_lbbbEUlllE0_EEPmJS6_EEE10hipError_tPvRmT3_T4_T5_T6_T7_T9_mT8_P12ihipStream_tbDpT10_ENKUlT_T0_E_clISt17integral_constantIbLb0EES1C_EEDaS17_S18_EUlS17_E_NS1_11comp_targetILNS1_3genE8ELNS1_11target_archE1030ELNS1_3gpuE2ELNS1_3repE0EEENS1_30default_config_static_selectorELNS0_4arch9wavefront6targetE1EEEvT1_.has_indirect_call, 0
	.section	.AMDGPU.csdata,"",@progbits
; Kernel info:
; codeLenInByte = 0
; TotalNumSgprs: 6
; NumVgprs: 0
; NumAgprs: 0
; TotalNumVgprs: 0
; ScratchSize: 0
; MemoryBound: 0
; FloatMode: 240
; IeeeMode: 1
; LDSByteSize: 0 bytes/workgroup (compile time only)
; SGPRBlocks: 0
; VGPRBlocks: 0
; NumSGPRsForWavesPerEU: 6
; NumVGPRsForWavesPerEU: 1
; AccumOffset: 4
; Occupancy: 8
; WaveLimiterHint : 0
; COMPUTE_PGM_RSRC2:SCRATCH_EN: 0
; COMPUTE_PGM_RSRC2:USER_SGPR: 2
; COMPUTE_PGM_RSRC2:TRAP_HANDLER: 0
; COMPUTE_PGM_RSRC2:TGID_X_EN: 1
; COMPUTE_PGM_RSRC2:TGID_Y_EN: 0
; COMPUTE_PGM_RSRC2:TGID_Z_EN: 0
; COMPUTE_PGM_RSRC2:TIDIG_COMP_CNT: 0
; COMPUTE_PGM_RSRC3_GFX90A:ACCUM_OFFSET: 0
; COMPUTE_PGM_RSRC3_GFX90A:TG_SPLIT: 0
	.section	.text._ZN7rocprim17ROCPRIM_400000_NS6detail17trampoline_kernelINS0_14default_configENS1_25partition_config_selectorILNS1_17partition_subalgoE8ElNS0_10empty_typeEbEEZZNS1_14partition_implILS5_8ELb0ES3_jPlPS6_PKS6_NS0_5tupleIJS9_S6_EEENSD_IJSA_SA_EEENS0_18inequality_wrapperIZN2at6native12_GLOBAL__N_124unique_dim_cuda_templateIfEESt5tupleIJNSH_6TensorESM_SM_EERKSM_lbbbEUlllE0_EEPmJS6_EEE10hipError_tPvRmT3_T4_T5_T6_T7_T9_mT8_P12ihipStream_tbDpT10_ENKUlT_T0_E_clISt17integral_constantIbLb1EES1C_EEDaS17_S18_EUlS17_E_NS1_11comp_targetILNS1_3genE0ELNS1_11target_archE4294967295ELNS1_3gpuE0ELNS1_3repE0EEENS1_30default_config_static_selectorELNS0_4arch9wavefront6targetE1EEEvT1_,"axG",@progbits,_ZN7rocprim17ROCPRIM_400000_NS6detail17trampoline_kernelINS0_14default_configENS1_25partition_config_selectorILNS1_17partition_subalgoE8ElNS0_10empty_typeEbEEZZNS1_14partition_implILS5_8ELb0ES3_jPlPS6_PKS6_NS0_5tupleIJS9_S6_EEENSD_IJSA_SA_EEENS0_18inequality_wrapperIZN2at6native12_GLOBAL__N_124unique_dim_cuda_templateIfEESt5tupleIJNSH_6TensorESM_SM_EERKSM_lbbbEUlllE0_EEPmJS6_EEE10hipError_tPvRmT3_T4_T5_T6_T7_T9_mT8_P12ihipStream_tbDpT10_ENKUlT_T0_E_clISt17integral_constantIbLb1EES1C_EEDaS17_S18_EUlS17_E_NS1_11comp_targetILNS1_3genE0ELNS1_11target_archE4294967295ELNS1_3gpuE0ELNS1_3repE0EEENS1_30default_config_static_selectorELNS0_4arch9wavefront6targetE1EEEvT1_,comdat
	.globl	_ZN7rocprim17ROCPRIM_400000_NS6detail17trampoline_kernelINS0_14default_configENS1_25partition_config_selectorILNS1_17partition_subalgoE8ElNS0_10empty_typeEbEEZZNS1_14partition_implILS5_8ELb0ES3_jPlPS6_PKS6_NS0_5tupleIJS9_S6_EEENSD_IJSA_SA_EEENS0_18inequality_wrapperIZN2at6native12_GLOBAL__N_124unique_dim_cuda_templateIfEESt5tupleIJNSH_6TensorESM_SM_EERKSM_lbbbEUlllE0_EEPmJS6_EEE10hipError_tPvRmT3_T4_T5_T6_T7_T9_mT8_P12ihipStream_tbDpT10_ENKUlT_T0_E_clISt17integral_constantIbLb1EES1C_EEDaS17_S18_EUlS17_E_NS1_11comp_targetILNS1_3genE0ELNS1_11target_archE4294967295ELNS1_3gpuE0ELNS1_3repE0EEENS1_30default_config_static_selectorELNS0_4arch9wavefront6targetE1EEEvT1_ ; -- Begin function _ZN7rocprim17ROCPRIM_400000_NS6detail17trampoline_kernelINS0_14default_configENS1_25partition_config_selectorILNS1_17partition_subalgoE8ElNS0_10empty_typeEbEEZZNS1_14partition_implILS5_8ELb0ES3_jPlPS6_PKS6_NS0_5tupleIJS9_S6_EEENSD_IJSA_SA_EEENS0_18inequality_wrapperIZN2at6native12_GLOBAL__N_124unique_dim_cuda_templateIfEESt5tupleIJNSH_6TensorESM_SM_EERKSM_lbbbEUlllE0_EEPmJS6_EEE10hipError_tPvRmT3_T4_T5_T6_T7_T9_mT8_P12ihipStream_tbDpT10_ENKUlT_T0_E_clISt17integral_constantIbLb1EES1C_EEDaS17_S18_EUlS17_E_NS1_11comp_targetILNS1_3genE0ELNS1_11target_archE4294967295ELNS1_3gpuE0ELNS1_3repE0EEENS1_30default_config_static_selectorELNS0_4arch9wavefront6targetE1EEEvT1_
	.p2align	8
	.type	_ZN7rocprim17ROCPRIM_400000_NS6detail17trampoline_kernelINS0_14default_configENS1_25partition_config_selectorILNS1_17partition_subalgoE8ElNS0_10empty_typeEbEEZZNS1_14partition_implILS5_8ELb0ES3_jPlPS6_PKS6_NS0_5tupleIJS9_S6_EEENSD_IJSA_SA_EEENS0_18inequality_wrapperIZN2at6native12_GLOBAL__N_124unique_dim_cuda_templateIfEESt5tupleIJNSH_6TensorESM_SM_EERKSM_lbbbEUlllE0_EEPmJS6_EEE10hipError_tPvRmT3_T4_T5_T6_T7_T9_mT8_P12ihipStream_tbDpT10_ENKUlT_T0_E_clISt17integral_constantIbLb1EES1C_EEDaS17_S18_EUlS17_E_NS1_11comp_targetILNS1_3genE0ELNS1_11target_archE4294967295ELNS1_3gpuE0ELNS1_3repE0EEENS1_30default_config_static_selectorELNS0_4arch9wavefront6targetE1EEEvT1_,@function
_ZN7rocprim17ROCPRIM_400000_NS6detail17trampoline_kernelINS0_14default_configENS1_25partition_config_selectorILNS1_17partition_subalgoE8ElNS0_10empty_typeEbEEZZNS1_14partition_implILS5_8ELb0ES3_jPlPS6_PKS6_NS0_5tupleIJS9_S6_EEENSD_IJSA_SA_EEENS0_18inequality_wrapperIZN2at6native12_GLOBAL__N_124unique_dim_cuda_templateIfEESt5tupleIJNSH_6TensorESM_SM_EERKSM_lbbbEUlllE0_EEPmJS6_EEE10hipError_tPvRmT3_T4_T5_T6_T7_T9_mT8_P12ihipStream_tbDpT10_ENKUlT_T0_E_clISt17integral_constantIbLb1EES1C_EEDaS17_S18_EUlS17_E_NS1_11comp_targetILNS1_3genE0ELNS1_11target_archE4294967295ELNS1_3gpuE0ELNS1_3repE0EEENS1_30default_config_static_selectorELNS0_4arch9wavefront6targetE1EEEvT1_: ; @_ZN7rocprim17ROCPRIM_400000_NS6detail17trampoline_kernelINS0_14default_configENS1_25partition_config_selectorILNS1_17partition_subalgoE8ElNS0_10empty_typeEbEEZZNS1_14partition_implILS5_8ELb0ES3_jPlPS6_PKS6_NS0_5tupleIJS9_S6_EEENSD_IJSA_SA_EEENS0_18inequality_wrapperIZN2at6native12_GLOBAL__N_124unique_dim_cuda_templateIfEESt5tupleIJNSH_6TensorESM_SM_EERKSM_lbbbEUlllE0_EEPmJS6_EEE10hipError_tPvRmT3_T4_T5_T6_T7_T9_mT8_P12ihipStream_tbDpT10_ENKUlT_T0_E_clISt17integral_constantIbLb1EES1C_EEDaS17_S18_EUlS17_E_NS1_11comp_targetILNS1_3genE0ELNS1_11target_archE4294967295ELNS1_3gpuE0ELNS1_3repE0EEENS1_30default_config_static_selectorELNS0_4arch9wavefront6targetE1EEEvT1_
; %bb.0:
	s_endpgm
	.section	.rodata,"a",@progbits
	.p2align	6, 0x0
	.amdhsa_kernel _ZN7rocprim17ROCPRIM_400000_NS6detail17trampoline_kernelINS0_14default_configENS1_25partition_config_selectorILNS1_17partition_subalgoE8ElNS0_10empty_typeEbEEZZNS1_14partition_implILS5_8ELb0ES3_jPlPS6_PKS6_NS0_5tupleIJS9_S6_EEENSD_IJSA_SA_EEENS0_18inequality_wrapperIZN2at6native12_GLOBAL__N_124unique_dim_cuda_templateIfEESt5tupleIJNSH_6TensorESM_SM_EERKSM_lbbbEUlllE0_EEPmJS6_EEE10hipError_tPvRmT3_T4_T5_T6_T7_T9_mT8_P12ihipStream_tbDpT10_ENKUlT_T0_E_clISt17integral_constantIbLb1EES1C_EEDaS17_S18_EUlS17_E_NS1_11comp_targetILNS1_3genE0ELNS1_11target_archE4294967295ELNS1_3gpuE0ELNS1_3repE0EEENS1_30default_config_static_selectorELNS0_4arch9wavefront6targetE1EEEvT1_
		.amdhsa_group_segment_fixed_size 0
		.amdhsa_private_segment_fixed_size 0
		.amdhsa_kernarg_size 136
		.amdhsa_user_sgpr_count 2
		.amdhsa_user_sgpr_dispatch_ptr 0
		.amdhsa_user_sgpr_queue_ptr 0
		.amdhsa_user_sgpr_kernarg_segment_ptr 1
		.amdhsa_user_sgpr_dispatch_id 0
		.amdhsa_user_sgpr_kernarg_preload_length 0
		.amdhsa_user_sgpr_kernarg_preload_offset 0
		.amdhsa_user_sgpr_private_segment_size 0
		.amdhsa_uses_dynamic_stack 0
		.amdhsa_enable_private_segment 0
		.amdhsa_system_sgpr_workgroup_id_x 1
		.amdhsa_system_sgpr_workgroup_id_y 0
		.amdhsa_system_sgpr_workgroup_id_z 0
		.amdhsa_system_sgpr_workgroup_info 0
		.amdhsa_system_vgpr_workitem_id 0
		.amdhsa_next_free_vgpr 1
		.amdhsa_next_free_sgpr 0
		.amdhsa_accum_offset 4
		.amdhsa_reserve_vcc 0
		.amdhsa_float_round_mode_32 0
		.amdhsa_float_round_mode_16_64 0
		.amdhsa_float_denorm_mode_32 3
		.amdhsa_float_denorm_mode_16_64 3
		.amdhsa_dx10_clamp 1
		.amdhsa_ieee_mode 1
		.amdhsa_fp16_overflow 0
		.amdhsa_tg_split 0
		.amdhsa_exception_fp_ieee_invalid_op 0
		.amdhsa_exception_fp_denorm_src 0
		.amdhsa_exception_fp_ieee_div_zero 0
		.amdhsa_exception_fp_ieee_overflow 0
		.amdhsa_exception_fp_ieee_underflow 0
		.amdhsa_exception_fp_ieee_inexact 0
		.amdhsa_exception_int_div_zero 0
	.end_amdhsa_kernel
	.section	.text._ZN7rocprim17ROCPRIM_400000_NS6detail17trampoline_kernelINS0_14default_configENS1_25partition_config_selectorILNS1_17partition_subalgoE8ElNS0_10empty_typeEbEEZZNS1_14partition_implILS5_8ELb0ES3_jPlPS6_PKS6_NS0_5tupleIJS9_S6_EEENSD_IJSA_SA_EEENS0_18inequality_wrapperIZN2at6native12_GLOBAL__N_124unique_dim_cuda_templateIfEESt5tupleIJNSH_6TensorESM_SM_EERKSM_lbbbEUlllE0_EEPmJS6_EEE10hipError_tPvRmT3_T4_T5_T6_T7_T9_mT8_P12ihipStream_tbDpT10_ENKUlT_T0_E_clISt17integral_constantIbLb1EES1C_EEDaS17_S18_EUlS17_E_NS1_11comp_targetILNS1_3genE0ELNS1_11target_archE4294967295ELNS1_3gpuE0ELNS1_3repE0EEENS1_30default_config_static_selectorELNS0_4arch9wavefront6targetE1EEEvT1_,"axG",@progbits,_ZN7rocprim17ROCPRIM_400000_NS6detail17trampoline_kernelINS0_14default_configENS1_25partition_config_selectorILNS1_17partition_subalgoE8ElNS0_10empty_typeEbEEZZNS1_14partition_implILS5_8ELb0ES3_jPlPS6_PKS6_NS0_5tupleIJS9_S6_EEENSD_IJSA_SA_EEENS0_18inequality_wrapperIZN2at6native12_GLOBAL__N_124unique_dim_cuda_templateIfEESt5tupleIJNSH_6TensorESM_SM_EERKSM_lbbbEUlllE0_EEPmJS6_EEE10hipError_tPvRmT3_T4_T5_T6_T7_T9_mT8_P12ihipStream_tbDpT10_ENKUlT_T0_E_clISt17integral_constantIbLb1EES1C_EEDaS17_S18_EUlS17_E_NS1_11comp_targetILNS1_3genE0ELNS1_11target_archE4294967295ELNS1_3gpuE0ELNS1_3repE0EEENS1_30default_config_static_selectorELNS0_4arch9wavefront6targetE1EEEvT1_,comdat
.Lfunc_end937:
	.size	_ZN7rocprim17ROCPRIM_400000_NS6detail17trampoline_kernelINS0_14default_configENS1_25partition_config_selectorILNS1_17partition_subalgoE8ElNS0_10empty_typeEbEEZZNS1_14partition_implILS5_8ELb0ES3_jPlPS6_PKS6_NS0_5tupleIJS9_S6_EEENSD_IJSA_SA_EEENS0_18inequality_wrapperIZN2at6native12_GLOBAL__N_124unique_dim_cuda_templateIfEESt5tupleIJNSH_6TensorESM_SM_EERKSM_lbbbEUlllE0_EEPmJS6_EEE10hipError_tPvRmT3_T4_T5_T6_T7_T9_mT8_P12ihipStream_tbDpT10_ENKUlT_T0_E_clISt17integral_constantIbLb1EES1C_EEDaS17_S18_EUlS17_E_NS1_11comp_targetILNS1_3genE0ELNS1_11target_archE4294967295ELNS1_3gpuE0ELNS1_3repE0EEENS1_30default_config_static_selectorELNS0_4arch9wavefront6targetE1EEEvT1_, .Lfunc_end937-_ZN7rocprim17ROCPRIM_400000_NS6detail17trampoline_kernelINS0_14default_configENS1_25partition_config_selectorILNS1_17partition_subalgoE8ElNS0_10empty_typeEbEEZZNS1_14partition_implILS5_8ELb0ES3_jPlPS6_PKS6_NS0_5tupleIJS9_S6_EEENSD_IJSA_SA_EEENS0_18inequality_wrapperIZN2at6native12_GLOBAL__N_124unique_dim_cuda_templateIfEESt5tupleIJNSH_6TensorESM_SM_EERKSM_lbbbEUlllE0_EEPmJS6_EEE10hipError_tPvRmT3_T4_T5_T6_T7_T9_mT8_P12ihipStream_tbDpT10_ENKUlT_T0_E_clISt17integral_constantIbLb1EES1C_EEDaS17_S18_EUlS17_E_NS1_11comp_targetILNS1_3genE0ELNS1_11target_archE4294967295ELNS1_3gpuE0ELNS1_3repE0EEENS1_30default_config_static_selectorELNS0_4arch9wavefront6targetE1EEEvT1_
                                        ; -- End function
	.set _ZN7rocprim17ROCPRIM_400000_NS6detail17trampoline_kernelINS0_14default_configENS1_25partition_config_selectorILNS1_17partition_subalgoE8ElNS0_10empty_typeEbEEZZNS1_14partition_implILS5_8ELb0ES3_jPlPS6_PKS6_NS0_5tupleIJS9_S6_EEENSD_IJSA_SA_EEENS0_18inequality_wrapperIZN2at6native12_GLOBAL__N_124unique_dim_cuda_templateIfEESt5tupleIJNSH_6TensorESM_SM_EERKSM_lbbbEUlllE0_EEPmJS6_EEE10hipError_tPvRmT3_T4_T5_T6_T7_T9_mT8_P12ihipStream_tbDpT10_ENKUlT_T0_E_clISt17integral_constantIbLb1EES1C_EEDaS17_S18_EUlS17_E_NS1_11comp_targetILNS1_3genE0ELNS1_11target_archE4294967295ELNS1_3gpuE0ELNS1_3repE0EEENS1_30default_config_static_selectorELNS0_4arch9wavefront6targetE1EEEvT1_.num_vgpr, 0
	.set _ZN7rocprim17ROCPRIM_400000_NS6detail17trampoline_kernelINS0_14default_configENS1_25partition_config_selectorILNS1_17partition_subalgoE8ElNS0_10empty_typeEbEEZZNS1_14partition_implILS5_8ELb0ES3_jPlPS6_PKS6_NS0_5tupleIJS9_S6_EEENSD_IJSA_SA_EEENS0_18inequality_wrapperIZN2at6native12_GLOBAL__N_124unique_dim_cuda_templateIfEESt5tupleIJNSH_6TensorESM_SM_EERKSM_lbbbEUlllE0_EEPmJS6_EEE10hipError_tPvRmT3_T4_T5_T6_T7_T9_mT8_P12ihipStream_tbDpT10_ENKUlT_T0_E_clISt17integral_constantIbLb1EES1C_EEDaS17_S18_EUlS17_E_NS1_11comp_targetILNS1_3genE0ELNS1_11target_archE4294967295ELNS1_3gpuE0ELNS1_3repE0EEENS1_30default_config_static_selectorELNS0_4arch9wavefront6targetE1EEEvT1_.num_agpr, 0
	.set _ZN7rocprim17ROCPRIM_400000_NS6detail17trampoline_kernelINS0_14default_configENS1_25partition_config_selectorILNS1_17partition_subalgoE8ElNS0_10empty_typeEbEEZZNS1_14partition_implILS5_8ELb0ES3_jPlPS6_PKS6_NS0_5tupleIJS9_S6_EEENSD_IJSA_SA_EEENS0_18inequality_wrapperIZN2at6native12_GLOBAL__N_124unique_dim_cuda_templateIfEESt5tupleIJNSH_6TensorESM_SM_EERKSM_lbbbEUlllE0_EEPmJS6_EEE10hipError_tPvRmT3_T4_T5_T6_T7_T9_mT8_P12ihipStream_tbDpT10_ENKUlT_T0_E_clISt17integral_constantIbLb1EES1C_EEDaS17_S18_EUlS17_E_NS1_11comp_targetILNS1_3genE0ELNS1_11target_archE4294967295ELNS1_3gpuE0ELNS1_3repE0EEENS1_30default_config_static_selectorELNS0_4arch9wavefront6targetE1EEEvT1_.numbered_sgpr, 0
	.set _ZN7rocprim17ROCPRIM_400000_NS6detail17trampoline_kernelINS0_14default_configENS1_25partition_config_selectorILNS1_17partition_subalgoE8ElNS0_10empty_typeEbEEZZNS1_14partition_implILS5_8ELb0ES3_jPlPS6_PKS6_NS0_5tupleIJS9_S6_EEENSD_IJSA_SA_EEENS0_18inequality_wrapperIZN2at6native12_GLOBAL__N_124unique_dim_cuda_templateIfEESt5tupleIJNSH_6TensorESM_SM_EERKSM_lbbbEUlllE0_EEPmJS6_EEE10hipError_tPvRmT3_T4_T5_T6_T7_T9_mT8_P12ihipStream_tbDpT10_ENKUlT_T0_E_clISt17integral_constantIbLb1EES1C_EEDaS17_S18_EUlS17_E_NS1_11comp_targetILNS1_3genE0ELNS1_11target_archE4294967295ELNS1_3gpuE0ELNS1_3repE0EEENS1_30default_config_static_selectorELNS0_4arch9wavefront6targetE1EEEvT1_.num_named_barrier, 0
	.set _ZN7rocprim17ROCPRIM_400000_NS6detail17trampoline_kernelINS0_14default_configENS1_25partition_config_selectorILNS1_17partition_subalgoE8ElNS0_10empty_typeEbEEZZNS1_14partition_implILS5_8ELb0ES3_jPlPS6_PKS6_NS0_5tupleIJS9_S6_EEENSD_IJSA_SA_EEENS0_18inequality_wrapperIZN2at6native12_GLOBAL__N_124unique_dim_cuda_templateIfEESt5tupleIJNSH_6TensorESM_SM_EERKSM_lbbbEUlllE0_EEPmJS6_EEE10hipError_tPvRmT3_T4_T5_T6_T7_T9_mT8_P12ihipStream_tbDpT10_ENKUlT_T0_E_clISt17integral_constantIbLb1EES1C_EEDaS17_S18_EUlS17_E_NS1_11comp_targetILNS1_3genE0ELNS1_11target_archE4294967295ELNS1_3gpuE0ELNS1_3repE0EEENS1_30default_config_static_selectorELNS0_4arch9wavefront6targetE1EEEvT1_.private_seg_size, 0
	.set _ZN7rocprim17ROCPRIM_400000_NS6detail17trampoline_kernelINS0_14default_configENS1_25partition_config_selectorILNS1_17partition_subalgoE8ElNS0_10empty_typeEbEEZZNS1_14partition_implILS5_8ELb0ES3_jPlPS6_PKS6_NS0_5tupleIJS9_S6_EEENSD_IJSA_SA_EEENS0_18inequality_wrapperIZN2at6native12_GLOBAL__N_124unique_dim_cuda_templateIfEESt5tupleIJNSH_6TensorESM_SM_EERKSM_lbbbEUlllE0_EEPmJS6_EEE10hipError_tPvRmT3_T4_T5_T6_T7_T9_mT8_P12ihipStream_tbDpT10_ENKUlT_T0_E_clISt17integral_constantIbLb1EES1C_EEDaS17_S18_EUlS17_E_NS1_11comp_targetILNS1_3genE0ELNS1_11target_archE4294967295ELNS1_3gpuE0ELNS1_3repE0EEENS1_30default_config_static_selectorELNS0_4arch9wavefront6targetE1EEEvT1_.uses_vcc, 0
	.set _ZN7rocprim17ROCPRIM_400000_NS6detail17trampoline_kernelINS0_14default_configENS1_25partition_config_selectorILNS1_17partition_subalgoE8ElNS0_10empty_typeEbEEZZNS1_14partition_implILS5_8ELb0ES3_jPlPS6_PKS6_NS0_5tupleIJS9_S6_EEENSD_IJSA_SA_EEENS0_18inequality_wrapperIZN2at6native12_GLOBAL__N_124unique_dim_cuda_templateIfEESt5tupleIJNSH_6TensorESM_SM_EERKSM_lbbbEUlllE0_EEPmJS6_EEE10hipError_tPvRmT3_T4_T5_T6_T7_T9_mT8_P12ihipStream_tbDpT10_ENKUlT_T0_E_clISt17integral_constantIbLb1EES1C_EEDaS17_S18_EUlS17_E_NS1_11comp_targetILNS1_3genE0ELNS1_11target_archE4294967295ELNS1_3gpuE0ELNS1_3repE0EEENS1_30default_config_static_selectorELNS0_4arch9wavefront6targetE1EEEvT1_.uses_flat_scratch, 0
	.set _ZN7rocprim17ROCPRIM_400000_NS6detail17trampoline_kernelINS0_14default_configENS1_25partition_config_selectorILNS1_17partition_subalgoE8ElNS0_10empty_typeEbEEZZNS1_14partition_implILS5_8ELb0ES3_jPlPS6_PKS6_NS0_5tupleIJS9_S6_EEENSD_IJSA_SA_EEENS0_18inequality_wrapperIZN2at6native12_GLOBAL__N_124unique_dim_cuda_templateIfEESt5tupleIJNSH_6TensorESM_SM_EERKSM_lbbbEUlllE0_EEPmJS6_EEE10hipError_tPvRmT3_T4_T5_T6_T7_T9_mT8_P12ihipStream_tbDpT10_ENKUlT_T0_E_clISt17integral_constantIbLb1EES1C_EEDaS17_S18_EUlS17_E_NS1_11comp_targetILNS1_3genE0ELNS1_11target_archE4294967295ELNS1_3gpuE0ELNS1_3repE0EEENS1_30default_config_static_selectorELNS0_4arch9wavefront6targetE1EEEvT1_.has_dyn_sized_stack, 0
	.set _ZN7rocprim17ROCPRIM_400000_NS6detail17trampoline_kernelINS0_14default_configENS1_25partition_config_selectorILNS1_17partition_subalgoE8ElNS0_10empty_typeEbEEZZNS1_14partition_implILS5_8ELb0ES3_jPlPS6_PKS6_NS0_5tupleIJS9_S6_EEENSD_IJSA_SA_EEENS0_18inequality_wrapperIZN2at6native12_GLOBAL__N_124unique_dim_cuda_templateIfEESt5tupleIJNSH_6TensorESM_SM_EERKSM_lbbbEUlllE0_EEPmJS6_EEE10hipError_tPvRmT3_T4_T5_T6_T7_T9_mT8_P12ihipStream_tbDpT10_ENKUlT_T0_E_clISt17integral_constantIbLb1EES1C_EEDaS17_S18_EUlS17_E_NS1_11comp_targetILNS1_3genE0ELNS1_11target_archE4294967295ELNS1_3gpuE0ELNS1_3repE0EEENS1_30default_config_static_selectorELNS0_4arch9wavefront6targetE1EEEvT1_.has_recursion, 0
	.set _ZN7rocprim17ROCPRIM_400000_NS6detail17trampoline_kernelINS0_14default_configENS1_25partition_config_selectorILNS1_17partition_subalgoE8ElNS0_10empty_typeEbEEZZNS1_14partition_implILS5_8ELb0ES3_jPlPS6_PKS6_NS0_5tupleIJS9_S6_EEENSD_IJSA_SA_EEENS0_18inequality_wrapperIZN2at6native12_GLOBAL__N_124unique_dim_cuda_templateIfEESt5tupleIJNSH_6TensorESM_SM_EERKSM_lbbbEUlllE0_EEPmJS6_EEE10hipError_tPvRmT3_T4_T5_T6_T7_T9_mT8_P12ihipStream_tbDpT10_ENKUlT_T0_E_clISt17integral_constantIbLb1EES1C_EEDaS17_S18_EUlS17_E_NS1_11comp_targetILNS1_3genE0ELNS1_11target_archE4294967295ELNS1_3gpuE0ELNS1_3repE0EEENS1_30default_config_static_selectorELNS0_4arch9wavefront6targetE1EEEvT1_.has_indirect_call, 0
	.section	.AMDGPU.csdata,"",@progbits
; Kernel info:
; codeLenInByte = 4
; TotalNumSgprs: 6
; NumVgprs: 0
; NumAgprs: 0
; TotalNumVgprs: 0
; ScratchSize: 0
; MemoryBound: 0
; FloatMode: 240
; IeeeMode: 1
; LDSByteSize: 0 bytes/workgroup (compile time only)
; SGPRBlocks: 0
; VGPRBlocks: 0
; NumSGPRsForWavesPerEU: 6
; NumVGPRsForWavesPerEU: 1
; AccumOffset: 4
; Occupancy: 8
; WaveLimiterHint : 0
; COMPUTE_PGM_RSRC2:SCRATCH_EN: 0
; COMPUTE_PGM_RSRC2:USER_SGPR: 2
; COMPUTE_PGM_RSRC2:TRAP_HANDLER: 0
; COMPUTE_PGM_RSRC2:TGID_X_EN: 1
; COMPUTE_PGM_RSRC2:TGID_Y_EN: 0
; COMPUTE_PGM_RSRC2:TGID_Z_EN: 0
; COMPUTE_PGM_RSRC2:TIDIG_COMP_CNT: 0
; COMPUTE_PGM_RSRC3_GFX90A:ACCUM_OFFSET: 0
; COMPUTE_PGM_RSRC3_GFX90A:TG_SPLIT: 0
	.section	.text._ZN7rocprim17ROCPRIM_400000_NS6detail17trampoline_kernelINS0_14default_configENS1_25partition_config_selectorILNS1_17partition_subalgoE8ElNS0_10empty_typeEbEEZZNS1_14partition_implILS5_8ELb0ES3_jPlPS6_PKS6_NS0_5tupleIJS9_S6_EEENSD_IJSA_SA_EEENS0_18inequality_wrapperIZN2at6native12_GLOBAL__N_124unique_dim_cuda_templateIfEESt5tupleIJNSH_6TensorESM_SM_EERKSM_lbbbEUlllE0_EEPmJS6_EEE10hipError_tPvRmT3_T4_T5_T6_T7_T9_mT8_P12ihipStream_tbDpT10_ENKUlT_T0_E_clISt17integral_constantIbLb1EES1C_EEDaS17_S18_EUlS17_E_NS1_11comp_targetILNS1_3genE5ELNS1_11target_archE942ELNS1_3gpuE9ELNS1_3repE0EEENS1_30default_config_static_selectorELNS0_4arch9wavefront6targetE1EEEvT1_,"axG",@progbits,_ZN7rocprim17ROCPRIM_400000_NS6detail17trampoline_kernelINS0_14default_configENS1_25partition_config_selectorILNS1_17partition_subalgoE8ElNS0_10empty_typeEbEEZZNS1_14partition_implILS5_8ELb0ES3_jPlPS6_PKS6_NS0_5tupleIJS9_S6_EEENSD_IJSA_SA_EEENS0_18inequality_wrapperIZN2at6native12_GLOBAL__N_124unique_dim_cuda_templateIfEESt5tupleIJNSH_6TensorESM_SM_EERKSM_lbbbEUlllE0_EEPmJS6_EEE10hipError_tPvRmT3_T4_T5_T6_T7_T9_mT8_P12ihipStream_tbDpT10_ENKUlT_T0_E_clISt17integral_constantIbLb1EES1C_EEDaS17_S18_EUlS17_E_NS1_11comp_targetILNS1_3genE5ELNS1_11target_archE942ELNS1_3gpuE9ELNS1_3repE0EEENS1_30default_config_static_selectorELNS0_4arch9wavefront6targetE1EEEvT1_,comdat
	.globl	_ZN7rocprim17ROCPRIM_400000_NS6detail17trampoline_kernelINS0_14default_configENS1_25partition_config_selectorILNS1_17partition_subalgoE8ElNS0_10empty_typeEbEEZZNS1_14partition_implILS5_8ELb0ES3_jPlPS6_PKS6_NS0_5tupleIJS9_S6_EEENSD_IJSA_SA_EEENS0_18inequality_wrapperIZN2at6native12_GLOBAL__N_124unique_dim_cuda_templateIfEESt5tupleIJNSH_6TensorESM_SM_EERKSM_lbbbEUlllE0_EEPmJS6_EEE10hipError_tPvRmT3_T4_T5_T6_T7_T9_mT8_P12ihipStream_tbDpT10_ENKUlT_T0_E_clISt17integral_constantIbLb1EES1C_EEDaS17_S18_EUlS17_E_NS1_11comp_targetILNS1_3genE5ELNS1_11target_archE942ELNS1_3gpuE9ELNS1_3repE0EEENS1_30default_config_static_selectorELNS0_4arch9wavefront6targetE1EEEvT1_ ; -- Begin function _ZN7rocprim17ROCPRIM_400000_NS6detail17trampoline_kernelINS0_14default_configENS1_25partition_config_selectorILNS1_17partition_subalgoE8ElNS0_10empty_typeEbEEZZNS1_14partition_implILS5_8ELb0ES3_jPlPS6_PKS6_NS0_5tupleIJS9_S6_EEENSD_IJSA_SA_EEENS0_18inequality_wrapperIZN2at6native12_GLOBAL__N_124unique_dim_cuda_templateIfEESt5tupleIJNSH_6TensorESM_SM_EERKSM_lbbbEUlllE0_EEPmJS6_EEE10hipError_tPvRmT3_T4_T5_T6_T7_T9_mT8_P12ihipStream_tbDpT10_ENKUlT_T0_E_clISt17integral_constantIbLb1EES1C_EEDaS17_S18_EUlS17_E_NS1_11comp_targetILNS1_3genE5ELNS1_11target_archE942ELNS1_3gpuE9ELNS1_3repE0EEENS1_30default_config_static_selectorELNS0_4arch9wavefront6targetE1EEEvT1_
	.p2align	8
	.type	_ZN7rocprim17ROCPRIM_400000_NS6detail17trampoline_kernelINS0_14default_configENS1_25partition_config_selectorILNS1_17partition_subalgoE8ElNS0_10empty_typeEbEEZZNS1_14partition_implILS5_8ELb0ES3_jPlPS6_PKS6_NS0_5tupleIJS9_S6_EEENSD_IJSA_SA_EEENS0_18inequality_wrapperIZN2at6native12_GLOBAL__N_124unique_dim_cuda_templateIfEESt5tupleIJNSH_6TensorESM_SM_EERKSM_lbbbEUlllE0_EEPmJS6_EEE10hipError_tPvRmT3_T4_T5_T6_T7_T9_mT8_P12ihipStream_tbDpT10_ENKUlT_T0_E_clISt17integral_constantIbLb1EES1C_EEDaS17_S18_EUlS17_E_NS1_11comp_targetILNS1_3genE5ELNS1_11target_archE942ELNS1_3gpuE9ELNS1_3repE0EEENS1_30default_config_static_selectorELNS0_4arch9wavefront6targetE1EEEvT1_,@function
_ZN7rocprim17ROCPRIM_400000_NS6detail17trampoline_kernelINS0_14default_configENS1_25partition_config_selectorILNS1_17partition_subalgoE8ElNS0_10empty_typeEbEEZZNS1_14partition_implILS5_8ELb0ES3_jPlPS6_PKS6_NS0_5tupleIJS9_S6_EEENSD_IJSA_SA_EEENS0_18inequality_wrapperIZN2at6native12_GLOBAL__N_124unique_dim_cuda_templateIfEESt5tupleIJNSH_6TensorESM_SM_EERKSM_lbbbEUlllE0_EEPmJS6_EEE10hipError_tPvRmT3_T4_T5_T6_T7_T9_mT8_P12ihipStream_tbDpT10_ENKUlT_T0_E_clISt17integral_constantIbLb1EES1C_EEDaS17_S18_EUlS17_E_NS1_11comp_targetILNS1_3genE5ELNS1_11target_archE942ELNS1_3gpuE9ELNS1_3repE0EEENS1_30default_config_static_selectorELNS0_4arch9wavefront6targetE1EEEvT1_: ; @_ZN7rocprim17ROCPRIM_400000_NS6detail17trampoline_kernelINS0_14default_configENS1_25partition_config_selectorILNS1_17partition_subalgoE8ElNS0_10empty_typeEbEEZZNS1_14partition_implILS5_8ELb0ES3_jPlPS6_PKS6_NS0_5tupleIJS9_S6_EEENSD_IJSA_SA_EEENS0_18inequality_wrapperIZN2at6native12_GLOBAL__N_124unique_dim_cuda_templateIfEESt5tupleIJNSH_6TensorESM_SM_EERKSM_lbbbEUlllE0_EEPmJS6_EEE10hipError_tPvRmT3_T4_T5_T6_T7_T9_mT8_P12ihipStream_tbDpT10_ENKUlT_T0_E_clISt17integral_constantIbLb1EES1C_EEDaS17_S18_EUlS17_E_NS1_11comp_targetILNS1_3genE5ELNS1_11target_archE942ELNS1_3gpuE9ELNS1_3repE0EEENS1_30default_config_static_selectorELNS0_4arch9wavefront6targetE1EEEvT1_
; %bb.0:
	.section	.rodata,"a",@progbits
	.p2align	6, 0x0
	.amdhsa_kernel _ZN7rocprim17ROCPRIM_400000_NS6detail17trampoline_kernelINS0_14default_configENS1_25partition_config_selectorILNS1_17partition_subalgoE8ElNS0_10empty_typeEbEEZZNS1_14partition_implILS5_8ELb0ES3_jPlPS6_PKS6_NS0_5tupleIJS9_S6_EEENSD_IJSA_SA_EEENS0_18inequality_wrapperIZN2at6native12_GLOBAL__N_124unique_dim_cuda_templateIfEESt5tupleIJNSH_6TensorESM_SM_EERKSM_lbbbEUlllE0_EEPmJS6_EEE10hipError_tPvRmT3_T4_T5_T6_T7_T9_mT8_P12ihipStream_tbDpT10_ENKUlT_T0_E_clISt17integral_constantIbLb1EES1C_EEDaS17_S18_EUlS17_E_NS1_11comp_targetILNS1_3genE5ELNS1_11target_archE942ELNS1_3gpuE9ELNS1_3repE0EEENS1_30default_config_static_selectorELNS0_4arch9wavefront6targetE1EEEvT1_
		.amdhsa_group_segment_fixed_size 0
		.amdhsa_private_segment_fixed_size 0
		.amdhsa_kernarg_size 136
		.amdhsa_user_sgpr_count 2
		.amdhsa_user_sgpr_dispatch_ptr 0
		.amdhsa_user_sgpr_queue_ptr 0
		.amdhsa_user_sgpr_kernarg_segment_ptr 1
		.amdhsa_user_sgpr_dispatch_id 0
		.amdhsa_user_sgpr_kernarg_preload_length 0
		.amdhsa_user_sgpr_kernarg_preload_offset 0
		.amdhsa_user_sgpr_private_segment_size 0
		.amdhsa_uses_dynamic_stack 0
		.amdhsa_enable_private_segment 0
		.amdhsa_system_sgpr_workgroup_id_x 1
		.amdhsa_system_sgpr_workgroup_id_y 0
		.amdhsa_system_sgpr_workgroup_id_z 0
		.amdhsa_system_sgpr_workgroup_info 0
		.amdhsa_system_vgpr_workitem_id 0
		.amdhsa_next_free_vgpr 1
		.amdhsa_next_free_sgpr 0
		.amdhsa_accum_offset 4
		.amdhsa_reserve_vcc 0
		.amdhsa_float_round_mode_32 0
		.amdhsa_float_round_mode_16_64 0
		.amdhsa_float_denorm_mode_32 3
		.amdhsa_float_denorm_mode_16_64 3
		.amdhsa_dx10_clamp 1
		.amdhsa_ieee_mode 1
		.amdhsa_fp16_overflow 0
		.amdhsa_tg_split 0
		.amdhsa_exception_fp_ieee_invalid_op 0
		.amdhsa_exception_fp_denorm_src 0
		.amdhsa_exception_fp_ieee_div_zero 0
		.amdhsa_exception_fp_ieee_overflow 0
		.amdhsa_exception_fp_ieee_underflow 0
		.amdhsa_exception_fp_ieee_inexact 0
		.amdhsa_exception_int_div_zero 0
	.end_amdhsa_kernel
	.section	.text._ZN7rocprim17ROCPRIM_400000_NS6detail17trampoline_kernelINS0_14default_configENS1_25partition_config_selectorILNS1_17partition_subalgoE8ElNS0_10empty_typeEbEEZZNS1_14partition_implILS5_8ELb0ES3_jPlPS6_PKS6_NS0_5tupleIJS9_S6_EEENSD_IJSA_SA_EEENS0_18inequality_wrapperIZN2at6native12_GLOBAL__N_124unique_dim_cuda_templateIfEESt5tupleIJNSH_6TensorESM_SM_EERKSM_lbbbEUlllE0_EEPmJS6_EEE10hipError_tPvRmT3_T4_T5_T6_T7_T9_mT8_P12ihipStream_tbDpT10_ENKUlT_T0_E_clISt17integral_constantIbLb1EES1C_EEDaS17_S18_EUlS17_E_NS1_11comp_targetILNS1_3genE5ELNS1_11target_archE942ELNS1_3gpuE9ELNS1_3repE0EEENS1_30default_config_static_selectorELNS0_4arch9wavefront6targetE1EEEvT1_,"axG",@progbits,_ZN7rocprim17ROCPRIM_400000_NS6detail17trampoline_kernelINS0_14default_configENS1_25partition_config_selectorILNS1_17partition_subalgoE8ElNS0_10empty_typeEbEEZZNS1_14partition_implILS5_8ELb0ES3_jPlPS6_PKS6_NS0_5tupleIJS9_S6_EEENSD_IJSA_SA_EEENS0_18inequality_wrapperIZN2at6native12_GLOBAL__N_124unique_dim_cuda_templateIfEESt5tupleIJNSH_6TensorESM_SM_EERKSM_lbbbEUlllE0_EEPmJS6_EEE10hipError_tPvRmT3_T4_T5_T6_T7_T9_mT8_P12ihipStream_tbDpT10_ENKUlT_T0_E_clISt17integral_constantIbLb1EES1C_EEDaS17_S18_EUlS17_E_NS1_11comp_targetILNS1_3genE5ELNS1_11target_archE942ELNS1_3gpuE9ELNS1_3repE0EEENS1_30default_config_static_selectorELNS0_4arch9wavefront6targetE1EEEvT1_,comdat
.Lfunc_end938:
	.size	_ZN7rocprim17ROCPRIM_400000_NS6detail17trampoline_kernelINS0_14default_configENS1_25partition_config_selectorILNS1_17partition_subalgoE8ElNS0_10empty_typeEbEEZZNS1_14partition_implILS5_8ELb0ES3_jPlPS6_PKS6_NS0_5tupleIJS9_S6_EEENSD_IJSA_SA_EEENS0_18inequality_wrapperIZN2at6native12_GLOBAL__N_124unique_dim_cuda_templateIfEESt5tupleIJNSH_6TensorESM_SM_EERKSM_lbbbEUlllE0_EEPmJS6_EEE10hipError_tPvRmT3_T4_T5_T6_T7_T9_mT8_P12ihipStream_tbDpT10_ENKUlT_T0_E_clISt17integral_constantIbLb1EES1C_EEDaS17_S18_EUlS17_E_NS1_11comp_targetILNS1_3genE5ELNS1_11target_archE942ELNS1_3gpuE9ELNS1_3repE0EEENS1_30default_config_static_selectorELNS0_4arch9wavefront6targetE1EEEvT1_, .Lfunc_end938-_ZN7rocprim17ROCPRIM_400000_NS6detail17trampoline_kernelINS0_14default_configENS1_25partition_config_selectorILNS1_17partition_subalgoE8ElNS0_10empty_typeEbEEZZNS1_14partition_implILS5_8ELb0ES3_jPlPS6_PKS6_NS0_5tupleIJS9_S6_EEENSD_IJSA_SA_EEENS0_18inequality_wrapperIZN2at6native12_GLOBAL__N_124unique_dim_cuda_templateIfEESt5tupleIJNSH_6TensorESM_SM_EERKSM_lbbbEUlllE0_EEPmJS6_EEE10hipError_tPvRmT3_T4_T5_T6_T7_T9_mT8_P12ihipStream_tbDpT10_ENKUlT_T0_E_clISt17integral_constantIbLb1EES1C_EEDaS17_S18_EUlS17_E_NS1_11comp_targetILNS1_3genE5ELNS1_11target_archE942ELNS1_3gpuE9ELNS1_3repE0EEENS1_30default_config_static_selectorELNS0_4arch9wavefront6targetE1EEEvT1_
                                        ; -- End function
	.set _ZN7rocprim17ROCPRIM_400000_NS6detail17trampoline_kernelINS0_14default_configENS1_25partition_config_selectorILNS1_17partition_subalgoE8ElNS0_10empty_typeEbEEZZNS1_14partition_implILS5_8ELb0ES3_jPlPS6_PKS6_NS0_5tupleIJS9_S6_EEENSD_IJSA_SA_EEENS0_18inequality_wrapperIZN2at6native12_GLOBAL__N_124unique_dim_cuda_templateIfEESt5tupleIJNSH_6TensorESM_SM_EERKSM_lbbbEUlllE0_EEPmJS6_EEE10hipError_tPvRmT3_T4_T5_T6_T7_T9_mT8_P12ihipStream_tbDpT10_ENKUlT_T0_E_clISt17integral_constantIbLb1EES1C_EEDaS17_S18_EUlS17_E_NS1_11comp_targetILNS1_3genE5ELNS1_11target_archE942ELNS1_3gpuE9ELNS1_3repE0EEENS1_30default_config_static_selectorELNS0_4arch9wavefront6targetE1EEEvT1_.num_vgpr, 0
	.set _ZN7rocprim17ROCPRIM_400000_NS6detail17trampoline_kernelINS0_14default_configENS1_25partition_config_selectorILNS1_17partition_subalgoE8ElNS0_10empty_typeEbEEZZNS1_14partition_implILS5_8ELb0ES3_jPlPS6_PKS6_NS0_5tupleIJS9_S6_EEENSD_IJSA_SA_EEENS0_18inequality_wrapperIZN2at6native12_GLOBAL__N_124unique_dim_cuda_templateIfEESt5tupleIJNSH_6TensorESM_SM_EERKSM_lbbbEUlllE0_EEPmJS6_EEE10hipError_tPvRmT3_T4_T5_T6_T7_T9_mT8_P12ihipStream_tbDpT10_ENKUlT_T0_E_clISt17integral_constantIbLb1EES1C_EEDaS17_S18_EUlS17_E_NS1_11comp_targetILNS1_3genE5ELNS1_11target_archE942ELNS1_3gpuE9ELNS1_3repE0EEENS1_30default_config_static_selectorELNS0_4arch9wavefront6targetE1EEEvT1_.num_agpr, 0
	.set _ZN7rocprim17ROCPRIM_400000_NS6detail17trampoline_kernelINS0_14default_configENS1_25partition_config_selectorILNS1_17partition_subalgoE8ElNS0_10empty_typeEbEEZZNS1_14partition_implILS5_8ELb0ES3_jPlPS6_PKS6_NS0_5tupleIJS9_S6_EEENSD_IJSA_SA_EEENS0_18inequality_wrapperIZN2at6native12_GLOBAL__N_124unique_dim_cuda_templateIfEESt5tupleIJNSH_6TensorESM_SM_EERKSM_lbbbEUlllE0_EEPmJS6_EEE10hipError_tPvRmT3_T4_T5_T6_T7_T9_mT8_P12ihipStream_tbDpT10_ENKUlT_T0_E_clISt17integral_constantIbLb1EES1C_EEDaS17_S18_EUlS17_E_NS1_11comp_targetILNS1_3genE5ELNS1_11target_archE942ELNS1_3gpuE9ELNS1_3repE0EEENS1_30default_config_static_selectorELNS0_4arch9wavefront6targetE1EEEvT1_.numbered_sgpr, 0
	.set _ZN7rocprim17ROCPRIM_400000_NS6detail17trampoline_kernelINS0_14default_configENS1_25partition_config_selectorILNS1_17partition_subalgoE8ElNS0_10empty_typeEbEEZZNS1_14partition_implILS5_8ELb0ES3_jPlPS6_PKS6_NS0_5tupleIJS9_S6_EEENSD_IJSA_SA_EEENS0_18inequality_wrapperIZN2at6native12_GLOBAL__N_124unique_dim_cuda_templateIfEESt5tupleIJNSH_6TensorESM_SM_EERKSM_lbbbEUlllE0_EEPmJS6_EEE10hipError_tPvRmT3_T4_T5_T6_T7_T9_mT8_P12ihipStream_tbDpT10_ENKUlT_T0_E_clISt17integral_constantIbLb1EES1C_EEDaS17_S18_EUlS17_E_NS1_11comp_targetILNS1_3genE5ELNS1_11target_archE942ELNS1_3gpuE9ELNS1_3repE0EEENS1_30default_config_static_selectorELNS0_4arch9wavefront6targetE1EEEvT1_.num_named_barrier, 0
	.set _ZN7rocprim17ROCPRIM_400000_NS6detail17trampoline_kernelINS0_14default_configENS1_25partition_config_selectorILNS1_17partition_subalgoE8ElNS0_10empty_typeEbEEZZNS1_14partition_implILS5_8ELb0ES3_jPlPS6_PKS6_NS0_5tupleIJS9_S6_EEENSD_IJSA_SA_EEENS0_18inequality_wrapperIZN2at6native12_GLOBAL__N_124unique_dim_cuda_templateIfEESt5tupleIJNSH_6TensorESM_SM_EERKSM_lbbbEUlllE0_EEPmJS6_EEE10hipError_tPvRmT3_T4_T5_T6_T7_T9_mT8_P12ihipStream_tbDpT10_ENKUlT_T0_E_clISt17integral_constantIbLb1EES1C_EEDaS17_S18_EUlS17_E_NS1_11comp_targetILNS1_3genE5ELNS1_11target_archE942ELNS1_3gpuE9ELNS1_3repE0EEENS1_30default_config_static_selectorELNS0_4arch9wavefront6targetE1EEEvT1_.private_seg_size, 0
	.set _ZN7rocprim17ROCPRIM_400000_NS6detail17trampoline_kernelINS0_14default_configENS1_25partition_config_selectorILNS1_17partition_subalgoE8ElNS0_10empty_typeEbEEZZNS1_14partition_implILS5_8ELb0ES3_jPlPS6_PKS6_NS0_5tupleIJS9_S6_EEENSD_IJSA_SA_EEENS0_18inequality_wrapperIZN2at6native12_GLOBAL__N_124unique_dim_cuda_templateIfEESt5tupleIJNSH_6TensorESM_SM_EERKSM_lbbbEUlllE0_EEPmJS6_EEE10hipError_tPvRmT3_T4_T5_T6_T7_T9_mT8_P12ihipStream_tbDpT10_ENKUlT_T0_E_clISt17integral_constantIbLb1EES1C_EEDaS17_S18_EUlS17_E_NS1_11comp_targetILNS1_3genE5ELNS1_11target_archE942ELNS1_3gpuE9ELNS1_3repE0EEENS1_30default_config_static_selectorELNS0_4arch9wavefront6targetE1EEEvT1_.uses_vcc, 0
	.set _ZN7rocprim17ROCPRIM_400000_NS6detail17trampoline_kernelINS0_14default_configENS1_25partition_config_selectorILNS1_17partition_subalgoE8ElNS0_10empty_typeEbEEZZNS1_14partition_implILS5_8ELb0ES3_jPlPS6_PKS6_NS0_5tupleIJS9_S6_EEENSD_IJSA_SA_EEENS0_18inequality_wrapperIZN2at6native12_GLOBAL__N_124unique_dim_cuda_templateIfEESt5tupleIJNSH_6TensorESM_SM_EERKSM_lbbbEUlllE0_EEPmJS6_EEE10hipError_tPvRmT3_T4_T5_T6_T7_T9_mT8_P12ihipStream_tbDpT10_ENKUlT_T0_E_clISt17integral_constantIbLb1EES1C_EEDaS17_S18_EUlS17_E_NS1_11comp_targetILNS1_3genE5ELNS1_11target_archE942ELNS1_3gpuE9ELNS1_3repE0EEENS1_30default_config_static_selectorELNS0_4arch9wavefront6targetE1EEEvT1_.uses_flat_scratch, 0
	.set _ZN7rocprim17ROCPRIM_400000_NS6detail17trampoline_kernelINS0_14default_configENS1_25partition_config_selectorILNS1_17partition_subalgoE8ElNS0_10empty_typeEbEEZZNS1_14partition_implILS5_8ELb0ES3_jPlPS6_PKS6_NS0_5tupleIJS9_S6_EEENSD_IJSA_SA_EEENS0_18inequality_wrapperIZN2at6native12_GLOBAL__N_124unique_dim_cuda_templateIfEESt5tupleIJNSH_6TensorESM_SM_EERKSM_lbbbEUlllE0_EEPmJS6_EEE10hipError_tPvRmT3_T4_T5_T6_T7_T9_mT8_P12ihipStream_tbDpT10_ENKUlT_T0_E_clISt17integral_constantIbLb1EES1C_EEDaS17_S18_EUlS17_E_NS1_11comp_targetILNS1_3genE5ELNS1_11target_archE942ELNS1_3gpuE9ELNS1_3repE0EEENS1_30default_config_static_selectorELNS0_4arch9wavefront6targetE1EEEvT1_.has_dyn_sized_stack, 0
	.set _ZN7rocprim17ROCPRIM_400000_NS6detail17trampoline_kernelINS0_14default_configENS1_25partition_config_selectorILNS1_17partition_subalgoE8ElNS0_10empty_typeEbEEZZNS1_14partition_implILS5_8ELb0ES3_jPlPS6_PKS6_NS0_5tupleIJS9_S6_EEENSD_IJSA_SA_EEENS0_18inequality_wrapperIZN2at6native12_GLOBAL__N_124unique_dim_cuda_templateIfEESt5tupleIJNSH_6TensorESM_SM_EERKSM_lbbbEUlllE0_EEPmJS6_EEE10hipError_tPvRmT3_T4_T5_T6_T7_T9_mT8_P12ihipStream_tbDpT10_ENKUlT_T0_E_clISt17integral_constantIbLb1EES1C_EEDaS17_S18_EUlS17_E_NS1_11comp_targetILNS1_3genE5ELNS1_11target_archE942ELNS1_3gpuE9ELNS1_3repE0EEENS1_30default_config_static_selectorELNS0_4arch9wavefront6targetE1EEEvT1_.has_recursion, 0
	.set _ZN7rocprim17ROCPRIM_400000_NS6detail17trampoline_kernelINS0_14default_configENS1_25partition_config_selectorILNS1_17partition_subalgoE8ElNS0_10empty_typeEbEEZZNS1_14partition_implILS5_8ELb0ES3_jPlPS6_PKS6_NS0_5tupleIJS9_S6_EEENSD_IJSA_SA_EEENS0_18inequality_wrapperIZN2at6native12_GLOBAL__N_124unique_dim_cuda_templateIfEESt5tupleIJNSH_6TensorESM_SM_EERKSM_lbbbEUlllE0_EEPmJS6_EEE10hipError_tPvRmT3_T4_T5_T6_T7_T9_mT8_P12ihipStream_tbDpT10_ENKUlT_T0_E_clISt17integral_constantIbLb1EES1C_EEDaS17_S18_EUlS17_E_NS1_11comp_targetILNS1_3genE5ELNS1_11target_archE942ELNS1_3gpuE9ELNS1_3repE0EEENS1_30default_config_static_selectorELNS0_4arch9wavefront6targetE1EEEvT1_.has_indirect_call, 0
	.section	.AMDGPU.csdata,"",@progbits
; Kernel info:
; codeLenInByte = 0
; TotalNumSgprs: 6
; NumVgprs: 0
; NumAgprs: 0
; TotalNumVgprs: 0
; ScratchSize: 0
; MemoryBound: 0
; FloatMode: 240
; IeeeMode: 1
; LDSByteSize: 0 bytes/workgroup (compile time only)
; SGPRBlocks: 0
; VGPRBlocks: 0
; NumSGPRsForWavesPerEU: 6
; NumVGPRsForWavesPerEU: 1
; AccumOffset: 4
; Occupancy: 8
; WaveLimiterHint : 0
; COMPUTE_PGM_RSRC2:SCRATCH_EN: 0
; COMPUTE_PGM_RSRC2:USER_SGPR: 2
; COMPUTE_PGM_RSRC2:TRAP_HANDLER: 0
; COMPUTE_PGM_RSRC2:TGID_X_EN: 1
; COMPUTE_PGM_RSRC2:TGID_Y_EN: 0
; COMPUTE_PGM_RSRC2:TGID_Z_EN: 0
; COMPUTE_PGM_RSRC2:TIDIG_COMP_CNT: 0
; COMPUTE_PGM_RSRC3_GFX90A:ACCUM_OFFSET: 0
; COMPUTE_PGM_RSRC3_GFX90A:TG_SPLIT: 0
	.section	.text._ZN7rocprim17ROCPRIM_400000_NS6detail17trampoline_kernelINS0_14default_configENS1_25partition_config_selectorILNS1_17partition_subalgoE8ElNS0_10empty_typeEbEEZZNS1_14partition_implILS5_8ELb0ES3_jPlPS6_PKS6_NS0_5tupleIJS9_S6_EEENSD_IJSA_SA_EEENS0_18inequality_wrapperIZN2at6native12_GLOBAL__N_124unique_dim_cuda_templateIfEESt5tupleIJNSH_6TensorESM_SM_EERKSM_lbbbEUlllE0_EEPmJS6_EEE10hipError_tPvRmT3_T4_T5_T6_T7_T9_mT8_P12ihipStream_tbDpT10_ENKUlT_T0_E_clISt17integral_constantIbLb1EES1C_EEDaS17_S18_EUlS17_E_NS1_11comp_targetILNS1_3genE4ELNS1_11target_archE910ELNS1_3gpuE8ELNS1_3repE0EEENS1_30default_config_static_selectorELNS0_4arch9wavefront6targetE1EEEvT1_,"axG",@progbits,_ZN7rocprim17ROCPRIM_400000_NS6detail17trampoline_kernelINS0_14default_configENS1_25partition_config_selectorILNS1_17partition_subalgoE8ElNS0_10empty_typeEbEEZZNS1_14partition_implILS5_8ELb0ES3_jPlPS6_PKS6_NS0_5tupleIJS9_S6_EEENSD_IJSA_SA_EEENS0_18inequality_wrapperIZN2at6native12_GLOBAL__N_124unique_dim_cuda_templateIfEESt5tupleIJNSH_6TensorESM_SM_EERKSM_lbbbEUlllE0_EEPmJS6_EEE10hipError_tPvRmT3_T4_T5_T6_T7_T9_mT8_P12ihipStream_tbDpT10_ENKUlT_T0_E_clISt17integral_constantIbLb1EES1C_EEDaS17_S18_EUlS17_E_NS1_11comp_targetILNS1_3genE4ELNS1_11target_archE910ELNS1_3gpuE8ELNS1_3repE0EEENS1_30default_config_static_selectorELNS0_4arch9wavefront6targetE1EEEvT1_,comdat
	.globl	_ZN7rocprim17ROCPRIM_400000_NS6detail17trampoline_kernelINS0_14default_configENS1_25partition_config_selectorILNS1_17partition_subalgoE8ElNS0_10empty_typeEbEEZZNS1_14partition_implILS5_8ELb0ES3_jPlPS6_PKS6_NS0_5tupleIJS9_S6_EEENSD_IJSA_SA_EEENS0_18inequality_wrapperIZN2at6native12_GLOBAL__N_124unique_dim_cuda_templateIfEESt5tupleIJNSH_6TensorESM_SM_EERKSM_lbbbEUlllE0_EEPmJS6_EEE10hipError_tPvRmT3_T4_T5_T6_T7_T9_mT8_P12ihipStream_tbDpT10_ENKUlT_T0_E_clISt17integral_constantIbLb1EES1C_EEDaS17_S18_EUlS17_E_NS1_11comp_targetILNS1_3genE4ELNS1_11target_archE910ELNS1_3gpuE8ELNS1_3repE0EEENS1_30default_config_static_selectorELNS0_4arch9wavefront6targetE1EEEvT1_ ; -- Begin function _ZN7rocprim17ROCPRIM_400000_NS6detail17trampoline_kernelINS0_14default_configENS1_25partition_config_selectorILNS1_17partition_subalgoE8ElNS0_10empty_typeEbEEZZNS1_14partition_implILS5_8ELb0ES3_jPlPS6_PKS6_NS0_5tupleIJS9_S6_EEENSD_IJSA_SA_EEENS0_18inequality_wrapperIZN2at6native12_GLOBAL__N_124unique_dim_cuda_templateIfEESt5tupleIJNSH_6TensorESM_SM_EERKSM_lbbbEUlllE0_EEPmJS6_EEE10hipError_tPvRmT3_T4_T5_T6_T7_T9_mT8_P12ihipStream_tbDpT10_ENKUlT_T0_E_clISt17integral_constantIbLb1EES1C_EEDaS17_S18_EUlS17_E_NS1_11comp_targetILNS1_3genE4ELNS1_11target_archE910ELNS1_3gpuE8ELNS1_3repE0EEENS1_30default_config_static_selectorELNS0_4arch9wavefront6targetE1EEEvT1_
	.p2align	8
	.type	_ZN7rocprim17ROCPRIM_400000_NS6detail17trampoline_kernelINS0_14default_configENS1_25partition_config_selectorILNS1_17partition_subalgoE8ElNS0_10empty_typeEbEEZZNS1_14partition_implILS5_8ELb0ES3_jPlPS6_PKS6_NS0_5tupleIJS9_S6_EEENSD_IJSA_SA_EEENS0_18inequality_wrapperIZN2at6native12_GLOBAL__N_124unique_dim_cuda_templateIfEESt5tupleIJNSH_6TensorESM_SM_EERKSM_lbbbEUlllE0_EEPmJS6_EEE10hipError_tPvRmT3_T4_T5_T6_T7_T9_mT8_P12ihipStream_tbDpT10_ENKUlT_T0_E_clISt17integral_constantIbLb1EES1C_EEDaS17_S18_EUlS17_E_NS1_11comp_targetILNS1_3genE4ELNS1_11target_archE910ELNS1_3gpuE8ELNS1_3repE0EEENS1_30default_config_static_selectorELNS0_4arch9wavefront6targetE1EEEvT1_,@function
_ZN7rocprim17ROCPRIM_400000_NS6detail17trampoline_kernelINS0_14default_configENS1_25partition_config_selectorILNS1_17partition_subalgoE8ElNS0_10empty_typeEbEEZZNS1_14partition_implILS5_8ELb0ES3_jPlPS6_PKS6_NS0_5tupleIJS9_S6_EEENSD_IJSA_SA_EEENS0_18inequality_wrapperIZN2at6native12_GLOBAL__N_124unique_dim_cuda_templateIfEESt5tupleIJNSH_6TensorESM_SM_EERKSM_lbbbEUlllE0_EEPmJS6_EEE10hipError_tPvRmT3_T4_T5_T6_T7_T9_mT8_P12ihipStream_tbDpT10_ENKUlT_T0_E_clISt17integral_constantIbLb1EES1C_EEDaS17_S18_EUlS17_E_NS1_11comp_targetILNS1_3genE4ELNS1_11target_archE910ELNS1_3gpuE8ELNS1_3repE0EEENS1_30default_config_static_selectorELNS0_4arch9wavefront6targetE1EEEvT1_: ; @_ZN7rocprim17ROCPRIM_400000_NS6detail17trampoline_kernelINS0_14default_configENS1_25partition_config_selectorILNS1_17partition_subalgoE8ElNS0_10empty_typeEbEEZZNS1_14partition_implILS5_8ELb0ES3_jPlPS6_PKS6_NS0_5tupleIJS9_S6_EEENSD_IJSA_SA_EEENS0_18inequality_wrapperIZN2at6native12_GLOBAL__N_124unique_dim_cuda_templateIfEESt5tupleIJNSH_6TensorESM_SM_EERKSM_lbbbEUlllE0_EEPmJS6_EEE10hipError_tPvRmT3_T4_T5_T6_T7_T9_mT8_P12ihipStream_tbDpT10_ENKUlT_T0_E_clISt17integral_constantIbLb1EES1C_EEDaS17_S18_EUlS17_E_NS1_11comp_targetILNS1_3genE4ELNS1_11target_archE910ELNS1_3gpuE8ELNS1_3repE0EEENS1_30default_config_static_selectorELNS0_4arch9wavefront6targetE1EEEvT1_
; %bb.0:
	.section	.rodata,"a",@progbits
	.p2align	6, 0x0
	.amdhsa_kernel _ZN7rocprim17ROCPRIM_400000_NS6detail17trampoline_kernelINS0_14default_configENS1_25partition_config_selectorILNS1_17partition_subalgoE8ElNS0_10empty_typeEbEEZZNS1_14partition_implILS5_8ELb0ES3_jPlPS6_PKS6_NS0_5tupleIJS9_S6_EEENSD_IJSA_SA_EEENS0_18inequality_wrapperIZN2at6native12_GLOBAL__N_124unique_dim_cuda_templateIfEESt5tupleIJNSH_6TensorESM_SM_EERKSM_lbbbEUlllE0_EEPmJS6_EEE10hipError_tPvRmT3_T4_T5_T6_T7_T9_mT8_P12ihipStream_tbDpT10_ENKUlT_T0_E_clISt17integral_constantIbLb1EES1C_EEDaS17_S18_EUlS17_E_NS1_11comp_targetILNS1_3genE4ELNS1_11target_archE910ELNS1_3gpuE8ELNS1_3repE0EEENS1_30default_config_static_selectorELNS0_4arch9wavefront6targetE1EEEvT1_
		.amdhsa_group_segment_fixed_size 0
		.amdhsa_private_segment_fixed_size 0
		.amdhsa_kernarg_size 136
		.amdhsa_user_sgpr_count 2
		.amdhsa_user_sgpr_dispatch_ptr 0
		.amdhsa_user_sgpr_queue_ptr 0
		.amdhsa_user_sgpr_kernarg_segment_ptr 1
		.amdhsa_user_sgpr_dispatch_id 0
		.amdhsa_user_sgpr_kernarg_preload_length 0
		.amdhsa_user_sgpr_kernarg_preload_offset 0
		.amdhsa_user_sgpr_private_segment_size 0
		.amdhsa_uses_dynamic_stack 0
		.amdhsa_enable_private_segment 0
		.amdhsa_system_sgpr_workgroup_id_x 1
		.amdhsa_system_sgpr_workgroup_id_y 0
		.amdhsa_system_sgpr_workgroup_id_z 0
		.amdhsa_system_sgpr_workgroup_info 0
		.amdhsa_system_vgpr_workitem_id 0
		.amdhsa_next_free_vgpr 1
		.amdhsa_next_free_sgpr 0
		.amdhsa_accum_offset 4
		.amdhsa_reserve_vcc 0
		.amdhsa_float_round_mode_32 0
		.amdhsa_float_round_mode_16_64 0
		.amdhsa_float_denorm_mode_32 3
		.amdhsa_float_denorm_mode_16_64 3
		.amdhsa_dx10_clamp 1
		.amdhsa_ieee_mode 1
		.amdhsa_fp16_overflow 0
		.amdhsa_tg_split 0
		.amdhsa_exception_fp_ieee_invalid_op 0
		.amdhsa_exception_fp_denorm_src 0
		.amdhsa_exception_fp_ieee_div_zero 0
		.amdhsa_exception_fp_ieee_overflow 0
		.amdhsa_exception_fp_ieee_underflow 0
		.amdhsa_exception_fp_ieee_inexact 0
		.amdhsa_exception_int_div_zero 0
	.end_amdhsa_kernel
	.section	.text._ZN7rocprim17ROCPRIM_400000_NS6detail17trampoline_kernelINS0_14default_configENS1_25partition_config_selectorILNS1_17partition_subalgoE8ElNS0_10empty_typeEbEEZZNS1_14partition_implILS5_8ELb0ES3_jPlPS6_PKS6_NS0_5tupleIJS9_S6_EEENSD_IJSA_SA_EEENS0_18inequality_wrapperIZN2at6native12_GLOBAL__N_124unique_dim_cuda_templateIfEESt5tupleIJNSH_6TensorESM_SM_EERKSM_lbbbEUlllE0_EEPmJS6_EEE10hipError_tPvRmT3_T4_T5_T6_T7_T9_mT8_P12ihipStream_tbDpT10_ENKUlT_T0_E_clISt17integral_constantIbLb1EES1C_EEDaS17_S18_EUlS17_E_NS1_11comp_targetILNS1_3genE4ELNS1_11target_archE910ELNS1_3gpuE8ELNS1_3repE0EEENS1_30default_config_static_selectorELNS0_4arch9wavefront6targetE1EEEvT1_,"axG",@progbits,_ZN7rocprim17ROCPRIM_400000_NS6detail17trampoline_kernelINS0_14default_configENS1_25partition_config_selectorILNS1_17partition_subalgoE8ElNS0_10empty_typeEbEEZZNS1_14partition_implILS5_8ELb0ES3_jPlPS6_PKS6_NS0_5tupleIJS9_S6_EEENSD_IJSA_SA_EEENS0_18inequality_wrapperIZN2at6native12_GLOBAL__N_124unique_dim_cuda_templateIfEESt5tupleIJNSH_6TensorESM_SM_EERKSM_lbbbEUlllE0_EEPmJS6_EEE10hipError_tPvRmT3_T4_T5_T6_T7_T9_mT8_P12ihipStream_tbDpT10_ENKUlT_T0_E_clISt17integral_constantIbLb1EES1C_EEDaS17_S18_EUlS17_E_NS1_11comp_targetILNS1_3genE4ELNS1_11target_archE910ELNS1_3gpuE8ELNS1_3repE0EEENS1_30default_config_static_selectorELNS0_4arch9wavefront6targetE1EEEvT1_,comdat
.Lfunc_end939:
	.size	_ZN7rocprim17ROCPRIM_400000_NS6detail17trampoline_kernelINS0_14default_configENS1_25partition_config_selectorILNS1_17partition_subalgoE8ElNS0_10empty_typeEbEEZZNS1_14partition_implILS5_8ELb0ES3_jPlPS6_PKS6_NS0_5tupleIJS9_S6_EEENSD_IJSA_SA_EEENS0_18inequality_wrapperIZN2at6native12_GLOBAL__N_124unique_dim_cuda_templateIfEESt5tupleIJNSH_6TensorESM_SM_EERKSM_lbbbEUlllE0_EEPmJS6_EEE10hipError_tPvRmT3_T4_T5_T6_T7_T9_mT8_P12ihipStream_tbDpT10_ENKUlT_T0_E_clISt17integral_constantIbLb1EES1C_EEDaS17_S18_EUlS17_E_NS1_11comp_targetILNS1_3genE4ELNS1_11target_archE910ELNS1_3gpuE8ELNS1_3repE0EEENS1_30default_config_static_selectorELNS0_4arch9wavefront6targetE1EEEvT1_, .Lfunc_end939-_ZN7rocprim17ROCPRIM_400000_NS6detail17trampoline_kernelINS0_14default_configENS1_25partition_config_selectorILNS1_17partition_subalgoE8ElNS0_10empty_typeEbEEZZNS1_14partition_implILS5_8ELb0ES3_jPlPS6_PKS6_NS0_5tupleIJS9_S6_EEENSD_IJSA_SA_EEENS0_18inequality_wrapperIZN2at6native12_GLOBAL__N_124unique_dim_cuda_templateIfEESt5tupleIJNSH_6TensorESM_SM_EERKSM_lbbbEUlllE0_EEPmJS6_EEE10hipError_tPvRmT3_T4_T5_T6_T7_T9_mT8_P12ihipStream_tbDpT10_ENKUlT_T0_E_clISt17integral_constantIbLb1EES1C_EEDaS17_S18_EUlS17_E_NS1_11comp_targetILNS1_3genE4ELNS1_11target_archE910ELNS1_3gpuE8ELNS1_3repE0EEENS1_30default_config_static_selectorELNS0_4arch9wavefront6targetE1EEEvT1_
                                        ; -- End function
	.set _ZN7rocprim17ROCPRIM_400000_NS6detail17trampoline_kernelINS0_14default_configENS1_25partition_config_selectorILNS1_17partition_subalgoE8ElNS0_10empty_typeEbEEZZNS1_14partition_implILS5_8ELb0ES3_jPlPS6_PKS6_NS0_5tupleIJS9_S6_EEENSD_IJSA_SA_EEENS0_18inequality_wrapperIZN2at6native12_GLOBAL__N_124unique_dim_cuda_templateIfEESt5tupleIJNSH_6TensorESM_SM_EERKSM_lbbbEUlllE0_EEPmJS6_EEE10hipError_tPvRmT3_T4_T5_T6_T7_T9_mT8_P12ihipStream_tbDpT10_ENKUlT_T0_E_clISt17integral_constantIbLb1EES1C_EEDaS17_S18_EUlS17_E_NS1_11comp_targetILNS1_3genE4ELNS1_11target_archE910ELNS1_3gpuE8ELNS1_3repE0EEENS1_30default_config_static_selectorELNS0_4arch9wavefront6targetE1EEEvT1_.num_vgpr, 0
	.set _ZN7rocprim17ROCPRIM_400000_NS6detail17trampoline_kernelINS0_14default_configENS1_25partition_config_selectorILNS1_17partition_subalgoE8ElNS0_10empty_typeEbEEZZNS1_14partition_implILS5_8ELb0ES3_jPlPS6_PKS6_NS0_5tupleIJS9_S6_EEENSD_IJSA_SA_EEENS0_18inequality_wrapperIZN2at6native12_GLOBAL__N_124unique_dim_cuda_templateIfEESt5tupleIJNSH_6TensorESM_SM_EERKSM_lbbbEUlllE0_EEPmJS6_EEE10hipError_tPvRmT3_T4_T5_T6_T7_T9_mT8_P12ihipStream_tbDpT10_ENKUlT_T0_E_clISt17integral_constantIbLb1EES1C_EEDaS17_S18_EUlS17_E_NS1_11comp_targetILNS1_3genE4ELNS1_11target_archE910ELNS1_3gpuE8ELNS1_3repE0EEENS1_30default_config_static_selectorELNS0_4arch9wavefront6targetE1EEEvT1_.num_agpr, 0
	.set _ZN7rocprim17ROCPRIM_400000_NS6detail17trampoline_kernelINS0_14default_configENS1_25partition_config_selectorILNS1_17partition_subalgoE8ElNS0_10empty_typeEbEEZZNS1_14partition_implILS5_8ELb0ES3_jPlPS6_PKS6_NS0_5tupleIJS9_S6_EEENSD_IJSA_SA_EEENS0_18inequality_wrapperIZN2at6native12_GLOBAL__N_124unique_dim_cuda_templateIfEESt5tupleIJNSH_6TensorESM_SM_EERKSM_lbbbEUlllE0_EEPmJS6_EEE10hipError_tPvRmT3_T4_T5_T6_T7_T9_mT8_P12ihipStream_tbDpT10_ENKUlT_T0_E_clISt17integral_constantIbLb1EES1C_EEDaS17_S18_EUlS17_E_NS1_11comp_targetILNS1_3genE4ELNS1_11target_archE910ELNS1_3gpuE8ELNS1_3repE0EEENS1_30default_config_static_selectorELNS0_4arch9wavefront6targetE1EEEvT1_.numbered_sgpr, 0
	.set _ZN7rocprim17ROCPRIM_400000_NS6detail17trampoline_kernelINS0_14default_configENS1_25partition_config_selectorILNS1_17partition_subalgoE8ElNS0_10empty_typeEbEEZZNS1_14partition_implILS5_8ELb0ES3_jPlPS6_PKS6_NS0_5tupleIJS9_S6_EEENSD_IJSA_SA_EEENS0_18inequality_wrapperIZN2at6native12_GLOBAL__N_124unique_dim_cuda_templateIfEESt5tupleIJNSH_6TensorESM_SM_EERKSM_lbbbEUlllE0_EEPmJS6_EEE10hipError_tPvRmT3_T4_T5_T6_T7_T9_mT8_P12ihipStream_tbDpT10_ENKUlT_T0_E_clISt17integral_constantIbLb1EES1C_EEDaS17_S18_EUlS17_E_NS1_11comp_targetILNS1_3genE4ELNS1_11target_archE910ELNS1_3gpuE8ELNS1_3repE0EEENS1_30default_config_static_selectorELNS0_4arch9wavefront6targetE1EEEvT1_.num_named_barrier, 0
	.set _ZN7rocprim17ROCPRIM_400000_NS6detail17trampoline_kernelINS0_14default_configENS1_25partition_config_selectorILNS1_17partition_subalgoE8ElNS0_10empty_typeEbEEZZNS1_14partition_implILS5_8ELb0ES3_jPlPS6_PKS6_NS0_5tupleIJS9_S6_EEENSD_IJSA_SA_EEENS0_18inequality_wrapperIZN2at6native12_GLOBAL__N_124unique_dim_cuda_templateIfEESt5tupleIJNSH_6TensorESM_SM_EERKSM_lbbbEUlllE0_EEPmJS6_EEE10hipError_tPvRmT3_T4_T5_T6_T7_T9_mT8_P12ihipStream_tbDpT10_ENKUlT_T0_E_clISt17integral_constantIbLb1EES1C_EEDaS17_S18_EUlS17_E_NS1_11comp_targetILNS1_3genE4ELNS1_11target_archE910ELNS1_3gpuE8ELNS1_3repE0EEENS1_30default_config_static_selectorELNS0_4arch9wavefront6targetE1EEEvT1_.private_seg_size, 0
	.set _ZN7rocprim17ROCPRIM_400000_NS6detail17trampoline_kernelINS0_14default_configENS1_25partition_config_selectorILNS1_17partition_subalgoE8ElNS0_10empty_typeEbEEZZNS1_14partition_implILS5_8ELb0ES3_jPlPS6_PKS6_NS0_5tupleIJS9_S6_EEENSD_IJSA_SA_EEENS0_18inequality_wrapperIZN2at6native12_GLOBAL__N_124unique_dim_cuda_templateIfEESt5tupleIJNSH_6TensorESM_SM_EERKSM_lbbbEUlllE0_EEPmJS6_EEE10hipError_tPvRmT3_T4_T5_T6_T7_T9_mT8_P12ihipStream_tbDpT10_ENKUlT_T0_E_clISt17integral_constantIbLb1EES1C_EEDaS17_S18_EUlS17_E_NS1_11comp_targetILNS1_3genE4ELNS1_11target_archE910ELNS1_3gpuE8ELNS1_3repE0EEENS1_30default_config_static_selectorELNS0_4arch9wavefront6targetE1EEEvT1_.uses_vcc, 0
	.set _ZN7rocprim17ROCPRIM_400000_NS6detail17trampoline_kernelINS0_14default_configENS1_25partition_config_selectorILNS1_17partition_subalgoE8ElNS0_10empty_typeEbEEZZNS1_14partition_implILS5_8ELb0ES3_jPlPS6_PKS6_NS0_5tupleIJS9_S6_EEENSD_IJSA_SA_EEENS0_18inequality_wrapperIZN2at6native12_GLOBAL__N_124unique_dim_cuda_templateIfEESt5tupleIJNSH_6TensorESM_SM_EERKSM_lbbbEUlllE0_EEPmJS6_EEE10hipError_tPvRmT3_T4_T5_T6_T7_T9_mT8_P12ihipStream_tbDpT10_ENKUlT_T0_E_clISt17integral_constantIbLb1EES1C_EEDaS17_S18_EUlS17_E_NS1_11comp_targetILNS1_3genE4ELNS1_11target_archE910ELNS1_3gpuE8ELNS1_3repE0EEENS1_30default_config_static_selectorELNS0_4arch9wavefront6targetE1EEEvT1_.uses_flat_scratch, 0
	.set _ZN7rocprim17ROCPRIM_400000_NS6detail17trampoline_kernelINS0_14default_configENS1_25partition_config_selectorILNS1_17partition_subalgoE8ElNS0_10empty_typeEbEEZZNS1_14partition_implILS5_8ELb0ES3_jPlPS6_PKS6_NS0_5tupleIJS9_S6_EEENSD_IJSA_SA_EEENS0_18inequality_wrapperIZN2at6native12_GLOBAL__N_124unique_dim_cuda_templateIfEESt5tupleIJNSH_6TensorESM_SM_EERKSM_lbbbEUlllE0_EEPmJS6_EEE10hipError_tPvRmT3_T4_T5_T6_T7_T9_mT8_P12ihipStream_tbDpT10_ENKUlT_T0_E_clISt17integral_constantIbLb1EES1C_EEDaS17_S18_EUlS17_E_NS1_11comp_targetILNS1_3genE4ELNS1_11target_archE910ELNS1_3gpuE8ELNS1_3repE0EEENS1_30default_config_static_selectorELNS0_4arch9wavefront6targetE1EEEvT1_.has_dyn_sized_stack, 0
	.set _ZN7rocprim17ROCPRIM_400000_NS6detail17trampoline_kernelINS0_14default_configENS1_25partition_config_selectorILNS1_17partition_subalgoE8ElNS0_10empty_typeEbEEZZNS1_14partition_implILS5_8ELb0ES3_jPlPS6_PKS6_NS0_5tupleIJS9_S6_EEENSD_IJSA_SA_EEENS0_18inequality_wrapperIZN2at6native12_GLOBAL__N_124unique_dim_cuda_templateIfEESt5tupleIJNSH_6TensorESM_SM_EERKSM_lbbbEUlllE0_EEPmJS6_EEE10hipError_tPvRmT3_T4_T5_T6_T7_T9_mT8_P12ihipStream_tbDpT10_ENKUlT_T0_E_clISt17integral_constantIbLb1EES1C_EEDaS17_S18_EUlS17_E_NS1_11comp_targetILNS1_3genE4ELNS1_11target_archE910ELNS1_3gpuE8ELNS1_3repE0EEENS1_30default_config_static_selectorELNS0_4arch9wavefront6targetE1EEEvT1_.has_recursion, 0
	.set _ZN7rocprim17ROCPRIM_400000_NS6detail17trampoline_kernelINS0_14default_configENS1_25partition_config_selectorILNS1_17partition_subalgoE8ElNS0_10empty_typeEbEEZZNS1_14partition_implILS5_8ELb0ES3_jPlPS6_PKS6_NS0_5tupleIJS9_S6_EEENSD_IJSA_SA_EEENS0_18inequality_wrapperIZN2at6native12_GLOBAL__N_124unique_dim_cuda_templateIfEESt5tupleIJNSH_6TensorESM_SM_EERKSM_lbbbEUlllE0_EEPmJS6_EEE10hipError_tPvRmT3_T4_T5_T6_T7_T9_mT8_P12ihipStream_tbDpT10_ENKUlT_T0_E_clISt17integral_constantIbLb1EES1C_EEDaS17_S18_EUlS17_E_NS1_11comp_targetILNS1_3genE4ELNS1_11target_archE910ELNS1_3gpuE8ELNS1_3repE0EEENS1_30default_config_static_selectorELNS0_4arch9wavefront6targetE1EEEvT1_.has_indirect_call, 0
	.section	.AMDGPU.csdata,"",@progbits
; Kernel info:
; codeLenInByte = 0
; TotalNumSgprs: 6
; NumVgprs: 0
; NumAgprs: 0
; TotalNumVgprs: 0
; ScratchSize: 0
; MemoryBound: 0
; FloatMode: 240
; IeeeMode: 1
; LDSByteSize: 0 bytes/workgroup (compile time only)
; SGPRBlocks: 0
; VGPRBlocks: 0
; NumSGPRsForWavesPerEU: 6
; NumVGPRsForWavesPerEU: 1
; AccumOffset: 4
; Occupancy: 8
; WaveLimiterHint : 0
; COMPUTE_PGM_RSRC2:SCRATCH_EN: 0
; COMPUTE_PGM_RSRC2:USER_SGPR: 2
; COMPUTE_PGM_RSRC2:TRAP_HANDLER: 0
; COMPUTE_PGM_RSRC2:TGID_X_EN: 1
; COMPUTE_PGM_RSRC2:TGID_Y_EN: 0
; COMPUTE_PGM_RSRC2:TGID_Z_EN: 0
; COMPUTE_PGM_RSRC2:TIDIG_COMP_CNT: 0
; COMPUTE_PGM_RSRC3_GFX90A:ACCUM_OFFSET: 0
; COMPUTE_PGM_RSRC3_GFX90A:TG_SPLIT: 0
	.section	.text._ZN7rocprim17ROCPRIM_400000_NS6detail17trampoline_kernelINS0_14default_configENS1_25partition_config_selectorILNS1_17partition_subalgoE8ElNS0_10empty_typeEbEEZZNS1_14partition_implILS5_8ELb0ES3_jPlPS6_PKS6_NS0_5tupleIJS9_S6_EEENSD_IJSA_SA_EEENS0_18inequality_wrapperIZN2at6native12_GLOBAL__N_124unique_dim_cuda_templateIfEESt5tupleIJNSH_6TensorESM_SM_EERKSM_lbbbEUlllE0_EEPmJS6_EEE10hipError_tPvRmT3_T4_T5_T6_T7_T9_mT8_P12ihipStream_tbDpT10_ENKUlT_T0_E_clISt17integral_constantIbLb1EES1C_EEDaS17_S18_EUlS17_E_NS1_11comp_targetILNS1_3genE3ELNS1_11target_archE908ELNS1_3gpuE7ELNS1_3repE0EEENS1_30default_config_static_selectorELNS0_4arch9wavefront6targetE1EEEvT1_,"axG",@progbits,_ZN7rocprim17ROCPRIM_400000_NS6detail17trampoline_kernelINS0_14default_configENS1_25partition_config_selectorILNS1_17partition_subalgoE8ElNS0_10empty_typeEbEEZZNS1_14partition_implILS5_8ELb0ES3_jPlPS6_PKS6_NS0_5tupleIJS9_S6_EEENSD_IJSA_SA_EEENS0_18inequality_wrapperIZN2at6native12_GLOBAL__N_124unique_dim_cuda_templateIfEESt5tupleIJNSH_6TensorESM_SM_EERKSM_lbbbEUlllE0_EEPmJS6_EEE10hipError_tPvRmT3_T4_T5_T6_T7_T9_mT8_P12ihipStream_tbDpT10_ENKUlT_T0_E_clISt17integral_constantIbLb1EES1C_EEDaS17_S18_EUlS17_E_NS1_11comp_targetILNS1_3genE3ELNS1_11target_archE908ELNS1_3gpuE7ELNS1_3repE0EEENS1_30default_config_static_selectorELNS0_4arch9wavefront6targetE1EEEvT1_,comdat
	.globl	_ZN7rocprim17ROCPRIM_400000_NS6detail17trampoline_kernelINS0_14default_configENS1_25partition_config_selectorILNS1_17partition_subalgoE8ElNS0_10empty_typeEbEEZZNS1_14partition_implILS5_8ELb0ES3_jPlPS6_PKS6_NS0_5tupleIJS9_S6_EEENSD_IJSA_SA_EEENS0_18inequality_wrapperIZN2at6native12_GLOBAL__N_124unique_dim_cuda_templateIfEESt5tupleIJNSH_6TensorESM_SM_EERKSM_lbbbEUlllE0_EEPmJS6_EEE10hipError_tPvRmT3_T4_T5_T6_T7_T9_mT8_P12ihipStream_tbDpT10_ENKUlT_T0_E_clISt17integral_constantIbLb1EES1C_EEDaS17_S18_EUlS17_E_NS1_11comp_targetILNS1_3genE3ELNS1_11target_archE908ELNS1_3gpuE7ELNS1_3repE0EEENS1_30default_config_static_selectorELNS0_4arch9wavefront6targetE1EEEvT1_ ; -- Begin function _ZN7rocprim17ROCPRIM_400000_NS6detail17trampoline_kernelINS0_14default_configENS1_25partition_config_selectorILNS1_17partition_subalgoE8ElNS0_10empty_typeEbEEZZNS1_14partition_implILS5_8ELb0ES3_jPlPS6_PKS6_NS0_5tupleIJS9_S6_EEENSD_IJSA_SA_EEENS0_18inequality_wrapperIZN2at6native12_GLOBAL__N_124unique_dim_cuda_templateIfEESt5tupleIJNSH_6TensorESM_SM_EERKSM_lbbbEUlllE0_EEPmJS6_EEE10hipError_tPvRmT3_T4_T5_T6_T7_T9_mT8_P12ihipStream_tbDpT10_ENKUlT_T0_E_clISt17integral_constantIbLb1EES1C_EEDaS17_S18_EUlS17_E_NS1_11comp_targetILNS1_3genE3ELNS1_11target_archE908ELNS1_3gpuE7ELNS1_3repE0EEENS1_30default_config_static_selectorELNS0_4arch9wavefront6targetE1EEEvT1_
	.p2align	8
	.type	_ZN7rocprim17ROCPRIM_400000_NS6detail17trampoline_kernelINS0_14default_configENS1_25partition_config_selectorILNS1_17partition_subalgoE8ElNS0_10empty_typeEbEEZZNS1_14partition_implILS5_8ELb0ES3_jPlPS6_PKS6_NS0_5tupleIJS9_S6_EEENSD_IJSA_SA_EEENS0_18inequality_wrapperIZN2at6native12_GLOBAL__N_124unique_dim_cuda_templateIfEESt5tupleIJNSH_6TensorESM_SM_EERKSM_lbbbEUlllE0_EEPmJS6_EEE10hipError_tPvRmT3_T4_T5_T6_T7_T9_mT8_P12ihipStream_tbDpT10_ENKUlT_T0_E_clISt17integral_constantIbLb1EES1C_EEDaS17_S18_EUlS17_E_NS1_11comp_targetILNS1_3genE3ELNS1_11target_archE908ELNS1_3gpuE7ELNS1_3repE0EEENS1_30default_config_static_selectorELNS0_4arch9wavefront6targetE1EEEvT1_,@function
_ZN7rocprim17ROCPRIM_400000_NS6detail17trampoline_kernelINS0_14default_configENS1_25partition_config_selectorILNS1_17partition_subalgoE8ElNS0_10empty_typeEbEEZZNS1_14partition_implILS5_8ELb0ES3_jPlPS6_PKS6_NS0_5tupleIJS9_S6_EEENSD_IJSA_SA_EEENS0_18inequality_wrapperIZN2at6native12_GLOBAL__N_124unique_dim_cuda_templateIfEESt5tupleIJNSH_6TensorESM_SM_EERKSM_lbbbEUlllE0_EEPmJS6_EEE10hipError_tPvRmT3_T4_T5_T6_T7_T9_mT8_P12ihipStream_tbDpT10_ENKUlT_T0_E_clISt17integral_constantIbLb1EES1C_EEDaS17_S18_EUlS17_E_NS1_11comp_targetILNS1_3genE3ELNS1_11target_archE908ELNS1_3gpuE7ELNS1_3repE0EEENS1_30default_config_static_selectorELNS0_4arch9wavefront6targetE1EEEvT1_: ; @_ZN7rocprim17ROCPRIM_400000_NS6detail17trampoline_kernelINS0_14default_configENS1_25partition_config_selectorILNS1_17partition_subalgoE8ElNS0_10empty_typeEbEEZZNS1_14partition_implILS5_8ELb0ES3_jPlPS6_PKS6_NS0_5tupleIJS9_S6_EEENSD_IJSA_SA_EEENS0_18inequality_wrapperIZN2at6native12_GLOBAL__N_124unique_dim_cuda_templateIfEESt5tupleIJNSH_6TensorESM_SM_EERKSM_lbbbEUlllE0_EEPmJS6_EEE10hipError_tPvRmT3_T4_T5_T6_T7_T9_mT8_P12ihipStream_tbDpT10_ENKUlT_T0_E_clISt17integral_constantIbLb1EES1C_EEDaS17_S18_EUlS17_E_NS1_11comp_targetILNS1_3genE3ELNS1_11target_archE908ELNS1_3gpuE7ELNS1_3repE0EEENS1_30default_config_static_selectorELNS0_4arch9wavefront6targetE1EEEvT1_
; %bb.0:
	.section	.rodata,"a",@progbits
	.p2align	6, 0x0
	.amdhsa_kernel _ZN7rocprim17ROCPRIM_400000_NS6detail17trampoline_kernelINS0_14default_configENS1_25partition_config_selectorILNS1_17partition_subalgoE8ElNS0_10empty_typeEbEEZZNS1_14partition_implILS5_8ELb0ES3_jPlPS6_PKS6_NS0_5tupleIJS9_S6_EEENSD_IJSA_SA_EEENS0_18inequality_wrapperIZN2at6native12_GLOBAL__N_124unique_dim_cuda_templateIfEESt5tupleIJNSH_6TensorESM_SM_EERKSM_lbbbEUlllE0_EEPmJS6_EEE10hipError_tPvRmT3_T4_T5_T6_T7_T9_mT8_P12ihipStream_tbDpT10_ENKUlT_T0_E_clISt17integral_constantIbLb1EES1C_EEDaS17_S18_EUlS17_E_NS1_11comp_targetILNS1_3genE3ELNS1_11target_archE908ELNS1_3gpuE7ELNS1_3repE0EEENS1_30default_config_static_selectorELNS0_4arch9wavefront6targetE1EEEvT1_
		.amdhsa_group_segment_fixed_size 0
		.amdhsa_private_segment_fixed_size 0
		.amdhsa_kernarg_size 136
		.amdhsa_user_sgpr_count 2
		.amdhsa_user_sgpr_dispatch_ptr 0
		.amdhsa_user_sgpr_queue_ptr 0
		.amdhsa_user_sgpr_kernarg_segment_ptr 1
		.amdhsa_user_sgpr_dispatch_id 0
		.amdhsa_user_sgpr_kernarg_preload_length 0
		.amdhsa_user_sgpr_kernarg_preload_offset 0
		.amdhsa_user_sgpr_private_segment_size 0
		.amdhsa_uses_dynamic_stack 0
		.amdhsa_enable_private_segment 0
		.amdhsa_system_sgpr_workgroup_id_x 1
		.amdhsa_system_sgpr_workgroup_id_y 0
		.amdhsa_system_sgpr_workgroup_id_z 0
		.amdhsa_system_sgpr_workgroup_info 0
		.amdhsa_system_vgpr_workitem_id 0
		.amdhsa_next_free_vgpr 1
		.amdhsa_next_free_sgpr 0
		.amdhsa_accum_offset 4
		.amdhsa_reserve_vcc 0
		.amdhsa_float_round_mode_32 0
		.amdhsa_float_round_mode_16_64 0
		.amdhsa_float_denorm_mode_32 3
		.amdhsa_float_denorm_mode_16_64 3
		.amdhsa_dx10_clamp 1
		.amdhsa_ieee_mode 1
		.amdhsa_fp16_overflow 0
		.amdhsa_tg_split 0
		.amdhsa_exception_fp_ieee_invalid_op 0
		.amdhsa_exception_fp_denorm_src 0
		.amdhsa_exception_fp_ieee_div_zero 0
		.amdhsa_exception_fp_ieee_overflow 0
		.amdhsa_exception_fp_ieee_underflow 0
		.amdhsa_exception_fp_ieee_inexact 0
		.amdhsa_exception_int_div_zero 0
	.end_amdhsa_kernel
	.section	.text._ZN7rocprim17ROCPRIM_400000_NS6detail17trampoline_kernelINS0_14default_configENS1_25partition_config_selectorILNS1_17partition_subalgoE8ElNS0_10empty_typeEbEEZZNS1_14partition_implILS5_8ELb0ES3_jPlPS6_PKS6_NS0_5tupleIJS9_S6_EEENSD_IJSA_SA_EEENS0_18inequality_wrapperIZN2at6native12_GLOBAL__N_124unique_dim_cuda_templateIfEESt5tupleIJNSH_6TensorESM_SM_EERKSM_lbbbEUlllE0_EEPmJS6_EEE10hipError_tPvRmT3_T4_T5_T6_T7_T9_mT8_P12ihipStream_tbDpT10_ENKUlT_T0_E_clISt17integral_constantIbLb1EES1C_EEDaS17_S18_EUlS17_E_NS1_11comp_targetILNS1_3genE3ELNS1_11target_archE908ELNS1_3gpuE7ELNS1_3repE0EEENS1_30default_config_static_selectorELNS0_4arch9wavefront6targetE1EEEvT1_,"axG",@progbits,_ZN7rocprim17ROCPRIM_400000_NS6detail17trampoline_kernelINS0_14default_configENS1_25partition_config_selectorILNS1_17partition_subalgoE8ElNS0_10empty_typeEbEEZZNS1_14partition_implILS5_8ELb0ES3_jPlPS6_PKS6_NS0_5tupleIJS9_S6_EEENSD_IJSA_SA_EEENS0_18inequality_wrapperIZN2at6native12_GLOBAL__N_124unique_dim_cuda_templateIfEESt5tupleIJNSH_6TensorESM_SM_EERKSM_lbbbEUlllE0_EEPmJS6_EEE10hipError_tPvRmT3_T4_T5_T6_T7_T9_mT8_P12ihipStream_tbDpT10_ENKUlT_T0_E_clISt17integral_constantIbLb1EES1C_EEDaS17_S18_EUlS17_E_NS1_11comp_targetILNS1_3genE3ELNS1_11target_archE908ELNS1_3gpuE7ELNS1_3repE0EEENS1_30default_config_static_selectorELNS0_4arch9wavefront6targetE1EEEvT1_,comdat
.Lfunc_end940:
	.size	_ZN7rocprim17ROCPRIM_400000_NS6detail17trampoline_kernelINS0_14default_configENS1_25partition_config_selectorILNS1_17partition_subalgoE8ElNS0_10empty_typeEbEEZZNS1_14partition_implILS5_8ELb0ES3_jPlPS6_PKS6_NS0_5tupleIJS9_S6_EEENSD_IJSA_SA_EEENS0_18inequality_wrapperIZN2at6native12_GLOBAL__N_124unique_dim_cuda_templateIfEESt5tupleIJNSH_6TensorESM_SM_EERKSM_lbbbEUlllE0_EEPmJS6_EEE10hipError_tPvRmT3_T4_T5_T6_T7_T9_mT8_P12ihipStream_tbDpT10_ENKUlT_T0_E_clISt17integral_constantIbLb1EES1C_EEDaS17_S18_EUlS17_E_NS1_11comp_targetILNS1_3genE3ELNS1_11target_archE908ELNS1_3gpuE7ELNS1_3repE0EEENS1_30default_config_static_selectorELNS0_4arch9wavefront6targetE1EEEvT1_, .Lfunc_end940-_ZN7rocprim17ROCPRIM_400000_NS6detail17trampoline_kernelINS0_14default_configENS1_25partition_config_selectorILNS1_17partition_subalgoE8ElNS0_10empty_typeEbEEZZNS1_14partition_implILS5_8ELb0ES3_jPlPS6_PKS6_NS0_5tupleIJS9_S6_EEENSD_IJSA_SA_EEENS0_18inequality_wrapperIZN2at6native12_GLOBAL__N_124unique_dim_cuda_templateIfEESt5tupleIJNSH_6TensorESM_SM_EERKSM_lbbbEUlllE0_EEPmJS6_EEE10hipError_tPvRmT3_T4_T5_T6_T7_T9_mT8_P12ihipStream_tbDpT10_ENKUlT_T0_E_clISt17integral_constantIbLb1EES1C_EEDaS17_S18_EUlS17_E_NS1_11comp_targetILNS1_3genE3ELNS1_11target_archE908ELNS1_3gpuE7ELNS1_3repE0EEENS1_30default_config_static_selectorELNS0_4arch9wavefront6targetE1EEEvT1_
                                        ; -- End function
	.set _ZN7rocprim17ROCPRIM_400000_NS6detail17trampoline_kernelINS0_14default_configENS1_25partition_config_selectorILNS1_17partition_subalgoE8ElNS0_10empty_typeEbEEZZNS1_14partition_implILS5_8ELb0ES3_jPlPS6_PKS6_NS0_5tupleIJS9_S6_EEENSD_IJSA_SA_EEENS0_18inequality_wrapperIZN2at6native12_GLOBAL__N_124unique_dim_cuda_templateIfEESt5tupleIJNSH_6TensorESM_SM_EERKSM_lbbbEUlllE0_EEPmJS6_EEE10hipError_tPvRmT3_T4_T5_T6_T7_T9_mT8_P12ihipStream_tbDpT10_ENKUlT_T0_E_clISt17integral_constantIbLb1EES1C_EEDaS17_S18_EUlS17_E_NS1_11comp_targetILNS1_3genE3ELNS1_11target_archE908ELNS1_3gpuE7ELNS1_3repE0EEENS1_30default_config_static_selectorELNS0_4arch9wavefront6targetE1EEEvT1_.num_vgpr, 0
	.set _ZN7rocprim17ROCPRIM_400000_NS6detail17trampoline_kernelINS0_14default_configENS1_25partition_config_selectorILNS1_17partition_subalgoE8ElNS0_10empty_typeEbEEZZNS1_14partition_implILS5_8ELb0ES3_jPlPS6_PKS6_NS0_5tupleIJS9_S6_EEENSD_IJSA_SA_EEENS0_18inequality_wrapperIZN2at6native12_GLOBAL__N_124unique_dim_cuda_templateIfEESt5tupleIJNSH_6TensorESM_SM_EERKSM_lbbbEUlllE0_EEPmJS6_EEE10hipError_tPvRmT3_T4_T5_T6_T7_T9_mT8_P12ihipStream_tbDpT10_ENKUlT_T0_E_clISt17integral_constantIbLb1EES1C_EEDaS17_S18_EUlS17_E_NS1_11comp_targetILNS1_3genE3ELNS1_11target_archE908ELNS1_3gpuE7ELNS1_3repE0EEENS1_30default_config_static_selectorELNS0_4arch9wavefront6targetE1EEEvT1_.num_agpr, 0
	.set _ZN7rocprim17ROCPRIM_400000_NS6detail17trampoline_kernelINS0_14default_configENS1_25partition_config_selectorILNS1_17partition_subalgoE8ElNS0_10empty_typeEbEEZZNS1_14partition_implILS5_8ELb0ES3_jPlPS6_PKS6_NS0_5tupleIJS9_S6_EEENSD_IJSA_SA_EEENS0_18inequality_wrapperIZN2at6native12_GLOBAL__N_124unique_dim_cuda_templateIfEESt5tupleIJNSH_6TensorESM_SM_EERKSM_lbbbEUlllE0_EEPmJS6_EEE10hipError_tPvRmT3_T4_T5_T6_T7_T9_mT8_P12ihipStream_tbDpT10_ENKUlT_T0_E_clISt17integral_constantIbLb1EES1C_EEDaS17_S18_EUlS17_E_NS1_11comp_targetILNS1_3genE3ELNS1_11target_archE908ELNS1_3gpuE7ELNS1_3repE0EEENS1_30default_config_static_selectorELNS0_4arch9wavefront6targetE1EEEvT1_.numbered_sgpr, 0
	.set _ZN7rocprim17ROCPRIM_400000_NS6detail17trampoline_kernelINS0_14default_configENS1_25partition_config_selectorILNS1_17partition_subalgoE8ElNS0_10empty_typeEbEEZZNS1_14partition_implILS5_8ELb0ES3_jPlPS6_PKS6_NS0_5tupleIJS9_S6_EEENSD_IJSA_SA_EEENS0_18inequality_wrapperIZN2at6native12_GLOBAL__N_124unique_dim_cuda_templateIfEESt5tupleIJNSH_6TensorESM_SM_EERKSM_lbbbEUlllE0_EEPmJS6_EEE10hipError_tPvRmT3_T4_T5_T6_T7_T9_mT8_P12ihipStream_tbDpT10_ENKUlT_T0_E_clISt17integral_constantIbLb1EES1C_EEDaS17_S18_EUlS17_E_NS1_11comp_targetILNS1_3genE3ELNS1_11target_archE908ELNS1_3gpuE7ELNS1_3repE0EEENS1_30default_config_static_selectorELNS0_4arch9wavefront6targetE1EEEvT1_.num_named_barrier, 0
	.set _ZN7rocprim17ROCPRIM_400000_NS6detail17trampoline_kernelINS0_14default_configENS1_25partition_config_selectorILNS1_17partition_subalgoE8ElNS0_10empty_typeEbEEZZNS1_14partition_implILS5_8ELb0ES3_jPlPS6_PKS6_NS0_5tupleIJS9_S6_EEENSD_IJSA_SA_EEENS0_18inequality_wrapperIZN2at6native12_GLOBAL__N_124unique_dim_cuda_templateIfEESt5tupleIJNSH_6TensorESM_SM_EERKSM_lbbbEUlllE0_EEPmJS6_EEE10hipError_tPvRmT3_T4_T5_T6_T7_T9_mT8_P12ihipStream_tbDpT10_ENKUlT_T0_E_clISt17integral_constantIbLb1EES1C_EEDaS17_S18_EUlS17_E_NS1_11comp_targetILNS1_3genE3ELNS1_11target_archE908ELNS1_3gpuE7ELNS1_3repE0EEENS1_30default_config_static_selectorELNS0_4arch9wavefront6targetE1EEEvT1_.private_seg_size, 0
	.set _ZN7rocprim17ROCPRIM_400000_NS6detail17trampoline_kernelINS0_14default_configENS1_25partition_config_selectorILNS1_17partition_subalgoE8ElNS0_10empty_typeEbEEZZNS1_14partition_implILS5_8ELb0ES3_jPlPS6_PKS6_NS0_5tupleIJS9_S6_EEENSD_IJSA_SA_EEENS0_18inequality_wrapperIZN2at6native12_GLOBAL__N_124unique_dim_cuda_templateIfEESt5tupleIJNSH_6TensorESM_SM_EERKSM_lbbbEUlllE0_EEPmJS6_EEE10hipError_tPvRmT3_T4_T5_T6_T7_T9_mT8_P12ihipStream_tbDpT10_ENKUlT_T0_E_clISt17integral_constantIbLb1EES1C_EEDaS17_S18_EUlS17_E_NS1_11comp_targetILNS1_3genE3ELNS1_11target_archE908ELNS1_3gpuE7ELNS1_3repE0EEENS1_30default_config_static_selectorELNS0_4arch9wavefront6targetE1EEEvT1_.uses_vcc, 0
	.set _ZN7rocprim17ROCPRIM_400000_NS6detail17trampoline_kernelINS0_14default_configENS1_25partition_config_selectorILNS1_17partition_subalgoE8ElNS0_10empty_typeEbEEZZNS1_14partition_implILS5_8ELb0ES3_jPlPS6_PKS6_NS0_5tupleIJS9_S6_EEENSD_IJSA_SA_EEENS0_18inequality_wrapperIZN2at6native12_GLOBAL__N_124unique_dim_cuda_templateIfEESt5tupleIJNSH_6TensorESM_SM_EERKSM_lbbbEUlllE0_EEPmJS6_EEE10hipError_tPvRmT3_T4_T5_T6_T7_T9_mT8_P12ihipStream_tbDpT10_ENKUlT_T0_E_clISt17integral_constantIbLb1EES1C_EEDaS17_S18_EUlS17_E_NS1_11comp_targetILNS1_3genE3ELNS1_11target_archE908ELNS1_3gpuE7ELNS1_3repE0EEENS1_30default_config_static_selectorELNS0_4arch9wavefront6targetE1EEEvT1_.uses_flat_scratch, 0
	.set _ZN7rocprim17ROCPRIM_400000_NS6detail17trampoline_kernelINS0_14default_configENS1_25partition_config_selectorILNS1_17partition_subalgoE8ElNS0_10empty_typeEbEEZZNS1_14partition_implILS5_8ELb0ES3_jPlPS6_PKS6_NS0_5tupleIJS9_S6_EEENSD_IJSA_SA_EEENS0_18inequality_wrapperIZN2at6native12_GLOBAL__N_124unique_dim_cuda_templateIfEESt5tupleIJNSH_6TensorESM_SM_EERKSM_lbbbEUlllE0_EEPmJS6_EEE10hipError_tPvRmT3_T4_T5_T6_T7_T9_mT8_P12ihipStream_tbDpT10_ENKUlT_T0_E_clISt17integral_constantIbLb1EES1C_EEDaS17_S18_EUlS17_E_NS1_11comp_targetILNS1_3genE3ELNS1_11target_archE908ELNS1_3gpuE7ELNS1_3repE0EEENS1_30default_config_static_selectorELNS0_4arch9wavefront6targetE1EEEvT1_.has_dyn_sized_stack, 0
	.set _ZN7rocprim17ROCPRIM_400000_NS6detail17trampoline_kernelINS0_14default_configENS1_25partition_config_selectorILNS1_17partition_subalgoE8ElNS0_10empty_typeEbEEZZNS1_14partition_implILS5_8ELb0ES3_jPlPS6_PKS6_NS0_5tupleIJS9_S6_EEENSD_IJSA_SA_EEENS0_18inequality_wrapperIZN2at6native12_GLOBAL__N_124unique_dim_cuda_templateIfEESt5tupleIJNSH_6TensorESM_SM_EERKSM_lbbbEUlllE0_EEPmJS6_EEE10hipError_tPvRmT3_T4_T5_T6_T7_T9_mT8_P12ihipStream_tbDpT10_ENKUlT_T0_E_clISt17integral_constantIbLb1EES1C_EEDaS17_S18_EUlS17_E_NS1_11comp_targetILNS1_3genE3ELNS1_11target_archE908ELNS1_3gpuE7ELNS1_3repE0EEENS1_30default_config_static_selectorELNS0_4arch9wavefront6targetE1EEEvT1_.has_recursion, 0
	.set _ZN7rocprim17ROCPRIM_400000_NS6detail17trampoline_kernelINS0_14default_configENS1_25partition_config_selectorILNS1_17partition_subalgoE8ElNS0_10empty_typeEbEEZZNS1_14partition_implILS5_8ELb0ES3_jPlPS6_PKS6_NS0_5tupleIJS9_S6_EEENSD_IJSA_SA_EEENS0_18inequality_wrapperIZN2at6native12_GLOBAL__N_124unique_dim_cuda_templateIfEESt5tupleIJNSH_6TensorESM_SM_EERKSM_lbbbEUlllE0_EEPmJS6_EEE10hipError_tPvRmT3_T4_T5_T6_T7_T9_mT8_P12ihipStream_tbDpT10_ENKUlT_T0_E_clISt17integral_constantIbLb1EES1C_EEDaS17_S18_EUlS17_E_NS1_11comp_targetILNS1_3genE3ELNS1_11target_archE908ELNS1_3gpuE7ELNS1_3repE0EEENS1_30default_config_static_selectorELNS0_4arch9wavefront6targetE1EEEvT1_.has_indirect_call, 0
	.section	.AMDGPU.csdata,"",@progbits
; Kernel info:
; codeLenInByte = 0
; TotalNumSgprs: 6
; NumVgprs: 0
; NumAgprs: 0
; TotalNumVgprs: 0
; ScratchSize: 0
; MemoryBound: 0
; FloatMode: 240
; IeeeMode: 1
; LDSByteSize: 0 bytes/workgroup (compile time only)
; SGPRBlocks: 0
; VGPRBlocks: 0
; NumSGPRsForWavesPerEU: 6
; NumVGPRsForWavesPerEU: 1
; AccumOffset: 4
; Occupancy: 8
; WaveLimiterHint : 0
; COMPUTE_PGM_RSRC2:SCRATCH_EN: 0
; COMPUTE_PGM_RSRC2:USER_SGPR: 2
; COMPUTE_PGM_RSRC2:TRAP_HANDLER: 0
; COMPUTE_PGM_RSRC2:TGID_X_EN: 1
; COMPUTE_PGM_RSRC2:TGID_Y_EN: 0
; COMPUTE_PGM_RSRC2:TGID_Z_EN: 0
; COMPUTE_PGM_RSRC2:TIDIG_COMP_CNT: 0
; COMPUTE_PGM_RSRC3_GFX90A:ACCUM_OFFSET: 0
; COMPUTE_PGM_RSRC3_GFX90A:TG_SPLIT: 0
	.section	.text._ZN7rocprim17ROCPRIM_400000_NS6detail17trampoline_kernelINS0_14default_configENS1_25partition_config_selectorILNS1_17partition_subalgoE8ElNS0_10empty_typeEbEEZZNS1_14partition_implILS5_8ELb0ES3_jPlPS6_PKS6_NS0_5tupleIJS9_S6_EEENSD_IJSA_SA_EEENS0_18inequality_wrapperIZN2at6native12_GLOBAL__N_124unique_dim_cuda_templateIfEESt5tupleIJNSH_6TensorESM_SM_EERKSM_lbbbEUlllE0_EEPmJS6_EEE10hipError_tPvRmT3_T4_T5_T6_T7_T9_mT8_P12ihipStream_tbDpT10_ENKUlT_T0_E_clISt17integral_constantIbLb1EES1C_EEDaS17_S18_EUlS17_E_NS1_11comp_targetILNS1_3genE2ELNS1_11target_archE906ELNS1_3gpuE6ELNS1_3repE0EEENS1_30default_config_static_selectorELNS0_4arch9wavefront6targetE1EEEvT1_,"axG",@progbits,_ZN7rocprim17ROCPRIM_400000_NS6detail17trampoline_kernelINS0_14default_configENS1_25partition_config_selectorILNS1_17partition_subalgoE8ElNS0_10empty_typeEbEEZZNS1_14partition_implILS5_8ELb0ES3_jPlPS6_PKS6_NS0_5tupleIJS9_S6_EEENSD_IJSA_SA_EEENS0_18inequality_wrapperIZN2at6native12_GLOBAL__N_124unique_dim_cuda_templateIfEESt5tupleIJNSH_6TensorESM_SM_EERKSM_lbbbEUlllE0_EEPmJS6_EEE10hipError_tPvRmT3_T4_T5_T6_T7_T9_mT8_P12ihipStream_tbDpT10_ENKUlT_T0_E_clISt17integral_constantIbLb1EES1C_EEDaS17_S18_EUlS17_E_NS1_11comp_targetILNS1_3genE2ELNS1_11target_archE906ELNS1_3gpuE6ELNS1_3repE0EEENS1_30default_config_static_selectorELNS0_4arch9wavefront6targetE1EEEvT1_,comdat
	.globl	_ZN7rocprim17ROCPRIM_400000_NS6detail17trampoline_kernelINS0_14default_configENS1_25partition_config_selectorILNS1_17partition_subalgoE8ElNS0_10empty_typeEbEEZZNS1_14partition_implILS5_8ELb0ES3_jPlPS6_PKS6_NS0_5tupleIJS9_S6_EEENSD_IJSA_SA_EEENS0_18inequality_wrapperIZN2at6native12_GLOBAL__N_124unique_dim_cuda_templateIfEESt5tupleIJNSH_6TensorESM_SM_EERKSM_lbbbEUlllE0_EEPmJS6_EEE10hipError_tPvRmT3_T4_T5_T6_T7_T9_mT8_P12ihipStream_tbDpT10_ENKUlT_T0_E_clISt17integral_constantIbLb1EES1C_EEDaS17_S18_EUlS17_E_NS1_11comp_targetILNS1_3genE2ELNS1_11target_archE906ELNS1_3gpuE6ELNS1_3repE0EEENS1_30default_config_static_selectorELNS0_4arch9wavefront6targetE1EEEvT1_ ; -- Begin function _ZN7rocprim17ROCPRIM_400000_NS6detail17trampoline_kernelINS0_14default_configENS1_25partition_config_selectorILNS1_17partition_subalgoE8ElNS0_10empty_typeEbEEZZNS1_14partition_implILS5_8ELb0ES3_jPlPS6_PKS6_NS0_5tupleIJS9_S6_EEENSD_IJSA_SA_EEENS0_18inequality_wrapperIZN2at6native12_GLOBAL__N_124unique_dim_cuda_templateIfEESt5tupleIJNSH_6TensorESM_SM_EERKSM_lbbbEUlllE0_EEPmJS6_EEE10hipError_tPvRmT3_T4_T5_T6_T7_T9_mT8_P12ihipStream_tbDpT10_ENKUlT_T0_E_clISt17integral_constantIbLb1EES1C_EEDaS17_S18_EUlS17_E_NS1_11comp_targetILNS1_3genE2ELNS1_11target_archE906ELNS1_3gpuE6ELNS1_3repE0EEENS1_30default_config_static_selectorELNS0_4arch9wavefront6targetE1EEEvT1_
	.p2align	8
	.type	_ZN7rocprim17ROCPRIM_400000_NS6detail17trampoline_kernelINS0_14default_configENS1_25partition_config_selectorILNS1_17partition_subalgoE8ElNS0_10empty_typeEbEEZZNS1_14partition_implILS5_8ELb0ES3_jPlPS6_PKS6_NS0_5tupleIJS9_S6_EEENSD_IJSA_SA_EEENS0_18inequality_wrapperIZN2at6native12_GLOBAL__N_124unique_dim_cuda_templateIfEESt5tupleIJNSH_6TensorESM_SM_EERKSM_lbbbEUlllE0_EEPmJS6_EEE10hipError_tPvRmT3_T4_T5_T6_T7_T9_mT8_P12ihipStream_tbDpT10_ENKUlT_T0_E_clISt17integral_constantIbLb1EES1C_EEDaS17_S18_EUlS17_E_NS1_11comp_targetILNS1_3genE2ELNS1_11target_archE906ELNS1_3gpuE6ELNS1_3repE0EEENS1_30default_config_static_selectorELNS0_4arch9wavefront6targetE1EEEvT1_,@function
_ZN7rocprim17ROCPRIM_400000_NS6detail17trampoline_kernelINS0_14default_configENS1_25partition_config_selectorILNS1_17partition_subalgoE8ElNS0_10empty_typeEbEEZZNS1_14partition_implILS5_8ELb0ES3_jPlPS6_PKS6_NS0_5tupleIJS9_S6_EEENSD_IJSA_SA_EEENS0_18inequality_wrapperIZN2at6native12_GLOBAL__N_124unique_dim_cuda_templateIfEESt5tupleIJNSH_6TensorESM_SM_EERKSM_lbbbEUlllE0_EEPmJS6_EEE10hipError_tPvRmT3_T4_T5_T6_T7_T9_mT8_P12ihipStream_tbDpT10_ENKUlT_T0_E_clISt17integral_constantIbLb1EES1C_EEDaS17_S18_EUlS17_E_NS1_11comp_targetILNS1_3genE2ELNS1_11target_archE906ELNS1_3gpuE6ELNS1_3repE0EEENS1_30default_config_static_selectorELNS0_4arch9wavefront6targetE1EEEvT1_: ; @_ZN7rocprim17ROCPRIM_400000_NS6detail17trampoline_kernelINS0_14default_configENS1_25partition_config_selectorILNS1_17partition_subalgoE8ElNS0_10empty_typeEbEEZZNS1_14partition_implILS5_8ELb0ES3_jPlPS6_PKS6_NS0_5tupleIJS9_S6_EEENSD_IJSA_SA_EEENS0_18inequality_wrapperIZN2at6native12_GLOBAL__N_124unique_dim_cuda_templateIfEESt5tupleIJNSH_6TensorESM_SM_EERKSM_lbbbEUlllE0_EEPmJS6_EEE10hipError_tPvRmT3_T4_T5_T6_T7_T9_mT8_P12ihipStream_tbDpT10_ENKUlT_T0_E_clISt17integral_constantIbLb1EES1C_EEDaS17_S18_EUlS17_E_NS1_11comp_targetILNS1_3genE2ELNS1_11target_archE906ELNS1_3gpuE6ELNS1_3repE0EEENS1_30default_config_static_selectorELNS0_4arch9wavefront6targetE1EEEvT1_
; %bb.0:
	.section	.rodata,"a",@progbits
	.p2align	6, 0x0
	.amdhsa_kernel _ZN7rocprim17ROCPRIM_400000_NS6detail17trampoline_kernelINS0_14default_configENS1_25partition_config_selectorILNS1_17partition_subalgoE8ElNS0_10empty_typeEbEEZZNS1_14partition_implILS5_8ELb0ES3_jPlPS6_PKS6_NS0_5tupleIJS9_S6_EEENSD_IJSA_SA_EEENS0_18inequality_wrapperIZN2at6native12_GLOBAL__N_124unique_dim_cuda_templateIfEESt5tupleIJNSH_6TensorESM_SM_EERKSM_lbbbEUlllE0_EEPmJS6_EEE10hipError_tPvRmT3_T4_T5_T6_T7_T9_mT8_P12ihipStream_tbDpT10_ENKUlT_T0_E_clISt17integral_constantIbLb1EES1C_EEDaS17_S18_EUlS17_E_NS1_11comp_targetILNS1_3genE2ELNS1_11target_archE906ELNS1_3gpuE6ELNS1_3repE0EEENS1_30default_config_static_selectorELNS0_4arch9wavefront6targetE1EEEvT1_
		.amdhsa_group_segment_fixed_size 0
		.amdhsa_private_segment_fixed_size 0
		.amdhsa_kernarg_size 136
		.amdhsa_user_sgpr_count 2
		.amdhsa_user_sgpr_dispatch_ptr 0
		.amdhsa_user_sgpr_queue_ptr 0
		.amdhsa_user_sgpr_kernarg_segment_ptr 1
		.amdhsa_user_sgpr_dispatch_id 0
		.amdhsa_user_sgpr_kernarg_preload_length 0
		.amdhsa_user_sgpr_kernarg_preload_offset 0
		.amdhsa_user_sgpr_private_segment_size 0
		.amdhsa_uses_dynamic_stack 0
		.amdhsa_enable_private_segment 0
		.amdhsa_system_sgpr_workgroup_id_x 1
		.amdhsa_system_sgpr_workgroup_id_y 0
		.amdhsa_system_sgpr_workgroup_id_z 0
		.amdhsa_system_sgpr_workgroup_info 0
		.amdhsa_system_vgpr_workitem_id 0
		.amdhsa_next_free_vgpr 1
		.amdhsa_next_free_sgpr 0
		.amdhsa_accum_offset 4
		.amdhsa_reserve_vcc 0
		.amdhsa_float_round_mode_32 0
		.amdhsa_float_round_mode_16_64 0
		.amdhsa_float_denorm_mode_32 3
		.amdhsa_float_denorm_mode_16_64 3
		.amdhsa_dx10_clamp 1
		.amdhsa_ieee_mode 1
		.amdhsa_fp16_overflow 0
		.amdhsa_tg_split 0
		.amdhsa_exception_fp_ieee_invalid_op 0
		.amdhsa_exception_fp_denorm_src 0
		.amdhsa_exception_fp_ieee_div_zero 0
		.amdhsa_exception_fp_ieee_overflow 0
		.amdhsa_exception_fp_ieee_underflow 0
		.amdhsa_exception_fp_ieee_inexact 0
		.amdhsa_exception_int_div_zero 0
	.end_amdhsa_kernel
	.section	.text._ZN7rocprim17ROCPRIM_400000_NS6detail17trampoline_kernelINS0_14default_configENS1_25partition_config_selectorILNS1_17partition_subalgoE8ElNS0_10empty_typeEbEEZZNS1_14partition_implILS5_8ELb0ES3_jPlPS6_PKS6_NS0_5tupleIJS9_S6_EEENSD_IJSA_SA_EEENS0_18inequality_wrapperIZN2at6native12_GLOBAL__N_124unique_dim_cuda_templateIfEESt5tupleIJNSH_6TensorESM_SM_EERKSM_lbbbEUlllE0_EEPmJS6_EEE10hipError_tPvRmT3_T4_T5_T6_T7_T9_mT8_P12ihipStream_tbDpT10_ENKUlT_T0_E_clISt17integral_constantIbLb1EES1C_EEDaS17_S18_EUlS17_E_NS1_11comp_targetILNS1_3genE2ELNS1_11target_archE906ELNS1_3gpuE6ELNS1_3repE0EEENS1_30default_config_static_selectorELNS0_4arch9wavefront6targetE1EEEvT1_,"axG",@progbits,_ZN7rocprim17ROCPRIM_400000_NS6detail17trampoline_kernelINS0_14default_configENS1_25partition_config_selectorILNS1_17partition_subalgoE8ElNS0_10empty_typeEbEEZZNS1_14partition_implILS5_8ELb0ES3_jPlPS6_PKS6_NS0_5tupleIJS9_S6_EEENSD_IJSA_SA_EEENS0_18inequality_wrapperIZN2at6native12_GLOBAL__N_124unique_dim_cuda_templateIfEESt5tupleIJNSH_6TensorESM_SM_EERKSM_lbbbEUlllE0_EEPmJS6_EEE10hipError_tPvRmT3_T4_T5_T6_T7_T9_mT8_P12ihipStream_tbDpT10_ENKUlT_T0_E_clISt17integral_constantIbLb1EES1C_EEDaS17_S18_EUlS17_E_NS1_11comp_targetILNS1_3genE2ELNS1_11target_archE906ELNS1_3gpuE6ELNS1_3repE0EEENS1_30default_config_static_selectorELNS0_4arch9wavefront6targetE1EEEvT1_,comdat
.Lfunc_end941:
	.size	_ZN7rocprim17ROCPRIM_400000_NS6detail17trampoline_kernelINS0_14default_configENS1_25partition_config_selectorILNS1_17partition_subalgoE8ElNS0_10empty_typeEbEEZZNS1_14partition_implILS5_8ELb0ES3_jPlPS6_PKS6_NS0_5tupleIJS9_S6_EEENSD_IJSA_SA_EEENS0_18inequality_wrapperIZN2at6native12_GLOBAL__N_124unique_dim_cuda_templateIfEESt5tupleIJNSH_6TensorESM_SM_EERKSM_lbbbEUlllE0_EEPmJS6_EEE10hipError_tPvRmT3_T4_T5_T6_T7_T9_mT8_P12ihipStream_tbDpT10_ENKUlT_T0_E_clISt17integral_constantIbLb1EES1C_EEDaS17_S18_EUlS17_E_NS1_11comp_targetILNS1_3genE2ELNS1_11target_archE906ELNS1_3gpuE6ELNS1_3repE0EEENS1_30default_config_static_selectorELNS0_4arch9wavefront6targetE1EEEvT1_, .Lfunc_end941-_ZN7rocprim17ROCPRIM_400000_NS6detail17trampoline_kernelINS0_14default_configENS1_25partition_config_selectorILNS1_17partition_subalgoE8ElNS0_10empty_typeEbEEZZNS1_14partition_implILS5_8ELb0ES3_jPlPS6_PKS6_NS0_5tupleIJS9_S6_EEENSD_IJSA_SA_EEENS0_18inequality_wrapperIZN2at6native12_GLOBAL__N_124unique_dim_cuda_templateIfEESt5tupleIJNSH_6TensorESM_SM_EERKSM_lbbbEUlllE0_EEPmJS6_EEE10hipError_tPvRmT3_T4_T5_T6_T7_T9_mT8_P12ihipStream_tbDpT10_ENKUlT_T0_E_clISt17integral_constantIbLb1EES1C_EEDaS17_S18_EUlS17_E_NS1_11comp_targetILNS1_3genE2ELNS1_11target_archE906ELNS1_3gpuE6ELNS1_3repE0EEENS1_30default_config_static_selectorELNS0_4arch9wavefront6targetE1EEEvT1_
                                        ; -- End function
	.set _ZN7rocprim17ROCPRIM_400000_NS6detail17trampoline_kernelINS0_14default_configENS1_25partition_config_selectorILNS1_17partition_subalgoE8ElNS0_10empty_typeEbEEZZNS1_14partition_implILS5_8ELb0ES3_jPlPS6_PKS6_NS0_5tupleIJS9_S6_EEENSD_IJSA_SA_EEENS0_18inequality_wrapperIZN2at6native12_GLOBAL__N_124unique_dim_cuda_templateIfEESt5tupleIJNSH_6TensorESM_SM_EERKSM_lbbbEUlllE0_EEPmJS6_EEE10hipError_tPvRmT3_T4_T5_T6_T7_T9_mT8_P12ihipStream_tbDpT10_ENKUlT_T0_E_clISt17integral_constantIbLb1EES1C_EEDaS17_S18_EUlS17_E_NS1_11comp_targetILNS1_3genE2ELNS1_11target_archE906ELNS1_3gpuE6ELNS1_3repE0EEENS1_30default_config_static_selectorELNS0_4arch9wavefront6targetE1EEEvT1_.num_vgpr, 0
	.set _ZN7rocprim17ROCPRIM_400000_NS6detail17trampoline_kernelINS0_14default_configENS1_25partition_config_selectorILNS1_17partition_subalgoE8ElNS0_10empty_typeEbEEZZNS1_14partition_implILS5_8ELb0ES3_jPlPS6_PKS6_NS0_5tupleIJS9_S6_EEENSD_IJSA_SA_EEENS0_18inequality_wrapperIZN2at6native12_GLOBAL__N_124unique_dim_cuda_templateIfEESt5tupleIJNSH_6TensorESM_SM_EERKSM_lbbbEUlllE0_EEPmJS6_EEE10hipError_tPvRmT3_T4_T5_T6_T7_T9_mT8_P12ihipStream_tbDpT10_ENKUlT_T0_E_clISt17integral_constantIbLb1EES1C_EEDaS17_S18_EUlS17_E_NS1_11comp_targetILNS1_3genE2ELNS1_11target_archE906ELNS1_3gpuE6ELNS1_3repE0EEENS1_30default_config_static_selectorELNS0_4arch9wavefront6targetE1EEEvT1_.num_agpr, 0
	.set _ZN7rocprim17ROCPRIM_400000_NS6detail17trampoline_kernelINS0_14default_configENS1_25partition_config_selectorILNS1_17partition_subalgoE8ElNS0_10empty_typeEbEEZZNS1_14partition_implILS5_8ELb0ES3_jPlPS6_PKS6_NS0_5tupleIJS9_S6_EEENSD_IJSA_SA_EEENS0_18inequality_wrapperIZN2at6native12_GLOBAL__N_124unique_dim_cuda_templateIfEESt5tupleIJNSH_6TensorESM_SM_EERKSM_lbbbEUlllE0_EEPmJS6_EEE10hipError_tPvRmT3_T4_T5_T6_T7_T9_mT8_P12ihipStream_tbDpT10_ENKUlT_T0_E_clISt17integral_constantIbLb1EES1C_EEDaS17_S18_EUlS17_E_NS1_11comp_targetILNS1_3genE2ELNS1_11target_archE906ELNS1_3gpuE6ELNS1_3repE0EEENS1_30default_config_static_selectorELNS0_4arch9wavefront6targetE1EEEvT1_.numbered_sgpr, 0
	.set _ZN7rocprim17ROCPRIM_400000_NS6detail17trampoline_kernelINS0_14default_configENS1_25partition_config_selectorILNS1_17partition_subalgoE8ElNS0_10empty_typeEbEEZZNS1_14partition_implILS5_8ELb0ES3_jPlPS6_PKS6_NS0_5tupleIJS9_S6_EEENSD_IJSA_SA_EEENS0_18inequality_wrapperIZN2at6native12_GLOBAL__N_124unique_dim_cuda_templateIfEESt5tupleIJNSH_6TensorESM_SM_EERKSM_lbbbEUlllE0_EEPmJS6_EEE10hipError_tPvRmT3_T4_T5_T6_T7_T9_mT8_P12ihipStream_tbDpT10_ENKUlT_T0_E_clISt17integral_constantIbLb1EES1C_EEDaS17_S18_EUlS17_E_NS1_11comp_targetILNS1_3genE2ELNS1_11target_archE906ELNS1_3gpuE6ELNS1_3repE0EEENS1_30default_config_static_selectorELNS0_4arch9wavefront6targetE1EEEvT1_.num_named_barrier, 0
	.set _ZN7rocprim17ROCPRIM_400000_NS6detail17trampoline_kernelINS0_14default_configENS1_25partition_config_selectorILNS1_17partition_subalgoE8ElNS0_10empty_typeEbEEZZNS1_14partition_implILS5_8ELb0ES3_jPlPS6_PKS6_NS0_5tupleIJS9_S6_EEENSD_IJSA_SA_EEENS0_18inequality_wrapperIZN2at6native12_GLOBAL__N_124unique_dim_cuda_templateIfEESt5tupleIJNSH_6TensorESM_SM_EERKSM_lbbbEUlllE0_EEPmJS6_EEE10hipError_tPvRmT3_T4_T5_T6_T7_T9_mT8_P12ihipStream_tbDpT10_ENKUlT_T0_E_clISt17integral_constantIbLb1EES1C_EEDaS17_S18_EUlS17_E_NS1_11comp_targetILNS1_3genE2ELNS1_11target_archE906ELNS1_3gpuE6ELNS1_3repE0EEENS1_30default_config_static_selectorELNS0_4arch9wavefront6targetE1EEEvT1_.private_seg_size, 0
	.set _ZN7rocprim17ROCPRIM_400000_NS6detail17trampoline_kernelINS0_14default_configENS1_25partition_config_selectorILNS1_17partition_subalgoE8ElNS0_10empty_typeEbEEZZNS1_14partition_implILS5_8ELb0ES3_jPlPS6_PKS6_NS0_5tupleIJS9_S6_EEENSD_IJSA_SA_EEENS0_18inequality_wrapperIZN2at6native12_GLOBAL__N_124unique_dim_cuda_templateIfEESt5tupleIJNSH_6TensorESM_SM_EERKSM_lbbbEUlllE0_EEPmJS6_EEE10hipError_tPvRmT3_T4_T5_T6_T7_T9_mT8_P12ihipStream_tbDpT10_ENKUlT_T0_E_clISt17integral_constantIbLb1EES1C_EEDaS17_S18_EUlS17_E_NS1_11comp_targetILNS1_3genE2ELNS1_11target_archE906ELNS1_3gpuE6ELNS1_3repE0EEENS1_30default_config_static_selectorELNS0_4arch9wavefront6targetE1EEEvT1_.uses_vcc, 0
	.set _ZN7rocprim17ROCPRIM_400000_NS6detail17trampoline_kernelINS0_14default_configENS1_25partition_config_selectorILNS1_17partition_subalgoE8ElNS0_10empty_typeEbEEZZNS1_14partition_implILS5_8ELb0ES3_jPlPS6_PKS6_NS0_5tupleIJS9_S6_EEENSD_IJSA_SA_EEENS0_18inequality_wrapperIZN2at6native12_GLOBAL__N_124unique_dim_cuda_templateIfEESt5tupleIJNSH_6TensorESM_SM_EERKSM_lbbbEUlllE0_EEPmJS6_EEE10hipError_tPvRmT3_T4_T5_T6_T7_T9_mT8_P12ihipStream_tbDpT10_ENKUlT_T0_E_clISt17integral_constantIbLb1EES1C_EEDaS17_S18_EUlS17_E_NS1_11comp_targetILNS1_3genE2ELNS1_11target_archE906ELNS1_3gpuE6ELNS1_3repE0EEENS1_30default_config_static_selectorELNS0_4arch9wavefront6targetE1EEEvT1_.uses_flat_scratch, 0
	.set _ZN7rocprim17ROCPRIM_400000_NS6detail17trampoline_kernelINS0_14default_configENS1_25partition_config_selectorILNS1_17partition_subalgoE8ElNS0_10empty_typeEbEEZZNS1_14partition_implILS5_8ELb0ES3_jPlPS6_PKS6_NS0_5tupleIJS9_S6_EEENSD_IJSA_SA_EEENS0_18inequality_wrapperIZN2at6native12_GLOBAL__N_124unique_dim_cuda_templateIfEESt5tupleIJNSH_6TensorESM_SM_EERKSM_lbbbEUlllE0_EEPmJS6_EEE10hipError_tPvRmT3_T4_T5_T6_T7_T9_mT8_P12ihipStream_tbDpT10_ENKUlT_T0_E_clISt17integral_constantIbLb1EES1C_EEDaS17_S18_EUlS17_E_NS1_11comp_targetILNS1_3genE2ELNS1_11target_archE906ELNS1_3gpuE6ELNS1_3repE0EEENS1_30default_config_static_selectorELNS0_4arch9wavefront6targetE1EEEvT1_.has_dyn_sized_stack, 0
	.set _ZN7rocprim17ROCPRIM_400000_NS6detail17trampoline_kernelINS0_14default_configENS1_25partition_config_selectorILNS1_17partition_subalgoE8ElNS0_10empty_typeEbEEZZNS1_14partition_implILS5_8ELb0ES3_jPlPS6_PKS6_NS0_5tupleIJS9_S6_EEENSD_IJSA_SA_EEENS0_18inequality_wrapperIZN2at6native12_GLOBAL__N_124unique_dim_cuda_templateIfEESt5tupleIJNSH_6TensorESM_SM_EERKSM_lbbbEUlllE0_EEPmJS6_EEE10hipError_tPvRmT3_T4_T5_T6_T7_T9_mT8_P12ihipStream_tbDpT10_ENKUlT_T0_E_clISt17integral_constantIbLb1EES1C_EEDaS17_S18_EUlS17_E_NS1_11comp_targetILNS1_3genE2ELNS1_11target_archE906ELNS1_3gpuE6ELNS1_3repE0EEENS1_30default_config_static_selectorELNS0_4arch9wavefront6targetE1EEEvT1_.has_recursion, 0
	.set _ZN7rocprim17ROCPRIM_400000_NS6detail17trampoline_kernelINS0_14default_configENS1_25partition_config_selectorILNS1_17partition_subalgoE8ElNS0_10empty_typeEbEEZZNS1_14partition_implILS5_8ELb0ES3_jPlPS6_PKS6_NS0_5tupleIJS9_S6_EEENSD_IJSA_SA_EEENS0_18inequality_wrapperIZN2at6native12_GLOBAL__N_124unique_dim_cuda_templateIfEESt5tupleIJNSH_6TensorESM_SM_EERKSM_lbbbEUlllE0_EEPmJS6_EEE10hipError_tPvRmT3_T4_T5_T6_T7_T9_mT8_P12ihipStream_tbDpT10_ENKUlT_T0_E_clISt17integral_constantIbLb1EES1C_EEDaS17_S18_EUlS17_E_NS1_11comp_targetILNS1_3genE2ELNS1_11target_archE906ELNS1_3gpuE6ELNS1_3repE0EEENS1_30default_config_static_selectorELNS0_4arch9wavefront6targetE1EEEvT1_.has_indirect_call, 0
	.section	.AMDGPU.csdata,"",@progbits
; Kernel info:
; codeLenInByte = 0
; TotalNumSgprs: 6
; NumVgprs: 0
; NumAgprs: 0
; TotalNumVgprs: 0
; ScratchSize: 0
; MemoryBound: 0
; FloatMode: 240
; IeeeMode: 1
; LDSByteSize: 0 bytes/workgroup (compile time only)
; SGPRBlocks: 0
; VGPRBlocks: 0
; NumSGPRsForWavesPerEU: 6
; NumVGPRsForWavesPerEU: 1
; AccumOffset: 4
; Occupancy: 8
; WaveLimiterHint : 0
; COMPUTE_PGM_RSRC2:SCRATCH_EN: 0
; COMPUTE_PGM_RSRC2:USER_SGPR: 2
; COMPUTE_PGM_RSRC2:TRAP_HANDLER: 0
; COMPUTE_PGM_RSRC2:TGID_X_EN: 1
; COMPUTE_PGM_RSRC2:TGID_Y_EN: 0
; COMPUTE_PGM_RSRC2:TGID_Z_EN: 0
; COMPUTE_PGM_RSRC2:TIDIG_COMP_CNT: 0
; COMPUTE_PGM_RSRC3_GFX90A:ACCUM_OFFSET: 0
; COMPUTE_PGM_RSRC3_GFX90A:TG_SPLIT: 0
	.section	.text._ZN7rocprim17ROCPRIM_400000_NS6detail17trampoline_kernelINS0_14default_configENS1_25partition_config_selectorILNS1_17partition_subalgoE8ElNS0_10empty_typeEbEEZZNS1_14partition_implILS5_8ELb0ES3_jPlPS6_PKS6_NS0_5tupleIJS9_S6_EEENSD_IJSA_SA_EEENS0_18inequality_wrapperIZN2at6native12_GLOBAL__N_124unique_dim_cuda_templateIfEESt5tupleIJNSH_6TensorESM_SM_EERKSM_lbbbEUlllE0_EEPmJS6_EEE10hipError_tPvRmT3_T4_T5_T6_T7_T9_mT8_P12ihipStream_tbDpT10_ENKUlT_T0_E_clISt17integral_constantIbLb1EES1C_EEDaS17_S18_EUlS17_E_NS1_11comp_targetILNS1_3genE10ELNS1_11target_archE1200ELNS1_3gpuE4ELNS1_3repE0EEENS1_30default_config_static_selectorELNS0_4arch9wavefront6targetE1EEEvT1_,"axG",@progbits,_ZN7rocprim17ROCPRIM_400000_NS6detail17trampoline_kernelINS0_14default_configENS1_25partition_config_selectorILNS1_17partition_subalgoE8ElNS0_10empty_typeEbEEZZNS1_14partition_implILS5_8ELb0ES3_jPlPS6_PKS6_NS0_5tupleIJS9_S6_EEENSD_IJSA_SA_EEENS0_18inequality_wrapperIZN2at6native12_GLOBAL__N_124unique_dim_cuda_templateIfEESt5tupleIJNSH_6TensorESM_SM_EERKSM_lbbbEUlllE0_EEPmJS6_EEE10hipError_tPvRmT3_T4_T5_T6_T7_T9_mT8_P12ihipStream_tbDpT10_ENKUlT_T0_E_clISt17integral_constantIbLb1EES1C_EEDaS17_S18_EUlS17_E_NS1_11comp_targetILNS1_3genE10ELNS1_11target_archE1200ELNS1_3gpuE4ELNS1_3repE0EEENS1_30default_config_static_selectorELNS0_4arch9wavefront6targetE1EEEvT1_,comdat
	.globl	_ZN7rocprim17ROCPRIM_400000_NS6detail17trampoline_kernelINS0_14default_configENS1_25partition_config_selectorILNS1_17partition_subalgoE8ElNS0_10empty_typeEbEEZZNS1_14partition_implILS5_8ELb0ES3_jPlPS6_PKS6_NS0_5tupleIJS9_S6_EEENSD_IJSA_SA_EEENS0_18inequality_wrapperIZN2at6native12_GLOBAL__N_124unique_dim_cuda_templateIfEESt5tupleIJNSH_6TensorESM_SM_EERKSM_lbbbEUlllE0_EEPmJS6_EEE10hipError_tPvRmT3_T4_T5_T6_T7_T9_mT8_P12ihipStream_tbDpT10_ENKUlT_T0_E_clISt17integral_constantIbLb1EES1C_EEDaS17_S18_EUlS17_E_NS1_11comp_targetILNS1_3genE10ELNS1_11target_archE1200ELNS1_3gpuE4ELNS1_3repE0EEENS1_30default_config_static_selectorELNS0_4arch9wavefront6targetE1EEEvT1_ ; -- Begin function _ZN7rocprim17ROCPRIM_400000_NS6detail17trampoline_kernelINS0_14default_configENS1_25partition_config_selectorILNS1_17partition_subalgoE8ElNS0_10empty_typeEbEEZZNS1_14partition_implILS5_8ELb0ES3_jPlPS6_PKS6_NS0_5tupleIJS9_S6_EEENSD_IJSA_SA_EEENS0_18inequality_wrapperIZN2at6native12_GLOBAL__N_124unique_dim_cuda_templateIfEESt5tupleIJNSH_6TensorESM_SM_EERKSM_lbbbEUlllE0_EEPmJS6_EEE10hipError_tPvRmT3_T4_T5_T6_T7_T9_mT8_P12ihipStream_tbDpT10_ENKUlT_T0_E_clISt17integral_constantIbLb1EES1C_EEDaS17_S18_EUlS17_E_NS1_11comp_targetILNS1_3genE10ELNS1_11target_archE1200ELNS1_3gpuE4ELNS1_3repE0EEENS1_30default_config_static_selectorELNS0_4arch9wavefront6targetE1EEEvT1_
	.p2align	8
	.type	_ZN7rocprim17ROCPRIM_400000_NS6detail17trampoline_kernelINS0_14default_configENS1_25partition_config_selectorILNS1_17partition_subalgoE8ElNS0_10empty_typeEbEEZZNS1_14partition_implILS5_8ELb0ES3_jPlPS6_PKS6_NS0_5tupleIJS9_S6_EEENSD_IJSA_SA_EEENS0_18inequality_wrapperIZN2at6native12_GLOBAL__N_124unique_dim_cuda_templateIfEESt5tupleIJNSH_6TensorESM_SM_EERKSM_lbbbEUlllE0_EEPmJS6_EEE10hipError_tPvRmT3_T4_T5_T6_T7_T9_mT8_P12ihipStream_tbDpT10_ENKUlT_T0_E_clISt17integral_constantIbLb1EES1C_EEDaS17_S18_EUlS17_E_NS1_11comp_targetILNS1_3genE10ELNS1_11target_archE1200ELNS1_3gpuE4ELNS1_3repE0EEENS1_30default_config_static_selectorELNS0_4arch9wavefront6targetE1EEEvT1_,@function
_ZN7rocprim17ROCPRIM_400000_NS6detail17trampoline_kernelINS0_14default_configENS1_25partition_config_selectorILNS1_17partition_subalgoE8ElNS0_10empty_typeEbEEZZNS1_14partition_implILS5_8ELb0ES3_jPlPS6_PKS6_NS0_5tupleIJS9_S6_EEENSD_IJSA_SA_EEENS0_18inequality_wrapperIZN2at6native12_GLOBAL__N_124unique_dim_cuda_templateIfEESt5tupleIJNSH_6TensorESM_SM_EERKSM_lbbbEUlllE0_EEPmJS6_EEE10hipError_tPvRmT3_T4_T5_T6_T7_T9_mT8_P12ihipStream_tbDpT10_ENKUlT_T0_E_clISt17integral_constantIbLb1EES1C_EEDaS17_S18_EUlS17_E_NS1_11comp_targetILNS1_3genE10ELNS1_11target_archE1200ELNS1_3gpuE4ELNS1_3repE0EEENS1_30default_config_static_selectorELNS0_4arch9wavefront6targetE1EEEvT1_: ; @_ZN7rocprim17ROCPRIM_400000_NS6detail17trampoline_kernelINS0_14default_configENS1_25partition_config_selectorILNS1_17partition_subalgoE8ElNS0_10empty_typeEbEEZZNS1_14partition_implILS5_8ELb0ES3_jPlPS6_PKS6_NS0_5tupleIJS9_S6_EEENSD_IJSA_SA_EEENS0_18inequality_wrapperIZN2at6native12_GLOBAL__N_124unique_dim_cuda_templateIfEESt5tupleIJNSH_6TensorESM_SM_EERKSM_lbbbEUlllE0_EEPmJS6_EEE10hipError_tPvRmT3_T4_T5_T6_T7_T9_mT8_P12ihipStream_tbDpT10_ENKUlT_T0_E_clISt17integral_constantIbLb1EES1C_EEDaS17_S18_EUlS17_E_NS1_11comp_targetILNS1_3genE10ELNS1_11target_archE1200ELNS1_3gpuE4ELNS1_3repE0EEENS1_30default_config_static_selectorELNS0_4arch9wavefront6targetE1EEEvT1_
; %bb.0:
	.section	.rodata,"a",@progbits
	.p2align	6, 0x0
	.amdhsa_kernel _ZN7rocprim17ROCPRIM_400000_NS6detail17trampoline_kernelINS0_14default_configENS1_25partition_config_selectorILNS1_17partition_subalgoE8ElNS0_10empty_typeEbEEZZNS1_14partition_implILS5_8ELb0ES3_jPlPS6_PKS6_NS0_5tupleIJS9_S6_EEENSD_IJSA_SA_EEENS0_18inequality_wrapperIZN2at6native12_GLOBAL__N_124unique_dim_cuda_templateIfEESt5tupleIJNSH_6TensorESM_SM_EERKSM_lbbbEUlllE0_EEPmJS6_EEE10hipError_tPvRmT3_T4_T5_T6_T7_T9_mT8_P12ihipStream_tbDpT10_ENKUlT_T0_E_clISt17integral_constantIbLb1EES1C_EEDaS17_S18_EUlS17_E_NS1_11comp_targetILNS1_3genE10ELNS1_11target_archE1200ELNS1_3gpuE4ELNS1_3repE0EEENS1_30default_config_static_selectorELNS0_4arch9wavefront6targetE1EEEvT1_
		.amdhsa_group_segment_fixed_size 0
		.amdhsa_private_segment_fixed_size 0
		.amdhsa_kernarg_size 136
		.amdhsa_user_sgpr_count 2
		.amdhsa_user_sgpr_dispatch_ptr 0
		.amdhsa_user_sgpr_queue_ptr 0
		.amdhsa_user_sgpr_kernarg_segment_ptr 1
		.amdhsa_user_sgpr_dispatch_id 0
		.amdhsa_user_sgpr_kernarg_preload_length 0
		.amdhsa_user_sgpr_kernarg_preload_offset 0
		.amdhsa_user_sgpr_private_segment_size 0
		.amdhsa_uses_dynamic_stack 0
		.amdhsa_enable_private_segment 0
		.amdhsa_system_sgpr_workgroup_id_x 1
		.amdhsa_system_sgpr_workgroup_id_y 0
		.amdhsa_system_sgpr_workgroup_id_z 0
		.amdhsa_system_sgpr_workgroup_info 0
		.amdhsa_system_vgpr_workitem_id 0
		.amdhsa_next_free_vgpr 1
		.amdhsa_next_free_sgpr 0
		.amdhsa_accum_offset 4
		.amdhsa_reserve_vcc 0
		.amdhsa_float_round_mode_32 0
		.amdhsa_float_round_mode_16_64 0
		.amdhsa_float_denorm_mode_32 3
		.amdhsa_float_denorm_mode_16_64 3
		.amdhsa_dx10_clamp 1
		.amdhsa_ieee_mode 1
		.amdhsa_fp16_overflow 0
		.amdhsa_tg_split 0
		.amdhsa_exception_fp_ieee_invalid_op 0
		.amdhsa_exception_fp_denorm_src 0
		.amdhsa_exception_fp_ieee_div_zero 0
		.amdhsa_exception_fp_ieee_overflow 0
		.amdhsa_exception_fp_ieee_underflow 0
		.amdhsa_exception_fp_ieee_inexact 0
		.amdhsa_exception_int_div_zero 0
	.end_amdhsa_kernel
	.section	.text._ZN7rocprim17ROCPRIM_400000_NS6detail17trampoline_kernelINS0_14default_configENS1_25partition_config_selectorILNS1_17partition_subalgoE8ElNS0_10empty_typeEbEEZZNS1_14partition_implILS5_8ELb0ES3_jPlPS6_PKS6_NS0_5tupleIJS9_S6_EEENSD_IJSA_SA_EEENS0_18inequality_wrapperIZN2at6native12_GLOBAL__N_124unique_dim_cuda_templateIfEESt5tupleIJNSH_6TensorESM_SM_EERKSM_lbbbEUlllE0_EEPmJS6_EEE10hipError_tPvRmT3_T4_T5_T6_T7_T9_mT8_P12ihipStream_tbDpT10_ENKUlT_T0_E_clISt17integral_constantIbLb1EES1C_EEDaS17_S18_EUlS17_E_NS1_11comp_targetILNS1_3genE10ELNS1_11target_archE1200ELNS1_3gpuE4ELNS1_3repE0EEENS1_30default_config_static_selectorELNS0_4arch9wavefront6targetE1EEEvT1_,"axG",@progbits,_ZN7rocprim17ROCPRIM_400000_NS6detail17trampoline_kernelINS0_14default_configENS1_25partition_config_selectorILNS1_17partition_subalgoE8ElNS0_10empty_typeEbEEZZNS1_14partition_implILS5_8ELb0ES3_jPlPS6_PKS6_NS0_5tupleIJS9_S6_EEENSD_IJSA_SA_EEENS0_18inequality_wrapperIZN2at6native12_GLOBAL__N_124unique_dim_cuda_templateIfEESt5tupleIJNSH_6TensorESM_SM_EERKSM_lbbbEUlllE0_EEPmJS6_EEE10hipError_tPvRmT3_T4_T5_T6_T7_T9_mT8_P12ihipStream_tbDpT10_ENKUlT_T0_E_clISt17integral_constantIbLb1EES1C_EEDaS17_S18_EUlS17_E_NS1_11comp_targetILNS1_3genE10ELNS1_11target_archE1200ELNS1_3gpuE4ELNS1_3repE0EEENS1_30default_config_static_selectorELNS0_4arch9wavefront6targetE1EEEvT1_,comdat
.Lfunc_end942:
	.size	_ZN7rocprim17ROCPRIM_400000_NS6detail17trampoline_kernelINS0_14default_configENS1_25partition_config_selectorILNS1_17partition_subalgoE8ElNS0_10empty_typeEbEEZZNS1_14partition_implILS5_8ELb0ES3_jPlPS6_PKS6_NS0_5tupleIJS9_S6_EEENSD_IJSA_SA_EEENS0_18inequality_wrapperIZN2at6native12_GLOBAL__N_124unique_dim_cuda_templateIfEESt5tupleIJNSH_6TensorESM_SM_EERKSM_lbbbEUlllE0_EEPmJS6_EEE10hipError_tPvRmT3_T4_T5_T6_T7_T9_mT8_P12ihipStream_tbDpT10_ENKUlT_T0_E_clISt17integral_constantIbLb1EES1C_EEDaS17_S18_EUlS17_E_NS1_11comp_targetILNS1_3genE10ELNS1_11target_archE1200ELNS1_3gpuE4ELNS1_3repE0EEENS1_30default_config_static_selectorELNS0_4arch9wavefront6targetE1EEEvT1_, .Lfunc_end942-_ZN7rocprim17ROCPRIM_400000_NS6detail17trampoline_kernelINS0_14default_configENS1_25partition_config_selectorILNS1_17partition_subalgoE8ElNS0_10empty_typeEbEEZZNS1_14partition_implILS5_8ELb0ES3_jPlPS6_PKS6_NS0_5tupleIJS9_S6_EEENSD_IJSA_SA_EEENS0_18inequality_wrapperIZN2at6native12_GLOBAL__N_124unique_dim_cuda_templateIfEESt5tupleIJNSH_6TensorESM_SM_EERKSM_lbbbEUlllE0_EEPmJS6_EEE10hipError_tPvRmT3_T4_T5_T6_T7_T9_mT8_P12ihipStream_tbDpT10_ENKUlT_T0_E_clISt17integral_constantIbLb1EES1C_EEDaS17_S18_EUlS17_E_NS1_11comp_targetILNS1_3genE10ELNS1_11target_archE1200ELNS1_3gpuE4ELNS1_3repE0EEENS1_30default_config_static_selectorELNS0_4arch9wavefront6targetE1EEEvT1_
                                        ; -- End function
	.set _ZN7rocprim17ROCPRIM_400000_NS6detail17trampoline_kernelINS0_14default_configENS1_25partition_config_selectorILNS1_17partition_subalgoE8ElNS0_10empty_typeEbEEZZNS1_14partition_implILS5_8ELb0ES3_jPlPS6_PKS6_NS0_5tupleIJS9_S6_EEENSD_IJSA_SA_EEENS0_18inequality_wrapperIZN2at6native12_GLOBAL__N_124unique_dim_cuda_templateIfEESt5tupleIJNSH_6TensorESM_SM_EERKSM_lbbbEUlllE0_EEPmJS6_EEE10hipError_tPvRmT3_T4_T5_T6_T7_T9_mT8_P12ihipStream_tbDpT10_ENKUlT_T0_E_clISt17integral_constantIbLb1EES1C_EEDaS17_S18_EUlS17_E_NS1_11comp_targetILNS1_3genE10ELNS1_11target_archE1200ELNS1_3gpuE4ELNS1_3repE0EEENS1_30default_config_static_selectorELNS0_4arch9wavefront6targetE1EEEvT1_.num_vgpr, 0
	.set _ZN7rocprim17ROCPRIM_400000_NS6detail17trampoline_kernelINS0_14default_configENS1_25partition_config_selectorILNS1_17partition_subalgoE8ElNS0_10empty_typeEbEEZZNS1_14partition_implILS5_8ELb0ES3_jPlPS6_PKS6_NS0_5tupleIJS9_S6_EEENSD_IJSA_SA_EEENS0_18inequality_wrapperIZN2at6native12_GLOBAL__N_124unique_dim_cuda_templateIfEESt5tupleIJNSH_6TensorESM_SM_EERKSM_lbbbEUlllE0_EEPmJS6_EEE10hipError_tPvRmT3_T4_T5_T6_T7_T9_mT8_P12ihipStream_tbDpT10_ENKUlT_T0_E_clISt17integral_constantIbLb1EES1C_EEDaS17_S18_EUlS17_E_NS1_11comp_targetILNS1_3genE10ELNS1_11target_archE1200ELNS1_3gpuE4ELNS1_3repE0EEENS1_30default_config_static_selectorELNS0_4arch9wavefront6targetE1EEEvT1_.num_agpr, 0
	.set _ZN7rocprim17ROCPRIM_400000_NS6detail17trampoline_kernelINS0_14default_configENS1_25partition_config_selectorILNS1_17partition_subalgoE8ElNS0_10empty_typeEbEEZZNS1_14partition_implILS5_8ELb0ES3_jPlPS6_PKS6_NS0_5tupleIJS9_S6_EEENSD_IJSA_SA_EEENS0_18inequality_wrapperIZN2at6native12_GLOBAL__N_124unique_dim_cuda_templateIfEESt5tupleIJNSH_6TensorESM_SM_EERKSM_lbbbEUlllE0_EEPmJS6_EEE10hipError_tPvRmT3_T4_T5_T6_T7_T9_mT8_P12ihipStream_tbDpT10_ENKUlT_T0_E_clISt17integral_constantIbLb1EES1C_EEDaS17_S18_EUlS17_E_NS1_11comp_targetILNS1_3genE10ELNS1_11target_archE1200ELNS1_3gpuE4ELNS1_3repE0EEENS1_30default_config_static_selectorELNS0_4arch9wavefront6targetE1EEEvT1_.numbered_sgpr, 0
	.set _ZN7rocprim17ROCPRIM_400000_NS6detail17trampoline_kernelINS0_14default_configENS1_25partition_config_selectorILNS1_17partition_subalgoE8ElNS0_10empty_typeEbEEZZNS1_14partition_implILS5_8ELb0ES3_jPlPS6_PKS6_NS0_5tupleIJS9_S6_EEENSD_IJSA_SA_EEENS0_18inequality_wrapperIZN2at6native12_GLOBAL__N_124unique_dim_cuda_templateIfEESt5tupleIJNSH_6TensorESM_SM_EERKSM_lbbbEUlllE0_EEPmJS6_EEE10hipError_tPvRmT3_T4_T5_T6_T7_T9_mT8_P12ihipStream_tbDpT10_ENKUlT_T0_E_clISt17integral_constantIbLb1EES1C_EEDaS17_S18_EUlS17_E_NS1_11comp_targetILNS1_3genE10ELNS1_11target_archE1200ELNS1_3gpuE4ELNS1_3repE0EEENS1_30default_config_static_selectorELNS0_4arch9wavefront6targetE1EEEvT1_.num_named_barrier, 0
	.set _ZN7rocprim17ROCPRIM_400000_NS6detail17trampoline_kernelINS0_14default_configENS1_25partition_config_selectorILNS1_17partition_subalgoE8ElNS0_10empty_typeEbEEZZNS1_14partition_implILS5_8ELb0ES3_jPlPS6_PKS6_NS0_5tupleIJS9_S6_EEENSD_IJSA_SA_EEENS0_18inequality_wrapperIZN2at6native12_GLOBAL__N_124unique_dim_cuda_templateIfEESt5tupleIJNSH_6TensorESM_SM_EERKSM_lbbbEUlllE0_EEPmJS6_EEE10hipError_tPvRmT3_T4_T5_T6_T7_T9_mT8_P12ihipStream_tbDpT10_ENKUlT_T0_E_clISt17integral_constantIbLb1EES1C_EEDaS17_S18_EUlS17_E_NS1_11comp_targetILNS1_3genE10ELNS1_11target_archE1200ELNS1_3gpuE4ELNS1_3repE0EEENS1_30default_config_static_selectorELNS0_4arch9wavefront6targetE1EEEvT1_.private_seg_size, 0
	.set _ZN7rocprim17ROCPRIM_400000_NS6detail17trampoline_kernelINS0_14default_configENS1_25partition_config_selectorILNS1_17partition_subalgoE8ElNS0_10empty_typeEbEEZZNS1_14partition_implILS5_8ELb0ES3_jPlPS6_PKS6_NS0_5tupleIJS9_S6_EEENSD_IJSA_SA_EEENS0_18inequality_wrapperIZN2at6native12_GLOBAL__N_124unique_dim_cuda_templateIfEESt5tupleIJNSH_6TensorESM_SM_EERKSM_lbbbEUlllE0_EEPmJS6_EEE10hipError_tPvRmT3_T4_T5_T6_T7_T9_mT8_P12ihipStream_tbDpT10_ENKUlT_T0_E_clISt17integral_constantIbLb1EES1C_EEDaS17_S18_EUlS17_E_NS1_11comp_targetILNS1_3genE10ELNS1_11target_archE1200ELNS1_3gpuE4ELNS1_3repE0EEENS1_30default_config_static_selectorELNS0_4arch9wavefront6targetE1EEEvT1_.uses_vcc, 0
	.set _ZN7rocprim17ROCPRIM_400000_NS6detail17trampoline_kernelINS0_14default_configENS1_25partition_config_selectorILNS1_17partition_subalgoE8ElNS0_10empty_typeEbEEZZNS1_14partition_implILS5_8ELb0ES3_jPlPS6_PKS6_NS0_5tupleIJS9_S6_EEENSD_IJSA_SA_EEENS0_18inequality_wrapperIZN2at6native12_GLOBAL__N_124unique_dim_cuda_templateIfEESt5tupleIJNSH_6TensorESM_SM_EERKSM_lbbbEUlllE0_EEPmJS6_EEE10hipError_tPvRmT3_T4_T5_T6_T7_T9_mT8_P12ihipStream_tbDpT10_ENKUlT_T0_E_clISt17integral_constantIbLb1EES1C_EEDaS17_S18_EUlS17_E_NS1_11comp_targetILNS1_3genE10ELNS1_11target_archE1200ELNS1_3gpuE4ELNS1_3repE0EEENS1_30default_config_static_selectorELNS0_4arch9wavefront6targetE1EEEvT1_.uses_flat_scratch, 0
	.set _ZN7rocprim17ROCPRIM_400000_NS6detail17trampoline_kernelINS0_14default_configENS1_25partition_config_selectorILNS1_17partition_subalgoE8ElNS0_10empty_typeEbEEZZNS1_14partition_implILS5_8ELb0ES3_jPlPS6_PKS6_NS0_5tupleIJS9_S6_EEENSD_IJSA_SA_EEENS0_18inequality_wrapperIZN2at6native12_GLOBAL__N_124unique_dim_cuda_templateIfEESt5tupleIJNSH_6TensorESM_SM_EERKSM_lbbbEUlllE0_EEPmJS6_EEE10hipError_tPvRmT3_T4_T5_T6_T7_T9_mT8_P12ihipStream_tbDpT10_ENKUlT_T0_E_clISt17integral_constantIbLb1EES1C_EEDaS17_S18_EUlS17_E_NS1_11comp_targetILNS1_3genE10ELNS1_11target_archE1200ELNS1_3gpuE4ELNS1_3repE0EEENS1_30default_config_static_selectorELNS0_4arch9wavefront6targetE1EEEvT1_.has_dyn_sized_stack, 0
	.set _ZN7rocprim17ROCPRIM_400000_NS6detail17trampoline_kernelINS0_14default_configENS1_25partition_config_selectorILNS1_17partition_subalgoE8ElNS0_10empty_typeEbEEZZNS1_14partition_implILS5_8ELb0ES3_jPlPS6_PKS6_NS0_5tupleIJS9_S6_EEENSD_IJSA_SA_EEENS0_18inequality_wrapperIZN2at6native12_GLOBAL__N_124unique_dim_cuda_templateIfEESt5tupleIJNSH_6TensorESM_SM_EERKSM_lbbbEUlllE0_EEPmJS6_EEE10hipError_tPvRmT3_T4_T5_T6_T7_T9_mT8_P12ihipStream_tbDpT10_ENKUlT_T0_E_clISt17integral_constantIbLb1EES1C_EEDaS17_S18_EUlS17_E_NS1_11comp_targetILNS1_3genE10ELNS1_11target_archE1200ELNS1_3gpuE4ELNS1_3repE0EEENS1_30default_config_static_selectorELNS0_4arch9wavefront6targetE1EEEvT1_.has_recursion, 0
	.set _ZN7rocprim17ROCPRIM_400000_NS6detail17trampoline_kernelINS0_14default_configENS1_25partition_config_selectorILNS1_17partition_subalgoE8ElNS0_10empty_typeEbEEZZNS1_14partition_implILS5_8ELb0ES3_jPlPS6_PKS6_NS0_5tupleIJS9_S6_EEENSD_IJSA_SA_EEENS0_18inequality_wrapperIZN2at6native12_GLOBAL__N_124unique_dim_cuda_templateIfEESt5tupleIJNSH_6TensorESM_SM_EERKSM_lbbbEUlllE0_EEPmJS6_EEE10hipError_tPvRmT3_T4_T5_T6_T7_T9_mT8_P12ihipStream_tbDpT10_ENKUlT_T0_E_clISt17integral_constantIbLb1EES1C_EEDaS17_S18_EUlS17_E_NS1_11comp_targetILNS1_3genE10ELNS1_11target_archE1200ELNS1_3gpuE4ELNS1_3repE0EEENS1_30default_config_static_selectorELNS0_4arch9wavefront6targetE1EEEvT1_.has_indirect_call, 0
	.section	.AMDGPU.csdata,"",@progbits
; Kernel info:
; codeLenInByte = 0
; TotalNumSgprs: 6
; NumVgprs: 0
; NumAgprs: 0
; TotalNumVgprs: 0
; ScratchSize: 0
; MemoryBound: 0
; FloatMode: 240
; IeeeMode: 1
; LDSByteSize: 0 bytes/workgroup (compile time only)
; SGPRBlocks: 0
; VGPRBlocks: 0
; NumSGPRsForWavesPerEU: 6
; NumVGPRsForWavesPerEU: 1
; AccumOffset: 4
; Occupancy: 8
; WaveLimiterHint : 0
; COMPUTE_PGM_RSRC2:SCRATCH_EN: 0
; COMPUTE_PGM_RSRC2:USER_SGPR: 2
; COMPUTE_PGM_RSRC2:TRAP_HANDLER: 0
; COMPUTE_PGM_RSRC2:TGID_X_EN: 1
; COMPUTE_PGM_RSRC2:TGID_Y_EN: 0
; COMPUTE_PGM_RSRC2:TGID_Z_EN: 0
; COMPUTE_PGM_RSRC2:TIDIG_COMP_CNT: 0
; COMPUTE_PGM_RSRC3_GFX90A:ACCUM_OFFSET: 0
; COMPUTE_PGM_RSRC3_GFX90A:TG_SPLIT: 0
	.section	.text._ZN7rocprim17ROCPRIM_400000_NS6detail17trampoline_kernelINS0_14default_configENS1_25partition_config_selectorILNS1_17partition_subalgoE8ElNS0_10empty_typeEbEEZZNS1_14partition_implILS5_8ELb0ES3_jPlPS6_PKS6_NS0_5tupleIJS9_S6_EEENSD_IJSA_SA_EEENS0_18inequality_wrapperIZN2at6native12_GLOBAL__N_124unique_dim_cuda_templateIfEESt5tupleIJNSH_6TensorESM_SM_EERKSM_lbbbEUlllE0_EEPmJS6_EEE10hipError_tPvRmT3_T4_T5_T6_T7_T9_mT8_P12ihipStream_tbDpT10_ENKUlT_T0_E_clISt17integral_constantIbLb1EES1C_EEDaS17_S18_EUlS17_E_NS1_11comp_targetILNS1_3genE9ELNS1_11target_archE1100ELNS1_3gpuE3ELNS1_3repE0EEENS1_30default_config_static_selectorELNS0_4arch9wavefront6targetE1EEEvT1_,"axG",@progbits,_ZN7rocprim17ROCPRIM_400000_NS6detail17trampoline_kernelINS0_14default_configENS1_25partition_config_selectorILNS1_17partition_subalgoE8ElNS0_10empty_typeEbEEZZNS1_14partition_implILS5_8ELb0ES3_jPlPS6_PKS6_NS0_5tupleIJS9_S6_EEENSD_IJSA_SA_EEENS0_18inequality_wrapperIZN2at6native12_GLOBAL__N_124unique_dim_cuda_templateIfEESt5tupleIJNSH_6TensorESM_SM_EERKSM_lbbbEUlllE0_EEPmJS6_EEE10hipError_tPvRmT3_T4_T5_T6_T7_T9_mT8_P12ihipStream_tbDpT10_ENKUlT_T0_E_clISt17integral_constantIbLb1EES1C_EEDaS17_S18_EUlS17_E_NS1_11comp_targetILNS1_3genE9ELNS1_11target_archE1100ELNS1_3gpuE3ELNS1_3repE0EEENS1_30default_config_static_selectorELNS0_4arch9wavefront6targetE1EEEvT1_,comdat
	.globl	_ZN7rocprim17ROCPRIM_400000_NS6detail17trampoline_kernelINS0_14default_configENS1_25partition_config_selectorILNS1_17partition_subalgoE8ElNS0_10empty_typeEbEEZZNS1_14partition_implILS5_8ELb0ES3_jPlPS6_PKS6_NS0_5tupleIJS9_S6_EEENSD_IJSA_SA_EEENS0_18inequality_wrapperIZN2at6native12_GLOBAL__N_124unique_dim_cuda_templateIfEESt5tupleIJNSH_6TensorESM_SM_EERKSM_lbbbEUlllE0_EEPmJS6_EEE10hipError_tPvRmT3_T4_T5_T6_T7_T9_mT8_P12ihipStream_tbDpT10_ENKUlT_T0_E_clISt17integral_constantIbLb1EES1C_EEDaS17_S18_EUlS17_E_NS1_11comp_targetILNS1_3genE9ELNS1_11target_archE1100ELNS1_3gpuE3ELNS1_3repE0EEENS1_30default_config_static_selectorELNS0_4arch9wavefront6targetE1EEEvT1_ ; -- Begin function _ZN7rocprim17ROCPRIM_400000_NS6detail17trampoline_kernelINS0_14default_configENS1_25partition_config_selectorILNS1_17partition_subalgoE8ElNS0_10empty_typeEbEEZZNS1_14partition_implILS5_8ELb0ES3_jPlPS6_PKS6_NS0_5tupleIJS9_S6_EEENSD_IJSA_SA_EEENS0_18inequality_wrapperIZN2at6native12_GLOBAL__N_124unique_dim_cuda_templateIfEESt5tupleIJNSH_6TensorESM_SM_EERKSM_lbbbEUlllE0_EEPmJS6_EEE10hipError_tPvRmT3_T4_T5_T6_T7_T9_mT8_P12ihipStream_tbDpT10_ENKUlT_T0_E_clISt17integral_constantIbLb1EES1C_EEDaS17_S18_EUlS17_E_NS1_11comp_targetILNS1_3genE9ELNS1_11target_archE1100ELNS1_3gpuE3ELNS1_3repE0EEENS1_30default_config_static_selectorELNS0_4arch9wavefront6targetE1EEEvT1_
	.p2align	8
	.type	_ZN7rocprim17ROCPRIM_400000_NS6detail17trampoline_kernelINS0_14default_configENS1_25partition_config_selectorILNS1_17partition_subalgoE8ElNS0_10empty_typeEbEEZZNS1_14partition_implILS5_8ELb0ES3_jPlPS6_PKS6_NS0_5tupleIJS9_S6_EEENSD_IJSA_SA_EEENS0_18inequality_wrapperIZN2at6native12_GLOBAL__N_124unique_dim_cuda_templateIfEESt5tupleIJNSH_6TensorESM_SM_EERKSM_lbbbEUlllE0_EEPmJS6_EEE10hipError_tPvRmT3_T4_T5_T6_T7_T9_mT8_P12ihipStream_tbDpT10_ENKUlT_T0_E_clISt17integral_constantIbLb1EES1C_EEDaS17_S18_EUlS17_E_NS1_11comp_targetILNS1_3genE9ELNS1_11target_archE1100ELNS1_3gpuE3ELNS1_3repE0EEENS1_30default_config_static_selectorELNS0_4arch9wavefront6targetE1EEEvT1_,@function
_ZN7rocprim17ROCPRIM_400000_NS6detail17trampoline_kernelINS0_14default_configENS1_25partition_config_selectorILNS1_17partition_subalgoE8ElNS0_10empty_typeEbEEZZNS1_14partition_implILS5_8ELb0ES3_jPlPS6_PKS6_NS0_5tupleIJS9_S6_EEENSD_IJSA_SA_EEENS0_18inequality_wrapperIZN2at6native12_GLOBAL__N_124unique_dim_cuda_templateIfEESt5tupleIJNSH_6TensorESM_SM_EERKSM_lbbbEUlllE0_EEPmJS6_EEE10hipError_tPvRmT3_T4_T5_T6_T7_T9_mT8_P12ihipStream_tbDpT10_ENKUlT_T0_E_clISt17integral_constantIbLb1EES1C_EEDaS17_S18_EUlS17_E_NS1_11comp_targetILNS1_3genE9ELNS1_11target_archE1100ELNS1_3gpuE3ELNS1_3repE0EEENS1_30default_config_static_selectorELNS0_4arch9wavefront6targetE1EEEvT1_: ; @_ZN7rocprim17ROCPRIM_400000_NS6detail17trampoline_kernelINS0_14default_configENS1_25partition_config_selectorILNS1_17partition_subalgoE8ElNS0_10empty_typeEbEEZZNS1_14partition_implILS5_8ELb0ES3_jPlPS6_PKS6_NS0_5tupleIJS9_S6_EEENSD_IJSA_SA_EEENS0_18inequality_wrapperIZN2at6native12_GLOBAL__N_124unique_dim_cuda_templateIfEESt5tupleIJNSH_6TensorESM_SM_EERKSM_lbbbEUlllE0_EEPmJS6_EEE10hipError_tPvRmT3_T4_T5_T6_T7_T9_mT8_P12ihipStream_tbDpT10_ENKUlT_T0_E_clISt17integral_constantIbLb1EES1C_EEDaS17_S18_EUlS17_E_NS1_11comp_targetILNS1_3genE9ELNS1_11target_archE1100ELNS1_3gpuE3ELNS1_3repE0EEENS1_30default_config_static_selectorELNS0_4arch9wavefront6targetE1EEEvT1_
; %bb.0:
	.section	.rodata,"a",@progbits
	.p2align	6, 0x0
	.amdhsa_kernel _ZN7rocprim17ROCPRIM_400000_NS6detail17trampoline_kernelINS0_14default_configENS1_25partition_config_selectorILNS1_17partition_subalgoE8ElNS0_10empty_typeEbEEZZNS1_14partition_implILS5_8ELb0ES3_jPlPS6_PKS6_NS0_5tupleIJS9_S6_EEENSD_IJSA_SA_EEENS0_18inequality_wrapperIZN2at6native12_GLOBAL__N_124unique_dim_cuda_templateIfEESt5tupleIJNSH_6TensorESM_SM_EERKSM_lbbbEUlllE0_EEPmJS6_EEE10hipError_tPvRmT3_T4_T5_T6_T7_T9_mT8_P12ihipStream_tbDpT10_ENKUlT_T0_E_clISt17integral_constantIbLb1EES1C_EEDaS17_S18_EUlS17_E_NS1_11comp_targetILNS1_3genE9ELNS1_11target_archE1100ELNS1_3gpuE3ELNS1_3repE0EEENS1_30default_config_static_selectorELNS0_4arch9wavefront6targetE1EEEvT1_
		.amdhsa_group_segment_fixed_size 0
		.amdhsa_private_segment_fixed_size 0
		.amdhsa_kernarg_size 136
		.amdhsa_user_sgpr_count 2
		.amdhsa_user_sgpr_dispatch_ptr 0
		.amdhsa_user_sgpr_queue_ptr 0
		.amdhsa_user_sgpr_kernarg_segment_ptr 1
		.amdhsa_user_sgpr_dispatch_id 0
		.amdhsa_user_sgpr_kernarg_preload_length 0
		.amdhsa_user_sgpr_kernarg_preload_offset 0
		.amdhsa_user_sgpr_private_segment_size 0
		.amdhsa_uses_dynamic_stack 0
		.amdhsa_enable_private_segment 0
		.amdhsa_system_sgpr_workgroup_id_x 1
		.amdhsa_system_sgpr_workgroup_id_y 0
		.amdhsa_system_sgpr_workgroup_id_z 0
		.amdhsa_system_sgpr_workgroup_info 0
		.amdhsa_system_vgpr_workitem_id 0
		.amdhsa_next_free_vgpr 1
		.amdhsa_next_free_sgpr 0
		.amdhsa_accum_offset 4
		.amdhsa_reserve_vcc 0
		.amdhsa_float_round_mode_32 0
		.amdhsa_float_round_mode_16_64 0
		.amdhsa_float_denorm_mode_32 3
		.amdhsa_float_denorm_mode_16_64 3
		.amdhsa_dx10_clamp 1
		.amdhsa_ieee_mode 1
		.amdhsa_fp16_overflow 0
		.amdhsa_tg_split 0
		.amdhsa_exception_fp_ieee_invalid_op 0
		.amdhsa_exception_fp_denorm_src 0
		.amdhsa_exception_fp_ieee_div_zero 0
		.amdhsa_exception_fp_ieee_overflow 0
		.amdhsa_exception_fp_ieee_underflow 0
		.amdhsa_exception_fp_ieee_inexact 0
		.amdhsa_exception_int_div_zero 0
	.end_amdhsa_kernel
	.section	.text._ZN7rocprim17ROCPRIM_400000_NS6detail17trampoline_kernelINS0_14default_configENS1_25partition_config_selectorILNS1_17partition_subalgoE8ElNS0_10empty_typeEbEEZZNS1_14partition_implILS5_8ELb0ES3_jPlPS6_PKS6_NS0_5tupleIJS9_S6_EEENSD_IJSA_SA_EEENS0_18inequality_wrapperIZN2at6native12_GLOBAL__N_124unique_dim_cuda_templateIfEESt5tupleIJNSH_6TensorESM_SM_EERKSM_lbbbEUlllE0_EEPmJS6_EEE10hipError_tPvRmT3_T4_T5_T6_T7_T9_mT8_P12ihipStream_tbDpT10_ENKUlT_T0_E_clISt17integral_constantIbLb1EES1C_EEDaS17_S18_EUlS17_E_NS1_11comp_targetILNS1_3genE9ELNS1_11target_archE1100ELNS1_3gpuE3ELNS1_3repE0EEENS1_30default_config_static_selectorELNS0_4arch9wavefront6targetE1EEEvT1_,"axG",@progbits,_ZN7rocprim17ROCPRIM_400000_NS6detail17trampoline_kernelINS0_14default_configENS1_25partition_config_selectorILNS1_17partition_subalgoE8ElNS0_10empty_typeEbEEZZNS1_14partition_implILS5_8ELb0ES3_jPlPS6_PKS6_NS0_5tupleIJS9_S6_EEENSD_IJSA_SA_EEENS0_18inequality_wrapperIZN2at6native12_GLOBAL__N_124unique_dim_cuda_templateIfEESt5tupleIJNSH_6TensorESM_SM_EERKSM_lbbbEUlllE0_EEPmJS6_EEE10hipError_tPvRmT3_T4_T5_T6_T7_T9_mT8_P12ihipStream_tbDpT10_ENKUlT_T0_E_clISt17integral_constantIbLb1EES1C_EEDaS17_S18_EUlS17_E_NS1_11comp_targetILNS1_3genE9ELNS1_11target_archE1100ELNS1_3gpuE3ELNS1_3repE0EEENS1_30default_config_static_selectorELNS0_4arch9wavefront6targetE1EEEvT1_,comdat
.Lfunc_end943:
	.size	_ZN7rocprim17ROCPRIM_400000_NS6detail17trampoline_kernelINS0_14default_configENS1_25partition_config_selectorILNS1_17partition_subalgoE8ElNS0_10empty_typeEbEEZZNS1_14partition_implILS5_8ELb0ES3_jPlPS6_PKS6_NS0_5tupleIJS9_S6_EEENSD_IJSA_SA_EEENS0_18inequality_wrapperIZN2at6native12_GLOBAL__N_124unique_dim_cuda_templateIfEESt5tupleIJNSH_6TensorESM_SM_EERKSM_lbbbEUlllE0_EEPmJS6_EEE10hipError_tPvRmT3_T4_T5_T6_T7_T9_mT8_P12ihipStream_tbDpT10_ENKUlT_T0_E_clISt17integral_constantIbLb1EES1C_EEDaS17_S18_EUlS17_E_NS1_11comp_targetILNS1_3genE9ELNS1_11target_archE1100ELNS1_3gpuE3ELNS1_3repE0EEENS1_30default_config_static_selectorELNS0_4arch9wavefront6targetE1EEEvT1_, .Lfunc_end943-_ZN7rocprim17ROCPRIM_400000_NS6detail17trampoline_kernelINS0_14default_configENS1_25partition_config_selectorILNS1_17partition_subalgoE8ElNS0_10empty_typeEbEEZZNS1_14partition_implILS5_8ELb0ES3_jPlPS6_PKS6_NS0_5tupleIJS9_S6_EEENSD_IJSA_SA_EEENS0_18inequality_wrapperIZN2at6native12_GLOBAL__N_124unique_dim_cuda_templateIfEESt5tupleIJNSH_6TensorESM_SM_EERKSM_lbbbEUlllE0_EEPmJS6_EEE10hipError_tPvRmT3_T4_T5_T6_T7_T9_mT8_P12ihipStream_tbDpT10_ENKUlT_T0_E_clISt17integral_constantIbLb1EES1C_EEDaS17_S18_EUlS17_E_NS1_11comp_targetILNS1_3genE9ELNS1_11target_archE1100ELNS1_3gpuE3ELNS1_3repE0EEENS1_30default_config_static_selectorELNS0_4arch9wavefront6targetE1EEEvT1_
                                        ; -- End function
	.set _ZN7rocprim17ROCPRIM_400000_NS6detail17trampoline_kernelINS0_14default_configENS1_25partition_config_selectorILNS1_17partition_subalgoE8ElNS0_10empty_typeEbEEZZNS1_14partition_implILS5_8ELb0ES3_jPlPS6_PKS6_NS0_5tupleIJS9_S6_EEENSD_IJSA_SA_EEENS0_18inequality_wrapperIZN2at6native12_GLOBAL__N_124unique_dim_cuda_templateIfEESt5tupleIJNSH_6TensorESM_SM_EERKSM_lbbbEUlllE0_EEPmJS6_EEE10hipError_tPvRmT3_T4_T5_T6_T7_T9_mT8_P12ihipStream_tbDpT10_ENKUlT_T0_E_clISt17integral_constantIbLb1EES1C_EEDaS17_S18_EUlS17_E_NS1_11comp_targetILNS1_3genE9ELNS1_11target_archE1100ELNS1_3gpuE3ELNS1_3repE0EEENS1_30default_config_static_selectorELNS0_4arch9wavefront6targetE1EEEvT1_.num_vgpr, 0
	.set _ZN7rocprim17ROCPRIM_400000_NS6detail17trampoline_kernelINS0_14default_configENS1_25partition_config_selectorILNS1_17partition_subalgoE8ElNS0_10empty_typeEbEEZZNS1_14partition_implILS5_8ELb0ES3_jPlPS6_PKS6_NS0_5tupleIJS9_S6_EEENSD_IJSA_SA_EEENS0_18inequality_wrapperIZN2at6native12_GLOBAL__N_124unique_dim_cuda_templateIfEESt5tupleIJNSH_6TensorESM_SM_EERKSM_lbbbEUlllE0_EEPmJS6_EEE10hipError_tPvRmT3_T4_T5_T6_T7_T9_mT8_P12ihipStream_tbDpT10_ENKUlT_T0_E_clISt17integral_constantIbLb1EES1C_EEDaS17_S18_EUlS17_E_NS1_11comp_targetILNS1_3genE9ELNS1_11target_archE1100ELNS1_3gpuE3ELNS1_3repE0EEENS1_30default_config_static_selectorELNS0_4arch9wavefront6targetE1EEEvT1_.num_agpr, 0
	.set _ZN7rocprim17ROCPRIM_400000_NS6detail17trampoline_kernelINS0_14default_configENS1_25partition_config_selectorILNS1_17partition_subalgoE8ElNS0_10empty_typeEbEEZZNS1_14partition_implILS5_8ELb0ES3_jPlPS6_PKS6_NS0_5tupleIJS9_S6_EEENSD_IJSA_SA_EEENS0_18inequality_wrapperIZN2at6native12_GLOBAL__N_124unique_dim_cuda_templateIfEESt5tupleIJNSH_6TensorESM_SM_EERKSM_lbbbEUlllE0_EEPmJS6_EEE10hipError_tPvRmT3_T4_T5_T6_T7_T9_mT8_P12ihipStream_tbDpT10_ENKUlT_T0_E_clISt17integral_constantIbLb1EES1C_EEDaS17_S18_EUlS17_E_NS1_11comp_targetILNS1_3genE9ELNS1_11target_archE1100ELNS1_3gpuE3ELNS1_3repE0EEENS1_30default_config_static_selectorELNS0_4arch9wavefront6targetE1EEEvT1_.numbered_sgpr, 0
	.set _ZN7rocprim17ROCPRIM_400000_NS6detail17trampoline_kernelINS0_14default_configENS1_25partition_config_selectorILNS1_17partition_subalgoE8ElNS0_10empty_typeEbEEZZNS1_14partition_implILS5_8ELb0ES3_jPlPS6_PKS6_NS0_5tupleIJS9_S6_EEENSD_IJSA_SA_EEENS0_18inequality_wrapperIZN2at6native12_GLOBAL__N_124unique_dim_cuda_templateIfEESt5tupleIJNSH_6TensorESM_SM_EERKSM_lbbbEUlllE0_EEPmJS6_EEE10hipError_tPvRmT3_T4_T5_T6_T7_T9_mT8_P12ihipStream_tbDpT10_ENKUlT_T0_E_clISt17integral_constantIbLb1EES1C_EEDaS17_S18_EUlS17_E_NS1_11comp_targetILNS1_3genE9ELNS1_11target_archE1100ELNS1_3gpuE3ELNS1_3repE0EEENS1_30default_config_static_selectorELNS0_4arch9wavefront6targetE1EEEvT1_.num_named_barrier, 0
	.set _ZN7rocprim17ROCPRIM_400000_NS6detail17trampoline_kernelINS0_14default_configENS1_25partition_config_selectorILNS1_17partition_subalgoE8ElNS0_10empty_typeEbEEZZNS1_14partition_implILS5_8ELb0ES3_jPlPS6_PKS6_NS0_5tupleIJS9_S6_EEENSD_IJSA_SA_EEENS0_18inequality_wrapperIZN2at6native12_GLOBAL__N_124unique_dim_cuda_templateIfEESt5tupleIJNSH_6TensorESM_SM_EERKSM_lbbbEUlllE0_EEPmJS6_EEE10hipError_tPvRmT3_T4_T5_T6_T7_T9_mT8_P12ihipStream_tbDpT10_ENKUlT_T0_E_clISt17integral_constantIbLb1EES1C_EEDaS17_S18_EUlS17_E_NS1_11comp_targetILNS1_3genE9ELNS1_11target_archE1100ELNS1_3gpuE3ELNS1_3repE0EEENS1_30default_config_static_selectorELNS0_4arch9wavefront6targetE1EEEvT1_.private_seg_size, 0
	.set _ZN7rocprim17ROCPRIM_400000_NS6detail17trampoline_kernelINS0_14default_configENS1_25partition_config_selectorILNS1_17partition_subalgoE8ElNS0_10empty_typeEbEEZZNS1_14partition_implILS5_8ELb0ES3_jPlPS6_PKS6_NS0_5tupleIJS9_S6_EEENSD_IJSA_SA_EEENS0_18inequality_wrapperIZN2at6native12_GLOBAL__N_124unique_dim_cuda_templateIfEESt5tupleIJNSH_6TensorESM_SM_EERKSM_lbbbEUlllE0_EEPmJS6_EEE10hipError_tPvRmT3_T4_T5_T6_T7_T9_mT8_P12ihipStream_tbDpT10_ENKUlT_T0_E_clISt17integral_constantIbLb1EES1C_EEDaS17_S18_EUlS17_E_NS1_11comp_targetILNS1_3genE9ELNS1_11target_archE1100ELNS1_3gpuE3ELNS1_3repE0EEENS1_30default_config_static_selectorELNS0_4arch9wavefront6targetE1EEEvT1_.uses_vcc, 0
	.set _ZN7rocprim17ROCPRIM_400000_NS6detail17trampoline_kernelINS0_14default_configENS1_25partition_config_selectorILNS1_17partition_subalgoE8ElNS0_10empty_typeEbEEZZNS1_14partition_implILS5_8ELb0ES3_jPlPS6_PKS6_NS0_5tupleIJS9_S6_EEENSD_IJSA_SA_EEENS0_18inequality_wrapperIZN2at6native12_GLOBAL__N_124unique_dim_cuda_templateIfEESt5tupleIJNSH_6TensorESM_SM_EERKSM_lbbbEUlllE0_EEPmJS6_EEE10hipError_tPvRmT3_T4_T5_T6_T7_T9_mT8_P12ihipStream_tbDpT10_ENKUlT_T0_E_clISt17integral_constantIbLb1EES1C_EEDaS17_S18_EUlS17_E_NS1_11comp_targetILNS1_3genE9ELNS1_11target_archE1100ELNS1_3gpuE3ELNS1_3repE0EEENS1_30default_config_static_selectorELNS0_4arch9wavefront6targetE1EEEvT1_.uses_flat_scratch, 0
	.set _ZN7rocprim17ROCPRIM_400000_NS6detail17trampoline_kernelINS0_14default_configENS1_25partition_config_selectorILNS1_17partition_subalgoE8ElNS0_10empty_typeEbEEZZNS1_14partition_implILS5_8ELb0ES3_jPlPS6_PKS6_NS0_5tupleIJS9_S6_EEENSD_IJSA_SA_EEENS0_18inequality_wrapperIZN2at6native12_GLOBAL__N_124unique_dim_cuda_templateIfEESt5tupleIJNSH_6TensorESM_SM_EERKSM_lbbbEUlllE0_EEPmJS6_EEE10hipError_tPvRmT3_T4_T5_T6_T7_T9_mT8_P12ihipStream_tbDpT10_ENKUlT_T0_E_clISt17integral_constantIbLb1EES1C_EEDaS17_S18_EUlS17_E_NS1_11comp_targetILNS1_3genE9ELNS1_11target_archE1100ELNS1_3gpuE3ELNS1_3repE0EEENS1_30default_config_static_selectorELNS0_4arch9wavefront6targetE1EEEvT1_.has_dyn_sized_stack, 0
	.set _ZN7rocprim17ROCPRIM_400000_NS6detail17trampoline_kernelINS0_14default_configENS1_25partition_config_selectorILNS1_17partition_subalgoE8ElNS0_10empty_typeEbEEZZNS1_14partition_implILS5_8ELb0ES3_jPlPS6_PKS6_NS0_5tupleIJS9_S6_EEENSD_IJSA_SA_EEENS0_18inequality_wrapperIZN2at6native12_GLOBAL__N_124unique_dim_cuda_templateIfEESt5tupleIJNSH_6TensorESM_SM_EERKSM_lbbbEUlllE0_EEPmJS6_EEE10hipError_tPvRmT3_T4_T5_T6_T7_T9_mT8_P12ihipStream_tbDpT10_ENKUlT_T0_E_clISt17integral_constantIbLb1EES1C_EEDaS17_S18_EUlS17_E_NS1_11comp_targetILNS1_3genE9ELNS1_11target_archE1100ELNS1_3gpuE3ELNS1_3repE0EEENS1_30default_config_static_selectorELNS0_4arch9wavefront6targetE1EEEvT1_.has_recursion, 0
	.set _ZN7rocprim17ROCPRIM_400000_NS6detail17trampoline_kernelINS0_14default_configENS1_25partition_config_selectorILNS1_17partition_subalgoE8ElNS0_10empty_typeEbEEZZNS1_14partition_implILS5_8ELb0ES3_jPlPS6_PKS6_NS0_5tupleIJS9_S6_EEENSD_IJSA_SA_EEENS0_18inequality_wrapperIZN2at6native12_GLOBAL__N_124unique_dim_cuda_templateIfEESt5tupleIJNSH_6TensorESM_SM_EERKSM_lbbbEUlllE0_EEPmJS6_EEE10hipError_tPvRmT3_T4_T5_T6_T7_T9_mT8_P12ihipStream_tbDpT10_ENKUlT_T0_E_clISt17integral_constantIbLb1EES1C_EEDaS17_S18_EUlS17_E_NS1_11comp_targetILNS1_3genE9ELNS1_11target_archE1100ELNS1_3gpuE3ELNS1_3repE0EEENS1_30default_config_static_selectorELNS0_4arch9wavefront6targetE1EEEvT1_.has_indirect_call, 0
	.section	.AMDGPU.csdata,"",@progbits
; Kernel info:
; codeLenInByte = 0
; TotalNumSgprs: 6
; NumVgprs: 0
; NumAgprs: 0
; TotalNumVgprs: 0
; ScratchSize: 0
; MemoryBound: 0
; FloatMode: 240
; IeeeMode: 1
; LDSByteSize: 0 bytes/workgroup (compile time only)
; SGPRBlocks: 0
; VGPRBlocks: 0
; NumSGPRsForWavesPerEU: 6
; NumVGPRsForWavesPerEU: 1
; AccumOffset: 4
; Occupancy: 8
; WaveLimiterHint : 0
; COMPUTE_PGM_RSRC2:SCRATCH_EN: 0
; COMPUTE_PGM_RSRC2:USER_SGPR: 2
; COMPUTE_PGM_RSRC2:TRAP_HANDLER: 0
; COMPUTE_PGM_RSRC2:TGID_X_EN: 1
; COMPUTE_PGM_RSRC2:TGID_Y_EN: 0
; COMPUTE_PGM_RSRC2:TGID_Z_EN: 0
; COMPUTE_PGM_RSRC2:TIDIG_COMP_CNT: 0
; COMPUTE_PGM_RSRC3_GFX90A:ACCUM_OFFSET: 0
; COMPUTE_PGM_RSRC3_GFX90A:TG_SPLIT: 0
	.section	.text._ZN7rocprim17ROCPRIM_400000_NS6detail17trampoline_kernelINS0_14default_configENS1_25partition_config_selectorILNS1_17partition_subalgoE8ElNS0_10empty_typeEbEEZZNS1_14partition_implILS5_8ELb0ES3_jPlPS6_PKS6_NS0_5tupleIJS9_S6_EEENSD_IJSA_SA_EEENS0_18inequality_wrapperIZN2at6native12_GLOBAL__N_124unique_dim_cuda_templateIfEESt5tupleIJNSH_6TensorESM_SM_EERKSM_lbbbEUlllE0_EEPmJS6_EEE10hipError_tPvRmT3_T4_T5_T6_T7_T9_mT8_P12ihipStream_tbDpT10_ENKUlT_T0_E_clISt17integral_constantIbLb1EES1C_EEDaS17_S18_EUlS17_E_NS1_11comp_targetILNS1_3genE8ELNS1_11target_archE1030ELNS1_3gpuE2ELNS1_3repE0EEENS1_30default_config_static_selectorELNS0_4arch9wavefront6targetE1EEEvT1_,"axG",@progbits,_ZN7rocprim17ROCPRIM_400000_NS6detail17trampoline_kernelINS0_14default_configENS1_25partition_config_selectorILNS1_17partition_subalgoE8ElNS0_10empty_typeEbEEZZNS1_14partition_implILS5_8ELb0ES3_jPlPS6_PKS6_NS0_5tupleIJS9_S6_EEENSD_IJSA_SA_EEENS0_18inequality_wrapperIZN2at6native12_GLOBAL__N_124unique_dim_cuda_templateIfEESt5tupleIJNSH_6TensorESM_SM_EERKSM_lbbbEUlllE0_EEPmJS6_EEE10hipError_tPvRmT3_T4_T5_T6_T7_T9_mT8_P12ihipStream_tbDpT10_ENKUlT_T0_E_clISt17integral_constantIbLb1EES1C_EEDaS17_S18_EUlS17_E_NS1_11comp_targetILNS1_3genE8ELNS1_11target_archE1030ELNS1_3gpuE2ELNS1_3repE0EEENS1_30default_config_static_selectorELNS0_4arch9wavefront6targetE1EEEvT1_,comdat
	.globl	_ZN7rocprim17ROCPRIM_400000_NS6detail17trampoline_kernelINS0_14default_configENS1_25partition_config_selectorILNS1_17partition_subalgoE8ElNS0_10empty_typeEbEEZZNS1_14partition_implILS5_8ELb0ES3_jPlPS6_PKS6_NS0_5tupleIJS9_S6_EEENSD_IJSA_SA_EEENS0_18inequality_wrapperIZN2at6native12_GLOBAL__N_124unique_dim_cuda_templateIfEESt5tupleIJNSH_6TensorESM_SM_EERKSM_lbbbEUlllE0_EEPmJS6_EEE10hipError_tPvRmT3_T4_T5_T6_T7_T9_mT8_P12ihipStream_tbDpT10_ENKUlT_T0_E_clISt17integral_constantIbLb1EES1C_EEDaS17_S18_EUlS17_E_NS1_11comp_targetILNS1_3genE8ELNS1_11target_archE1030ELNS1_3gpuE2ELNS1_3repE0EEENS1_30default_config_static_selectorELNS0_4arch9wavefront6targetE1EEEvT1_ ; -- Begin function _ZN7rocprim17ROCPRIM_400000_NS6detail17trampoline_kernelINS0_14default_configENS1_25partition_config_selectorILNS1_17partition_subalgoE8ElNS0_10empty_typeEbEEZZNS1_14partition_implILS5_8ELb0ES3_jPlPS6_PKS6_NS0_5tupleIJS9_S6_EEENSD_IJSA_SA_EEENS0_18inequality_wrapperIZN2at6native12_GLOBAL__N_124unique_dim_cuda_templateIfEESt5tupleIJNSH_6TensorESM_SM_EERKSM_lbbbEUlllE0_EEPmJS6_EEE10hipError_tPvRmT3_T4_T5_T6_T7_T9_mT8_P12ihipStream_tbDpT10_ENKUlT_T0_E_clISt17integral_constantIbLb1EES1C_EEDaS17_S18_EUlS17_E_NS1_11comp_targetILNS1_3genE8ELNS1_11target_archE1030ELNS1_3gpuE2ELNS1_3repE0EEENS1_30default_config_static_selectorELNS0_4arch9wavefront6targetE1EEEvT1_
	.p2align	8
	.type	_ZN7rocprim17ROCPRIM_400000_NS6detail17trampoline_kernelINS0_14default_configENS1_25partition_config_selectorILNS1_17partition_subalgoE8ElNS0_10empty_typeEbEEZZNS1_14partition_implILS5_8ELb0ES3_jPlPS6_PKS6_NS0_5tupleIJS9_S6_EEENSD_IJSA_SA_EEENS0_18inequality_wrapperIZN2at6native12_GLOBAL__N_124unique_dim_cuda_templateIfEESt5tupleIJNSH_6TensorESM_SM_EERKSM_lbbbEUlllE0_EEPmJS6_EEE10hipError_tPvRmT3_T4_T5_T6_T7_T9_mT8_P12ihipStream_tbDpT10_ENKUlT_T0_E_clISt17integral_constantIbLb1EES1C_EEDaS17_S18_EUlS17_E_NS1_11comp_targetILNS1_3genE8ELNS1_11target_archE1030ELNS1_3gpuE2ELNS1_3repE0EEENS1_30default_config_static_selectorELNS0_4arch9wavefront6targetE1EEEvT1_,@function
_ZN7rocprim17ROCPRIM_400000_NS6detail17trampoline_kernelINS0_14default_configENS1_25partition_config_selectorILNS1_17partition_subalgoE8ElNS0_10empty_typeEbEEZZNS1_14partition_implILS5_8ELb0ES3_jPlPS6_PKS6_NS0_5tupleIJS9_S6_EEENSD_IJSA_SA_EEENS0_18inequality_wrapperIZN2at6native12_GLOBAL__N_124unique_dim_cuda_templateIfEESt5tupleIJNSH_6TensorESM_SM_EERKSM_lbbbEUlllE0_EEPmJS6_EEE10hipError_tPvRmT3_T4_T5_T6_T7_T9_mT8_P12ihipStream_tbDpT10_ENKUlT_T0_E_clISt17integral_constantIbLb1EES1C_EEDaS17_S18_EUlS17_E_NS1_11comp_targetILNS1_3genE8ELNS1_11target_archE1030ELNS1_3gpuE2ELNS1_3repE0EEENS1_30default_config_static_selectorELNS0_4arch9wavefront6targetE1EEEvT1_: ; @_ZN7rocprim17ROCPRIM_400000_NS6detail17trampoline_kernelINS0_14default_configENS1_25partition_config_selectorILNS1_17partition_subalgoE8ElNS0_10empty_typeEbEEZZNS1_14partition_implILS5_8ELb0ES3_jPlPS6_PKS6_NS0_5tupleIJS9_S6_EEENSD_IJSA_SA_EEENS0_18inequality_wrapperIZN2at6native12_GLOBAL__N_124unique_dim_cuda_templateIfEESt5tupleIJNSH_6TensorESM_SM_EERKSM_lbbbEUlllE0_EEPmJS6_EEE10hipError_tPvRmT3_T4_T5_T6_T7_T9_mT8_P12ihipStream_tbDpT10_ENKUlT_T0_E_clISt17integral_constantIbLb1EES1C_EEDaS17_S18_EUlS17_E_NS1_11comp_targetILNS1_3genE8ELNS1_11target_archE1030ELNS1_3gpuE2ELNS1_3repE0EEENS1_30default_config_static_selectorELNS0_4arch9wavefront6targetE1EEEvT1_
; %bb.0:
	.section	.rodata,"a",@progbits
	.p2align	6, 0x0
	.amdhsa_kernel _ZN7rocprim17ROCPRIM_400000_NS6detail17trampoline_kernelINS0_14default_configENS1_25partition_config_selectorILNS1_17partition_subalgoE8ElNS0_10empty_typeEbEEZZNS1_14partition_implILS5_8ELb0ES3_jPlPS6_PKS6_NS0_5tupleIJS9_S6_EEENSD_IJSA_SA_EEENS0_18inequality_wrapperIZN2at6native12_GLOBAL__N_124unique_dim_cuda_templateIfEESt5tupleIJNSH_6TensorESM_SM_EERKSM_lbbbEUlllE0_EEPmJS6_EEE10hipError_tPvRmT3_T4_T5_T6_T7_T9_mT8_P12ihipStream_tbDpT10_ENKUlT_T0_E_clISt17integral_constantIbLb1EES1C_EEDaS17_S18_EUlS17_E_NS1_11comp_targetILNS1_3genE8ELNS1_11target_archE1030ELNS1_3gpuE2ELNS1_3repE0EEENS1_30default_config_static_selectorELNS0_4arch9wavefront6targetE1EEEvT1_
		.amdhsa_group_segment_fixed_size 0
		.amdhsa_private_segment_fixed_size 0
		.amdhsa_kernarg_size 136
		.amdhsa_user_sgpr_count 2
		.amdhsa_user_sgpr_dispatch_ptr 0
		.amdhsa_user_sgpr_queue_ptr 0
		.amdhsa_user_sgpr_kernarg_segment_ptr 1
		.amdhsa_user_sgpr_dispatch_id 0
		.amdhsa_user_sgpr_kernarg_preload_length 0
		.amdhsa_user_sgpr_kernarg_preload_offset 0
		.amdhsa_user_sgpr_private_segment_size 0
		.amdhsa_uses_dynamic_stack 0
		.amdhsa_enable_private_segment 0
		.amdhsa_system_sgpr_workgroup_id_x 1
		.amdhsa_system_sgpr_workgroup_id_y 0
		.amdhsa_system_sgpr_workgroup_id_z 0
		.amdhsa_system_sgpr_workgroup_info 0
		.amdhsa_system_vgpr_workitem_id 0
		.amdhsa_next_free_vgpr 1
		.amdhsa_next_free_sgpr 0
		.amdhsa_accum_offset 4
		.amdhsa_reserve_vcc 0
		.amdhsa_float_round_mode_32 0
		.amdhsa_float_round_mode_16_64 0
		.amdhsa_float_denorm_mode_32 3
		.amdhsa_float_denorm_mode_16_64 3
		.amdhsa_dx10_clamp 1
		.amdhsa_ieee_mode 1
		.amdhsa_fp16_overflow 0
		.amdhsa_tg_split 0
		.amdhsa_exception_fp_ieee_invalid_op 0
		.amdhsa_exception_fp_denorm_src 0
		.amdhsa_exception_fp_ieee_div_zero 0
		.amdhsa_exception_fp_ieee_overflow 0
		.amdhsa_exception_fp_ieee_underflow 0
		.amdhsa_exception_fp_ieee_inexact 0
		.amdhsa_exception_int_div_zero 0
	.end_amdhsa_kernel
	.section	.text._ZN7rocprim17ROCPRIM_400000_NS6detail17trampoline_kernelINS0_14default_configENS1_25partition_config_selectorILNS1_17partition_subalgoE8ElNS0_10empty_typeEbEEZZNS1_14partition_implILS5_8ELb0ES3_jPlPS6_PKS6_NS0_5tupleIJS9_S6_EEENSD_IJSA_SA_EEENS0_18inequality_wrapperIZN2at6native12_GLOBAL__N_124unique_dim_cuda_templateIfEESt5tupleIJNSH_6TensorESM_SM_EERKSM_lbbbEUlllE0_EEPmJS6_EEE10hipError_tPvRmT3_T4_T5_T6_T7_T9_mT8_P12ihipStream_tbDpT10_ENKUlT_T0_E_clISt17integral_constantIbLb1EES1C_EEDaS17_S18_EUlS17_E_NS1_11comp_targetILNS1_3genE8ELNS1_11target_archE1030ELNS1_3gpuE2ELNS1_3repE0EEENS1_30default_config_static_selectorELNS0_4arch9wavefront6targetE1EEEvT1_,"axG",@progbits,_ZN7rocprim17ROCPRIM_400000_NS6detail17trampoline_kernelINS0_14default_configENS1_25partition_config_selectorILNS1_17partition_subalgoE8ElNS0_10empty_typeEbEEZZNS1_14partition_implILS5_8ELb0ES3_jPlPS6_PKS6_NS0_5tupleIJS9_S6_EEENSD_IJSA_SA_EEENS0_18inequality_wrapperIZN2at6native12_GLOBAL__N_124unique_dim_cuda_templateIfEESt5tupleIJNSH_6TensorESM_SM_EERKSM_lbbbEUlllE0_EEPmJS6_EEE10hipError_tPvRmT3_T4_T5_T6_T7_T9_mT8_P12ihipStream_tbDpT10_ENKUlT_T0_E_clISt17integral_constantIbLb1EES1C_EEDaS17_S18_EUlS17_E_NS1_11comp_targetILNS1_3genE8ELNS1_11target_archE1030ELNS1_3gpuE2ELNS1_3repE0EEENS1_30default_config_static_selectorELNS0_4arch9wavefront6targetE1EEEvT1_,comdat
.Lfunc_end944:
	.size	_ZN7rocprim17ROCPRIM_400000_NS6detail17trampoline_kernelINS0_14default_configENS1_25partition_config_selectorILNS1_17partition_subalgoE8ElNS0_10empty_typeEbEEZZNS1_14partition_implILS5_8ELb0ES3_jPlPS6_PKS6_NS0_5tupleIJS9_S6_EEENSD_IJSA_SA_EEENS0_18inequality_wrapperIZN2at6native12_GLOBAL__N_124unique_dim_cuda_templateIfEESt5tupleIJNSH_6TensorESM_SM_EERKSM_lbbbEUlllE0_EEPmJS6_EEE10hipError_tPvRmT3_T4_T5_T6_T7_T9_mT8_P12ihipStream_tbDpT10_ENKUlT_T0_E_clISt17integral_constantIbLb1EES1C_EEDaS17_S18_EUlS17_E_NS1_11comp_targetILNS1_3genE8ELNS1_11target_archE1030ELNS1_3gpuE2ELNS1_3repE0EEENS1_30default_config_static_selectorELNS0_4arch9wavefront6targetE1EEEvT1_, .Lfunc_end944-_ZN7rocprim17ROCPRIM_400000_NS6detail17trampoline_kernelINS0_14default_configENS1_25partition_config_selectorILNS1_17partition_subalgoE8ElNS0_10empty_typeEbEEZZNS1_14partition_implILS5_8ELb0ES3_jPlPS6_PKS6_NS0_5tupleIJS9_S6_EEENSD_IJSA_SA_EEENS0_18inequality_wrapperIZN2at6native12_GLOBAL__N_124unique_dim_cuda_templateIfEESt5tupleIJNSH_6TensorESM_SM_EERKSM_lbbbEUlllE0_EEPmJS6_EEE10hipError_tPvRmT3_T4_T5_T6_T7_T9_mT8_P12ihipStream_tbDpT10_ENKUlT_T0_E_clISt17integral_constantIbLb1EES1C_EEDaS17_S18_EUlS17_E_NS1_11comp_targetILNS1_3genE8ELNS1_11target_archE1030ELNS1_3gpuE2ELNS1_3repE0EEENS1_30default_config_static_selectorELNS0_4arch9wavefront6targetE1EEEvT1_
                                        ; -- End function
	.set _ZN7rocprim17ROCPRIM_400000_NS6detail17trampoline_kernelINS0_14default_configENS1_25partition_config_selectorILNS1_17partition_subalgoE8ElNS0_10empty_typeEbEEZZNS1_14partition_implILS5_8ELb0ES3_jPlPS6_PKS6_NS0_5tupleIJS9_S6_EEENSD_IJSA_SA_EEENS0_18inequality_wrapperIZN2at6native12_GLOBAL__N_124unique_dim_cuda_templateIfEESt5tupleIJNSH_6TensorESM_SM_EERKSM_lbbbEUlllE0_EEPmJS6_EEE10hipError_tPvRmT3_T4_T5_T6_T7_T9_mT8_P12ihipStream_tbDpT10_ENKUlT_T0_E_clISt17integral_constantIbLb1EES1C_EEDaS17_S18_EUlS17_E_NS1_11comp_targetILNS1_3genE8ELNS1_11target_archE1030ELNS1_3gpuE2ELNS1_3repE0EEENS1_30default_config_static_selectorELNS0_4arch9wavefront6targetE1EEEvT1_.num_vgpr, 0
	.set _ZN7rocprim17ROCPRIM_400000_NS6detail17trampoline_kernelINS0_14default_configENS1_25partition_config_selectorILNS1_17partition_subalgoE8ElNS0_10empty_typeEbEEZZNS1_14partition_implILS5_8ELb0ES3_jPlPS6_PKS6_NS0_5tupleIJS9_S6_EEENSD_IJSA_SA_EEENS0_18inequality_wrapperIZN2at6native12_GLOBAL__N_124unique_dim_cuda_templateIfEESt5tupleIJNSH_6TensorESM_SM_EERKSM_lbbbEUlllE0_EEPmJS6_EEE10hipError_tPvRmT3_T4_T5_T6_T7_T9_mT8_P12ihipStream_tbDpT10_ENKUlT_T0_E_clISt17integral_constantIbLb1EES1C_EEDaS17_S18_EUlS17_E_NS1_11comp_targetILNS1_3genE8ELNS1_11target_archE1030ELNS1_3gpuE2ELNS1_3repE0EEENS1_30default_config_static_selectorELNS0_4arch9wavefront6targetE1EEEvT1_.num_agpr, 0
	.set _ZN7rocprim17ROCPRIM_400000_NS6detail17trampoline_kernelINS0_14default_configENS1_25partition_config_selectorILNS1_17partition_subalgoE8ElNS0_10empty_typeEbEEZZNS1_14partition_implILS5_8ELb0ES3_jPlPS6_PKS6_NS0_5tupleIJS9_S6_EEENSD_IJSA_SA_EEENS0_18inequality_wrapperIZN2at6native12_GLOBAL__N_124unique_dim_cuda_templateIfEESt5tupleIJNSH_6TensorESM_SM_EERKSM_lbbbEUlllE0_EEPmJS6_EEE10hipError_tPvRmT3_T4_T5_T6_T7_T9_mT8_P12ihipStream_tbDpT10_ENKUlT_T0_E_clISt17integral_constantIbLb1EES1C_EEDaS17_S18_EUlS17_E_NS1_11comp_targetILNS1_3genE8ELNS1_11target_archE1030ELNS1_3gpuE2ELNS1_3repE0EEENS1_30default_config_static_selectorELNS0_4arch9wavefront6targetE1EEEvT1_.numbered_sgpr, 0
	.set _ZN7rocprim17ROCPRIM_400000_NS6detail17trampoline_kernelINS0_14default_configENS1_25partition_config_selectorILNS1_17partition_subalgoE8ElNS0_10empty_typeEbEEZZNS1_14partition_implILS5_8ELb0ES3_jPlPS6_PKS6_NS0_5tupleIJS9_S6_EEENSD_IJSA_SA_EEENS0_18inequality_wrapperIZN2at6native12_GLOBAL__N_124unique_dim_cuda_templateIfEESt5tupleIJNSH_6TensorESM_SM_EERKSM_lbbbEUlllE0_EEPmJS6_EEE10hipError_tPvRmT3_T4_T5_T6_T7_T9_mT8_P12ihipStream_tbDpT10_ENKUlT_T0_E_clISt17integral_constantIbLb1EES1C_EEDaS17_S18_EUlS17_E_NS1_11comp_targetILNS1_3genE8ELNS1_11target_archE1030ELNS1_3gpuE2ELNS1_3repE0EEENS1_30default_config_static_selectorELNS0_4arch9wavefront6targetE1EEEvT1_.num_named_barrier, 0
	.set _ZN7rocprim17ROCPRIM_400000_NS6detail17trampoline_kernelINS0_14default_configENS1_25partition_config_selectorILNS1_17partition_subalgoE8ElNS0_10empty_typeEbEEZZNS1_14partition_implILS5_8ELb0ES3_jPlPS6_PKS6_NS0_5tupleIJS9_S6_EEENSD_IJSA_SA_EEENS0_18inequality_wrapperIZN2at6native12_GLOBAL__N_124unique_dim_cuda_templateIfEESt5tupleIJNSH_6TensorESM_SM_EERKSM_lbbbEUlllE0_EEPmJS6_EEE10hipError_tPvRmT3_T4_T5_T6_T7_T9_mT8_P12ihipStream_tbDpT10_ENKUlT_T0_E_clISt17integral_constantIbLb1EES1C_EEDaS17_S18_EUlS17_E_NS1_11comp_targetILNS1_3genE8ELNS1_11target_archE1030ELNS1_3gpuE2ELNS1_3repE0EEENS1_30default_config_static_selectorELNS0_4arch9wavefront6targetE1EEEvT1_.private_seg_size, 0
	.set _ZN7rocprim17ROCPRIM_400000_NS6detail17trampoline_kernelINS0_14default_configENS1_25partition_config_selectorILNS1_17partition_subalgoE8ElNS0_10empty_typeEbEEZZNS1_14partition_implILS5_8ELb0ES3_jPlPS6_PKS6_NS0_5tupleIJS9_S6_EEENSD_IJSA_SA_EEENS0_18inequality_wrapperIZN2at6native12_GLOBAL__N_124unique_dim_cuda_templateIfEESt5tupleIJNSH_6TensorESM_SM_EERKSM_lbbbEUlllE0_EEPmJS6_EEE10hipError_tPvRmT3_T4_T5_T6_T7_T9_mT8_P12ihipStream_tbDpT10_ENKUlT_T0_E_clISt17integral_constantIbLb1EES1C_EEDaS17_S18_EUlS17_E_NS1_11comp_targetILNS1_3genE8ELNS1_11target_archE1030ELNS1_3gpuE2ELNS1_3repE0EEENS1_30default_config_static_selectorELNS0_4arch9wavefront6targetE1EEEvT1_.uses_vcc, 0
	.set _ZN7rocprim17ROCPRIM_400000_NS6detail17trampoline_kernelINS0_14default_configENS1_25partition_config_selectorILNS1_17partition_subalgoE8ElNS0_10empty_typeEbEEZZNS1_14partition_implILS5_8ELb0ES3_jPlPS6_PKS6_NS0_5tupleIJS9_S6_EEENSD_IJSA_SA_EEENS0_18inequality_wrapperIZN2at6native12_GLOBAL__N_124unique_dim_cuda_templateIfEESt5tupleIJNSH_6TensorESM_SM_EERKSM_lbbbEUlllE0_EEPmJS6_EEE10hipError_tPvRmT3_T4_T5_T6_T7_T9_mT8_P12ihipStream_tbDpT10_ENKUlT_T0_E_clISt17integral_constantIbLb1EES1C_EEDaS17_S18_EUlS17_E_NS1_11comp_targetILNS1_3genE8ELNS1_11target_archE1030ELNS1_3gpuE2ELNS1_3repE0EEENS1_30default_config_static_selectorELNS0_4arch9wavefront6targetE1EEEvT1_.uses_flat_scratch, 0
	.set _ZN7rocprim17ROCPRIM_400000_NS6detail17trampoline_kernelINS0_14default_configENS1_25partition_config_selectorILNS1_17partition_subalgoE8ElNS0_10empty_typeEbEEZZNS1_14partition_implILS5_8ELb0ES3_jPlPS6_PKS6_NS0_5tupleIJS9_S6_EEENSD_IJSA_SA_EEENS0_18inequality_wrapperIZN2at6native12_GLOBAL__N_124unique_dim_cuda_templateIfEESt5tupleIJNSH_6TensorESM_SM_EERKSM_lbbbEUlllE0_EEPmJS6_EEE10hipError_tPvRmT3_T4_T5_T6_T7_T9_mT8_P12ihipStream_tbDpT10_ENKUlT_T0_E_clISt17integral_constantIbLb1EES1C_EEDaS17_S18_EUlS17_E_NS1_11comp_targetILNS1_3genE8ELNS1_11target_archE1030ELNS1_3gpuE2ELNS1_3repE0EEENS1_30default_config_static_selectorELNS0_4arch9wavefront6targetE1EEEvT1_.has_dyn_sized_stack, 0
	.set _ZN7rocprim17ROCPRIM_400000_NS6detail17trampoline_kernelINS0_14default_configENS1_25partition_config_selectorILNS1_17partition_subalgoE8ElNS0_10empty_typeEbEEZZNS1_14partition_implILS5_8ELb0ES3_jPlPS6_PKS6_NS0_5tupleIJS9_S6_EEENSD_IJSA_SA_EEENS0_18inequality_wrapperIZN2at6native12_GLOBAL__N_124unique_dim_cuda_templateIfEESt5tupleIJNSH_6TensorESM_SM_EERKSM_lbbbEUlllE0_EEPmJS6_EEE10hipError_tPvRmT3_T4_T5_T6_T7_T9_mT8_P12ihipStream_tbDpT10_ENKUlT_T0_E_clISt17integral_constantIbLb1EES1C_EEDaS17_S18_EUlS17_E_NS1_11comp_targetILNS1_3genE8ELNS1_11target_archE1030ELNS1_3gpuE2ELNS1_3repE0EEENS1_30default_config_static_selectorELNS0_4arch9wavefront6targetE1EEEvT1_.has_recursion, 0
	.set _ZN7rocprim17ROCPRIM_400000_NS6detail17trampoline_kernelINS0_14default_configENS1_25partition_config_selectorILNS1_17partition_subalgoE8ElNS0_10empty_typeEbEEZZNS1_14partition_implILS5_8ELb0ES3_jPlPS6_PKS6_NS0_5tupleIJS9_S6_EEENSD_IJSA_SA_EEENS0_18inequality_wrapperIZN2at6native12_GLOBAL__N_124unique_dim_cuda_templateIfEESt5tupleIJNSH_6TensorESM_SM_EERKSM_lbbbEUlllE0_EEPmJS6_EEE10hipError_tPvRmT3_T4_T5_T6_T7_T9_mT8_P12ihipStream_tbDpT10_ENKUlT_T0_E_clISt17integral_constantIbLb1EES1C_EEDaS17_S18_EUlS17_E_NS1_11comp_targetILNS1_3genE8ELNS1_11target_archE1030ELNS1_3gpuE2ELNS1_3repE0EEENS1_30default_config_static_selectorELNS0_4arch9wavefront6targetE1EEEvT1_.has_indirect_call, 0
	.section	.AMDGPU.csdata,"",@progbits
; Kernel info:
; codeLenInByte = 0
; TotalNumSgprs: 6
; NumVgprs: 0
; NumAgprs: 0
; TotalNumVgprs: 0
; ScratchSize: 0
; MemoryBound: 0
; FloatMode: 240
; IeeeMode: 1
; LDSByteSize: 0 bytes/workgroup (compile time only)
; SGPRBlocks: 0
; VGPRBlocks: 0
; NumSGPRsForWavesPerEU: 6
; NumVGPRsForWavesPerEU: 1
; AccumOffset: 4
; Occupancy: 8
; WaveLimiterHint : 0
; COMPUTE_PGM_RSRC2:SCRATCH_EN: 0
; COMPUTE_PGM_RSRC2:USER_SGPR: 2
; COMPUTE_PGM_RSRC2:TRAP_HANDLER: 0
; COMPUTE_PGM_RSRC2:TGID_X_EN: 1
; COMPUTE_PGM_RSRC2:TGID_Y_EN: 0
; COMPUTE_PGM_RSRC2:TGID_Z_EN: 0
; COMPUTE_PGM_RSRC2:TIDIG_COMP_CNT: 0
; COMPUTE_PGM_RSRC3_GFX90A:ACCUM_OFFSET: 0
; COMPUTE_PGM_RSRC3_GFX90A:TG_SPLIT: 0
	.section	.text._ZN7rocprim17ROCPRIM_400000_NS6detail17trampoline_kernelINS0_14default_configENS1_25partition_config_selectorILNS1_17partition_subalgoE8ElNS0_10empty_typeEbEEZZNS1_14partition_implILS5_8ELb0ES3_jPlPS6_PKS6_NS0_5tupleIJS9_S6_EEENSD_IJSA_SA_EEENS0_18inequality_wrapperIZN2at6native12_GLOBAL__N_124unique_dim_cuda_templateIfEESt5tupleIJNSH_6TensorESM_SM_EERKSM_lbbbEUlllE0_EEPmJS6_EEE10hipError_tPvRmT3_T4_T5_T6_T7_T9_mT8_P12ihipStream_tbDpT10_ENKUlT_T0_E_clISt17integral_constantIbLb1EES1B_IbLb0EEEEDaS17_S18_EUlS17_E_NS1_11comp_targetILNS1_3genE0ELNS1_11target_archE4294967295ELNS1_3gpuE0ELNS1_3repE0EEENS1_30default_config_static_selectorELNS0_4arch9wavefront6targetE1EEEvT1_,"axG",@progbits,_ZN7rocprim17ROCPRIM_400000_NS6detail17trampoline_kernelINS0_14default_configENS1_25partition_config_selectorILNS1_17partition_subalgoE8ElNS0_10empty_typeEbEEZZNS1_14partition_implILS5_8ELb0ES3_jPlPS6_PKS6_NS0_5tupleIJS9_S6_EEENSD_IJSA_SA_EEENS0_18inequality_wrapperIZN2at6native12_GLOBAL__N_124unique_dim_cuda_templateIfEESt5tupleIJNSH_6TensorESM_SM_EERKSM_lbbbEUlllE0_EEPmJS6_EEE10hipError_tPvRmT3_T4_T5_T6_T7_T9_mT8_P12ihipStream_tbDpT10_ENKUlT_T0_E_clISt17integral_constantIbLb1EES1B_IbLb0EEEEDaS17_S18_EUlS17_E_NS1_11comp_targetILNS1_3genE0ELNS1_11target_archE4294967295ELNS1_3gpuE0ELNS1_3repE0EEENS1_30default_config_static_selectorELNS0_4arch9wavefront6targetE1EEEvT1_,comdat
	.globl	_ZN7rocprim17ROCPRIM_400000_NS6detail17trampoline_kernelINS0_14default_configENS1_25partition_config_selectorILNS1_17partition_subalgoE8ElNS0_10empty_typeEbEEZZNS1_14partition_implILS5_8ELb0ES3_jPlPS6_PKS6_NS0_5tupleIJS9_S6_EEENSD_IJSA_SA_EEENS0_18inequality_wrapperIZN2at6native12_GLOBAL__N_124unique_dim_cuda_templateIfEESt5tupleIJNSH_6TensorESM_SM_EERKSM_lbbbEUlllE0_EEPmJS6_EEE10hipError_tPvRmT3_T4_T5_T6_T7_T9_mT8_P12ihipStream_tbDpT10_ENKUlT_T0_E_clISt17integral_constantIbLb1EES1B_IbLb0EEEEDaS17_S18_EUlS17_E_NS1_11comp_targetILNS1_3genE0ELNS1_11target_archE4294967295ELNS1_3gpuE0ELNS1_3repE0EEENS1_30default_config_static_selectorELNS0_4arch9wavefront6targetE1EEEvT1_ ; -- Begin function _ZN7rocprim17ROCPRIM_400000_NS6detail17trampoline_kernelINS0_14default_configENS1_25partition_config_selectorILNS1_17partition_subalgoE8ElNS0_10empty_typeEbEEZZNS1_14partition_implILS5_8ELb0ES3_jPlPS6_PKS6_NS0_5tupleIJS9_S6_EEENSD_IJSA_SA_EEENS0_18inequality_wrapperIZN2at6native12_GLOBAL__N_124unique_dim_cuda_templateIfEESt5tupleIJNSH_6TensorESM_SM_EERKSM_lbbbEUlllE0_EEPmJS6_EEE10hipError_tPvRmT3_T4_T5_T6_T7_T9_mT8_P12ihipStream_tbDpT10_ENKUlT_T0_E_clISt17integral_constantIbLb1EES1B_IbLb0EEEEDaS17_S18_EUlS17_E_NS1_11comp_targetILNS1_3genE0ELNS1_11target_archE4294967295ELNS1_3gpuE0ELNS1_3repE0EEENS1_30default_config_static_selectorELNS0_4arch9wavefront6targetE1EEEvT1_
	.p2align	8
	.type	_ZN7rocprim17ROCPRIM_400000_NS6detail17trampoline_kernelINS0_14default_configENS1_25partition_config_selectorILNS1_17partition_subalgoE8ElNS0_10empty_typeEbEEZZNS1_14partition_implILS5_8ELb0ES3_jPlPS6_PKS6_NS0_5tupleIJS9_S6_EEENSD_IJSA_SA_EEENS0_18inequality_wrapperIZN2at6native12_GLOBAL__N_124unique_dim_cuda_templateIfEESt5tupleIJNSH_6TensorESM_SM_EERKSM_lbbbEUlllE0_EEPmJS6_EEE10hipError_tPvRmT3_T4_T5_T6_T7_T9_mT8_P12ihipStream_tbDpT10_ENKUlT_T0_E_clISt17integral_constantIbLb1EES1B_IbLb0EEEEDaS17_S18_EUlS17_E_NS1_11comp_targetILNS1_3genE0ELNS1_11target_archE4294967295ELNS1_3gpuE0ELNS1_3repE0EEENS1_30default_config_static_selectorELNS0_4arch9wavefront6targetE1EEEvT1_,@function
_ZN7rocprim17ROCPRIM_400000_NS6detail17trampoline_kernelINS0_14default_configENS1_25partition_config_selectorILNS1_17partition_subalgoE8ElNS0_10empty_typeEbEEZZNS1_14partition_implILS5_8ELb0ES3_jPlPS6_PKS6_NS0_5tupleIJS9_S6_EEENSD_IJSA_SA_EEENS0_18inequality_wrapperIZN2at6native12_GLOBAL__N_124unique_dim_cuda_templateIfEESt5tupleIJNSH_6TensorESM_SM_EERKSM_lbbbEUlllE0_EEPmJS6_EEE10hipError_tPvRmT3_T4_T5_T6_T7_T9_mT8_P12ihipStream_tbDpT10_ENKUlT_T0_E_clISt17integral_constantIbLb1EES1B_IbLb0EEEEDaS17_S18_EUlS17_E_NS1_11comp_targetILNS1_3genE0ELNS1_11target_archE4294967295ELNS1_3gpuE0ELNS1_3repE0EEENS1_30default_config_static_selectorELNS0_4arch9wavefront6targetE1EEEvT1_: ; @_ZN7rocprim17ROCPRIM_400000_NS6detail17trampoline_kernelINS0_14default_configENS1_25partition_config_selectorILNS1_17partition_subalgoE8ElNS0_10empty_typeEbEEZZNS1_14partition_implILS5_8ELb0ES3_jPlPS6_PKS6_NS0_5tupleIJS9_S6_EEENSD_IJSA_SA_EEENS0_18inequality_wrapperIZN2at6native12_GLOBAL__N_124unique_dim_cuda_templateIfEESt5tupleIJNSH_6TensorESM_SM_EERKSM_lbbbEUlllE0_EEPmJS6_EEE10hipError_tPvRmT3_T4_T5_T6_T7_T9_mT8_P12ihipStream_tbDpT10_ENKUlT_T0_E_clISt17integral_constantIbLb1EES1B_IbLb0EEEEDaS17_S18_EUlS17_E_NS1_11comp_targetILNS1_3genE0ELNS1_11target_archE4294967295ELNS1_3gpuE0ELNS1_3repE0EEENS1_30default_config_static_selectorELNS0_4arch9wavefront6targetE1EEEvT1_
; %bb.0:
	s_endpgm
	.section	.rodata,"a",@progbits
	.p2align	6, 0x0
	.amdhsa_kernel _ZN7rocprim17ROCPRIM_400000_NS6detail17trampoline_kernelINS0_14default_configENS1_25partition_config_selectorILNS1_17partition_subalgoE8ElNS0_10empty_typeEbEEZZNS1_14partition_implILS5_8ELb0ES3_jPlPS6_PKS6_NS0_5tupleIJS9_S6_EEENSD_IJSA_SA_EEENS0_18inequality_wrapperIZN2at6native12_GLOBAL__N_124unique_dim_cuda_templateIfEESt5tupleIJNSH_6TensorESM_SM_EERKSM_lbbbEUlllE0_EEPmJS6_EEE10hipError_tPvRmT3_T4_T5_T6_T7_T9_mT8_P12ihipStream_tbDpT10_ENKUlT_T0_E_clISt17integral_constantIbLb1EES1B_IbLb0EEEEDaS17_S18_EUlS17_E_NS1_11comp_targetILNS1_3genE0ELNS1_11target_archE4294967295ELNS1_3gpuE0ELNS1_3repE0EEENS1_30default_config_static_selectorELNS0_4arch9wavefront6targetE1EEEvT1_
		.amdhsa_group_segment_fixed_size 0
		.amdhsa_private_segment_fixed_size 0
		.amdhsa_kernarg_size 120
		.amdhsa_user_sgpr_count 2
		.amdhsa_user_sgpr_dispatch_ptr 0
		.amdhsa_user_sgpr_queue_ptr 0
		.amdhsa_user_sgpr_kernarg_segment_ptr 1
		.amdhsa_user_sgpr_dispatch_id 0
		.amdhsa_user_sgpr_kernarg_preload_length 0
		.amdhsa_user_sgpr_kernarg_preload_offset 0
		.amdhsa_user_sgpr_private_segment_size 0
		.amdhsa_uses_dynamic_stack 0
		.amdhsa_enable_private_segment 0
		.amdhsa_system_sgpr_workgroup_id_x 1
		.amdhsa_system_sgpr_workgroup_id_y 0
		.amdhsa_system_sgpr_workgroup_id_z 0
		.amdhsa_system_sgpr_workgroup_info 0
		.amdhsa_system_vgpr_workitem_id 0
		.amdhsa_next_free_vgpr 1
		.amdhsa_next_free_sgpr 0
		.amdhsa_accum_offset 4
		.amdhsa_reserve_vcc 0
		.amdhsa_float_round_mode_32 0
		.amdhsa_float_round_mode_16_64 0
		.amdhsa_float_denorm_mode_32 3
		.amdhsa_float_denorm_mode_16_64 3
		.amdhsa_dx10_clamp 1
		.amdhsa_ieee_mode 1
		.amdhsa_fp16_overflow 0
		.amdhsa_tg_split 0
		.amdhsa_exception_fp_ieee_invalid_op 0
		.amdhsa_exception_fp_denorm_src 0
		.amdhsa_exception_fp_ieee_div_zero 0
		.amdhsa_exception_fp_ieee_overflow 0
		.amdhsa_exception_fp_ieee_underflow 0
		.amdhsa_exception_fp_ieee_inexact 0
		.amdhsa_exception_int_div_zero 0
	.end_amdhsa_kernel
	.section	.text._ZN7rocprim17ROCPRIM_400000_NS6detail17trampoline_kernelINS0_14default_configENS1_25partition_config_selectorILNS1_17partition_subalgoE8ElNS0_10empty_typeEbEEZZNS1_14partition_implILS5_8ELb0ES3_jPlPS6_PKS6_NS0_5tupleIJS9_S6_EEENSD_IJSA_SA_EEENS0_18inequality_wrapperIZN2at6native12_GLOBAL__N_124unique_dim_cuda_templateIfEESt5tupleIJNSH_6TensorESM_SM_EERKSM_lbbbEUlllE0_EEPmJS6_EEE10hipError_tPvRmT3_T4_T5_T6_T7_T9_mT8_P12ihipStream_tbDpT10_ENKUlT_T0_E_clISt17integral_constantIbLb1EES1B_IbLb0EEEEDaS17_S18_EUlS17_E_NS1_11comp_targetILNS1_3genE0ELNS1_11target_archE4294967295ELNS1_3gpuE0ELNS1_3repE0EEENS1_30default_config_static_selectorELNS0_4arch9wavefront6targetE1EEEvT1_,"axG",@progbits,_ZN7rocprim17ROCPRIM_400000_NS6detail17trampoline_kernelINS0_14default_configENS1_25partition_config_selectorILNS1_17partition_subalgoE8ElNS0_10empty_typeEbEEZZNS1_14partition_implILS5_8ELb0ES3_jPlPS6_PKS6_NS0_5tupleIJS9_S6_EEENSD_IJSA_SA_EEENS0_18inequality_wrapperIZN2at6native12_GLOBAL__N_124unique_dim_cuda_templateIfEESt5tupleIJNSH_6TensorESM_SM_EERKSM_lbbbEUlllE0_EEPmJS6_EEE10hipError_tPvRmT3_T4_T5_T6_T7_T9_mT8_P12ihipStream_tbDpT10_ENKUlT_T0_E_clISt17integral_constantIbLb1EES1B_IbLb0EEEEDaS17_S18_EUlS17_E_NS1_11comp_targetILNS1_3genE0ELNS1_11target_archE4294967295ELNS1_3gpuE0ELNS1_3repE0EEENS1_30default_config_static_selectorELNS0_4arch9wavefront6targetE1EEEvT1_,comdat
.Lfunc_end945:
	.size	_ZN7rocprim17ROCPRIM_400000_NS6detail17trampoline_kernelINS0_14default_configENS1_25partition_config_selectorILNS1_17partition_subalgoE8ElNS0_10empty_typeEbEEZZNS1_14partition_implILS5_8ELb0ES3_jPlPS6_PKS6_NS0_5tupleIJS9_S6_EEENSD_IJSA_SA_EEENS0_18inequality_wrapperIZN2at6native12_GLOBAL__N_124unique_dim_cuda_templateIfEESt5tupleIJNSH_6TensorESM_SM_EERKSM_lbbbEUlllE0_EEPmJS6_EEE10hipError_tPvRmT3_T4_T5_T6_T7_T9_mT8_P12ihipStream_tbDpT10_ENKUlT_T0_E_clISt17integral_constantIbLb1EES1B_IbLb0EEEEDaS17_S18_EUlS17_E_NS1_11comp_targetILNS1_3genE0ELNS1_11target_archE4294967295ELNS1_3gpuE0ELNS1_3repE0EEENS1_30default_config_static_selectorELNS0_4arch9wavefront6targetE1EEEvT1_, .Lfunc_end945-_ZN7rocprim17ROCPRIM_400000_NS6detail17trampoline_kernelINS0_14default_configENS1_25partition_config_selectorILNS1_17partition_subalgoE8ElNS0_10empty_typeEbEEZZNS1_14partition_implILS5_8ELb0ES3_jPlPS6_PKS6_NS0_5tupleIJS9_S6_EEENSD_IJSA_SA_EEENS0_18inequality_wrapperIZN2at6native12_GLOBAL__N_124unique_dim_cuda_templateIfEESt5tupleIJNSH_6TensorESM_SM_EERKSM_lbbbEUlllE0_EEPmJS6_EEE10hipError_tPvRmT3_T4_T5_T6_T7_T9_mT8_P12ihipStream_tbDpT10_ENKUlT_T0_E_clISt17integral_constantIbLb1EES1B_IbLb0EEEEDaS17_S18_EUlS17_E_NS1_11comp_targetILNS1_3genE0ELNS1_11target_archE4294967295ELNS1_3gpuE0ELNS1_3repE0EEENS1_30default_config_static_selectorELNS0_4arch9wavefront6targetE1EEEvT1_
                                        ; -- End function
	.set _ZN7rocprim17ROCPRIM_400000_NS6detail17trampoline_kernelINS0_14default_configENS1_25partition_config_selectorILNS1_17partition_subalgoE8ElNS0_10empty_typeEbEEZZNS1_14partition_implILS5_8ELb0ES3_jPlPS6_PKS6_NS0_5tupleIJS9_S6_EEENSD_IJSA_SA_EEENS0_18inequality_wrapperIZN2at6native12_GLOBAL__N_124unique_dim_cuda_templateIfEESt5tupleIJNSH_6TensorESM_SM_EERKSM_lbbbEUlllE0_EEPmJS6_EEE10hipError_tPvRmT3_T4_T5_T6_T7_T9_mT8_P12ihipStream_tbDpT10_ENKUlT_T0_E_clISt17integral_constantIbLb1EES1B_IbLb0EEEEDaS17_S18_EUlS17_E_NS1_11comp_targetILNS1_3genE0ELNS1_11target_archE4294967295ELNS1_3gpuE0ELNS1_3repE0EEENS1_30default_config_static_selectorELNS0_4arch9wavefront6targetE1EEEvT1_.num_vgpr, 0
	.set _ZN7rocprim17ROCPRIM_400000_NS6detail17trampoline_kernelINS0_14default_configENS1_25partition_config_selectorILNS1_17partition_subalgoE8ElNS0_10empty_typeEbEEZZNS1_14partition_implILS5_8ELb0ES3_jPlPS6_PKS6_NS0_5tupleIJS9_S6_EEENSD_IJSA_SA_EEENS0_18inequality_wrapperIZN2at6native12_GLOBAL__N_124unique_dim_cuda_templateIfEESt5tupleIJNSH_6TensorESM_SM_EERKSM_lbbbEUlllE0_EEPmJS6_EEE10hipError_tPvRmT3_T4_T5_T6_T7_T9_mT8_P12ihipStream_tbDpT10_ENKUlT_T0_E_clISt17integral_constantIbLb1EES1B_IbLb0EEEEDaS17_S18_EUlS17_E_NS1_11comp_targetILNS1_3genE0ELNS1_11target_archE4294967295ELNS1_3gpuE0ELNS1_3repE0EEENS1_30default_config_static_selectorELNS0_4arch9wavefront6targetE1EEEvT1_.num_agpr, 0
	.set _ZN7rocprim17ROCPRIM_400000_NS6detail17trampoline_kernelINS0_14default_configENS1_25partition_config_selectorILNS1_17partition_subalgoE8ElNS0_10empty_typeEbEEZZNS1_14partition_implILS5_8ELb0ES3_jPlPS6_PKS6_NS0_5tupleIJS9_S6_EEENSD_IJSA_SA_EEENS0_18inequality_wrapperIZN2at6native12_GLOBAL__N_124unique_dim_cuda_templateIfEESt5tupleIJNSH_6TensorESM_SM_EERKSM_lbbbEUlllE0_EEPmJS6_EEE10hipError_tPvRmT3_T4_T5_T6_T7_T9_mT8_P12ihipStream_tbDpT10_ENKUlT_T0_E_clISt17integral_constantIbLb1EES1B_IbLb0EEEEDaS17_S18_EUlS17_E_NS1_11comp_targetILNS1_3genE0ELNS1_11target_archE4294967295ELNS1_3gpuE0ELNS1_3repE0EEENS1_30default_config_static_selectorELNS0_4arch9wavefront6targetE1EEEvT1_.numbered_sgpr, 0
	.set _ZN7rocprim17ROCPRIM_400000_NS6detail17trampoline_kernelINS0_14default_configENS1_25partition_config_selectorILNS1_17partition_subalgoE8ElNS0_10empty_typeEbEEZZNS1_14partition_implILS5_8ELb0ES3_jPlPS6_PKS6_NS0_5tupleIJS9_S6_EEENSD_IJSA_SA_EEENS0_18inequality_wrapperIZN2at6native12_GLOBAL__N_124unique_dim_cuda_templateIfEESt5tupleIJNSH_6TensorESM_SM_EERKSM_lbbbEUlllE0_EEPmJS6_EEE10hipError_tPvRmT3_T4_T5_T6_T7_T9_mT8_P12ihipStream_tbDpT10_ENKUlT_T0_E_clISt17integral_constantIbLb1EES1B_IbLb0EEEEDaS17_S18_EUlS17_E_NS1_11comp_targetILNS1_3genE0ELNS1_11target_archE4294967295ELNS1_3gpuE0ELNS1_3repE0EEENS1_30default_config_static_selectorELNS0_4arch9wavefront6targetE1EEEvT1_.num_named_barrier, 0
	.set _ZN7rocprim17ROCPRIM_400000_NS6detail17trampoline_kernelINS0_14default_configENS1_25partition_config_selectorILNS1_17partition_subalgoE8ElNS0_10empty_typeEbEEZZNS1_14partition_implILS5_8ELb0ES3_jPlPS6_PKS6_NS0_5tupleIJS9_S6_EEENSD_IJSA_SA_EEENS0_18inequality_wrapperIZN2at6native12_GLOBAL__N_124unique_dim_cuda_templateIfEESt5tupleIJNSH_6TensorESM_SM_EERKSM_lbbbEUlllE0_EEPmJS6_EEE10hipError_tPvRmT3_T4_T5_T6_T7_T9_mT8_P12ihipStream_tbDpT10_ENKUlT_T0_E_clISt17integral_constantIbLb1EES1B_IbLb0EEEEDaS17_S18_EUlS17_E_NS1_11comp_targetILNS1_3genE0ELNS1_11target_archE4294967295ELNS1_3gpuE0ELNS1_3repE0EEENS1_30default_config_static_selectorELNS0_4arch9wavefront6targetE1EEEvT1_.private_seg_size, 0
	.set _ZN7rocprim17ROCPRIM_400000_NS6detail17trampoline_kernelINS0_14default_configENS1_25partition_config_selectorILNS1_17partition_subalgoE8ElNS0_10empty_typeEbEEZZNS1_14partition_implILS5_8ELb0ES3_jPlPS6_PKS6_NS0_5tupleIJS9_S6_EEENSD_IJSA_SA_EEENS0_18inequality_wrapperIZN2at6native12_GLOBAL__N_124unique_dim_cuda_templateIfEESt5tupleIJNSH_6TensorESM_SM_EERKSM_lbbbEUlllE0_EEPmJS6_EEE10hipError_tPvRmT3_T4_T5_T6_T7_T9_mT8_P12ihipStream_tbDpT10_ENKUlT_T0_E_clISt17integral_constantIbLb1EES1B_IbLb0EEEEDaS17_S18_EUlS17_E_NS1_11comp_targetILNS1_3genE0ELNS1_11target_archE4294967295ELNS1_3gpuE0ELNS1_3repE0EEENS1_30default_config_static_selectorELNS0_4arch9wavefront6targetE1EEEvT1_.uses_vcc, 0
	.set _ZN7rocprim17ROCPRIM_400000_NS6detail17trampoline_kernelINS0_14default_configENS1_25partition_config_selectorILNS1_17partition_subalgoE8ElNS0_10empty_typeEbEEZZNS1_14partition_implILS5_8ELb0ES3_jPlPS6_PKS6_NS0_5tupleIJS9_S6_EEENSD_IJSA_SA_EEENS0_18inequality_wrapperIZN2at6native12_GLOBAL__N_124unique_dim_cuda_templateIfEESt5tupleIJNSH_6TensorESM_SM_EERKSM_lbbbEUlllE0_EEPmJS6_EEE10hipError_tPvRmT3_T4_T5_T6_T7_T9_mT8_P12ihipStream_tbDpT10_ENKUlT_T0_E_clISt17integral_constantIbLb1EES1B_IbLb0EEEEDaS17_S18_EUlS17_E_NS1_11comp_targetILNS1_3genE0ELNS1_11target_archE4294967295ELNS1_3gpuE0ELNS1_3repE0EEENS1_30default_config_static_selectorELNS0_4arch9wavefront6targetE1EEEvT1_.uses_flat_scratch, 0
	.set _ZN7rocprim17ROCPRIM_400000_NS6detail17trampoline_kernelINS0_14default_configENS1_25partition_config_selectorILNS1_17partition_subalgoE8ElNS0_10empty_typeEbEEZZNS1_14partition_implILS5_8ELb0ES3_jPlPS6_PKS6_NS0_5tupleIJS9_S6_EEENSD_IJSA_SA_EEENS0_18inequality_wrapperIZN2at6native12_GLOBAL__N_124unique_dim_cuda_templateIfEESt5tupleIJNSH_6TensorESM_SM_EERKSM_lbbbEUlllE0_EEPmJS6_EEE10hipError_tPvRmT3_T4_T5_T6_T7_T9_mT8_P12ihipStream_tbDpT10_ENKUlT_T0_E_clISt17integral_constantIbLb1EES1B_IbLb0EEEEDaS17_S18_EUlS17_E_NS1_11comp_targetILNS1_3genE0ELNS1_11target_archE4294967295ELNS1_3gpuE0ELNS1_3repE0EEENS1_30default_config_static_selectorELNS0_4arch9wavefront6targetE1EEEvT1_.has_dyn_sized_stack, 0
	.set _ZN7rocprim17ROCPRIM_400000_NS6detail17trampoline_kernelINS0_14default_configENS1_25partition_config_selectorILNS1_17partition_subalgoE8ElNS0_10empty_typeEbEEZZNS1_14partition_implILS5_8ELb0ES3_jPlPS6_PKS6_NS0_5tupleIJS9_S6_EEENSD_IJSA_SA_EEENS0_18inequality_wrapperIZN2at6native12_GLOBAL__N_124unique_dim_cuda_templateIfEESt5tupleIJNSH_6TensorESM_SM_EERKSM_lbbbEUlllE0_EEPmJS6_EEE10hipError_tPvRmT3_T4_T5_T6_T7_T9_mT8_P12ihipStream_tbDpT10_ENKUlT_T0_E_clISt17integral_constantIbLb1EES1B_IbLb0EEEEDaS17_S18_EUlS17_E_NS1_11comp_targetILNS1_3genE0ELNS1_11target_archE4294967295ELNS1_3gpuE0ELNS1_3repE0EEENS1_30default_config_static_selectorELNS0_4arch9wavefront6targetE1EEEvT1_.has_recursion, 0
	.set _ZN7rocprim17ROCPRIM_400000_NS6detail17trampoline_kernelINS0_14default_configENS1_25partition_config_selectorILNS1_17partition_subalgoE8ElNS0_10empty_typeEbEEZZNS1_14partition_implILS5_8ELb0ES3_jPlPS6_PKS6_NS0_5tupleIJS9_S6_EEENSD_IJSA_SA_EEENS0_18inequality_wrapperIZN2at6native12_GLOBAL__N_124unique_dim_cuda_templateIfEESt5tupleIJNSH_6TensorESM_SM_EERKSM_lbbbEUlllE0_EEPmJS6_EEE10hipError_tPvRmT3_T4_T5_T6_T7_T9_mT8_P12ihipStream_tbDpT10_ENKUlT_T0_E_clISt17integral_constantIbLb1EES1B_IbLb0EEEEDaS17_S18_EUlS17_E_NS1_11comp_targetILNS1_3genE0ELNS1_11target_archE4294967295ELNS1_3gpuE0ELNS1_3repE0EEENS1_30default_config_static_selectorELNS0_4arch9wavefront6targetE1EEEvT1_.has_indirect_call, 0
	.section	.AMDGPU.csdata,"",@progbits
; Kernel info:
; codeLenInByte = 4
; TotalNumSgprs: 6
; NumVgprs: 0
; NumAgprs: 0
; TotalNumVgprs: 0
; ScratchSize: 0
; MemoryBound: 0
; FloatMode: 240
; IeeeMode: 1
; LDSByteSize: 0 bytes/workgroup (compile time only)
; SGPRBlocks: 0
; VGPRBlocks: 0
; NumSGPRsForWavesPerEU: 6
; NumVGPRsForWavesPerEU: 1
; AccumOffset: 4
; Occupancy: 8
; WaveLimiterHint : 0
; COMPUTE_PGM_RSRC2:SCRATCH_EN: 0
; COMPUTE_PGM_RSRC2:USER_SGPR: 2
; COMPUTE_PGM_RSRC2:TRAP_HANDLER: 0
; COMPUTE_PGM_RSRC2:TGID_X_EN: 1
; COMPUTE_PGM_RSRC2:TGID_Y_EN: 0
; COMPUTE_PGM_RSRC2:TGID_Z_EN: 0
; COMPUTE_PGM_RSRC2:TIDIG_COMP_CNT: 0
; COMPUTE_PGM_RSRC3_GFX90A:ACCUM_OFFSET: 0
; COMPUTE_PGM_RSRC3_GFX90A:TG_SPLIT: 0
	.section	.text._ZN7rocprim17ROCPRIM_400000_NS6detail17trampoline_kernelINS0_14default_configENS1_25partition_config_selectorILNS1_17partition_subalgoE8ElNS0_10empty_typeEbEEZZNS1_14partition_implILS5_8ELb0ES3_jPlPS6_PKS6_NS0_5tupleIJS9_S6_EEENSD_IJSA_SA_EEENS0_18inequality_wrapperIZN2at6native12_GLOBAL__N_124unique_dim_cuda_templateIfEESt5tupleIJNSH_6TensorESM_SM_EERKSM_lbbbEUlllE0_EEPmJS6_EEE10hipError_tPvRmT3_T4_T5_T6_T7_T9_mT8_P12ihipStream_tbDpT10_ENKUlT_T0_E_clISt17integral_constantIbLb1EES1B_IbLb0EEEEDaS17_S18_EUlS17_E_NS1_11comp_targetILNS1_3genE5ELNS1_11target_archE942ELNS1_3gpuE9ELNS1_3repE0EEENS1_30default_config_static_selectorELNS0_4arch9wavefront6targetE1EEEvT1_,"axG",@progbits,_ZN7rocprim17ROCPRIM_400000_NS6detail17trampoline_kernelINS0_14default_configENS1_25partition_config_selectorILNS1_17partition_subalgoE8ElNS0_10empty_typeEbEEZZNS1_14partition_implILS5_8ELb0ES3_jPlPS6_PKS6_NS0_5tupleIJS9_S6_EEENSD_IJSA_SA_EEENS0_18inequality_wrapperIZN2at6native12_GLOBAL__N_124unique_dim_cuda_templateIfEESt5tupleIJNSH_6TensorESM_SM_EERKSM_lbbbEUlllE0_EEPmJS6_EEE10hipError_tPvRmT3_T4_T5_T6_T7_T9_mT8_P12ihipStream_tbDpT10_ENKUlT_T0_E_clISt17integral_constantIbLb1EES1B_IbLb0EEEEDaS17_S18_EUlS17_E_NS1_11comp_targetILNS1_3genE5ELNS1_11target_archE942ELNS1_3gpuE9ELNS1_3repE0EEENS1_30default_config_static_selectorELNS0_4arch9wavefront6targetE1EEEvT1_,comdat
	.globl	_ZN7rocprim17ROCPRIM_400000_NS6detail17trampoline_kernelINS0_14default_configENS1_25partition_config_selectorILNS1_17partition_subalgoE8ElNS0_10empty_typeEbEEZZNS1_14partition_implILS5_8ELb0ES3_jPlPS6_PKS6_NS0_5tupleIJS9_S6_EEENSD_IJSA_SA_EEENS0_18inequality_wrapperIZN2at6native12_GLOBAL__N_124unique_dim_cuda_templateIfEESt5tupleIJNSH_6TensorESM_SM_EERKSM_lbbbEUlllE0_EEPmJS6_EEE10hipError_tPvRmT3_T4_T5_T6_T7_T9_mT8_P12ihipStream_tbDpT10_ENKUlT_T0_E_clISt17integral_constantIbLb1EES1B_IbLb0EEEEDaS17_S18_EUlS17_E_NS1_11comp_targetILNS1_3genE5ELNS1_11target_archE942ELNS1_3gpuE9ELNS1_3repE0EEENS1_30default_config_static_selectorELNS0_4arch9wavefront6targetE1EEEvT1_ ; -- Begin function _ZN7rocprim17ROCPRIM_400000_NS6detail17trampoline_kernelINS0_14default_configENS1_25partition_config_selectorILNS1_17partition_subalgoE8ElNS0_10empty_typeEbEEZZNS1_14partition_implILS5_8ELb0ES3_jPlPS6_PKS6_NS0_5tupleIJS9_S6_EEENSD_IJSA_SA_EEENS0_18inequality_wrapperIZN2at6native12_GLOBAL__N_124unique_dim_cuda_templateIfEESt5tupleIJNSH_6TensorESM_SM_EERKSM_lbbbEUlllE0_EEPmJS6_EEE10hipError_tPvRmT3_T4_T5_T6_T7_T9_mT8_P12ihipStream_tbDpT10_ENKUlT_T0_E_clISt17integral_constantIbLb1EES1B_IbLb0EEEEDaS17_S18_EUlS17_E_NS1_11comp_targetILNS1_3genE5ELNS1_11target_archE942ELNS1_3gpuE9ELNS1_3repE0EEENS1_30default_config_static_selectorELNS0_4arch9wavefront6targetE1EEEvT1_
	.p2align	8
	.type	_ZN7rocprim17ROCPRIM_400000_NS6detail17trampoline_kernelINS0_14default_configENS1_25partition_config_selectorILNS1_17partition_subalgoE8ElNS0_10empty_typeEbEEZZNS1_14partition_implILS5_8ELb0ES3_jPlPS6_PKS6_NS0_5tupleIJS9_S6_EEENSD_IJSA_SA_EEENS0_18inequality_wrapperIZN2at6native12_GLOBAL__N_124unique_dim_cuda_templateIfEESt5tupleIJNSH_6TensorESM_SM_EERKSM_lbbbEUlllE0_EEPmJS6_EEE10hipError_tPvRmT3_T4_T5_T6_T7_T9_mT8_P12ihipStream_tbDpT10_ENKUlT_T0_E_clISt17integral_constantIbLb1EES1B_IbLb0EEEEDaS17_S18_EUlS17_E_NS1_11comp_targetILNS1_3genE5ELNS1_11target_archE942ELNS1_3gpuE9ELNS1_3repE0EEENS1_30default_config_static_selectorELNS0_4arch9wavefront6targetE1EEEvT1_,@function
_ZN7rocprim17ROCPRIM_400000_NS6detail17trampoline_kernelINS0_14default_configENS1_25partition_config_selectorILNS1_17partition_subalgoE8ElNS0_10empty_typeEbEEZZNS1_14partition_implILS5_8ELb0ES3_jPlPS6_PKS6_NS0_5tupleIJS9_S6_EEENSD_IJSA_SA_EEENS0_18inequality_wrapperIZN2at6native12_GLOBAL__N_124unique_dim_cuda_templateIfEESt5tupleIJNSH_6TensorESM_SM_EERKSM_lbbbEUlllE0_EEPmJS6_EEE10hipError_tPvRmT3_T4_T5_T6_T7_T9_mT8_P12ihipStream_tbDpT10_ENKUlT_T0_E_clISt17integral_constantIbLb1EES1B_IbLb0EEEEDaS17_S18_EUlS17_E_NS1_11comp_targetILNS1_3genE5ELNS1_11target_archE942ELNS1_3gpuE9ELNS1_3repE0EEENS1_30default_config_static_selectorELNS0_4arch9wavefront6targetE1EEEvT1_: ; @_ZN7rocprim17ROCPRIM_400000_NS6detail17trampoline_kernelINS0_14default_configENS1_25partition_config_selectorILNS1_17partition_subalgoE8ElNS0_10empty_typeEbEEZZNS1_14partition_implILS5_8ELb0ES3_jPlPS6_PKS6_NS0_5tupleIJS9_S6_EEENSD_IJSA_SA_EEENS0_18inequality_wrapperIZN2at6native12_GLOBAL__N_124unique_dim_cuda_templateIfEESt5tupleIJNSH_6TensorESM_SM_EERKSM_lbbbEUlllE0_EEPmJS6_EEE10hipError_tPvRmT3_T4_T5_T6_T7_T9_mT8_P12ihipStream_tbDpT10_ENKUlT_T0_E_clISt17integral_constantIbLb1EES1B_IbLb0EEEEDaS17_S18_EUlS17_E_NS1_11comp_targetILNS1_3genE5ELNS1_11target_archE942ELNS1_3gpuE9ELNS1_3repE0EEENS1_30default_config_static_selectorELNS0_4arch9wavefront6targetE1EEEvT1_
; %bb.0:
	.section	.rodata,"a",@progbits
	.p2align	6, 0x0
	.amdhsa_kernel _ZN7rocprim17ROCPRIM_400000_NS6detail17trampoline_kernelINS0_14default_configENS1_25partition_config_selectorILNS1_17partition_subalgoE8ElNS0_10empty_typeEbEEZZNS1_14partition_implILS5_8ELb0ES3_jPlPS6_PKS6_NS0_5tupleIJS9_S6_EEENSD_IJSA_SA_EEENS0_18inequality_wrapperIZN2at6native12_GLOBAL__N_124unique_dim_cuda_templateIfEESt5tupleIJNSH_6TensorESM_SM_EERKSM_lbbbEUlllE0_EEPmJS6_EEE10hipError_tPvRmT3_T4_T5_T6_T7_T9_mT8_P12ihipStream_tbDpT10_ENKUlT_T0_E_clISt17integral_constantIbLb1EES1B_IbLb0EEEEDaS17_S18_EUlS17_E_NS1_11comp_targetILNS1_3genE5ELNS1_11target_archE942ELNS1_3gpuE9ELNS1_3repE0EEENS1_30default_config_static_selectorELNS0_4arch9wavefront6targetE1EEEvT1_
		.amdhsa_group_segment_fixed_size 0
		.amdhsa_private_segment_fixed_size 0
		.amdhsa_kernarg_size 120
		.amdhsa_user_sgpr_count 2
		.amdhsa_user_sgpr_dispatch_ptr 0
		.amdhsa_user_sgpr_queue_ptr 0
		.amdhsa_user_sgpr_kernarg_segment_ptr 1
		.amdhsa_user_sgpr_dispatch_id 0
		.amdhsa_user_sgpr_kernarg_preload_length 0
		.amdhsa_user_sgpr_kernarg_preload_offset 0
		.amdhsa_user_sgpr_private_segment_size 0
		.amdhsa_uses_dynamic_stack 0
		.amdhsa_enable_private_segment 0
		.amdhsa_system_sgpr_workgroup_id_x 1
		.amdhsa_system_sgpr_workgroup_id_y 0
		.amdhsa_system_sgpr_workgroup_id_z 0
		.amdhsa_system_sgpr_workgroup_info 0
		.amdhsa_system_vgpr_workitem_id 0
		.amdhsa_next_free_vgpr 1
		.amdhsa_next_free_sgpr 0
		.amdhsa_accum_offset 4
		.amdhsa_reserve_vcc 0
		.amdhsa_float_round_mode_32 0
		.amdhsa_float_round_mode_16_64 0
		.amdhsa_float_denorm_mode_32 3
		.amdhsa_float_denorm_mode_16_64 3
		.amdhsa_dx10_clamp 1
		.amdhsa_ieee_mode 1
		.amdhsa_fp16_overflow 0
		.amdhsa_tg_split 0
		.amdhsa_exception_fp_ieee_invalid_op 0
		.amdhsa_exception_fp_denorm_src 0
		.amdhsa_exception_fp_ieee_div_zero 0
		.amdhsa_exception_fp_ieee_overflow 0
		.amdhsa_exception_fp_ieee_underflow 0
		.amdhsa_exception_fp_ieee_inexact 0
		.amdhsa_exception_int_div_zero 0
	.end_amdhsa_kernel
	.section	.text._ZN7rocprim17ROCPRIM_400000_NS6detail17trampoline_kernelINS0_14default_configENS1_25partition_config_selectorILNS1_17partition_subalgoE8ElNS0_10empty_typeEbEEZZNS1_14partition_implILS5_8ELb0ES3_jPlPS6_PKS6_NS0_5tupleIJS9_S6_EEENSD_IJSA_SA_EEENS0_18inequality_wrapperIZN2at6native12_GLOBAL__N_124unique_dim_cuda_templateIfEESt5tupleIJNSH_6TensorESM_SM_EERKSM_lbbbEUlllE0_EEPmJS6_EEE10hipError_tPvRmT3_T4_T5_T6_T7_T9_mT8_P12ihipStream_tbDpT10_ENKUlT_T0_E_clISt17integral_constantIbLb1EES1B_IbLb0EEEEDaS17_S18_EUlS17_E_NS1_11comp_targetILNS1_3genE5ELNS1_11target_archE942ELNS1_3gpuE9ELNS1_3repE0EEENS1_30default_config_static_selectorELNS0_4arch9wavefront6targetE1EEEvT1_,"axG",@progbits,_ZN7rocprim17ROCPRIM_400000_NS6detail17trampoline_kernelINS0_14default_configENS1_25partition_config_selectorILNS1_17partition_subalgoE8ElNS0_10empty_typeEbEEZZNS1_14partition_implILS5_8ELb0ES3_jPlPS6_PKS6_NS0_5tupleIJS9_S6_EEENSD_IJSA_SA_EEENS0_18inequality_wrapperIZN2at6native12_GLOBAL__N_124unique_dim_cuda_templateIfEESt5tupleIJNSH_6TensorESM_SM_EERKSM_lbbbEUlllE0_EEPmJS6_EEE10hipError_tPvRmT3_T4_T5_T6_T7_T9_mT8_P12ihipStream_tbDpT10_ENKUlT_T0_E_clISt17integral_constantIbLb1EES1B_IbLb0EEEEDaS17_S18_EUlS17_E_NS1_11comp_targetILNS1_3genE5ELNS1_11target_archE942ELNS1_3gpuE9ELNS1_3repE0EEENS1_30default_config_static_selectorELNS0_4arch9wavefront6targetE1EEEvT1_,comdat
.Lfunc_end946:
	.size	_ZN7rocprim17ROCPRIM_400000_NS6detail17trampoline_kernelINS0_14default_configENS1_25partition_config_selectorILNS1_17partition_subalgoE8ElNS0_10empty_typeEbEEZZNS1_14partition_implILS5_8ELb0ES3_jPlPS6_PKS6_NS0_5tupleIJS9_S6_EEENSD_IJSA_SA_EEENS0_18inequality_wrapperIZN2at6native12_GLOBAL__N_124unique_dim_cuda_templateIfEESt5tupleIJNSH_6TensorESM_SM_EERKSM_lbbbEUlllE0_EEPmJS6_EEE10hipError_tPvRmT3_T4_T5_T6_T7_T9_mT8_P12ihipStream_tbDpT10_ENKUlT_T0_E_clISt17integral_constantIbLb1EES1B_IbLb0EEEEDaS17_S18_EUlS17_E_NS1_11comp_targetILNS1_3genE5ELNS1_11target_archE942ELNS1_3gpuE9ELNS1_3repE0EEENS1_30default_config_static_selectorELNS0_4arch9wavefront6targetE1EEEvT1_, .Lfunc_end946-_ZN7rocprim17ROCPRIM_400000_NS6detail17trampoline_kernelINS0_14default_configENS1_25partition_config_selectorILNS1_17partition_subalgoE8ElNS0_10empty_typeEbEEZZNS1_14partition_implILS5_8ELb0ES3_jPlPS6_PKS6_NS0_5tupleIJS9_S6_EEENSD_IJSA_SA_EEENS0_18inequality_wrapperIZN2at6native12_GLOBAL__N_124unique_dim_cuda_templateIfEESt5tupleIJNSH_6TensorESM_SM_EERKSM_lbbbEUlllE0_EEPmJS6_EEE10hipError_tPvRmT3_T4_T5_T6_T7_T9_mT8_P12ihipStream_tbDpT10_ENKUlT_T0_E_clISt17integral_constantIbLb1EES1B_IbLb0EEEEDaS17_S18_EUlS17_E_NS1_11comp_targetILNS1_3genE5ELNS1_11target_archE942ELNS1_3gpuE9ELNS1_3repE0EEENS1_30default_config_static_selectorELNS0_4arch9wavefront6targetE1EEEvT1_
                                        ; -- End function
	.set _ZN7rocprim17ROCPRIM_400000_NS6detail17trampoline_kernelINS0_14default_configENS1_25partition_config_selectorILNS1_17partition_subalgoE8ElNS0_10empty_typeEbEEZZNS1_14partition_implILS5_8ELb0ES3_jPlPS6_PKS6_NS0_5tupleIJS9_S6_EEENSD_IJSA_SA_EEENS0_18inequality_wrapperIZN2at6native12_GLOBAL__N_124unique_dim_cuda_templateIfEESt5tupleIJNSH_6TensorESM_SM_EERKSM_lbbbEUlllE0_EEPmJS6_EEE10hipError_tPvRmT3_T4_T5_T6_T7_T9_mT8_P12ihipStream_tbDpT10_ENKUlT_T0_E_clISt17integral_constantIbLb1EES1B_IbLb0EEEEDaS17_S18_EUlS17_E_NS1_11comp_targetILNS1_3genE5ELNS1_11target_archE942ELNS1_3gpuE9ELNS1_3repE0EEENS1_30default_config_static_selectorELNS0_4arch9wavefront6targetE1EEEvT1_.num_vgpr, 0
	.set _ZN7rocprim17ROCPRIM_400000_NS6detail17trampoline_kernelINS0_14default_configENS1_25partition_config_selectorILNS1_17partition_subalgoE8ElNS0_10empty_typeEbEEZZNS1_14partition_implILS5_8ELb0ES3_jPlPS6_PKS6_NS0_5tupleIJS9_S6_EEENSD_IJSA_SA_EEENS0_18inequality_wrapperIZN2at6native12_GLOBAL__N_124unique_dim_cuda_templateIfEESt5tupleIJNSH_6TensorESM_SM_EERKSM_lbbbEUlllE0_EEPmJS6_EEE10hipError_tPvRmT3_T4_T5_T6_T7_T9_mT8_P12ihipStream_tbDpT10_ENKUlT_T0_E_clISt17integral_constantIbLb1EES1B_IbLb0EEEEDaS17_S18_EUlS17_E_NS1_11comp_targetILNS1_3genE5ELNS1_11target_archE942ELNS1_3gpuE9ELNS1_3repE0EEENS1_30default_config_static_selectorELNS0_4arch9wavefront6targetE1EEEvT1_.num_agpr, 0
	.set _ZN7rocprim17ROCPRIM_400000_NS6detail17trampoline_kernelINS0_14default_configENS1_25partition_config_selectorILNS1_17partition_subalgoE8ElNS0_10empty_typeEbEEZZNS1_14partition_implILS5_8ELb0ES3_jPlPS6_PKS6_NS0_5tupleIJS9_S6_EEENSD_IJSA_SA_EEENS0_18inequality_wrapperIZN2at6native12_GLOBAL__N_124unique_dim_cuda_templateIfEESt5tupleIJNSH_6TensorESM_SM_EERKSM_lbbbEUlllE0_EEPmJS6_EEE10hipError_tPvRmT3_T4_T5_T6_T7_T9_mT8_P12ihipStream_tbDpT10_ENKUlT_T0_E_clISt17integral_constantIbLb1EES1B_IbLb0EEEEDaS17_S18_EUlS17_E_NS1_11comp_targetILNS1_3genE5ELNS1_11target_archE942ELNS1_3gpuE9ELNS1_3repE0EEENS1_30default_config_static_selectorELNS0_4arch9wavefront6targetE1EEEvT1_.numbered_sgpr, 0
	.set _ZN7rocprim17ROCPRIM_400000_NS6detail17trampoline_kernelINS0_14default_configENS1_25partition_config_selectorILNS1_17partition_subalgoE8ElNS0_10empty_typeEbEEZZNS1_14partition_implILS5_8ELb0ES3_jPlPS6_PKS6_NS0_5tupleIJS9_S6_EEENSD_IJSA_SA_EEENS0_18inequality_wrapperIZN2at6native12_GLOBAL__N_124unique_dim_cuda_templateIfEESt5tupleIJNSH_6TensorESM_SM_EERKSM_lbbbEUlllE0_EEPmJS6_EEE10hipError_tPvRmT3_T4_T5_T6_T7_T9_mT8_P12ihipStream_tbDpT10_ENKUlT_T0_E_clISt17integral_constantIbLb1EES1B_IbLb0EEEEDaS17_S18_EUlS17_E_NS1_11comp_targetILNS1_3genE5ELNS1_11target_archE942ELNS1_3gpuE9ELNS1_3repE0EEENS1_30default_config_static_selectorELNS0_4arch9wavefront6targetE1EEEvT1_.num_named_barrier, 0
	.set _ZN7rocprim17ROCPRIM_400000_NS6detail17trampoline_kernelINS0_14default_configENS1_25partition_config_selectorILNS1_17partition_subalgoE8ElNS0_10empty_typeEbEEZZNS1_14partition_implILS5_8ELb0ES3_jPlPS6_PKS6_NS0_5tupleIJS9_S6_EEENSD_IJSA_SA_EEENS0_18inequality_wrapperIZN2at6native12_GLOBAL__N_124unique_dim_cuda_templateIfEESt5tupleIJNSH_6TensorESM_SM_EERKSM_lbbbEUlllE0_EEPmJS6_EEE10hipError_tPvRmT3_T4_T5_T6_T7_T9_mT8_P12ihipStream_tbDpT10_ENKUlT_T0_E_clISt17integral_constantIbLb1EES1B_IbLb0EEEEDaS17_S18_EUlS17_E_NS1_11comp_targetILNS1_3genE5ELNS1_11target_archE942ELNS1_3gpuE9ELNS1_3repE0EEENS1_30default_config_static_selectorELNS0_4arch9wavefront6targetE1EEEvT1_.private_seg_size, 0
	.set _ZN7rocprim17ROCPRIM_400000_NS6detail17trampoline_kernelINS0_14default_configENS1_25partition_config_selectorILNS1_17partition_subalgoE8ElNS0_10empty_typeEbEEZZNS1_14partition_implILS5_8ELb0ES3_jPlPS6_PKS6_NS0_5tupleIJS9_S6_EEENSD_IJSA_SA_EEENS0_18inequality_wrapperIZN2at6native12_GLOBAL__N_124unique_dim_cuda_templateIfEESt5tupleIJNSH_6TensorESM_SM_EERKSM_lbbbEUlllE0_EEPmJS6_EEE10hipError_tPvRmT3_T4_T5_T6_T7_T9_mT8_P12ihipStream_tbDpT10_ENKUlT_T0_E_clISt17integral_constantIbLb1EES1B_IbLb0EEEEDaS17_S18_EUlS17_E_NS1_11comp_targetILNS1_3genE5ELNS1_11target_archE942ELNS1_3gpuE9ELNS1_3repE0EEENS1_30default_config_static_selectorELNS0_4arch9wavefront6targetE1EEEvT1_.uses_vcc, 0
	.set _ZN7rocprim17ROCPRIM_400000_NS6detail17trampoline_kernelINS0_14default_configENS1_25partition_config_selectorILNS1_17partition_subalgoE8ElNS0_10empty_typeEbEEZZNS1_14partition_implILS5_8ELb0ES3_jPlPS6_PKS6_NS0_5tupleIJS9_S6_EEENSD_IJSA_SA_EEENS0_18inequality_wrapperIZN2at6native12_GLOBAL__N_124unique_dim_cuda_templateIfEESt5tupleIJNSH_6TensorESM_SM_EERKSM_lbbbEUlllE0_EEPmJS6_EEE10hipError_tPvRmT3_T4_T5_T6_T7_T9_mT8_P12ihipStream_tbDpT10_ENKUlT_T0_E_clISt17integral_constantIbLb1EES1B_IbLb0EEEEDaS17_S18_EUlS17_E_NS1_11comp_targetILNS1_3genE5ELNS1_11target_archE942ELNS1_3gpuE9ELNS1_3repE0EEENS1_30default_config_static_selectorELNS0_4arch9wavefront6targetE1EEEvT1_.uses_flat_scratch, 0
	.set _ZN7rocprim17ROCPRIM_400000_NS6detail17trampoline_kernelINS0_14default_configENS1_25partition_config_selectorILNS1_17partition_subalgoE8ElNS0_10empty_typeEbEEZZNS1_14partition_implILS5_8ELb0ES3_jPlPS6_PKS6_NS0_5tupleIJS9_S6_EEENSD_IJSA_SA_EEENS0_18inequality_wrapperIZN2at6native12_GLOBAL__N_124unique_dim_cuda_templateIfEESt5tupleIJNSH_6TensorESM_SM_EERKSM_lbbbEUlllE0_EEPmJS6_EEE10hipError_tPvRmT3_T4_T5_T6_T7_T9_mT8_P12ihipStream_tbDpT10_ENKUlT_T0_E_clISt17integral_constantIbLb1EES1B_IbLb0EEEEDaS17_S18_EUlS17_E_NS1_11comp_targetILNS1_3genE5ELNS1_11target_archE942ELNS1_3gpuE9ELNS1_3repE0EEENS1_30default_config_static_selectorELNS0_4arch9wavefront6targetE1EEEvT1_.has_dyn_sized_stack, 0
	.set _ZN7rocprim17ROCPRIM_400000_NS6detail17trampoline_kernelINS0_14default_configENS1_25partition_config_selectorILNS1_17partition_subalgoE8ElNS0_10empty_typeEbEEZZNS1_14partition_implILS5_8ELb0ES3_jPlPS6_PKS6_NS0_5tupleIJS9_S6_EEENSD_IJSA_SA_EEENS0_18inequality_wrapperIZN2at6native12_GLOBAL__N_124unique_dim_cuda_templateIfEESt5tupleIJNSH_6TensorESM_SM_EERKSM_lbbbEUlllE0_EEPmJS6_EEE10hipError_tPvRmT3_T4_T5_T6_T7_T9_mT8_P12ihipStream_tbDpT10_ENKUlT_T0_E_clISt17integral_constantIbLb1EES1B_IbLb0EEEEDaS17_S18_EUlS17_E_NS1_11comp_targetILNS1_3genE5ELNS1_11target_archE942ELNS1_3gpuE9ELNS1_3repE0EEENS1_30default_config_static_selectorELNS0_4arch9wavefront6targetE1EEEvT1_.has_recursion, 0
	.set _ZN7rocprim17ROCPRIM_400000_NS6detail17trampoline_kernelINS0_14default_configENS1_25partition_config_selectorILNS1_17partition_subalgoE8ElNS0_10empty_typeEbEEZZNS1_14partition_implILS5_8ELb0ES3_jPlPS6_PKS6_NS0_5tupleIJS9_S6_EEENSD_IJSA_SA_EEENS0_18inequality_wrapperIZN2at6native12_GLOBAL__N_124unique_dim_cuda_templateIfEESt5tupleIJNSH_6TensorESM_SM_EERKSM_lbbbEUlllE0_EEPmJS6_EEE10hipError_tPvRmT3_T4_T5_T6_T7_T9_mT8_P12ihipStream_tbDpT10_ENKUlT_T0_E_clISt17integral_constantIbLb1EES1B_IbLb0EEEEDaS17_S18_EUlS17_E_NS1_11comp_targetILNS1_3genE5ELNS1_11target_archE942ELNS1_3gpuE9ELNS1_3repE0EEENS1_30default_config_static_selectorELNS0_4arch9wavefront6targetE1EEEvT1_.has_indirect_call, 0
	.section	.AMDGPU.csdata,"",@progbits
; Kernel info:
; codeLenInByte = 0
; TotalNumSgprs: 6
; NumVgprs: 0
; NumAgprs: 0
; TotalNumVgprs: 0
; ScratchSize: 0
; MemoryBound: 0
; FloatMode: 240
; IeeeMode: 1
; LDSByteSize: 0 bytes/workgroup (compile time only)
; SGPRBlocks: 0
; VGPRBlocks: 0
; NumSGPRsForWavesPerEU: 6
; NumVGPRsForWavesPerEU: 1
; AccumOffset: 4
; Occupancy: 8
; WaveLimiterHint : 0
; COMPUTE_PGM_RSRC2:SCRATCH_EN: 0
; COMPUTE_PGM_RSRC2:USER_SGPR: 2
; COMPUTE_PGM_RSRC2:TRAP_HANDLER: 0
; COMPUTE_PGM_RSRC2:TGID_X_EN: 1
; COMPUTE_PGM_RSRC2:TGID_Y_EN: 0
; COMPUTE_PGM_RSRC2:TGID_Z_EN: 0
; COMPUTE_PGM_RSRC2:TIDIG_COMP_CNT: 0
; COMPUTE_PGM_RSRC3_GFX90A:ACCUM_OFFSET: 0
; COMPUTE_PGM_RSRC3_GFX90A:TG_SPLIT: 0
	.section	.text._ZN7rocprim17ROCPRIM_400000_NS6detail17trampoline_kernelINS0_14default_configENS1_25partition_config_selectorILNS1_17partition_subalgoE8ElNS0_10empty_typeEbEEZZNS1_14partition_implILS5_8ELb0ES3_jPlPS6_PKS6_NS0_5tupleIJS9_S6_EEENSD_IJSA_SA_EEENS0_18inequality_wrapperIZN2at6native12_GLOBAL__N_124unique_dim_cuda_templateIfEESt5tupleIJNSH_6TensorESM_SM_EERKSM_lbbbEUlllE0_EEPmJS6_EEE10hipError_tPvRmT3_T4_T5_T6_T7_T9_mT8_P12ihipStream_tbDpT10_ENKUlT_T0_E_clISt17integral_constantIbLb1EES1B_IbLb0EEEEDaS17_S18_EUlS17_E_NS1_11comp_targetILNS1_3genE4ELNS1_11target_archE910ELNS1_3gpuE8ELNS1_3repE0EEENS1_30default_config_static_selectorELNS0_4arch9wavefront6targetE1EEEvT1_,"axG",@progbits,_ZN7rocprim17ROCPRIM_400000_NS6detail17trampoline_kernelINS0_14default_configENS1_25partition_config_selectorILNS1_17partition_subalgoE8ElNS0_10empty_typeEbEEZZNS1_14partition_implILS5_8ELb0ES3_jPlPS6_PKS6_NS0_5tupleIJS9_S6_EEENSD_IJSA_SA_EEENS0_18inequality_wrapperIZN2at6native12_GLOBAL__N_124unique_dim_cuda_templateIfEESt5tupleIJNSH_6TensorESM_SM_EERKSM_lbbbEUlllE0_EEPmJS6_EEE10hipError_tPvRmT3_T4_T5_T6_T7_T9_mT8_P12ihipStream_tbDpT10_ENKUlT_T0_E_clISt17integral_constantIbLb1EES1B_IbLb0EEEEDaS17_S18_EUlS17_E_NS1_11comp_targetILNS1_3genE4ELNS1_11target_archE910ELNS1_3gpuE8ELNS1_3repE0EEENS1_30default_config_static_selectorELNS0_4arch9wavefront6targetE1EEEvT1_,comdat
	.globl	_ZN7rocprim17ROCPRIM_400000_NS6detail17trampoline_kernelINS0_14default_configENS1_25partition_config_selectorILNS1_17partition_subalgoE8ElNS0_10empty_typeEbEEZZNS1_14partition_implILS5_8ELb0ES3_jPlPS6_PKS6_NS0_5tupleIJS9_S6_EEENSD_IJSA_SA_EEENS0_18inequality_wrapperIZN2at6native12_GLOBAL__N_124unique_dim_cuda_templateIfEESt5tupleIJNSH_6TensorESM_SM_EERKSM_lbbbEUlllE0_EEPmJS6_EEE10hipError_tPvRmT3_T4_T5_T6_T7_T9_mT8_P12ihipStream_tbDpT10_ENKUlT_T0_E_clISt17integral_constantIbLb1EES1B_IbLb0EEEEDaS17_S18_EUlS17_E_NS1_11comp_targetILNS1_3genE4ELNS1_11target_archE910ELNS1_3gpuE8ELNS1_3repE0EEENS1_30default_config_static_selectorELNS0_4arch9wavefront6targetE1EEEvT1_ ; -- Begin function _ZN7rocprim17ROCPRIM_400000_NS6detail17trampoline_kernelINS0_14default_configENS1_25partition_config_selectorILNS1_17partition_subalgoE8ElNS0_10empty_typeEbEEZZNS1_14partition_implILS5_8ELb0ES3_jPlPS6_PKS6_NS0_5tupleIJS9_S6_EEENSD_IJSA_SA_EEENS0_18inequality_wrapperIZN2at6native12_GLOBAL__N_124unique_dim_cuda_templateIfEESt5tupleIJNSH_6TensorESM_SM_EERKSM_lbbbEUlllE0_EEPmJS6_EEE10hipError_tPvRmT3_T4_T5_T6_T7_T9_mT8_P12ihipStream_tbDpT10_ENKUlT_T0_E_clISt17integral_constantIbLb1EES1B_IbLb0EEEEDaS17_S18_EUlS17_E_NS1_11comp_targetILNS1_3genE4ELNS1_11target_archE910ELNS1_3gpuE8ELNS1_3repE0EEENS1_30default_config_static_selectorELNS0_4arch9wavefront6targetE1EEEvT1_
	.p2align	8
	.type	_ZN7rocprim17ROCPRIM_400000_NS6detail17trampoline_kernelINS0_14default_configENS1_25partition_config_selectorILNS1_17partition_subalgoE8ElNS0_10empty_typeEbEEZZNS1_14partition_implILS5_8ELb0ES3_jPlPS6_PKS6_NS0_5tupleIJS9_S6_EEENSD_IJSA_SA_EEENS0_18inequality_wrapperIZN2at6native12_GLOBAL__N_124unique_dim_cuda_templateIfEESt5tupleIJNSH_6TensorESM_SM_EERKSM_lbbbEUlllE0_EEPmJS6_EEE10hipError_tPvRmT3_T4_T5_T6_T7_T9_mT8_P12ihipStream_tbDpT10_ENKUlT_T0_E_clISt17integral_constantIbLb1EES1B_IbLb0EEEEDaS17_S18_EUlS17_E_NS1_11comp_targetILNS1_3genE4ELNS1_11target_archE910ELNS1_3gpuE8ELNS1_3repE0EEENS1_30default_config_static_selectorELNS0_4arch9wavefront6targetE1EEEvT1_,@function
_ZN7rocprim17ROCPRIM_400000_NS6detail17trampoline_kernelINS0_14default_configENS1_25partition_config_selectorILNS1_17partition_subalgoE8ElNS0_10empty_typeEbEEZZNS1_14partition_implILS5_8ELb0ES3_jPlPS6_PKS6_NS0_5tupleIJS9_S6_EEENSD_IJSA_SA_EEENS0_18inequality_wrapperIZN2at6native12_GLOBAL__N_124unique_dim_cuda_templateIfEESt5tupleIJNSH_6TensorESM_SM_EERKSM_lbbbEUlllE0_EEPmJS6_EEE10hipError_tPvRmT3_T4_T5_T6_T7_T9_mT8_P12ihipStream_tbDpT10_ENKUlT_T0_E_clISt17integral_constantIbLb1EES1B_IbLb0EEEEDaS17_S18_EUlS17_E_NS1_11comp_targetILNS1_3genE4ELNS1_11target_archE910ELNS1_3gpuE8ELNS1_3repE0EEENS1_30default_config_static_selectorELNS0_4arch9wavefront6targetE1EEEvT1_: ; @_ZN7rocprim17ROCPRIM_400000_NS6detail17trampoline_kernelINS0_14default_configENS1_25partition_config_selectorILNS1_17partition_subalgoE8ElNS0_10empty_typeEbEEZZNS1_14partition_implILS5_8ELb0ES3_jPlPS6_PKS6_NS0_5tupleIJS9_S6_EEENSD_IJSA_SA_EEENS0_18inequality_wrapperIZN2at6native12_GLOBAL__N_124unique_dim_cuda_templateIfEESt5tupleIJNSH_6TensorESM_SM_EERKSM_lbbbEUlllE0_EEPmJS6_EEE10hipError_tPvRmT3_T4_T5_T6_T7_T9_mT8_P12ihipStream_tbDpT10_ENKUlT_T0_E_clISt17integral_constantIbLb1EES1B_IbLb0EEEEDaS17_S18_EUlS17_E_NS1_11comp_targetILNS1_3genE4ELNS1_11target_archE910ELNS1_3gpuE8ELNS1_3repE0EEENS1_30default_config_static_selectorELNS0_4arch9wavefront6targetE1EEEvT1_
; %bb.0:
	.section	.rodata,"a",@progbits
	.p2align	6, 0x0
	.amdhsa_kernel _ZN7rocprim17ROCPRIM_400000_NS6detail17trampoline_kernelINS0_14default_configENS1_25partition_config_selectorILNS1_17partition_subalgoE8ElNS0_10empty_typeEbEEZZNS1_14partition_implILS5_8ELb0ES3_jPlPS6_PKS6_NS0_5tupleIJS9_S6_EEENSD_IJSA_SA_EEENS0_18inequality_wrapperIZN2at6native12_GLOBAL__N_124unique_dim_cuda_templateIfEESt5tupleIJNSH_6TensorESM_SM_EERKSM_lbbbEUlllE0_EEPmJS6_EEE10hipError_tPvRmT3_T4_T5_T6_T7_T9_mT8_P12ihipStream_tbDpT10_ENKUlT_T0_E_clISt17integral_constantIbLb1EES1B_IbLb0EEEEDaS17_S18_EUlS17_E_NS1_11comp_targetILNS1_3genE4ELNS1_11target_archE910ELNS1_3gpuE8ELNS1_3repE0EEENS1_30default_config_static_selectorELNS0_4arch9wavefront6targetE1EEEvT1_
		.amdhsa_group_segment_fixed_size 0
		.amdhsa_private_segment_fixed_size 0
		.amdhsa_kernarg_size 120
		.amdhsa_user_sgpr_count 2
		.amdhsa_user_sgpr_dispatch_ptr 0
		.amdhsa_user_sgpr_queue_ptr 0
		.amdhsa_user_sgpr_kernarg_segment_ptr 1
		.amdhsa_user_sgpr_dispatch_id 0
		.amdhsa_user_sgpr_kernarg_preload_length 0
		.amdhsa_user_sgpr_kernarg_preload_offset 0
		.amdhsa_user_sgpr_private_segment_size 0
		.amdhsa_uses_dynamic_stack 0
		.amdhsa_enable_private_segment 0
		.amdhsa_system_sgpr_workgroup_id_x 1
		.amdhsa_system_sgpr_workgroup_id_y 0
		.amdhsa_system_sgpr_workgroup_id_z 0
		.amdhsa_system_sgpr_workgroup_info 0
		.amdhsa_system_vgpr_workitem_id 0
		.amdhsa_next_free_vgpr 1
		.amdhsa_next_free_sgpr 0
		.amdhsa_accum_offset 4
		.amdhsa_reserve_vcc 0
		.amdhsa_float_round_mode_32 0
		.amdhsa_float_round_mode_16_64 0
		.amdhsa_float_denorm_mode_32 3
		.amdhsa_float_denorm_mode_16_64 3
		.amdhsa_dx10_clamp 1
		.amdhsa_ieee_mode 1
		.amdhsa_fp16_overflow 0
		.amdhsa_tg_split 0
		.amdhsa_exception_fp_ieee_invalid_op 0
		.amdhsa_exception_fp_denorm_src 0
		.amdhsa_exception_fp_ieee_div_zero 0
		.amdhsa_exception_fp_ieee_overflow 0
		.amdhsa_exception_fp_ieee_underflow 0
		.amdhsa_exception_fp_ieee_inexact 0
		.amdhsa_exception_int_div_zero 0
	.end_amdhsa_kernel
	.section	.text._ZN7rocprim17ROCPRIM_400000_NS6detail17trampoline_kernelINS0_14default_configENS1_25partition_config_selectorILNS1_17partition_subalgoE8ElNS0_10empty_typeEbEEZZNS1_14partition_implILS5_8ELb0ES3_jPlPS6_PKS6_NS0_5tupleIJS9_S6_EEENSD_IJSA_SA_EEENS0_18inequality_wrapperIZN2at6native12_GLOBAL__N_124unique_dim_cuda_templateIfEESt5tupleIJNSH_6TensorESM_SM_EERKSM_lbbbEUlllE0_EEPmJS6_EEE10hipError_tPvRmT3_T4_T5_T6_T7_T9_mT8_P12ihipStream_tbDpT10_ENKUlT_T0_E_clISt17integral_constantIbLb1EES1B_IbLb0EEEEDaS17_S18_EUlS17_E_NS1_11comp_targetILNS1_3genE4ELNS1_11target_archE910ELNS1_3gpuE8ELNS1_3repE0EEENS1_30default_config_static_selectorELNS0_4arch9wavefront6targetE1EEEvT1_,"axG",@progbits,_ZN7rocprim17ROCPRIM_400000_NS6detail17trampoline_kernelINS0_14default_configENS1_25partition_config_selectorILNS1_17partition_subalgoE8ElNS0_10empty_typeEbEEZZNS1_14partition_implILS5_8ELb0ES3_jPlPS6_PKS6_NS0_5tupleIJS9_S6_EEENSD_IJSA_SA_EEENS0_18inequality_wrapperIZN2at6native12_GLOBAL__N_124unique_dim_cuda_templateIfEESt5tupleIJNSH_6TensorESM_SM_EERKSM_lbbbEUlllE0_EEPmJS6_EEE10hipError_tPvRmT3_T4_T5_T6_T7_T9_mT8_P12ihipStream_tbDpT10_ENKUlT_T0_E_clISt17integral_constantIbLb1EES1B_IbLb0EEEEDaS17_S18_EUlS17_E_NS1_11comp_targetILNS1_3genE4ELNS1_11target_archE910ELNS1_3gpuE8ELNS1_3repE0EEENS1_30default_config_static_selectorELNS0_4arch9wavefront6targetE1EEEvT1_,comdat
.Lfunc_end947:
	.size	_ZN7rocprim17ROCPRIM_400000_NS6detail17trampoline_kernelINS0_14default_configENS1_25partition_config_selectorILNS1_17partition_subalgoE8ElNS0_10empty_typeEbEEZZNS1_14partition_implILS5_8ELb0ES3_jPlPS6_PKS6_NS0_5tupleIJS9_S6_EEENSD_IJSA_SA_EEENS0_18inequality_wrapperIZN2at6native12_GLOBAL__N_124unique_dim_cuda_templateIfEESt5tupleIJNSH_6TensorESM_SM_EERKSM_lbbbEUlllE0_EEPmJS6_EEE10hipError_tPvRmT3_T4_T5_T6_T7_T9_mT8_P12ihipStream_tbDpT10_ENKUlT_T0_E_clISt17integral_constantIbLb1EES1B_IbLb0EEEEDaS17_S18_EUlS17_E_NS1_11comp_targetILNS1_3genE4ELNS1_11target_archE910ELNS1_3gpuE8ELNS1_3repE0EEENS1_30default_config_static_selectorELNS0_4arch9wavefront6targetE1EEEvT1_, .Lfunc_end947-_ZN7rocprim17ROCPRIM_400000_NS6detail17trampoline_kernelINS0_14default_configENS1_25partition_config_selectorILNS1_17partition_subalgoE8ElNS0_10empty_typeEbEEZZNS1_14partition_implILS5_8ELb0ES3_jPlPS6_PKS6_NS0_5tupleIJS9_S6_EEENSD_IJSA_SA_EEENS0_18inequality_wrapperIZN2at6native12_GLOBAL__N_124unique_dim_cuda_templateIfEESt5tupleIJNSH_6TensorESM_SM_EERKSM_lbbbEUlllE0_EEPmJS6_EEE10hipError_tPvRmT3_T4_T5_T6_T7_T9_mT8_P12ihipStream_tbDpT10_ENKUlT_T0_E_clISt17integral_constantIbLb1EES1B_IbLb0EEEEDaS17_S18_EUlS17_E_NS1_11comp_targetILNS1_3genE4ELNS1_11target_archE910ELNS1_3gpuE8ELNS1_3repE0EEENS1_30default_config_static_selectorELNS0_4arch9wavefront6targetE1EEEvT1_
                                        ; -- End function
	.set _ZN7rocprim17ROCPRIM_400000_NS6detail17trampoline_kernelINS0_14default_configENS1_25partition_config_selectorILNS1_17partition_subalgoE8ElNS0_10empty_typeEbEEZZNS1_14partition_implILS5_8ELb0ES3_jPlPS6_PKS6_NS0_5tupleIJS9_S6_EEENSD_IJSA_SA_EEENS0_18inequality_wrapperIZN2at6native12_GLOBAL__N_124unique_dim_cuda_templateIfEESt5tupleIJNSH_6TensorESM_SM_EERKSM_lbbbEUlllE0_EEPmJS6_EEE10hipError_tPvRmT3_T4_T5_T6_T7_T9_mT8_P12ihipStream_tbDpT10_ENKUlT_T0_E_clISt17integral_constantIbLb1EES1B_IbLb0EEEEDaS17_S18_EUlS17_E_NS1_11comp_targetILNS1_3genE4ELNS1_11target_archE910ELNS1_3gpuE8ELNS1_3repE0EEENS1_30default_config_static_selectorELNS0_4arch9wavefront6targetE1EEEvT1_.num_vgpr, 0
	.set _ZN7rocprim17ROCPRIM_400000_NS6detail17trampoline_kernelINS0_14default_configENS1_25partition_config_selectorILNS1_17partition_subalgoE8ElNS0_10empty_typeEbEEZZNS1_14partition_implILS5_8ELb0ES3_jPlPS6_PKS6_NS0_5tupleIJS9_S6_EEENSD_IJSA_SA_EEENS0_18inequality_wrapperIZN2at6native12_GLOBAL__N_124unique_dim_cuda_templateIfEESt5tupleIJNSH_6TensorESM_SM_EERKSM_lbbbEUlllE0_EEPmJS6_EEE10hipError_tPvRmT3_T4_T5_T6_T7_T9_mT8_P12ihipStream_tbDpT10_ENKUlT_T0_E_clISt17integral_constantIbLb1EES1B_IbLb0EEEEDaS17_S18_EUlS17_E_NS1_11comp_targetILNS1_3genE4ELNS1_11target_archE910ELNS1_3gpuE8ELNS1_3repE0EEENS1_30default_config_static_selectorELNS0_4arch9wavefront6targetE1EEEvT1_.num_agpr, 0
	.set _ZN7rocprim17ROCPRIM_400000_NS6detail17trampoline_kernelINS0_14default_configENS1_25partition_config_selectorILNS1_17partition_subalgoE8ElNS0_10empty_typeEbEEZZNS1_14partition_implILS5_8ELb0ES3_jPlPS6_PKS6_NS0_5tupleIJS9_S6_EEENSD_IJSA_SA_EEENS0_18inequality_wrapperIZN2at6native12_GLOBAL__N_124unique_dim_cuda_templateIfEESt5tupleIJNSH_6TensorESM_SM_EERKSM_lbbbEUlllE0_EEPmJS6_EEE10hipError_tPvRmT3_T4_T5_T6_T7_T9_mT8_P12ihipStream_tbDpT10_ENKUlT_T0_E_clISt17integral_constantIbLb1EES1B_IbLb0EEEEDaS17_S18_EUlS17_E_NS1_11comp_targetILNS1_3genE4ELNS1_11target_archE910ELNS1_3gpuE8ELNS1_3repE0EEENS1_30default_config_static_selectorELNS0_4arch9wavefront6targetE1EEEvT1_.numbered_sgpr, 0
	.set _ZN7rocprim17ROCPRIM_400000_NS6detail17trampoline_kernelINS0_14default_configENS1_25partition_config_selectorILNS1_17partition_subalgoE8ElNS0_10empty_typeEbEEZZNS1_14partition_implILS5_8ELb0ES3_jPlPS6_PKS6_NS0_5tupleIJS9_S6_EEENSD_IJSA_SA_EEENS0_18inequality_wrapperIZN2at6native12_GLOBAL__N_124unique_dim_cuda_templateIfEESt5tupleIJNSH_6TensorESM_SM_EERKSM_lbbbEUlllE0_EEPmJS6_EEE10hipError_tPvRmT3_T4_T5_T6_T7_T9_mT8_P12ihipStream_tbDpT10_ENKUlT_T0_E_clISt17integral_constantIbLb1EES1B_IbLb0EEEEDaS17_S18_EUlS17_E_NS1_11comp_targetILNS1_3genE4ELNS1_11target_archE910ELNS1_3gpuE8ELNS1_3repE0EEENS1_30default_config_static_selectorELNS0_4arch9wavefront6targetE1EEEvT1_.num_named_barrier, 0
	.set _ZN7rocprim17ROCPRIM_400000_NS6detail17trampoline_kernelINS0_14default_configENS1_25partition_config_selectorILNS1_17partition_subalgoE8ElNS0_10empty_typeEbEEZZNS1_14partition_implILS5_8ELb0ES3_jPlPS6_PKS6_NS0_5tupleIJS9_S6_EEENSD_IJSA_SA_EEENS0_18inequality_wrapperIZN2at6native12_GLOBAL__N_124unique_dim_cuda_templateIfEESt5tupleIJNSH_6TensorESM_SM_EERKSM_lbbbEUlllE0_EEPmJS6_EEE10hipError_tPvRmT3_T4_T5_T6_T7_T9_mT8_P12ihipStream_tbDpT10_ENKUlT_T0_E_clISt17integral_constantIbLb1EES1B_IbLb0EEEEDaS17_S18_EUlS17_E_NS1_11comp_targetILNS1_3genE4ELNS1_11target_archE910ELNS1_3gpuE8ELNS1_3repE0EEENS1_30default_config_static_selectorELNS0_4arch9wavefront6targetE1EEEvT1_.private_seg_size, 0
	.set _ZN7rocprim17ROCPRIM_400000_NS6detail17trampoline_kernelINS0_14default_configENS1_25partition_config_selectorILNS1_17partition_subalgoE8ElNS0_10empty_typeEbEEZZNS1_14partition_implILS5_8ELb0ES3_jPlPS6_PKS6_NS0_5tupleIJS9_S6_EEENSD_IJSA_SA_EEENS0_18inequality_wrapperIZN2at6native12_GLOBAL__N_124unique_dim_cuda_templateIfEESt5tupleIJNSH_6TensorESM_SM_EERKSM_lbbbEUlllE0_EEPmJS6_EEE10hipError_tPvRmT3_T4_T5_T6_T7_T9_mT8_P12ihipStream_tbDpT10_ENKUlT_T0_E_clISt17integral_constantIbLb1EES1B_IbLb0EEEEDaS17_S18_EUlS17_E_NS1_11comp_targetILNS1_3genE4ELNS1_11target_archE910ELNS1_3gpuE8ELNS1_3repE0EEENS1_30default_config_static_selectorELNS0_4arch9wavefront6targetE1EEEvT1_.uses_vcc, 0
	.set _ZN7rocprim17ROCPRIM_400000_NS6detail17trampoline_kernelINS0_14default_configENS1_25partition_config_selectorILNS1_17partition_subalgoE8ElNS0_10empty_typeEbEEZZNS1_14partition_implILS5_8ELb0ES3_jPlPS6_PKS6_NS0_5tupleIJS9_S6_EEENSD_IJSA_SA_EEENS0_18inequality_wrapperIZN2at6native12_GLOBAL__N_124unique_dim_cuda_templateIfEESt5tupleIJNSH_6TensorESM_SM_EERKSM_lbbbEUlllE0_EEPmJS6_EEE10hipError_tPvRmT3_T4_T5_T6_T7_T9_mT8_P12ihipStream_tbDpT10_ENKUlT_T0_E_clISt17integral_constantIbLb1EES1B_IbLb0EEEEDaS17_S18_EUlS17_E_NS1_11comp_targetILNS1_3genE4ELNS1_11target_archE910ELNS1_3gpuE8ELNS1_3repE0EEENS1_30default_config_static_selectorELNS0_4arch9wavefront6targetE1EEEvT1_.uses_flat_scratch, 0
	.set _ZN7rocprim17ROCPRIM_400000_NS6detail17trampoline_kernelINS0_14default_configENS1_25partition_config_selectorILNS1_17partition_subalgoE8ElNS0_10empty_typeEbEEZZNS1_14partition_implILS5_8ELb0ES3_jPlPS6_PKS6_NS0_5tupleIJS9_S6_EEENSD_IJSA_SA_EEENS0_18inequality_wrapperIZN2at6native12_GLOBAL__N_124unique_dim_cuda_templateIfEESt5tupleIJNSH_6TensorESM_SM_EERKSM_lbbbEUlllE0_EEPmJS6_EEE10hipError_tPvRmT3_T4_T5_T6_T7_T9_mT8_P12ihipStream_tbDpT10_ENKUlT_T0_E_clISt17integral_constantIbLb1EES1B_IbLb0EEEEDaS17_S18_EUlS17_E_NS1_11comp_targetILNS1_3genE4ELNS1_11target_archE910ELNS1_3gpuE8ELNS1_3repE0EEENS1_30default_config_static_selectorELNS0_4arch9wavefront6targetE1EEEvT1_.has_dyn_sized_stack, 0
	.set _ZN7rocprim17ROCPRIM_400000_NS6detail17trampoline_kernelINS0_14default_configENS1_25partition_config_selectorILNS1_17partition_subalgoE8ElNS0_10empty_typeEbEEZZNS1_14partition_implILS5_8ELb0ES3_jPlPS6_PKS6_NS0_5tupleIJS9_S6_EEENSD_IJSA_SA_EEENS0_18inequality_wrapperIZN2at6native12_GLOBAL__N_124unique_dim_cuda_templateIfEESt5tupleIJNSH_6TensorESM_SM_EERKSM_lbbbEUlllE0_EEPmJS6_EEE10hipError_tPvRmT3_T4_T5_T6_T7_T9_mT8_P12ihipStream_tbDpT10_ENKUlT_T0_E_clISt17integral_constantIbLb1EES1B_IbLb0EEEEDaS17_S18_EUlS17_E_NS1_11comp_targetILNS1_3genE4ELNS1_11target_archE910ELNS1_3gpuE8ELNS1_3repE0EEENS1_30default_config_static_selectorELNS0_4arch9wavefront6targetE1EEEvT1_.has_recursion, 0
	.set _ZN7rocprim17ROCPRIM_400000_NS6detail17trampoline_kernelINS0_14default_configENS1_25partition_config_selectorILNS1_17partition_subalgoE8ElNS0_10empty_typeEbEEZZNS1_14partition_implILS5_8ELb0ES3_jPlPS6_PKS6_NS0_5tupleIJS9_S6_EEENSD_IJSA_SA_EEENS0_18inequality_wrapperIZN2at6native12_GLOBAL__N_124unique_dim_cuda_templateIfEESt5tupleIJNSH_6TensorESM_SM_EERKSM_lbbbEUlllE0_EEPmJS6_EEE10hipError_tPvRmT3_T4_T5_T6_T7_T9_mT8_P12ihipStream_tbDpT10_ENKUlT_T0_E_clISt17integral_constantIbLb1EES1B_IbLb0EEEEDaS17_S18_EUlS17_E_NS1_11comp_targetILNS1_3genE4ELNS1_11target_archE910ELNS1_3gpuE8ELNS1_3repE0EEENS1_30default_config_static_selectorELNS0_4arch9wavefront6targetE1EEEvT1_.has_indirect_call, 0
	.section	.AMDGPU.csdata,"",@progbits
; Kernel info:
; codeLenInByte = 0
; TotalNumSgprs: 6
; NumVgprs: 0
; NumAgprs: 0
; TotalNumVgprs: 0
; ScratchSize: 0
; MemoryBound: 0
; FloatMode: 240
; IeeeMode: 1
; LDSByteSize: 0 bytes/workgroup (compile time only)
; SGPRBlocks: 0
; VGPRBlocks: 0
; NumSGPRsForWavesPerEU: 6
; NumVGPRsForWavesPerEU: 1
; AccumOffset: 4
; Occupancy: 8
; WaveLimiterHint : 0
; COMPUTE_PGM_RSRC2:SCRATCH_EN: 0
; COMPUTE_PGM_RSRC2:USER_SGPR: 2
; COMPUTE_PGM_RSRC2:TRAP_HANDLER: 0
; COMPUTE_PGM_RSRC2:TGID_X_EN: 1
; COMPUTE_PGM_RSRC2:TGID_Y_EN: 0
; COMPUTE_PGM_RSRC2:TGID_Z_EN: 0
; COMPUTE_PGM_RSRC2:TIDIG_COMP_CNT: 0
; COMPUTE_PGM_RSRC3_GFX90A:ACCUM_OFFSET: 0
; COMPUTE_PGM_RSRC3_GFX90A:TG_SPLIT: 0
	.section	.text._ZN7rocprim17ROCPRIM_400000_NS6detail17trampoline_kernelINS0_14default_configENS1_25partition_config_selectorILNS1_17partition_subalgoE8ElNS0_10empty_typeEbEEZZNS1_14partition_implILS5_8ELb0ES3_jPlPS6_PKS6_NS0_5tupleIJS9_S6_EEENSD_IJSA_SA_EEENS0_18inequality_wrapperIZN2at6native12_GLOBAL__N_124unique_dim_cuda_templateIfEESt5tupleIJNSH_6TensorESM_SM_EERKSM_lbbbEUlllE0_EEPmJS6_EEE10hipError_tPvRmT3_T4_T5_T6_T7_T9_mT8_P12ihipStream_tbDpT10_ENKUlT_T0_E_clISt17integral_constantIbLb1EES1B_IbLb0EEEEDaS17_S18_EUlS17_E_NS1_11comp_targetILNS1_3genE3ELNS1_11target_archE908ELNS1_3gpuE7ELNS1_3repE0EEENS1_30default_config_static_selectorELNS0_4arch9wavefront6targetE1EEEvT1_,"axG",@progbits,_ZN7rocprim17ROCPRIM_400000_NS6detail17trampoline_kernelINS0_14default_configENS1_25partition_config_selectorILNS1_17partition_subalgoE8ElNS0_10empty_typeEbEEZZNS1_14partition_implILS5_8ELb0ES3_jPlPS6_PKS6_NS0_5tupleIJS9_S6_EEENSD_IJSA_SA_EEENS0_18inequality_wrapperIZN2at6native12_GLOBAL__N_124unique_dim_cuda_templateIfEESt5tupleIJNSH_6TensorESM_SM_EERKSM_lbbbEUlllE0_EEPmJS6_EEE10hipError_tPvRmT3_T4_T5_T6_T7_T9_mT8_P12ihipStream_tbDpT10_ENKUlT_T0_E_clISt17integral_constantIbLb1EES1B_IbLb0EEEEDaS17_S18_EUlS17_E_NS1_11comp_targetILNS1_3genE3ELNS1_11target_archE908ELNS1_3gpuE7ELNS1_3repE0EEENS1_30default_config_static_selectorELNS0_4arch9wavefront6targetE1EEEvT1_,comdat
	.globl	_ZN7rocprim17ROCPRIM_400000_NS6detail17trampoline_kernelINS0_14default_configENS1_25partition_config_selectorILNS1_17partition_subalgoE8ElNS0_10empty_typeEbEEZZNS1_14partition_implILS5_8ELb0ES3_jPlPS6_PKS6_NS0_5tupleIJS9_S6_EEENSD_IJSA_SA_EEENS0_18inequality_wrapperIZN2at6native12_GLOBAL__N_124unique_dim_cuda_templateIfEESt5tupleIJNSH_6TensorESM_SM_EERKSM_lbbbEUlllE0_EEPmJS6_EEE10hipError_tPvRmT3_T4_T5_T6_T7_T9_mT8_P12ihipStream_tbDpT10_ENKUlT_T0_E_clISt17integral_constantIbLb1EES1B_IbLb0EEEEDaS17_S18_EUlS17_E_NS1_11comp_targetILNS1_3genE3ELNS1_11target_archE908ELNS1_3gpuE7ELNS1_3repE0EEENS1_30default_config_static_selectorELNS0_4arch9wavefront6targetE1EEEvT1_ ; -- Begin function _ZN7rocprim17ROCPRIM_400000_NS6detail17trampoline_kernelINS0_14default_configENS1_25partition_config_selectorILNS1_17partition_subalgoE8ElNS0_10empty_typeEbEEZZNS1_14partition_implILS5_8ELb0ES3_jPlPS6_PKS6_NS0_5tupleIJS9_S6_EEENSD_IJSA_SA_EEENS0_18inequality_wrapperIZN2at6native12_GLOBAL__N_124unique_dim_cuda_templateIfEESt5tupleIJNSH_6TensorESM_SM_EERKSM_lbbbEUlllE0_EEPmJS6_EEE10hipError_tPvRmT3_T4_T5_T6_T7_T9_mT8_P12ihipStream_tbDpT10_ENKUlT_T0_E_clISt17integral_constantIbLb1EES1B_IbLb0EEEEDaS17_S18_EUlS17_E_NS1_11comp_targetILNS1_3genE3ELNS1_11target_archE908ELNS1_3gpuE7ELNS1_3repE0EEENS1_30default_config_static_selectorELNS0_4arch9wavefront6targetE1EEEvT1_
	.p2align	8
	.type	_ZN7rocprim17ROCPRIM_400000_NS6detail17trampoline_kernelINS0_14default_configENS1_25partition_config_selectorILNS1_17partition_subalgoE8ElNS0_10empty_typeEbEEZZNS1_14partition_implILS5_8ELb0ES3_jPlPS6_PKS6_NS0_5tupleIJS9_S6_EEENSD_IJSA_SA_EEENS0_18inequality_wrapperIZN2at6native12_GLOBAL__N_124unique_dim_cuda_templateIfEESt5tupleIJNSH_6TensorESM_SM_EERKSM_lbbbEUlllE0_EEPmJS6_EEE10hipError_tPvRmT3_T4_T5_T6_T7_T9_mT8_P12ihipStream_tbDpT10_ENKUlT_T0_E_clISt17integral_constantIbLb1EES1B_IbLb0EEEEDaS17_S18_EUlS17_E_NS1_11comp_targetILNS1_3genE3ELNS1_11target_archE908ELNS1_3gpuE7ELNS1_3repE0EEENS1_30default_config_static_selectorELNS0_4arch9wavefront6targetE1EEEvT1_,@function
_ZN7rocprim17ROCPRIM_400000_NS6detail17trampoline_kernelINS0_14default_configENS1_25partition_config_selectorILNS1_17partition_subalgoE8ElNS0_10empty_typeEbEEZZNS1_14partition_implILS5_8ELb0ES3_jPlPS6_PKS6_NS0_5tupleIJS9_S6_EEENSD_IJSA_SA_EEENS0_18inequality_wrapperIZN2at6native12_GLOBAL__N_124unique_dim_cuda_templateIfEESt5tupleIJNSH_6TensorESM_SM_EERKSM_lbbbEUlllE0_EEPmJS6_EEE10hipError_tPvRmT3_T4_T5_T6_T7_T9_mT8_P12ihipStream_tbDpT10_ENKUlT_T0_E_clISt17integral_constantIbLb1EES1B_IbLb0EEEEDaS17_S18_EUlS17_E_NS1_11comp_targetILNS1_3genE3ELNS1_11target_archE908ELNS1_3gpuE7ELNS1_3repE0EEENS1_30default_config_static_selectorELNS0_4arch9wavefront6targetE1EEEvT1_: ; @_ZN7rocprim17ROCPRIM_400000_NS6detail17trampoline_kernelINS0_14default_configENS1_25partition_config_selectorILNS1_17partition_subalgoE8ElNS0_10empty_typeEbEEZZNS1_14partition_implILS5_8ELb0ES3_jPlPS6_PKS6_NS0_5tupleIJS9_S6_EEENSD_IJSA_SA_EEENS0_18inequality_wrapperIZN2at6native12_GLOBAL__N_124unique_dim_cuda_templateIfEESt5tupleIJNSH_6TensorESM_SM_EERKSM_lbbbEUlllE0_EEPmJS6_EEE10hipError_tPvRmT3_T4_T5_T6_T7_T9_mT8_P12ihipStream_tbDpT10_ENKUlT_T0_E_clISt17integral_constantIbLb1EES1B_IbLb0EEEEDaS17_S18_EUlS17_E_NS1_11comp_targetILNS1_3genE3ELNS1_11target_archE908ELNS1_3gpuE7ELNS1_3repE0EEENS1_30default_config_static_selectorELNS0_4arch9wavefront6targetE1EEEvT1_
; %bb.0:
	.section	.rodata,"a",@progbits
	.p2align	6, 0x0
	.amdhsa_kernel _ZN7rocprim17ROCPRIM_400000_NS6detail17trampoline_kernelINS0_14default_configENS1_25partition_config_selectorILNS1_17partition_subalgoE8ElNS0_10empty_typeEbEEZZNS1_14partition_implILS5_8ELb0ES3_jPlPS6_PKS6_NS0_5tupleIJS9_S6_EEENSD_IJSA_SA_EEENS0_18inequality_wrapperIZN2at6native12_GLOBAL__N_124unique_dim_cuda_templateIfEESt5tupleIJNSH_6TensorESM_SM_EERKSM_lbbbEUlllE0_EEPmJS6_EEE10hipError_tPvRmT3_T4_T5_T6_T7_T9_mT8_P12ihipStream_tbDpT10_ENKUlT_T0_E_clISt17integral_constantIbLb1EES1B_IbLb0EEEEDaS17_S18_EUlS17_E_NS1_11comp_targetILNS1_3genE3ELNS1_11target_archE908ELNS1_3gpuE7ELNS1_3repE0EEENS1_30default_config_static_selectorELNS0_4arch9wavefront6targetE1EEEvT1_
		.amdhsa_group_segment_fixed_size 0
		.amdhsa_private_segment_fixed_size 0
		.amdhsa_kernarg_size 120
		.amdhsa_user_sgpr_count 2
		.amdhsa_user_sgpr_dispatch_ptr 0
		.amdhsa_user_sgpr_queue_ptr 0
		.amdhsa_user_sgpr_kernarg_segment_ptr 1
		.amdhsa_user_sgpr_dispatch_id 0
		.amdhsa_user_sgpr_kernarg_preload_length 0
		.amdhsa_user_sgpr_kernarg_preload_offset 0
		.amdhsa_user_sgpr_private_segment_size 0
		.amdhsa_uses_dynamic_stack 0
		.amdhsa_enable_private_segment 0
		.amdhsa_system_sgpr_workgroup_id_x 1
		.amdhsa_system_sgpr_workgroup_id_y 0
		.amdhsa_system_sgpr_workgroup_id_z 0
		.amdhsa_system_sgpr_workgroup_info 0
		.amdhsa_system_vgpr_workitem_id 0
		.amdhsa_next_free_vgpr 1
		.amdhsa_next_free_sgpr 0
		.amdhsa_accum_offset 4
		.amdhsa_reserve_vcc 0
		.amdhsa_float_round_mode_32 0
		.amdhsa_float_round_mode_16_64 0
		.amdhsa_float_denorm_mode_32 3
		.amdhsa_float_denorm_mode_16_64 3
		.amdhsa_dx10_clamp 1
		.amdhsa_ieee_mode 1
		.amdhsa_fp16_overflow 0
		.amdhsa_tg_split 0
		.amdhsa_exception_fp_ieee_invalid_op 0
		.amdhsa_exception_fp_denorm_src 0
		.amdhsa_exception_fp_ieee_div_zero 0
		.amdhsa_exception_fp_ieee_overflow 0
		.amdhsa_exception_fp_ieee_underflow 0
		.amdhsa_exception_fp_ieee_inexact 0
		.amdhsa_exception_int_div_zero 0
	.end_amdhsa_kernel
	.section	.text._ZN7rocprim17ROCPRIM_400000_NS6detail17trampoline_kernelINS0_14default_configENS1_25partition_config_selectorILNS1_17partition_subalgoE8ElNS0_10empty_typeEbEEZZNS1_14partition_implILS5_8ELb0ES3_jPlPS6_PKS6_NS0_5tupleIJS9_S6_EEENSD_IJSA_SA_EEENS0_18inequality_wrapperIZN2at6native12_GLOBAL__N_124unique_dim_cuda_templateIfEESt5tupleIJNSH_6TensorESM_SM_EERKSM_lbbbEUlllE0_EEPmJS6_EEE10hipError_tPvRmT3_T4_T5_T6_T7_T9_mT8_P12ihipStream_tbDpT10_ENKUlT_T0_E_clISt17integral_constantIbLb1EES1B_IbLb0EEEEDaS17_S18_EUlS17_E_NS1_11comp_targetILNS1_3genE3ELNS1_11target_archE908ELNS1_3gpuE7ELNS1_3repE0EEENS1_30default_config_static_selectorELNS0_4arch9wavefront6targetE1EEEvT1_,"axG",@progbits,_ZN7rocprim17ROCPRIM_400000_NS6detail17trampoline_kernelINS0_14default_configENS1_25partition_config_selectorILNS1_17partition_subalgoE8ElNS0_10empty_typeEbEEZZNS1_14partition_implILS5_8ELb0ES3_jPlPS6_PKS6_NS0_5tupleIJS9_S6_EEENSD_IJSA_SA_EEENS0_18inequality_wrapperIZN2at6native12_GLOBAL__N_124unique_dim_cuda_templateIfEESt5tupleIJNSH_6TensorESM_SM_EERKSM_lbbbEUlllE0_EEPmJS6_EEE10hipError_tPvRmT3_T4_T5_T6_T7_T9_mT8_P12ihipStream_tbDpT10_ENKUlT_T0_E_clISt17integral_constantIbLb1EES1B_IbLb0EEEEDaS17_S18_EUlS17_E_NS1_11comp_targetILNS1_3genE3ELNS1_11target_archE908ELNS1_3gpuE7ELNS1_3repE0EEENS1_30default_config_static_selectorELNS0_4arch9wavefront6targetE1EEEvT1_,comdat
.Lfunc_end948:
	.size	_ZN7rocprim17ROCPRIM_400000_NS6detail17trampoline_kernelINS0_14default_configENS1_25partition_config_selectorILNS1_17partition_subalgoE8ElNS0_10empty_typeEbEEZZNS1_14partition_implILS5_8ELb0ES3_jPlPS6_PKS6_NS0_5tupleIJS9_S6_EEENSD_IJSA_SA_EEENS0_18inequality_wrapperIZN2at6native12_GLOBAL__N_124unique_dim_cuda_templateIfEESt5tupleIJNSH_6TensorESM_SM_EERKSM_lbbbEUlllE0_EEPmJS6_EEE10hipError_tPvRmT3_T4_T5_T6_T7_T9_mT8_P12ihipStream_tbDpT10_ENKUlT_T0_E_clISt17integral_constantIbLb1EES1B_IbLb0EEEEDaS17_S18_EUlS17_E_NS1_11comp_targetILNS1_3genE3ELNS1_11target_archE908ELNS1_3gpuE7ELNS1_3repE0EEENS1_30default_config_static_selectorELNS0_4arch9wavefront6targetE1EEEvT1_, .Lfunc_end948-_ZN7rocprim17ROCPRIM_400000_NS6detail17trampoline_kernelINS0_14default_configENS1_25partition_config_selectorILNS1_17partition_subalgoE8ElNS0_10empty_typeEbEEZZNS1_14partition_implILS5_8ELb0ES3_jPlPS6_PKS6_NS0_5tupleIJS9_S6_EEENSD_IJSA_SA_EEENS0_18inequality_wrapperIZN2at6native12_GLOBAL__N_124unique_dim_cuda_templateIfEESt5tupleIJNSH_6TensorESM_SM_EERKSM_lbbbEUlllE0_EEPmJS6_EEE10hipError_tPvRmT3_T4_T5_T6_T7_T9_mT8_P12ihipStream_tbDpT10_ENKUlT_T0_E_clISt17integral_constantIbLb1EES1B_IbLb0EEEEDaS17_S18_EUlS17_E_NS1_11comp_targetILNS1_3genE3ELNS1_11target_archE908ELNS1_3gpuE7ELNS1_3repE0EEENS1_30default_config_static_selectorELNS0_4arch9wavefront6targetE1EEEvT1_
                                        ; -- End function
	.set _ZN7rocprim17ROCPRIM_400000_NS6detail17trampoline_kernelINS0_14default_configENS1_25partition_config_selectorILNS1_17partition_subalgoE8ElNS0_10empty_typeEbEEZZNS1_14partition_implILS5_8ELb0ES3_jPlPS6_PKS6_NS0_5tupleIJS9_S6_EEENSD_IJSA_SA_EEENS0_18inequality_wrapperIZN2at6native12_GLOBAL__N_124unique_dim_cuda_templateIfEESt5tupleIJNSH_6TensorESM_SM_EERKSM_lbbbEUlllE0_EEPmJS6_EEE10hipError_tPvRmT3_T4_T5_T6_T7_T9_mT8_P12ihipStream_tbDpT10_ENKUlT_T0_E_clISt17integral_constantIbLb1EES1B_IbLb0EEEEDaS17_S18_EUlS17_E_NS1_11comp_targetILNS1_3genE3ELNS1_11target_archE908ELNS1_3gpuE7ELNS1_3repE0EEENS1_30default_config_static_selectorELNS0_4arch9wavefront6targetE1EEEvT1_.num_vgpr, 0
	.set _ZN7rocprim17ROCPRIM_400000_NS6detail17trampoline_kernelINS0_14default_configENS1_25partition_config_selectorILNS1_17partition_subalgoE8ElNS0_10empty_typeEbEEZZNS1_14partition_implILS5_8ELb0ES3_jPlPS6_PKS6_NS0_5tupleIJS9_S6_EEENSD_IJSA_SA_EEENS0_18inequality_wrapperIZN2at6native12_GLOBAL__N_124unique_dim_cuda_templateIfEESt5tupleIJNSH_6TensorESM_SM_EERKSM_lbbbEUlllE0_EEPmJS6_EEE10hipError_tPvRmT3_T4_T5_T6_T7_T9_mT8_P12ihipStream_tbDpT10_ENKUlT_T0_E_clISt17integral_constantIbLb1EES1B_IbLb0EEEEDaS17_S18_EUlS17_E_NS1_11comp_targetILNS1_3genE3ELNS1_11target_archE908ELNS1_3gpuE7ELNS1_3repE0EEENS1_30default_config_static_selectorELNS0_4arch9wavefront6targetE1EEEvT1_.num_agpr, 0
	.set _ZN7rocprim17ROCPRIM_400000_NS6detail17trampoline_kernelINS0_14default_configENS1_25partition_config_selectorILNS1_17partition_subalgoE8ElNS0_10empty_typeEbEEZZNS1_14partition_implILS5_8ELb0ES3_jPlPS6_PKS6_NS0_5tupleIJS9_S6_EEENSD_IJSA_SA_EEENS0_18inequality_wrapperIZN2at6native12_GLOBAL__N_124unique_dim_cuda_templateIfEESt5tupleIJNSH_6TensorESM_SM_EERKSM_lbbbEUlllE0_EEPmJS6_EEE10hipError_tPvRmT3_T4_T5_T6_T7_T9_mT8_P12ihipStream_tbDpT10_ENKUlT_T0_E_clISt17integral_constantIbLb1EES1B_IbLb0EEEEDaS17_S18_EUlS17_E_NS1_11comp_targetILNS1_3genE3ELNS1_11target_archE908ELNS1_3gpuE7ELNS1_3repE0EEENS1_30default_config_static_selectorELNS0_4arch9wavefront6targetE1EEEvT1_.numbered_sgpr, 0
	.set _ZN7rocprim17ROCPRIM_400000_NS6detail17trampoline_kernelINS0_14default_configENS1_25partition_config_selectorILNS1_17partition_subalgoE8ElNS0_10empty_typeEbEEZZNS1_14partition_implILS5_8ELb0ES3_jPlPS6_PKS6_NS0_5tupleIJS9_S6_EEENSD_IJSA_SA_EEENS0_18inequality_wrapperIZN2at6native12_GLOBAL__N_124unique_dim_cuda_templateIfEESt5tupleIJNSH_6TensorESM_SM_EERKSM_lbbbEUlllE0_EEPmJS6_EEE10hipError_tPvRmT3_T4_T5_T6_T7_T9_mT8_P12ihipStream_tbDpT10_ENKUlT_T0_E_clISt17integral_constantIbLb1EES1B_IbLb0EEEEDaS17_S18_EUlS17_E_NS1_11comp_targetILNS1_3genE3ELNS1_11target_archE908ELNS1_3gpuE7ELNS1_3repE0EEENS1_30default_config_static_selectorELNS0_4arch9wavefront6targetE1EEEvT1_.num_named_barrier, 0
	.set _ZN7rocprim17ROCPRIM_400000_NS6detail17trampoline_kernelINS0_14default_configENS1_25partition_config_selectorILNS1_17partition_subalgoE8ElNS0_10empty_typeEbEEZZNS1_14partition_implILS5_8ELb0ES3_jPlPS6_PKS6_NS0_5tupleIJS9_S6_EEENSD_IJSA_SA_EEENS0_18inequality_wrapperIZN2at6native12_GLOBAL__N_124unique_dim_cuda_templateIfEESt5tupleIJNSH_6TensorESM_SM_EERKSM_lbbbEUlllE0_EEPmJS6_EEE10hipError_tPvRmT3_T4_T5_T6_T7_T9_mT8_P12ihipStream_tbDpT10_ENKUlT_T0_E_clISt17integral_constantIbLb1EES1B_IbLb0EEEEDaS17_S18_EUlS17_E_NS1_11comp_targetILNS1_3genE3ELNS1_11target_archE908ELNS1_3gpuE7ELNS1_3repE0EEENS1_30default_config_static_selectorELNS0_4arch9wavefront6targetE1EEEvT1_.private_seg_size, 0
	.set _ZN7rocprim17ROCPRIM_400000_NS6detail17trampoline_kernelINS0_14default_configENS1_25partition_config_selectorILNS1_17partition_subalgoE8ElNS0_10empty_typeEbEEZZNS1_14partition_implILS5_8ELb0ES3_jPlPS6_PKS6_NS0_5tupleIJS9_S6_EEENSD_IJSA_SA_EEENS0_18inequality_wrapperIZN2at6native12_GLOBAL__N_124unique_dim_cuda_templateIfEESt5tupleIJNSH_6TensorESM_SM_EERKSM_lbbbEUlllE0_EEPmJS6_EEE10hipError_tPvRmT3_T4_T5_T6_T7_T9_mT8_P12ihipStream_tbDpT10_ENKUlT_T0_E_clISt17integral_constantIbLb1EES1B_IbLb0EEEEDaS17_S18_EUlS17_E_NS1_11comp_targetILNS1_3genE3ELNS1_11target_archE908ELNS1_3gpuE7ELNS1_3repE0EEENS1_30default_config_static_selectorELNS0_4arch9wavefront6targetE1EEEvT1_.uses_vcc, 0
	.set _ZN7rocprim17ROCPRIM_400000_NS6detail17trampoline_kernelINS0_14default_configENS1_25partition_config_selectorILNS1_17partition_subalgoE8ElNS0_10empty_typeEbEEZZNS1_14partition_implILS5_8ELb0ES3_jPlPS6_PKS6_NS0_5tupleIJS9_S6_EEENSD_IJSA_SA_EEENS0_18inequality_wrapperIZN2at6native12_GLOBAL__N_124unique_dim_cuda_templateIfEESt5tupleIJNSH_6TensorESM_SM_EERKSM_lbbbEUlllE0_EEPmJS6_EEE10hipError_tPvRmT3_T4_T5_T6_T7_T9_mT8_P12ihipStream_tbDpT10_ENKUlT_T0_E_clISt17integral_constantIbLb1EES1B_IbLb0EEEEDaS17_S18_EUlS17_E_NS1_11comp_targetILNS1_3genE3ELNS1_11target_archE908ELNS1_3gpuE7ELNS1_3repE0EEENS1_30default_config_static_selectorELNS0_4arch9wavefront6targetE1EEEvT1_.uses_flat_scratch, 0
	.set _ZN7rocprim17ROCPRIM_400000_NS6detail17trampoline_kernelINS0_14default_configENS1_25partition_config_selectorILNS1_17partition_subalgoE8ElNS0_10empty_typeEbEEZZNS1_14partition_implILS5_8ELb0ES3_jPlPS6_PKS6_NS0_5tupleIJS9_S6_EEENSD_IJSA_SA_EEENS0_18inequality_wrapperIZN2at6native12_GLOBAL__N_124unique_dim_cuda_templateIfEESt5tupleIJNSH_6TensorESM_SM_EERKSM_lbbbEUlllE0_EEPmJS6_EEE10hipError_tPvRmT3_T4_T5_T6_T7_T9_mT8_P12ihipStream_tbDpT10_ENKUlT_T0_E_clISt17integral_constantIbLb1EES1B_IbLb0EEEEDaS17_S18_EUlS17_E_NS1_11comp_targetILNS1_3genE3ELNS1_11target_archE908ELNS1_3gpuE7ELNS1_3repE0EEENS1_30default_config_static_selectorELNS0_4arch9wavefront6targetE1EEEvT1_.has_dyn_sized_stack, 0
	.set _ZN7rocprim17ROCPRIM_400000_NS6detail17trampoline_kernelINS0_14default_configENS1_25partition_config_selectorILNS1_17partition_subalgoE8ElNS0_10empty_typeEbEEZZNS1_14partition_implILS5_8ELb0ES3_jPlPS6_PKS6_NS0_5tupleIJS9_S6_EEENSD_IJSA_SA_EEENS0_18inequality_wrapperIZN2at6native12_GLOBAL__N_124unique_dim_cuda_templateIfEESt5tupleIJNSH_6TensorESM_SM_EERKSM_lbbbEUlllE0_EEPmJS6_EEE10hipError_tPvRmT3_T4_T5_T6_T7_T9_mT8_P12ihipStream_tbDpT10_ENKUlT_T0_E_clISt17integral_constantIbLb1EES1B_IbLb0EEEEDaS17_S18_EUlS17_E_NS1_11comp_targetILNS1_3genE3ELNS1_11target_archE908ELNS1_3gpuE7ELNS1_3repE0EEENS1_30default_config_static_selectorELNS0_4arch9wavefront6targetE1EEEvT1_.has_recursion, 0
	.set _ZN7rocprim17ROCPRIM_400000_NS6detail17trampoline_kernelINS0_14default_configENS1_25partition_config_selectorILNS1_17partition_subalgoE8ElNS0_10empty_typeEbEEZZNS1_14partition_implILS5_8ELb0ES3_jPlPS6_PKS6_NS0_5tupleIJS9_S6_EEENSD_IJSA_SA_EEENS0_18inequality_wrapperIZN2at6native12_GLOBAL__N_124unique_dim_cuda_templateIfEESt5tupleIJNSH_6TensorESM_SM_EERKSM_lbbbEUlllE0_EEPmJS6_EEE10hipError_tPvRmT3_T4_T5_T6_T7_T9_mT8_P12ihipStream_tbDpT10_ENKUlT_T0_E_clISt17integral_constantIbLb1EES1B_IbLb0EEEEDaS17_S18_EUlS17_E_NS1_11comp_targetILNS1_3genE3ELNS1_11target_archE908ELNS1_3gpuE7ELNS1_3repE0EEENS1_30default_config_static_selectorELNS0_4arch9wavefront6targetE1EEEvT1_.has_indirect_call, 0
	.section	.AMDGPU.csdata,"",@progbits
; Kernel info:
; codeLenInByte = 0
; TotalNumSgprs: 6
; NumVgprs: 0
; NumAgprs: 0
; TotalNumVgprs: 0
; ScratchSize: 0
; MemoryBound: 0
; FloatMode: 240
; IeeeMode: 1
; LDSByteSize: 0 bytes/workgroup (compile time only)
; SGPRBlocks: 0
; VGPRBlocks: 0
; NumSGPRsForWavesPerEU: 6
; NumVGPRsForWavesPerEU: 1
; AccumOffset: 4
; Occupancy: 8
; WaveLimiterHint : 0
; COMPUTE_PGM_RSRC2:SCRATCH_EN: 0
; COMPUTE_PGM_RSRC2:USER_SGPR: 2
; COMPUTE_PGM_RSRC2:TRAP_HANDLER: 0
; COMPUTE_PGM_RSRC2:TGID_X_EN: 1
; COMPUTE_PGM_RSRC2:TGID_Y_EN: 0
; COMPUTE_PGM_RSRC2:TGID_Z_EN: 0
; COMPUTE_PGM_RSRC2:TIDIG_COMP_CNT: 0
; COMPUTE_PGM_RSRC3_GFX90A:ACCUM_OFFSET: 0
; COMPUTE_PGM_RSRC3_GFX90A:TG_SPLIT: 0
	.section	.text._ZN7rocprim17ROCPRIM_400000_NS6detail17trampoline_kernelINS0_14default_configENS1_25partition_config_selectorILNS1_17partition_subalgoE8ElNS0_10empty_typeEbEEZZNS1_14partition_implILS5_8ELb0ES3_jPlPS6_PKS6_NS0_5tupleIJS9_S6_EEENSD_IJSA_SA_EEENS0_18inequality_wrapperIZN2at6native12_GLOBAL__N_124unique_dim_cuda_templateIfEESt5tupleIJNSH_6TensorESM_SM_EERKSM_lbbbEUlllE0_EEPmJS6_EEE10hipError_tPvRmT3_T4_T5_T6_T7_T9_mT8_P12ihipStream_tbDpT10_ENKUlT_T0_E_clISt17integral_constantIbLb1EES1B_IbLb0EEEEDaS17_S18_EUlS17_E_NS1_11comp_targetILNS1_3genE2ELNS1_11target_archE906ELNS1_3gpuE6ELNS1_3repE0EEENS1_30default_config_static_selectorELNS0_4arch9wavefront6targetE1EEEvT1_,"axG",@progbits,_ZN7rocprim17ROCPRIM_400000_NS6detail17trampoline_kernelINS0_14default_configENS1_25partition_config_selectorILNS1_17partition_subalgoE8ElNS0_10empty_typeEbEEZZNS1_14partition_implILS5_8ELb0ES3_jPlPS6_PKS6_NS0_5tupleIJS9_S6_EEENSD_IJSA_SA_EEENS0_18inequality_wrapperIZN2at6native12_GLOBAL__N_124unique_dim_cuda_templateIfEESt5tupleIJNSH_6TensorESM_SM_EERKSM_lbbbEUlllE0_EEPmJS6_EEE10hipError_tPvRmT3_T4_T5_T6_T7_T9_mT8_P12ihipStream_tbDpT10_ENKUlT_T0_E_clISt17integral_constantIbLb1EES1B_IbLb0EEEEDaS17_S18_EUlS17_E_NS1_11comp_targetILNS1_3genE2ELNS1_11target_archE906ELNS1_3gpuE6ELNS1_3repE0EEENS1_30default_config_static_selectorELNS0_4arch9wavefront6targetE1EEEvT1_,comdat
	.globl	_ZN7rocprim17ROCPRIM_400000_NS6detail17trampoline_kernelINS0_14default_configENS1_25partition_config_selectorILNS1_17partition_subalgoE8ElNS0_10empty_typeEbEEZZNS1_14partition_implILS5_8ELb0ES3_jPlPS6_PKS6_NS0_5tupleIJS9_S6_EEENSD_IJSA_SA_EEENS0_18inequality_wrapperIZN2at6native12_GLOBAL__N_124unique_dim_cuda_templateIfEESt5tupleIJNSH_6TensorESM_SM_EERKSM_lbbbEUlllE0_EEPmJS6_EEE10hipError_tPvRmT3_T4_T5_T6_T7_T9_mT8_P12ihipStream_tbDpT10_ENKUlT_T0_E_clISt17integral_constantIbLb1EES1B_IbLb0EEEEDaS17_S18_EUlS17_E_NS1_11comp_targetILNS1_3genE2ELNS1_11target_archE906ELNS1_3gpuE6ELNS1_3repE0EEENS1_30default_config_static_selectorELNS0_4arch9wavefront6targetE1EEEvT1_ ; -- Begin function _ZN7rocprim17ROCPRIM_400000_NS6detail17trampoline_kernelINS0_14default_configENS1_25partition_config_selectorILNS1_17partition_subalgoE8ElNS0_10empty_typeEbEEZZNS1_14partition_implILS5_8ELb0ES3_jPlPS6_PKS6_NS0_5tupleIJS9_S6_EEENSD_IJSA_SA_EEENS0_18inequality_wrapperIZN2at6native12_GLOBAL__N_124unique_dim_cuda_templateIfEESt5tupleIJNSH_6TensorESM_SM_EERKSM_lbbbEUlllE0_EEPmJS6_EEE10hipError_tPvRmT3_T4_T5_T6_T7_T9_mT8_P12ihipStream_tbDpT10_ENKUlT_T0_E_clISt17integral_constantIbLb1EES1B_IbLb0EEEEDaS17_S18_EUlS17_E_NS1_11comp_targetILNS1_3genE2ELNS1_11target_archE906ELNS1_3gpuE6ELNS1_3repE0EEENS1_30default_config_static_selectorELNS0_4arch9wavefront6targetE1EEEvT1_
	.p2align	8
	.type	_ZN7rocprim17ROCPRIM_400000_NS6detail17trampoline_kernelINS0_14default_configENS1_25partition_config_selectorILNS1_17partition_subalgoE8ElNS0_10empty_typeEbEEZZNS1_14partition_implILS5_8ELb0ES3_jPlPS6_PKS6_NS0_5tupleIJS9_S6_EEENSD_IJSA_SA_EEENS0_18inequality_wrapperIZN2at6native12_GLOBAL__N_124unique_dim_cuda_templateIfEESt5tupleIJNSH_6TensorESM_SM_EERKSM_lbbbEUlllE0_EEPmJS6_EEE10hipError_tPvRmT3_T4_T5_T6_T7_T9_mT8_P12ihipStream_tbDpT10_ENKUlT_T0_E_clISt17integral_constantIbLb1EES1B_IbLb0EEEEDaS17_S18_EUlS17_E_NS1_11comp_targetILNS1_3genE2ELNS1_11target_archE906ELNS1_3gpuE6ELNS1_3repE0EEENS1_30default_config_static_selectorELNS0_4arch9wavefront6targetE1EEEvT1_,@function
_ZN7rocprim17ROCPRIM_400000_NS6detail17trampoline_kernelINS0_14default_configENS1_25partition_config_selectorILNS1_17partition_subalgoE8ElNS0_10empty_typeEbEEZZNS1_14partition_implILS5_8ELb0ES3_jPlPS6_PKS6_NS0_5tupleIJS9_S6_EEENSD_IJSA_SA_EEENS0_18inequality_wrapperIZN2at6native12_GLOBAL__N_124unique_dim_cuda_templateIfEESt5tupleIJNSH_6TensorESM_SM_EERKSM_lbbbEUlllE0_EEPmJS6_EEE10hipError_tPvRmT3_T4_T5_T6_T7_T9_mT8_P12ihipStream_tbDpT10_ENKUlT_T0_E_clISt17integral_constantIbLb1EES1B_IbLb0EEEEDaS17_S18_EUlS17_E_NS1_11comp_targetILNS1_3genE2ELNS1_11target_archE906ELNS1_3gpuE6ELNS1_3repE0EEENS1_30default_config_static_selectorELNS0_4arch9wavefront6targetE1EEEvT1_: ; @_ZN7rocprim17ROCPRIM_400000_NS6detail17trampoline_kernelINS0_14default_configENS1_25partition_config_selectorILNS1_17partition_subalgoE8ElNS0_10empty_typeEbEEZZNS1_14partition_implILS5_8ELb0ES3_jPlPS6_PKS6_NS0_5tupleIJS9_S6_EEENSD_IJSA_SA_EEENS0_18inequality_wrapperIZN2at6native12_GLOBAL__N_124unique_dim_cuda_templateIfEESt5tupleIJNSH_6TensorESM_SM_EERKSM_lbbbEUlllE0_EEPmJS6_EEE10hipError_tPvRmT3_T4_T5_T6_T7_T9_mT8_P12ihipStream_tbDpT10_ENKUlT_T0_E_clISt17integral_constantIbLb1EES1B_IbLb0EEEEDaS17_S18_EUlS17_E_NS1_11comp_targetILNS1_3genE2ELNS1_11target_archE906ELNS1_3gpuE6ELNS1_3repE0EEENS1_30default_config_static_selectorELNS0_4arch9wavefront6targetE1EEEvT1_
; %bb.0:
	.section	.rodata,"a",@progbits
	.p2align	6, 0x0
	.amdhsa_kernel _ZN7rocprim17ROCPRIM_400000_NS6detail17trampoline_kernelINS0_14default_configENS1_25partition_config_selectorILNS1_17partition_subalgoE8ElNS0_10empty_typeEbEEZZNS1_14partition_implILS5_8ELb0ES3_jPlPS6_PKS6_NS0_5tupleIJS9_S6_EEENSD_IJSA_SA_EEENS0_18inequality_wrapperIZN2at6native12_GLOBAL__N_124unique_dim_cuda_templateIfEESt5tupleIJNSH_6TensorESM_SM_EERKSM_lbbbEUlllE0_EEPmJS6_EEE10hipError_tPvRmT3_T4_T5_T6_T7_T9_mT8_P12ihipStream_tbDpT10_ENKUlT_T0_E_clISt17integral_constantIbLb1EES1B_IbLb0EEEEDaS17_S18_EUlS17_E_NS1_11comp_targetILNS1_3genE2ELNS1_11target_archE906ELNS1_3gpuE6ELNS1_3repE0EEENS1_30default_config_static_selectorELNS0_4arch9wavefront6targetE1EEEvT1_
		.amdhsa_group_segment_fixed_size 0
		.amdhsa_private_segment_fixed_size 0
		.amdhsa_kernarg_size 120
		.amdhsa_user_sgpr_count 2
		.amdhsa_user_sgpr_dispatch_ptr 0
		.amdhsa_user_sgpr_queue_ptr 0
		.amdhsa_user_sgpr_kernarg_segment_ptr 1
		.amdhsa_user_sgpr_dispatch_id 0
		.amdhsa_user_sgpr_kernarg_preload_length 0
		.amdhsa_user_sgpr_kernarg_preload_offset 0
		.amdhsa_user_sgpr_private_segment_size 0
		.amdhsa_uses_dynamic_stack 0
		.amdhsa_enable_private_segment 0
		.amdhsa_system_sgpr_workgroup_id_x 1
		.amdhsa_system_sgpr_workgroup_id_y 0
		.amdhsa_system_sgpr_workgroup_id_z 0
		.amdhsa_system_sgpr_workgroup_info 0
		.amdhsa_system_vgpr_workitem_id 0
		.amdhsa_next_free_vgpr 1
		.amdhsa_next_free_sgpr 0
		.amdhsa_accum_offset 4
		.amdhsa_reserve_vcc 0
		.amdhsa_float_round_mode_32 0
		.amdhsa_float_round_mode_16_64 0
		.amdhsa_float_denorm_mode_32 3
		.amdhsa_float_denorm_mode_16_64 3
		.amdhsa_dx10_clamp 1
		.amdhsa_ieee_mode 1
		.amdhsa_fp16_overflow 0
		.amdhsa_tg_split 0
		.amdhsa_exception_fp_ieee_invalid_op 0
		.amdhsa_exception_fp_denorm_src 0
		.amdhsa_exception_fp_ieee_div_zero 0
		.amdhsa_exception_fp_ieee_overflow 0
		.amdhsa_exception_fp_ieee_underflow 0
		.amdhsa_exception_fp_ieee_inexact 0
		.amdhsa_exception_int_div_zero 0
	.end_amdhsa_kernel
	.section	.text._ZN7rocprim17ROCPRIM_400000_NS6detail17trampoline_kernelINS0_14default_configENS1_25partition_config_selectorILNS1_17partition_subalgoE8ElNS0_10empty_typeEbEEZZNS1_14partition_implILS5_8ELb0ES3_jPlPS6_PKS6_NS0_5tupleIJS9_S6_EEENSD_IJSA_SA_EEENS0_18inequality_wrapperIZN2at6native12_GLOBAL__N_124unique_dim_cuda_templateIfEESt5tupleIJNSH_6TensorESM_SM_EERKSM_lbbbEUlllE0_EEPmJS6_EEE10hipError_tPvRmT3_T4_T5_T6_T7_T9_mT8_P12ihipStream_tbDpT10_ENKUlT_T0_E_clISt17integral_constantIbLb1EES1B_IbLb0EEEEDaS17_S18_EUlS17_E_NS1_11comp_targetILNS1_3genE2ELNS1_11target_archE906ELNS1_3gpuE6ELNS1_3repE0EEENS1_30default_config_static_selectorELNS0_4arch9wavefront6targetE1EEEvT1_,"axG",@progbits,_ZN7rocprim17ROCPRIM_400000_NS6detail17trampoline_kernelINS0_14default_configENS1_25partition_config_selectorILNS1_17partition_subalgoE8ElNS0_10empty_typeEbEEZZNS1_14partition_implILS5_8ELb0ES3_jPlPS6_PKS6_NS0_5tupleIJS9_S6_EEENSD_IJSA_SA_EEENS0_18inequality_wrapperIZN2at6native12_GLOBAL__N_124unique_dim_cuda_templateIfEESt5tupleIJNSH_6TensorESM_SM_EERKSM_lbbbEUlllE0_EEPmJS6_EEE10hipError_tPvRmT3_T4_T5_T6_T7_T9_mT8_P12ihipStream_tbDpT10_ENKUlT_T0_E_clISt17integral_constantIbLb1EES1B_IbLb0EEEEDaS17_S18_EUlS17_E_NS1_11comp_targetILNS1_3genE2ELNS1_11target_archE906ELNS1_3gpuE6ELNS1_3repE0EEENS1_30default_config_static_selectorELNS0_4arch9wavefront6targetE1EEEvT1_,comdat
.Lfunc_end949:
	.size	_ZN7rocprim17ROCPRIM_400000_NS6detail17trampoline_kernelINS0_14default_configENS1_25partition_config_selectorILNS1_17partition_subalgoE8ElNS0_10empty_typeEbEEZZNS1_14partition_implILS5_8ELb0ES3_jPlPS6_PKS6_NS0_5tupleIJS9_S6_EEENSD_IJSA_SA_EEENS0_18inequality_wrapperIZN2at6native12_GLOBAL__N_124unique_dim_cuda_templateIfEESt5tupleIJNSH_6TensorESM_SM_EERKSM_lbbbEUlllE0_EEPmJS6_EEE10hipError_tPvRmT3_T4_T5_T6_T7_T9_mT8_P12ihipStream_tbDpT10_ENKUlT_T0_E_clISt17integral_constantIbLb1EES1B_IbLb0EEEEDaS17_S18_EUlS17_E_NS1_11comp_targetILNS1_3genE2ELNS1_11target_archE906ELNS1_3gpuE6ELNS1_3repE0EEENS1_30default_config_static_selectorELNS0_4arch9wavefront6targetE1EEEvT1_, .Lfunc_end949-_ZN7rocprim17ROCPRIM_400000_NS6detail17trampoline_kernelINS0_14default_configENS1_25partition_config_selectorILNS1_17partition_subalgoE8ElNS0_10empty_typeEbEEZZNS1_14partition_implILS5_8ELb0ES3_jPlPS6_PKS6_NS0_5tupleIJS9_S6_EEENSD_IJSA_SA_EEENS0_18inequality_wrapperIZN2at6native12_GLOBAL__N_124unique_dim_cuda_templateIfEESt5tupleIJNSH_6TensorESM_SM_EERKSM_lbbbEUlllE0_EEPmJS6_EEE10hipError_tPvRmT3_T4_T5_T6_T7_T9_mT8_P12ihipStream_tbDpT10_ENKUlT_T0_E_clISt17integral_constantIbLb1EES1B_IbLb0EEEEDaS17_S18_EUlS17_E_NS1_11comp_targetILNS1_3genE2ELNS1_11target_archE906ELNS1_3gpuE6ELNS1_3repE0EEENS1_30default_config_static_selectorELNS0_4arch9wavefront6targetE1EEEvT1_
                                        ; -- End function
	.set _ZN7rocprim17ROCPRIM_400000_NS6detail17trampoline_kernelINS0_14default_configENS1_25partition_config_selectorILNS1_17partition_subalgoE8ElNS0_10empty_typeEbEEZZNS1_14partition_implILS5_8ELb0ES3_jPlPS6_PKS6_NS0_5tupleIJS9_S6_EEENSD_IJSA_SA_EEENS0_18inequality_wrapperIZN2at6native12_GLOBAL__N_124unique_dim_cuda_templateIfEESt5tupleIJNSH_6TensorESM_SM_EERKSM_lbbbEUlllE0_EEPmJS6_EEE10hipError_tPvRmT3_T4_T5_T6_T7_T9_mT8_P12ihipStream_tbDpT10_ENKUlT_T0_E_clISt17integral_constantIbLb1EES1B_IbLb0EEEEDaS17_S18_EUlS17_E_NS1_11comp_targetILNS1_3genE2ELNS1_11target_archE906ELNS1_3gpuE6ELNS1_3repE0EEENS1_30default_config_static_selectorELNS0_4arch9wavefront6targetE1EEEvT1_.num_vgpr, 0
	.set _ZN7rocprim17ROCPRIM_400000_NS6detail17trampoline_kernelINS0_14default_configENS1_25partition_config_selectorILNS1_17partition_subalgoE8ElNS0_10empty_typeEbEEZZNS1_14partition_implILS5_8ELb0ES3_jPlPS6_PKS6_NS0_5tupleIJS9_S6_EEENSD_IJSA_SA_EEENS0_18inequality_wrapperIZN2at6native12_GLOBAL__N_124unique_dim_cuda_templateIfEESt5tupleIJNSH_6TensorESM_SM_EERKSM_lbbbEUlllE0_EEPmJS6_EEE10hipError_tPvRmT3_T4_T5_T6_T7_T9_mT8_P12ihipStream_tbDpT10_ENKUlT_T0_E_clISt17integral_constantIbLb1EES1B_IbLb0EEEEDaS17_S18_EUlS17_E_NS1_11comp_targetILNS1_3genE2ELNS1_11target_archE906ELNS1_3gpuE6ELNS1_3repE0EEENS1_30default_config_static_selectorELNS0_4arch9wavefront6targetE1EEEvT1_.num_agpr, 0
	.set _ZN7rocprim17ROCPRIM_400000_NS6detail17trampoline_kernelINS0_14default_configENS1_25partition_config_selectorILNS1_17partition_subalgoE8ElNS0_10empty_typeEbEEZZNS1_14partition_implILS5_8ELb0ES3_jPlPS6_PKS6_NS0_5tupleIJS9_S6_EEENSD_IJSA_SA_EEENS0_18inequality_wrapperIZN2at6native12_GLOBAL__N_124unique_dim_cuda_templateIfEESt5tupleIJNSH_6TensorESM_SM_EERKSM_lbbbEUlllE0_EEPmJS6_EEE10hipError_tPvRmT3_T4_T5_T6_T7_T9_mT8_P12ihipStream_tbDpT10_ENKUlT_T0_E_clISt17integral_constantIbLb1EES1B_IbLb0EEEEDaS17_S18_EUlS17_E_NS1_11comp_targetILNS1_3genE2ELNS1_11target_archE906ELNS1_3gpuE6ELNS1_3repE0EEENS1_30default_config_static_selectorELNS0_4arch9wavefront6targetE1EEEvT1_.numbered_sgpr, 0
	.set _ZN7rocprim17ROCPRIM_400000_NS6detail17trampoline_kernelINS0_14default_configENS1_25partition_config_selectorILNS1_17partition_subalgoE8ElNS0_10empty_typeEbEEZZNS1_14partition_implILS5_8ELb0ES3_jPlPS6_PKS6_NS0_5tupleIJS9_S6_EEENSD_IJSA_SA_EEENS0_18inequality_wrapperIZN2at6native12_GLOBAL__N_124unique_dim_cuda_templateIfEESt5tupleIJNSH_6TensorESM_SM_EERKSM_lbbbEUlllE0_EEPmJS6_EEE10hipError_tPvRmT3_T4_T5_T6_T7_T9_mT8_P12ihipStream_tbDpT10_ENKUlT_T0_E_clISt17integral_constantIbLb1EES1B_IbLb0EEEEDaS17_S18_EUlS17_E_NS1_11comp_targetILNS1_3genE2ELNS1_11target_archE906ELNS1_3gpuE6ELNS1_3repE0EEENS1_30default_config_static_selectorELNS0_4arch9wavefront6targetE1EEEvT1_.num_named_barrier, 0
	.set _ZN7rocprim17ROCPRIM_400000_NS6detail17trampoline_kernelINS0_14default_configENS1_25partition_config_selectorILNS1_17partition_subalgoE8ElNS0_10empty_typeEbEEZZNS1_14partition_implILS5_8ELb0ES3_jPlPS6_PKS6_NS0_5tupleIJS9_S6_EEENSD_IJSA_SA_EEENS0_18inequality_wrapperIZN2at6native12_GLOBAL__N_124unique_dim_cuda_templateIfEESt5tupleIJNSH_6TensorESM_SM_EERKSM_lbbbEUlllE0_EEPmJS6_EEE10hipError_tPvRmT3_T4_T5_T6_T7_T9_mT8_P12ihipStream_tbDpT10_ENKUlT_T0_E_clISt17integral_constantIbLb1EES1B_IbLb0EEEEDaS17_S18_EUlS17_E_NS1_11comp_targetILNS1_3genE2ELNS1_11target_archE906ELNS1_3gpuE6ELNS1_3repE0EEENS1_30default_config_static_selectorELNS0_4arch9wavefront6targetE1EEEvT1_.private_seg_size, 0
	.set _ZN7rocprim17ROCPRIM_400000_NS6detail17trampoline_kernelINS0_14default_configENS1_25partition_config_selectorILNS1_17partition_subalgoE8ElNS0_10empty_typeEbEEZZNS1_14partition_implILS5_8ELb0ES3_jPlPS6_PKS6_NS0_5tupleIJS9_S6_EEENSD_IJSA_SA_EEENS0_18inequality_wrapperIZN2at6native12_GLOBAL__N_124unique_dim_cuda_templateIfEESt5tupleIJNSH_6TensorESM_SM_EERKSM_lbbbEUlllE0_EEPmJS6_EEE10hipError_tPvRmT3_T4_T5_T6_T7_T9_mT8_P12ihipStream_tbDpT10_ENKUlT_T0_E_clISt17integral_constantIbLb1EES1B_IbLb0EEEEDaS17_S18_EUlS17_E_NS1_11comp_targetILNS1_3genE2ELNS1_11target_archE906ELNS1_3gpuE6ELNS1_3repE0EEENS1_30default_config_static_selectorELNS0_4arch9wavefront6targetE1EEEvT1_.uses_vcc, 0
	.set _ZN7rocprim17ROCPRIM_400000_NS6detail17trampoline_kernelINS0_14default_configENS1_25partition_config_selectorILNS1_17partition_subalgoE8ElNS0_10empty_typeEbEEZZNS1_14partition_implILS5_8ELb0ES3_jPlPS6_PKS6_NS0_5tupleIJS9_S6_EEENSD_IJSA_SA_EEENS0_18inequality_wrapperIZN2at6native12_GLOBAL__N_124unique_dim_cuda_templateIfEESt5tupleIJNSH_6TensorESM_SM_EERKSM_lbbbEUlllE0_EEPmJS6_EEE10hipError_tPvRmT3_T4_T5_T6_T7_T9_mT8_P12ihipStream_tbDpT10_ENKUlT_T0_E_clISt17integral_constantIbLb1EES1B_IbLb0EEEEDaS17_S18_EUlS17_E_NS1_11comp_targetILNS1_3genE2ELNS1_11target_archE906ELNS1_3gpuE6ELNS1_3repE0EEENS1_30default_config_static_selectorELNS0_4arch9wavefront6targetE1EEEvT1_.uses_flat_scratch, 0
	.set _ZN7rocprim17ROCPRIM_400000_NS6detail17trampoline_kernelINS0_14default_configENS1_25partition_config_selectorILNS1_17partition_subalgoE8ElNS0_10empty_typeEbEEZZNS1_14partition_implILS5_8ELb0ES3_jPlPS6_PKS6_NS0_5tupleIJS9_S6_EEENSD_IJSA_SA_EEENS0_18inequality_wrapperIZN2at6native12_GLOBAL__N_124unique_dim_cuda_templateIfEESt5tupleIJNSH_6TensorESM_SM_EERKSM_lbbbEUlllE0_EEPmJS6_EEE10hipError_tPvRmT3_T4_T5_T6_T7_T9_mT8_P12ihipStream_tbDpT10_ENKUlT_T0_E_clISt17integral_constantIbLb1EES1B_IbLb0EEEEDaS17_S18_EUlS17_E_NS1_11comp_targetILNS1_3genE2ELNS1_11target_archE906ELNS1_3gpuE6ELNS1_3repE0EEENS1_30default_config_static_selectorELNS0_4arch9wavefront6targetE1EEEvT1_.has_dyn_sized_stack, 0
	.set _ZN7rocprim17ROCPRIM_400000_NS6detail17trampoline_kernelINS0_14default_configENS1_25partition_config_selectorILNS1_17partition_subalgoE8ElNS0_10empty_typeEbEEZZNS1_14partition_implILS5_8ELb0ES3_jPlPS6_PKS6_NS0_5tupleIJS9_S6_EEENSD_IJSA_SA_EEENS0_18inequality_wrapperIZN2at6native12_GLOBAL__N_124unique_dim_cuda_templateIfEESt5tupleIJNSH_6TensorESM_SM_EERKSM_lbbbEUlllE0_EEPmJS6_EEE10hipError_tPvRmT3_T4_T5_T6_T7_T9_mT8_P12ihipStream_tbDpT10_ENKUlT_T0_E_clISt17integral_constantIbLb1EES1B_IbLb0EEEEDaS17_S18_EUlS17_E_NS1_11comp_targetILNS1_3genE2ELNS1_11target_archE906ELNS1_3gpuE6ELNS1_3repE0EEENS1_30default_config_static_selectorELNS0_4arch9wavefront6targetE1EEEvT1_.has_recursion, 0
	.set _ZN7rocprim17ROCPRIM_400000_NS6detail17trampoline_kernelINS0_14default_configENS1_25partition_config_selectorILNS1_17partition_subalgoE8ElNS0_10empty_typeEbEEZZNS1_14partition_implILS5_8ELb0ES3_jPlPS6_PKS6_NS0_5tupleIJS9_S6_EEENSD_IJSA_SA_EEENS0_18inequality_wrapperIZN2at6native12_GLOBAL__N_124unique_dim_cuda_templateIfEESt5tupleIJNSH_6TensorESM_SM_EERKSM_lbbbEUlllE0_EEPmJS6_EEE10hipError_tPvRmT3_T4_T5_T6_T7_T9_mT8_P12ihipStream_tbDpT10_ENKUlT_T0_E_clISt17integral_constantIbLb1EES1B_IbLb0EEEEDaS17_S18_EUlS17_E_NS1_11comp_targetILNS1_3genE2ELNS1_11target_archE906ELNS1_3gpuE6ELNS1_3repE0EEENS1_30default_config_static_selectorELNS0_4arch9wavefront6targetE1EEEvT1_.has_indirect_call, 0
	.section	.AMDGPU.csdata,"",@progbits
; Kernel info:
; codeLenInByte = 0
; TotalNumSgprs: 6
; NumVgprs: 0
; NumAgprs: 0
; TotalNumVgprs: 0
; ScratchSize: 0
; MemoryBound: 0
; FloatMode: 240
; IeeeMode: 1
; LDSByteSize: 0 bytes/workgroup (compile time only)
; SGPRBlocks: 0
; VGPRBlocks: 0
; NumSGPRsForWavesPerEU: 6
; NumVGPRsForWavesPerEU: 1
; AccumOffset: 4
; Occupancy: 8
; WaveLimiterHint : 0
; COMPUTE_PGM_RSRC2:SCRATCH_EN: 0
; COMPUTE_PGM_RSRC2:USER_SGPR: 2
; COMPUTE_PGM_RSRC2:TRAP_HANDLER: 0
; COMPUTE_PGM_RSRC2:TGID_X_EN: 1
; COMPUTE_PGM_RSRC2:TGID_Y_EN: 0
; COMPUTE_PGM_RSRC2:TGID_Z_EN: 0
; COMPUTE_PGM_RSRC2:TIDIG_COMP_CNT: 0
; COMPUTE_PGM_RSRC3_GFX90A:ACCUM_OFFSET: 0
; COMPUTE_PGM_RSRC3_GFX90A:TG_SPLIT: 0
	.section	.text._ZN7rocprim17ROCPRIM_400000_NS6detail17trampoline_kernelINS0_14default_configENS1_25partition_config_selectorILNS1_17partition_subalgoE8ElNS0_10empty_typeEbEEZZNS1_14partition_implILS5_8ELb0ES3_jPlPS6_PKS6_NS0_5tupleIJS9_S6_EEENSD_IJSA_SA_EEENS0_18inequality_wrapperIZN2at6native12_GLOBAL__N_124unique_dim_cuda_templateIfEESt5tupleIJNSH_6TensorESM_SM_EERKSM_lbbbEUlllE0_EEPmJS6_EEE10hipError_tPvRmT3_T4_T5_T6_T7_T9_mT8_P12ihipStream_tbDpT10_ENKUlT_T0_E_clISt17integral_constantIbLb1EES1B_IbLb0EEEEDaS17_S18_EUlS17_E_NS1_11comp_targetILNS1_3genE10ELNS1_11target_archE1200ELNS1_3gpuE4ELNS1_3repE0EEENS1_30default_config_static_selectorELNS0_4arch9wavefront6targetE1EEEvT1_,"axG",@progbits,_ZN7rocprim17ROCPRIM_400000_NS6detail17trampoline_kernelINS0_14default_configENS1_25partition_config_selectorILNS1_17partition_subalgoE8ElNS0_10empty_typeEbEEZZNS1_14partition_implILS5_8ELb0ES3_jPlPS6_PKS6_NS0_5tupleIJS9_S6_EEENSD_IJSA_SA_EEENS0_18inequality_wrapperIZN2at6native12_GLOBAL__N_124unique_dim_cuda_templateIfEESt5tupleIJNSH_6TensorESM_SM_EERKSM_lbbbEUlllE0_EEPmJS6_EEE10hipError_tPvRmT3_T4_T5_T6_T7_T9_mT8_P12ihipStream_tbDpT10_ENKUlT_T0_E_clISt17integral_constantIbLb1EES1B_IbLb0EEEEDaS17_S18_EUlS17_E_NS1_11comp_targetILNS1_3genE10ELNS1_11target_archE1200ELNS1_3gpuE4ELNS1_3repE0EEENS1_30default_config_static_selectorELNS0_4arch9wavefront6targetE1EEEvT1_,comdat
	.globl	_ZN7rocprim17ROCPRIM_400000_NS6detail17trampoline_kernelINS0_14default_configENS1_25partition_config_selectorILNS1_17partition_subalgoE8ElNS0_10empty_typeEbEEZZNS1_14partition_implILS5_8ELb0ES3_jPlPS6_PKS6_NS0_5tupleIJS9_S6_EEENSD_IJSA_SA_EEENS0_18inequality_wrapperIZN2at6native12_GLOBAL__N_124unique_dim_cuda_templateIfEESt5tupleIJNSH_6TensorESM_SM_EERKSM_lbbbEUlllE0_EEPmJS6_EEE10hipError_tPvRmT3_T4_T5_T6_T7_T9_mT8_P12ihipStream_tbDpT10_ENKUlT_T0_E_clISt17integral_constantIbLb1EES1B_IbLb0EEEEDaS17_S18_EUlS17_E_NS1_11comp_targetILNS1_3genE10ELNS1_11target_archE1200ELNS1_3gpuE4ELNS1_3repE0EEENS1_30default_config_static_selectorELNS0_4arch9wavefront6targetE1EEEvT1_ ; -- Begin function _ZN7rocprim17ROCPRIM_400000_NS6detail17trampoline_kernelINS0_14default_configENS1_25partition_config_selectorILNS1_17partition_subalgoE8ElNS0_10empty_typeEbEEZZNS1_14partition_implILS5_8ELb0ES3_jPlPS6_PKS6_NS0_5tupleIJS9_S6_EEENSD_IJSA_SA_EEENS0_18inequality_wrapperIZN2at6native12_GLOBAL__N_124unique_dim_cuda_templateIfEESt5tupleIJNSH_6TensorESM_SM_EERKSM_lbbbEUlllE0_EEPmJS6_EEE10hipError_tPvRmT3_T4_T5_T6_T7_T9_mT8_P12ihipStream_tbDpT10_ENKUlT_T0_E_clISt17integral_constantIbLb1EES1B_IbLb0EEEEDaS17_S18_EUlS17_E_NS1_11comp_targetILNS1_3genE10ELNS1_11target_archE1200ELNS1_3gpuE4ELNS1_3repE0EEENS1_30default_config_static_selectorELNS0_4arch9wavefront6targetE1EEEvT1_
	.p2align	8
	.type	_ZN7rocprim17ROCPRIM_400000_NS6detail17trampoline_kernelINS0_14default_configENS1_25partition_config_selectorILNS1_17partition_subalgoE8ElNS0_10empty_typeEbEEZZNS1_14partition_implILS5_8ELb0ES3_jPlPS6_PKS6_NS0_5tupleIJS9_S6_EEENSD_IJSA_SA_EEENS0_18inequality_wrapperIZN2at6native12_GLOBAL__N_124unique_dim_cuda_templateIfEESt5tupleIJNSH_6TensorESM_SM_EERKSM_lbbbEUlllE0_EEPmJS6_EEE10hipError_tPvRmT3_T4_T5_T6_T7_T9_mT8_P12ihipStream_tbDpT10_ENKUlT_T0_E_clISt17integral_constantIbLb1EES1B_IbLb0EEEEDaS17_S18_EUlS17_E_NS1_11comp_targetILNS1_3genE10ELNS1_11target_archE1200ELNS1_3gpuE4ELNS1_3repE0EEENS1_30default_config_static_selectorELNS0_4arch9wavefront6targetE1EEEvT1_,@function
_ZN7rocprim17ROCPRIM_400000_NS6detail17trampoline_kernelINS0_14default_configENS1_25partition_config_selectorILNS1_17partition_subalgoE8ElNS0_10empty_typeEbEEZZNS1_14partition_implILS5_8ELb0ES3_jPlPS6_PKS6_NS0_5tupleIJS9_S6_EEENSD_IJSA_SA_EEENS0_18inequality_wrapperIZN2at6native12_GLOBAL__N_124unique_dim_cuda_templateIfEESt5tupleIJNSH_6TensorESM_SM_EERKSM_lbbbEUlllE0_EEPmJS6_EEE10hipError_tPvRmT3_T4_T5_T6_T7_T9_mT8_P12ihipStream_tbDpT10_ENKUlT_T0_E_clISt17integral_constantIbLb1EES1B_IbLb0EEEEDaS17_S18_EUlS17_E_NS1_11comp_targetILNS1_3genE10ELNS1_11target_archE1200ELNS1_3gpuE4ELNS1_3repE0EEENS1_30default_config_static_selectorELNS0_4arch9wavefront6targetE1EEEvT1_: ; @_ZN7rocprim17ROCPRIM_400000_NS6detail17trampoline_kernelINS0_14default_configENS1_25partition_config_selectorILNS1_17partition_subalgoE8ElNS0_10empty_typeEbEEZZNS1_14partition_implILS5_8ELb0ES3_jPlPS6_PKS6_NS0_5tupleIJS9_S6_EEENSD_IJSA_SA_EEENS0_18inequality_wrapperIZN2at6native12_GLOBAL__N_124unique_dim_cuda_templateIfEESt5tupleIJNSH_6TensorESM_SM_EERKSM_lbbbEUlllE0_EEPmJS6_EEE10hipError_tPvRmT3_T4_T5_T6_T7_T9_mT8_P12ihipStream_tbDpT10_ENKUlT_T0_E_clISt17integral_constantIbLb1EES1B_IbLb0EEEEDaS17_S18_EUlS17_E_NS1_11comp_targetILNS1_3genE10ELNS1_11target_archE1200ELNS1_3gpuE4ELNS1_3repE0EEENS1_30default_config_static_selectorELNS0_4arch9wavefront6targetE1EEEvT1_
; %bb.0:
	.section	.rodata,"a",@progbits
	.p2align	6, 0x0
	.amdhsa_kernel _ZN7rocprim17ROCPRIM_400000_NS6detail17trampoline_kernelINS0_14default_configENS1_25partition_config_selectorILNS1_17partition_subalgoE8ElNS0_10empty_typeEbEEZZNS1_14partition_implILS5_8ELb0ES3_jPlPS6_PKS6_NS0_5tupleIJS9_S6_EEENSD_IJSA_SA_EEENS0_18inequality_wrapperIZN2at6native12_GLOBAL__N_124unique_dim_cuda_templateIfEESt5tupleIJNSH_6TensorESM_SM_EERKSM_lbbbEUlllE0_EEPmJS6_EEE10hipError_tPvRmT3_T4_T5_T6_T7_T9_mT8_P12ihipStream_tbDpT10_ENKUlT_T0_E_clISt17integral_constantIbLb1EES1B_IbLb0EEEEDaS17_S18_EUlS17_E_NS1_11comp_targetILNS1_3genE10ELNS1_11target_archE1200ELNS1_3gpuE4ELNS1_3repE0EEENS1_30default_config_static_selectorELNS0_4arch9wavefront6targetE1EEEvT1_
		.amdhsa_group_segment_fixed_size 0
		.amdhsa_private_segment_fixed_size 0
		.amdhsa_kernarg_size 120
		.amdhsa_user_sgpr_count 2
		.amdhsa_user_sgpr_dispatch_ptr 0
		.amdhsa_user_sgpr_queue_ptr 0
		.amdhsa_user_sgpr_kernarg_segment_ptr 1
		.amdhsa_user_sgpr_dispatch_id 0
		.amdhsa_user_sgpr_kernarg_preload_length 0
		.amdhsa_user_sgpr_kernarg_preload_offset 0
		.amdhsa_user_sgpr_private_segment_size 0
		.amdhsa_uses_dynamic_stack 0
		.amdhsa_enable_private_segment 0
		.amdhsa_system_sgpr_workgroup_id_x 1
		.amdhsa_system_sgpr_workgroup_id_y 0
		.amdhsa_system_sgpr_workgroup_id_z 0
		.amdhsa_system_sgpr_workgroup_info 0
		.amdhsa_system_vgpr_workitem_id 0
		.amdhsa_next_free_vgpr 1
		.amdhsa_next_free_sgpr 0
		.amdhsa_accum_offset 4
		.amdhsa_reserve_vcc 0
		.amdhsa_float_round_mode_32 0
		.amdhsa_float_round_mode_16_64 0
		.amdhsa_float_denorm_mode_32 3
		.amdhsa_float_denorm_mode_16_64 3
		.amdhsa_dx10_clamp 1
		.amdhsa_ieee_mode 1
		.amdhsa_fp16_overflow 0
		.amdhsa_tg_split 0
		.amdhsa_exception_fp_ieee_invalid_op 0
		.amdhsa_exception_fp_denorm_src 0
		.amdhsa_exception_fp_ieee_div_zero 0
		.amdhsa_exception_fp_ieee_overflow 0
		.amdhsa_exception_fp_ieee_underflow 0
		.amdhsa_exception_fp_ieee_inexact 0
		.amdhsa_exception_int_div_zero 0
	.end_amdhsa_kernel
	.section	.text._ZN7rocprim17ROCPRIM_400000_NS6detail17trampoline_kernelINS0_14default_configENS1_25partition_config_selectorILNS1_17partition_subalgoE8ElNS0_10empty_typeEbEEZZNS1_14partition_implILS5_8ELb0ES3_jPlPS6_PKS6_NS0_5tupleIJS9_S6_EEENSD_IJSA_SA_EEENS0_18inequality_wrapperIZN2at6native12_GLOBAL__N_124unique_dim_cuda_templateIfEESt5tupleIJNSH_6TensorESM_SM_EERKSM_lbbbEUlllE0_EEPmJS6_EEE10hipError_tPvRmT3_T4_T5_T6_T7_T9_mT8_P12ihipStream_tbDpT10_ENKUlT_T0_E_clISt17integral_constantIbLb1EES1B_IbLb0EEEEDaS17_S18_EUlS17_E_NS1_11comp_targetILNS1_3genE10ELNS1_11target_archE1200ELNS1_3gpuE4ELNS1_3repE0EEENS1_30default_config_static_selectorELNS0_4arch9wavefront6targetE1EEEvT1_,"axG",@progbits,_ZN7rocprim17ROCPRIM_400000_NS6detail17trampoline_kernelINS0_14default_configENS1_25partition_config_selectorILNS1_17partition_subalgoE8ElNS0_10empty_typeEbEEZZNS1_14partition_implILS5_8ELb0ES3_jPlPS6_PKS6_NS0_5tupleIJS9_S6_EEENSD_IJSA_SA_EEENS0_18inequality_wrapperIZN2at6native12_GLOBAL__N_124unique_dim_cuda_templateIfEESt5tupleIJNSH_6TensorESM_SM_EERKSM_lbbbEUlllE0_EEPmJS6_EEE10hipError_tPvRmT3_T4_T5_T6_T7_T9_mT8_P12ihipStream_tbDpT10_ENKUlT_T0_E_clISt17integral_constantIbLb1EES1B_IbLb0EEEEDaS17_S18_EUlS17_E_NS1_11comp_targetILNS1_3genE10ELNS1_11target_archE1200ELNS1_3gpuE4ELNS1_3repE0EEENS1_30default_config_static_selectorELNS0_4arch9wavefront6targetE1EEEvT1_,comdat
.Lfunc_end950:
	.size	_ZN7rocprim17ROCPRIM_400000_NS6detail17trampoline_kernelINS0_14default_configENS1_25partition_config_selectorILNS1_17partition_subalgoE8ElNS0_10empty_typeEbEEZZNS1_14partition_implILS5_8ELb0ES3_jPlPS6_PKS6_NS0_5tupleIJS9_S6_EEENSD_IJSA_SA_EEENS0_18inequality_wrapperIZN2at6native12_GLOBAL__N_124unique_dim_cuda_templateIfEESt5tupleIJNSH_6TensorESM_SM_EERKSM_lbbbEUlllE0_EEPmJS6_EEE10hipError_tPvRmT3_T4_T5_T6_T7_T9_mT8_P12ihipStream_tbDpT10_ENKUlT_T0_E_clISt17integral_constantIbLb1EES1B_IbLb0EEEEDaS17_S18_EUlS17_E_NS1_11comp_targetILNS1_3genE10ELNS1_11target_archE1200ELNS1_3gpuE4ELNS1_3repE0EEENS1_30default_config_static_selectorELNS0_4arch9wavefront6targetE1EEEvT1_, .Lfunc_end950-_ZN7rocprim17ROCPRIM_400000_NS6detail17trampoline_kernelINS0_14default_configENS1_25partition_config_selectorILNS1_17partition_subalgoE8ElNS0_10empty_typeEbEEZZNS1_14partition_implILS5_8ELb0ES3_jPlPS6_PKS6_NS0_5tupleIJS9_S6_EEENSD_IJSA_SA_EEENS0_18inequality_wrapperIZN2at6native12_GLOBAL__N_124unique_dim_cuda_templateIfEESt5tupleIJNSH_6TensorESM_SM_EERKSM_lbbbEUlllE0_EEPmJS6_EEE10hipError_tPvRmT3_T4_T5_T6_T7_T9_mT8_P12ihipStream_tbDpT10_ENKUlT_T0_E_clISt17integral_constantIbLb1EES1B_IbLb0EEEEDaS17_S18_EUlS17_E_NS1_11comp_targetILNS1_3genE10ELNS1_11target_archE1200ELNS1_3gpuE4ELNS1_3repE0EEENS1_30default_config_static_selectorELNS0_4arch9wavefront6targetE1EEEvT1_
                                        ; -- End function
	.set _ZN7rocprim17ROCPRIM_400000_NS6detail17trampoline_kernelINS0_14default_configENS1_25partition_config_selectorILNS1_17partition_subalgoE8ElNS0_10empty_typeEbEEZZNS1_14partition_implILS5_8ELb0ES3_jPlPS6_PKS6_NS0_5tupleIJS9_S6_EEENSD_IJSA_SA_EEENS0_18inequality_wrapperIZN2at6native12_GLOBAL__N_124unique_dim_cuda_templateIfEESt5tupleIJNSH_6TensorESM_SM_EERKSM_lbbbEUlllE0_EEPmJS6_EEE10hipError_tPvRmT3_T4_T5_T6_T7_T9_mT8_P12ihipStream_tbDpT10_ENKUlT_T0_E_clISt17integral_constantIbLb1EES1B_IbLb0EEEEDaS17_S18_EUlS17_E_NS1_11comp_targetILNS1_3genE10ELNS1_11target_archE1200ELNS1_3gpuE4ELNS1_3repE0EEENS1_30default_config_static_selectorELNS0_4arch9wavefront6targetE1EEEvT1_.num_vgpr, 0
	.set _ZN7rocprim17ROCPRIM_400000_NS6detail17trampoline_kernelINS0_14default_configENS1_25partition_config_selectorILNS1_17partition_subalgoE8ElNS0_10empty_typeEbEEZZNS1_14partition_implILS5_8ELb0ES3_jPlPS6_PKS6_NS0_5tupleIJS9_S6_EEENSD_IJSA_SA_EEENS0_18inequality_wrapperIZN2at6native12_GLOBAL__N_124unique_dim_cuda_templateIfEESt5tupleIJNSH_6TensorESM_SM_EERKSM_lbbbEUlllE0_EEPmJS6_EEE10hipError_tPvRmT3_T4_T5_T6_T7_T9_mT8_P12ihipStream_tbDpT10_ENKUlT_T0_E_clISt17integral_constantIbLb1EES1B_IbLb0EEEEDaS17_S18_EUlS17_E_NS1_11comp_targetILNS1_3genE10ELNS1_11target_archE1200ELNS1_3gpuE4ELNS1_3repE0EEENS1_30default_config_static_selectorELNS0_4arch9wavefront6targetE1EEEvT1_.num_agpr, 0
	.set _ZN7rocprim17ROCPRIM_400000_NS6detail17trampoline_kernelINS0_14default_configENS1_25partition_config_selectorILNS1_17partition_subalgoE8ElNS0_10empty_typeEbEEZZNS1_14partition_implILS5_8ELb0ES3_jPlPS6_PKS6_NS0_5tupleIJS9_S6_EEENSD_IJSA_SA_EEENS0_18inequality_wrapperIZN2at6native12_GLOBAL__N_124unique_dim_cuda_templateIfEESt5tupleIJNSH_6TensorESM_SM_EERKSM_lbbbEUlllE0_EEPmJS6_EEE10hipError_tPvRmT3_T4_T5_T6_T7_T9_mT8_P12ihipStream_tbDpT10_ENKUlT_T0_E_clISt17integral_constantIbLb1EES1B_IbLb0EEEEDaS17_S18_EUlS17_E_NS1_11comp_targetILNS1_3genE10ELNS1_11target_archE1200ELNS1_3gpuE4ELNS1_3repE0EEENS1_30default_config_static_selectorELNS0_4arch9wavefront6targetE1EEEvT1_.numbered_sgpr, 0
	.set _ZN7rocprim17ROCPRIM_400000_NS6detail17trampoline_kernelINS0_14default_configENS1_25partition_config_selectorILNS1_17partition_subalgoE8ElNS0_10empty_typeEbEEZZNS1_14partition_implILS5_8ELb0ES3_jPlPS6_PKS6_NS0_5tupleIJS9_S6_EEENSD_IJSA_SA_EEENS0_18inequality_wrapperIZN2at6native12_GLOBAL__N_124unique_dim_cuda_templateIfEESt5tupleIJNSH_6TensorESM_SM_EERKSM_lbbbEUlllE0_EEPmJS6_EEE10hipError_tPvRmT3_T4_T5_T6_T7_T9_mT8_P12ihipStream_tbDpT10_ENKUlT_T0_E_clISt17integral_constantIbLb1EES1B_IbLb0EEEEDaS17_S18_EUlS17_E_NS1_11comp_targetILNS1_3genE10ELNS1_11target_archE1200ELNS1_3gpuE4ELNS1_3repE0EEENS1_30default_config_static_selectorELNS0_4arch9wavefront6targetE1EEEvT1_.num_named_barrier, 0
	.set _ZN7rocprim17ROCPRIM_400000_NS6detail17trampoline_kernelINS0_14default_configENS1_25partition_config_selectorILNS1_17partition_subalgoE8ElNS0_10empty_typeEbEEZZNS1_14partition_implILS5_8ELb0ES3_jPlPS6_PKS6_NS0_5tupleIJS9_S6_EEENSD_IJSA_SA_EEENS0_18inequality_wrapperIZN2at6native12_GLOBAL__N_124unique_dim_cuda_templateIfEESt5tupleIJNSH_6TensorESM_SM_EERKSM_lbbbEUlllE0_EEPmJS6_EEE10hipError_tPvRmT3_T4_T5_T6_T7_T9_mT8_P12ihipStream_tbDpT10_ENKUlT_T0_E_clISt17integral_constantIbLb1EES1B_IbLb0EEEEDaS17_S18_EUlS17_E_NS1_11comp_targetILNS1_3genE10ELNS1_11target_archE1200ELNS1_3gpuE4ELNS1_3repE0EEENS1_30default_config_static_selectorELNS0_4arch9wavefront6targetE1EEEvT1_.private_seg_size, 0
	.set _ZN7rocprim17ROCPRIM_400000_NS6detail17trampoline_kernelINS0_14default_configENS1_25partition_config_selectorILNS1_17partition_subalgoE8ElNS0_10empty_typeEbEEZZNS1_14partition_implILS5_8ELb0ES3_jPlPS6_PKS6_NS0_5tupleIJS9_S6_EEENSD_IJSA_SA_EEENS0_18inequality_wrapperIZN2at6native12_GLOBAL__N_124unique_dim_cuda_templateIfEESt5tupleIJNSH_6TensorESM_SM_EERKSM_lbbbEUlllE0_EEPmJS6_EEE10hipError_tPvRmT3_T4_T5_T6_T7_T9_mT8_P12ihipStream_tbDpT10_ENKUlT_T0_E_clISt17integral_constantIbLb1EES1B_IbLb0EEEEDaS17_S18_EUlS17_E_NS1_11comp_targetILNS1_3genE10ELNS1_11target_archE1200ELNS1_3gpuE4ELNS1_3repE0EEENS1_30default_config_static_selectorELNS0_4arch9wavefront6targetE1EEEvT1_.uses_vcc, 0
	.set _ZN7rocprim17ROCPRIM_400000_NS6detail17trampoline_kernelINS0_14default_configENS1_25partition_config_selectorILNS1_17partition_subalgoE8ElNS0_10empty_typeEbEEZZNS1_14partition_implILS5_8ELb0ES3_jPlPS6_PKS6_NS0_5tupleIJS9_S6_EEENSD_IJSA_SA_EEENS0_18inequality_wrapperIZN2at6native12_GLOBAL__N_124unique_dim_cuda_templateIfEESt5tupleIJNSH_6TensorESM_SM_EERKSM_lbbbEUlllE0_EEPmJS6_EEE10hipError_tPvRmT3_T4_T5_T6_T7_T9_mT8_P12ihipStream_tbDpT10_ENKUlT_T0_E_clISt17integral_constantIbLb1EES1B_IbLb0EEEEDaS17_S18_EUlS17_E_NS1_11comp_targetILNS1_3genE10ELNS1_11target_archE1200ELNS1_3gpuE4ELNS1_3repE0EEENS1_30default_config_static_selectorELNS0_4arch9wavefront6targetE1EEEvT1_.uses_flat_scratch, 0
	.set _ZN7rocprim17ROCPRIM_400000_NS6detail17trampoline_kernelINS0_14default_configENS1_25partition_config_selectorILNS1_17partition_subalgoE8ElNS0_10empty_typeEbEEZZNS1_14partition_implILS5_8ELb0ES3_jPlPS6_PKS6_NS0_5tupleIJS9_S6_EEENSD_IJSA_SA_EEENS0_18inequality_wrapperIZN2at6native12_GLOBAL__N_124unique_dim_cuda_templateIfEESt5tupleIJNSH_6TensorESM_SM_EERKSM_lbbbEUlllE0_EEPmJS6_EEE10hipError_tPvRmT3_T4_T5_T6_T7_T9_mT8_P12ihipStream_tbDpT10_ENKUlT_T0_E_clISt17integral_constantIbLb1EES1B_IbLb0EEEEDaS17_S18_EUlS17_E_NS1_11comp_targetILNS1_3genE10ELNS1_11target_archE1200ELNS1_3gpuE4ELNS1_3repE0EEENS1_30default_config_static_selectorELNS0_4arch9wavefront6targetE1EEEvT1_.has_dyn_sized_stack, 0
	.set _ZN7rocprim17ROCPRIM_400000_NS6detail17trampoline_kernelINS0_14default_configENS1_25partition_config_selectorILNS1_17partition_subalgoE8ElNS0_10empty_typeEbEEZZNS1_14partition_implILS5_8ELb0ES3_jPlPS6_PKS6_NS0_5tupleIJS9_S6_EEENSD_IJSA_SA_EEENS0_18inequality_wrapperIZN2at6native12_GLOBAL__N_124unique_dim_cuda_templateIfEESt5tupleIJNSH_6TensorESM_SM_EERKSM_lbbbEUlllE0_EEPmJS6_EEE10hipError_tPvRmT3_T4_T5_T6_T7_T9_mT8_P12ihipStream_tbDpT10_ENKUlT_T0_E_clISt17integral_constantIbLb1EES1B_IbLb0EEEEDaS17_S18_EUlS17_E_NS1_11comp_targetILNS1_3genE10ELNS1_11target_archE1200ELNS1_3gpuE4ELNS1_3repE0EEENS1_30default_config_static_selectorELNS0_4arch9wavefront6targetE1EEEvT1_.has_recursion, 0
	.set _ZN7rocprim17ROCPRIM_400000_NS6detail17trampoline_kernelINS0_14default_configENS1_25partition_config_selectorILNS1_17partition_subalgoE8ElNS0_10empty_typeEbEEZZNS1_14partition_implILS5_8ELb0ES3_jPlPS6_PKS6_NS0_5tupleIJS9_S6_EEENSD_IJSA_SA_EEENS0_18inequality_wrapperIZN2at6native12_GLOBAL__N_124unique_dim_cuda_templateIfEESt5tupleIJNSH_6TensorESM_SM_EERKSM_lbbbEUlllE0_EEPmJS6_EEE10hipError_tPvRmT3_T4_T5_T6_T7_T9_mT8_P12ihipStream_tbDpT10_ENKUlT_T0_E_clISt17integral_constantIbLb1EES1B_IbLb0EEEEDaS17_S18_EUlS17_E_NS1_11comp_targetILNS1_3genE10ELNS1_11target_archE1200ELNS1_3gpuE4ELNS1_3repE0EEENS1_30default_config_static_selectorELNS0_4arch9wavefront6targetE1EEEvT1_.has_indirect_call, 0
	.section	.AMDGPU.csdata,"",@progbits
; Kernel info:
; codeLenInByte = 0
; TotalNumSgprs: 6
; NumVgprs: 0
; NumAgprs: 0
; TotalNumVgprs: 0
; ScratchSize: 0
; MemoryBound: 0
; FloatMode: 240
; IeeeMode: 1
; LDSByteSize: 0 bytes/workgroup (compile time only)
; SGPRBlocks: 0
; VGPRBlocks: 0
; NumSGPRsForWavesPerEU: 6
; NumVGPRsForWavesPerEU: 1
; AccumOffset: 4
; Occupancy: 8
; WaveLimiterHint : 0
; COMPUTE_PGM_RSRC2:SCRATCH_EN: 0
; COMPUTE_PGM_RSRC2:USER_SGPR: 2
; COMPUTE_PGM_RSRC2:TRAP_HANDLER: 0
; COMPUTE_PGM_RSRC2:TGID_X_EN: 1
; COMPUTE_PGM_RSRC2:TGID_Y_EN: 0
; COMPUTE_PGM_RSRC2:TGID_Z_EN: 0
; COMPUTE_PGM_RSRC2:TIDIG_COMP_CNT: 0
; COMPUTE_PGM_RSRC3_GFX90A:ACCUM_OFFSET: 0
; COMPUTE_PGM_RSRC3_GFX90A:TG_SPLIT: 0
	.section	.text._ZN7rocprim17ROCPRIM_400000_NS6detail17trampoline_kernelINS0_14default_configENS1_25partition_config_selectorILNS1_17partition_subalgoE8ElNS0_10empty_typeEbEEZZNS1_14partition_implILS5_8ELb0ES3_jPlPS6_PKS6_NS0_5tupleIJS9_S6_EEENSD_IJSA_SA_EEENS0_18inequality_wrapperIZN2at6native12_GLOBAL__N_124unique_dim_cuda_templateIfEESt5tupleIJNSH_6TensorESM_SM_EERKSM_lbbbEUlllE0_EEPmJS6_EEE10hipError_tPvRmT3_T4_T5_T6_T7_T9_mT8_P12ihipStream_tbDpT10_ENKUlT_T0_E_clISt17integral_constantIbLb1EES1B_IbLb0EEEEDaS17_S18_EUlS17_E_NS1_11comp_targetILNS1_3genE9ELNS1_11target_archE1100ELNS1_3gpuE3ELNS1_3repE0EEENS1_30default_config_static_selectorELNS0_4arch9wavefront6targetE1EEEvT1_,"axG",@progbits,_ZN7rocprim17ROCPRIM_400000_NS6detail17trampoline_kernelINS0_14default_configENS1_25partition_config_selectorILNS1_17partition_subalgoE8ElNS0_10empty_typeEbEEZZNS1_14partition_implILS5_8ELb0ES3_jPlPS6_PKS6_NS0_5tupleIJS9_S6_EEENSD_IJSA_SA_EEENS0_18inequality_wrapperIZN2at6native12_GLOBAL__N_124unique_dim_cuda_templateIfEESt5tupleIJNSH_6TensorESM_SM_EERKSM_lbbbEUlllE0_EEPmJS6_EEE10hipError_tPvRmT3_T4_T5_T6_T7_T9_mT8_P12ihipStream_tbDpT10_ENKUlT_T0_E_clISt17integral_constantIbLb1EES1B_IbLb0EEEEDaS17_S18_EUlS17_E_NS1_11comp_targetILNS1_3genE9ELNS1_11target_archE1100ELNS1_3gpuE3ELNS1_3repE0EEENS1_30default_config_static_selectorELNS0_4arch9wavefront6targetE1EEEvT1_,comdat
	.globl	_ZN7rocprim17ROCPRIM_400000_NS6detail17trampoline_kernelINS0_14default_configENS1_25partition_config_selectorILNS1_17partition_subalgoE8ElNS0_10empty_typeEbEEZZNS1_14partition_implILS5_8ELb0ES3_jPlPS6_PKS6_NS0_5tupleIJS9_S6_EEENSD_IJSA_SA_EEENS0_18inequality_wrapperIZN2at6native12_GLOBAL__N_124unique_dim_cuda_templateIfEESt5tupleIJNSH_6TensorESM_SM_EERKSM_lbbbEUlllE0_EEPmJS6_EEE10hipError_tPvRmT3_T4_T5_T6_T7_T9_mT8_P12ihipStream_tbDpT10_ENKUlT_T0_E_clISt17integral_constantIbLb1EES1B_IbLb0EEEEDaS17_S18_EUlS17_E_NS1_11comp_targetILNS1_3genE9ELNS1_11target_archE1100ELNS1_3gpuE3ELNS1_3repE0EEENS1_30default_config_static_selectorELNS0_4arch9wavefront6targetE1EEEvT1_ ; -- Begin function _ZN7rocprim17ROCPRIM_400000_NS6detail17trampoline_kernelINS0_14default_configENS1_25partition_config_selectorILNS1_17partition_subalgoE8ElNS0_10empty_typeEbEEZZNS1_14partition_implILS5_8ELb0ES3_jPlPS6_PKS6_NS0_5tupleIJS9_S6_EEENSD_IJSA_SA_EEENS0_18inequality_wrapperIZN2at6native12_GLOBAL__N_124unique_dim_cuda_templateIfEESt5tupleIJNSH_6TensorESM_SM_EERKSM_lbbbEUlllE0_EEPmJS6_EEE10hipError_tPvRmT3_T4_T5_T6_T7_T9_mT8_P12ihipStream_tbDpT10_ENKUlT_T0_E_clISt17integral_constantIbLb1EES1B_IbLb0EEEEDaS17_S18_EUlS17_E_NS1_11comp_targetILNS1_3genE9ELNS1_11target_archE1100ELNS1_3gpuE3ELNS1_3repE0EEENS1_30default_config_static_selectorELNS0_4arch9wavefront6targetE1EEEvT1_
	.p2align	8
	.type	_ZN7rocprim17ROCPRIM_400000_NS6detail17trampoline_kernelINS0_14default_configENS1_25partition_config_selectorILNS1_17partition_subalgoE8ElNS0_10empty_typeEbEEZZNS1_14partition_implILS5_8ELb0ES3_jPlPS6_PKS6_NS0_5tupleIJS9_S6_EEENSD_IJSA_SA_EEENS0_18inequality_wrapperIZN2at6native12_GLOBAL__N_124unique_dim_cuda_templateIfEESt5tupleIJNSH_6TensorESM_SM_EERKSM_lbbbEUlllE0_EEPmJS6_EEE10hipError_tPvRmT3_T4_T5_T6_T7_T9_mT8_P12ihipStream_tbDpT10_ENKUlT_T0_E_clISt17integral_constantIbLb1EES1B_IbLb0EEEEDaS17_S18_EUlS17_E_NS1_11comp_targetILNS1_3genE9ELNS1_11target_archE1100ELNS1_3gpuE3ELNS1_3repE0EEENS1_30default_config_static_selectorELNS0_4arch9wavefront6targetE1EEEvT1_,@function
_ZN7rocprim17ROCPRIM_400000_NS6detail17trampoline_kernelINS0_14default_configENS1_25partition_config_selectorILNS1_17partition_subalgoE8ElNS0_10empty_typeEbEEZZNS1_14partition_implILS5_8ELb0ES3_jPlPS6_PKS6_NS0_5tupleIJS9_S6_EEENSD_IJSA_SA_EEENS0_18inequality_wrapperIZN2at6native12_GLOBAL__N_124unique_dim_cuda_templateIfEESt5tupleIJNSH_6TensorESM_SM_EERKSM_lbbbEUlllE0_EEPmJS6_EEE10hipError_tPvRmT3_T4_T5_T6_T7_T9_mT8_P12ihipStream_tbDpT10_ENKUlT_T0_E_clISt17integral_constantIbLb1EES1B_IbLb0EEEEDaS17_S18_EUlS17_E_NS1_11comp_targetILNS1_3genE9ELNS1_11target_archE1100ELNS1_3gpuE3ELNS1_3repE0EEENS1_30default_config_static_selectorELNS0_4arch9wavefront6targetE1EEEvT1_: ; @_ZN7rocprim17ROCPRIM_400000_NS6detail17trampoline_kernelINS0_14default_configENS1_25partition_config_selectorILNS1_17partition_subalgoE8ElNS0_10empty_typeEbEEZZNS1_14partition_implILS5_8ELb0ES3_jPlPS6_PKS6_NS0_5tupleIJS9_S6_EEENSD_IJSA_SA_EEENS0_18inequality_wrapperIZN2at6native12_GLOBAL__N_124unique_dim_cuda_templateIfEESt5tupleIJNSH_6TensorESM_SM_EERKSM_lbbbEUlllE0_EEPmJS6_EEE10hipError_tPvRmT3_T4_T5_T6_T7_T9_mT8_P12ihipStream_tbDpT10_ENKUlT_T0_E_clISt17integral_constantIbLb1EES1B_IbLb0EEEEDaS17_S18_EUlS17_E_NS1_11comp_targetILNS1_3genE9ELNS1_11target_archE1100ELNS1_3gpuE3ELNS1_3repE0EEENS1_30default_config_static_selectorELNS0_4arch9wavefront6targetE1EEEvT1_
; %bb.0:
	.section	.rodata,"a",@progbits
	.p2align	6, 0x0
	.amdhsa_kernel _ZN7rocprim17ROCPRIM_400000_NS6detail17trampoline_kernelINS0_14default_configENS1_25partition_config_selectorILNS1_17partition_subalgoE8ElNS0_10empty_typeEbEEZZNS1_14partition_implILS5_8ELb0ES3_jPlPS6_PKS6_NS0_5tupleIJS9_S6_EEENSD_IJSA_SA_EEENS0_18inequality_wrapperIZN2at6native12_GLOBAL__N_124unique_dim_cuda_templateIfEESt5tupleIJNSH_6TensorESM_SM_EERKSM_lbbbEUlllE0_EEPmJS6_EEE10hipError_tPvRmT3_T4_T5_T6_T7_T9_mT8_P12ihipStream_tbDpT10_ENKUlT_T0_E_clISt17integral_constantIbLb1EES1B_IbLb0EEEEDaS17_S18_EUlS17_E_NS1_11comp_targetILNS1_3genE9ELNS1_11target_archE1100ELNS1_3gpuE3ELNS1_3repE0EEENS1_30default_config_static_selectorELNS0_4arch9wavefront6targetE1EEEvT1_
		.amdhsa_group_segment_fixed_size 0
		.amdhsa_private_segment_fixed_size 0
		.amdhsa_kernarg_size 120
		.amdhsa_user_sgpr_count 2
		.amdhsa_user_sgpr_dispatch_ptr 0
		.amdhsa_user_sgpr_queue_ptr 0
		.amdhsa_user_sgpr_kernarg_segment_ptr 1
		.amdhsa_user_sgpr_dispatch_id 0
		.amdhsa_user_sgpr_kernarg_preload_length 0
		.amdhsa_user_sgpr_kernarg_preload_offset 0
		.amdhsa_user_sgpr_private_segment_size 0
		.amdhsa_uses_dynamic_stack 0
		.amdhsa_enable_private_segment 0
		.amdhsa_system_sgpr_workgroup_id_x 1
		.amdhsa_system_sgpr_workgroup_id_y 0
		.amdhsa_system_sgpr_workgroup_id_z 0
		.amdhsa_system_sgpr_workgroup_info 0
		.amdhsa_system_vgpr_workitem_id 0
		.amdhsa_next_free_vgpr 1
		.amdhsa_next_free_sgpr 0
		.amdhsa_accum_offset 4
		.amdhsa_reserve_vcc 0
		.amdhsa_float_round_mode_32 0
		.amdhsa_float_round_mode_16_64 0
		.amdhsa_float_denorm_mode_32 3
		.amdhsa_float_denorm_mode_16_64 3
		.amdhsa_dx10_clamp 1
		.amdhsa_ieee_mode 1
		.amdhsa_fp16_overflow 0
		.amdhsa_tg_split 0
		.amdhsa_exception_fp_ieee_invalid_op 0
		.amdhsa_exception_fp_denorm_src 0
		.amdhsa_exception_fp_ieee_div_zero 0
		.amdhsa_exception_fp_ieee_overflow 0
		.amdhsa_exception_fp_ieee_underflow 0
		.amdhsa_exception_fp_ieee_inexact 0
		.amdhsa_exception_int_div_zero 0
	.end_amdhsa_kernel
	.section	.text._ZN7rocprim17ROCPRIM_400000_NS6detail17trampoline_kernelINS0_14default_configENS1_25partition_config_selectorILNS1_17partition_subalgoE8ElNS0_10empty_typeEbEEZZNS1_14partition_implILS5_8ELb0ES3_jPlPS6_PKS6_NS0_5tupleIJS9_S6_EEENSD_IJSA_SA_EEENS0_18inequality_wrapperIZN2at6native12_GLOBAL__N_124unique_dim_cuda_templateIfEESt5tupleIJNSH_6TensorESM_SM_EERKSM_lbbbEUlllE0_EEPmJS6_EEE10hipError_tPvRmT3_T4_T5_T6_T7_T9_mT8_P12ihipStream_tbDpT10_ENKUlT_T0_E_clISt17integral_constantIbLb1EES1B_IbLb0EEEEDaS17_S18_EUlS17_E_NS1_11comp_targetILNS1_3genE9ELNS1_11target_archE1100ELNS1_3gpuE3ELNS1_3repE0EEENS1_30default_config_static_selectorELNS0_4arch9wavefront6targetE1EEEvT1_,"axG",@progbits,_ZN7rocprim17ROCPRIM_400000_NS6detail17trampoline_kernelINS0_14default_configENS1_25partition_config_selectorILNS1_17partition_subalgoE8ElNS0_10empty_typeEbEEZZNS1_14partition_implILS5_8ELb0ES3_jPlPS6_PKS6_NS0_5tupleIJS9_S6_EEENSD_IJSA_SA_EEENS0_18inequality_wrapperIZN2at6native12_GLOBAL__N_124unique_dim_cuda_templateIfEESt5tupleIJNSH_6TensorESM_SM_EERKSM_lbbbEUlllE0_EEPmJS6_EEE10hipError_tPvRmT3_T4_T5_T6_T7_T9_mT8_P12ihipStream_tbDpT10_ENKUlT_T0_E_clISt17integral_constantIbLb1EES1B_IbLb0EEEEDaS17_S18_EUlS17_E_NS1_11comp_targetILNS1_3genE9ELNS1_11target_archE1100ELNS1_3gpuE3ELNS1_3repE0EEENS1_30default_config_static_selectorELNS0_4arch9wavefront6targetE1EEEvT1_,comdat
.Lfunc_end951:
	.size	_ZN7rocprim17ROCPRIM_400000_NS6detail17trampoline_kernelINS0_14default_configENS1_25partition_config_selectorILNS1_17partition_subalgoE8ElNS0_10empty_typeEbEEZZNS1_14partition_implILS5_8ELb0ES3_jPlPS6_PKS6_NS0_5tupleIJS9_S6_EEENSD_IJSA_SA_EEENS0_18inequality_wrapperIZN2at6native12_GLOBAL__N_124unique_dim_cuda_templateIfEESt5tupleIJNSH_6TensorESM_SM_EERKSM_lbbbEUlllE0_EEPmJS6_EEE10hipError_tPvRmT3_T4_T5_T6_T7_T9_mT8_P12ihipStream_tbDpT10_ENKUlT_T0_E_clISt17integral_constantIbLb1EES1B_IbLb0EEEEDaS17_S18_EUlS17_E_NS1_11comp_targetILNS1_3genE9ELNS1_11target_archE1100ELNS1_3gpuE3ELNS1_3repE0EEENS1_30default_config_static_selectorELNS0_4arch9wavefront6targetE1EEEvT1_, .Lfunc_end951-_ZN7rocprim17ROCPRIM_400000_NS6detail17trampoline_kernelINS0_14default_configENS1_25partition_config_selectorILNS1_17partition_subalgoE8ElNS0_10empty_typeEbEEZZNS1_14partition_implILS5_8ELb0ES3_jPlPS6_PKS6_NS0_5tupleIJS9_S6_EEENSD_IJSA_SA_EEENS0_18inequality_wrapperIZN2at6native12_GLOBAL__N_124unique_dim_cuda_templateIfEESt5tupleIJNSH_6TensorESM_SM_EERKSM_lbbbEUlllE0_EEPmJS6_EEE10hipError_tPvRmT3_T4_T5_T6_T7_T9_mT8_P12ihipStream_tbDpT10_ENKUlT_T0_E_clISt17integral_constantIbLb1EES1B_IbLb0EEEEDaS17_S18_EUlS17_E_NS1_11comp_targetILNS1_3genE9ELNS1_11target_archE1100ELNS1_3gpuE3ELNS1_3repE0EEENS1_30default_config_static_selectorELNS0_4arch9wavefront6targetE1EEEvT1_
                                        ; -- End function
	.set _ZN7rocprim17ROCPRIM_400000_NS6detail17trampoline_kernelINS0_14default_configENS1_25partition_config_selectorILNS1_17partition_subalgoE8ElNS0_10empty_typeEbEEZZNS1_14partition_implILS5_8ELb0ES3_jPlPS6_PKS6_NS0_5tupleIJS9_S6_EEENSD_IJSA_SA_EEENS0_18inequality_wrapperIZN2at6native12_GLOBAL__N_124unique_dim_cuda_templateIfEESt5tupleIJNSH_6TensorESM_SM_EERKSM_lbbbEUlllE0_EEPmJS6_EEE10hipError_tPvRmT3_T4_T5_T6_T7_T9_mT8_P12ihipStream_tbDpT10_ENKUlT_T0_E_clISt17integral_constantIbLb1EES1B_IbLb0EEEEDaS17_S18_EUlS17_E_NS1_11comp_targetILNS1_3genE9ELNS1_11target_archE1100ELNS1_3gpuE3ELNS1_3repE0EEENS1_30default_config_static_selectorELNS0_4arch9wavefront6targetE1EEEvT1_.num_vgpr, 0
	.set _ZN7rocprim17ROCPRIM_400000_NS6detail17trampoline_kernelINS0_14default_configENS1_25partition_config_selectorILNS1_17partition_subalgoE8ElNS0_10empty_typeEbEEZZNS1_14partition_implILS5_8ELb0ES3_jPlPS6_PKS6_NS0_5tupleIJS9_S6_EEENSD_IJSA_SA_EEENS0_18inequality_wrapperIZN2at6native12_GLOBAL__N_124unique_dim_cuda_templateIfEESt5tupleIJNSH_6TensorESM_SM_EERKSM_lbbbEUlllE0_EEPmJS6_EEE10hipError_tPvRmT3_T4_T5_T6_T7_T9_mT8_P12ihipStream_tbDpT10_ENKUlT_T0_E_clISt17integral_constantIbLb1EES1B_IbLb0EEEEDaS17_S18_EUlS17_E_NS1_11comp_targetILNS1_3genE9ELNS1_11target_archE1100ELNS1_3gpuE3ELNS1_3repE0EEENS1_30default_config_static_selectorELNS0_4arch9wavefront6targetE1EEEvT1_.num_agpr, 0
	.set _ZN7rocprim17ROCPRIM_400000_NS6detail17trampoline_kernelINS0_14default_configENS1_25partition_config_selectorILNS1_17partition_subalgoE8ElNS0_10empty_typeEbEEZZNS1_14partition_implILS5_8ELb0ES3_jPlPS6_PKS6_NS0_5tupleIJS9_S6_EEENSD_IJSA_SA_EEENS0_18inequality_wrapperIZN2at6native12_GLOBAL__N_124unique_dim_cuda_templateIfEESt5tupleIJNSH_6TensorESM_SM_EERKSM_lbbbEUlllE0_EEPmJS6_EEE10hipError_tPvRmT3_T4_T5_T6_T7_T9_mT8_P12ihipStream_tbDpT10_ENKUlT_T0_E_clISt17integral_constantIbLb1EES1B_IbLb0EEEEDaS17_S18_EUlS17_E_NS1_11comp_targetILNS1_3genE9ELNS1_11target_archE1100ELNS1_3gpuE3ELNS1_3repE0EEENS1_30default_config_static_selectorELNS0_4arch9wavefront6targetE1EEEvT1_.numbered_sgpr, 0
	.set _ZN7rocprim17ROCPRIM_400000_NS6detail17trampoline_kernelINS0_14default_configENS1_25partition_config_selectorILNS1_17partition_subalgoE8ElNS0_10empty_typeEbEEZZNS1_14partition_implILS5_8ELb0ES3_jPlPS6_PKS6_NS0_5tupleIJS9_S6_EEENSD_IJSA_SA_EEENS0_18inequality_wrapperIZN2at6native12_GLOBAL__N_124unique_dim_cuda_templateIfEESt5tupleIJNSH_6TensorESM_SM_EERKSM_lbbbEUlllE0_EEPmJS6_EEE10hipError_tPvRmT3_T4_T5_T6_T7_T9_mT8_P12ihipStream_tbDpT10_ENKUlT_T0_E_clISt17integral_constantIbLb1EES1B_IbLb0EEEEDaS17_S18_EUlS17_E_NS1_11comp_targetILNS1_3genE9ELNS1_11target_archE1100ELNS1_3gpuE3ELNS1_3repE0EEENS1_30default_config_static_selectorELNS0_4arch9wavefront6targetE1EEEvT1_.num_named_barrier, 0
	.set _ZN7rocprim17ROCPRIM_400000_NS6detail17trampoline_kernelINS0_14default_configENS1_25partition_config_selectorILNS1_17partition_subalgoE8ElNS0_10empty_typeEbEEZZNS1_14partition_implILS5_8ELb0ES3_jPlPS6_PKS6_NS0_5tupleIJS9_S6_EEENSD_IJSA_SA_EEENS0_18inequality_wrapperIZN2at6native12_GLOBAL__N_124unique_dim_cuda_templateIfEESt5tupleIJNSH_6TensorESM_SM_EERKSM_lbbbEUlllE0_EEPmJS6_EEE10hipError_tPvRmT3_T4_T5_T6_T7_T9_mT8_P12ihipStream_tbDpT10_ENKUlT_T0_E_clISt17integral_constantIbLb1EES1B_IbLb0EEEEDaS17_S18_EUlS17_E_NS1_11comp_targetILNS1_3genE9ELNS1_11target_archE1100ELNS1_3gpuE3ELNS1_3repE0EEENS1_30default_config_static_selectorELNS0_4arch9wavefront6targetE1EEEvT1_.private_seg_size, 0
	.set _ZN7rocprim17ROCPRIM_400000_NS6detail17trampoline_kernelINS0_14default_configENS1_25partition_config_selectorILNS1_17partition_subalgoE8ElNS0_10empty_typeEbEEZZNS1_14partition_implILS5_8ELb0ES3_jPlPS6_PKS6_NS0_5tupleIJS9_S6_EEENSD_IJSA_SA_EEENS0_18inequality_wrapperIZN2at6native12_GLOBAL__N_124unique_dim_cuda_templateIfEESt5tupleIJNSH_6TensorESM_SM_EERKSM_lbbbEUlllE0_EEPmJS6_EEE10hipError_tPvRmT3_T4_T5_T6_T7_T9_mT8_P12ihipStream_tbDpT10_ENKUlT_T0_E_clISt17integral_constantIbLb1EES1B_IbLb0EEEEDaS17_S18_EUlS17_E_NS1_11comp_targetILNS1_3genE9ELNS1_11target_archE1100ELNS1_3gpuE3ELNS1_3repE0EEENS1_30default_config_static_selectorELNS0_4arch9wavefront6targetE1EEEvT1_.uses_vcc, 0
	.set _ZN7rocprim17ROCPRIM_400000_NS6detail17trampoline_kernelINS0_14default_configENS1_25partition_config_selectorILNS1_17partition_subalgoE8ElNS0_10empty_typeEbEEZZNS1_14partition_implILS5_8ELb0ES3_jPlPS6_PKS6_NS0_5tupleIJS9_S6_EEENSD_IJSA_SA_EEENS0_18inequality_wrapperIZN2at6native12_GLOBAL__N_124unique_dim_cuda_templateIfEESt5tupleIJNSH_6TensorESM_SM_EERKSM_lbbbEUlllE0_EEPmJS6_EEE10hipError_tPvRmT3_T4_T5_T6_T7_T9_mT8_P12ihipStream_tbDpT10_ENKUlT_T0_E_clISt17integral_constantIbLb1EES1B_IbLb0EEEEDaS17_S18_EUlS17_E_NS1_11comp_targetILNS1_3genE9ELNS1_11target_archE1100ELNS1_3gpuE3ELNS1_3repE0EEENS1_30default_config_static_selectorELNS0_4arch9wavefront6targetE1EEEvT1_.uses_flat_scratch, 0
	.set _ZN7rocprim17ROCPRIM_400000_NS6detail17trampoline_kernelINS0_14default_configENS1_25partition_config_selectorILNS1_17partition_subalgoE8ElNS0_10empty_typeEbEEZZNS1_14partition_implILS5_8ELb0ES3_jPlPS6_PKS6_NS0_5tupleIJS9_S6_EEENSD_IJSA_SA_EEENS0_18inequality_wrapperIZN2at6native12_GLOBAL__N_124unique_dim_cuda_templateIfEESt5tupleIJNSH_6TensorESM_SM_EERKSM_lbbbEUlllE0_EEPmJS6_EEE10hipError_tPvRmT3_T4_T5_T6_T7_T9_mT8_P12ihipStream_tbDpT10_ENKUlT_T0_E_clISt17integral_constantIbLb1EES1B_IbLb0EEEEDaS17_S18_EUlS17_E_NS1_11comp_targetILNS1_3genE9ELNS1_11target_archE1100ELNS1_3gpuE3ELNS1_3repE0EEENS1_30default_config_static_selectorELNS0_4arch9wavefront6targetE1EEEvT1_.has_dyn_sized_stack, 0
	.set _ZN7rocprim17ROCPRIM_400000_NS6detail17trampoline_kernelINS0_14default_configENS1_25partition_config_selectorILNS1_17partition_subalgoE8ElNS0_10empty_typeEbEEZZNS1_14partition_implILS5_8ELb0ES3_jPlPS6_PKS6_NS0_5tupleIJS9_S6_EEENSD_IJSA_SA_EEENS0_18inequality_wrapperIZN2at6native12_GLOBAL__N_124unique_dim_cuda_templateIfEESt5tupleIJNSH_6TensorESM_SM_EERKSM_lbbbEUlllE0_EEPmJS6_EEE10hipError_tPvRmT3_T4_T5_T6_T7_T9_mT8_P12ihipStream_tbDpT10_ENKUlT_T0_E_clISt17integral_constantIbLb1EES1B_IbLb0EEEEDaS17_S18_EUlS17_E_NS1_11comp_targetILNS1_3genE9ELNS1_11target_archE1100ELNS1_3gpuE3ELNS1_3repE0EEENS1_30default_config_static_selectorELNS0_4arch9wavefront6targetE1EEEvT1_.has_recursion, 0
	.set _ZN7rocprim17ROCPRIM_400000_NS6detail17trampoline_kernelINS0_14default_configENS1_25partition_config_selectorILNS1_17partition_subalgoE8ElNS0_10empty_typeEbEEZZNS1_14partition_implILS5_8ELb0ES3_jPlPS6_PKS6_NS0_5tupleIJS9_S6_EEENSD_IJSA_SA_EEENS0_18inequality_wrapperIZN2at6native12_GLOBAL__N_124unique_dim_cuda_templateIfEESt5tupleIJNSH_6TensorESM_SM_EERKSM_lbbbEUlllE0_EEPmJS6_EEE10hipError_tPvRmT3_T4_T5_T6_T7_T9_mT8_P12ihipStream_tbDpT10_ENKUlT_T0_E_clISt17integral_constantIbLb1EES1B_IbLb0EEEEDaS17_S18_EUlS17_E_NS1_11comp_targetILNS1_3genE9ELNS1_11target_archE1100ELNS1_3gpuE3ELNS1_3repE0EEENS1_30default_config_static_selectorELNS0_4arch9wavefront6targetE1EEEvT1_.has_indirect_call, 0
	.section	.AMDGPU.csdata,"",@progbits
; Kernel info:
; codeLenInByte = 0
; TotalNumSgprs: 6
; NumVgprs: 0
; NumAgprs: 0
; TotalNumVgprs: 0
; ScratchSize: 0
; MemoryBound: 0
; FloatMode: 240
; IeeeMode: 1
; LDSByteSize: 0 bytes/workgroup (compile time only)
; SGPRBlocks: 0
; VGPRBlocks: 0
; NumSGPRsForWavesPerEU: 6
; NumVGPRsForWavesPerEU: 1
; AccumOffset: 4
; Occupancy: 8
; WaveLimiterHint : 0
; COMPUTE_PGM_RSRC2:SCRATCH_EN: 0
; COMPUTE_PGM_RSRC2:USER_SGPR: 2
; COMPUTE_PGM_RSRC2:TRAP_HANDLER: 0
; COMPUTE_PGM_RSRC2:TGID_X_EN: 1
; COMPUTE_PGM_RSRC2:TGID_Y_EN: 0
; COMPUTE_PGM_RSRC2:TGID_Z_EN: 0
; COMPUTE_PGM_RSRC2:TIDIG_COMP_CNT: 0
; COMPUTE_PGM_RSRC3_GFX90A:ACCUM_OFFSET: 0
; COMPUTE_PGM_RSRC3_GFX90A:TG_SPLIT: 0
	.section	.text._ZN7rocprim17ROCPRIM_400000_NS6detail17trampoline_kernelINS0_14default_configENS1_25partition_config_selectorILNS1_17partition_subalgoE8ElNS0_10empty_typeEbEEZZNS1_14partition_implILS5_8ELb0ES3_jPlPS6_PKS6_NS0_5tupleIJS9_S6_EEENSD_IJSA_SA_EEENS0_18inequality_wrapperIZN2at6native12_GLOBAL__N_124unique_dim_cuda_templateIfEESt5tupleIJNSH_6TensorESM_SM_EERKSM_lbbbEUlllE0_EEPmJS6_EEE10hipError_tPvRmT3_T4_T5_T6_T7_T9_mT8_P12ihipStream_tbDpT10_ENKUlT_T0_E_clISt17integral_constantIbLb1EES1B_IbLb0EEEEDaS17_S18_EUlS17_E_NS1_11comp_targetILNS1_3genE8ELNS1_11target_archE1030ELNS1_3gpuE2ELNS1_3repE0EEENS1_30default_config_static_selectorELNS0_4arch9wavefront6targetE1EEEvT1_,"axG",@progbits,_ZN7rocprim17ROCPRIM_400000_NS6detail17trampoline_kernelINS0_14default_configENS1_25partition_config_selectorILNS1_17partition_subalgoE8ElNS0_10empty_typeEbEEZZNS1_14partition_implILS5_8ELb0ES3_jPlPS6_PKS6_NS0_5tupleIJS9_S6_EEENSD_IJSA_SA_EEENS0_18inequality_wrapperIZN2at6native12_GLOBAL__N_124unique_dim_cuda_templateIfEESt5tupleIJNSH_6TensorESM_SM_EERKSM_lbbbEUlllE0_EEPmJS6_EEE10hipError_tPvRmT3_T4_T5_T6_T7_T9_mT8_P12ihipStream_tbDpT10_ENKUlT_T0_E_clISt17integral_constantIbLb1EES1B_IbLb0EEEEDaS17_S18_EUlS17_E_NS1_11comp_targetILNS1_3genE8ELNS1_11target_archE1030ELNS1_3gpuE2ELNS1_3repE0EEENS1_30default_config_static_selectorELNS0_4arch9wavefront6targetE1EEEvT1_,comdat
	.globl	_ZN7rocprim17ROCPRIM_400000_NS6detail17trampoline_kernelINS0_14default_configENS1_25partition_config_selectorILNS1_17partition_subalgoE8ElNS0_10empty_typeEbEEZZNS1_14partition_implILS5_8ELb0ES3_jPlPS6_PKS6_NS0_5tupleIJS9_S6_EEENSD_IJSA_SA_EEENS0_18inequality_wrapperIZN2at6native12_GLOBAL__N_124unique_dim_cuda_templateIfEESt5tupleIJNSH_6TensorESM_SM_EERKSM_lbbbEUlllE0_EEPmJS6_EEE10hipError_tPvRmT3_T4_T5_T6_T7_T9_mT8_P12ihipStream_tbDpT10_ENKUlT_T0_E_clISt17integral_constantIbLb1EES1B_IbLb0EEEEDaS17_S18_EUlS17_E_NS1_11comp_targetILNS1_3genE8ELNS1_11target_archE1030ELNS1_3gpuE2ELNS1_3repE0EEENS1_30default_config_static_selectorELNS0_4arch9wavefront6targetE1EEEvT1_ ; -- Begin function _ZN7rocprim17ROCPRIM_400000_NS6detail17trampoline_kernelINS0_14default_configENS1_25partition_config_selectorILNS1_17partition_subalgoE8ElNS0_10empty_typeEbEEZZNS1_14partition_implILS5_8ELb0ES3_jPlPS6_PKS6_NS0_5tupleIJS9_S6_EEENSD_IJSA_SA_EEENS0_18inequality_wrapperIZN2at6native12_GLOBAL__N_124unique_dim_cuda_templateIfEESt5tupleIJNSH_6TensorESM_SM_EERKSM_lbbbEUlllE0_EEPmJS6_EEE10hipError_tPvRmT3_T4_T5_T6_T7_T9_mT8_P12ihipStream_tbDpT10_ENKUlT_T0_E_clISt17integral_constantIbLb1EES1B_IbLb0EEEEDaS17_S18_EUlS17_E_NS1_11comp_targetILNS1_3genE8ELNS1_11target_archE1030ELNS1_3gpuE2ELNS1_3repE0EEENS1_30default_config_static_selectorELNS0_4arch9wavefront6targetE1EEEvT1_
	.p2align	8
	.type	_ZN7rocprim17ROCPRIM_400000_NS6detail17trampoline_kernelINS0_14default_configENS1_25partition_config_selectorILNS1_17partition_subalgoE8ElNS0_10empty_typeEbEEZZNS1_14partition_implILS5_8ELb0ES3_jPlPS6_PKS6_NS0_5tupleIJS9_S6_EEENSD_IJSA_SA_EEENS0_18inequality_wrapperIZN2at6native12_GLOBAL__N_124unique_dim_cuda_templateIfEESt5tupleIJNSH_6TensorESM_SM_EERKSM_lbbbEUlllE0_EEPmJS6_EEE10hipError_tPvRmT3_T4_T5_T6_T7_T9_mT8_P12ihipStream_tbDpT10_ENKUlT_T0_E_clISt17integral_constantIbLb1EES1B_IbLb0EEEEDaS17_S18_EUlS17_E_NS1_11comp_targetILNS1_3genE8ELNS1_11target_archE1030ELNS1_3gpuE2ELNS1_3repE0EEENS1_30default_config_static_selectorELNS0_4arch9wavefront6targetE1EEEvT1_,@function
_ZN7rocprim17ROCPRIM_400000_NS6detail17trampoline_kernelINS0_14default_configENS1_25partition_config_selectorILNS1_17partition_subalgoE8ElNS0_10empty_typeEbEEZZNS1_14partition_implILS5_8ELb0ES3_jPlPS6_PKS6_NS0_5tupleIJS9_S6_EEENSD_IJSA_SA_EEENS0_18inequality_wrapperIZN2at6native12_GLOBAL__N_124unique_dim_cuda_templateIfEESt5tupleIJNSH_6TensorESM_SM_EERKSM_lbbbEUlllE0_EEPmJS6_EEE10hipError_tPvRmT3_T4_T5_T6_T7_T9_mT8_P12ihipStream_tbDpT10_ENKUlT_T0_E_clISt17integral_constantIbLb1EES1B_IbLb0EEEEDaS17_S18_EUlS17_E_NS1_11comp_targetILNS1_3genE8ELNS1_11target_archE1030ELNS1_3gpuE2ELNS1_3repE0EEENS1_30default_config_static_selectorELNS0_4arch9wavefront6targetE1EEEvT1_: ; @_ZN7rocprim17ROCPRIM_400000_NS6detail17trampoline_kernelINS0_14default_configENS1_25partition_config_selectorILNS1_17partition_subalgoE8ElNS0_10empty_typeEbEEZZNS1_14partition_implILS5_8ELb0ES3_jPlPS6_PKS6_NS0_5tupleIJS9_S6_EEENSD_IJSA_SA_EEENS0_18inequality_wrapperIZN2at6native12_GLOBAL__N_124unique_dim_cuda_templateIfEESt5tupleIJNSH_6TensorESM_SM_EERKSM_lbbbEUlllE0_EEPmJS6_EEE10hipError_tPvRmT3_T4_T5_T6_T7_T9_mT8_P12ihipStream_tbDpT10_ENKUlT_T0_E_clISt17integral_constantIbLb1EES1B_IbLb0EEEEDaS17_S18_EUlS17_E_NS1_11comp_targetILNS1_3genE8ELNS1_11target_archE1030ELNS1_3gpuE2ELNS1_3repE0EEENS1_30default_config_static_selectorELNS0_4arch9wavefront6targetE1EEEvT1_
; %bb.0:
	.section	.rodata,"a",@progbits
	.p2align	6, 0x0
	.amdhsa_kernel _ZN7rocprim17ROCPRIM_400000_NS6detail17trampoline_kernelINS0_14default_configENS1_25partition_config_selectorILNS1_17partition_subalgoE8ElNS0_10empty_typeEbEEZZNS1_14partition_implILS5_8ELb0ES3_jPlPS6_PKS6_NS0_5tupleIJS9_S6_EEENSD_IJSA_SA_EEENS0_18inequality_wrapperIZN2at6native12_GLOBAL__N_124unique_dim_cuda_templateIfEESt5tupleIJNSH_6TensorESM_SM_EERKSM_lbbbEUlllE0_EEPmJS6_EEE10hipError_tPvRmT3_T4_T5_T6_T7_T9_mT8_P12ihipStream_tbDpT10_ENKUlT_T0_E_clISt17integral_constantIbLb1EES1B_IbLb0EEEEDaS17_S18_EUlS17_E_NS1_11comp_targetILNS1_3genE8ELNS1_11target_archE1030ELNS1_3gpuE2ELNS1_3repE0EEENS1_30default_config_static_selectorELNS0_4arch9wavefront6targetE1EEEvT1_
		.amdhsa_group_segment_fixed_size 0
		.amdhsa_private_segment_fixed_size 0
		.amdhsa_kernarg_size 120
		.amdhsa_user_sgpr_count 2
		.amdhsa_user_sgpr_dispatch_ptr 0
		.amdhsa_user_sgpr_queue_ptr 0
		.amdhsa_user_sgpr_kernarg_segment_ptr 1
		.amdhsa_user_sgpr_dispatch_id 0
		.amdhsa_user_sgpr_kernarg_preload_length 0
		.amdhsa_user_sgpr_kernarg_preload_offset 0
		.amdhsa_user_sgpr_private_segment_size 0
		.amdhsa_uses_dynamic_stack 0
		.amdhsa_enable_private_segment 0
		.amdhsa_system_sgpr_workgroup_id_x 1
		.amdhsa_system_sgpr_workgroup_id_y 0
		.amdhsa_system_sgpr_workgroup_id_z 0
		.amdhsa_system_sgpr_workgroup_info 0
		.amdhsa_system_vgpr_workitem_id 0
		.amdhsa_next_free_vgpr 1
		.amdhsa_next_free_sgpr 0
		.amdhsa_accum_offset 4
		.amdhsa_reserve_vcc 0
		.amdhsa_float_round_mode_32 0
		.amdhsa_float_round_mode_16_64 0
		.amdhsa_float_denorm_mode_32 3
		.amdhsa_float_denorm_mode_16_64 3
		.amdhsa_dx10_clamp 1
		.amdhsa_ieee_mode 1
		.amdhsa_fp16_overflow 0
		.amdhsa_tg_split 0
		.amdhsa_exception_fp_ieee_invalid_op 0
		.amdhsa_exception_fp_denorm_src 0
		.amdhsa_exception_fp_ieee_div_zero 0
		.amdhsa_exception_fp_ieee_overflow 0
		.amdhsa_exception_fp_ieee_underflow 0
		.amdhsa_exception_fp_ieee_inexact 0
		.amdhsa_exception_int_div_zero 0
	.end_amdhsa_kernel
	.section	.text._ZN7rocprim17ROCPRIM_400000_NS6detail17trampoline_kernelINS0_14default_configENS1_25partition_config_selectorILNS1_17partition_subalgoE8ElNS0_10empty_typeEbEEZZNS1_14partition_implILS5_8ELb0ES3_jPlPS6_PKS6_NS0_5tupleIJS9_S6_EEENSD_IJSA_SA_EEENS0_18inequality_wrapperIZN2at6native12_GLOBAL__N_124unique_dim_cuda_templateIfEESt5tupleIJNSH_6TensorESM_SM_EERKSM_lbbbEUlllE0_EEPmJS6_EEE10hipError_tPvRmT3_T4_T5_T6_T7_T9_mT8_P12ihipStream_tbDpT10_ENKUlT_T0_E_clISt17integral_constantIbLb1EES1B_IbLb0EEEEDaS17_S18_EUlS17_E_NS1_11comp_targetILNS1_3genE8ELNS1_11target_archE1030ELNS1_3gpuE2ELNS1_3repE0EEENS1_30default_config_static_selectorELNS0_4arch9wavefront6targetE1EEEvT1_,"axG",@progbits,_ZN7rocprim17ROCPRIM_400000_NS6detail17trampoline_kernelINS0_14default_configENS1_25partition_config_selectorILNS1_17partition_subalgoE8ElNS0_10empty_typeEbEEZZNS1_14partition_implILS5_8ELb0ES3_jPlPS6_PKS6_NS0_5tupleIJS9_S6_EEENSD_IJSA_SA_EEENS0_18inequality_wrapperIZN2at6native12_GLOBAL__N_124unique_dim_cuda_templateIfEESt5tupleIJNSH_6TensorESM_SM_EERKSM_lbbbEUlllE0_EEPmJS6_EEE10hipError_tPvRmT3_T4_T5_T6_T7_T9_mT8_P12ihipStream_tbDpT10_ENKUlT_T0_E_clISt17integral_constantIbLb1EES1B_IbLb0EEEEDaS17_S18_EUlS17_E_NS1_11comp_targetILNS1_3genE8ELNS1_11target_archE1030ELNS1_3gpuE2ELNS1_3repE0EEENS1_30default_config_static_selectorELNS0_4arch9wavefront6targetE1EEEvT1_,comdat
.Lfunc_end952:
	.size	_ZN7rocprim17ROCPRIM_400000_NS6detail17trampoline_kernelINS0_14default_configENS1_25partition_config_selectorILNS1_17partition_subalgoE8ElNS0_10empty_typeEbEEZZNS1_14partition_implILS5_8ELb0ES3_jPlPS6_PKS6_NS0_5tupleIJS9_S6_EEENSD_IJSA_SA_EEENS0_18inequality_wrapperIZN2at6native12_GLOBAL__N_124unique_dim_cuda_templateIfEESt5tupleIJNSH_6TensorESM_SM_EERKSM_lbbbEUlllE0_EEPmJS6_EEE10hipError_tPvRmT3_T4_T5_T6_T7_T9_mT8_P12ihipStream_tbDpT10_ENKUlT_T0_E_clISt17integral_constantIbLb1EES1B_IbLb0EEEEDaS17_S18_EUlS17_E_NS1_11comp_targetILNS1_3genE8ELNS1_11target_archE1030ELNS1_3gpuE2ELNS1_3repE0EEENS1_30default_config_static_selectorELNS0_4arch9wavefront6targetE1EEEvT1_, .Lfunc_end952-_ZN7rocprim17ROCPRIM_400000_NS6detail17trampoline_kernelINS0_14default_configENS1_25partition_config_selectorILNS1_17partition_subalgoE8ElNS0_10empty_typeEbEEZZNS1_14partition_implILS5_8ELb0ES3_jPlPS6_PKS6_NS0_5tupleIJS9_S6_EEENSD_IJSA_SA_EEENS0_18inequality_wrapperIZN2at6native12_GLOBAL__N_124unique_dim_cuda_templateIfEESt5tupleIJNSH_6TensorESM_SM_EERKSM_lbbbEUlllE0_EEPmJS6_EEE10hipError_tPvRmT3_T4_T5_T6_T7_T9_mT8_P12ihipStream_tbDpT10_ENKUlT_T0_E_clISt17integral_constantIbLb1EES1B_IbLb0EEEEDaS17_S18_EUlS17_E_NS1_11comp_targetILNS1_3genE8ELNS1_11target_archE1030ELNS1_3gpuE2ELNS1_3repE0EEENS1_30default_config_static_selectorELNS0_4arch9wavefront6targetE1EEEvT1_
                                        ; -- End function
	.set _ZN7rocprim17ROCPRIM_400000_NS6detail17trampoline_kernelINS0_14default_configENS1_25partition_config_selectorILNS1_17partition_subalgoE8ElNS0_10empty_typeEbEEZZNS1_14partition_implILS5_8ELb0ES3_jPlPS6_PKS6_NS0_5tupleIJS9_S6_EEENSD_IJSA_SA_EEENS0_18inequality_wrapperIZN2at6native12_GLOBAL__N_124unique_dim_cuda_templateIfEESt5tupleIJNSH_6TensorESM_SM_EERKSM_lbbbEUlllE0_EEPmJS6_EEE10hipError_tPvRmT3_T4_T5_T6_T7_T9_mT8_P12ihipStream_tbDpT10_ENKUlT_T0_E_clISt17integral_constantIbLb1EES1B_IbLb0EEEEDaS17_S18_EUlS17_E_NS1_11comp_targetILNS1_3genE8ELNS1_11target_archE1030ELNS1_3gpuE2ELNS1_3repE0EEENS1_30default_config_static_selectorELNS0_4arch9wavefront6targetE1EEEvT1_.num_vgpr, 0
	.set _ZN7rocprim17ROCPRIM_400000_NS6detail17trampoline_kernelINS0_14default_configENS1_25partition_config_selectorILNS1_17partition_subalgoE8ElNS0_10empty_typeEbEEZZNS1_14partition_implILS5_8ELb0ES3_jPlPS6_PKS6_NS0_5tupleIJS9_S6_EEENSD_IJSA_SA_EEENS0_18inequality_wrapperIZN2at6native12_GLOBAL__N_124unique_dim_cuda_templateIfEESt5tupleIJNSH_6TensorESM_SM_EERKSM_lbbbEUlllE0_EEPmJS6_EEE10hipError_tPvRmT3_T4_T5_T6_T7_T9_mT8_P12ihipStream_tbDpT10_ENKUlT_T0_E_clISt17integral_constantIbLb1EES1B_IbLb0EEEEDaS17_S18_EUlS17_E_NS1_11comp_targetILNS1_3genE8ELNS1_11target_archE1030ELNS1_3gpuE2ELNS1_3repE0EEENS1_30default_config_static_selectorELNS0_4arch9wavefront6targetE1EEEvT1_.num_agpr, 0
	.set _ZN7rocprim17ROCPRIM_400000_NS6detail17trampoline_kernelINS0_14default_configENS1_25partition_config_selectorILNS1_17partition_subalgoE8ElNS0_10empty_typeEbEEZZNS1_14partition_implILS5_8ELb0ES3_jPlPS6_PKS6_NS0_5tupleIJS9_S6_EEENSD_IJSA_SA_EEENS0_18inequality_wrapperIZN2at6native12_GLOBAL__N_124unique_dim_cuda_templateIfEESt5tupleIJNSH_6TensorESM_SM_EERKSM_lbbbEUlllE0_EEPmJS6_EEE10hipError_tPvRmT3_T4_T5_T6_T7_T9_mT8_P12ihipStream_tbDpT10_ENKUlT_T0_E_clISt17integral_constantIbLb1EES1B_IbLb0EEEEDaS17_S18_EUlS17_E_NS1_11comp_targetILNS1_3genE8ELNS1_11target_archE1030ELNS1_3gpuE2ELNS1_3repE0EEENS1_30default_config_static_selectorELNS0_4arch9wavefront6targetE1EEEvT1_.numbered_sgpr, 0
	.set _ZN7rocprim17ROCPRIM_400000_NS6detail17trampoline_kernelINS0_14default_configENS1_25partition_config_selectorILNS1_17partition_subalgoE8ElNS0_10empty_typeEbEEZZNS1_14partition_implILS5_8ELb0ES3_jPlPS6_PKS6_NS0_5tupleIJS9_S6_EEENSD_IJSA_SA_EEENS0_18inequality_wrapperIZN2at6native12_GLOBAL__N_124unique_dim_cuda_templateIfEESt5tupleIJNSH_6TensorESM_SM_EERKSM_lbbbEUlllE0_EEPmJS6_EEE10hipError_tPvRmT3_T4_T5_T6_T7_T9_mT8_P12ihipStream_tbDpT10_ENKUlT_T0_E_clISt17integral_constantIbLb1EES1B_IbLb0EEEEDaS17_S18_EUlS17_E_NS1_11comp_targetILNS1_3genE8ELNS1_11target_archE1030ELNS1_3gpuE2ELNS1_3repE0EEENS1_30default_config_static_selectorELNS0_4arch9wavefront6targetE1EEEvT1_.num_named_barrier, 0
	.set _ZN7rocprim17ROCPRIM_400000_NS6detail17trampoline_kernelINS0_14default_configENS1_25partition_config_selectorILNS1_17partition_subalgoE8ElNS0_10empty_typeEbEEZZNS1_14partition_implILS5_8ELb0ES3_jPlPS6_PKS6_NS0_5tupleIJS9_S6_EEENSD_IJSA_SA_EEENS0_18inequality_wrapperIZN2at6native12_GLOBAL__N_124unique_dim_cuda_templateIfEESt5tupleIJNSH_6TensorESM_SM_EERKSM_lbbbEUlllE0_EEPmJS6_EEE10hipError_tPvRmT3_T4_T5_T6_T7_T9_mT8_P12ihipStream_tbDpT10_ENKUlT_T0_E_clISt17integral_constantIbLb1EES1B_IbLb0EEEEDaS17_S18_EUlS17_E_NS1_11comp_targetILNS1_3genE8ELNS1_11target_archE1030ELNS1_3gpuE2ELNS1_3repE0EEENS1_30default_config_static_selectorELNS0_4arch9wavefront6targetE1EEEvT1_.private_seg_size, 0
	.set _ZN7rocprim17ROCPRIM_400000_NS6detail17trampoline_kernelINS0_14default_configENS1_25partition_config_selectorILNS1_17partition_subalgoE8ElNS0_10empty_typeEbEEZZNS1_14partition_implILS5_8ELb0ES3_jPlPS6_PKS6_NS0_5tupleIJS9_S6_EEENSD_IJSA_SA_EEENS0_18inequality_wrapperIZN2at6native12_GLOBAL__N_124unique_dim_cuda_templateIfEESt5tupleIJNSH_6TensorESM_SM_EERKSM_lbbbEUlllE0_EEPmJS6_EEE10hipError_tPvRmT3_T4_T5_T6_T7_T9_mT8_P12ihipStream_tbDpT10_ENKUlT_T0_E_clISt17integral_constantIbLb1EES1B_IbLb0EEEEDaS17_S18_EUlS17_E_NS1_11comp_targetILNS1_3genE8ELNS1_11target_archE1030ELNS1_3gpuE2ELNS1_3repE0EEENS1_30default_config_static_selectorELNS0_4arch9wavefront6targetE1EEEvT1_.uses_vcc, 0
	.set _ZN7rocprim17ROCPRIM_400000_NS6detail17trampoline_kernelINS0_14default_configENS1_25partition_config_selectorILNS1_17partition_subalgoE8ElNS0_10empty_typeEbEEZZNS1_14partition_implILS5_8ELb0ES3_jPlPS6_PKS6_NS0_5tupleIJS9_S6_EEENSD_IJSA_SA_EEENS0_18inequality_wrapperIZN2at6native12_GLOBAL__N_124unique_dim_cuda_templateIfEESt5tupleIJNSH_6TensorESM_SM_EERKSM_lbbbEUlllE0_EEPmJS6_EEE10hipError_tPvRmT3_T4_T5_T6_T7_T9_mT8_P12ihipStream_tbDpT10_ENKUlT_T0_E_clISt17integral_constantIbLb1EES1B_IbLb0EEEEDaS17_S18_EUlS17_E_NS1_11comp_targetILNS1_3genE8ELNS1_11target_archE1030ELNS1_3gpuE2ELNS1_3repE0EEENS1_30default_config_static_selectorELNS0_4arch9wavefront6targetE1EEEvT1_.uses_flat_scratch, 0
	.set _ZN7rocprim17ROCPRIM_400000_NS6detail17trampoline_kernelINS0_14default_configENS1_25partition_config_selectorILNS1_17partition_subalgoE8ElNS0_10empty_typeEbEEZZNS1_14partition_implILS5_8ELb0ES3_jPlPS6_PKS6_NS0_5tupleIJS9_S6_EEENSD_IJSA_SA_EEENS0_18inequality_wrapperIZN2at6native12_GLOBAL__N_124unique_dim_cuda_templateIfEESt5tupleIJNSH_6TensorESM_SM_EERKSM_lbbbEUlllE0_EEPmJS6_EEE10hipError_tPvRmT3_T4_T5_T6_T7_T9_mT8_P12ihipStream_tbDpT10_ENKUlT_T0_E_clISt17integral_constantIbLb1EES1B_IbLb0EEEEDaS17_S18_EUlS17_E_NS1_11comp_targetILNS1_3genE8ELNS1_11target_archE1030ELNS1_3gpuE2ELNS1_3repE0EEENS1_30default_config_static_selectorELNS0_4arch9wavefront6targetE1EEEvT1_.has_dyn_sized_stack, 0
	.set _ZN7rocprim17ROCPRIM_400000_NS6detail17trampoline_kernelINS0_14default_configENS1_25partition_config_selectorILNS1_17partition_subalgoE8ElNS0_10empty_typeEbEEZZNS1_14partition_implILS5_8ELb0ES3_jPlPS6_PKS6_NS0_5tupleIJS9_S6_EEENSD_IJSA_SA_EEENS0_18inequality_wrapperIZN2at6native12_GLOBAL__N_124unique_dim_cuda_templateIfEESt5tupleIJNSH_6TensorESM_SM_EERKSM_lbbbEUlllE0_EEPmJS6_EEE10hipError_tPvRmT3_T4_T5_T6_T7_T9_mT8_P12ihipStream_tbDpT10_ENKUlT_T0_E_clISt17integral_constantIbLb1EES1B_IbLb0EEEEDaS17_S18_EUlS17_E_NS1_11comp_targetILNS1_3genE8ELNS1_11target_archE1030ELNS1_3gpuE2ELNS1_3repE0EEENS1_30default_config_static_selectorELNS0_4arch9wavefront6targetE1EEEvT1_.has_recursion, 0
	.set _ZN7rocprim17ROCPRIM_400000_NS6detail17trampoline_kernelINS0_14default_configENS1_25partition_config_selectorILNS1_17partition_subalgoE8ElNS0_10empty_typeEbEEZZNS1_14partition_implILS5_8ELb0ES3_jPlPS6_PKS6_NS0_5tupleIJS9_S6_EEENSD_IJSA_SA_EEENS0_18inequality_wrapperIZN2at6native12_GLOBAL__N_124unique_dim_cuda_templateIfEESt5tupleIJNSH_6TensorESM_SM_EERKSM_lbbbEUlllE0_EEPmJS6_EEE10hipError_tPvRmT3_T4_T5_T6_T7_T9_mT8_P12ihipStream_tbDpT10_ENKUlT_T0_E_clISt17integral_constantIbLb1EES1B_IbLb0EEEEDaS17_S18_EUlS17_E_NS1_11comp_targetILNS1_3genE8ELNS1_11target_archE1030ELNS1_3gpuE2ELNS1_3repE0EEENS1_30default_config_static_selectorELNS0_4arch9wavefront6targetE1EEEvT1_.has_indirect_call, 0
	.section	.AMDGPU.csdata,"",@progbits
; Kernel info:
; codeLenInByte = 0
; TotalNumSgprs: 6
; NumVgprs: 0
; NumAgprs: 0
; TotalNumVgprs: 0
; ScratchSize: 0
; MemoryBound: 0
; FloatMode: 240
; IeeeMode: 1
; LDSByteSize: 0 bytes/workgroup (compile time only)
; SGPRBlocks: 0
; VGPRBlocks: 0
; NumSGPRsForWavesPerEU: 6
; NumVGPRsForWavesPerEU: 1
; AccumOffset: 4
; Occupancy: 8
; WaveLimiterHint : 0
; COMPUTE_PGM_RSRC2:SCRATCH_EN: 0
; COMPUTE_PGM_RSRC2:USER_SGPR: 2
; COMPUTE_PGM_RSRC2:TRAP_HANDLER: 0
; COMPUTE_PGM_RSRC2:TGID_X_EN: 1
; COMPUTE_PGM_RSRC2:TGID_Y_EN: 0
; COMPUTE_PGM_RSRC2:TGID_Z_EN: 0
; COMPUTE_PGM_RSRC2:TIDIG_COMP_CNT: 0
; COMPUTE_PGM_RSRC3_GFX90A:ACCUM_OFFSET: 0
; COMPUTE_PGM_RSRC3_GFX90A:TG_SPLIT: 0
	.section	.text._ZN7rocprim17ROCPRIM_400000_NS6detail17trampoline_kernelINS0_14default_configENS1_25partition_config_selectorILNS1_17partition_subalgoE8ElNS0_10empty_typeEbEEZZNS1_14partition_implILS5_8ELb0ES3_jPlPS6_PKS6_NS0_5tupleIJS9_S6_EEENSD_IJSA_SA_EEENS0_18inequality_wrapperIZN2at6native12_GLOBAL__N_124unique_dim_cuda_templateIfEESt5tupleIJNSH_6TensorESM_SM_EERKSM_lbbbEUlllE0_EEPmJS6_EEE10hipError_tPvRmT3_T4_T5_T6_T7_T9_mT8_P12ihipStream_tbDpT10_ENKUlT_T0_E_clISt17integral_constantIbLb0EES1B_IbLb1EEEEDaS17_S18_EUlS17_E_NS1_11comp_targetILNS1_3genE0ELNS1_11target_archE4294967295ELNS1_3gpuE0ELNS1_3repE0EEENS1_30default_config_static_selectorELNS0_4arch9wavefront6targetE1EEEvT1_,"axG",@progbits,_ZN7rocprim17ROCPRIM_400000_NS6detail17trampoline_kernelINS0_14default_configENS1_25partition_config_selectorILNS1_17partition_subalgoE8ElNS0_10empty_typeEbEEZZNS1_14partition_implILS5_8ELb0ES3_jPlPS6_PKS6_NS0_5tupleIJS9_S6_EEENSD_IJSA_SA_EEENS0_18inequality_wrapperIZN2at6native12_GLOBAL__N_124unique_dim_cuda_templateIfEESt5tupleIJNSH_6TensorESM_SM_EERKSM_lbbbEUlllE0_EEPmJS6_EEE10hipError_tPvRmT3_T4_T5_T6_T7_T9_mT8_P12ihipStream_tbDpT10_ENKUlT_T0_E_clISt17integral_constantIbLb0EES1B_IbLb1EEEEDaS17_S18_EUlS17_E_NS1_11comp_targetILNS1_3genE0ELNS1_11target_archE4294967295ELNS1_3gpuE0ELNS1_3repE0EEENS1_30default_config_static_selectorELNS0_4arch9wavefront6targetE1EEEvT1_,comdat
	.globl	_ZN7rocprim17ROCPRIM_400000_NS6detail17trampoline_kernelINS0_14default_configENS1_25partition_config_selectorILNS1_17partition_subalgoE8ElNS0_10empty_typeEbEEZZNS1_14partition_implILS5_8ELb0ES3_jPlPS6_PKS6_NS0_5tupleIJS9_S6_EEENSD_IJSA_SA_EEENS0_18inequality_wrapperIZN2at6native12_GLOBAL__N_124unique_dim_cuda_templateIfEESt5tupleIJNSH_6TensorESM_SM_EERKSM_lbbbEUlllE0_EEPmJS6_EEE10hipError_tPvRmT3_T4_T5_T6_T7_T9_mT8_P12ihipStream_tbDpT10_ENKUlT_T0_E_clISt17integral_constantIbLb0EES1B_IbLb1EEEEDaS17_S18_EUlS17_E_NS1_11comp_targetILNS1_3genE0ELNS1_11target_archE4294967295ELNS1_3gpuE0ELNS1_3repE0EEENS1_30default_config_static_selectorELNS0_4arch9wavefront6targetE1EEEvT1_ ; -- Begin function _ZN7rocprim17ROCPRIM_400000_NS6detail17trampoline_kernelINS0_14default_configENS1_25partition_config_selectorILNS1_17partition_subalgoE8ElNS0_10empty_typeEbEEZZNS1_14partition_implILS5_8ELb0ES3_jPlPS6_PKS6_NS0_5tupleIJS9_S6_EEENSD_IJSA_SA_EEENS0_18inequality_wrapperIZN2at6native12_GLOBAL__N_124unique_dim_cuda_templateIfEESt5tupleIJNSH_6TensorESM_SM_EERKSM_lbbbEUlllE0_EEPmJS6_EEE10hipError_tPvRmT3_T4_T5_T6_T7_T9_mT8_P12ihipStream_tbDpT10_ENKUlT_T0_E_clISt17integral_constantIbLb0EES1B_IbLb1EEEEDaS17_S18_EUlS17_E_NS1_11comp_targetILNS1_3genE0ELNS1_11target_archE4294967295ELNS1_3gpuE0ELNS1_3repE0EEENS1_30default_config_static_selectorELNS0_4arch9wavefront6targetE1EEEvT1_
	.p2align	8
	.type	_ZN7rocprim17ROCPRIM_400000_NS6detail17trampoline_kernelINS0_14default_configENS1_25partition_config_selectorILNS1_17partition_subalgoE8ElNS0_10empty_typeEbEEZZNS1_14partition_implILS5_8ELb0ES3_jPlPS6_PKS6_NS0_5tupleIJS9_S6_EEENSD_IJSA_SA_EEENS0_18inequality_wrapperIZN2at6native12_GLOBAL__N_124unique_dim_cuda_templateIfEESt5tupleIJNSH_6TensorESM_SM_EERKSM_lbbbEUlllE0_EEPmJS6_EEE10hipError_tPvRmT3_T4_T5_T6_T7_T9_mT8_P12ihipStream_tbDpT10_ENKUlT_T0_E_clISt17integral_constantIbLb0EES1B_IbLb1EEEEDaS17_S18_EUlS17_E_NS1_11comp_targetILNS1_3genE0ELNS1_11target_archE4294967295ELNS1_3gpuE0ELNS1_3repE0EEENS1_30default_config_static_selectorELNS0_4arch9wavefront6targetE1EEEvT1_,@function
_ZN7rocprim17ROCPRIM_400000_NS6detail17trampoline_kernelINS0_14default_configENS1_25partition_config_selectorILNS1_17partition_subalgoE8ElNS0_10empty_typeEbEEZZNS1_14partition_implILS5_8ELb0ES3_jPlPS6_PKS6_NS0_5tupleIJS9_S6_EEENSD_IJSA_SA_EEENS0_18inequality_wrapperIZN2at6native12_GLOBAL__N_124unique_dim_cuda_templateIfEESt5tupleIJNSH_6TensorESM_SM_EERKSM_lbbbEUlllE0_EEPmJS6_EEE10hipError_tPvRmT3_T4_T5_T6_T7_T9_mT8_P12ihipStream_tbDpT10_ENKUlT_T0_E_clISt17integral_constantIbLb0EES1B_IbLb1EEEEDaS17_S18_EUlS17_E_NS1_11comp_targetILNS1_3genE0ELNS1_11target_archE4294967295ELNS1_3gpuE0ELNS1_3repE0EEENS1_30default_config_static_selectorELNS0_4arch9wavefront6targetE1EEEvT1_: ; @_ZN7rocprim17ROCPRIM_400000_NS6detail17trampoline_kernelINS0_14default_configENS1_25partition_config_selectorILNS1_17partition_subalgoE8ElNS0_10empty_typeEbEEZZNS1_14partition_implILS5_8ELb0ES3_jPlPS6_PKS6_NS0_5tupleIJS9_S6_EEENSD_IJSA_SA_EEENS0_18inequality_wrapperIZN2at6native12_GLOBAL__N_124unique_dim_cuda_templateIfEESt5tupleIJNSH_6TensorESM_SM_EERKSM_lbbbEUlllE0_EEPmJS6_EEE10hipError_tPvRmT3_T4_T5_T6_T7_T9_mT8_P12ihipStream_tbDpT10_ENKUlT_T0_E_clISt17integral_constantIbLb0EES1B_IbLb1EEEEDaS17_S18_EUlS17_E_NS1_11comp_targetILNS1_3genE0ELNS1_11target_archE4294967295ELNS1_3gpuE0ELNS1_3repE0EEENS1_30default_config_static_selectorELNS0_4arch9wavefront6targetE1EEEvT1_
; %bb.0:
	s_load_dwordx2 s[34:35], s[0:1], 0x28
	s_load_dwordx8 s[20:27], s[0:1], 0x40
	s_load_dwordx4 s[28:31], s[0:1], 0x60
	v_cmp_ne_u32_e64 s[2:3], 0, v0
	v_cmp_eq_u32_e64 s[18:19], 0, v0
	s_and_saveexec_b64 s[4:5], s[18:19]
	s_cbranch_execz .LBB953_4
; %bb.1:
	s_mov_b64 s[8:9], exec
	v_mbcnt_lo_u32_b32 v1, s8, 0
	v_mbcnt_hi_u32_b32 v1, s9, v1
	v_cmp_eq_u32_e32 vcc, 0, v1
                                        ; implicit-def: $vgpr2
	s_and_saveexec_b64 s[6:7], vcc
	s_cbranch_execz .LBB953_3
; %bb.2:
	s_load_dwordx2 s[10:11], s[0:1], 0x78
	s_bcnt1_i32_b64 s8, s[8:9]
	v_mov_b32_e32 v2, 0
	v_mov_b32_e32 v3, s8
	s_waitcnt lgkmcnt(0)
	global_atomic_add v2, v2, v3, s[10:11] sc0
.LBB953_3:
	s_or_b64 exec, exec, s[6:7]
	s_waitcnt vmcnt(0)
	v_readfirstlane_b32 s6, v2
	v_mov_b32_e32 v2, 0
	s_nop 0
	v_add_u32_e32 v1, s6, v1
	ds_write_b32 v2, v1
.LBB953_4:
	s_or_b64 exec, exec, s[4:5]
	v_mov_b32_e32 v3, 0
	s_load_dwordx4 s[4:7], s[0:1], 0x8
	s_load_dword s8, s[0:1], 0x70
	s_waitcnt lgkmcnt(0)
	s_barrier
	ds_read_b32 v1, v3
	s_waitcnt lgkmcnt(0)
	s_barrier
	global_load_dwordx2 v[4:5], v3, s[22:23]
	s_lshl_b64 s[10:11], s[6:7], 3
	s_mul_i32 s9, s8, 0xe00
	s_add_u32 s4, s4, s10
	s_addc_u32 s5, s5, s11
	s_add_i32 s10, s8, -1
	s_add_i32 s8, s9, s6
	s_sub_i32 s50, s24, s8
	s_add_u32 s8, s6, s9
	s_addc_u32 s9, s7, 0
	v_readfirstlane_b32 s33, v1
	v_mov_b64_e32 v[6:7], s[8:9]
	s_cmp_eq_u32 s33, s10
	s_movk_i32 s12, 0xe00
	v_cmp_le_u64_e32 vcc, s[24:25], v[6:7]
	s_cselect_b64 s[24:25], -1, 0
	v_mul_lo_u32 v2, v1, s12
	s_and_b64 s[8:9], vcc, s[24:25]
	v_lshlrev_b64 v[6:7], 3, v[2:3]
	s_xor_b64 s[36:37], s[8:9], -1
	s_mov_b64 s[0:1], -1
	v_lshlrev_b32_e32 v18, 3, v0
	v_lshl_add_u64 v[20:21], s[4:5], 0, v[6:7]
	s_and_b64 vcc, exec, s[36:37]
	s_waitcnt vmcnt(0)
	v_readfirstlane_b32 s22, v4
	v_readfirstlane_b32 s23, v5
	s_cbranch_vccz .LBB953_6
; %bb.5:
	v_lshlrev_b32_e32 v2, 3, v0
	v_lshl_add_u64 v[4:5], v[20:21], 0, v[2:3]
	v_add_co_u32_e32 v8, vcc, 0x1000, v4
	v_readfirstlane_b32 s0, v20
	s_nop 0
	v_addc_co_u32_e32 v9, vcc, 0, v5, vcc
	v_add_co_u32_e32 v10, vcc, 0x2000, v4
	v_readfirstlane_b32 s1, v21
	s_nop 0
	v_addc_co_u32_e32 v11, vcc, 0, v5, vcc
	v_add_co_u32_e32 v12, vcc, 0x3000, v4
	s_nop 1
	v_addc_co_u32_e32 v13, vcc, 0, v5, vcc
	v_add_co_u32_e32 v14, vcc, 0x4000, v4
	global_load_dwordx2 v[6:7], v2, s[0:1]
	s_nop 0
	v_addc_co_u32_e32 v15, vcc, 0, v5, vcc
	global_load_dwordx2 v[16:17], v[8:9], off
	global_load_dwordx2 v[22:23], v[10:11], off
	;; [unrolled: 1-line block ×4, first 2 shown]
	v_add_co_u32_e32 v8, vcc, 0x5000, v4
	s_mov_b64 s[0:1], 0
	s_nop 0
	v_addc_co_u32_e32 v9, vcc, 0, v5, vcc
	v_add_co_u32_e32 v4, vcc, 0x6000, v4
	s_nop 1
	v_addc_co_u32_e32 v5, vcc, 0, v5, vcc
	global_load_dwordx2 v[10:11], v[8:9], off
	global_load_dwordx2 v[12:13], v[4:5], off
	s_waitcnt vmcnt(5)
	ds_write2st64_b64 v2, v[6:7], v[16:17] offset1:8
	s_waitcnt vmcnt(3)
	ds_write2st64_b64 v2, v[22:23], v[24:25] offset0:16 offset1:24
	s_waitcnt vmcnt(1)
	ds_write2st64_b64 v2, v[26:27], v[10:11] offset0:32 offset1:40
	s_waitcnt vmcnt(0)
	ds_write_b64 v2, v[12:13] offset:24576
	s_waitcnt lgkmcnt(0)
	s_barrier
.LBB953_6:
	s_andn2_b64 vcc, exec, s[0:1]
	s_addk_i32 s50, 0xe00
	s_cbranch_vccnz .LBB953_22
; %bb.7:
	v_mov_b32_e32 v2, 0
	v_cmp_gt_u32_e32 vcc, s50, v0
	v_mov_b32_e32 v3, v2
	v_mov_b32_e32 v4, v2
	;; [unrolled: 1-line block ×13, first 2 shown]
	s_and_saveexec_b64 s[0:1], vcc
	s_cbranch_execz .LBB953_9
; %bb.8:
	v_lshlrev_b32_e32 v1, 3, v0
	v_readfirstlane_b32 s4, v20
	v_readfirstlane_b32 s5, v21
	v_mov_b32_e32 v6, v2
	v_mov_b32_e32 v7, v2
	;; [unrolled: 1-line block ×5, first 2 shown]
	global_load_dwordx2 v[4:5], v1, s[4:5]
	v_mov_b32_e32 v11, v2
	v_mov_b32_e32 v12, v2
	;; [unrolled: 1-line block ×7, first 2 shown]
	s_waitcnt vmcnt(0)
	v_mov_b64_e32 v[2:3], v[4:5]
	v_mov_b64_e32 v[4:5], v[6:7]
	;; [unrolled: 1-line block ×8, first 2 shown]
.LBB953_9:
	s_or_b64 exec, exec, s[0:1]
	v_or_b32_e32 v1, 0x200, v0
	v_cmp_gt_u32_e32 vcc, s50, v1
	s_and_saveexec_b64 s[0:1], vcc
	s_cbranch_execz .LBB953_11
; %bb.10:
	v_lshlrev_b32_e32 v1, 3, v1
	v_readfirstlane_b32 s4, v20
	v_readfirstlane_b32 s5, v21
	s_nop 4
	global_load_dwordx2 v[4:5], v1, s[4:5]
.LBB953_11:
	s_or_b64 exec, exec, s[0:1]
	v_or_b32_e32 v1, 0x400, v0
	v_cmp_gt_u32_e32 vcc, s50, v1
	s_and_saveexec_b64 s[0:1], vcc
	s_cbranch_execz .LBB953_13
; %bb.12:
	v_lshlrev_b32_e32 v1, 3, v1
	v_readfirstlane_b32 s4, v20
	v_readfirstlane_b32 s5, v21
	s_nop 4
	global_load_dwordx2 v[6:7], v1, s[4:5]
.LBB953_13:
	;; [unrolled: 12-line block ×6, first 2 shown]
	s_or_b64 exec, exec, s[0:1]
	v_lshlrev_b32_e32 v1, 3, v0
	s_waitcnt vmcnt(0)
	ds_write2st64_b64 v1, v[2:3], v[4:5] offset1:8
	ds_write2st64_b64 v1, v[6:7], v[8:9] offset0:16 offset1:24
	ds_write2st64_b64 v1, v[10:11], v[12:13] offset0:32 offset1:40
	ds_write_b64 v1, v[14:15] offset:24576
	s_waitcnt lgkmcnt(0)
	s_barrier
.LBB953_22:
	v_mul_u32_u24_e32 v1, 7, v0
	v_lshlrev_b32_e32 v26, 3, v1
	ds_read2_b64 v[10:13], v26 offset1:1
	ds_read2_b64 v[6:9], v26 offset0:2 offset1:3
	ds_read2_b64 v[2:5], v26 offset0:4 offset1:5
	ds_read_b64 v[14:15], v26 offset:48
	s_cmp_lg_u32 s33, 0
	s_cselect_b64 s[16:17], -1, 0
	s_cmp_lg_u64 s[6:7], 0
	s_cselect_b64 s[0:1], -1, 0
	s_or_b64 s[0:1], s[0:1], s[16:17]
	s_mov_b64 s[10:11], 0
	s_and_b64 vcc, exec, s[0:1]
	v_cmp_gt_i64_e64 s[4:5], s[26:27], 0
	s_waitcnt lgkmcnt(0)
	s_barrier
	s_cbranch_vccz .LBB953_38
; %bb.23:
	global_load_dwordx2 v[20:21], v[20:21], off offset:-8
	v_cndmask_b32_e64 v16, 0, 1, s[4:5]
	v_lshlrev_b32_e32 v27, 3, v0
	s_mov_b64 s[0:1], 0
	s_and_b64 vcc, exec, s[36:37]
	v_cmp_ne_u32_e64 s[4:5], 1, v16
	ds_write_b64 v27, v[14:15]
	s_cbranch_vccz .LBB953_40
; %bb.24:
	s_and_b64 vcc, exec, s[4:5]
	s_cbranch_vccnz .LBB953_41
; %bb.25:
	v_mul_lo_u32 v19, v5, s26
	v_mul_lo_u32 v22, v4, s27
	v_mad_u64_u32 v[16:17], s[0:1], v4, s26, 0
	v_add3_u32 v17, v17, v22, v19
	v_mul_lo_u32 v19, v15, s26
	v_mul_lo_u32 v24, v14, s27
	v_mad_u64_u32 v[22:23], s[0:1], v14, s26, 0
	s_add_u32 s10, s26, -1
	v_lshl_add_u64 v[16:17], v[16:17], 2, s[28:29]
	v_add3_u32 v23, v23, v24, v19
	s_addc_u32 s11, s27, -1
	v_lshl_add_u64 v[22:23], v[22:23], 2, s[28:29]
	s_mov_b64 s[12:13], 0
	s_mov_b64 s[14:15], s[10:11]
	v_mov_b64_e32 v[24:25], v[16:17]
                                        ; implicit-def: $sgpr6_sgpr7
.LBB953_26:                             ; =>This Inner Loop Header: Depth=1
	global_load_dword v19, v[24:25], off
	global_load_dword v28, v[22:23], off
	s_add_u32 s0, s14, -1
	s_addc_u32 s1, s15, -1
	s_cmp_eq_u64 s[14:15], 0
	s_mov_b64 s[14:15], s[0:1]
	s_cselect_b64 s[38:39], -1, 0
	v_lshl_add_u64 v[24:25], v[24:25], 0, 4
	v_lshl_add_u64 v[22:23], v[22:23], 0, 4
	s_waitcnt vmcnt(0)
	v_cmp_neq_f32_e64 s[0:1], v19, v28
	s_or_b64 s[0:1], s[0:1], s[38:39]
	s_and_b64 s[0:1], exec, s[0:1]
	v_cmp_eq_f32_e32 vcc, v19, v28
	s_or_b64 s[12:13], s[0:1], s[12:13]
	s_andn2_b64 s[0:1], s[6:7], exec
	s_and_b64 s[6:7], vcc, exec
	s_or_b64 s[6:7], s[0:1], s[6:7]
	s_andn2_b64 exec, exec, s[12:13]
	s_cbranch_execnz .LBB953_26
; %bb.27:
	s_or_b64 exec, exec, s[12:13]
	v_mul_lo_u32 v19, v3, s26
	v_mul_lo_u32 v24, v2, s27
	v_mad_u64_u32 v[22:23], s[0:1], v2, s26, 0
	v_add3_u32 v23, v23, v24, v19
	v_lshl_add_u64 v[22:23], v[22:23], 2, s[28:29]
	s_mov_b64 s[14:15], 0
	s_mov_b64 s[38:39], s[10:11]
	v_mov_b64_e32 v[24:25], v[22:23]
                                        ; implicit-def: $sgpr12_sgpr13
.LBB953_28:                             ; =>This Inner Loop Header: Depth=1
	global_load_dword v19, v[24:25], off
	global_load_dword v28, v[16:17], off
	s_add_u32 s0, s38, -1
	s_addc_u32 s1, s39, -1
	s_cmp_eq_u64 s[38:39], 0
	s_mov_b64 s[38:39], s[0:1]
	s_cselect_b64 s[40:41], -1, 0
	v_lshl_add_u64 v[24:25], v[24:25], 0, 4
	v_lshl_add_u64 v[16:17], v[16:17], 0, 4
	s_waitcnt vmcnt(0)
	v_cmp_neq_f32_e64 s[0:1], v19, v28
	s_or_b64 s[0:1], s[0:1], s[40:41]
	s_and_b64 s[0:1], exec, s[0:1]
	v_cmp_eq_f32_e32 vcc, v19, v28
	s_or_b64 s[14:15], s[0:1], s[14:15]
	s_andn2_b64 s[0:1], s[12:13], exec
	s_and_b64 s[12:13], vcc, exec
	s_or_b64 s[12:13], s[0:1], s[12:13]
	s_andn2_b64 exec, exec, s[14:15]
	s_cbranch_execnz .LBB953_28
; %bb.29:
	s_or_b64 exec, exec, s[14:15]
	v_mul_lo_u32 v19, v9, s26
	v_mul_lo_u32 v24, v8, s27
	v_mad_u64_u32 v[16:17], s[0:1], v8, s26, 0
	v_add3_u32 v17, v17, v24, v19
	v_lshl_add_u64 v[16:17], v[16:17], 2, s[28:29]
	s_mov_b64 s[38:39], 0
	s_mov_b64 s[40:41], s[10:11]
	v_mov_b64_e32 v[24:25], v[16:17]
                                        ; implicit-def: $sgpr14_sgpr15
.LBB953_30:                             ; =>This Inner Loop Header: Depth=1
	global_load_dword v19, v[24:25], off
	global_load_dword v28, v[22:23], off
	s_add_u32 s0, s40, -1
	s_addc_u32 s1, s41, -1
	s_cmp_eq_u64 s[40:41], 0
	s_mov_b64 s[40:41], s[0:1]
	s_cselect_b64 s[42:43], -1, 0
	v_lshl_add_u64 v[24:25], v[24:25], 0, 4
	v_lshl_add_u64 v[22:23], v[22:23], 0, 4
	s_waitcnt vmcnt(0)
	v_cmp_neq_f32_e64 s[0:1], v19, v28
	s_or_b64 s[0:1], s[0:1], s[42:43]
	s_and_b64 s[0:1], exec, s[0:1]
	v_cmp_eq_f32_e32 vcc, v19, v28
	s_or_b64 s[38:39], s[0:1], s[38:39]
	s_andn2_b64 s[0:1], s[14:15], exec
	s_and_b64 s[14:15], vcc, exec
	s_or_b64 s[14:15], s[0:1], s[14:15]
	s_andn2_b64 exec, exec, s[38:39]
	s_cbranch_execnz .LBB953_30
; %bb.31:
	s_or_b64 exec, exec, s[38:39]
	v_mul_lo_u32 v19, v7, s26
	v_mul_lo_u32 v24, v6, s27
	v_mad_u64_u32 v[22:23], s[0:1], v6, s26, 0
	v_add3_u32 v23, v23, v24, v19
	v_lshl_add_u64 v[22:23], v[22:23], 2, s[28:29]
	s_mov_b64 s[40:41], 0
	s_mov_b64 s[42:43], s[10:11]
	v_mov_b64_e32 v[24:25], v[22:23]
                                        ; implicit-def: $sgpr38_sgpr39
.LBB953_32:                             ; =>This Inner Loop Header: Depth=1
	global_load_dword v19, v[24:25], off
	global_load_dword v28, v[16:17], off
	s_add_u32 s0, s42, -1
	s_addc_u32 s1, s43, -1
	s_cmp_eq_u64 s[42:43], 0
	s_mov_b64 s[42:43], s[0:1]
	s_cselect_b64 s[44:45], -1, 0
	v_lshl_add_u64 v[24:25], v[24:25], 0, 4
	v_lshl_add_u64 v[16:17], v[16:17], 0, 4
	s_waitcnt vmcnt(0)
	v_cmp_neq_f32_e64 s[0:1], v19, v28
	s_or_b64 s[0:1], s[0:1], s[44:45]
	s_and_b64 s[0:1], exec, s[0:1]
	v_cmp_eq_f32_e32 vcc, v19, v28
	s_or_b64 s[40:41], s[0:1], s[40:41]
	s_andn2_b64 s[0:1], s[38:39], exec
	s_and_b64 s[38:39], vcc, exec
	s_or_b64 s[38:39], s[0:1], s[38:39]
	s_andn2_b64 exec, exec, s[40:41]
	s_cbranch_execnz .LBB953_32
; %bb.33:
	s_or_b64 exec, exec, s[40:41]
	v_mul_lo_u32 v19, v13, s26
	v_mul_lo_u32 v24, v12, s27
	v_mad_u64_u32 v[16:17], s[0:1], v12, s26, 0
	v_add3_u32 v17, v17, v24, v19
	v_lshl_add_u64 v[16:17], v[16:17], 2, s[28:29]
	s_mov_b64 s[42:43], 0
	s_mov_b64 s[44:45], s[10:11]
	v_mov_b64_e32 v[24:25], v[16:17]
                                        ; implicit-def: $sgpr40_sgpr41
.LBB953_34:                             ; =>This Inner Loop Header: Depth=1
	global_load_dword v19, v[24:25], off
	global_load_dword v28, v[22:23], off
	s_add_u32 s0, s44, -1
	s_addc_u32 s1, s45, -1
	s_cmp_eq_u64 s[44:45], 0
	s_mov_b64 s[44:45], s[0:1]
	s_cselect_b64 s[46:47], -1, 0
	v_lshl_add_u64 v[24:25], v[24:25], 0, 4
	v_lshl_add_u64 v[22:23], v[22:23], 0, 4
	s_waitcnt vmcnt(0)
	v_cmp_neq_f32_e64 s[0:1], v19, v28
	s_or_b64 s[0:1], s[0:1], s[46:47]
	s_and_b64 s[0:1], exec, s[0:1]
	v_cmp_eq_f32_e32 vcc, v19, v28
	s_or_b64 s[42:43], s[0:1], s[42:43]
	s_andn2_b64 s[0:1], s[40:41], exec
	s_and_b64 s[40:41], vcc, exec
	s_or_b64 s[40:41], s[0:1], s[40:41]
	s_andn2_b64 exec, exec, s[42:43]
	s_cbranch_execnz .LBB953_34
; %bb.35:
	s_or_b64 exec, exec, s[42:43]
	v_mul_lo_u32 v19, v11, s26
	v_mul_lo_u32 v24, v10, s27
	v_mad_u64_u32 v[22:23], s[0:1], v10, s26, 0
	v_add3_u32 v23, v23, v24, v19
	v_lshl_add_u64 v[22:23], v[22:23], 2, s[28:29]
	s_mov_b64 s[44:45], 0
                                        ; implicit-def: $sgpr42_sgpr43
.LBB953_36:                             ; =>This Inner Loop Header: Depth=1
	global_load_dword v19, v[22:23], off
	global_load_dword v24, v[16:17], off
	s_add_u32 s0, s10, -1
	s_addc_u32 s1, s11, -1
	s_cmp_eq_u64 s[10:11], 0
	s_mov_b64 s[10:11], s[0:1]
	s_cselect_b64 s[46:47], -1, 0
	v_lshl_add_u64 v[22:23], v[22:23], 0, 4
	v_lshl_add_u64 v[16:17], v[16:17], 0, 4
	s_waitcnt vmcnt(0)
	v_cmp_neq_f32_e64 s[0:1], v19, v24
	s_or_b64 s[0:1], s[0:1], s[46:47]
	s_and_b64 s[0:1], exec, s[0:1]
	v_cmp_eq_f32_e32 vcc, v19, v24
	s_or_b64 s[44:45], s[0:1], s[44:45]
	s_andn2_b64 s[0:1], s[42:43], exec
	s_and_b64 s[42:43], vcc, exec
	s_or_b64 s[42:43], s[0:1], s[42:43]
	s_andn2_b64 exec, exec, s[44:45]
	s_cbranch_execnz .LBB953_36
; %bb.37:
	s_or_b64 exec, exec, s[44:45]
	s_xor_b64 s[0:1], s[12:13], -1
	v_cndmask_b32_e64 v40, 0, 1, s[0:1]
	s_xor_b64 s[0:1], s[38:39], -1
	v_cndmask_b32_e64 v16, 0, 1, s[0:1]
	v_lshlrev_b16_e32 v16, 8, v16
	s_xor_b64 s[0:1], s[6:7], -1
	v_lshrrev_b32_e32 v16, 8, v16
	v_mov_b32_e32 v22, 1
	s_xor_b64 s[6:7], s[40:41], -1
	v_cndmask_b32_e64 v19, 0, 1, s[0:1]
	s_xor_b64 s[0:1], s[14:15], -1
	v_and_b32_sdwa v16, v16, v22 dst_sel:BYTE_1 dst_unused:UNUSED_PAD src0_sel:DWORD src1_sel:DWORD
	v_cndmask_b32_e64 v22, 0, 1, s[6:7]
	v_cndmask_b32_e64 v17, 0, 1, s[0:1]
	s_xor_b64 s[0:1], s[42:43], -1
	v_or_b32_sdwa v24, v22, v16 dst_sel:WORD_1 dst_unused:UNUSED_PAD src0_sel:DWORD src1_sel:DWORD
	s_branch .LBB953_42
.LBB953_38:
                                        ; implicit-def: $sgpr0_sgpr1
                                        ; implicit-def: $vgpr19
                                        ; implicit-def: $vgpr40
                                        ; implicit-def: $vgpr17
                                        ; implicit-def: $vgpr22
	s_branch .LBB953_95
.LBB953_39:
                                        ; implicit-def: $vgpr42
                                        ; implicit-def: $vgpr41
                                        ; implicit-def: $vgpr20
	s_branch .LBB953_164
.LBB953_40:
                                        ; implicit-def: $sgpr0_sgpr1
                                        ; implicit-def: $vgpr19
                                        ; implicit-def: $vgpr40
                                        ; implicit-def: $vgpr17
                                        ; implicit-def: $vgpr22
	s_cbranch_execnz .LBB953_49
	s_branch .LBB953_94
.LBB953_41:
	v_mov_b32_e32 v24, 0
	v_mov_b32_e32 v19, 0
	;; [unrolled: 1-line block ×4, first 2 shown]
.LBB953_42:
	s_waitcnt vmcnt(0)
	v_mov_b64_e32 v[22:23], v[20:21]
	s_waitcnt lgkmcnt(0)
	s_barrier
	s_and_saveexec_b64 s[6:7], s[2:3]
; %bb.43:
	v_add_u32_e32 v16, -8, v27
	ds_read_b64 v[22:23], v16
; %bb.44:
	s_or_b64 exec, exec, s[6:7]
	v_cndmask_b32_e64 v25, 0, 1, s[0:1]
	v_lshrrev_b32_e32 v16, 16, v24
	s_mov_b32 s0, 0xc0c0304
	v_perm_b32 v16, v16, v24, s0
	v_lshlrev_b16_e32 v25, 8, v25
	s_movk_i32 s0, 0xff
	v_bitop3_b16 v24, v24, v25, s0 bitop3:0xec
	v_and_b32_e32 v28, 0xffff, v24
	s_mov_b64 s[6:7], 0
	s_and_b64 vcc, exec, s[4:5]
	s_mov_b64 s[0:1], 0
	s_cbranch_vccnz .LBB953_48
; %bb.45:
	s_waitcnt lgkmcnt(0)
	v_mul_lo_u32 v24, v23, s26
	v_mul_lo_u32 v25, v22, s27
	v_mad_u64_u32 v[22:23], s[0:1], v22, s26, 0
	v_add3_u32 v23, v23, v25, v24
	v_mul_lo_u32 v29, v11, s26
	v_mul_lo_u32 v30, v10, s27
	v_mad_u64_u32 v[24:25], s[0:1], v10, s26, 0
	v_add3_u32 v25, v25, v30, v29
	s_add_u32 s14, s26, -1
	v_lshl_add_u64 v[22:23], v[22:23], 2, s[28:29]
	v_lshl_add_u64 v[24:25], v[24:25], 2, s[28:29]
	s_addc_u32 s15, s27, -1
	s_mov_b64 s[10:11], 0
                                        ; implicit-def: $sgpr12_sgpr13
.LBB953_46:                             ; =>This Inner Loop Header: Depth=1
	global_load_dword v29, v[22:23], off
	global_load_dword v30, v[24:25], off
	s_add_u32 s0, s14, -1
	s_addc_u32 s1, s15, -1
	s_cmp_eq_u64 s[14:15], 0
	s_mov_b64 s[14:15], s[0:1]
	s_cselect_b64 s[38:39], -1, 0
	v_lshl_add_u64 v[22:23], v[22:23], 0, 4
	v_lshl_add_u64 v[24:25], v[24:25], 0, 4
	s_waitcnt vmcnt(0)
	v_cmp_neq_f32_e64 s[0:1], v29, v30
	s_or_b64 s[0:1], s[0:1], s[38:39]
	s_and_b64 s[0:1], exec, s[0:1]
	v_cmp_eq_f32_e32 vcc, v29, v30
	s_or_b64 s[10:11], s[0:1], s[10:11]
	s_andn2_b64 s[0:1], s[12:13], exec
	s_and_b64 s[12:13], vcc, exec
	s_or_b64 s[12:13], s[0:1], s[12:13]
	s_andn2_b64 exec, exec, s[10:11]
	s_cbranch_execnz .LBB953_46
; %bb.47:
	s_or_b64 exec, exec, s[10:11]
	s_xor_b64 s[0:1], s[12:13], -1
.LBB953_48:
	s_waitcnt lgkmcnt(0)
	v_lshl_or_b32 v22, v16, 16, v28
	s_and_b64 vcc, exec, s[6:7]
	s_cbranch_vccz .LBB953_94
.LBB953_49:
	v_add_u32_e32 v16, 6, v1
	v_cmp_gt_u32_e32 vcc, s50, v16
	s_mov_b64 s[10:11], 0
	s_mov_b64 s[6:7], 0
	s_and_saveexec_b64 s[12:13], vcc
	s_cbranch_execz .LBB953_55
; %bb.50:
	s_and_b64 vcc, exec, s[4:5]
	s_mov_b64 s[0:1], 0
	s_cbranch_vccnz .LBB953_54
; %bb.51:
	v_mul_lo_u32 v19, v5, s26
	v_mul_lo_u32 v22, v4, s27
	v_mad_u64_u32 v[16:17], s[0:1], v4, s26, 0
	v_add3_u32 v17, v17, v22, v19
	v_mul_lo_u32 v19, v15, s26
	v_mul_lo_u32 v24, v14, s27
	v_mad_u64_u32 v[22:23], s[0:1], v14, s26, 0
	v_add3_u32 v23, v23, v24, v19
	s_add_u32 s38, s26, -1
	v_lshl_add_u64 v[16:17], v[16:17], 2, s[28:29]
	v_lshl_add_u64 v[22:23], v[22:23], 2, s[28:29]
	s_addc_u32 s39, s27, -1
                                        ; implicit-def: $sgpr14_sgpr15
.LBB953_52:                             ; =>This Inner Loop Header: Depth=1
	global_load_dword v19, v[16:17], off
	global_load_dword v24, v[22:23], off
	s_add_u32 s0, s38, -1
	s_addc_u32 s1, s39, -1
	s_cmp_eq_u64 s[38:39], 0
	s_mov_b64 s[38:39], s[0:1]
	s_cselect_b64 s[40:41], -1, 0
	v_lshl_add_u64 v[16:17], v[16:17], 0, 4
	v_lshl_add_u64 v[22:23], v[22:23], 0, 4
	s_waitcnt vmcnt(0)
	v_cmp_neq_f32_e64 s[0:1], v19, v24
	s_or_b64 s[0:1], s[0:1], s[40:41]
	s_and_b64 s[0:1], exec, s[0:1]
	v_cmp_eq_f32_e32 vcc, v19, v24
	s_or_b64 s[6:7], s[0:1], s[6:7]
	s_andn2_b64 s[0:1], s[14:15], exec
	s_and_b64 s[14:15], vcc, exec
	s_or_b64 s[14:15], s[0:1], s[14:15]
	s_andn2_b64 exec, exec, s[6:7]
	s_cbranch_execnz .LBB953_52
; %bb.53:
	s_or_b64 exec, exec, s[6:7]
	s_xor_b64 s[0:1], s[14:15], -1
.LBB953_54:
	s_and_b64 s[6:7], s[0:1], exec
.LBB953_55:
	s_or_b64 exec, exec, s[12:13]
	v_add_u32_e32 v16, 5, v1
	v_cmp_gt_u32_e32 vcc, s50, v16
	s_and_saveexec_b64 s[12:13], vcc
	s_cbranch_execz .LBB953_61
; %bb.56:
	s_and_b64 vcc, exec, s[4:5]
	s_mov_b64 s[0:1], 0
	s_cbranch_vccnz .LBB953_60
; %bb.57:
	v_mul_lo_u32 v19, v3, s26
	v_mul_lo_u32 v22, v2, s27
	v_mad_u64_u32 v[16:17], s[0:1], v2, s26, 0
	v_add3_u32 v17, v17, v22, v19
	v_mul_lo_u32 v19, v5, s26
	v_mul_lo_u32 v24, v4, s27
	v_mad_u64_u32 v[22:23], s[0:1], v4, s26, 0
	v_add3_u32 v23, v23, v24, v19
	s_add_u32 s38, s26, -1
	v_lshl_add_u64 v[16:17], v[16:17], 2, s[28:29]
	v_lshl_add_u64 v[22:23], v[22:23], 2, s[28:29]
	s_addc_u32 s39, s27, -1
	s_mov_b64 s[10:11], 0
                                        ; implicit-def: $sgpr14_sgpr15
.LBB953_58:                             ; =>This Inner Loop Header: Depth=1
	global_load_dword v19, v[16:17], off
	global_load_dword v24, v[22:23], off
	s_add_u32 s0, s38, -1
	s_addc_u32 s1, s39, -1
	s_cmp_eq_u64 s[38:39], 0
	s_mov_b64 s[38:39], s[0:1]
	s_cselect_b64 s[40:41], -1, 0
	v_lshl_add_u64 v[16:17], v[16:17], 0, 4
	v_lshl_add_u64 v[22:23], v[22:23], 0, 4
	s_waitcnt vmcnt(0)
	v_cmp_neq_f32_e64 s[0:1], v19, v24
	s_or_b64 s[0:1], s[0:1], s[40:41]
	s_and_b64 s[0:1], exec, s[0:1]
	v_cmp_eq_f32_e32 vcc, v19, v24
	s_or_b64 s[10:11], s[0:1], s[10:11]
	s_andn2_b64 s[0:1], s[14:15], exec
	s_and_b64 s[14:15], vcc, exec
	s_or_b64 s[14:15], s[0:1], s[14:15]
	s_andn2_b64 exec, exec, s[10:11]
	s_cbranch_execnz .LBB953_58
; %bb.59:
	s_or_b64 exec, exec, s[10:11]
	s_xor_b64 s[0:1], s[14:15], -1
.LBB953_60:
	s_and_b64 s[10:11], s[0:1], exec
.LBB953_61:
	s_or_b64 exec, exec, s[12:13]
	v_add_u32_e32 v16, 4, v1
	v_cmp_gt_u32_e32 vcc, s50, v16
	s_mov_b64 s[14:15], 0
	s_mov_b64 s[12:13], 0
	s_and_saveexec_b64 s[38:39], vcc
	s_cbranch_execz .LBB953_67
; %bb.62:
	s_and_b64 vcc, exec, s[4:5]
	s_mov_b64 s[0:1], 0
	s_cbranch_vccnz .LBB953_66
; %bb.63:
	v_mul_lo_u32 v19, v9, s26
	v_mul_lo_u32 v22, v8, s27
	v_mad_u64_u32 v[16:17], s[0:1], v8, s26, 0
	v_add3_u32 v17, v17, v22, v19
	v_mul_lo_u32 v19, v3, s26
	v_mul_lo_u32 v24, v2, s27
	v_mad_u64_u32 v[22:23], s[0:1], v2, s26, 0
	v_add3_u32 v23, v23, v24, v19
	s_add_u32 s42, s26, -1
	v_lshl_add_u64 v[16:17], v[16:17], 2, s[28:29]
	v_lshl_add_u64 v[22:23], v[22:23], 2, s[28:29]
	s_addc_u32 s43, s27, -1
                                        ; implicit-def: $sgpr40_sgpr41
.LBB953_64:                             ; =>This Inner Loop Header: Depth=1
	global_load_dword v19, v[16:17], off
	global_load_dword v24, v[22:23], off
	s_add_u32 s0, s42, -1
	s_addc_u32 s1, s43, -1
	s_cmp_eq_u64 s[42:43], 0
	s_mov_b64 s[42:43], s[0:1]
	s_cselect_b64 s[44:45], -1, 0
	v_lshl_add_u64 v[16:17], v[16:17], 0, 4
	v_lshl_add_u64 v[22:23], v[22:23], 0, 4
	s_waitcnt vmcnt(0)
	v_cmp_neq_f32_e64 s[0:1], v19, v24
	s_or_b64 s[0:1], s[0:1], s[44:45]
	s_and_b64 s[0:1], exec, s[0:1]
	v_cmp_eq_f32_e32 vcc, v19, v24
	s_or_b64 s[12:13], s[0:1], s[12:13]
	s_andn2_b64 s[0:1], s[40:41], exec
	s_and_b64 s[40:41], vcc, exec
	s_or_b64 s[40:41], s[0:1], s[40:41]
	s_andn2_b64 exec, exec, s[12:13]
	s_cbranch_execnz .LBB953_64
; %bb.65:
	s_or_b64 exec, exec, s[12:13]
	s_xor_b64 s[0:1], s[40:41], -1
.LBB953_66:
	s_and_b64 s[12:13], s[0:1], exec
.LBB953_67:
	s_or_b64 exec, exec, s[38:39]
	v_add_u32_e32 v16, 3, v1
	v_cmp_gt_u32_e32 vcc, s50, v16
	s_and_saveexec_b64 s[38:39], vcc
	s_cbranch_execz .LBB953_73
; %bb.68:
	s_and_b64 vcc, exec, s[4:5]
	s_mov_b64 s[0:1], 0
	s_cbranch_vccnz .LBB953_72
; %bb.69:
	v_mul_lo_u32 v19, v7, s26
	v_mul_lo_u32 v22, v6, s27
	v_mad_u64_u32 v[16:17], s[0:1], v6, s26, 0
	v_add3_u32 v17, v17, v22, v19
	v_mul_lo_u32 v19, v9, s26
	v_mul_lo_u32 v24, v8, s27
	v_mad_u64_u32 v[22:23], s[0:1], v8, s26, 0
	v_add3_u32 v23, v23, v24, v19
	s_add_u32 s42, s26, -1
	v_lshl_add_u64 v[16:17], v[16:17], 2, s[28:29]
	v_lshl_add_u64 v[22:23], v[22:23], 2, s[28:29]
	s_addc_u32 s43, s27, -1
	s_mov_b64 s[14:15], 0
                                        ; implicit-def: $sgpr40_sgpr41
.LBB953_70:                             ; =>This Inner Loop Header: Depth=1
	global_load_dword v19, v[16:17], off
	global_load_dword v24, v[22:23], off
	s_add_u32 s0, s42, -1
	s_addc_u32 s1, s43, -1
	s_cmp_eq_u64 s[42:43], 0
	s_mov_b64 s[42:43], s[0:1]
	s_cselect_b64 s[44:45], -1, 0
	v_lshl_add_u64 v[16:17], v[16:17], 0, 4
	v_lshl_add_u64 v[22:23], v[22:23], 0, 4
	s_waitcnt vmcnt(0)
	v_cmp_neq_f32_e64 s[0:1], v19, v24
	s_or_b64 s[0:1], s[0:1], s[44:45]
	s_and_b64 s[0:1], exec, s[0:1]
	v_cmp_eq_f32_e32 vcc, v19, v24
	s_or_b64 s[14:15], s[0:1], s[14:15]
	s_andn2_b64 s[0:1], s[40:41], exec
	s_and_b64 s[40:41], vcc, exec
	s_or_b64 s[40:41], s[0:1], s[40:41]
	s_andn2_b64 exec, exec, s[14:15]
	s_cbranch_execnz .LBB953_70
; %bb.71:
	s_or_b64 exec, exec, s[14:15]
	s_xor_b64 s[0:1], s[40:41], -1
.LBB953_72:
	s_and_b64 s[14:15], s[0:1], exec
.LBB953_73:
	s_or_b64 exec, exec, s[38:39]
	v_add_u32_e32 v16, 2, v1
	v_cmp_gt_u32_e32 vcc, s50, v16
	s_mov_b64 s[38:39], 0
	s_mov_b64 s[40:41], 0
	s_and_saveexec_b64 s[42:43], vcc
	s_cbranch_execz .LBB953_79
; %bb.74:
	s_and_b64 vcc, exec, s[4:5]
	s_mov_b64 s[0:1], 0
	s_cbranch_vccnz .LBB953_78
; %bb.75:
	v_mul_lo_u32 v19, v13, s26
	v_mul_lo_u32 v22, v12, s27
	v_mad_u64_u32 v[16:17], s[0:1], v12, s26, 0
	v_add3_u32 v17, v17, v22, v19
	v_mul_lo_u32 v19, v7, s26
	v_mul_lo_u32 v24, v6, s27
	v_mad_u64_u32 v[22:23], s[0:1], v6, s26, 0
	v_add3_u32 v23, v23, v24, v19
	s_add_u32 s46, s26, -1
	v_lshl_add_u64 v[16:17], v[16:17], 2, s[28:29]
	v_lshl_add_u64 v[22:23], v[22:23], 2, s[28:29]
	s_addc_u32 s47, s27, -1
                                        ; implicit-def: $sgpr44_sgpr45
.LBB953_76:                             ; =>This Inner Loop Header: Depth=1
	global_load_dword v19, v[16:17], off
	global_load_dword v24, v[22:23], off
	s_add_u32 s0, s46, -1
	s_addc_u32 s1, s47, -1
	s_cmp_eq_u64 s[46:47], 0
	s_mov_b64 s[46:47], s[0:1]
	s_cselect_b64 s[48:49], -1, 0
	v_lshl_add_u64 v[16:17], v[16:17], 0, 4
	v_lshl_add_u64 v[22:23], v[22:23], 0, 4
	s_waitcnt vmcnt(0)
	v_cmp_neq_f32_e64 s[0:1], v19, v24
	s_or_b64 s[0:1], s[0:1], s[48:49]
	s_and_b64 s[0:1], exec, s[0:1]
	v_cmp_eq_f32_e32 vcc, v19, v24
	s_or_b64 s[40:41], s[0:1], s[40:41]
	s_andn2_b64 s[0:1], s[44:45], exec
	s_and_b64 s[44:45], vcc, exec
	s_or_b64 s[44:45], s[0:1], s[44:45]
	s_andn2_b64 exec, exec, s[40:41]
	s_cbranch_execnz .LBB953_76
; %bb.77:
	s_or_b64 exec, exec, s[40:41]
	s_xor_b64 s[0:1], s[44:45], -1
.LBB953_78:
	s_and_b64 s[40:41], s[0:1], exec
.LBB953_79:
	s_or_b64 exec, exec, s[42:43]
	v_add_u32_e32 v16, 1, v1
	v_cmp_gt_u32_e32 vcc, s50, v16
	s_and_saveexec_b64 s[42:43], vcc
	s_cbranch_execz .LBB953_85
; %bb.80:
	s_and_b64 vcc, exec, s[4:5]
	s_mov_b64 s[0:1], 0
	s_cbranch_vccnz .LBB953_84
; %bb.81:
	v_mul_lo_u32 v19, v11, s26
	v_mul_lo_u32 v22, v10, s27
	v_mad_u64_u32 v[16:17], s[0:1], v10, s26, 0
	v_add3_u32 v17, v17, v22, v19
	v_mul_lo_u32 v19, v13, s26
	v_mul_lo_u32 v24, v12, s27
	v_mad_u64_u32 v[22:23], s[0:1], v12, s26, 0
	v_add3_u32 v23, v23, v24, v19
	s_add_u32 s46, s26, -1
	v_lshl_add_u64 v[16:17], v[16:17], 2, s[28:29]
	v_lshl_add_u64 v[22:23], v[22:23], 2, s[28:29]
	s_addc_u32 s47, s27, -1
	s_mov_b64 s[38:39], 0
                                        ; implicit-def: $sgpr44_sgpr45
.LBB953_82:                             ; =>This Inner Loop Header: Depth=1
	global_load_dword v19, v[16:17], off
	global_load_dword v24, v[22:23], off
	s_add_u32 s0, s46, -1
	s_addc_u32 s1, s47, -1
	s_cmp_eq_u64 s[46:47], 0
	s_mov_b64 s[46:47], s[0:1]
	s_cselect_b64 s[48:49], -1, 0
	v_lshl_add_u64 v[16:17], v[16:17], 0, 4
	v_lshl_add_u64 v[22:23], v[22:23], 0, 4
	s_waitcnt vmcnt(0)
	v_cmp_neq_f32_e64 s[0:1], v19, v24
	s_or_b64 s[0:1], s[0:1], s[48:49]
	s_and_b64 s[0:1], exec, s[0:1]
	v_cmp_eq_f32_e32 vcc, v19, v24
	s_or_b64 s[38:39], s[0:1], s[38:39]
	s_andn2_b64 s[0:1], s[44:45], exec
	s_and_b64 s[44:45], vcc, exec
	s_or_b64 s[44:45], s[0:1], s[44:45]
	s_andn2_b64 exec, exec, s[38:39]
	s_cbranch_execnz .LBB953_82
; %bb.83:
	s_or_b64 exec, exec, s[38:39]
	s_xor_b64 s[0:1], s[44:45], -1
.LBB953_84:
	s_and_b64 s[38:39], s[0:1], exec
.LBB953_85:
	s_or_b64 exec, exec, s[42:43]
	s_waitcnt lgkmcnt(0)
	s_barrier
	s_and_saveexec_b64 s[0:1], s[2:3]
	s_cbranch_execz .LBB953_87
; %bb.86:
	v_add_u32_e32 v16, -8, v27
	s_waitcnt vmcnt(0)
	ds_read_b64 v[20:21], v16
.LBB953_87:
	s_or_b64 exec, exec, s[0:1]
	v_cndmask_b32_e64 v17, 0, 1, s[14:15]
	v_cndmask_b32_e64 v16, 0, 1, s[40:41]
	;; [unrolled: 1-line block ×3, first 2 shown]
	v_lshlrev_b16_e32 v17, 8, v17
	v_cmp_gt_u32_e32 vcc, s50, v1
	v_lshlrev_b16_e32 v22, 8, v19
	v_or_b32_sdwa v23, v16, v17 dst_sel:WORD_1 dst_unused:UNUSED_PAD src0_sel:DWORD src1_sel:DWORD
	s_mov_b64 s[0:1], 0
	s_and_saveexec_b64 s[14:15], vcc
	s_cbranch_execz .LBB953_93
; %bb.88:
	s_and_b64 vcc, exec, s[4:5]
	s_cbranch_vccnz .LBB953_92
; %bb.89:
	s_waitcnt vmcnt(0) lgkmcnt(0)
	v_mul_lo_u32 v19, v21, s26
	v_mul_lo_u32 v21, v20, s27
	v_mad_u64_u32 v[16:17], s[0:1], v20, s26, 0
	v_add3_u32 v17, v17, v21, v19
	v_mul_lo_u32 v19, v11, s26
	v_mul_lo_u32 v24, v10, s27
	v_mad_u64_u32 v[20:21], s[0:1], v10, s26, 0
	v_add3_u32 v21, v21, v24, v19
	s_add_u32 s40, s26, -1
	v_lshl_add_u64 v[16:17], v[16:17], 2, s[28:29]
	v_lshl_add_u64 v[20:21], v[20:21], 2, s[28:29]
	s_addc_u32 s41, s27, -1
	s_mov_b64 s[4:5], 0
                                        ; implicit-def: $sgpr38_sgpr39
.LBB953_90:                             ; =>This Inner Loop Header: Depth=1
	global_load_dword v19, v[16:17], off
	global_load_dword v24, v[20:21], off
	s_add_u32 s0, s40, -1
	s_addc_u32 s1, s41, -1
	s_cmp_eq_u64 s[40:41], 0
	s_mov_b64 s[40:41], s[0:1]
	s_cselect_b64 s[42:43], -1, 0
	v_lshl_add_u64 v[16:17], v[16:17], 0, 4
	v_lshl_add_u64 v[20:21], v[20:21], 0, 4
	s_waitcnt vmcnt(0)
	v_cmp_neq_f32_e64 s[0:1], v19, v24
	s_or_b64 s[0:1], s[0:1], s[42:43]
	s_and_b64 s[0:1], exec, s[0:1]
	v_cmp_eq_f32_e32 vcc, v19, v24
	s_or_b64 s[4:5], s[0:1], s[4:5]
	s_andn2_b64 s[0:1], s[38:39], exec
	s_and_b64 s[38:39], vcc, exec
	s_or_b64 s[38:39], s[0:1], s[38:39]
	s_andn2_b64 exec, exec, s[4:5]
	s_cbranch_execnz .LBB953_90
; %bb.91:
	s_or_b64 exec, exec, s[4:5]
	s_xor_b64 s[0:1], s[38:39], -1
.LBB953_92:
	s_and_b64 s[0:1], s[0:1], exec
.LBB953_93:
	s_or_b64 exec, exec, s[14:15]
	v_cndmask_b32_e64 v17, 0, 1, s[12:13]
	v_cndmask_b32_e64 v40, 0, 1, s[10:11]
	;; [unrolled: 1-line block ×3, first 2 shown]
	v_or_b32_e32 v22, v22, v23
.LBB953_94:
	s_mov_b64 s[10:11], -1
	s_cbranch_execnz .LBB953_39
.LBB953_95:
	s_movk_i32 s0, 0xffd0
	v_mad_i32_i24 v26, v0, s0, v26
	s_mov_b64 s[0:1], 0
	v_cmp_gt_i64_e64 s[6:7], s[26:27], 0
	s_and_b64 vcc, exec, s[36:37]
	ds_write_b64 v26, v[14:15]
	s_cbranch_vccz .LBB953_110
; %bb.96:
	v_cndmask_b32_e64 v16, 0, 1, s[6:7]
	v_cmp_ne_u32_e64 s[4:5], 1, v16
	s_andn2_b64 vcc, exec, s[6:7]
	s_cbranch_vccnz .LBB953_111
; %bb.97:
	v_mul_lo_u32 v19, v5, s26
	s_waitcnt vmcnt(0) lgkmcnt(1)
	v_mul_lo_u32 v20, v4, s27
	v_mad_u64_u32 v[16:17], s[0:1], v4, s26, 0
	v_add3_u32 v17, v17, v20, v19
	v_mul_lo_u32 v19, v15, s26
	v_mul_lo_u32 v22, v14, s27
	v_mad_u64_u32 v[20:21], s[0:1], v14, s26, 0
	s_add_u32 s14, s26, -1
	v_lshl_add_u64 v[16:17], v[16:17], 2, s[28:29]
	v_add3_u32 v21, v21, v22, v19
	s_addc_u32 s15, s27, -1
	v_lshl_add_u64 v[20:21], v[20:21], 2, s[28:29]
	s_mov_b64 s[38:39], 0
	s_mov_b64 s[40:41], s[14:15]
	v_mov_b64_e32 v[22:23], v[16:17]
                                        ; implicit-def: $sgpr12_sgpr13
.LBB953_98:                             ; =>This Inner Loop Header: Depth=1
	global_load_dword v19, v[22:23], off
	global_load_dword v24, v[20:21], off
	s_add_u32 s0, s40, -1
	s_addc_u32 s1, s41, -1
	s_cmp_eq_u64 s[40:41], 0
	s_mov_b64 s[40:41], s[0:1]
	s_cselect_b64 s[42:43], -1, 0
	v_lshl_add_u64 v[22:23], v[22:23], 0, 4
	v_lshl_add_u64 v[20:21], v[20:21], 0, 4
	s_waitcnt vmcnt(0)
	v_cmp_neq_f32_e64 s[0:1], v19, v24
	s_or_b64 s[0:1], s[0:1], s[42:43]
	s_and_b64 s[0:1], exec, s[0:1]
	v_cmp_eq_f32_e32 vcc, v19, v24
	s_or_b64 s[38:39], s[0:1], s[38:39]
	s_andn2_b64 s[0:1], s[12:13], exec
	s_and_b64 s[12:13], vcc, exec
	s_or_b64 s[12:13], s[0:1], s[12:13]
	s_andn2_b64 exec, exec, s[38:39]
	s_cbranch_execnz .LBB953_98
; %bb.99:
	s_or_b64 exec, exec, s[38:39]
	v_mul_lo_u32 v19, v3, s26
	v_mul_lo_u32 v22, v2, s27
	v_mad_u64_u32 v[20:21], s[0:1], v2, s26, 0
	v_add3_u32 v21, v21, v22, v19
	v_lshl_add_u64 v[20:21], v[20:21], 2, s[28:29]
	s_mov_b64 s[40:41], 0
	s_mov_b64 s[42:43], s[14:15]
	v_mov_b64_e32 v[22:23], v[20:21]
                                        ; implicit-def: $sgpr38_sgpr39
.LBB953_100:                            ; =>This Inner Loop Header: Depth=1
	global_load_dword v19, v[22:23], off
	global_load_dword v24, v[16:17], off
	s_add_u32 s0, s42, -1
	s_addc_u32 s1, s43, -1
	s_cmp_eq_u64 s[42:43], 0
	s_mov_b64 s[42:43], s[0:1]
	s_cselect_b64 s[44:45], -1, 0
	v_lshl_add_u64 v[22:23], v[22:23], 0, 4
	v_lshl_add_u64 v[16:17], v[16:17], 0, 4
	s_waitcnt vmcnt(0)
	v_cmp_neq_f32_e64 s[0:1], v19, v24
	s_or_b64 s[0:1], s[0:1], s[44:45]
	s_and_b64 s[0:1], exec, s[0:1]
	v_cmp_eq_f32_e32 vcc, v19, v24
	s_or_b64 s[40:41], s[0:1], s[40:41]
	s_andn2_b64 s[0:1], s[38:39], exec
	s_and_b64 s[38:39], vcc, exec
	s_or_b64 s[38:39], s[0:1], s[38:39]
	s_andn2_b64 exec, exec, s[40:41]
	s_cbranch_execnz .LBB953_100
; %bb.101:
	s_or_b64 exec, exec, s[40:41]
	v_mul_lo_u32 v19, v9, s26
	v_mul_lo_u32 v22, v8, s27
	v_mad_u64_u32 v[16:17], s[0:1], v8, s26, 0
	v_add3_u32 v17, v17, v22, v19
	v_lshl_add_u64 v[16:17], v[16:17], 2, s[28:29]
	s_mov_b64 s[42:43], 0
	s_mov_b64 s[44:45], s[14:15]
	v_mov_b64_e32 v[22:23], v[16:17]
                                        ; implicit-def: $sgpr40_sgpr41
.LBB953_102:                            ; =>This Inner Loop Header: Depth=1
	global_load_dword v19, v[22:23], off
	global_load_dword v24, v[20:21], off
	s_add_u32 s0, s44, -1
	s_addc_u32 s1, s45, -1
	s_cmp_eq_u64 s[44:45], 0
	s_mov_b64 s[44:45], s[0:1]
	s_cselect_b64 s[46:47], -1, 0
	v_lshl_add_u64 v[22:23], v[22:23], 0, 4
	v_lshl_add_u64 v[20:21], v[20:21], 0, 4
	s_waitcnt vmcnt(0)
	v_cmp_neq_f32_e64 s[0:1], v19, v24
	s_or_b64 s[0:1], s[0:1], s[46:47]
	s_and_b64 s[0:1], exec, s[0:1]
	v_cmp_eq_f32_e32 vcc, v19, v24
	s_or_b64 s[42:43], s[0:1], s[42:43]
	s_andn2_b64 s[0:1], s[40:41], exec
	s_and_b64 s[40:41], vcc, exec
	s_or_b64 s[40:41], s[0:1], s[40:41]
	s_andn2_b64 exec, exec, s[42:43]
	s_cbranch_execnz .LBB953_102
; %bb.103:
	s_or_b64 exec, exec, s[42:43]
	v_mul_lo_u32 v19, v7, s26
	v_mul_lo_u32 v22, v6, s27
	v_mad_u64_u32 v[20:21], s[0:1], v6, s26, 0
	v_add3_u32 v21, v21, v22, v19
	v_lshl_add_u64 v[20:21], v[20:21], 2, s[28:29]
	s_mov_b64 s[44:45], 0
	s_mov_b64 s[46:47], s[14:15]
	v_mov_b64_e32 v[22:23], v[20:21]
                                        ; implicit-def: $sgpr42_sgpr43
.LBB953_104:                            ; =>This Inner Loop Header: Depth=1
	global_load_dword v19, v[22:23], off
	global_load_dword v24, v[16:17], off
	s_add_u32 s0, s46, -1
	s_addc_u32 s1, s47, -1
	s_cmp_eq_u64 s[46:47], 0
	s_mov_b64 s[46:47], s[0:1]
	s_cselect_b64 s[48:49], -1, 0
	v_lshl_add_u64 v[22:23], v[22:23], 0, 4
	v_lshl_add_u64 v[16:17], v[16:17], 0, 4
	s_waitcnt vmcnt(0)
	v_cmp_neq_f32_e64 s[0:1], v19, v24
	s_or_b64 s[0:1], s[0:1], s[48:49]
	s_and_b64 s[0:1], exec, s[0:1]
	v_cmp_eq_f32_e32 vcc, v19, v24
	s_or_b64 s[44:45], s[0:1], s[44:45]
	s_andn2_b64 s[0:1], s[42:43], exec
	s_and_b64 s[42:43], vcc, exec
	s_or_b64 s[42:43], s[0:1], s[42:43]
	s_andn2_b64 exec, exec, s[44:45]
	s_cbranch_execnz .LBB953_104
; %bb.105:
	s_or_b64 exec, exec, s[44:45]
	v_mul_lo_u32 v19, v13, s26
	v_mul_lo_u32 v22, v12, s27
	v_mad_u64_u32 v[16:17], s[0:1], v12, s26, 0
	v_add3_u32 v17, v17, v22, v19
	v_lshl_add_u64 v[16:17], v[16:17], 2, s[28:29]
	s_mov_b64 s[46:47], 0
	s_mov_b64 s[48:49], s[14:15]
	v_mov_b64_e32 v[22:23], v[16:17]
                                        ; implicit-def: $sgpr44_sgpr45
.LBB953_106:                            ; =>This Inner Loop Header: Depth=1
	global_load_dword v19, v[22:23], off
	global_load_dword v24, v[20:21], off
	s_add_u32 s0, s48, -1
	s_addc_u32 s1, s49, -1
	s_cmp_eq_u64 s[48:49], 0
	s_mov_b64 s[48:49], s[0:1]
	s_cselect_b64 s[52:53], -1, 0
	v_lshl_add_u64 v[22:23], v[22:23], 0, 4
	v_lshl_add_u64 v[20:21], v[20:21], 0, 4
	s_waitcnt vmcnt(0)
	v_cmp_neq_f32_e64 s[0:1], v19, v24
	s_or_b64 s[0:1], s[0:1], s[52:53]
	s_and_b64 s[0:1], exec, s[0:1]
	v_cmp_eq_f32_e32 vcc, v19, v24
	s_or_b64 s[46:47], s[0:1], s[46:47]
	s_andn2_b64 s[0:1], s[44:45], exec
	s_and_b64 s[44:45], vcc, exec
	s_or_b64 s[44:45], s[0:1], s[44:45]
	s_andn2_b64 exec, exec, s[46:47]
	s_cbranch_execnz .LBB953_106
; %bb.107:
	s_or_b64 exec, exec, s[46:47]
	v_mul_lo_u32 v19, v11, s26
	v_mul_lo_u32 v22, v10, s27
	v_mad_u64_u32 v[20:21], s[0:1], v10, s26, 0
	v_add3_u32 v21, v21, v22, v19
	v_lshl_add_u64 v[20:21], v[20:21], 2, s[28:29]
	s_mov_b64 s[48:49], 0
                                        ; implicit-def: $sgpr46_sgpr47
.LBB953_108:                            ; =>This Inner Loop Header: Depth=1
	global_load_dword v19, v[20:21], off
	global_load_dword v22, v[16:17], off
	s_add_u32 s0, s14, -1
	s_addc_u32 s1, s15, -1
	s_cmp_eq_u64 s[14:15], 0
	s_mov_b64 s[14:15], s[0:1]
	s_cselect_b64 s[52:53], -1, 0
	v_lshl_add_u64 v[20:21], v[20:21], 0, 4
	v_lshl_add_u64 v[16:17], v[16:17], 0, 4
	s_waitcnt vmcnt(0)
	v_cmp_neq_f32_e64 s[0:1], v19, v22
	s_or_b64 s[0:1], s[0:1], s[52:53]
	s_and_b64 s[0:1], exec, s[0:1]
	v_cmp_eq_f32_e32 vcc, v19, v22
	s_or_b64 s[48:49], s[0:1], s[48:49]
	s_andn2_b64 s[0:1], s[46:47], exec
	s_and_b64 s[46:47], vcc, exec
	s_or_b64 s[46:47], s[0:1], s[46:47]
	s_andn2_b64 exec, exec, s[48:49]
	s_cbranch_execnz .LBB953_108
; %bb.109:
	s_or_b64 exec, exec, s[48:49]
	s_xor_b64 s[0:1], s[38:39], -1
	v_cndmask_b32_e64 v40, 0, 1, s[0:1]
	s_xor_b64 s[0:1], s[42:43], -1
	v_cndmask_b32_e64 v16, 0, 1, s[0:1]
	v_lshlrev_b16_e32 v16, 8, v16
	s_xor_b64 s[0:1], s[12:13], -1
	v_lshrrev_b32_e32 v16, 8, v16
	v_mov_b32_e32 v20, 1
	s_xor_b64 s[12:13], s[44:45], -1
	v_cndmask_b32_e64 v19, 0, 1, s[0:1]
	s_xor_b64 s[0:1], s[40:41], -1
	v_and_b32_sdwa v16, v16, v20 dst_sel:BYTE_1 dst_unused:UNUSED_PAD src0_sel:DWORD src1_sel:DWORD
	v_cndmask_b32_e64 v20, 0, 1, s[12:13]
	v_cndmask_b32_e64 v17, 0, 1, s[0:1]
	s_xor_b64 s[0:1], s[46:47], -1
	v_or_b32_sdwa v16, v20, v16 dst_sel:WORD_1 dst_unused:UNUSED_PAD src0_sel:DWORD src1_sel:DWORD
	s_branch .LBB953_112
.LBB953_110:
                                        ; implicit-def: $sgpr0_sgpr1
                                        ; implicit-def: $vgpr19
                                        ; implicit-def: $vgpr40
                                        ; implicit-def: $vgpr17
                                        ; implicit-def: $vgpr22
                                        ; implicit-def: $vgpr42
                                        ; implicit-def: $vgpr41
                                        ; implicit-def: $vgpr20
	s_cbranch_execnz .LBB953_119
	s_branch .LBB953_164
.LBB953_111:
	v_mov_b32_e32 v16, 0
	v_mov_b32_e32 v19, 0
	;; [unrolled: 1-line block ×4, first 2 shown]
.LBB953_112:
	v_lshrrev_b32_e32 v41, 16, v16
	s_waitcnt vmcnt(0) lgkmcnt(1)
	v_lshrrev_b32_e32 v20, 24, v16
	v_cndmask_b32_e64 v42, 0, 1, s[0:1]
	v_mov_b32_e32 v16, 1
	s_waitcnt lgkmcnt(0)
	s_barrier
                                        ; implicit-def: $sgpr0_sgpr1
                                        ; implicit-def: $vgpr22
	s_and_saveexec_b64 s[12:13], s[2:3]
	s_xor_b64 s[12:13], exec, s[12:13]
	s_cbranch_execz .LBB953_118
; %bb.113:
	v_lshlrev_b16_e32 v21, 8, v20
	s_movk_i32 s0, 0xff
	v_bitop3_b16 v21, v41, v21, s0 bitop3:0xec
	v_lshlrev_b16_e32 v22, 8, v42
	v_lshlrev_b32_e32 v21, 16, v21
	v_or_b32_e32 v22, 1, v22
	v_or_b32_sdwa v21, v22, v21 dst_sel:DWORD dst_unused:UNUSED_PAD src0_sel:WORD_0 src1_sel:DWORD
	s_mov_b32 s40, 0x3020104
	s_and_b64 vcc, exec, s[4:5]
	s_mov_b64 s[0:1], 0
	s_cbranch_vccnz .LBB953_117
; %bb.114:
	v_add_u32_e32 v22, -8, v26
	ds_read_b64 v[22:23], v22
	v_mul_lo_u32 v27, v11, s26
	v_mul_lo_u32 v28, v10, s27
	s_add_u32 s38, s26, -1
	s_addc_u32 s39, s27, -1
	s_waitcnt lgkmcnt(0)
	v_mul_lo_u32 v24, v23, s26
	v_mul_lo_u32 v25, v22, s27
	v_mad_u64_u32 v[22:23], s[0:1], v22, s26, 0
	v_add3_u32 v23, v23, v25, v24
	v_mad_u64_u32 v[24:25], s[0:1], v10, s26, 0
	v_add3_u32 v25, v25, v28, v27
	v_lshl_add_u64 v[22:23], v[22:23], 2, s[28:29]
	v_lshl_add_u64 v[24:25], v[24:25], 2, s[28:29]
	s_mov_b64 s[4:5], 0
                                        ; implicit-def: $sgpr14_sgpr15
.LBB953_115:                            ; =>This Inner Loop Header: Depth=1
	global_load_dword v27, v[22:23], off
	global_load_dword v28, v[24:25], off
	s_add_u32 s0, s38, -1
	s_addc_u32 s1, s39, -1
	s_cmp_eq_u64 s[38:39], 0
	s_mov_b64 s[38:39], s[0:1]
	s_cselect_b64 s[42:43], -1, 0
	v_lshl_add_u64 v[22:23], v[22:23], 0, 4
	v_lshl_add_u64 v[24:25], v[24:25], 0, 4
	s_waitcnt vmcnt(0)
	v_cmp_neq_f32_e64 s[0:1], v27, v28
	s_or_b64 s[0:1], s[0:1], s[42:43]
	s_and_b64 s[0:1], exec, s[0:1]
	v_cmp_eq_f32_e32 vcc, v27, v28
	s_or_b64 s[4:5], s[0:1], s[4:5]
	s_andn2_b64 s[0:1], s[14:15], exec
	s_and_b64 s[14:15], vcc, exec
	s_or_b64 s[14:15], s[0:1], s[14:15]
	s_andn2_b64 exec, exec, s[4:5]
	s_cbranch_execnz .LBB953_115
; %bb.116:
	s_or_b64 exec, exec, s[4:5]
	s_xor_b64 s[0:1], s[14:15], -1
.LBB953_117:
	v_perm_b32 v22, v21, v21, s40
	s_or_b64 s[10:11], s[10:11], exec
.LBB953_118:
	s_or_b64 exec, exec, s[12:13]
	s_branch .LBB953_164
.LBB953_119:
	v_add_u32_e32 v16, 6, v1
	v_cmp_gt_u32_e32 vcc, s50, v16
	s_mov_b64 s[12:13], 0
	s_mov_b64 s[4:5], 0
	s_and_saveexec_b64 s[14:15], vcc
	s_cbranch_execz .LBB953_125
; %bb.120:
	s_andn2_b64 vcc, exec, s[6:7]
	s_mov_b64 s[0:1], 0
	s_cbranch_vccnz .LBB953_124
; %bb.121:
	v_mul_lo_u32 v19, v5, s26
	s_waitcnt vmcnt(0) lgkmcnt(1)
	v_mul_lo_u32 v20, v4, s27
	v_mad_u64_u32 v[16:17], s[0:1], v4, s26, 0
	v_add3_u32 v17, v17, v20, v19
	v_mul_lo_u32 v19, v15, s26
	v_mul_lo_u32 v22, v14, s27
	v_mad_u64_u32 v[20:21], s[0:1], v14, s26, 0
	v_add3_u32 v21, v21, v22, v19
	s_add_u32 s40, s26, -1
	v_lshl_add_u64 v[16:17], v[16:17], 2, s[28:29]
	v_lshl_add_u64 v[20:21], v[20:21], 2, s[28:29]
	s_addc_u32 s41, s27, -1
                                        ; implicit-def: $sgpr38_sgpr39
.LBB953_122:                            ; =>This Inner Loop Header: Depth=1
	global_load_dword v19, v[16:17], off
	global_load_dword v22, v[20:21], off
	s_add_u32 s0, s40, -1
	s_addc_u32 s1, s41, -1
	s_cmp_eq_u64 s[40:41], 0
	s_mov_b64 s[40:41], s[0:1]
	s_cselect_b64 s[42:43], -1, 0
	v_lshl_add_u64 v[16:17], v[16:17], 0, 4
	v_lshl_add_u64 v[20:21], v[20:21], 0, 4
	s_waitcnt vmcnt(0)
	v_cmp_neq_f32_e64 s[0:1], v19, v22
	s_or_b64 s[0:1], s[0:1], s[42:43]
	s_and_b64 s[0:1], exec, s[0:1]
	v_cmp_eq_f32_e32 vcc, v19, v22
	s_or_b64 s[4:5], s[0:1], s[4:5]
	s_andn2_b64 s[0:1], s[38:39], exec
	s_and_b64 s[38:39], vcc, exec
	s_or_b64 s[38:39], s[0:1], s[38:39]
	s_andn2_b64 exec, exec, s[4:5]
	s_cbranch_execnz .LBB953_122
; %bb.123:
	s_or_b64 exec, exec, s[4:5]
	s_xor_b64 s[0:1], s[38:39], -1
.LBB953_124:
	s_and_b64 s[4:5], s[0:1], exec
.LBB953_125:
	s_or_b64 exec, exec, s[14:15]
	v_add_u32_e32 v16, 5, v1
	v_cmp_gt_u32_e32 vcc, s50, v16
	s_and_saveexec_b64 s[14:15], vcc
	s_cbranch_execz .LBB953_131
; %bb.126:
	s_andn2_b64 vcc, exec, s[6:7]
	s_mov_b64 s[0:1], 0
	s_cbranch_vccnz .LBB953_130
; %bb.127:
	v_mul_lo_u32 v19, v3, s26
	s_waitcnt vmcnt(0) lgkmcnt(1)
	v_mul_lo_u32 v20, v2, s27
	v_mad_u64_u32 v[16:17], s[0:1], v2, s26, 0
	v_add3_u32 v17, v17, v20, v19
	v_mul_lo_u32 v19, v5, s26
	v_mul_lo_u32 v22, v4, s27
	v_mad_u64_u32 v[20:21], s[0:1], v4, s26, 0
	v_add3_u32 v21, v21, v22, v19
	s_add_u32 s40, s26, -1
	v_lshl_add_u64 v[16:17], v[16:17], 2, s[28:29]
	v_lshl_add_u64 v[20:21], v[20:21], 2, s[28:29]
	s_addc_u32 s41, s27, -1
	s_mov_b64 s[12:13], 0
                                        ; implicit-def: $sgpr38_sgpr39
.LBB953_128:                            ; =>This Inner Loop Header: Depth=1
	global_load_dword v19, v[16:17], off
	global_load_dword v22, v[20:21], off
	s_add_u32 s0, s40, -1
	s_addc_u32 s1, s41, -1
	s_cmp_eq_u64 s[40:41], 0
	s_mov_b64 s[40:41], s[0:1]
	s_cselect_b64 s[42:43], -1, 0
	v_lshl_add_u64 v[16:17], v[16:17], 0, 4
	v_lshl_add_u64 v[20:21], v[20:21], 0, 4
	s_waitcnt vmcnt(0)
	v_cmp_neq_f32_e64 s[0:1], v19, v22
	s_or_b64 s[0:1], s[0:1], s[42:43]
	s_and_b64 s[0:1], exec, s[0:1]
	v_cmp_eq_f32_e32 vcc, v19, v22
	s_or_b64 s[12:13], s[0:1], s[12:13]
	s_andn2_b64 s[0:1], s[38:39], exec
	s_and_b64 s[38:39], vcc, exec
	s_or_b64 s[38:39], s[0:1], s[38:39]
	s_andn2_b64 exec, exec, s[12:13]
	s_cbranch_execnz .LBB953_128
; %bb.129:
	s_or_b64 exec, exec, s[12:13]
	s_xor_b64 s[0:1], s[38:39], -1
.LBB953_130:
	s_and_b64 s[12:13], s[0:1], exec
.LBB953_131:
	s_or_b64 exec, exec, s[14:15]
	v_add_u32_e32 v16, 4, v1
	v_cmp_gt_u32_e32 vcc, s50, v16
	s_mov_b64 s[14:15], 0
	s_mov_b64 s[38:39], 0
	s_and_saveexec_b64 s[40:41], vcc
	s_cbranch_execz .LBB953_137
; %bb.132:
	s_andn2_b64 vcc, exec, s[6:7]
	s_mov_b64 s[0:1], 0
	s_cbranch_vccnz .LBB953_136
; %bb.133:
	v_mul_lo_u32 v19, v9, s26
	s_waitcnt vmcnt(0) lgkmcnt(1)
	v_mul_lo_u32 v20, v8, s27
	v_mad_u64_u32 v[16:17], s[0:1], v8, s26, 0
	v_add3_u32 v17, v17, v20, v19
	v_mul_lo_u32 v19, v3, s26
	v_mul_lo_u32 v22, v2, s27
	v_mad_u64_u32 v[20:21], s[0:1], v2, s26, 0
	v_add3_u32 v21, v21, v22, v19
	s_add_u32 s44, s26, -1
	v_lshl_add_u64 v[16:17], v[16:17], 2, s[28:29]
	v_lshl_add_u64 v[20:21], v[20:21], 2, s[28:29]
	s_addc_u32 s45, s27, -1
                                        ; implicit-def: $sgpr42_sgpr43
.LBB953_134:                            ; =>This Inner Loop Header: Depth=1
	global_load_dword v19, v[16:17], off
	global_load_dword v22, v[20:21], off
	s_add_u32 s0, s44, -1
	s_addc_u32 s1, s45, -1
	s_cmp_eq_u64 s[44:45], 0
	s_mov_b64 s[44:45], s[0:1]
	s_cselect_b64 s[46:47], -1, 0
	v_lshl_add_u64 v[16:17], v[16:17], 0, 4
	v_lshl_add_u64 v[20:21], v[20:21], 0, 4
	s_waitcnt vmcnt(0)
	v_cmp_neq_f32_e64 s[0:1], v19, v22
	s_or_b64 s[0:1], s[0:1], s[46:47]
	s_and_b64 s[0:1], exec, s[0:1]
	v_cmp_eq_f32_e32 vcc, v19, v22
	s_or_b64 s[38:39], s[0:1], s[38:39]
	s_andn2_b64 s[0:1], s[42:43], exec
	s_and_b64 s[42:43], vcc, exec
	s_or_b64 s[42:43], s[0:1], s[42:43]
	s_andn2_b64 exec, exec, s[38:39]
	s_cbranch_execnz .LBB953_134
; %bb.135:
	s_or_b64 exec, exec, s[38:39]
	s_xor_b64 s[0:1], s[42:43], -1
.LBB953_136:
	s_and_b64 s[38:39], s[0:1], exec
.LBB953_137:
	s_or_b64 exec, exec, s[40:41]
	v_add_u32_e32 v16, 3, v1
	v_cmp_gt_u32_e32 vcc, s50, v16
	s_and_saveexec_b64 s[40:41], vcc
	s_cbranch_execz .LBB953_143
; %bb.138:
	s_andn2_b64 vcc, exec, s[6:7]
	s_mov_b64 s[0:1], 0
	s_cbranch_vccnz .LBB953_142
; %bb.139:
	v_mul_lo_u32 v19, v7, s26
	s_waitcnt vmcnt(0) lgkmcnt(1)
	v_mul_lo_u32 v20, v6, s27
	v_mad_u64_u32 v[16:17], s[0:1], v6, s26, 0
	v_add3_u32 v17, v17, v20, v19
	v_mul_lo_u32 v19, v9, s26
	v_mul_lo_u32 v22, v8, s27
	v_mad_u64_u32 v[20:21], s[0:1], v8, s26, 0
	v_add3_u32 v21, v21, v22, v19
	s_add_u32 s44, s26, -1
	v_lshl_add_u64 v[16:17], v[16:17], 2, s[28:29]
	v_lshl_add_u64 v[20:21], v[20:21], 2, s[28:29]
	s_addc_u32 s45, s27, -1
	s_mov_b64 s[14:15], 0
                                        ; implicit-def: $sgpr42_sgpr43
.LBB953_140:                            ; =>This Inner Loop Header: Depth=1
	global_load_dword v19, v[16:17], off
	global_load_dword v22, v[20:21], off
	s_add_u32 s0, s44, -1
	s_addc_u32 s1, s45, -1
	s_cmp_eq_u64 s[44:45], 0
	s_mov_b64 s[44:45], s[0:1]
	s_cselect_b64 s[46:47], -1, 0
	v_lshl_add_u64 v[16:17], v[16:17], 0, 4
	v_lshl_add_u64 v[20:21], v[20:21], 0, 4
	s_waitcnt vmcnt(0)
	v_cmp_neq_f32_e64 s[0:1], v19, v22
	s_or_b64 s[0:1], s[0:1], s[46:47]
	s_and_b64 s[0:1], exec, s[0:1]
	v_cmp_eq_f32_e32 vcc, v19, v22
	s_or_b64 s[14:15], s[0:1], s[14:15]
	s_andn2_b64 s[0:1], s[42:43], exec
	s_and_b64 s[42:43], vcc, exec
	s_or_b64 s[42:43], s[0:1], s[42:43]
	s_andn2_b64 exec, exec, s[14:15]
	s_cbranch_execnz .LBB953_140
; %bb.141:
	s_or_b64 exec, exec, s[14:15]
	s_xor_b64 s[0:1], s[42:43], -1
.LBB953_142:
	s_and_b64 s[14:15], s[0:1], exec
.LBB953_143:
	s_or_b64 exec, exec, s[40:41]
	v_add_u32_e32 v16, 2, v1
	v_cmp_gt_u32_e32 vcc, s50, v16
	s_mov_b64 s[40:41], 0
	s_mov_b64 s[42:43], 0
	s_and_saveexec_b64 s[44:45], vcc
	s_cbranch_execz .LBB953_149
; %bb.144:
	s_andn2_b64 vcc, exec, s[6:7]
	s_mov_b64 s[0:1], 0
	s_cbranch_vccnz .LBB953_148
; %bb.145:
	v_mul_lo_u32 v19, v13, s26
	s_waitcnt vmcnt(0) lgkmcnt(1)
	v_mul_lo_u32 v20, v12, s27
	v_mad_u64_u32 v[16:17], s[0:1], v12, s26, 0
	v_add3_u32 v17, v17, v20, v19
	v_mul_lo_u32 v19, v7, s26
	v_mul_lo_u32 v22, v6, s27
	v_mad_u64_u32 v[20:21], s[0:1], v6, s26, 0
	v_add3_u32 v21, v21, v22, v19
	s_add_u32 s48, s26, -1
	v_lshl_add_u64 v[16:17], v[16:17], 2, s[28:29]
	v_lshl_add_u64 v[20:21], v[20:21], 2, s[28:29]
	s_addc_u32 s49, s27, -1
                                        ; implicit-def: $sgpr46_sgpr47
.LBB953_146:                            ; =>This Inner Loop Header: Depth=1
	global_load_dword v19, v[16:17], off
	global_load_dword v22, v[20:21], off
	s_add_u32 s0, s48, -1
	s_addc_u32 s1, s49, -1
	s_cmp_eq_u64 s[48:49], 0
	s_mov_b64 s[48:49], s[0:1]
	s_cselect_b64 s[52:53], -1, 0
	v_lshl_add_u64 v[16:17], v[16:17], 0, 4
	v_lshl_add_u64 v[20:21], v[20:21], 0, 4
	s_waitcnt vmcnt(0)
	v_cmp_neq_f32_e64 s[0:1], v19, v22
	s_or_b64 s[0:1], s[0:1], s[52:53]
	s_and_b64 s[0:1], exec, s[0:1]
	v_cmp_eq_f32_e32 vcc, v19, v22
	s_or_b64 s[42:43], s[0:1], s[42:43]
	s_andn2_b64 s[0:1], s[46:47], exec
	s_and_b64 s[46:47], vcc, exec
	s_or_b64 s[46:47], s[0:1], s[46:47]
	s_andn2_b64 exec, exec, s[42:43]
	s_cbranch_execnz .LBB953_146
; %bb.147:
	s_or_b64 exec, exec, s[42:43]
	s_xor_b64 s[0:1], s[46:47], -1
.LBB953_148:
	s_and_b64 s[42:43], s[0:1], exec
.LBB953_149:
	s_or_b64 exec, exec, s[44:45]
	v_add_u32_e32 v16, 1, v1
	v_cmp_gt_u32_e32 vcc, s50, v16
	s_and_saveexec_b64 s[44:45], vcc
	s_cbranch_execz .LBB953_155
; %bb.150:
	s_andn2_b64 vcc, exec, s[6:7]
	s_mov_b64 s[0:1], 0
	s_cbranch_vccnz .LBB953_154
; %bb.151:
	v_mul_lo_u32 v19, v11, s26
	s_waitcnt vmcnt(0) lgkmcnt(1)
	v_mul_lo_u32 v20, v10, s27
	v_mad_u64_u32 v[16:17], s[0:1], v10, s26, 0
	v_add3_u32 v17, v17, v20, v19
	v_mul_lo_u32 v19, v13, s26
	v_mul_lo_u32 v22, v12, s27
	v_mad_u64_u32 v[20:21], s[0:1], v12, s26, 0
	v_add3_u32 v21, v21, v22, v19
	s_add_u32 s48, s26, -1
	v_lshl_add_u64 v[16:17], v[16:17], 2, s[28:29]
	v_lshl_add_u64 v[20:21], v[20:21], 2, s[28:29]
	s_addc_u32 s49, s27, -1
	s_mov_b64 s[40:41], 0
                                        ; implicit-def: $sgpr46_sgpr47
.LBB953_152:                            ; =>This Inner Loop Header: Depth=1
	global_load_dword v19, v[16:17], off
	global_load_dword v22, v[20:21], off
	s_add_u32 s0, s48, -1
	s_addc_u32 s1, s49, -1
	s_cmp_eq_u64 s[48:49], 0
	s_mov_b64 s[48:49], s[0:1]
	s_cselect_b64 s[52:53], -1, 0
	v_lshl_add_u64 v[16:17], v[16:17], 0, 4
	v_lshl_add_u64 v[20:21], v[20:21], 0, 4
	s_waitcnt vmcnt(0)
	v_cmp_neq_f32_e64 s[0:1], v19, v22
	s_or_b64 s[0:1], s[0:1], s[52:53]
	s_and_b64 s[0:1], exec, s[0:1]
	v_cmp_eq_f32_e32 vcc, v19, v22
	s_or_b64 s[40:41], s[0:1], s[40:41]
	s_andn2_b64 s[0:1], s[46:47], exec
	s_and_b64 s[46:47], vcc, exec
	s_or_b64 s[46:47], s[0:1], s[46:47]
	s_andn2_b64 exec, exec, s[40:41]
	s_cbranch_execnz .LBB953_152
; %bb.153:
	s_or_b64 exec, exec, s[40:41]
	s_xor_b64 s[0:1], s[46:47], -1
.LBB953_154:
	s_and_b64 s[40:41], s[0:1], exec
.LBB953_155:
	s_or_b64 exec, exec, s[44:45]
	v_cndmask_b32_e64 v17, 0, 1, s[38:39]
	v_cndmask_b32_e64 v40, 0, 1, s[12:13]
	;; [unrolled: 1-line block ×4, first 2 shown]
	s_waitcnt vmcnt(0) lgkmcnt(1)
	v_cndmask_b32_e64 v20, 0, 1, s[14:15]
	v_cndmask_b32_e64 v42, 0, 1, s[40:41]
	v_mov_b32_e32 v16, 1
	s_waitcnt lgkmcnt(0)
	s_barrier
                                        ; implicit-def: $sgpr0_sgpr1
                                        ; implicit-def: $vgpr22
	s_and_saveexec_b64 s[4:5], s[2:3]
	s_cbranch_execz .LBB953_163
; %bb.156:
	v_lshlrev_b16_e32 v21, 8, v42
	v_lshlrev_b16_e32 v22, 8, v20
	v_or_b32_e32 v21, 1, v21
	v_or_b32_sdwa v22, v41, v22 dst_sel:WORD_1 dst_unused:UNUSED_PAD src0_sel:DWORD src1_sel:DWORD
	v_cmp_gt_u32_e32 vcc, s50, v1
	v_or_b32_sdwa v21, v21, v22 dst_sel:DWORD dst_unused:UNUSED_PAD src0_sel:WORD_0 src1_sel:DWORD
	s_mov_b32 s38, 0x3020104
	s_mov_b64 s[0:1], 0
	s_and_saveexec_b64 s[2:3], vcc
	s_cbranch_execz .LBB953_162
; %bb.157:
	s_andn2_b64 vcc, exec, s[6:7]
	s_cbranch_vccnz .LBB953_161
; %bb.158:
	v_add_u32_e32 v22, -8, v26
	ds_read_b64 v[22:23], v22
	v_mul_lo_u32 v26, v11, s26
	v_mul_lo_u32 v27, v10, s27
	s_add_u32 s14, s26, -1
	s_addc_u32 s15, s27, -1
	s_waitcnt lgkmcnt(0)
	v_mul_lo_u32 v24, v23, s26
	v_mul_lo_u32 v25, v22, s27
	v_mad_u64_u32 v[22:23], s[0:1], v22, s26, 0
	v_add3_u32 v23, v23, v25, v24
	v_mad_u64_u32 v[24:25], s[0:1], v10, s26, 0
	v_add3_u32 v25, v25, v27, v26
	v_lshl_add_u64 v[22:23], v[22:23], 2, s[28:29]
	v_lshl_add_u64 v[24:25], v[24:25], 2, s[28:29]
	s_mov_b64 s[6:7], 0
                                        ; implicit-def: $sgpr12_sgpr13
.LBB953_159:                            ; =>This Inner Loop Header: Depth=1
	global_load_dword v26, v[22:23], off
	global_load_dword v27, v[24:25], off
	s_add_u32 s0, s14, -1
	s_addc_u32 s1, s15, -1
	s_cmp_eq_u64 s[14:15], 0
	s_mov_b64 s[14:15], s[0:1]
	s_cselect_b64 s[26:27], -1, 0
	v_lshl_add_u64 v[22:23], v[22:23], 0, 4
	v_lshl_add_u64 v[24:25], v[24:25], 0, 4
	s_waitcnt vmcnt(0)
	v_cmp_neq_f32_e64 s[0:1], v26, v27
	s_or_b64 s[0:1], s[0:1], s[26:27]
	s_and_b64 s[0:1], exec, s[0:1]
	v_cmp_eq_f32_e32 vcc, v26, v27
	s_or_b64 s[6:7], s[0:1], s[6:7]
	s_andn2_b64 s[0:1], s[12:13], exec
	s_and_b64 s[12:13], vcc, exec
	s_or_b64 s[12:13], s[0:1], s[12:13]
	s_andn2_b64 exec, exec, s[6:7]
	s_cbranch_execnz .LBB953_159
; %bb.160:
	s_or_b64 exec, exec, s[6:7]
	s_xor_b64 s[0:1], s[12:13], -1
.LBB953_161:
	s_and_b64 s[0:1], s[0:1], exec
.LBB953_162:
	s_or_b64 exec, exec, s[2:3]
	v_perm_b32 v22, v21, v21, s38
	s_or_b64 s[10:11], s[10:11], exec
.LBB953_163:
	s_or_b64 exec, exec, s[4:5]
.LBB953_164:
	s_and_saveexec_b64 s[2:3], s[10:11]
	s_cbranch_execz .LBB953_166
; %bb.165:
	s_waitcnt vmcnt(0) lgkmcnt(0)
	v_lshrrev_b32_e32 v20, 24, v22
	v_lshrrev_b32_e32 v41, 16, v22
	v_lshrrev_b32_e32 v42, 8, v22
	v_cndmask_b32_e64 v16, 0, 1, s[0:1]
.LBB953_166:
	s_or_b64 exec, exec, s[2:3]
	s_andn2_b64 vcc, exec, s[8:9]
	s_cbranch_vccnz .LBB953_170
; %bb.167:
	s_mov_b32 s0, 0xc0c0004
	s_waitcnt vmcnt(0) lgkmcnt(0)
	v_perm_b32 v20, v41, v20, s0
	v_perm_b32 v16, v16, v42, s0
	v_lshlrev_b32_e32 v20, 16, v20
	v_or_b32_e32 v16, v16, v20
	v_cmp_gt_u32_e32 vcc, s50, v1
	v_add_u32_e32 v22, 1, v1
	v_perm_b32 v17, v17, v40, s0
	v_cndmask_b32_e32 v20, v20, v16, vcc
	v_and_b32_e32 v20, 0xffff00ff, v20
	v_cmp_gt_u32_e32 vcc, s50, v22
	v_add_u32_e32 v22, 2, v1
	s_mov_b32 s0, 0x40c0100
	v_cndmask_b32_e32 v20, v20, v16, vcc
	v_lshrrev_b32_e32 v23, 24, v20
	v_and_b32_e32 v19, 0xff, v19
	v_perm_b32 v20, v23, v20, s0
	v_cmp_gt_u32_e32 vcc, s50, v22
	v_lshlrev_b32_e32 v19, 16, v19
	v_add_u32_e32 v22, 3, v1
	v_cndmask_b32_e32 v20, v20, v16, vcc
	s_mov_b32 s0, 0xffff00
	v_or_b32_e32 v21, v17, v19
	v_and_b32_e32 v20, 0xffffff, v20
	v_cmp_gt_u32_e32 vcc, s50, v22
	v_bitop3_b32 v17, v17, s0, v19 bitop3:0xc8
	v_add_u32_e32 v19, 4, v1
	v_cndmask_b32_e32 v20, v20, v16, vcc
	v_cmp_gt_u32_e32 vcc, s50, v19
	v_add_u32_e32 v19, 5, v1
	v_cmp_gt_u32_e64 s[0:1], s50, v19
	v_cndmask_b32_e32 v17, v17, v21, vcc
	v_and_b32_e32 v17, 0xffff00ff, v17
	s_or_b64 vcc, s[0:1], vcc
	v_cndmask_b32_e64 v17, v17, v21, s[0:1]
	v_cndmask_b32_e32 v16, v20, v16, vcc
	v_add_u32_e32 v1, 6, v1
	v_lshrrev_b32_e32 v41, 16, v16
	v_lshrrev_b32_e32 v42, 8, v16
	v_lshrrev_b64 v[20:21], 24, v[16:17]
	v_lshrrev_b32_e32 v19, 16, v17
	v_lshrrev_b32_e32 v40, 8, v17
	v_cmp_le_u32_e32 vcc, s50, v1
	s_and_saveexec_b64 s[0:1], vcc
; %bb.168:
	v_mov_b32_e32 v19, 0
; %bb.169:
	s_or_b64 exec, exec, s[0:1]
.LBB953_170:
	v_and_b32_e32 v1, 0xff, v16
	s_waitcnt vmcnt(0) lgkmcnt(0)
	v_and_b32_e32 v21, 0xff, v42
	v_and_b32_e32 v33, 0xff, v41
	;; [unrolled: 1-line block ×4, first 2 shown]
	v_add3_u32 v23, v21, v1, v33
	v_and_b32_e32 v39, 0xff, v40
	v_and_b32_e32 v22, 0xff, v19
	v_add3_u32 v23, v23, v35, v37
	v_add3_u32 v45, v23, v39, v22
	v_mbcnt_lo_u32_b32 v22, -1, 0
	v_mbcnt_hi_u32_b32 v43, -1, v22
	v_and_b32_e32 v22, 15, v43
	v_cmp_eq_u32_e64 s[14:15], 0, v22
	v_cmp_lt_u32_e64 s[12:13], 1, v22
	v_cmp_lt_u32_e64 s[10:11], 3, v22
	;; [unrolled: 1-line block ×3, first 2 shown]
	v_and_b32_e32 v22, 16, v43
	v_cmp_eq_u32_e64 s[6:7], 0, v22
	v_or_b32_e32 v22, 63, v0
	v_cmp_lt_u32_e64 s[2:3], 31, v43
	v_lshrrev_b32_e32 v44, 6, v0
	v_cmp_eq_u32_e64 s[4:5], v0, v22
	s_and_b64 vcc, exec, s[16:17]
	s_barrier
	s_cbranch_vccz .LBB953_192
; %bb.171:
	v_mov_b32_dpp v22, v45 row_shr:1 row_mask:0xf bank_mask:0xf
	v_cndmask_b32_e64 v22, v22, 0, s[14:15]
	v_add_u32_e32 v22, v22, v45
	s_nop 1
	v_mov_b32_dpp v23, v22 row_shr:2 row_mask:0xf bank_mask:0xf
	v_cndmask_b32_e64 v23, 0, v23, s[12:13]
	v_add_u32_e32 v22, v22, v23
	s_nop 1
	v_mov_b32_dpp v23, v22 row_shr:4 row_mask:0xf bank_mask:0xf
	v_cndmask_b32_e64 v23, 0, v23, s[10:11]
	v_add_u32_e32 v22, v22, v23
	s_nop 1
	v_mov_b32_dpp v23, v22 row_shr:8 row_mask:0xf bank_mask:0xf
	v_cndmask_b32_e64 v23, 0, v23, s[8:9]
	v_add_u32_e32 v22, v22, v23
	s_nop 1
	v_mov_b32_dpp v23, v22 row_bcast:15 row_mask:0xf bank_mask:0xf
	v_cndmask_b32_e64 v23, v23, 0, s[6:7]
	v_add_u32_e32 v22, v22, v23
	s_nop 1
	v_mov_b32_dpp v23, v22 row_bcast:31 row_mask:0xf bank_mask:0xf
	v_cndmask_b32_e64 v23, 0, v23, s[2:3]
	v_add_u32_e32 v22, v22, v23
	s_and_saveexec_b64 s[0:1], s[4:5]
; %bb.172:
	v_lshlrev_b32_e32 v23, 2, v44
	ds_write_b32 v23, v22
; %bb.173:
	s_or_b64 exec, exec, s[0:1]
	v_cmp_gt_u32_e32 vcc, 8, v0
	s_waitcnt lgkmcnt(0)
	s_barrier
	s_and_saveexec_b64 s[0:1], vcc
	s_cbranch_execz .LBB953_175
; %bb.174:
	v_lshlrev_b32_e32 v23, 2, v0
	ds_read_b32 v24, v23
	v_and_b32_e32 v25, 7, v43
	v_cmp_ne_u32_e32 vcc, 0, v25
	s_waitcnt lgkmcnt(0)
	v_mov_b32_dpp v26, v24 row_shr:1 row_mask:0xf bank_mask:0xf
	v_cndmask_b32_e32 v26, 0, v26, vcc
	v_add_u32_e32 v24, v26, v24
	v_cmp_lt_u32_e32 vcc, 1, v25
	s_nop 0
	v_mov_b32_dpp v26, v24 row_shr:2 row_mask:0xf bank_mask:0xf
	v_cndmask_b32_e32 v26, 0, v26, vcc
	v_add_u32_e32 v24, v24, v26
	v_cmp_lt_u32_e32 vcc, 3, v25
	s_nop 0
	v_mov_b32_dpp v26, v24 row_shr:4 row_mask:0xf bank_mask:0xf
	v_cndmask_b32_e32 v25, 0, v26, vcc
	v_add_u32_e32 v24, v24, v25
	ds_write_b32 v23, v24
.LBB953_175:
	s_or_b64 exec, exec, s[0:1]
	v_cmp_gt_u32_e32 vcc, 64, v0
	v_cmp_lt_u32_e64 s[0:1], 63, v0
	s_waitcnt lgkmcnt(0)
	s_barrier
                                        ; implicit-def: $vgpr32
	s_and_saveexec_b64 s[16:17], s[0:1]
	s_cbranch_execz .LBB953_177
; %bb.176:
	v_lshl_add_u32 v23, v44, 2, -4
	ds_read_b32 v32, v23
	s_waitcnt lgkmcnt(0)
	v_add_u32_e32 v22, v32, v22
.LBB953_177:
	s_or_b64 exec, exec, s[16:17]
	v_subrev_co_u32_e64 v23, s[16:17], 1, v43
	v_and_b32_e32 v24, 64, v43
	v_cmp_lt_i32_e64 s[0:1], v23, v24
	s_nop 1
	v_cndmask_b32_e64 v23, v23, v43, s[0:1]
	v_lshlrev_b32_e32 v23, 2, v23
	ds_bpermute_b32 v34, v23, v22
	s_and_saveexec_b64 s[0:1], vcc
	s_cbranch_execz .LBB953_197
; %bb.178:
	v_mov_b32_e32 v29, 0
	ds_read_b32 v22, v29 offset:28
	s_and_saveexec_b64 s[26:27], s[16:17]
	s_cbranch_execz .LBB953_180
; %bb.179:
	s_add_i32 s28, s33, 64
	s_mov_b32 s29, 0
	s_lshl_b64 s[28:29], s[28:29], 3
	s_add_u32 s28, s30, s28
	v_mov_b32_e32 v23, 1
	s_addc_u32 s29, s31, s29
	s_waitcnt lgkmcnt(0)
	global_store_dwordx2 v29, v[22:23], s[28:29] sc1
.LBB953_180:
	s_or_b64 exec, exec, s[26:27]
	v_xad_u32 v24, v43, -1, s33
	v_add_u32_e32 v28, 64, v24
	v_lshl_add_u64 v[30:31], v[28:29], 3, s[30:31]
	global_load_dwordx2 v[26:27], v[30:31], off sc1
	s_waitcnt vmcnt(0)
	v_cmp_eq_u16_sdwa s[28:29], v27, v29 src0_sel:BYTE_0 src1_sel:DWORD
	s_and_saveexec_b64 s[26:27], s[28:29]
	s_cbranch_execz .LBB953_184
; %bb.181:
	s_mov_b64 s[28:29], 0
	v_mov_b32_e32 v23, 0
.LBB953_182:                            ; =>This Inner Loop Header: Depth=1
	global_load_dwordx2 v[26:27], v[30:31], off sc1
	s_waitcnt vmcnt(0)
	v_cmp_ne_u16_sdwa s[38:39], v27, v23 src0_sel:BYTE_0 src1_sel:DWORD
	s_or_b64 s[28:29], s[38:39], s[28:29]
	s_andn2_b64 exec, exec, s[28:29]
	s_cbranch_execnz .LBB953_182
; %bb.183:
	s_or_b64 exec, exec, s[28:29]
.LBB953_184:
	s_or_b64 exec, exec, s[26:27]
	v_and_b32_e32 v38, 63, v43
	v_mov_b32_e32 v36, 2
	v_cmp_ne_u32_e32 vcc, 63, v38
	v_cmp_eq_u16_sdwa s[26:27], v27, v36 src0_sel:BYTE_0 src1_sel:DWORD
	v_lshlrev_b64 v[28:29], v43, -1
	v_addc_co_u32_e32 v30, vcc, 0, v43, vcc
	v_and_b32_e32 v23, s27, v29
	v_lshlrev_b32_e32 v46, 2, v30
	v_or_b32_e32 v23, 0x80000000, v23
	ds_bpermute_b32 v30, v46, v26
	v_and_b32_e32 v25, s26, v28
	v_ffbl_b32_e32 v23, v23
	v_add_u32_e32 v23, 32, v23
	v_ffbl_b32_e32 v25, v25
	v_min_u32_e32 v23, v25, v23
	v_cmp_lt_u32_e32 vcc, v38, v23
	v_add_u32_e32 v48, 2, v38
	v_add_u32_e32 v50, 4, v38
	s_waitcnt lgkmcnt(0)
	v_cndmask_b32_e32 v25, 0, v30, vcc
	v_cmp_gt_u32_e32 vcc, 62, v38
	v_add_u32_e32 v25, v25, v26
	v_add_u32_e32 v52, 8, v38
	v_cndmask_b32_e64 v26, 0, 2, vcc
	v_add_lshl_u32 v47, v26, v43, 2
	ds_bpermute_b32 v26, v47, v25
	v_cmp_le_u32_e32 vcc, v48, v23
	v_add_u32_e32 v54, 16, v38
	v_add_u32_e32 v56, 32, v38
	s_waitcnt lgkmcnt(0)
	v_cndmask_b32_e32 v26, 0, v26, vcc
	v_cmp_gt_u32_e32 vcc, 60, v38
	v_add_u32_e32 v25, v25, v26
	s_nop 0
	v_cndmask_b32_e64 v26, 0, 4, vcc
	v_add_lshl_u32 v49, v26, v43, 2
	ds_bpermute_b32 v26, v49, v25
	v_cmp_le_u32_e32 vcc, v50, v23
	s_waitcnt lgkmcnt(0)
	s_nop 0
	v_cndmask_b32_e32 v26, 0, v26, vcc
	v_cmp_gt_u32_e32 vcc, 56, v38
	v_add_u32_e32 v25, v25, v26
	s_nop 0
	v_cndmask_b32_e64 v26, 0, 8, vcc
	v_add_lshl_u32 v51, v26, v43, 2
	ds_bpermute_b32 v26, v51, v25
	v_cmp_le_u32_e32 vcc, v52, v23
	s_waitcnt lgkmcnt(0)
	s_nop 0
	;; [unrolled: 10-line block ×3, first 2 shown]
	v_cndmask_b32_e32 v26, 0, v26, vcc
	v_add_u32_e32 v25, v25, v26
	v_mov_b32_e32 v26, 0x80
	v_lshl_or_b32 v55, v43, 2, v26
	ds_bpermute_b32 v26, v55, v25
	v_cmp_le_u32_e32 vcc, v56, v23
	s_waitcnt lgkmcnt(0)
	s_nop 0
	v_cndmask_b32_e32 v23, 0, v26, vcc
	v_add_u32_e32 v26, v25, v23
	v_mov_b32_e32 v25, 0
	s_branch .LBB953_187
.LBB953_185:                            ;   in Loop: Header=BB953_187 Depth=1
	s_or_b64 exec, exec, s[26:27]
	v_cmp_eq_u16_sdwa s[26:27], v27, v36 src0_sel:BYTE_0 src1_sel:DWORD
	ds_bpermute_b32 v57, v46, v26
	v_subrev_u32_e32 v24, 64, v24
	v_and_b32_e32 v30, s27, v29
	v_or_b32_e32 v30, 0x80000000, v30
	v_and_b32_e32 v31, s26, v28
	v_ffbl_b32_e32 v30, v30
	v_add_u32_e32 v30, 32, v30
	v_ffbl_b32_e32 v31, v31
	v_min_u32_e32 v30, v31, v30
	v_cmp_lt_u32_e32 vcc, v38, v30
	s_mov_b64 s[26:27], 0
	s_waitcnt lgkmcnt(0)
	v_cndmask_b32_e32 v31, 0, v57, vcc
	v_add_u32_e32 v26, v31, v26
	ds_bpermute_b32 v31, v47, v26
	v_cmp_le_u32_e32 vcc, v48, v30
	s_waitcnt lgkmcnt(0)
	s_nop 0
	v_cndmask_b32_e32 v31, 0, v31, vcc
	v_add_u32_e32 v26, v26, v31
	ds_bpermute_b32 v31, v49, v26
	v_cmp_le_u32_e32 vcc, v50, v30
	s_waitcnt lgkmcnt(0)
	s_nop 0
	;; [unrolled: 6-line block ×5, first 2 shown]
	v_cndmask_b32_e32 v30, 0, v31, vcc
	v_add3_u32 v26, v30, v23, v26
.LBB953_186:                            ;   in Loop: Header=BB953_187 Depth=1
	s_and_b64 vcc, exec, s[26:27]
	s_cbranch_vccnz .LBB953_193
.LBB953_187:                            ; =>This Loop Header: Depth=1
                                        ;     Child Loop BB953_190 Depth 2
	v_cmp_ne_u16_sdwa s[26:27], v27, v36 src0_sel:BYTE_0 src1_sel:DWORD
	v_mov_b32_e32 v23, v26
	s_cmp_lg_u64 s[26:27], exec
	s_mov_b64 s[26:27], -1
                                        ; implicit-def: $vgpr26
                                        ; implicit-def: $vgpr27
	s_cbranch_scc1 .LBB953_186
; %bb.188:                              ;   in Loop: Header=BB953_187 Depth=1
	v_lshl_add_u64 v[30:31], v[24:25], 3, s[30:31]
	global_load_dwordx2 v[26:27], v[30:31], off sc1
	s_waitcnt vmcnt(0)
	v_cmp_eq_u16_sdwa s[28:29], v27, v25 src0_sel:BYTE_0 src1_sel:DWORD
	s_and_saveexec_b64 s[26:27], s[28:29]
	s_cbranch_execz .LBB953_185
; %bb.189:                              ;   in Loop: Header=BB953_187 Depth=1
	s_mov_b64 s[28:29], 0
.LBB953_190:                            ;   Parent Loop BB953_187 Depth=1
                                        ; =>  This Inner Loop Header: Depth=2
	global_load_dwordx2 v[26:27], v[30:31], off sc1
	s_waitcnt vmcnt(0)
	v_cmp_ne_u16_sdwa s[38:39], v27, v25 src0_sel:BYTE_0 src1_sel:DWORD
	s_or_b64 s[28:29], s[38:39], s[28:29]
	s_andn2_b64 exec, exec, s[28:29]
	s_cbranch_execnz .LBB953_190
; %bb.191:                              ;   in Loop: Header=BB953_187 Depth=1
	s_or_b64 exec, exec, s[28:29]
	s_branch .LBB953_185
.LBB953_192:
                                        ; implicit-def: $vgpr26
                                        ; implicit-def: $vgpr28
                                        ; implicit-def: $vgpr30
                                        ; implicit-def: $vgpr32
                                        ; implicit-def: $vgpr34
                                        ; implicit-def: $vgpr36
                                        ; implicit-def: $vgpr38
                                        ; implicit-def: $vgpr24
                                        ; implicit-def: $vgpr22
	s_cbranch_execnz .LBB953_198
	s_branch .LBB953_207
.LBB953_193:
	s_and_saveexec_b64 s[26:27], s[16:17]
	s_cbranch_execz .LBB953_195
; %bb.194:
	s_add_i32 s28, s33, 64
	s_mov_b32 s29, 0
	s_lshl_b64 s[28:29], s[28:29], 3
	s_add_u32 s28, s30, s28
	v_add_u32_e32 v24, v23, v22
	v_mov_b32_e32 v25, 2
	s_addc_u32 s29, s31, s29
	v_mov_b32_e32 v26, 0
	global_store_dwordx2 v26, v[24:25], s[28:29] sc1
	ds_write_b64 v26, v[22:23] offset:28672
.LBB953_195:
	s_or_b64 exec, exec, s[26:27]
	s_and_b64 exec, exec, s[18:19]
; %bb.196:
	v_mov_b32_e32 v22, 0
	ds_write_b32 v22, v23 offset:28
.LBB953_197:
	s_or_b64 exec, exec, s[0:1]
	v_mov_b32_e32 v22, 0
	s_waitcnt lgkmcnt(0)
	s_barrier
	ds_read_b32 v23, v22 offset:28
	v_cndmask_b32_e64 v24, v34, v32, s[16:17]
	v_cndmask_b32_e64 v24, v24, 0, s[18:19]
	s_waitcnt lgkmcnt(0)
	s_barrier
	v_add_u32_e32 v38, v23, v24
	v_add_u32_e32 v36, v38, v1
	ds_read_b64 v[22:23], v22 offset:28672
	v_add_u32_e32 v34, v36, v21
	v_add_u32_e32 v32, v34, v33
	v_add_u32_e32 v30, v32, v35
	v_add_u32_e32 v28, v30, v37
	v_add_u32_e32 v26, v28, v39
	s_waitcnt lgkmcnt(0)
	v_mov_b32_e32 v24, v23
	s_branch .LBB953_207
.LBB953_198:
	v_mov_b32_dpp v22, v45 row_shr:1 row_mask:0xf bank_mask:0xf
	v_cndmask_b32_e64 v22, v22, 0, s[14:15]
	v_add_u32_e32 v22, v22, v45
	s_nop 1
	v_mov_b32_dpp v23, v22 row_shr:2 row_mask:0xf bank_mask:0xf
	v_cndmask_b32_e64 v23, 0, v23, s[12:13]
	v_add_u32_e32 v22, v22, v23
	s_nop 1
	v_mov_b32_dpp v23, v22 row_shr:4 row_mask:0xf bank_mask:0xf
	v_cndmask_b32_e64 v23, 0, v23, s[10:11]
	v_add_u32_e32 v22, v22, v23
	s_nop 1
	v_mov_b32_dpp v23, v22 row_shr:8 row_mask:0xf bank_mask:0xf
	v_cndmask_b32_e64 v23, 0, v23, s[8:9]
	v_add_u32_e32 v22, v22, v23
	s_nop 1
	v_mov_b32_dpp v23, v22 row_bcast:15 row_mask:0xf bank_mask:0xf
	v_cndmask_b32_e64 v23, v23, 0, s[6:7]
	v_add_u32_e32 v22, v22, v23
	s_nop 1
	v_mov_b32_dpp v23, v22 row_bcast:31 row_mask:0xf bank_mask:0xf
	v_cndmask_b32_e64 v23, 0, v23, s[2:3]
	v_add_u32_e32 v22, v22, v23
	s_and_saveexec_b64 s[0:1], s[4:5]
; %bb.199:
	v_lshlrev_b32_e32 v23, 2, v44
	ds_write_b32 v23, v22
; %bb.200:
	s_or_b64 exec, exec, s[0:1]
	v_cmp_gt_u32_e32 vcc, 8, v0
	s_waitcnt lgkmcnt(0)
	s_barrier
	s_and_saveexec_b64 s[0:1], vcc
	s_cbranch_execz .LBB953_202
; %bb.201:
	v_lshlrev_b32_e32 v23, 2, v0
	ds_read_b32 v24, v23
	v_and_b32_e32 v25, 7, v43
	v_cmp_ne_u32_e32 vcc, 0, v25
	s_waitcnt lgkmcnt(0)
	v_mov_b32_dpp v26, v24 row_shr:1 row_mask:0xf bank_mask:0xf
	v_cndmask_b32_e32 v26, 0, v26, vcc
	v_add_u32_e32 v24, v26, v24
	v_cmp_lt_u32_e32 vcc, 1, v25
	s_nop 0
	v_mov_b32_dpp v26, v24 row_shr:2 row_mask:0xf bank_mask:0xf
	v_cndmask_b32_e32 v26, 0, v26, vcc
	v_add_u32_e32 v24, v24, v26
	v_cmp_lt_u32_e32 vcc, 3, v25
	s_nop 0
	v_mov_b32_dpp v26, v24 row_shr:4 row_mask:0xf bank_mask:0xf
	v_cndmask_b32_e32 v25, 0, v26, vcc
	v_add_u32_e32 v24, v24, v25
	ds_write_b32 v23, v24
.LBB953_202:
	s_or_b64 exec, exec, s[0:1]
	v_cmp_lt_u32_e32 vcc, 63, v0
	v_mov_b32_e32 v23, 0
	v_mov_b32_e32 v24, 0
	s_waitcnt lgkmcnt(0)
	s_barrier
	s_and_saveexec_b64 s[0:1], vcc
; %bb.203:
	v_lshl_add_u32 v24, v44, 2, -4
	ds_read_b32 v24, v24
; %bb.204:
	s_or_b64 exec, exec, s[0:1]
	v_subrev_co_u32_e32 v25, vcc, 1, v43
	v_and_b32_e32 v26, 64, v43
	v_cmp_lt_i32_e64 s[0:1], v25, v26
	s_waitcnt lgkmcnt(0)
	v_add_u32_e32 v22, v24, v22
	v_cndmask_b32_e64 v25, v25, v43, s[0:1]
	v_lshlrev_b32_e32 v25, 2, v25
	ds_bpermute_b32 v25, v25, v22
	ds_read_b32 v22, v23 offset:28
	s_and_saveexec_b64 s[0:1], s[18:19]
	s_cbranch_execz .LBB953_206
; %bb.205:
	v_mov_b32_e32 v26, 0
	v_mov_b32_e32 v23, 2
	s_waitcnt lgkmcnt(0)
	global_store_dwordx2 v26, v[22:23], s[30:31] offset:512 sc1
.LBB953_206:
	s_or_b64 exec, exec, s[0:1]
	s_waitcnt lgkmcnt(1)
	v_cndmask_b32_e32 v23, v25, v24, vcc
	v_cndmask_b32_e64 v38, v23, 0, s[18:19]
	v_add_u32_e32 v36, v38, v1
	v_add_u32_e32 v34, v36, v21
	;; [unrolled: 1-line block ×6, first 2 shown]
	s_waitcnt lgkmcnt(0)
	s_barrier
	v_mov_b32_e32 v24, 0
.LBB953_207:
	s_movk_i32 s0, 0x201
	v_cmp_gt_u32_e32 vcc, s0, v22
	v_and_b32_e32 v1, 1, v16
	s_mov_b64 s[2:3], -1
	v_cmp_eq_u32_e64 s[0:1], 1, v1
	s_cbranch_vccnz .LBB953_211
; %bb.208:
	s_and_b64 vcc, exec, s[2:3]
	s_cbranch_vccnz .LBB953_226
.LBB953_209:
	s_and_b64 s[0:1], s[18:19], s[24:25]
	s_and_saveexec_b64 s[2:3], s[0:1]
	s_cbranch_execnz .LBB953_243
.LBB953_210:
	s_endpgm
.LBB953_211:
	v_add_u32_e32 v16, v24, v22
	v_cmp_lt_u32_e32 vcc, v38, v16
	s_or_b64 s[2:3], s[36:37], vcc
	s_and_b64 s[2:3], s[2:3], s[0:1]
	s_and_saveexec_b64 s[0:1], s[2:3]
	s_cbranch_execz .LBB953_213
; %bb.212:
	s_lshl_b64 s[2:3], s[22:23], 3
	s_add_u32 s2, s34, s2
	s_addc_u32 s3, s35, s3
	v_mov_b32_e32 v39, 0
	v_lshl_add_u64 v[44:45], v[38:39], 3, s[2:3]
	global_store_dwordx2 v[44:45], v[10:11], off
.LBB953_213:
	s_or_b64 exec, exec, s[0:1]
	v_cmp_lt_u32_e32 vcc, v36, v16
	v_and_b32_e32 v21, 1, v42
	s_or_b64 s[0:1], s[36:37], vcc
	v_cmp_eq_u32_e32 vcc, 1, v21
	s_and_b64 s[2:3], s[0:1], vcc
	s_and_saveexec_b64 s[0:1], s[2:3]
	s_cbranch_execz .LBB953_215
; %bb.214:
	s_lshl_b64 s[2:3], s[22:23], 3
	s_add_u32 s2, s34, s2
	s_addc_u32 s3, s35, s3
	v_mov_b32_e32 v37, 0
	v_lshl_add_u64 v[44:45], v[36:37], 3, s[2:3]
	global_store_dwordx2 v[44:45], v[12:13], off
.LBB953_215:
	s_or_b64 exec, exec, s[0:1]
	v_cmp_lt_u32_e32 vcc, v34, v16
	v_and_b32_e32 v21, 1, v41
	s_or_b64 s[0:1], s[36:37], vcc
	v_cmp_eq_u32_e32 vcc, 1, v21
	s_and_b64 s[2:3], s[0:1], vcc
	;; [unrolled: 16-line block ×6, first 2 shown]
	s_and_saveexec_b64 s[0:1], s[2:3]
	s_cbranch_execz .LBB953_225
; %bb.224:
	s_lshl_b64 s[2:3], s[22:23], 3
	s_add_u32 s2, s34, s2
	s_addc_u32 s3, s35, s3
	v_mov_b32_e32 v27, 0
	v_lshl_add_u64 v[44:45], v[26:27], 3, s[2:3]
	global_store_dwordx2 v[44:45], v[14:15], off
.LBB953_225:
	s_or_b64 exec, exec, s[0:1]
	s_branch .LBB953_209
.LBB953_226:
	v_cmp_eq_u32_e32 vcc, 1, v1
	s_and_saveexec_b64 s[0:1], vcc
; %bb.227:
	v_sub_u32_e32 v1, v38, v24
	v_lshlrev_b32_e32 v1, 3, v1
	ds_write_b64 v1, v[10:11]
; %bb.228:
	s_or_b64 exec, exec, s[0:1]
	v_and_b32_e32 v1, 1, v42
	v_cmp_eq_u32_e32 vcc, 1, v1
	s_and_saveexec_b64 s[0:1], vcc
; %bb.229:
	v_sub_u32_e32 v1, v36, v24
	v_lshlrev_b32_e32 v1, 3, v1
	ds_write_b64 v1, v[12:13]
; %bb.230:
	s_or_b64 exec, exec, s[0:1]
	v_and_b32_e32 v1, 1, v41
	;; [unrolled: 9-line block ×6, first 2 shown]
	v_cmp_eq_u32_e32 vcc, 1, v1
	s_and_saveexec_b64 s[0:1], vcc
; %bb.239:
	v_sub_u32_e32 v1, v26, v24
	v_lshlrev_b32_e32 v1, 3, v1
	ds_write_b64 v1, v[14:15]
; %bb.240:
	s_or_b64 exec, exec, s[0:1]
	v_mov_b32_e32 v25, 0
	s_lshl_b64 s[0:1], s[22:23], 3
	v_lshlrev_b64 v[2:3], 3, v[24:25]
	v_lshl_add_u64 v[2:3], s[0:1], 0, v[2:3]
	v_mov_b32_e32 v19, v25
	v_lshl_add_u64 v[2:3], s[34:35], 0, v[2:3]
	v_lshl_add_u64 v[2:3], v[2:3], 0, v[18:19]
	s_mov_b64 s[0:1], 0
	s_mov_b64 s[2:3], 0x1000
	s_waitcnt lgkmcnt(0)
	s_barrier
.LBB953_241:                            ; =>This Inner Loop Header: Depth=1
	ds_read_b64 v[4:5], v18
	v_add_u32_e32 v0, 0x200, v0
	v_cmp_ge_u32_e32 vcc, v0, v22
	v_add_u32_e32 v18, 0x1000, v18
	s_or_b64 s[0:1], vcc, s[0:1]
	s_waitcnt lgkmcnt(0)
	global_store_dwordx2 v[2:3], v[4:5], off
	v_lshl_add_u64 v[2:3], v[2:3], 0, s[2:3]
	s_andn2_b64 exec, exec, s[0:1]
	s_cbranch_execnz .LBB953_241
; %bb.242:
	s_or_b64 exec, exec, s[0:1]
	s_and_b64 s[0:1], s[18:19], s[24:25]
	s_and_saveexec_b64 s[2:3], s[0:1]
	s_cbranch_execz .LBB953_210
.LBB953_243:
	v_mov_b32_e32 v23, 0
	v_lshl_add_u64 v[0:1], s[22:23], 0, v[22:23]
	v_mov_b32_e32 v25, v23
	v_lshl_add_u64 v[0:1], v[0:1], 0, v[24:25]
	global_store_dwordx2 v23, v[0:1], s[20:21]
	s_endpgm
	.section	.rodata,"a",@progbits
	.p2align	6, 0x0
	.amdhsa_kernel _ZN7rocprim17ROCPRIM_400000_NS6detail17trampoline_kernelINS0_14default_configENS1_25partition_config_selectorILNS1_17partition_subalgoE8ElNS0_10empty_typeEbEEZZNS1_14partition_implILS5_8ELb0ES3_jPlPS6_PKS6_NS0_5tupleIJS9_S6_EEENSD_IJSA_SA_EEENS0_18inequality_wrapperIZN2at6native12_GLOBAL__N_124unique_dim_cuda_templateIfEESt5tupleIJNSH_6TensorESM_SM_EERKSM_lbbbEUlllE0_EEPmJS6_EEE10hipError_tPvRmT3_T4_T5_T6_T7_T9_mT8_P12ihipStream_tbDpT10_ENKUlT_T0_E_clISt17integral_constantIbLb0EES1B_IbLb1EEEEDaS17_S18_EUlS17_E_NS1_11comp_targetILNS1_3genE0ELNS1_11target_archE4294967295ELNS1_3gpuE0ELNS1_3repE0EEENS1_30default_config_static_selectorELNS0_4arch9wavefront6targetE1EEEvT1_
		.amdhsa_group_segment_fixed_size 28680
		.amdhsa_private_segment_fixed_size 0
		.amdhsa_kernarg_size 136
		.amdhsa_user_sgpr_count 2
		.amdhsa_user_sgpr_dispatch_ptr 0
		.amdhsa_user_sgpr_queue_ptr 0
		.amdhsa_user_sgpr_kernarg_segment_ptr 1
		.amdhsa_user_sgpr_dispatch_id 0
		.amdhsa_user_sgpr_kernarg_preload_length 0
		.amdhsa_user_sgpr_kernarg_preload_offset 0
		.amdhsa_user_sgpr_private_segment_size 0
		.amdhsa_uses_dynamic_stack 0
		.amdhsa_enable_private_segment 0
		.amdhsa_system_sgpr_workgroup_id_x 1
		.amdhsa_system_sgpr_workgroup_id_y 0
		.amdhsa_system_sgpr_workgroup_id_z 0
		.amdhsa_system_sgpr_workgroup_info 0
		.amdhsa_system_vgpr_workitem_id 0
		.amdhsa_next_free_vgpr 58
		.amdhsa_next_free_sgpr 54
		.amdhsa_accum_offset 60
		.amdhsa_reserve_vcc 1
		.amdhsa_float_round_mode_32 0
		.amdhsa_float_round_mode_16_64 0
		.amdhsa_float_denorm_mode_32 3
		.amdhsa_float_denorm_mode_16_64 3
		.amdhsa_dx10_clamp 1
		.amdhsa_ieee_mode 1
		.amdhsa_fp16_overflow 0
		.amdhsa_tg_split 0
		.amdhsa_exception_fp_ieee_invalid_op 0
		.amdhsa_exception_fp_denorm_src 0
		.amdhsa_exception_fp_ieee_div_zero 0
		.amdhsa_exception_fp_ieee_overflow 0
		.amdhsa_exception_fp_ieee_underflow 0
		.amdhsa_exception_fp_ieee_inexact 0
		.amdhsa_exception_int_div_zero 0
	.end_amdhsa_kernel
	.section	.text._ZN7rocprim17ROCPRIM_400000_NS6detail17trampoline_kernelINS0_14default_configENS1_25partition_config_selectorILNS1_17partition_subalgoE8ElNS0_10empty_typeEbEEZZNS1_14partition_implILS5_8ELb0ES3_jPlPS6_PKS6_NS0_5tupleIJS9_S6_EEENSD_IJSA_SA_EEENS0_18inequality_wrapperIZN2at6native12_GLOBAL__N_124unique_dim_cuda_templateIfEESt5tupleIJNSH_6TensorESM_SM_EERKSM_lbbbEUlllE0_EEPmJS6_EEE10hipError_tPvRmT3_T4_T5_T6_T7_T9_mT8_P12ihipStream_tbDpT10_ENKUlT_T0_E_clISt17integral_constantIbLb0EES1B_IbLb1EEEEDaS17_S18_EUlS17_E_NS1_11comp_targetILNS1_3genE0ELNS1_11target_archE4294967295ELNS1_3gpuE0ELNS1_3repE0EEENS1_30default_config_static_selectorELNS0_4arch9wavefront6targetE1EEEvT1_,"axG",@progbits,_ZN7rocprim17ROCPRIM_400000_NS6detail17trampoline_kernelINS0_14default_configENS1_25partition_config_selectorILNS1_17partition_subalgoE8ElNS0_10empty_typeEbEEZZNS1_14partition_implILS5_8ELb0ES3_jPlPS6_PKS6_NS0_5tupleIJS9_S6_EEENSD_IJSA_SA_EEENS0_18inequality_wrapperIZN2at6native12_GLOBAL__N_124unique_dim_cuda_templateIfEESt5tupleIJNSH_6TensorESM_SM_EERKSM_lbbbEUlllE0_EEPmJS6_EEE10hipError_tPvRmT3_T4_T5_T6_T7_T9_mT8_P12ihipStream_tbDpT10_ENKUlT_T0_E_clISt17integral_constantIbLb0EES1B_IbLb1EEEEDaS17_S18_EUlS17_E_NS1_11comp_targetILNS1_3genE0ELNS1_11target_archE4294967295ELNS1_3gpuE0ELNS1_3repE0EEENS1_30default_config_static_selectorELNS0_4arch9wavefront6targetE1EEEvT1_,comdat
.Lfunc_end953:
	.size	_ZN7rocprim17ROCPRIM_400000_NS6detail17trampoline_kernelINS0_14default_configENS1_25partition_config_selectorILNS1_17partition_subalgoE8ElNS0_10empty_typeEbEEZZNS1_14partition_implILS5_8ELb0ES3_jPlPS6_PKS6_NS0_5tupleIJS9_S6_EEENSD_IJSA_SA_EEENS0_18inequality_wrapperIZN2at6native12_GLOBAL__N_124unique_dim_cuda_templateIfEESt5tupleIJNSH_6TensorESM_SM_EERKSM_lbbbEUlllE0_EEPmJS6_EEE10hipError_tPvRmT3_T4_T5_T6_T7_T9_mT8_P12ihipStream_tbDpT10_ENKUlT_T0_E_clISt17integral_constantIbLb0EES1B_IbLb1EEEEDaS17_S18_EUlS17_E_NS1_11comp_targetILNS1_3genE0ELNS1_11target_archE4294967295ELNS1_3gpuE0ELNS1_3repE0EEENS1_30default_config_static_selectorELNS0_4arch9wavefront6targetE1EEEvT1_, .Lfunc_end953-_ZN7rocprim17ROCPRIM_400000_NS6detail17trampoline_kernelINS0_14default_configENS1_25partition_config_selectorILNS1_17partition_subalgoE8ElNS0_10empty_typeEbEEZZNS1_14partition_implILS5_8ELb0ES3_jPlPS6_PKS6_NS0_5tupleIJS9_S6_EEENSD_IJSA_SA_EEENS0_18inequality_wrapperIZN2at6native12_GLOBAL__N_124unique_dim_cuda_templateIfEESt5tupleIJNSH_6TensorESM_SM_EERKSM_lbbbEUlllE0_EEPmJS6_EEE10hipError_tPvRmT3_T4_T5_T6_T7_T9_mT8_P12ihipStream_tbDpT10_ENKUlT_T0_E_clISt17integral_constantIbLb0EES1B_IbLb1EEEEDaS17_S18_EUlS17_E_NS1_11comp_targetILNS1_3genE0ELNS1_11target_archE4294967295ELNS1_3gpuE0ELNS1_3repE0EEENS1_30default_config_static_selectorELNS0_4arch9wavefront6targetE1EEEvT1_
                                        ; -- End function
	.set _ZN7rocprim17ROCPRIM_400000_NS6detail17trampoline_kernelINS0_14default_configENS1_25partition_config_selectorILNS1_17partition_subalgoE8ElNS0_10empty_typeEbEEZZNS1_14partition_implILS5_8ELb0ES3_jPlPS6_PKS6_NS0_5tupleIJS9_S6_EEENSD_IJSA_SA_EEENS0_18inequality_wrapperIZN2at6native12_GLOBAL__N_124unique_dim_cuda_templateIfEESt5tupleIJNSH_6TensorESM_SM_EERKSM_lbbbEUlllE0_EEPmJS6_EEE10hipError_tPvRmT3_T4_T5_T6_T7_T9_mT8_P12ihipStream_tbDpT10_ENKUlT_T0_E_clISt17integral_constantIbLb0EES1B_IbLb1EEEEDaS17_S18_EUlS17_E_NS1_11comp_targetILNS1_3genE0ELNS1_11target_archE4294967295ELNS1_3gpuE0ELNS1_3repE0EEENS1_30default_config_static_selectorELNS0_4arch9wavefront6targetE1EEEvT1_.num_vgpr, 58
	.set _ZN7rocprim17ROCPRIM_400000_NS6detail17trampoline_kernelINS0_14default_configENS1_25partition_config_selectorILNS1_17partition_subalgoE8ElNS0_10empty_typeEbEEZZNS1_14partition_implILS5_8ELb0ES3_jPlPS6_PKS6_NS0_5tupleIJS9_S6_EEENSD_IJSA_SA_EEENS0_18inequality_wrapperIZN2at6native12_GLOBAL__N_124unique_dim_cuda_templateIfEESt5tupleIJNSH_6TensorESM_SM_EERKSM_lbbbEUlllE0_EEPmJS6_EEE10hipError_tPvRmT3_T4_T5_T6_T7_T9_mT8_P12ihipStream_tbDpT10_ENKUlT_T0_E_clISt17integral_constantIbLb0EES1B_IbLb1EEEEDaS17_S18_EUlS17_E_NS1_11comp_targetILNS1_3genE0ELNS1_11target_archE4294967295ELNS1_3gpuE0ELNS1_3repE0EEENS1_30default_config_static_selectorELNS0_4arch9wavefront6targetE1EEEvT1_.num_agpr, 0
	.set _ZN7rocprim17ROCPRIM_400000_NS6detail17trampoline_kernelINS0_14default_configENS1_25partition_config_selectorILNS1_17partition_subalgoE8ElNS0_10empty_typeEbEEZZNS1_14partition_implILS5_8ELb0ES3_jPlPS6_PKS6_NS0_5tupleIJS9_S6_EEENSD_IJSA_SA_EEENS0_18inequality_wrapperIZN2at6native12_GLOBAL__N_124unique_dim_cuda_templateIfEESt5tupleIJNSH_6TensorESM_SM_EERKSM_lbbbEUlllE0_EEPmJS6_EEE10hipError_tPvRmT3_T4_T5_T6_T7_T9_mT8_P12ihipStream_tbDpT10_ENKUlT_T0_E_clISt17integral_constantIbLb0EES1B_IbLb1EEEEDaS17_S18_EUlS17_E_NS1_11comp_targetILNS1_3genE0ELNS1_11target_archE4294967295ELNS1_3gpuE0ELNS1_3repE0EEENS1_30default_config_static_selectorELNS0_4arch9wavefront6targetE1EEEvT1_.numbered_sgpr, 54
	.set _ZN7rocprim17ROCPRIM_400000_NS6detail17trampoline_kernelINS0_14default_configENS1_25partition_config_selectorILNS1_17partition_subalgoE8ElNS0_10empty_typeEbEEZZNS1_14partition_implILS5_8ELb0ES3_jPlPS6_PKS6_NS0_5tupleIJS9_S6_EEENSD_IJSA_SA_EEENS0_18inequality_wrapperIZN2at6native12_GLOBAL__N_124unique_dim_cuda_templateIfEESt5tupleIJNSH_6TensorESM_SM_EERKSM_lbbbEUlllE0_EEPmJS6_EEE10hipError_tPvRmT3_T4_T5_T6_T7_T9_mT8_P12ihipStream_tbDpT10_ENKUlT_T0_E_clISt17integral_constantIbLb0EES1B_IbLb1EEEEDaS17_S18_EUlS17_E_NS1_11comp_targetILNS1_3genE0ELNS1_11target_archE4294967295ELNS1_3gpuE0ELNS1_3repE0EEENS1_30default_config_static_selectorELNS0_4arch9wavefront6targetE1EEEvT1_.num_named_barrier, 0
	.set _ZN7rocprim17ROCPRIM_400000_NS6detail17trampoline_kernelINS0_14default_configENS1_25partition_config_selectorILNS1_17partition_subalgoE8ElNS0_10empty_typeEbEEZZNS1_14partition_implILS5_8ELb0ES3_jPlPS6_PKS6_NS0_5tupleIJS9_S6_EEENSD_IJSA_SA_EEENS0_18inequality_wrapperIZN2at6native12_GLOBAL__N_124unique_dim_cuda_templateIfEESt5tupleIJNSH_6TensorESM_SM_EERKSM_lbbbEUlllE0_EEPmJS6_EEE10hipError_tPvRmT3_T4_T5_T6_T7_T9_mT8_P12ihipStream_tbDpT10_ENKUlT_T0_E_clISt17integral_constantIbLb0EES1B_IbLb1EEEEDaS17_S18_EUlS17_E_NS1_11comp_targetILNS1_3genE0ELNS1_11target_archE4294967295ELNS1_3gpuE0ELNS1_3repE0EEENS1_30default_config_static_selectorELNS0_4arch9wavefront6targetE1EEEvT1_.private_seg_size, 0
	.set _ZN7rocprim17ROCPRIM_400000_NS6detail17trampoline_kernelINS0_14default_configENS1_25partition_config_selectorILNS1_17partition_subalgoE8ElNS0_10empty_typeEbEEZZNS1_14partition_implILS5_8ELb0ES3_jPlPS6_PKS6_NS0_5tupleIJS9_S6_EEENSD_IJSA_SA_EEENS0_18inequality_wrapperIZN2at6native12_GLOBAL__N_124unique_dim_cuda_templateIfEESt5tupleIJNSH_6TensorESM_SM_EERKSM_lbbbEUlllE0_EEPmJS6_EEE10hipError_tPvRmT3_T4_T5_T6_T7_T9_mT8_P12ihipStream_tbDpT10_ENKUlT_T0_E_clISt17integral_constantIbLb0EES1B_IbLb1EEEEDaS17_S18_EUlS17_E_NS1_11comp_targetILNS1_3genE0ELNS1_11target_archE4294967295ELNS1_3gpuE0ELNS1_3repE0EEENS1_30default_config_static_selectorELNS0_4arch9wavefront6targetE1EEEvT1_.uses_vcc, 1
	.set _ZN7rocprim17ROCPRIM_400000_NS6detail17trampoline_kernelINS0_14default_configENS1_25partition_config_selectorILNS1_17partition_subalgoE8ElNS0_10empty_typeEbEEZZNS1_14partition_implILS5_8ELb0ES3_jPlPS6_PKS6_NS0_5tupleIJS9_S6_EEENSD_IJSA_SA_EEENS0_18inequality_wrapperIZN2at6native12_GLOBAL__N_124unique_dim_cuda_templateIfEESt5tupleIJNSH_6TensorESM_SM_EERKSM_lbbbEUlllE0_EEPmJS6_EEE10hipError_tPvRmT3_T4_T5_T6_T7_T9_mT8_P12ihipStream_tbDpT10_ENKUlT_T0_E_clISt17integral_constantIbLb0EES1B_IbLb1EEEEDaS17_S18_EUlS17_E_NS1_11comp_targetILNS1_3genE0ELNS1_11target_archE4294967295ELNS1_3gpuE0ELNS1_3repE0EEENS1_30default_config_static_selectorELNS0_4arch9wavefront6targetE1EEEvT1_.uses_flat_scratch, 0
	.set _ZN7rocprim17ROCPRIM_400000_NS6detail17trampoline_kernelINS0_14default_configENS1_25partition_config_selectorILNS1_17partition_subalgoE8ElNS0_10empty_typeEbEEZZNS1_14partition_implILS5_8ELb0ES3_jPlPS6_PKS6_NS0_5tupleIJS9_S6_EEENSD_IJSA_SA_EEENS0_18inequality_wrapperIZN2at6native12_GLOBAL__N_124unique_dim_cuda_templateIfEESt5tupleIJNSH_6TensorESM_SM_EERKSM_lbbbEUlllE0_EEPmJS6_EEE10hipError_tPvRmT3_T4_T5_T6_T7_T9_mT8_P12ihipStream_tbDpT10_ENKUlT_T0_E_clISt17integral_constantIbLb0EES1B_IbLb1EEEEDaS17_S18_EUlS17_E_NS1_11comp_targetILNS1_3genE0ELNS1_11target_archE4294967295ELNS1_3gpuE0ELNS1_3repE0EEENS1_30default_config_static_selectorELNS0_4arch9wavefront6targetE1EEEvT1_.has_dyn_sized_stack, 0
	.set _ZN7rocprim17ROCPRIM_400000_NS6detail17trampoline_kernelINS0_14default_configENS1_25partition_config_selectorILNS1_17partition_subalgoE8ElNS0_10empty_typeEbEEZZNS1_14partition_implILS5_8ELb0ES3_jPlPS6_PKS6_NS0_5tupleIJS9_S6_EEENSD_IJSA_SA_EEENS0_18inequality_wrapperIZN2at6native12_GLOBAL__N_124unique_dim_cuda_templateIfEESt5tupleIJNSH_6TensorESM_SM_EERKSM_lbbbEUlllE0_EEPmJS6_EEE10hipError_tPvRmT3_T4_T5_T6_T7_T9_mT8_P12ihipStream_tbDpT10_ENKUlT_T0_E_clISt17integral_constantIbLb0EES1B_IbLb1EEEEDaS17_S18_EUlS17_E_NS1_11comp_targetILNS1_3genE0ELNS1_11target_archE4294967295ELNS1_3gpuE0ELNS1_3repE0EEENS1_30default_config_static_selectorELNS0_4arch9wavefront6targetE1EEEvT1_.has_recursion, 0
	.set _ZN7rocprim17ROCPRIM_400000_NS6detail17trampoline_kernelINS0_14default_configENS1_25partition_config_selectorILNS1_17partition_subalgoE8ElNS0_10empty_typeEbEEZZNS1_14partition_implILS5_8ELb0ES3_jPlPS6_PKS6_NS0_5tupleIJS9_S6_EEENSD_IJSA_SA_EEENS0_18inequality_wrapperIZN2at6native12_GLOBAL__N_124unique_dim_cuda_templateIfEESt5tupleIJNSH_6TensorESM_SM_EERKSM_lbbbEUlllE0_EEPmJS6_EEE10hipError_tPvRmT3_T4_T5_T6_T7_T9_mT8_P12ihipStream_tbDpT10_ENKUlT_T0_E_clISt17integral_constantIbLb0EES1B_IbLb1EEEEDaS17_S18_EUlS17_E_NS1_11comp_targetILNS1_3genE0ELNS1_11target_archE4294967295ELNS1_3gpuE0ELNS1_3repE0EEENS1_30default_config_static_selectorELNS0_4arch9wavefront6targetE1EEEvT1_.has_indirect_call, 0
	.section	.AMDGPU.csdata,"",@progbits
; Kernel info:
; codeLenInByte = 11008
; TotalNumSgprs: 60
; NumVgprs: 58
; NumAgprs: 0
; TotalNumVgprs: 58
; ScratchSize: 0
; MemoryBound: 0
; FloatMode: 240
; IeeeMode: 1
; LDSByteSize: 28680 bytes/workgroup (compile time only)
; SGPRBlocks: 7
; VGPRBlocks: 7
; NumSGPRsForWavesPerEU: 60
; NumVGPRsForWavesPerEU: 58
; AccumOffset: 60
; Occupancy: 8
; WaveLimiterHint : 1
; COMPUTE_PGM_RSRC2:SCRATCH_EN: 0
; COMPUTE_PGM_RSRC2:USER_SGPR: 2
; COMPUTE_PGM_RSRC2:TRAP_HANDLER: 0
; COMPUTE_PGM_RSRC2:TGID_X_EN: 1
; COMPUTE_PGM_RSRC2:TGID_Y_EN: 0
; COMPUTE_PGM_RSRC2:TGID_Z_EN: 0
; COMPUTE_PGM_RSRC2:TIDIG_COMP_CNT: 0
; COMPUTE_PGM_RSRC3_GFX90A:ACCUM_OFFSET: 14
; COMPUTE_PGM_RSRC3_GFX90A:TG_SPLIT: 0
	.section	.text._ZN7rocprim17ROCPRIM_400000_NS6detail17trampoline_kernelINS0_14default_configENS1_25partition_config_selectorILNS1_17partition_subalgoE8ElNS0_10empty_typeEbEEZZNS1_14partition_implILS5_8ELb0ES3_jPlPS6_PKS6_NS0_5tupleIJS9_S6_EEENSD_IJSA_SA_EEENS0_18inequality_wrapperIZN2at6native12_GLOBAL__N_124unique_dim_cuda_templateIfEESt5tupleIJNSH_6TensorESM_SM_EERKSM_lbbbEUlllE0_EEPmJS6_EEE10hipError_tPvRmT3_T4_T5_T6_T7_T9_mT8_P12ihipStream_tbDpT10_ENKUlT_T0_E_clISt17integral_constantIbLb0EES1B_IbLb1EEEEDaS17_S18_EUlS17_E_NS1_11comp_targetILNS1_3genE5ELNS1_11target_archE942ELNS1_3gpuE9ELNS1_3repE0EEENS1_30default_config_static_selectorELNS0_4arch9wavefront6targetE1EEEvT1_,"axG",@progbits,_ZN7rocprim17ROCPRIM_400000_NS6detail17trampoline_kernelINS0_14default_configENS1_25partition_config_selectorILNS1_17partition_subalgoE8ElNS0_10empty_typeEbEEZZNS1_14partition_implILS5_8ELb0ES3_jPlPS6_PKS6_NS0_5tupleIJS9_S6_EEENSD_IJSA_SA_EEENS0_18inequality_wrapperIZN2at6native12_GLOBAL__N_124unique_dim_cuda_templateIfEESt5tupleIJNSH_6TensorESM_SM_EERKSM_lbbbEUlllE0_EEPmJS6_EEE10hipError_tPvRmT3_T4_T5_T6_T7_T9_mT8_P12ihipStream_tbDpT10_ENKUlT_T0_E_clISt17integral_constantIbLb0EES1B_IbLb1EEEEDaS17_S18_EUlS17_E_NS1_11comp_targetILNS1_3genE5ELNS1_11target_archE942ELNS1_3gpuE9ELNS1_3repE0EEENS1_30default_config_static_selectorELNS0_4arch9wavefront6targetE1EEEvT1_,comdat
	.globl	_ZN7rocprim17ROCPRIM_400000_NS6detail17trampoline_kernelINS0_14default_configENS1_25partition_config_selectorILNS1_17partition_subalgoE8ElNS0_10empty_typeEbEEZZNS1_14partition_implILS5_8ELb0ES3_jPlPS6_PKS6_NS0_5tupleIJS9_S6_EEENSD_IJSA_SA_EEENS0_18inequality_wrapperIZN2at6native12_GLOBAL__N_124unique_dim_cuda_templateIfEESt5tupleIJNSH_6TensorESM_SM_EERKSM_lbbbEUlllE0_EEPmJS6_EEE10hipError_tPvRmT3_T4_T5_T6_T7_T9_mT8_P12ihipStream_tbDpT10_ENKUlT_T0_E_clISt17integral_constantIbLb0EES1B_IbLb1EEEEDaS17_S18_EUlS17_E_NS1_11comp_targetILNS1_3genE5ELNS1_11target_archE942ELNS1_3gpuE9ELNS1_3repE0EEENS1_30default_config_static_selectorELNS0_4arch9wavefront6targetE1EEEvT1_ ; -- Begin function _ZN7rocprim17ROCPRIM_400000_NS6detail17trampoline_kernelINS0_14default_configENS1_25partition_config_selectorILNS1_17partition_subalgoE8ElNS0_10empty_typeEbEEZZNS1_14partition_implILS5_8ELb0ES3_jPlPS6_PKS6_NS0_5tupleIJS9_S6_EEENSD_IJSA_SA_EEENS0_18inequality_wrapperIZN2at6native12_GLOBAL__N_124unique_dim_cuda_templateIfEESt5tupleIJNSH_6TensorESM_SM_EERKSM_lbbbEUlllE0_EEPmJS6_EEE10hipError_tPvRmT3_T4_T5_T6_T7_T9_mT8_P12ihipStream_tbDpT10_ENKUlT_T0_E_clISt17integral_constantIbLb0EES1B_IbLb1EEEEDaS17_S18_EUlS17_E_NS1_11comp_targetILNS1_3genE5ELNS1_11target_archE942ELNS1_3gpuE9ELNS1_3repE0EEENS1_30default_config_static_selectorELNS0_4arch9wavefront6targetE1EEEvT1_
	.p2align	8
	.type	_ZN7rocprim17ROCPRIM_400000_NS6detail17trampoline_kernelINS0_14default_configENS1_25partition_config_selectorILNS1_17partition_subalgoE8ElNS0_10empty_typeEbEEZZNS1_14partition_implILS5_8ELb0ES3_jPlPS6_PKS6_NS0_5tupleIJS9_S6_EEENSD_IJSA_SA_EEENS0_18inequality_wrapperIZN2at6native12_GLOBAL__N_124unique_dim_cuda_templateIfEESt5tupleIJNSH_6TensorESM_SM_EERKSM_lbbbEUlllE0_EEPmJS6_EEE10hipError_tPvRmT3_T4_T5_T6_T7_T9_mT8_P12ihipStream_tbDpT10_ENKUlT_T0_E_clISt17integral_constantIbLb0EES1B_IbLb1EEEEDaS17_S18_EUlS17_E_NS1_11comp_targetILNS1_3genE5ELNS1_11target_archE942ELNS1_3gpuE9ELNS1_3repE0EEENS1_30default_config_static_selectorELNS0_4arch9wavefront6targetE1EEEvT1_,@function
_ZN7rocprim17ROCPRIM_400000_NS6detail17trampoline_kernelINS0_14default_configENS1_25partition_config_selectorILNS1_17partition_subalgoE8ElNS0_10empty_typeEbEEZZNS1_14partition_implILS5_8ELb0ES3_jPlPS6_PKS6_NS0_5tupleIJS9_S6_EEENSD_IJSA_SA_EEENS0_18inequality_wrapperIZN2at6native12_GLOBAL__N_124unique_dim_cuda_templateIfEESt5tupleIJNSH_6TensorESM_SM_EERKSM_lbbbEUlllE0_EEPmJS6_EEE10hipError_tPvRmT3_T4_T5_T6_T7_T9_mT8_P12ihipStream_tbDpT10_ENKUlT_T0_E_clISt17integral_constantIbLb0EES1B_IbLb1EEEEDaS17_S18_EUlS17_E_NS1_11comp_targetILNS1_3genE5ELNS1_11target_archE942ELNS1_3gpuE9ELNS1_3repE0EEENS1_30default_config_static_selectorELNS0_4arch9wavefront6targetE1EEEvT1_: ; @_ZN7rocprim17ROCPRIM_400000_NS6detail17trampoline_kernelINS0_14default_configENS1_25partition_config_selectorILNS1_17partition_subalgoE8ElNS0_10empty_typeEbEEZZNS1_14partition_implILS5_8ELb0ES3_jPlPS6_PKS6_NS0_5tupleIJS9_S6_EEENSD_IJSA_SA_EEENS0_18inequality_wrapperIZN2at6native12_GLOBAL__N_124unique_dim_cuda_templateIfEESt5tupleIJNSH_6TensorESM_SM_EERKSM_lbbbEUlllE0_EEPmJS6_EEE10hipError_tPvRmT3_T4_T5_T6_T7_T9_mT8_P12ihipStream_tbDpT10_ENKUlT_T0_E_clISt17integral_constantIbLb0EES1B_IbLb1EEEEDaS17_S18_EUlS17_E_NS1_11comp_targetILNS1_3genE5ELNS1_11target_archE942ELNS1_3gpuE9ELNS1_3repE0EEENS1_30default_config_static_selectorELNS0_4arch9wavefront6targetE1EEEvT1_
; %bb.0:
	.section	.rodata,"a",@progbits
	.p2align	6, 0x0
	.amdhsa_kernel _ZN7rocprim17ROCPRIM_400000_NS6detail17trampoline_kernelINS0_14default_configENS1_25partition_config_selectorILNS1_17partition_subalgoE8ElNS0_10empty_typeEbEEZZNS1_14partition_implILS5_8ELb0ES3_jPlPS6_PKS6_NS0_5tupleIJS9_S6_EEENSD_IJSA_SA_EEENS0_18inequality_wrapperIZN2at6native12_GLOBAL__N_124unique_dim_cuda_templateIfEESt5tupleIJNSH_6TensorESM_SM_EERKSM_lbbbEUlllE0_EEPmJS6_EEE10hipError_tPvRmT3_T4_T5_T6_T7_T9_mT8_P12ihipStream_tbDpT10_ENKUlT_T0_E_clISt17integral_constantIbLb0EES1B_IbLb1EEEEDaS17_S18_EUlS17_E_NS1_11comp_targetILNS1_3genE5ELNS1_11target_archE942ELNS1_3gpuE9ELNS1_3repE0EEENS1_30default_config_static_selectorELNS0_4arch9wavefront6targetE1EEEvT1_
		.amdhsa_group_segment_fixed_size 0
		.amdhsa_private_segment_fixed_size 0
		.amdhsa_kernarg_size 136
		.amdhsa_user_sgpr_count 2
		.amdhsa_user_sgpr_dispatch_ptr 0
		.amdhsa_user_sgpr_queue_ptr 0
		.amdhsa_user_sgpr_kernarg_segment_ptr 1
		.amdhsa_user_sgpr_dispatch_id 0
		.amdhsa_user_sgpr_kernarg_preload_length 0
		.amdhsa_user_sgpr_kernarg_preload_offset 0
		.amdhsa_user_sgpr_private_segment_size 0
		.amdhsa_uses_dynamic_stack 0
		.amdhsa_enable_private_segment 0
		.amdhsa_system_sgpr_workgroup_id_x 1
		.amdhsa_system_sgpr_workgroup_id_y 0
		.amdhsa_system_sgpr_workgroup_id_z 0
		.amdhsa_system_sgpr_workgroup_info 0
		.amdhsa_system_vgpr_workitem_id 0
		.amdhsa_next_free_vgpr 1
		.amdhsa_next_free_sgpr 0
		.amdhsa_accum_offset 4
		.amdhsa_reserve_vcc 0
		.amdhsa_float_round_mode_32 0
		.amdhsa_float_round_mode_16_64 0
		.amdhsa_float_denorm_mode_32 3
		.amdhsa_float_denorm_mode_16_64 3
		.amdhsa_dx10_clamp 1
		.amdhsa_ieee_mode 1
		.amdhsa_fp16_overflow 0
		.amdhsa_tg_split 0
		.amdhsa_exception_fp_ieee_invalid_op 0
		.amdhsa_exception_fp_denorm_src 0
		.amdhsa_exception_fp_ieee_div_zero 0
		.amdhsa_exception_fp_ieee_overflow 0
		.amdhsa_exception_fp_ieee_underflow 0
		.amdhsa_exception_fp_ieee_inexact 0
		.amdhsa_exception_int_div_zero 0
	.end_amdhsa_kernel
	.section	.text._ZN7rocprim17ROCPRIM_400000_NS6detail17trampoline_kernelINS0_14default_configENS1_25partition_config_selectorILNS1_17partition_subalgoE8ElNS0_10empty_typeEbEEZZNS1_14partition_implILS5_8ELb0ES3_jPlPS6_PKS6_NS0_5tupleIJS9_S6_EEENSD_IJSA_SA_EEENS0_18inequality_wrapperIZN2at6native12_GLOBAL__N_124unique_dim_cuda_templateIfEESt5tupleIJNSH_6TensorESM_SM_EERKSM_lbbbEUlllE0_EEPmJS6_EEE10hipError_tPvRmT3_T4_T5_T6_T7_T9_mT8_P12ihipStream_tbDpT10_ENKUlT_T0_E_clISt17integral_constantIbLb0EES1B_IbLb1EEEEDaS17_S18_EUlS17_E_NS1_11comp_targetILNS1_3genE5ELNS1_11target_archE942ELNS1_3gpuE9ELNS1_3repE0EEENS1_30default_config_static_selectorELNS0_4arch9wavefront6targetE1EEEvT1_,"axG",@progbits,_ZN7rocprim17ROCPRIM_400000_NS6detail17trampoline_kernelINS0_14default_configENS1_25partition_config_selectorILNS1_17partition_subalgoE8ElNS0_10empty_typeEbEEZZNS1_14partition_implILS5_8ELb0ES3_jPlPS6_PKS6_NS0_5tupleIJS9_S6_EEENSD_IJSA_SA_EEENS0_18inequality_wrapperIZN2at6native12_GLOBAL__N_124unique_dim_cuda_templateIfEESt5tupleIJNSH_6TensorESM_SM_EERKSM_lbbbEUlllE0_EEPmJS6_EEE10hipError_tPvRmT3_T4_T5_T6_T7_T9_mT8_P12ihipStream_tbDpT10_ENKUlT_T0_E_clISt17integral_constantIbLb0EES1B_IbLb1EEEEDaS17_S18_EUlS17_E_NS1_11comp_targetILNS1_3genE5ELNS1_11target_archE942ELNS1_3gpuE9ELNS1_3repE0EEENS1_30default_config_static_selectorELNS0_4arch9wavefront6targetE1EEEvT1_,comdat
.Lfunc_end954:
	.size	_ZN7rocprim17ROCPRIM_400000_NS6detail17trampoline_kernelINS0_14default_configENS1_25partition_config_selectorILNS1_17partition_subalgoE8ElNS0_10empty_typeEbEEZZNS1_14partition_implILS5_8ELb0ES3_jPlPS6_PKS6_NS0_5tupleIJS9_S6_EEENSD_IJSA_SA_EEENS0_18inequality_wrapperIZN2at6native12_GLOBAL__N_124unique_dim_cuda_templateIfEESt5tupleIJNSH_6TensorESM_SM_EERKSM_lbbbEUlllE0_EEPmJS6_EEE10hipError_tPvRmT3_T4_T5_T6_T7_T9_mT8_P12ihipStream_tbDpT10_ENKUlT_T0_E_clISt17integral_constantIbLb0EES1B_IbLb1EEEEDaS17_S18_EUlS17_E_NS1_11comp_targetILNS1_3genE5ELNS1_11target_archE942ELNS1_3gpuE9ELNS1_3repE0EEENS1_30default_config_static_selectorELNS0_4arch9wavefront6targetE1EEEvT1_, .Lfunc_end954-_ZN7rocprim17ROCPRIM_400000_NS6detail17trampoline_kernelINS0_14default_configENS1_25partition_config_selectorILNS1_17partition_subalgoE8ElNS0_10empty_typeEbEEZZNS1_14partition_implILS5_8ELb0ES3_jPlPS6_PKS6_NS0_5tupleIJS9_S6_EEENSD_IJSA_SA_EEENS0_18inequality_wrapperIZN2at6native12_GLOBAL__N_124unique_dim_cuda_templateIfEESt5tupleIJNSH_6TensorESM_SM_EERKSM_lbbbEUlllE0_EEPmJS6_EEE10hipError_tPvRmT3_T4_T5_T6_T7_T9_mT8_P12ihipStream_tbDpT10_ENKUlT_T0_E_clISt17integral_constantIbLb0EES1B_IbLb1EEEEDaS17_S18_EUlS17_E_NS1_11comp_targetILNS1_3genE5ELNS1_11target_archE942ELNS1_3gpuE9ELNS1_3repE0EEENS1_30default_config_static_selectorELNS0_4arch9wavefront6targetE1EEEvT1_
                                        ; -- End function
	.set _ZN7rocprim17ROCPRIM_400000_NS6detail17trampoline_kernelINS0_14default_configENS1_25partition_config_selectorILNS1_17partition_subalgoE8ElNS0_10empty_typeEbEEZZNS1_14partition_implILS5_8ELb0ES3_jPlPS6_PKS6_NS0_5tupleIJS9_S6_EEENSD_IJSA_SA_EEENS0_18inequality_wrapperIZN2at6native12_GLOBAL__N_124unique_dim_cuda_templateIfEESt5tupleIJNSH_6TensorESM_SM_EERKSM_lbbbEUlllE0_EEPmJS6_EEE10hipError_tPvRmT3_T4_T5_T6_T7_T9_mT8_P12ihipStream_tbDpT10_ENKUlT_T0_E_clISt17integral_constantIbLb0EES1B_IbLb1EEEEDaS17_S18_EUlS17_E_NS1_11comp_targetILNS1_3genE5ELNS1_11target_archE942ELNS1_3gpuE9ELNS1_3repE0EEENS1_30default_config_static_selectorELNS0_4arch9wavefront6targetE1EEEvT1_.num_vgpr, 0
	.set _ZN7rocprim17ROCPRIM_400000_NS6detail17trampoline_kernelINS0_14default_configENS1_25partition_config_selectorILNS1_17partition_subalgoE8ElNS0_10empty_typeEbEEZZNS1_14partition_implILS5_8ELb0ES3_jPlPS6_PKS6_NS0_5tupleIJS9_S6_EEENSD_IJSA_SA_EEENS0_18inequality_wrapperIZN2at6native12_GLOBAL__N_124unique_dim_cuda_templateIfEESt5tupleIJNSH_6TensorESM_SM_EERKSM_lbbbEUlllE0_EEPmJS6_EEE10hipError_tPvRmT3_T4_T5_T6_T7_T9_mT8_P12ihipStream_tbDpT10_ENKUlT_T0_E_clISt17integral_constantIbLb0EES1B_IbLb1EEEEDaS17_S18_EUlS17_E_NS1_11comp_targetILNS1_3genE5ELNS1_11target_archE942ELNS1_3gpuE9ELNS1_3repE0EEENS1_30default_config_static_selectorELNS0_4arch9wavefront6targetE1EEEvT1_.num_agpr, 0
	.set _ZN7rocprim17ROCPRIM_400000_NS6detail17trampoline_kernelINS0_14default_configENS1_25partition_config_selectorILNS1_17partition_subalgoE8ElNS0_10empty_typeEbEEZZNS1_14partition_implILS5_8ELb0ES3_jPlPS6_PKS6_NS0_5tupleIJS9_S6_EEENSD_IJSA_SA_EEENS0_18inequality_wrapperIZN2at6native12_GLOBAL__N_124unique_dim_cuda_templateIfEESt5tupleIJNSH_6TensorESM_SM_EERKSM_lbbbEUlllE0_EEPmJS6_EEE10hipError_tPvRmT3_T4_T5_T6_T7_T9_mT8_P12ihipStream_tbDpT10_ENKUlT_T0_E_clISt17integral_constantIbLb0EES1B_IbLb1EEEEDaS17_S18_EUlS17_E_NS1_11comp_targetILNS1_3genE5ELNS1_11target_archE942ELNS1_3gpuE9ELNS1_3repE0EEENS1_30default_config_static_selectorELNS0_4arch9wavefront6targetE1EEEvT1_.numbered_sgpr, 0
	.set _ZN7rocprim17ROCPRIM_400000_NS6detail17trampoline_kernelINS0_14default_configENS1_25partition_config_selectorILNS1_17partition_subalgoE8ElNS0_10empty_typeEbEEZZNS1_14partition_implILS5_8ELb0ES3_jPlPS6_PKS6_NS0_5tupleIJS9_S6_EEENSD_IJSA_SA_EEENS0_18inequality_wrapperIZN2at6native12_GLOBAL__N_124unique_dim_cuda_templateIfEESt5tupleIJNSH_6TensorESM_SM_EERKSM_lbbbEUlllE0_EEPmJS6_EEE10hipError_tPvRmT3_T4_T5_T6_T7_T9_mT8_P12ihipStream_tbDpT10_ENKUlT_T0_E_clISt17integral_constantIbLb0EES1B_IbLb1EEEEDaS17_S18_EUlS17_E_NS1_11comp_targetILNS1_3genE5ELNS1_11target_archE942ELNS1_3gpuE9ELNS1_3repE0EEENS1_30default_config_static_selectorELNS0_4arch9wavefront6targetE1EEEvT1_.num_named_barrier, 0
	.set _ZN7rocprim17ROCPRIM_400000_NS6detail17trampoline_kernelINS0_14default_configENS1_25partition_config_selectorILNS1_17partition_subalgoE8ElNS0_10empty_typeEbEEZZNS1_14partition_implILS5_8ELb0ES3_jPlPS6_PKS6_NS0_5tupleIJS9_S6_EEENSD_IJSA_SA_EEENS0_18inequality_wrapperIZN2at6native12_GLOBAL__N_124unique_dim_cuda_templateIfEESt5tupleIJNSH_6TensorESM_SM_EERKSM_lbbbEUlllE0_EEPmJS6_EEE10hipError_tPvRmT3_T4_T5_T6_T7_T9_mT8_P12ihipStream_tbDpT10_ENKUlT_T0_E_clISt17integral_constantIbLb0EES1B_IbLb1EEEEDaS17_S18_EUlS17_E_NS1_11comp_targetILNS1_3genE5ELNS1_11target_archE942ELNS1_3gpuE9ELNS1_3repE0EEENS1_30default_config_static_selectorELNS0_4arch9wavefront6targetE1EEEvT1_.private_seg_size, 0
	.set _ZN7rocprim17ROCPRIM_400000_NS6detail17trampoline_kernelINS0_14default_configENS1_25partition_config_selectorILNS1_17partition_subalgoE8ElNS0_10empty_typeEbEEZZNS1_14partition_implILS5_8ELb0ES3_jPlPS6_PKS6_NS0_5tupleIJS9_S6_EEENSD_IJSA_SA_EEENS0_18inequality_wrapperIZN2at6native12_GLOBAL__N_124unique_dim_cuda_templateIfEESt5tupleIJNSH_6TensorESM_SM_EERKSM_lbbbEUlllE0_EEPmJS6_EEE10hipError_tPvRmT3_T4_T5_T6_T7_T9_mT8_P12ihipStream_tbDpT10_ENKUlT_T0_E_clISt17integral_constantIbLb0EES1B_IbLb1EEEEDaS17_S18_EUlS17_E_NS1_11comp_targetILNS1_3genE5ELNS1_11target_archE942ELNS1_3gpuE9ELNS1_3repE0EEENS1_30default_config_static_selectorELNS0_4arch9wavefront6targetE1EEEvT1_.uses_vcc, 0
	.set _ZN7rocprim17ROCPRIM_400000_NS6detail17trampoline_kernelINS0_14default_configENS1_25partition_config_selectorILNS1_17partition_subalgoE8ElNS0_10empty_typeEbEEZZNS1_14partition_implILS5_8ELb0ES3_jPlPS6_PKS6_NS0_5tupleIJS9_S6_EEENSD_IJSA_SA_EEENS0_18inequality_wrapperIZN2at6native12_GLOBAL__N_124unique_dim_cuda_templateIfEESt5tupleIJNSH_6TensorESM_SM_EERKSM_lbbbEUlllE0_EEPmJS6_EEE10hipError_tPvRmT3_T4_T5_T6_T7_T9_mT8_P12ihipStream_tbDpT10_ENKUlT_T0_E_clISt17integral_constantIbLb0EES1B_IbLb1EEEEDaS17_S18_EUlS17_E_NS1_11comp_targetILNS1_3genE5ELNS1_11target_archE942ELNS1_3gpuE9ELNS1_3repE0EEENS1_30default_config_static_selectorELNS0_4arch9wavefront6targetE1EEEvT1_.uses_flat_scratch, 0
	.set _ZN7rocprim17ROCPRIM_400000_NS6detail17trampoline_kernelINS0_14default_configENS1_25partition_config_selectorILNS1_17partition_subalgoE8ElNS0_10empty_typeEbEEZZNS1_14partition_implILS5_8ELb0ES3_jPlPS6_PKS6_NS0_5tupleIJS9_S6_EEENSD_IJSA_SA_EEENS0_18inequality_wrapperIZN2at6native12_GLOBAL__N_124unique_dim_cuda_templateIfEESt5tupleIJNSH_6TensorESM_SM_EERKSM_lbbbEUlllE0_EEPmJS6_EEE10hipError_tPvRmT3_T4_T5_T6_T7_T9_mT8_P12ihipStream_tbDpT10_ENKUlT_T0_E_clISt17integral_constantIbLb0EES1B_IbLb1EEEEDaS17_S18_EUlS17_E_NS1_11comp_targetILNS1_3genE5ELNS1_11target_archE942ELNS1_3gpuE9ELNS1_3repE0EEENS1_30default_config_static_selectorELNS0_4arch9wavefront6targetE1EEEvT1_.has_dyn_sized_stack, 0
	.set _ZN7rocprim17ROCPRIM_400000_NS6detail17trampoline_kernelINS0_14default_configENS1_25partition_config_selectorILNS1_17partition_subalgoE8ElNS0_10empty_typeEbEEZZNS1_14partition_implILS5_8ELb0ES3_jPlPS6_PKS6_NS0_5tupleIJS9_S6_EEENSD_IJSA_SA_EEENS0_18inequality_wrapperIZN2at6native12_GLOBAL__N_124unique_dim_cuda_templateIfEESt5tupleIJNSH_6TensorESM_SM_EERKSM_lbbbEUlllE0_EEPmJS6_EEE10hipError_tPvRmT3_T4_T5_T6_T7_T9_mT8_P12ihipStream_tbDpT10_ENKUlT_T0_E_clISt17integral_constantIbLb0EES1B_IbLb1EEEEDaS17_S18_EUlS17_E_NS1_11comp_targetILNS1_3genE5ELNS1_11target_archE942ELNS1_3gpuE9ELNS1_3repE0EEENS1_30default_config_static_selectorELNS0_4arch9wavefront6targetE1EEEvT1_.has_recursion, 0
	.set _ZN7rocprim17ROCPRIM_400000_NS6detail17trampoline_kernelINS0_14default_configENS1_25partition_config_selectorILNS1_17partition_subalgoE8ElNS0_10empty_typeEbEEZZNS1_14partition_implILS5_8ELb0ES3_jPlPS6_PKS6_NS0_5tupleIJS9_S6_EEENSD_IJSA_SA_EEENS0_18inequality_wrapperIZN2at6native12_GLOBAL__N_124unique_dim_cuda_templateIfEESt5tupleIJNSH_6TensorESM_SM_EERKSM_lbbbEUlllE0_EEPmJS6_EEE10hipError_tPvRmT3_T4_T5_T6_T7_T9_mT8_P12ihipStream_tbDpT10_ENKUlT_T0_E_clISt17integral_constantIbLb0EES1B_IbLb1EEEEDaS17_S18_EUlS17_E_NS1_11comp_targetILNS1_3genE5ELNS1_11target_archE942ELNS1_3gpuE9ELNS1_3repE0EEENS1_30default_config_static_selectorELNS0_4arch9wavefront6targetE1EEEvT1_.has_indirect_call, 0
	.section	.AMDGPU.csdata,"",@progbits
; Kernel info:
; codeLenInByte = 0
; TotalNumSgprs: 6
; NumVgprs: 0
; NumAgprs: 0
; TotalNumVgprs: 0
; ScratchSize: 0
; MemoryBound: 0
; FloatMode: 240
; IeeeMode: 1
; LDSByteSize: 0 bytes/workgroup (compile time only)
; SGPRBlocks: 0
; VGPRBlocks: 0
; NumSGPRsForWavesPerEU: 6
; NumVGPRsForWavesPerEU: 1
; AccumOffset: 4
; Occupancy: 8
; WaveLimiterHint : 0
; COMPUTE_PGM_RSRC2:SCRATCH_EN: 0
; COMPUTE_PGM_RSRC2:USER_SGPR: 2
; COMPUTE_PGM_RSRC2:TRAP_HANDLER: 0
; COMPUTE_PGM_RSRC2:TGID_X_EN: 1
; COMPUTE_PGM_RSRC2:TGID_Y_EN: 0
; COMPUTE_PGM_RSRC2:TGID_Z_EN: 0
; COMPUTE_PGM_RSRC2:TIDIG_COMP_CNT: 0
; COMPUTE_PGM_RSRC3_GFX90A:ACCUM_OFFSET: 0
; COMPUTE_PGM_RSRC3_GFX90A:TG_SPLIT: 0
	.section	.text._ZN7rocprim17ROCPRIM_400000_NS6detail17trampoline_kernelINS0_14default_configENS1_25partition_config_selectorILNS1_17partition_subalgoE8ElNS0_10empty_typeEbEEZZNS1_14partition_implILS5_8ELb0ES3_jPlPS6_PKS6_NS0_5tupleIJS9_S6_EEENSD_IJSA_SA_EEENS0_18inequality_wrapperIZN2at6native12_GLOBAL__N_124unique_dim_cuda_templateIfEESt5tupleIJNSH_6TensorESM_SM_EERKSM_lbbbEUlllE0_EEPmJS6_EEE10hipError_tPvRmT3_T4_T5_T6_T7_T9_mT8_P12ihipStream_tbDpT10_ENKUlT_T0_E_clISt17integral_constantIbLb0EES1B_IbLb1EEEEDaS17_S18_EUlS17_E_NS1_11comp_targetILNS1_3genE4ELNS1_11target_archE910ELNS1_3gpuE8ELNS1_3repE0EEENS1_30default_config_static_selectorELNS0_4arch9wavefront6targetE1EEEvT1_,"axG",@progbits,_ZN7rocprim17ROCPRIM_400000_NS6detail17trampoline_kernelINS0_14default_configENS1_25partition_config_selectorILNS1_17partition_subalgoE8ElNS0_10empty_typeEbEEZZNS1_14partition_implILS5_8ELb0ES3_jPlPS6_PKS6_NS0_5tupleIJS9_S6_EEENSD_IJSA_SA_EEENS0_18inequality_wrapperIZN2at6native12_GLOBAL__N_124unique_dim_cuda_templateIfEESt5tupleIJNSH_6TensorESM_SM_EERKSM_lbbbEUlllE0_EEPmJS6_EEE10hipError_tPvRmT3_T4_T5_T6_T7_T9_mT8_P12ihipStream_tbDpT10_ENKUlT_T0_E_clISt17integral_constantIbLb0EES1B_IbLb1EEEEDaS17_S18_EUlS17_E_NS1_11comp_targetILNS1_3genE4ELNS1_11target_archE910ELNS1_3gpuE8ELNS1_3repE0EEENS1_30default_config_static_selectorELNS0_4arch9wavefront6targetE1EEEvT1_,comdat
	.globl	_ZN7rocprim17ROCPRIM_400000_NS6detail17trampoline_kernelINS0_14default_configENS1_25partition_config_selectorILNS1_17partition_subalgoE8ElNS0_10empty_typeEbEEZZNS1_14partition_implILS5_8ELb0ES3_jPlPS6_PKS6_NS0_5tupleIJS9_S6_EEENSD_IJSA_SA_EEENS0_18inequality_wrapperIZN2at6native12_GLOBAL__N_124unique_dim_cuda_templateIfEESt5tupleIJNSH_6TensorESM_SM_EERKSM_lbbbEUlllE0_EEPmJS6_EEE10hipError_tPvRmT3_T4_T5_T6_T7_T9_mT8_P12ihipStream_tbDpT10_ENKUlT_T0_E_clISt17integral_constantIbLb0EES1B_IbLb1EEEEDaS17_S18_EUlS17_E_NS1_11comp_targetILNS1_3genE4ELNS1_11target_archE910ELNS1_3gpuE8ELNS1_3repE0EEENS1_30default_config_static_selectorELNS0_4arch9wavefront6targetE1EEEvT1_ ; -- Begin function _ZN7rocprim17ROCPRIM_400000_NS6detail17trampoline_kernelINS0_14default_configENS1_25partition_config_selectorILNS1_17partition_subalgoE8ElNS0_10empty_typeEbEEZZNS1_14partition_implILS5_8ELb0ES3_jPlPS6_PKS6_NS0_5tupleIJS9_S6_EEENSD_IJSA_SA_EEENS0_18inequality_wrapperIZN2at6native12_GLOBAL__N_124unique_dim_cuda_templateIfEESt5tupleIJNSH_6TensorESM_SM_EERKSM_lbbbEUlllE0_EEPmJS6_EEE10hipError_tPvRmT3_T4_T5_T6_T7_T9_mT8_P12ihipStream_tbDpT10_ENKUlT_T0_E_clISt17integral_constantIbLb0EES1B_IbLb1EEEEDaS17_S18_EUlS17_E_NS1_11comp_targetILNS1_3genE4ELNS1_11target_archE910ELNS1_3gpuE8ELNS1_3repE0EEENS1_30default_config_static_selectorELNS0_4arch9wavefront6targetE1EEEvT1_
	.p2align	8
	.type	_ZN7rocprim17ROCPRIM_400000_NS6detail17trampoline_kernelINS0_14default_configENS1_25partition_config_selectorILNS1_17partition_subalgoE8ElNS0_10empty_typeEbEEZZNS1_14partition_implILS5_8ELb0ES3_jPlPS6_PKS6_NS0_5tupleIJS9_S6_EEENSD_IJSA_SA_EEENS0_18inequality_wrapperIZN2at6native12_GLOBAL__N_124unique_dim_cuda_templateIfEESt5tupleIJNSH_6TensorESM_SM_EERKSM_lbbbEUlllE0_EEPmJS6_EEE10hipError_tPvRmT3_T4_T5_T6_T7_T9_mT8_P12ihipStream_tbDpT10_ENKUlT_T0_E_clISt17integral_constantIbLb0EES1B_IbLb1EEEEDaS17_S18_EUlS17_E_NS1_11comp_targetILNS1_3genE4ELNS1_11target_archE910ELNS1_3gpuE8ELNS1_3repE0EEENS1_30default_config_static_selectorELNS0_4arch9wavefront6targetE1EEEvT1_,@function
_ZN7rocprim17ROCPRIM_400000_NS6detail17trampoline_kernelINS0_14default_configENS1_25partition_config_selectorILNS1_17partition_subalgoE8ElNS0_10empty_typeEbEEZZNS1_14partition_implILS5_8ELb0ES3_jPlPS6_PKS6_NS0_5tupleIJS9_S6_EEENSD_IJSA_SA_EEENS0_18inequality_wrapperIZN2at6native12_GLOBAL__N_124unique_dim_cuda_templateIfEESt5tupleIJNSH_6TensorESM_SM_EERKSM_lbbbEUlllE0_EEPmJS6_EEE10hipError_tPvRmT3_T4_T5_T6_T7_T9_mT8_P12ihipStream_tbDpT10_ENKUlT_T0_E_clISt17integral_constantIbLb0EES1B_IbLb1EEEEDaS17_S18_EUlS17_E_NS1_11comp_targetILNS1_3genE4ELNS1_11target_archE910ELNS1_3gpuE8ELNS1_3repE0EEENS1_30default_config_static_selectorELNS0_4arch9wavefront6targetE1EEEvT1_: ; @_ZN7rocprim17ROCPRIM_400000_NS6detail17trampoline_kernelINS0_14default_configENS1_25partition_config_selectorILNS1_17partition_subalgoE8ElNS0_10empty_typeEbEEZZNS1_14partition_implILS5_8ELb0ES3_jPlPS6_PKS6_NS0_5tupleIJS9_S6_EEENSD_IJSA_SA_EEENS0_18inequality_wrapperIZN2at6native12_GLOBAL__N_124unique_dim_cuda_templateIfEESt5tupleIJNSH_6TensorESM_SM_EERKSM_lbbbEUlllE0_EEPmJS6_EEE10hipError_tPvRmT3_T4_T5_T6_T7_T9_mT8_P12ihipStream_tbDpT10_ENKUlT_T0_E_clISt17integral_constantIbLb0EES1B_IbLb1EEEEDaS17_S18_EUlS17_E_NS1_11comp_targetILNS1_3genE4ELNS1_11target_archE910ELNS1_3gpuE8ELNS1_3repE0EEENS1_30default_config_static_selectorELNS0_4arch9wavefront6targetE1EEEvT1_
; %bb.0:
	.section	.rodata,"a",@progbits
	.p2align	6, 0x0
	.amdhsa_kernel _ZN7rocprim17ROCPRIM_400000_NS6detail17trampoline_kernelINS0_14default_configENS1_25partition_config_selectorILNS1_17partition_subalgoE8ElNS0_10empty_typeEbEEZZNS1_14partition_implILS5_8ELb0ES3_jPlPS6_PKS6_NS0_5tupleIJS9_S6_EEENSD_IJSA_SA_EEENS0_18inequality_wrapperIZN2at6native12_GLOBAL__N_124unique_dim_cuda_templateIfEESt5tupleIJNSH_6TensorESM_SM_EERKSM_lbbbEUlllE0_EEPmJS6_EEE10hipError_tPvRmT3_T4_T5_T6_T7_T9_mT8_P12ihipStream_tbDpT10_ENKUlT_T0_E_clISt17integral_constantIbLb0EES1B_IbLb1EEEEDaS17_S18_EUlS17_E_NS1_11comp_targetILNS1_3genE4ELNS1_11target_archE910ELNS1_3gpuE8ELNS1_3repE0EEENS1_30default_config_static_selectorELNS0_4arch9wavefront6targetE1EEEvT1_
		.amdhsa_group_segment_fixed_size 0
		.amdhsa_private_segment_fixed_size 0
		.amdhsa_kernarg_size 136
		.amdhsa_user_sgpr_count 2
		.amdhsa_user_sgpr_dispatch_ptr 0
		.amdhsa_user_sgpr_queue_ptr 0
		.amdhsa_user_sgpr_kernarg_segment_ptr 1
		.amdhsa_user_sgpr_dispatch_id 0
		.amdhsa_user_sgpr_kernarg_preload_length 0
		.amdhsa_user_sgpr_kernarg_preload_offset 0
		.amdhsa_user_sgpr_private_segment_size 0
		.amdhsa_uses_dynamic_stack 0
		.amdhsa_enable_private_segment 0
		.amdhsa_system_sgpr_workgroup_id_x 1
		.amdhsa_system_sgpr_workgroup_id_y 0
		.amdhsa_system_sgpr_workgroup_id_z 0
		.amdhsa_system_sgpr_workgroup_info 0
		.amdhsa_system_vgpr_workitem_id 0
		.amdhsa_next_free_vgpr 1
		.amdhsa_next_free_sgpr 0
		.amdhsa_accum_offset 4
		.amdhsa_reserve_vcc 0
		.amdhsa_float_round_mode_32 0
		.amdhsa_float_round_mode_16_64 0
		.amdhsa_float_denorm_mode_32 3
		.amdhsa_float_denorm_mode_16_64 3
		.amdhsa_dx10_clamp 1
		.amdhsa_ieee_mode 1
		.amdhsa_fp16_overflow 0
		.amdhsa_tg_split 0
		.amdhsa_exception_fp_ieee_invalid_op 0
		.amdhsa_exception_fp_denorm_src 0
		.amdhsa_exception_fp_ieee_div_zero 0
		.amdhsa_exception_fp_ieee_overflow 0
		.amdhsa_exception_fp_ieee_underflow 0
		.amdhsa_exception_fp_ieee_inexact 0
		.amdhsa_exception_int_div_zero 0
	.end_amdhsa_kernel
	.section	.text._ZN7rocprim17ROCPRIM_400000_NS6detail17trampoline_kernelINS0_14default_configENS1_25partition_config_selectorILNS1_17partition_subalgoE8ElNS0_10empty_typeEbEEZZNS1_14partition_implILS5_8ELb0ES3_jPlPS6_PKS6_NS0_5tupleIJS9_S6_EEENSD_IJSA_SA_EEENS0_18inequality_wrapperIZN2at6native12_GLOBAL__N_124unique_dim_cuda_templateIfEESt5tupleIJNSH_6TensorESM_SM_EERKSM_lbbbEUlllE0_EEPmJS6_EEE10hipError_tPvRmT3_T4_T5_T6_T7_T9_mT8_P12ihipStream_tbDpT10_ENKUlT_T0_E_clISt17integral_constantIbLb0EES1B_IbLb1EEEEDaS17_S18_EUlS17_E_NS1_11comp_targetILNS1_3genE4ELNS1_11target_archE910ELNS1_3gpuE8ELNS1_3repE0EEENS1_30default_config_static_selectorELNS0_4arch9wavefront6targetE1EEEvT1_,"axG",@progbits,_ZN7rocprim17ROCPRIM_400000_NS6detail17trampoline_kernelINS0_14default_configENS1_25partition_config_selectorILNS1_17partition_subalgoE8ElNS0_10empty_typeEbEEZZNS1_14partition_implILS5_8ELb0ES3_jPlPS6_PKS6_NS0_5tupleIJS9_S6_EEENSD_IJSA_SA_EEENS0_18inequality_wrapperIZN2at6native12_GLOBAL__N_124unique_dim_cuda_templateIfEESt5tupleIJNSH_6TensorESM_SM_EERKSM_lbbbEUlllE0_EEPmJS6_EEE10hipError_tPvRmT3_T4_T5_T6_T7_T9_mT8_P12ihipStream_tbDpT10_ENKUlT_T0_E_clISt17integral_constantIbLb0EES1B_IbLb1EEEEDaS17_S18_EUlS17_E_NS1_11comp_targetILNS1_3genE4ELNS1_11target_archE910ELNS1_3gpuE8ELNS1_3repE0EEENS1_30default_config_static_selectorELNS0_4arch9wavefront6targetE1EEEvT1_,comdat
.Lfunc_end955:
	.size	_ZN7rocprim17ROCPRIM_400000_NS6detail17trampoline_kernelINS0_14default_configENS1_25partition_config_selectorILNS1_17partition_subalgoE8ElNS0_10empty_typeEbEEZZNS1_14partition_implILS5_8ELb0ES3_jPlPS6_PKS6_NS0_5tupleIJS9_S6_EEENSD_IJSA_SA_EEENS0_18inequality_wrapperIZN2at6native12_GLOBAL__N_124unique_dim_cuda_templateIfEESt5tupleIJNSH_6TensorESM_SM_EERKSM_lbbbEUlllE0_EEPmJS6_EEE10hipError_tPvRmT3_T4_T5_T6_T7_T9_mT8_P12ihipStream_tbDpT10_ENKUlT_T0_E_clISt17integral_constantIbLb0EES1B_IbLb1EEEEDaS17_S18_EUlS17_E_NS1_11comp_targetILNS1_3genE4ELNS1_11target_archE910ELNS1_3gpuE8ELNS1_3repE0EEENS1_30default_config_static_selectorELNS0_4arch9wavefront6targetE1EEEvT1_, .Lfunc_end955-_ZN7rocprim17ROCPRIM_400000_NS6detail17trampoline_kernelINS0_14default_configENS1_25partition_config_selectorILNS1_17partition_subalgoE8ElNS0_10empty_typeEbEEZZNS1_14partition_implILS5_8ELb0ES3_jPlPS6_PKS6_NS0_5tupleIJS9_S6_EEENSD_IJSA_SA_EEENS0_18inequality_wrapperIZN2at6native12_GLOBAL__N_124unique_dim_cuda_templateIfEESt5tupleIJNSH_6TensorESM_SM_EERKSM_lbbbEUlllE0_EEPmJS6_EEE10hipError_tPvRmT3_T4_T5_T6_T7_T9_mT8_P12ihipStream_tbDpT10_ENKUlT_T0_E_clISt17integral_constantIbLb0EES1B_IbLb1EEEEDaS17_S18_EUlS17_E_NS1_11comp_targetILNS1_3genE4ELNS1_11target_archE910ELNS1_3gpuE8ELNS1_3repE0EEENS1_30default_config_static_selectorELNS0_4arch9wavefront6targetE1EEEvT1_
                                        ; -- End function
	.set _ZN7rocprim17ROCPRIM_400000_NS6detail17trampoline_kernelINS0_14default_configENS1_25partition_config_selectorILNS1_17partition_subalgoE8ElNS0_10empty_typeEbEEZZNS1_14partition_implILS5_8ELb0ES3_jPlPS6_PKS6_NS0_5tupleIJS9_S6_EEENSD_IJSA_SA_EEENS0_18inequality_wrapperIZN2at6native12_GLOBAL__N_124unique_dim_cuda_templateIfEESt5tupleIJNSH_6TensorESM_SM_EERKSM_lbbbEUlllE0_EEPmJS6_EEE10hipError_tPvRmT3_T4_T5_T6_T7_T9_mT8_P12ihipStream_tbDpT10_ENKUlT_T0_E_clISt17integral_constantIbLb0EES1B_IbLb1EEEEDaS17_S18_EUlS17_E_NS1_11comp_targetILNS1_3genE4ELNS1_11target_archE910ELNS1_3gpuE8ELNS1_3repE0EEENS1_30default_config_static_selectorELNS0_4arch9wavefront6targetE1EEEvT1_.num_vgpr, 0
	.set _ZN7rocprim17ROCPRIM_400000_NS6detail17trampoline_kernelINS0_14default_configENS1_25partition_config_selectorILNS1_17partition_subalgoE8ElNS0_10empty_typeEbEEZZNS1_14partition_implILS5_8ELb0ES3_jPlPS6_PKS6_NS0_5tupleIJS9_S6_EEENSD_IJSA_SA_EEENS0_18inequality_wrapperIZN2at6native12_GLOBAL__N_124unique_dim_cuda_templateIfEESt5tupleIJNSH_6TensorESM_SM_EERKSM_lbbbEUlllE0_EEPmJS6_EEE10hipError_tPvRmT3_T4_T5_T6_T7_T9_mT8_P12ihipStream_tbDpT10_ENKUlT_T0_E_clISt17integral_constantIbLb0EES1B_IbLb1EEEEDaS17_S18_EUlS17_E_NS1_11comp_targetILNS1_3genE4ELNS1_11target_archE910ELNS1_3gpuE8ELNS1_3repE0EEENS1_30default_config_static_selectorELNS0_4arch9wavefront6targetE1EEEvT1_.num_agpr, 0
	.set _ZN7rocprim17ROCPRIM_400000_NS6detail17trampoline_kernelINS0_14default_configENS1_25partition_config_selectorILNS1_17partition_subalgoE8ElNS0_10empty_typeEbEEZZNS1_14partition_implILS5_8ELb0ES3_jPlPS6_PKS6_NS0_5tupleIJS9_S6_EEENSD_IJSA_SA_EEENS0_18inequality_wrapperIZN2at6native12_GLOBAL__N_124unique_dim_cuda_templateIfEESt5tupleIJNSH_6TensorESM_SM_EERKSM_lbbbEUlllE0_EEPmJS6_EEE10hipError_tPvRmT3_T4_T5_T6_T7_T9_mT8_P12ihipStream_tbDpT10_ENKUlT_T0_E_clISt17integral_constantIbLb0EES1B_IbLb1EEEEDaS17_S18_EUlS17_E_NS1_11comp_targetILNS1_3genE4ELNS1_11target_archE910ELNS1_3gpuE8ELNS1_3repE0EEENS1_30default_config_static_selectorELNS0_4arch9wavefront6targetE1EEEvT1_.numbered_sgpr, 0
	.set _ZN7rocprim17ROCPRIM_400000_NS6detail17trampoline_kernelINS0_14default_configENS1_25partition_config_selectorILNS1_17partition_subalgoE8ElNS0_10empty_typeEbEEZZNS1_14partition_implILS5_8ELb0ES3_jPlPS6_PKS6_NS0_5tupleIJS9_S6_EEENSD_IJSA_SA_EEENS0_18inequality_wrapperIZN2at6native12_GLOBAL__N_124unique_dim_cuda_templateIfEESt5tupleIJNSH_6TensorESM_SM_EERKSM_lbbbEUlllE0_EEPmJS6_EEE10hipError_tPvRmT3_T4_T5_T6_T7_T9_mT8_P12ihipStream_tbDpT10_ENKUlT_T0_E_clISt17integral_constantIbLb0EES1B_IbLb1EEEEDaS17_S18_EUlS17_E_NS1_11comp_targetILNS1_3genE4ELNS1_11target_archE910ELNS1_3gpuE8ELNS1_3repE0EEENS1_30default_config_static_selectorELNS0_4arch9wavefront6targetE1EEEvT1_.num_named_barrier, 0
	.set _ZN7rocprim17ROCPRIM_400000_NS6detail17trampoline_kernelINS0_14default_configENS1_25partition_config_selectorILNS1_17partition_subalgoE8ElNS0_10empty_typeEbEEZZNS1_14partition_implILS5_8ELb0ES3_jPlPS6_PKS6_NS0_5tupleIJS9_S6_EEENSD_IJSA_SA_EEENS0_18inequality_wrapperIZN2at6native12_GLOBAL__N_124unique_dim_cuda_templateIfEESt5tupleIJNSH_6TensorESM_SM_EERKSM_lbbbEUlllE0_EEPmJS6_EEE10hipError_tPvRmT3_T4_T5_T6_T7_T9_mT8_P12ihipStream_tbDpT10_ENKUlT_T0_E_clISt17integral_constantIbLb0EES1B_IbLb1EEEEDaS17_S18_EUlS17_E_NS1_11comp_targetILNS1_3genE4ELNS1_11target_archE910ELNS1_3gpuE8ELNS1_3repE0EEENS1_30default_config_static_selectorELNS0_4arch9wavefront6targetE1EEEvT1_.private_seg_size, 0
	.set _ZN7rocprim17ROCPRIM_400000_NS6detail17trampoline_kernelINS0_14default_configENS1_25partition_config_selectorILNS1_17partition_subalgoE8ElNS0_10empty_typeEbEEZZNS1_14partition_implILS5_8ELb0ES3_jPlPS6_PKS6_NS0_5tupleIJS9_S6_EEENSD_IJSA_SA_EEENS0_18inequality_wrapperIZN2at6native12_GLOBAL__N_124unique_dim_cuda_templateIfEESt5tupleIJNSH_6TensorESM_SM_EERKSM_lbbbEUlllE0_EEPmJS6_EEE10hipError_tPvRmT3_T4_T5_T6_T7_T9_mT8_P12ihipStream_tbDpT10_ENKUlT_T0_E_clISt17integral_constantIbLb0EES1B_IbLb1EEEEDaS17_S18_EUlS17_E_NS1_11comp_targetILNS1_3genE4ELNS1_11target_archE910ELNS1_3gpuE8ELNS1_3repE0EEENS1_30default_config_static_selectorELNS0_4arch9wavefront6targetE1EEEvT1_.uses_vcc, 0
	.set _ZN7rocprim17ROCPRIM_400000_NS6detail17trampoline_kernelINS0_14default_configENS1_25partition_config_selectorILNS1_17partition_subalgoE8ElNS0_10empty_typeEbEEZZNS1_14partition_implILS5_8ELb0ES3_jPlPS6_PKS6_NS0_5tupleIJS9_S6_EEENSD_IJSA_SA_EEENS0_18inequality_wrapperIZN2at6native12_GLOBAL__N_124unique_dim_cuda_templateIfEESt5tupleIJNSH_6TensorESM_SM_EERKSM_lbbbEUlllE0_EEPmJS6_EEE10hipError_tPvRmT3_T4_T5_T6_T7_T9_mT8_P12ihipStream_tbDpT10_ENKUlT_T0_E_clISt17integral_constantIbLb0EES1B_IbLb1EEEEDaS17_S18_EUlS17_E_NS1_11comp_targetILNS1_3genE4ELNS1_11target_archE910ELNS1_3gpuE8ELNS1_3repE0EEENS1_30default_config_static_selectorELNS0_4arch9wavefront6targetE1EEEvT1_.uses_flat_scratch, 0
	.set _ZN7rocprim17ROCPRIM_400000_NS6detail17trampoline_kernelINS0_14default_configENS1_25partition_config_selectorILNS1_17partition_subalgoE8ElNS0_10empty_typeEbEEZZNS1_14partition_implILS5_8ELb0ES3_jPlPS6_PKS6_NS0_5tupleIJS9_S6_EEENSD_IJSA_SA_EEENS0_18inequality_wrapperIZN2at6native12_GLOBAL__N_124unique_dim_cuda_templateIfEESt5tupleIJNSH_6TensorESM_SM_EERKSM_lbbbEUlllE0_EEPmJS6_EEE10hipError_tPvRmT3_T4_T5_T6_T7_T9_mT8_P12ihipStream_tbDpT10_ENKUlT_T0_E_clISt17integral_constantIbLb0EES1B_IbLb1EEEEDaS17_S18_EUlS17_E_NS1_11comp_targetILNS1_3genE4ELNS1_11target_archE910ELNS1_3gpuE8ELNS1_3repE0EEENS1_30default_config_static_selectorELNS0_4arch9wavefront6targetE1EEEvT1_.has_dyn_sized_stack, 0
	.set _ZN7rocprim17ROCPRIM_400000_NS6detail17trampoline_kernelINS0_14default_configENS1_25partition_config_selectorILNS1_17partition_subalgoE8ElNS0_10empty_typeEbEEZZNS1_14partition_implILS5_8ELb0ES3_jPlPS6_PKS6_NS0_5tupleIJS9_S6_EEENSD_IJSA_SA_EEENS0_18inequality_wrapperIZN2at6native12_GLOBAL__N_124unique_dim_cuda_templateIfEESt5tupleIJNSH_6TensorESM_SM_EERKSM_lbbbEUlllE0_EEPmJS6_EEE10hipError_tPvRmT3_T4_T5_T6_T7_T9_mT8_P12ihipStream_tbDpT10_ENKUlT_T0_E_clISt17integral_constantIbLb0EES1B_IbLb1EEEEDaS17_S18_EUlS17_E_NS1_11comp_targetILNS1_3genE4ELNS1_11target_archE910ELNS1_3gpuE8ELNS1_3repE0EEENS1_30default_config_static_selectorELNS0_4arch9wavefront6targetE1EEEvT1_.has_recursion, 0
	.set _ZN7rocprim17ROCPRIM_400000_NS6detail17trampoline_kernelINS0_14default_configENS1_25partition_config_selectorILNS1_17partition_subalgoE8ElNS0_10empty_typeEbEEZZNS1_14partition_implILS5_8ELb0ES3_jPlPS6_PKS6_NS0_5tupleIJS9_S6_EEENSD_IJSA_SA_EEENS0_18inequality_wrapperIZN2at6native12_GLOBAL__N_124unique_dim_cuda_templateIfEESt5tupleIJNSH_6TensorESM_SM_EERKSM_lbbbEUlllE0_EEPmJS6_EEE10hipError_tPvRmT3_T4_T5_T6_T7_T9_mT8_P12ihipStream_tbDpT10_ENKUlT_T0_E_clISt17integral_constantIbLb0EES1B_IbLb1EEEEDaS17_S18_EUlS17_E_NS1_11comp_targetILNS1_3genE4ELNS1_11target_archE910ELNS1_3gpuE8ELNS1_3repE0EEENS1_30default_config_static_selectorELNS0_4arch9wavefront6targetE1EEEvT1_.has_indirect_call, 0
	.section	.AMDGPU.csdata,"",@progbits
; Kernel info:
; codeLenInByte = 0
; TotalNumSgprs: 6
; NumVgprs: 0
; NumAgprs: 0
; TotalNumVgprs: 0
; ScratchSize: 0
; MemoryBound: 0
; FloatMode: 240
; IeeeMode: 1
; LDSByteSize: 0 bytes/workgroup (compile time only)
; SGPRBlocks: 0
; VGPRBlocks: 0
; NumSGPRsForWavesPerEU: 6
; NumVGPRsForWavesPerEU: 1
; AccumOffset: 4
; Occupancy: 8
; WaveLimiterHint : 0
; COMPUTE_PGM_RSRC2:SCRATCH_EN: 0
; COMPUTE_PGM_RSRC2:USER_SGPR: 2
; COMPUTE_PGM_RSRC2:TRAP_HANDLER: 0
; COMPUTE_PGM_RSRC2:TGID_X_EN: 1
; COMPUTE_PGM_RSRC2:TGID_Y_EN: 0
; COMPUTE_PGM_RSRC2:TGID_Z_EN: 0
; COMPUTE_PGM_RSRC2:TIDIG_COMP_CNT: 0
; COMPUTE_PGM_RSRC3_GFX90A:ACCUM_OFFSET: 0
; COMPUTE_PGM_RSRC3_GFX90A:TG_SPLIT: 0
	.section	.text._ZN7rocprim17ROCPRIM_400000_NS6detail17trampoline_kernelINS0_14default_configENS1_25partition_config_selectorILNS1_17partition_subalgoE8ElNS0_10empty_typeEbEEZZNS1_14partition_implILS5_8ELb0ES3_jPlPS6_PKS6_NS0_5tupleIJS9_S6_EEENSD_IJSA_SA_EEENS0_18inequality_wrapperIZN2at6native12_GLOBAL__N_124unique_dim_cuda_templateIfEESt5tupleIJNSH_6TensorESM_SM_EERKSM_lbbbEUlllE0_EEPmJS6_EEE10hipError_tPvRmT3_T4_T5_T6_T7_T9_mT8_P12ihipStream_tbDpT10_ENKUlT_T0_E_clISt17integral_constantIbLb0EES1B_IbLb1EEEEDaS17_S18_EUlS17_E_NS1_11comp_targetILNS1_3genE3ELNS1_11target_archE908ELNS1_3gpuE7ELNS1_3repE0EEENS1_30default_config_static_selectorELNS0_4arch9wavefront6targetE1EEEvT1_,"axG",@progbits,_ZN7rocprim17ROCPRIM_400000_NS6detail17trampoline_kernelINS0_14default_configENS1_25partition_config_selectorILNS1_17partition_subalgoE8ElNS0_10empty_typeEbEEZZNS1_14partition_implILS5_8ELb0ES3_jPlPS6_PKS6_NS0_5tupleIJS9_S6_EEENSD_IJSA_SA_EEENS0_18inequality_wrapperIZN2at6native12_GLOBAL__N_124unique_dim_cuda_templateIfEESt5tupleIJNSH_6TensorESM_SM_EERKSM_lbbbEUlllE0_EEPmJS6_EEE10hipError_tPvRmT3_T4_T5_T6_T7_T9_mT8_P12ihipStream_tbDpT10_ENKUlT_T0_E_clISt17integral_constantIbLb0EES1B_IbLb1EEEEDaS17_S18_EUlS17_E_NS1_11comp_targetILNS1_3genE3ELNS1_11target_archE908ELNS1_3gpuE7ELNS1_3repE0EEENS1_30default_config_static_selectorELNS0_4arch9wavefront6targetE1EEEvT1_,comdat
	.globl	_ZN7rocprim17ROCPRIM_400000_NS6detail17trampoline_kernelINS0_14default_configENS1_25partition_config_selectorILNS1_17partition_subalgoE8ElNS0_10empty_typeEbEEZZNS1_14partition_implILS5_8ELb0ES3_jPlPS6_PKS6_NS0_5tupleIJS9_S6_EEENSD_IJSA_SA_EEENS0_18inequality_wrapperIZN2at6native12_GLOBAL__N_124unique_dim_cuda_templateIfEESt5tupleIJNSH_6TensorESM_SM_EERKSM_lbbbEUlllE0_EEPmJS6_EEE10hipError_tPvRmT3_T4_T5_T6_T7_T9_mT8_P12ihipStream_tbDpT10_ENKUlT_T0_E_clISt17integral_constantIbLb0EES1B_IbLb1EEEEDaS17_S18_EUlS17_E_NS1_11comp_targetILNS1_3genE3ELNS1_11target_archE908ELNS1_3gpuE7ELNS1_3repE0EEENS1_30default_config_static_selectorELNS0_4arch9wavefront6targetE1EEEvT1_ ; -- Begin function _ZN7rocprim17ROCPRIM_400000_NS6detail17trampoline_kernelINS0_14default_configENS1_25partition_config_selectorILNS1_17partition_subalgoE8ElNS0_10empty_typeEbEEZZNS1_14partition_implILS5_8ELb0ES3_jPlPS6_PKS6_NS0_5tupleIJS9_S6_EEENSD_IJSA_SA_EEENS0_18inequality_wrapperIZN2at6native12_GLOBAL__N_124unique_dim_cuda_templateIfEESt5tupleIJNSH_6TensorESM_SM_EERKSM_lbbbEUlllE0_EEPmJS6_EEE10hipError_tPvRmT3_T4_T5_T6_T7_T9_mT8_P12ihipStream_tbDpT10_ENKUlT_T0_E_clISt17integral_constantIbLb0EES1B_IbLb1EEEEDaS17_S18_EUlS17_E_NS1_11comp_targetILNS1_3genE3ELNS1_11target_archE908ELNS1_3gpuE7ELNS1_3repE0EEENS1_30default_config_static_selectorELNS0_4arch9wavefront6targetE1EEEvT1_
	.p2align	8
	.type	_ZN7rocprim17ROCPRIM_400000_NS6detail17trampoline_kernelINS0_14default_configENS1_25partition_config_selectorILNS1_17partition_subalgoE8ElNS0_10empty_typeEbEEZZNS1_14partition_implILS5_8ELb0ES3_jPlPS6_PKS6_NS0_5tupleIJS9_S6_EEENSD_IJSA_SA_EEENS0_18inequality_wrapperIZN2at6native12_GLOBAL__N_124unique_dim_cuda_templateIfEESt5tupleIJNSH_6TensorESM_SM_EERKSM_lbbbEUlllE0_EEPmJS6_EEE10hipError_tPvRmT3_T4_T5_T6_T7_T9_mT8_P12ihipStream_tbDpT10_ENKUlT_T0_E_clISt17integral_constantIbLb0EES1B_IbLb1EEEEDaS17_S18_EUlS17_E_NS1_11comp_targetILNS1_3genE3ELNS1_11target_archE908ELNS1_3gpuE7ELNS1_3repE0EEENS1_30default_config_static_selectorELNS0_4arch9wavefront6targetE1EEEvT1_,@function
_ZN7rocprim17ROCPRIM_400000_NS6detail17trampoline_kernelINS0_14default_configENS1_25partition_config_selectorILNS1_17partition_subalgoE8ElNS0_10empty_typeEbEEZZNS1_14partition_implILS5_8ELb0ES3_jPlPS6_PKS6_NS0_5tupleIJS9_S6_EEENSD_IJSA_SA_EEENS0_18inequality_wrapperIZN2at6native12_GLOBAL__N_124unique_dim_cuda_templateIfEESt5tupleIJNSH_6TensorESM_SM_EERKSM_lbbbEUlllE0_EEPmJS6_EEE10hipError_tPvRmT3_T4_T5_T6_T7_T9_mT8_P12ihipStream_tbDpT10_ENKUlT_T0_E_clISt17integral_constantIbLb0EES1B_IbLb1EEEEDaS17_S18_EUlS17_E_NS1_11comp_targetILNS1_3genE3ELNS1_11target_archE908ELNS1_3gpuE7ELNS1_3repE0EEENS1_30default_config_static_selectorELNS0_4arch9wavefront6targetE1EEEvT1_: ; @_ZN7rocprim17ROCPRIM_400000_NS6detail17trampoline_kernelINS0_14default_configENS1_25partition_config_selectorILNS1_17partition_subalgoE8ElNS0_10empty_typeEbEEZZNS1_14partition_implILS5_8ELb0ES3_jPlPS6_PKS6_NS0_5tupleIJS9_S6_EEENSD_IJSA_SA_EEENS0_18inequality_wrapperIZN2at6native12_GLOBAL__N_124unique_dim_cuda_templateIfEESt5tupleIJNSH_6TensorESM_SM_EERKSM_lbbbEUlllE0_EEPmJS6_EEE10hipError_tPvRmT3_T4_T5_T6_T7_T9_mT8_P12ihipStream_tbDpT10_ENKUlT_T0_E_clISt17integral_constantIbLb0EES1B_IbLb1EEEEDaS17_S18_EUlS17_E_NS1_11comp_targetILNS1_3genE3ELNS1_11target_archE908ELNS1_3gpuE7ELNS1_3repE0EEENS1_30default_config_static_selectorELNS0_4arch9wavefront6targetE1EEEvT1_
; %bb.0:
	.section	.rodata,"a",@progbits
	.p2align	6, 0x0
	.amdhsa_kernel _ZN7rocprim17ROCPRIM_400000_NS6detail17trampoline_kernelINS0_14default_configENS1_25partition_config_selectorILNS1_17partition_subalgoE8ElNS0_10empty_typeEbEEZZNS1_14partition_implILS5_8ELb0ES3_jPlPS6_PKS6_NS0_5tupleIJS9_S6_EEENSD_IJSA_SA_EEENS0_18inequality_wrapperIZN2at6native12_GLOBAL__N_124unique_dim_cuda_templateIfEESt5tupleIJNSH_6TensorESM_SM_EERKSM_lbbbEUlllE0_EEPmJS6_EEE10hipError_tPvRmT3_T4_T5_T6_T7_T9_mT8_P12ihipStream_tbDpT10_ENKUlT_T0_E_clISt17integral_constantIbLb0EES1B_IbLb1EEEEDaS17_S18_EUlS17_E_NS1_11comp_targetILNS1_3genE3ELNS1_11target_archE908ELNS1_3gpuE7ELNS1_3repE0EEENS1_30default_config_static_selectorELNS0_4arch9wavefront6targetE1EEEvT1_
		.amdhsa_group_segment_fixed_size 0
		.amdhsa_private_segment_fixed_size 0
		.amdhsa_kernarg_size 136
		.amdhsa_user_sgpr_count 2
		.amdhsa_user_sgpr_dispatch_ptr 0
		.amdhsa_user_sgpr_queue_ptr 0
		.amdhsa_user_sgpr_kernarg_segment_ptr 1
		.amdhsa_user_sgpr_dispatch_id 0
		.amdhsa_user_sgpr_kernarg_preload_length 0
		.amdhsa_user_sgpr_kernarg_preload_offset 0
		.amdhsa_user_sgpr_private_segment_size 0
		.amdhsa_uses_dynamic_stack 0
		.amdhsa_enable_private_segment 0
		.amdhsa_system_sgpr_workgroup_id_x 1
		.amdhsa_system_sgpr_workgroup_id_y 0
		.amdhsa_system_sgpr_workgroup_id_z 0
		.amdhsa_system_sgpr_workgroup_info 0
		.amdhsa_system_vgpr_workitem_id 0
		.amdhsa_next_free_vgpr 1
		.amdhsa_next_free_sgpr 0
		.amdhsa_accum_offset 4
		.amdhsa_reserve_vcc 0
		.amdhsa_float_round_mode_32 0
		.amdhsa_float_round_mode_16_64 0
		.amdhsa_float_denorm_mode_32 3
		.amdhsa_float_denorm_mode_16_64 3
		.amdhsa_dx10_clamp 1
		.amdhsa_ieee_mode 1
		.amdhsa_fp16_overflow 0
		.amdhsa_tg_split 0
		.amdhsa_exception_fp_ieee_invalid_op 0
		.amdhsa_exception_fp_denorm_src 0
		.amdhsa_exception_fp_ieee_div_zero 0
		.amdhsa_exception_fp_ieee_overflow 0
		.amdhsa_exception_fp_ieee_underflow 0
		.amdhsa_exception_fp_ieee_inexact 0
		.amdhsa_exception_int_div_zero 0
	.end_amdhsa_kernel
	.section	.text._ZN7rocprim17ROCPRIM_400000_NS6detail17trampoline_kernelINS0_14default_configENS1_25partition_config_selectorILNS1_17partition_subalgoE8ElNS0_10empty_typeEbEEZZNS1_14partition_implILS5_8ELb0ES3_jPlPS6_PKS6_NS0_5tupleIJS9_S6_EEENSD_IJSA_SA_EEENS0_18inequality_wrapperIZN2at6native12_GLOBAL__N_124unique_dim_cuda_templateIfEESt5tupleIJNSH_6TensorESM_SM_EERKSM_lbbbEUlllE0_EEPmJS6_EEE10hipError_tPvRmT3_T4_T5_T6_T7_T9_mT8_P12ihipStream_tbDpT10_ENKUlT_T0_E_clISt17integral_constantIbLb0EES1B_IbLb1EEEEDaS17_S18_EUlS17_E_NS1_11comp_targetILNS1_3genE3ELNS1_11target_archE908ELNS1_3gpuE7ELNS1_3repE0EEENS1_30default_config_static_selectorELNS0_4arch9wavefront6targetE1EEEvT1_,"axG",@progbits,_ZN7rocprim17ROCPRIM_400000_NS6detail17trampoline_kernelINS0_14default_configENS1_25partition_config_selectorILNS1_17partition_subalgoE8ElNS0_10empty_typeEbEEZZNS1_14partition_implILS5_8ELb0ES3_jPlPS6_PKS6_NS0_5tupleIJS9_S6_EEENSD_IJSA_SA_EEENS0_18inequality_wrapperIZN2at6native12_GLOBAL__N_124unique_dim_cuda_templateIfEESt5tupleIJNSH_6TensorESM_SM_EERKSM_lbbbEUlllE0_EEPmJS6_EEE10hipError_tPvRmT3_T4_T5_T6_T7_T9_mT8_P12ihipStream_tbDpT10_ENKUlT_T0_E_clISt17integral_constantIbLb0EES1B_IbLb1EEEEDaS17_S18_EUlS17_E_NS1_11comp_targetILNS1_3genE3ELNS1_11target_archE908ELNS1_3gpuE7ELNS1_3repE0EEENS1_30default_config_static_selectorELNS0_4arch9wavefront6targetE1EEEvT1_,comdat
.Lfunc_end956:
	.size	_ZN7rocprim17ROCPRIM_400000_NS6detail17trampoline_kernelINS0_14default_configENS1_25partition_config_selectorILNS1_17partition_subalgoE8ElNS0_10empty_typeEbEEZZNS1_14partition_implILS5_8ELb0ES3_jPlPS6_PKS6_NS0_5tupleIJS9_S6_EEENSD_IJSA_SA_EEENS0_18inequality_wrapperIZN2at6native12_GLOBAL__N_124unique_dim_cuda_templateIfEESt5tupleIJNSH_6TensorESM_SM_EERKSM_lbbbEUlllE0_EEPmJS6_EEE10hipError_tPvRmT3_T4_T5_T6_T7_T9_mT8_P12ihipStream_tbDpT10_ENKUlT_T0_E_clISt17integral_constantIbLb0EES1B_IbLb1EEEEDaS17_S18_EUlS17_E_NS1_11comp_targetILNS1_3genE3ELNS1_11target_archE908ELNS1_3gpuE7ELNS1_3repE0EEENS1_30default_config_static_selectorELNS0_4arch9wavefront6targetE1EEEvT1_, .Lfunc_end956-_ZN7rocprim17ROCPRIM_400000_NS6detail17trampoline_kernelINS0_14default_configENS1_25partition_config_selectorILNS1_17partition_subalgoE8ElNS0_10empty_typeEbEEZZNS1_14partition_implILS5_8ELb0ES3_jPlPS6_PKS6_NS0_5tupleIJS9_S6_EEENSD_IJSA_SA_EEENS0_18inequality_wrapperIZN2at6native12_GLOBAL__N_124unique_dim_cuda_templateIfEESt5tupleIJNSH_6TensorESM_SM_EERKSM_lbbbEUlllE0_EEPmJS6_EEE10hipError_tPvRmT3_T4_T5_T6_T7_T9_mT8_P12ihipStream_tbDpT10_ENKUlT_T0_E_clISt17integral_constantIbLb0EES1B_IbLb1EEEEDaS17_S18_EUlS17_E_NS1_11comp_targetILNS1_3genE3ELNS1_11target_archE908ELNS1_3gpuE7ELNS1_3repE0EEENS1_30default_config_static_selectorELNS0_4arch9wavefront6targetE1EEEvT1_
                                        ; -- End function
	.set _ZN7rocprim17ROCPRIM_400000_NS6detail17trampoline_kernelINS0_14default_configENS1_25partition_config_selectorILNS1_17partition_subalgoE8ElNS0_10empty_typeEbEEZZNS1_14partition_implILS5_8ELb0ES3_jPlPS6_PKS6_NS0_5tupleIJS9_S6_EEENSD_IJSA_SA_EEENS0_18inequality_wrapperIZN2at6native12_GLOBAL__N_124unique_dim_cuda_templateIfEESt5tupleIJNSH_6TensorESM_SM_EERKSM_lbbbEUlllE0_EEPmJS6_EEE10hipError_tPvRmT3_T4_T5_T6_T7_T9_mT8_P12ihipStream_tbDpT10_ENKUlT_T0_E_clISt17integral_constantIbLb0EES1B_IbLb1EEEEDaS17_S18_EUlS17_E_NS1_11comp_targetILNS1_3genE3ELNS1_11target_archE908ELNS1_3gpuE7ELNS1_3repE0EEENS1_30default_config_static_selectorELNS0_4arch9wavefront6targetE1EEEvT1_.num_vgpr, 0
	.set _ZN7rocprim17ROCPRIM_400000_NS6detail17trampoline_kernelINS0_14default_configENS1_25partition_config_selectorILNS1_17partition_subalgoE8ElNS0_10empty_typeEbEEZZNS1_14partition_implILS5_8ELb0ES3_jPlPS6_PKS6_NS0_5tupleIJS9_S6_EEENSD_IJSA_SA_EEENS0_18inequality_wrapperIZN2at6native12_GLOBAL__N_124unique_dim_cuda_templateIfEESt5tupleIJNSH_6TensorESM_SM_EERKSM_lbbbEUlllE0_EEPmJS6_EEE10hipError_tPvRmT3_T4_T5_T6_T7_T9_mT8_P12ihipStream_tbDpT10_ENKUlT_T0_E_clISt17integral_constantIbLb0EES1B_IbLb1EEEEDaS17_S18_EUlS17_E_NS1_11comp_targetILNS1_3genE3ELNS1_11target_archE908ELNS1_3gpuE7ELNS1_3repE0EEENS1_30default_config_static_selectorELNS0_4arch9wavefront6targetE1EEEvT1_.num_agpr, 0
	.set _ZN7rocprim17ROCPRIM_400000_NS6detail17trampoline_kernelINS0_14default_configENS1_25partition_config_selectorILNS1_17partition_subalgoE8ElNS0_10empty_typeEbEEZZNS1_14partition_implILS5_8ELb0ES3_jPlPS6_PKS6_NS0_5tupleIJS9_S6_EEENSD_IJSA_SA_EEENS0_18inequality_wrapperIZN2at6native12_GLOBAL__N_124unique_dim_cuda_templateIfEESt5tupleIJNSH_6TensorESM_SM_EERKSM_lbbbEUlllE0_EEPmJS6_EEE10hipError_tPvRmT3_T4_T5_T6_T7_T9_mT8_P12ihipStream_tbDpT10_ENKUlT_T0_E_clISt17integral_constantIbLb0EES1B_IbLb1EEEEDaS17_S18_EUlS17_E_NS1_11comp_targetILNS1_3genE3ELNS1_11target_archE908ELNS1_3gpuE7ELNS1_3repE0EEENS1_30default_config_static_selectorELNS0_4arch9wavefront6targetE1EEEvT1_.numbered_sgpr, 0
	.set _ZN7rocprim17ROCPRIM_400000_NS6detail17trampoline_kernelINS0_14default_configENS1_25partition_config_selectorILNS1_17partition_subalgoE8ElNS0_10empty_typeEbEEZZNS1_14partition_implILS5_8ELb0ES3_jPlPS6_PKS6_NS0_5tupleIJS9_S6_EEENSD_IJSA_SA_EEENS0_18inequality_wrapperIZN2at6native12_GLOBAL__N_124unique_dim_cuda_templateIfEESt5tupleIJNSH_6TensorESM_SM_EERKSM_lbbbEUlllE0_EEPmJS6_EEE10hipError_tPvRmT3_T4_T5_T6_T7_T9_mT8_P12ihipStream_tbDpT10_ENKUlT_T0_E_clISt17integral_constantIbLb0EES1B_IbLb1EEEEDaS17_S18_EUlS17_E_NS1_11comp_targetILNS1_3genE3ELNS1_11target_archE908ELNS1_3gpuE7ELNS1_3repE0EEENS1_30default_config_static_selectorELNS0_4arch9wavefront6targetE1EEEvT1_.num_named_barrier, 0
	.set _ZN7rocprim17ROCPRIM_400000_NS6detail17trampoline_kernelINS0_14default_configENS1_25partition_config_selectorILNS1_17partition_subalgoE8ElNS0_10empty_typeEbEEZZNS1_14partition_implILS5_8ELb0ES3_jPlPS6_PKS6_NS0_5tupleIJS9_S6_EEENSD_IJSA_SA_EEENS0_18inequality_wrapperIZN2at6native12_GLOBAL__N_124unique_dim_cuda_templateIfEESt5tupleIJNSH_6TensorESM_SM_EERKSM_lbbbEUlllE0_EEPmJS6_EEE10hipError_tPvRmT3_T4_T5_T6_T7_T9_mT8_P12ihipStream_tbDpT10_ENKUlT_T0_E_clISt17integral_constantIbLb0EES1B_IbLb1EEEEDaS17_S18_EUlS17_E_NS1_11comp_targetILNS1_3genE3ELNS1_11target_archE908ELNS1_3gpuE7ELNS1_3repE0EEENS1_30default_config_static_selectorELNS0_4arch9wavefront6targetE1EEEvT1_.private_seg_size, 0
	.set _ZN7rocprim17ROCPRIM_400000_NS6detail17trampoline_kernelINS0_14default_configENS1_25partition_config_selectorILNS1_17partition_subalgoE8ElNS0_10empty_typeEbEEZZNS1_14partition_implILS5_8ELb0ES3_jPlPS6_PKS6_NS0_5tupleIJS9_S6_EEENSD_IJSA_SA_EEENS0_18inequality_wrapperIZN2at6native12_GLOBAL__N_124unique_dim_cuda_templateIfEESt5tupleIJNSH_6TensorESM_SM_EERKSM_lbbbEUlllE0_EEPmJS6_EEE10hipError_tPvRmT3_T4_T5_T6_T7_T9_mT8_P12ihipStream_tbDpT10_ENKUlT_T0_E_clISt17integral_constantIbLb0EES1B_IbLb1EEEEDaS17_S18_EUlS17_E_NS1_11comp_targetILNS1_3genE3ELNS1_11target_archE908ELNS1_3gpuE7ELNS1_3repE0EEENS1_30default_config_static_selectorELNS0_4arch9wavefront6targetE1EEEvT1_.uses_vcc, 0
	.set _ZN7rocprim17ROCPRIM_400000_NS6detail17trampoline_kernelINS0_14default_configENS1_25partition_config_selectorILNS1_17partition_subalgoE8ElNS0_10empty_typeEbEEZZNS1_14partition_implILS5_8ELb0ES3_jPlPS6_PKS6_NS0_5tupleIJS9_S6_EEENSD_IJSA_SA_EEENS0_18inequality_wrapperIZN2at6native12_GLOBAL__N_124unique_dim_cuda_templateIfEESt5tupleIJNSH_6TensorESM_SM_EERKSM_lbbbEUlllE0_EEPmJS6_EEE10hipError_tPvRmT3_T4_T5_T6_T7_T9_mT8_P12ihipStream_tbDpT10_ENKUlT_T0_E_clISt17integral_constantIbLb0EES1B_IbLb1EEEEDaS17_S18_EUlS17_E_NS1_11comp_targetILNS1_3genE3ELNS1_11target_archE908ELNS1_3gpuE7ELNS1_3repE0EEENS1_30default_config_static_selectorELNS0_4arch9wavefront6targetE1EEEvT1_.uses_flat_scratch, 0
	.set _ZN7rocprim17ROCPRIM_400000_NS6detail17trampoline_kernelINS0_14default_configENS1_25partition_config_selectorILNS1_17partition_subalgoE8ElNS0_10empty_typeEbEEZZNS1_14partition_implILS5_8ELb0ES3_jPlPS6_PKS6_NS0_5tupleIJS9_S6_EEENSD_IJSA_SA_EEENS0_18inequality_wrapperIZN2at6native12_GLOBAL__N_124unique_dim_cuda_templateIfEESt5tupleIJNSH_6TensorESM_SM_EERKSM_lbbbEUlllE0_EEPmJS6_EEE10hipError_tPvRmT3_T4_T5_T6_T7_T9_mT8_P12ihipStream_tbDpT10_ENKUlT_T0_E_clISt17integral_constantIbLb0EES1B_IbLb1EEEEDaS17_S18_EUlS17_E_NS1_11comp_targetILNS1_3genE3ELNS1_11target_archE908ELNS1_3gpuE7ELNS1_3repE0EEENS1_30default_config_static_selectorELNS0_4arch9wavefront6targetE1EEEvT1_.has_dyn_sized_stack, 0
	.set _ZN7rocprim17ROCPRIM_400000_NS6detail17trampoline_kernelINS0_14default_configENS1_25partition_config_selectorILNS1_17partition_subalgoE8ElNS0_10empty_typeEbEEZZNS1_14partition_implILS5_8ELb0ES3_jPlPS6_PKS6_NS0_5tupleIJS9_S6_EEENSD_IJSA_SA_EEENS0_18inequality_wrapperIZN2at6native12_GLOBAL__N_124unique_dim_cuda_templateIfEESt5tupleIJNSH_6TensorESM_SM_EERKSM_lbbbEUlllE0_EEPmJS6_EEE10hipError_tPvRmT3_T4_T5_T6_T7_T9_mT8_P12ihipStream_tbDpT10_ENKUlT_T0_E_clISt17integral_constantIbLb0EES1B_IbLb1EEEEDaS17_S18_EUlS17_E_NS1_11comp_targetILNS1_3genE3ELNS1_11target_archE908ELNS1_3gpuE7ELNS1_3repE0EEENS1_30default_config_static_selectorELNS0_4arch9wavefront6targetE1EEEvT1_.has_recursion, 0
	.set _ZN7rocprim17ROCPRIM_400000_NS6detail17trampoline_kernelINS0_14default_configENS1_25partition_config_selectorILNS1_17partition_subalgoE8ElNS0_10empty_typeEbEEZZNS1_14partition_implILS5_8ELb0ES3_jPlPS6_PKS6_NS0_5tupleIJS9_S6_EEENSD_IJSA_SA_EEENS0_18inequality_wrapperIZN2at6native12_GLOBAL__N_124unique_dim_cuda_templateIfEESt5tupleIJNSH_6TensorESM_SM_EERKSM_lbbbEUlllE0_EEPmJS6_EEE10hipError_tPvRmT3_T4_T5_T6_T7_T9_mT8_P12ihipStream_tbDpT10_ENKUlT_T0_E_clISt17integral_constantIbLb0EES1B_IbLb1EEEEDaS17_S18_EUlS17_E_NS1_11comp_targetILNS1_3genE3ELNS1_11target_archE908ELNS1_3gpuE7ELNS1_3repE0EEENS1_30default_config_static_selectorELNS0_4arch9wavefront6targetE1EEEvT1_.has_indirect_call, 0
	.section	.AMDGPU.csdata,"",@progbits
; Kernel info:
; codeLenInByte = 0
; TotalNumSgprs: 6
; NumVgprs: 0
; NumAgprs: 0
; TotalNumVgprs: 0
; ScratchSize: 0
; MemoryBound: 0
; FloatMode: 240
; IeeeMode: 1
; LDSByteSize: 0 bytes/workgroup (compile time only)
; SGPRBlocks: 0
; VGPRBlocks: 0
; NumSGPRsForWavesPerEU: 6
; NumVGPRsForWavesPerEU: 1
; AccumOffset: 4
; Occupancy: 8
; WaveLimiterHint : 0
; COMPUTE_PGM_RSRC2:SCRATCH_EN: 0
; COMPUTE_PGM_RSRC2:USER_SGPR: 2
; COMPUTE_PGM_RSRC2:TRAP_HANDLER: 0
; COMPUTE_PGM_RSRC2:TGID_X_EN: 1
; COMPUTE_PGM_RSRC2:TGID_Y_EN: 0
; COMPUTE_PGM_RSRC2:TGID_Z_EN: 0
; COMPUTE_PGM_RSRC2:TIDIG_COMP_CNT: 0
; COMPUTE_PGM_RSRC3_GFX90A:ACCUM_OFFSET: 0
; COMPUTE_PGM_RSRC3_GFX90A:TG_SPLIT: 0
	.section	.text._ZN7rocprim17ROCPRIM_400000_NS6detail17trampoline_kernelINS0_14default_configENS1_25partition_config_selectorILNS1_17partition_subalgoE8ElNS0_10empty_typeEbEEZZNS1_14partition_implILS5_8ELb0ES3_jPlPS6_PKS6_NS0_5tupleIJS9_S6_EEENSD_IJSA_SA_EEENS0_18inequality_wrapperIZN2at6native12_GLOBAL__N_124unique_dim_cuda_templateIfEESt5tupleIJNSH_6TensorESM_SM_EERKSM_lbbbEUlllE0_EEPmJS6_EEE10hipError_tPvRmT3_T4_T5_T6_T7_T9_mT8_P12ihipStream_tbDpT10_ENKUlT_T0_E_clISt17integral_constantIbLb0EES1B_IbLb1EEEEDaS17_S18_EUlS17_E_NS1_11comp_targetILNS1_3genE2ELNS1_11target_archE906ELNS1_3gpuE6ELNS1_3repE0EEENS1_30default_config_static_selectorELNS0_4arch9wavefront6targetE1EEEvT1_,"axG",@progbits,_ZN7rocprim17ROCPRIM_400000_NS6detail17trampoline_kernelINS0_14default_configENS1_25partition_config_selectorILNS1_17partition_subalgoE8ElNS0_10empty_typeEbEEZZNS1_14partition_implILS5_8ELb0ES3_jPlPS6_PKS6_NS0_5tupleIJS9_S6_EEENSD_IJSA_SA_EEENS0_18inequality_wrapperIZN2at6native12_GLOBAL__N_124unique_dim_cuda_templateIfEESt5tupleIJNSH_6TensorESM_SM_EERKSM_lbbbEUlllE0_EEPmJS6_EEE10hipError_tPvRmT3_T4_T5_T6_T7_T9_mT8_P12ihipStream_tbDpT10_ENKUlT_T0_E_clISt17integral_constantIbLb0EES1B_IbLb1EEEEDaS17_S18_EUlS17_E_NS1_11comp_targetILNS1_3genE2ELNS1_11target_archE906ELNS1_3gpuE6ELNS1_3repE0EEENS1_30default_config_static_selectorELNS0_4arch9wavefront6targetE1EEEvT1_,comdat
	.globl	_ZN7rocprim17ROCPRIM_400000_NS6detail17trampoline_kernelINS0_14default_configENS1_25partition_config_selectorILNS1_17partition_subalgoE8ElNS0_10empty_typeEbEEZZNS1_14partition_implILS5_8ELb0ES3_jPlPS6_PKS6_NS0_5tupleIJS9_S6_EEENSD_IJSA_SA_EEENS0_18inequality_wrapperIZN2at6native12_GLOBAL__N_124unique_dim_cuda_templateIfEESt5tupleIJNSH_6TensorESM_SM_EERKSM_lbbbEUlllE0_EEPmJS6_EEE10hipError_tPvRmT3_T4_T5_T6_T7_T9_mT8_P12ihipStream_tbDpT10_ENKUlT_T0_E_clISt17integral_constantIbLb0EES1B_IbLb1EEEEDaS17_S18_EUlS17_E_NS1_11comp_targetILNS1_3genE2ELNS1_11target_archE906ELNS1_3gpuE6ELNS1_3repE0EEENS1_30default_config_static_selectorELNS0_4arch9wavefront6targetE1EEEvT1_ ; -- Begin function _ZN7rocprim17ROCPRIM_400000_NS6detail17trampoline_kernelINS0_14default_configENS1_25partition_config_selectorILNS1_17partition_subalgoE8ElNS0_10empty_typeEbEEZZNS1_14partition_implILS5_8ELb0ES3_jPlPS6_PKS6_NS0_5tupleIJS9_S6_EEENSD_IJSA_SA_EEENS0_18inequality_wrapperIZN2at6native12_GLOBAL__N_124unique_dim_cuda_templateIfEESt5tupleIJNSH_6TensorESM_SM_EERKSM_lbbbEUlllE0_EEPmJS6_EEE10hipError_tPvRmT3_T4_T5_T6_T7_T9_mT8_P12ihipStream_tbDpT10_ENKUlT_T0_E_clISt17integral_constantIbLb0EES1B_IbLb1EEEEDaS17_S18_EUlS17_E_NS1_11comp_targetILNS1_3genE2ELNS1_11target_archE906ELNS1_3gpuE6ELNS1_3repE0EEENS1_30default_config_static_selectorELNS0_4arch9wavefront6targetE1EEEvT1_
	.p2align	8
	.type	_ZN7rocprim17ROCPRIM_400000_NS6detail17trampoline_kernelINS0_14default_configENS1_25partition_config_selectorILNS1_17partition_subalgoE8ElNS0_10empty_typeEbEEZZNS1_14partition_implILS5_8ELb0ES3_jPlPS6_PKS6_NS0_5tupleIJS9_S6_EEENSD_IJSA_SA_EEENS0_18inequality_wrapperIZN2at6native12_GLOBAL__N_124unique_dim_cuda_templateIfEESt5tupleIJNSH_6TensorESM_SM_EERKSM_lbbbEUlllE0_EEPmJS6_EEE10hipError_tPvRmT3_T4_T5_T6_T7_T9_mT8_P12ihipStream_tbDpT10_ENKUlT_T0_E_clISt17integral_constantIbLb0EES1B_IbLb1EEEEDaS17_S18_EUlS17_E_NS1_11comp_targetILNS1_3genE2ELNS1_11target_archE906ELNS1_3gpuE6ELNS1_3repE0EEENS1_30default_config_static_selectorELNS0_4arch9wavefront6targetE1EEEvT1_,@function
_ZN7rocprim17ROCPRIM_400000_NS6detail17trampoline_kernelINS0_14default_configENS1_25partition_config_selectorILNS1_17partition_subalgoE8ElNS0_10empty_typeEbEEZZNS1_14partition_implILS5_8ELb0ES3_jPlPS6_PKS6_NS0_5tupleIJS9_S6_EEENSD_IJSA_SA_EEENS0_18inequality_wrapperIZN2at6native12_GLOBAL__N_124unique_dim_cuda_templateIfEESt5tupleIJNSH_6TensorESM_SM_EERKSM_lbbbEUlllE0_EEPmJS6_EEE10hipError_tPvRmT3_T4_T5_T6_T7_T9_mT8_P12ihipStream_tbDpT10_ENKUlT_T0_E_clISt17integral_constantIbLb0EES1B_IbLb1EEEEDaS17_S18_EUlS17_E_NS1_11comp_targetILNS1_3genE2ELNS1_11target_archE906ELNS1_3gpuE6ELNS1_3repE0EEENS1_30default_config_static_selectorELNS0_4arch9wavefront6targetE1EEEvT1_: ; @_ZN7rocprim17ROCPRIM_400000_NS6detail17trampoline_kernelINS0_14default_configENS1_25partition_config_selectorILNS1_17partition_subalgoE8ElNS0_10empty_typeEbEEZZNS1_14partition_implILS5_8ELb0ES3_jPlPS6_PKS6_NS0_5tupleIJS9_S6_EEENSD_IJSA_SA_EEENS0_18inequality_wrapperIZN2at6native12_GLOBAL__N_124unique_dim_cuda_templateIfEESt5tupleIJNSH_6TensorESM_SM_EERKSM_lbbbEUlllE0_EEPmJS6_EEE10hipError_tPvRmT3_T4_T5_T6_T7_T9_mT8_P12ihipStream_tbDpT10_ENKUlT_T0_E_clISt17integral_constantIbLb0EES1B_IbLb1EEEEDaS17_S18_EUlS17_E_NS1_11comp_targetILNS1_3genE2ELNS1_11target_archE906ELNS1_3gpuE6ELNS1_3repE0EEENS1_30default_config_static_selectorELNS0_4arch9wavefront6targetE1EEEvT1_
; %bb.0:
	.section	.rodata,"a",@progbits
	.p2align	6, 0x0
	.amdhsa_kernel _ZN7rocprim17ROCPRIM_400000_NS6detail17trampoline_kernelINS0_14default_configENS1_25partition_config_selectorILNS1_17partition_subalgoE8ElNS0_10empty_typeEbEEZZNS1_14partition_implILS5_8ELb0ES3_jPlPS6_PKS6_NS0_5tupleIJS9_S6_EEENSD_IJSA_SA_EEENS0_18inequality_wrapperIZN2at6native12_GLOBAL__N_124unique_dim_cuda_templateIfEESt5tupleIJNSH_6TensorESM_SM_EERKSM_lbbbEUlllE0_EEPmJS6_EEE10hipError_tPvRmT3_T4_T5_T6_T7_T9_mT8_P12ihipStream_tbDpT10_ENKUlT_T0_E_clISt17integral_constantIbLb0EES1B_IbLb1EEEEDaS17_S18_EUlS17_E_NS1_11comp_targetILNS1_3genE2ELNS1_11target_archE906ELNS1_3gpuE6ELNS1_3repE0EEENS1_30default_config_static_selectorELNS0_4arch9wavefront6targetE1EEEvT1_
		.amdhsa_group_segment_fixed_size 0
		.amdhsa_private_segment_fixed_size 0
		.amdhsa_kernarg_size 136
		.amdhsa_user_sgpr_count 2
		.amdhsa_user_sgpr_dispatch_ptr 0
		.amdhsa_user_sgpr_queue_ptr 0
		.amdhsa_user_sgpr_kernarg_segment_ptr 1
		.amdhsa_user_sgpr_dispatch_id 0
		.amdhsa_user_sgpr_kernarg_preload_length 0
		.amdhsa_user_sgpr_kernarg_preload_offset 0
		.amdhsa_user_sgpr_private_segment_size 0
		.amdhsa_uses_dynamic_stack 0
		.amdhsa_enable_private_segment 0
		.amdhsa_system_sgpr_workgroup_id_x 1
		.amdhsa_system_sgpr_workgroup_id_y 0
		.amdhsa_system_sgpr_workgroup_id_z 0
		.amdhsa_system_sgpr_workgroup_info 0
		.amdhsa_system_vgpr_workitem_id 0
		.amdhsa_next_free_vgpr 1
		.amdhsa_next_free_sgpr 0
		.amdhsa_accum_offset 4
		.amdhsa_reserve_vcc 0
		.amdhsa_float_round_mode_32 0
		.amdhsa_float_round_mode_16_64 0
		.amdhsa_float_denorm_mode_32 3
		.amdhsa_float_denorm_mode_16_64 3
		.amdhsa_dx10_clamp 1
		.amdhsa_ieee_mode 1
		.amdhsa_fp16_overflow 0
		.amdhsa_tg_split 0
		.amdhsa_exception_fp_ieee_invalid_op 0
		.amdhsa_exception_fp_denorm_src 0
		.amdhsa_exception_fp_ieee_div_zero 0
		.amdhsa_exception_fp_ieee_overflow 0
		.amdhsa_exception_fp_ieee_underflow 0
		.amdhsa_exception_fp_ieee_inexact 0
		.amdhsa_exception_int_div_zero 0
	.end_amdhsa_kernel
	.section	.text._ZN7rocprim17ROCPRIM_400000_NS6detail17trampoline_kernelINS0_14default_configENS1_25partition_config_selectorILNS1_17partition_subalgoE8ElNS0_10empty_typeEbEEZZNS1_14partition_implILS5_8ELb0ES3_jPlPS6_PKS6_NS0_5tupleIJS9_S6_EEENSD_IJSA_SA_EEENS0_18inequality_wrapperIZN2at6native12_GLOBAL__N_124unique_dim_cuda_templateIfEESt5tupleIJNSH_6TensorESM_SM_EERKSM_lbbbEUlllE0_EEPmJS6_EEE10hipError_tPvRmT3_T4_T5_T6_T7_T9_mT8_P12ihipStream_tbDpT10_ENKUlT_T0_E_clISt17integral_constantIbLb0EES1B_IbLb1EEEEDaS17_S18_EUlS17_E_NS1_11comp_targetILNS1_3genE2ELNS1_11target_archE906ELNS1_3gpuE6ELNS1_3repE0EEENS1_30default_config_static_selectorELNS0_4arch9wavefront6targetE1EEEvT1_,"axG",@progbits,_ZN7rocprim17ROCPRIM_400000_NS6detail17trampoline_kernelINS0_14default_configENS1_25partition_config_selectorILNS1_17partition_subalgoE8ElNS0_10empty_typeEbEEZZNS1_14partition_implILS5_8ELb0ES3_jPlPS6_PKS6_NS0_5tupleIJS9_S6_EEENSD_IJSA_SA_EEENS0_18inequality_wrapperIZN2at6native12_GLOBAL__N_124unique_dim_cuda_templateIfEESt5tupleIJNSH_6TensorESM_SM_EERKSM_lbbbEUlllE0_EEPmJS6_EEE10hipError_tPvRmT3_T4_T5_T6_T7_T9_mT8_P12ihipStream_tbDpT10_ENKUlT_T0_E_clISt17integral_constantIbLb0EES1B_IbLb1EEEEDaS17_S18_EUlS17_E_NS1_11comp_targetILNS1_3genE2ELNS1_11target_archE906ELNS1_3gpuE6ELNS1_3repE0EEENS1_30default_config_static_selectorELNS0_4arch9wavefront6targetE1EEEvT1_,comdat
.Lfunc_end957:
	.size	_ZN7rocprim17ROCPRIM_400000_NS6detail17trampoline_kernelINS0_14default_configENS1_25partition_config_selectorILNS1_17partition_subalgoE8ElNS0_10empty_typeEbEEZZNS1_14partition_implILS5_8ELb0ES3_jPlPS6_PKS6_NS0_5tupleIJS9_S6_EEENSD_IJSA_SA_EEENS0_18inequality_wrapperIZN2at6native12_GLOBAL__N_124unique_dim_cuda_templateIfEESt5tupleIJNSH_6TensorESM_SM_EERKSM_lbbbEUlllE0_EEPmJS6_EEE10hipError_tPvRmT3_T4_T5_T6_T7_T9_mT8_P12ihipStream_tbDpT10_ENKUlT_T0_E_clISt17integral_constantIbLb0EES1B_IbLb1EEEEDaS17_S18_EUlS17_E_NS1_11comp_targetILNS1_3genE2ELNS1_11target_archE906ELNS1_3gpuE6ELNS1_3repE0EEENS1_30default_config_static_selectorELNS0_4arch9wavefront6targetE1EEEvT1_, .Lfunc_end957-_ZN7rocprim17ROCPRIM_400000_NS6detail17trampoline_kernelINS0_14default_configENS1_25partition_config_selectorILNS1_17partition_subalgoE8ElNS0_10empty_typeEbEEZZNS1_14partition_implILS5_8ELb0ES3_jPlPS6_PKS6_NS0_5tupleIJS9_S6_EEENSD_IJSA_SA_EEENS0_18inequality_wrapperIZN2at6native12_GLOBAL__N_124unique_dim_cuda_templateIfEESt5tupleIJNSH_6TensorESM_SM_EERKSM_lbbbEUlllE0_EEPmJS6_EEE10hipError_tPvRmT3_T4_T5_T6_T7_T9_mT8_P12ihipStream_tbDpT10_ENKUlT_T0_E_clISt17integral_constantIbLb0EES1B_IbLb1EEEEDaS17_S18_EUlS17_E_NS1_11comp_targetILNS1_3genE2ELNS1_11target_archE906ELNS1_3gpuE6ELNS1_3repE0EEENS1_30default_config_static_selectorELNS0_4arch9wavefront6targetE1EEEvT1_
                                        ; -- End function
	.set _ZN7rocprim17ROCPRIM_400000_NS6detail17trampoline_kernelINS0_14default_configENS1_25partition_config_selectorILNS1_17partition_subalgoE8ElNS0_10empty_typeEbEEZZNS1_14partition_implILS5_8ELb0ES3_jPlPS6_PKS6_NS0_5tupleIJS9_S6_EEENSD_IJSA_SA_EEENS0_18inequality_wrapperIZN2at6native12_GLOBAL__N_124unique_dim_cuda_templateIfEESt5tupleIJNSH_6TensorESM_SM_EERKSM_lbbbEUlllE0_EEPmJS6_EEE10hipError_tPvRmT3_T4_T5_T6_T7_T9_mT8_P12ihipStream_tbDpT10_ENKUlT_T0_E_clISt17integral_constantIbLb0EES1B_IbLb1EEEEDaS17_S18_EUlS17_E_NS1_11comp_targetILNS1_3genE2ELNS1_11target_archE906ELNS1_3gpuE6ELNS1_3repE0EEENS1_30default_config_static_selectorELNS0_4arch9wavefront6targetE1EEEvT1_.num_vgpr, 0
	.set _ZN7rocprim17ROCPRIM_400000_NS6detail17trampoline_kernelINS0_14default_configENS1_25partition_config_selectorILNS1_17partition_subalgoE8ElNS0_10empty_typeEbEEZZNS1_14partition_implILS5_8ELb0ES3_jPlPS6_PKS6_NS0_5tupleIJS9_S6_EEENSD_IJSA_SA_EEENS0_18inequality_wrapperIZN2at6native12_GLOBAL__N_124unique_dim_cuda_templateIfEESt5tupleIJNSH_6TensorESM_SM_EERKSM_lbbbEUlllE0_EEPmJS6_EEE10hipError_tPvRmT3_T4_T5_T6_T7_T9_mT8_P12ihipStream_tbDpT10_ENKUlT_T0_E_clISt17integral_constantIbLb0EES1B_IbLb1EEEEDaS17_S18_EUlS17_E_NS1_11comp_targetILNS1_3genE2ELNS1_11target_archE906ELNS1_3gpuE6ELNS1_3repE0EEENS1_30default_config_static_selectorELNS0_4arch9wavefront6targetE1EEEvT1_.num_agpr, 0
	.set _ZN7rocprim17ROCPRIM_400000_NS6detail17trampoline_kernelINS0_14default_configENS1_25partition_config_selectorILNS1_17partition_subalgoE8ElNS0_10empty_typeEbEEZZNS1_14partition_implILS5_8ELb0ES3_jPlPS6_PKS6_NS0_5tupleIJS9_S6_EEENSD_IJSA_SA_EEENS0_18inequality_wrapperIZN2at6native12_GLOBAL__N_124unique_dim_cuda_templateIfEESt5tupleIJNSH_6TensorESM_SM_EERKSM_lbbbEUlllE0_EEPmJS6_EEE10hipError_tPvRmT3_T4_T5_T6_T7_T9_mT8_P12ihipStream_tbDpT10_ENKUlT_T0_E_clISt17integral_constantIbLb0EES1B_IbLb1EEEEDaS17_S18_EUlS17_E_NS1_11comp_targetILNS1_3genE2ELNS1_11target_archE906ELNS1_3gpuE6ELNS1_3repE0EEENS1_30default_config_static_selectorELNS0_4arch9wavefront6targetE1EEEvT1_.numbered_sgpr, 0
	.set _ZN7rocprim17ROCPRIM_400000_NS6detail17trampoline_kernelINS0_14default_configENS1_25partition_config_selectorILNS1_17partition_subalgoE8ElNS0_10empty_typeEbEEZZNS1_14partition_implILS5_8ELb0ES3_jPlPS6_PKS6_NS0_5tupleIJS9_S6_EEENSD_IJSA_SA_EEENS0_18inequality_wrapperIZN2at6native12_GLOBAL__N_124unique_dim_cuda_templateIfEESt5tupleIJNSH_6TensorESM_SM_EERKSM_lbbbEUlllE0_EEPmJS6_EEE10hipError_tPvRmT3_T4_T5_T6_T7_T9_mT8_P12ihipStream_tbDpT10_ENKUlT_T0_E_clISt17integral_constantIbLb0EES1B_IbLb1EEEEDaS17_S18_EUlS17_E_NS1_11comp_targetILNS1_3genE2ELNS1_11target_archE906ELNS1_3gpuE6ELNS1_3repE0EEENS1_30default_config_static_selectorELNS0_4arch9wavefront6targetE1EEEvT1_.num_named_barrier, 0
	.set _ZN7rocprim17ROCPRIM_400000_NS6detail17trampoline_kernelINS0_14default_configENS1_25partition_config_selectorILNS1_17partition_subalgoE8ElNS0_10empty_typeEbEEZZNS1_14partition_implILS5_8ELb0ES3_jPlPS6_PKS6_NS0_5tupleIJS9_S6_EEENSD_IJSA_SA_EEENS0_18inequality_wrapperIZN2at6native12_GLOBAL__N_124unique_dim_cuda_templateIfEESt5tupleIJNSH_6TensorESM_SM_EERKSM_lbbbEUlllE0_EEPmJS6_EEE10hipError_tPvRmT3_T4_T5_T6_T7_T9_mT8_P12ihipStream_tbDpT10_ENKUlT_T0_E_clISt17integral_constantIbLb0EES1B_IbLb1EEEEDaS17_S18_EUlS17_E_NS1_11comp_targetILNS1_3genE2ELNS1_11target_archE906ELNS1_3gpuE6ELNS1_3repE0EEENS1_30default_config_static_selectorELNS0_4arch9wavefront6targetE1EEEvT1_.private_seg_size, 0
	.set _ZN7rocprim17ROCPRIM_400000_NS6detail17trampoline_kernelINS0_14default_configENS1_25partition_config_selectorILNS1_17partition_subalgoE8ElNS0_10empty_typeEbEEZZNS1_14partition_implILS5_8ELb0ES3_jPlPS6_PKS6_NS0_5tupleIJS9_S6_EEENSD_IJSA_SA_EEENS0_18inequality_wrapperIZN2at6native12_GLOBAL__N_124unique_dim_cuda_templateIfEESt5tupleIJNSH_6TensorESM_SM_EERKSM_lbbbEUlllE0_EEPmJS6_EEE10hipError_tPvRmT3_T4_T5_T6_T7_T9_mT8_P12ihipStream_tbDpT10_ENKUlT_T0_E_clISt17integral_constantIbLb0EES1B_IbLb1EEEEDaS17_S18_EUlS17_E_NS1_11comp_targetILNS1_3genE2ELNS1_11target_archE906ELNS1_3gpuE6ELNS1_3repE0EEENS1_30default_config_static_selectorELNS0_4arch9wavefront6targetE1EEEvT1_.uses_vcc, 0
	.set _ZN7rocprim17ROCPRIM_400000_NS6detail17trampoline_kernelINS0_14default_configENS1_25partition_config_selectorILNS1_17partition_subalgoE8ElNS0_10empty_typeEbEEZZNS1_14partition_implILS5_8ELb0ES3_jPlPS6_PKS6_NS0_5tupleIJS9_S6_EEENSD_IJSA_SA_EEENS0_18inequality_wrapperIZN2at6native12_GLOBAL__N_124unique_dim_cuda_templateIfEESt5tupleIJNSH_6TensorESM_SM_EERKSM_lbbbEUlllE0_EEPmJS6_EEE10hipError_tPvRmT3_T4_T5_T6_T7_T9_mT8_P12ihipStream_tbDpT10_ENKUlT_T0_E_clISt17integral_constantIbLb0EES1B_IbLb1EEEEDaS17_S18_EUlS17_E_NS1_11comp_targetILNS1_3genE2ELNS1_11target_archE906ELNS1_3gpuE6ELNS1_3repE0EEENS1_30default_config_static_selectorELNS0_4arch9wavefront6targetE1EEEvT1_.uses_flat_scratch, 0
	.set _ZN7rocprim17ROCPRIM_400000_NS6detail17trampoline_kernelINS0_14default_configENS1_25partition_config_selectorILNS1_17partition_subalgoE8ElNS0_10empty_typeEbEEZZNS1_14partition_implILS5_8ELb0ES3_jPlPS6_PKS6_NS0_5tupleIJS9_S6_EEENSD_IJSA_SA_EEENS0_18inequality_wrapperIZN2at6native12_GLOBAL__N_124unique_dim_cuda_templateIfEESt5tupleIJNSH_6TensorESM_SM_EERKSM_lbbbEUlllE0_EEPmJS6_EEE10hipError_tPvRmT3_T4_T5_T6_T7_T9_mT8_P12ihipStream_tbDpT10_ENKUlT_T0_E_clISt17integral_constantIbLb0EES1B_IbLb1EEEEDaS17_S18_EUlS17_E_NS1_11comp_targetILNS1_3genE2ELNS1_11target_archE906ELNS1_3gpuE6ELNS1_3repE0EEENS1_30default_config_static_selectorELNS0_4arch9wavefront6targetE1EEEvT1_.has_dyn_sized_stack, 0
	.set _ZN7rocprim17ROCPRIM_400000_NS6detail17trampoline_kernelINS0_14default_configENS1_25partition_config_selectorILNS1_17partition_subalgoE8ElNS0_10empty_typeEbEEZZNS1_14partition_implILS5_8ELb0ES3_jPlPS6_PKS6_NS0_5tupleIJS9_S6_EEENSD_IJSA_SA_EEENS0_18inequality_wrapperIZN2at6native12_GLOBAL__N_124unique_dim_cuda_templateIfEESt5tupleIJNSH_6TensorESM_SM_EERKSM_lbbbEUlllE0_EEPmJS6_EEE10hipError_tPvRmT3_T4_T5_T6_T7_T9_mT8_P12ihipStream_tbDpT10_ENKUlT_T0_E_clISt17integral_constantIbLb0EES1B_IbLb1EEEEDaS17_S18_EUlS17_E_NS1_11comp_targetILNS1_3genE2ELNS1_11target_archE906ELNS1_3gpuE6ELNS1_3repE0EEENS1_30default_config_static_selectorELNS0_4arch9wavefront6targetE1EEEvT1_.has_recursion, 0
	.set _ZN7rocprim17ROCPRIM_400000_NS6detail17trampoline_kernelINS0_14default_configENS1_25partition_config_selectorILNS1_17partition_subalgoE8ElNS0_10empty_typeEbEEZZNS1_14partition_implILS5_8ELb0ES3_jPlPS6_PKS6_NS0_5tupleIJS9_S6_EEENSD_IJSA_SA_EEENS0_18inequality_wrapperIZN2at6native12_GLOBAL__N_124unique_dim_cuda_templateIfEESt5tupleIJNSH_6TensorESM_SM_EERKSM_lbbbEUlllE0_EEPmJS6_EEE10hipError_tPvRmT3_T4_T5_T6_T7_T9_mT8_P12ihipStream_tbDpT10_ENKUlT_T0_E_clISt17integral_constantIbLb0EES1B_IbLb1EEEEDaS17_S18_EUlS17_E_NS1_11comp_targetILNS1_3genE2ELNS1_11target_archE906ELNS1_3gpuE6ELNS1_3repE0EEENS1_30default_config_static_selectorELNS0_4arch9wavefront6targetE1EEEvT1_.has_indirect_call, 0
	.section	.AMDGPU.csdata,"",@progbits
; Kernel info:
; codeLenInByte = 0
; TotalNumSgprs: 6
; NumVgprs: 0
; NumAgprs: 0
; TotalNumVgprs: 0
; ScratchSize: 0
; MemoryBound: 0
; FloatMode: 240
; IeeeMode: 1
; LDSByteSize: 0 bytes/workgroup (compile time only)
; SGPRBlocks: 0
; VGPRBlocks: 0
; NumSGPRsForWavesPerEU: 6
; NumVGPRsForWavesPerEU: 1
; AccumOffset: 4
; Occupancy: 8
; WaveLimiterHint : 0
; COMPUTE_PGM_RSRC2:SCRATCH_EN: 0
; COMPUTE_PGM_RSRC2:USER_SGPR: 2
; COMPUTE_PGM_RSRC2:TRAP_HANDLER: 0
; COMPUTE_PGM_RSRC2:TGID_X_EN: 1
; COMPUTE_PGM_RSRC2:TGID_Y_EN: 0
; COMPUTE_PGM_RSRC2:TGID_Z_EN: 0
; COMPUTE_PGM_RSRC2:TIDIG_COMP_CNT: 0
; COMPUTE_PGM_RSRC3_GFX90A:ACCUM_OFFSET: 0
; COMPUTE_PGM_RSRC3_GFX90A:TG_SPLIT: 0
	.section	.text._ZN7rocprim17ROCPRIM_400000_NS6detail17trampoline_kernelINS0_14default_configENS1_25partition_config_selectorILNS1_17partition_subalgoE8ElNS0_10empty_typeEbEEZZNS1_14partition_implILS5_8ELb0ES3_jPlPS6_PKS6_NS0_5tupleIJS9_S6_EEENSD_IJSA_SA_EEENS0_18inequality_wrapperIZN2at6native12_GLOBAL__N_124unique_dim_cuda_templateIfEESt5tupleIJNSH_6TensorESM_SM_EERKSM_lbbbEUlllE0_EEPmJS6_EEE10hipError_tPvRmT3_T4_T5_T6_T7_T9_mT8_P12ihipStream_tbDpT10_ENKUlT_T0_E_clISt17integral_constantIbLb0EES1B_IbLb1EEEEDaS17_S18_EUlS17_E_NS1_11comp_targetILNS1_3genE10ELNS1_11target_archE1200ELNS1_3gpuE4ELNS1_3repE0EEENS1_30default_config_static_selectorELNS0_4arch9wavefront6targetE1EEEvT1_,"axG",@progbits,_ZN7rocprim17ROCPRIM_400000_NS6detail17trampoline_kernelINS0_14default_configENS1_25partition_config_selectorILNS1_17partition_subalgoE8ElNS0_10empty_typeEbEEZZNS1_14partition_implILS5_8ELb0ES3_jPlPS6_PKS6_NS0_5tupleIJS9_S6_EEENSD_IJSA_SA_EEENS0_18inequality_wrapperIZN2at6native12_GLOBAL__N_124unique_dim_cuda_templateIfEESt5tupleIJNSH_6TensorESM_SM_EERKSM_lbbbEUlllE0_EEPmJS6_EEE10hipError_tPvRmT3_T4_T5_T6_T7_T9_mT8_P12ihipStream_tbDpT10_ENKUlT_T0_E_clISt17integral_constantIbLb0EES1B_IbLb1EEEEDaS17_S18_EUlS17_E_NS1_11comp_targetILNS1_3genE10ELNS1_11target_archE1200ELNS1_3gpuE4ELNS1_3repE0EEENS1_30default_config_static_selectorELNS0_4arch9wavefront6targetE1EEEvT1_,comdat
	.globl	_ZN7rocprim17ROCPRIM_400000_NS6detail17trampoline_kernelINS0_14default_configENS1_25partition_config_selectorILNS1_17partition_subalgoE8ElNS0_10empty_typeEbEEZZNS1_14partition_implILS5_8ELb0ES3_jPlPS6_PKS6_NS0_5tupleIJS9_S6_EEENSD_IJSA_SA_EEENS0_18inequality_wrapperIZN2at6native12_GLOBAL__N_124unique_dim_cuda_templateIfEESt5tupleIJNSH_6TensorESM_SM_EERKSM_lbbbEUlllE0_EEPmJS6_EEE10hipError_tPvRmT3_T4_T5_T6_T7_T9_mT8_P12ihipStream_tbDpT10_ENKUlT_T0_E_clISt17integral_constantIbLb0EES1B_IbLb1EEEEDaS17_S18_EUlS17_E_NS1_11comp_targetILNS1_3genE10ELNS1_11target_archE1200ELNS1_3gpuE4ELNS1_3repE0EEENS1_30default_config_static_selectorELNS0_4arch9wavefront6targetE1EEEvT1_ ; -- Begin function _ZN7rocprim17ROCPRIM_400000_NS6detail17trampoline_kernelINS0_14default_configENS1_25partition_config_selectorILNS1_17partition_subalgoE8ElNS0_10empty_typeEbEEZZNS1_14partition_implILS5_8ELb0ES3_jPlPS6_PKS6_NS0_5tupleIJS9_S6_EEENSD_IJSA_SA_EEENS0_18inequality_wrapperIZN2at6native12_GLOBAL__N_124unique_dim_cuda_templateIfEESt5tupleIJNSH_6TensorESM_SM_EERKSM_lbbbEUlllE0_EEPmJS6_EEE10hipError_tPvRmT3_T4_T5_T6_T7_T9_mT8_P12ihipStream_tbDpT10_ENKUlT_T0_E_clISt17integral_constantIbLb0EES1B_IbLb1EEEEDaS17_S18_EUlS17_E_NS1_11comp_targetILNS1_3genE10ELNS1_11target_archE1200ELNS1_3gpuE4ELNS1_3repE0EEENS1_30default_config_static_selectorELNS0_4arch9wavefront6targetE1EEEvT1_
	.p2align	8
	.type	_ZN7rocprim17ROCPRIM_400000_NS6detail17trampoline_kernelINS0_14default_configENS1_25partition_config_selectorILNS1_17partition_subalgoE8ElNS0_10empty_typeEbEEZZNS1_14partition_implILS5_8ELb0ES3_jPlPS6_PKS6_NS0_5tupleIJS9_S6_EEENSD_IJSA_SA_EEENS0_18inequality_wrapperIZN2at6native12_GLOBAL__N_124unique_dim_cuda_templateIfEESt5tupleIJNSH_6TensorESM_SM_EERKSM_lbbbEUlllE0_EEPmJS6_EEE10hipError_tPvRmT3_T4_T5_T6_T7_T9_mT8_P12ihipStream_tbDpT10_ENKUlT_T0_E_clISt17integral_constantIbLb0EES1B_IbLb1EEEEDaS17_S18_EUlS17_E_NS1_11comp_targetILNS1_3genE10ELNS1_11target_archE1200ELNS1_3gpuE4ELNS1_3repE0EEENS1_30default_config_static_selectorELNS0_4arch9wavefront6targetE1EEEvT1_,@function
_ZN7rocprim17ROCPRIM_400000_NS6detail17trampoline_kernelINS0_14default_configENS1_25partition_config_selectorILNS1_17partition_subalgoE8ElNS0_10empty_typeEbEEZZNS1_14partition_implILS5_8ELb0ES3_jPlPS6_PKS6_NS0_5tupleIJS9_S6_EEENSD_IJSA_SA_EEENS0_18inequality_wrapperIZN2at6native12_GLOBAL__N_124unique_dim_cuda_templateIfEESt5tupleIJNSH_6TensorESM_SM_EERKSM_lbbbEUlllE0_EEPmJS6_EEE10hipError_tPvRmT3_T4_T5_T6_T7_T9_mT8_P12ihipStream_tbDpT10_ENKUlT_T0_E_clISt17integral_constantIbLb0EES1B_IbLb1EEEEDaS17_S18_EUlS17_E_NS1_11comp_targetILNS1_3genE10ELNS1_11target_archE1200ELNS1_3gpuE4ELNS1_3repE0EEENS1_30default_config_static_selectorELNS0_4arch9wavefront6targetE1EEEvT1_: ; @_ZN7rocprim17ROCPRIM_400000_NS6detail17trampoline_kernelINS0_14default_configENS1_25partition_config_selectorILNS1_17partition_subalgoE8ElNS0_10empty_typeEbEEZZNS1_14partition_implILS5_8ELb0ES3_jPlPS6_PKS6_NS0_5tupleIJS9_S6_EEENSD_IJSA_SA_EEENS0_18inequality_wrapperIZN2at6native12_GLOBAL__N_124unique_dim_cuda_templateIfEESt5tupleIJNSH_6TensorESM_SM_EERKSM_lbbbEUlllE0_EEPmJS6_EEE10hipError_tPvRmT3_T4_T5_T6_T7_T9_mT8_P12ihipStream_tbDpT10_ENKUlT_T0_E_clISt17integral_constantIbLb0EES1B_IbLb1EEEEDaS17_S18_EUlS17_E_NS1_11comp_targetILNS1_3genE10ELNS1_11target_archE1200ELNS1_3gpuE4ELNS1_3repE0EEENS1_30default_config_static_selectorELNS0_4arch9wavefront6targetE1EEEvT1_
; %bb.0:
	.section	.rodata,"a",@progbits
	.p2align	6, 0x0
	.amdhsa_kernel _ZN7rocprim17ROCPRIM_400000_NS6detail17trampoline_kernelINS0_14default_configENS1_25partition_config_selectorILNS1_17partition_subalgoE8ElNS0_10empty_typeEbEEZZNS1_14partition_implILS5_8ELb0ES3_jPlPS6_PKS6_NS0_5tupleIJS9_S6_EEENSD_IJSA_SA_EEENS0_18inequality_wrapperIZN2at6native12_GLOBAL__N_124unique_dim_cuda_templateIfEESt5tupleIJNSH_6TensorESM_SM_EERKSM_lbbbEUlllE0_EEPmJS6_EEE10hipError_tPvRmT3_T4_T5_T6_T7_T9_mT8_P12ihipStream_tbDpT10_ENKUlT_T0_E_clISt17integral_constantIbLb0EES1B_IbLb1EEEEDaS17_S18_EUlS17_E_NS1_11comp_targetILNS1_3genE10ELNS1_11target_archE1200ELNS1_3gpuE4ELNS1_3repE0EEENS1_30default_config_static_selectorELNS0_4arch9wavefront6targetE1EEEvT1_
		.amdhsa_group_segment_fixed_size 0
		.amdhsa_private_segment_fixed_size 0
		.amdhsa_kernarg_size 136
		.amdhsa_user_sgpr_count 2
		.amdhsa_user_sgpr_dispatch_ptr 0
		.amdhsa_user_sgpr_queue_ptr 0
		.amdhsa_user_sgpr_kernarg_segment_ptr 1
		.amdhsa_user_sgpr_dispatch_id 0
		.amdhsa_user_sgpr_kernarg_preload_length 0
		.amdhsa_user_sgpr_kernarg_preload_offset 0
		.amdhsa_user_sgpr_private_segment_size 0
		.amdhsa_uses_dynamic_stack 0
		.amdhsa_enable_private_segment 0
		.amdhsa_system_sgpr_workgroup_id_x 1
		.amdhsa_system_sgpr_workgroup_id_y 0
		.amdhsa_system_sgpr_workgroup_id_z 0
		.amdhsa_system_sgpr_workgroup_info 0
		.amdhsa_system_vgpr_workitem_id 0
		.amdhsa_next_free_vgpr 1
		.amdhsa_next_free_sgpr 0
		.amdhsa_accum_offset 4
		.amdhsa_reserve_vcc 0
		.amdhsa_float_round_mode_32 0
		.amdhsa_float_round_mode_16_64 0
		.amdhsa_float_denorm_mode_32 3
		.amdhsa_float_denorm_mode_16_64 3
		.amdhsa_dx10_clamp 1
		.amdhsa_ieee_mode 1
		.amdhsa_fp16_overflow 0
		.amdhsa_tg_split 0
		.amdhsa_exception_fp_ieee_invalid_op 0
		.amdhsa_exception_fp_denorm_src 0
		.amdhsa_exception_fp_ieee_div_zero 0
		.amdhsa_exception_fp_ieee_overflow 0
		.amdhsa_exception_fp_ieee_underflow 0
		.amdhsa_exception_fp_ieee_inexact 0
		.amdhsa_exception_int_div_zero 0
	.end_amdhsa_kernel
	.section	.text._ZN7rocprim17ROCPRIM_400000_NS6detail17trampoline_kernelINS0_14default_configENS1_25partition_config_selectorILNS1_17partition_subalgoE8ElNS0_10empty_typeEbEEZZNS1_14partition_implILS5_8ELb0ES3_jPlPS6_PKS6_NS0_5tupleIJS9_S6_EEENSD_IJSA_SA_EEENS0_18inequality_wrapperIZN2at6native12_GLOBAL__N_124unique_dim_cuda_templateIfEESt5tupleIJNSH_6TensorESM_SM_EERKSM_lbbbEUlllE0_EEPmJS6_EEE10hipError_tPvRmT3_T4_T5_T6_T7_T9_mT8_P12ihipStream_tbDpT10_ENKUlT_T0_E_clISt17integral_constantIbLb0EES1B_IbLb1EEEEDaS17_S18_EUlS17_E_NS1_11comp_targetILNS1_3genE10ELNS1_11target_archE1200ELNS1_3gpuE4ELNS1_3repE0EEENS1_30default_config_static_selectorELNS0_4arch9wavefront6targetE1EEEvT1_,"axG",@progbits,_ZN7rocprim17ROCPRIM_400000_NS6detail17trampoline_kernelINS0_14default_configENS1_25partition_config_selectorILNS1_17partition_subalgoE8ElNS0_10empty_typeEbEEZZNS1_14partition_implILS5_8ELb0ES3_jPlPS6_PKS6_NS0_5tupleIJS9_S6_EEENSD_IJSA_SA_EEENS0_18inequality_wrapperIZN2at6native12_GLOBAL__N_124unique_dim_cuda_templateIfEESt5tupleIJNSH_6TensorESM_SM_EERKSM_lbbbEUlllE0_EEPmJS6_EEE10hipError_tPvRmT3_T4_T5_T6_T7_T9_mT8_P12ihipStream_tbDpT10_ENKUlT_T0_E_clISt17integral_constantIbLb0EES1B_IbLb1EEEEDaS17_S18_EUlS17_E_NS1_11comp_targetILNS1_3genE10ELNS1_11target_archE1200ELNS1_3gpuE4ELNS1_3repE0EEENS1_30default_config_static_selectorELNS0_4arch9wavefront6targetE1EEEvT1_,comdat
.Lfunc_end958:
	.size	_ZN7rocprim17ROCPRIM_400000_NS6detail17trampoline_kernelINS0_14default_configENS1_25partition_config_selectorILNS1_17partition_subalgoE8ElNS0_10empty_typeEbEEZZNS1_14partition_implILS5_8ELb0ES3_jPlPS6_PKS6_NS0_5tupleIJS9_S6_EEENSD_IJSA_SA_EEENS0_18inequality_wrapperIZN2at6native12_GLOBAL__N_124unique_dim_cuda_templateIfEESt5tupleIJNSH_6TensorESM_SM_EERKSM_lbbbEUlllE0_EEPmJS6_EEE10hipError_tPvRmT3_T4_T5_T6_T7_T9_mT8_P12ihipStream_tbDpT10_ENKUlT_T0_E_clISt17integral_constantIbLb0EES1B_IbLb1EEEEDaS17_S18_EUlS17_E_NS1_11comp_targetILNS1_3genE10ELNS1_11target_archE1200ELNS1_3gpuE4ELNS1_3repE0EEENS1_30default_config_static_selectorELNS0_4arch9wavefront6targetE1EEEvT1_, .Lfunc_end958-_ZN7rocprim17ROCPRIM_400000_NS6detail17trampoline_kernelINS0_14default_configENS1_25partition_config_selectorILNS1_17partition_subalgoE8ElNS0_10empty_typeEbEEZZNS1_14partition_implILS5_8ELb0ES3_jPlPS6_PKS6_NS0_5tupleIJS9_S6_EEENSD_IJSA_SA_EEENS0_18inequality_wrapperIZN2at6native12_GLOBAL__N_124unique_dim_cuda_templateIfEESt5tupleIJNSH_6TensorESM_SM_EERKSM_lbbbEUlllE0_EEPmJS6_EEE10hipError_tPvRmT3_T4_T5_T6_T7_T9_mT8_P12ihipStream_tbDpT10_ENKUlT_T0_E_clISt17integral_constantIbLb0EES1B_IbLb1EEEEDaS17_S18_EUlS17_E_NS1_11comp_targetILNS1_3genE10ELNS1_11target_archE1200ELNS1_3gpuE4ELNS1_3repE0EEENS1_30default_config_static_selectorELNS0_4arch9wavefront6targetE1EEEvT1_
                                        ; -- End function
	.set _ZN7rocprim17ROCPRIM_400000_NS6detail17trampoline_kernelINS0_14default_configENS1_25partition_config_selectorILNS1_17partition_subalgoE8ElNS0_10empty_typeEbEEZZNS1_14partition_implILS5_8ELb0ES3_jPlPS6_PKS6_NS0_5tupleIJS9_S6_EEENSD_IJSA_SA_EEENS0_18inequality_wrapperIZN2at6native12_GLOBAL__N_124unique_dim_cuda_templateIfEESt5tupleIJNSH_6TensorESM_SM_EERKSM_lbbbEUlllE0_EEPmJS6_EEE10hipError_tPvRmT3_T4_T5_T6_T7_T9_mT8_P12ihipStream_tbDpT10_ENKUlT_T0_E_clISt17integral_constantIbLb0EES1B_IbLb1EEEEDaS17_S18_EUlS17_E_NS1_11comp_targetILNS1_3genE10ELNS1_11target_archE1200ELNS1_3gpuE4ELNS1_3repE0EEENS1_30default_config_static_selectorELNS0_4arch9wavefront6targetE1EEEvT1_.num_vgpr, 0
	.set _ZN7rocprim17ROCPRIM_400000_NS6detail17trampoline_kernelINS0_14default_configENS1_25partition_config_selectorILNS1_17partition_subalgoE8ElNS0_10empty_typeEbEEZZNS1_14partition_implILS5_8ELb0ES3_jPlPS6_PKS6_NS0_5tupleIJS9_S6_EEENSD_IJSA_SA_EEENS0_18inequality_wrapperIZN2at6native12_GLOBAL__N_124unique_dim_cuda_templateIfEESt5tupleIJNSH_6TensorESM_SM_EERKSM_lbbbEUlllE0_EEPmJS6_EEE10hipError_tPvRmT3_T4_T5_T6_T7_T9_mT8_P12ihipStream_tbDpT10_ENKUlT_T0_E_clISt17integral_constantIbLb0EES1B_IbLb1EEEEDaS17_S18_EUlS17_E_NS1_11comp_targetILNS1_3genE10ELNS1_11target_archE1200ELNS1_3gpuE4ELNS1_3repE0EEENS1_30default_config_static_selectorELNS0_4arch9wavefront6targetE1EEEvT1_.num_agpr, 0
	.set _ZN7rocprim17ROCPRIM_400000_NS6detail17trampoline_kernelINS0_14default_configENS1_25partition_config_selectorILNS1_17partition_subalgoE8ElNS0_10empty_typeEbEEZZNS1_14partition_implILS5_8ELb0ES3_jPlPS6_PKS6_NS0_5tupleIJS9_S6_EEENSD_IJSA_SA_EEENS0_18inequality_wrapperIZN2at6native12_GLOBAL__N_124unique_dim_cuda_templateIfEESt5tupleIJNSH_6TensorESM_SM_EERKSM_lbbbEUlllE0_EEPmJS6_EEE10hipError_tPvRmT3_T4_T5_T6_T7_T9_mT8_P12ihipStream_tbDpT10_ENKUlT_T0_E_clISt17integral_constantIbLb0EES1B_IbLb1EEEEDaS17_S18_EUlS17_E_NS1_11comp_targetILNS1_3genE10ELNS1_11target_archE1200ELNS1_3gpuE4ELNS1_3repE0EEENS1_30default_config_static_selectorELNS0_4arch9wavefront6targetE1EEEvT1_.numbered_sgpr, 0
	.set _ZN7rocprim17ROCPRIM_400000_NS6detail17trampoline_kernelINS0_14default_configENS1_25partition_config_selectorILNS1_17partition_subalgoE8ElNS0_10empty_typeEbEEZZNS1_14partition_implILS5_8ELb0ES3_jPlPS6_PKS6_NS0_5tupleIJS9_S6_EEENSD_IJSA_SA_EEENS0_18inequality_wrapperIZN2at6native12_GLOBAL__N_124unique_dim_cuda_templateIfEESt5tupleIJNSH_6TensorESM_SM_EERKSM_lbbbEUlllE0_EEPmJS6_EEE10hipError_tPvRmT3_T4_T5_T6_T7_T9_mT8_P12ihipStream_tbDpT10_ENKUlT_T0_E_clISt17integral_constantIbLb0EES1B_IbLb1EEEEDaS17_S18_EUlS17_E_NS1_11comp_targetILNS1_3genE10ELNS1_11target_archE1200ELNS1_3gpuE4ELNS1_3repE0EEENS1_30default_config_static_selectorELNS0_4arch9wavefront6targetE1EEEvT1_.num_named_barrier, 0
	.set _ZN7rocprim17ROCPRIM_400000_NS6detail17trampoline_kernelINS0_14default_configENS1_25partition_config_selectorILNS1_17partition_subalgoE8ElNS0_10empty_typeEbEEZZNS1_14partition_implILS5_8ELb0ES3_jPlPS6_PKS6_NS0_5tupleIJS9_S6_EEENSD_IJSA_SA_EEENS0_18inequality_wrapperIZN2at6native12_GLOBAL__N_124unique_dim_cuda_templateIfEESt5tupleIJNSH_6TensorESM_SM_EERKSM_lbbbEUlllE0_EEPmJS6_EEE10hipError_tPvRmT3_T4_T5_T6_T7_T9_mT8_P12ihipStream_tbDpT10_ENKUlT_T0_E_clISt17integral_constantIbLb0EES1B_IbLb1EEEEDaS17_S18_EUlS17_E_NS1_11comp_targetILNS1_3genE10ELNS1_11target_archE1200ELNS1_3gpuE4ELNS1_3repE0EEENS1_30default_config_static_selectorELNS0_4arch9wavefront6targetE1EEEvT1_.private_seg_size, 0
	.set _ZN7rocprim17ROCPRIM_400000_NS6detail17trampoline_kernelINS0_14default_configENS1_25partition_config_selectorILNS1_17partition_subalgoE8ElNS0_10empty_typeEbEEZZNS1_14partition_implILS5_8ELb0ES3_jPlPS6_PKS6_NS0_5tupleIJS9_S6_EEENSD_IJSA_SA_EEENS0_18inequality_wrapperIZN2at6native12_GLOBAL__N_124unique_dim_cuda_templateIfEESt5tupleIJNSH_6TensorESM_SM_EERKSM_lbbbEUlllE0_EEPmJS6_EEE10hipError_tPvRmT3_T4_T5_T6_T7_T9_mT8_P12ihipStream_tbDpT10_ENKUlT_T0_E_clISt17integral_constantIbLb0EES1B_IbLb1EEEEDaS17_S18_EUlS17_E_NS1_11comp_targetILNS1_3genE10ELNS1_11target_archE1200ELNS1_3gpuE4ELNS1_3repE0EEENS1_30default_config_static_selectorELNS0_4arch9wavefront6targetE1EEEvT1_.uses_vcc, 0
	.set _ZN7rocprim17ROCPRIM_400000_NS6detail17trampoline_kernelINS0_14default_configENS1_25partition_config_selectorILNS1_17partition_subalgoE8ElNS0_10empty_typeEbEEZZNS1_14partition_implILS5_8ELb0ES3_jPlPS6_PKS6_NS0_5tupleIJS9_S6_EEENSD_IJSA_SA_EEENS0_18inequality_wrapperIZN2at6native12_GLOBAL__N_124unique_dim_cuda_templateIfEESt5tupleIJNSH_6TensorESM_SM_EERKSM_lbbbEUlllE0_EEPmJS6_EEE10hipError_tPvRmT3_T4_T5_T6_T7_T9_mT8_P12ihipStream_tbDpT10_ENKUlT_T0_E_clISt17integral_constantIbLb0EES1B_IbLb1EEEEDaS17_S18_EUlS17_E_NS1_11comp_targetILNS1_3genE10ELNS1_11target_archE1200ELNS1_3gpuE4ELNS1_3repE0EEENS1_30default_config_static_selectorELNS0_4arch9wavefront6targetE1EEEvT1_.uses_flat_scratch, 0
	.set _ZN7rocprim17ROCPRIM_400000_NS6detail17trampoline_kernelINS0_14default_configENS1_25partition_config_selectorILNS1_17partition_subalgoE8ElNS0_10empty_typeEbEEZZNS1_14partition_implILS5_8ELb0ES3_jPlPS6_PKS6_NS0_5tupleIJS9_S6_EEENSD_IJSA_SA_EEENS0_18inequality_wrapperIZN2at6native12_GLOBAL__N_124unique_dim_cuda_templateIfEESt5tupleIJNSH_6TensorESM_SM_EERKSM_lbbbEUlllE0_EEPmJS6_EEE10hipError_tPvRmT3_T4_T5_T6_T7_T9_mT8_P12ihipStream_tbDpT10_ENKUlT_T0_E_clISt17integral_constantIbLb0EES1B_IbLb1EEEEDaS17_S18_EUlS17_E_NS1_11comp_targetILNS1_3genE10ELNS1_11target_archE1200ELNS1_3gpuE4ELNS1_3repE0EEENS1_30default_config_static_selectorELNS0_4arch9wavefront6targetE1EEEvT1_.has_dyn_sized_stack, 0
	.set _ZN7rocprim17ROCPRIM_400000_NS6detail17trampoline_kernelINS0_14default_configENS1_25partition_config_selectorILNS1_17partition_subalgoE8ElNS0_10empty_typeEbEEZZNS1_14partition_implILS5_8ELb0ES3_jPlPS6_PKS6_NS0_5tupleIJS9_S6_EEENSD_IJSA_SA_EEENS0_18inequality_wrapperIZN2at6native12_GLOBAL__N_124unique_dim_cuda_templateIfEESt5tupleIJNSH_6TensorESM_SM_EERKSM_lbbbEUlllE0_EEPmJS6_EEE10hipError_tPvRmT3_T4_T5_T6_T7_T9_mT8_P12ihipStream_tbDpT10_ENKUlT_T0_E_clISt17integral_constantIbLb0EES1B_IbLb1EEEEDaS17_S18_EUlS17_E_NS1_11comp_targetILNS1_3genE10ELNS1_11target_archE1200ELNS1_3gpuE4ELNS1_3repE0EEENS1_30default_config_static_selectorELNS0_4arch9wavefront6targetE1EEEvT1_.has_recursion, 0
	.set _ZN7rocprim17ROCPRIM_400000_NS6detail17trampoline_kernelINS0_14default_configENS1_25partition_config_selectorILNS1_17partition_subalgoE8ElNS0_10empty_typeEbEEZZNS1_14partition_implILS5_8ELb0ES3_jPlPS6_PKS6_NS0_5tupleIJS9_S6_EEENSD_IJSA_SA_EEENS0_18inequality_wrapperIZN2at6native12_GLOBAL__N_124unique_dim_cuda_templateIfEESt5tupleIJNSH_6TensorESM_SM_EERKSM_lbbbEUlllE0_EEPmJS6_EEE10hipError_tPvRmT3_T4_T5_T6_T7_T9_mT8_P12ihipStream_tbDpT10_ENKUlT_T0_E_clISt17integral_constantIbLb0EES1B_IbLb1EEEEDaS17_S18_EUlS17_E_NS1_11comp_targetILNS1_3genE10ELNS1_11target_archE1200ELNS1_3gpuE4ELNS1_3repE0EEENS1_30default_config_static_selectorELNS0_4arch9wavefront6targetE1EEEvT1_.has_indirect_call, 0
	.section	.AMDGPU.csdata,"",@progbits
; Kernel info:
; codeLenInByte = 0
; TotalNumSgprs: 6
; NumVgprs: 0
; NumAgprs: 0
; TotalNumVgprs: 0
; ScratchSize: 0
; MemoryBound: 0
; FloatMode: 240
; IeeeMode: 1
; LDSByteSize: 0 bytes/workgroup (compile time only)
; SGPRBlocks: 0
; VGPRBlocks: 0
; NumSGPRsForWavesPerEU: 6
; NumVGPRsForWavesPerEU: 1
; AccumOffset: 4
; Occupancy: 8
; WaveLimiterHint : 0
; COMPUTE_PGM_RSRC2:SCRATCH_EN: 0
; COMPUTE_PGM_RSRC2:USER_SGPR: 2
; COMPUTE_PGM_RSRC2:TRAP_HANDLER: 0
; COMPUTE_PGM_RSRC2:TGID_X_EN: 1
; COMPUTE_PGM_RSRC2:TGID_Y_EN: 0
; COMPUTE_PGM_RSRC2:TGID_Z_EN: 0
; COMPUTE_PGM_RSRC2:TIDIG_COMP_CNT: 0
; COMPUTE_PGM_RSRC3_GFX90A:ACCUM_OFFSET: 0
; COMPUTE_PGM_RSRC3_GFX90A:TG_SPLIT: 0
	.section	.text._ZN7rocprim17ROCPRIM_400000_NS6detail17trampoline_kernelINS0_14default_configENS1_25partition_config_selectorILNS1_17partition_subalgoE8ElNS0_10empty_typeEbEEZZNS1_14partition_implILS5_8ELb0ES3_jPlPS6_PKS6_NS0_5tupleIJS9_S6_EEENSD_IJSA_SA_EEENS0_18inequality_wrapperIZN2at6native12_GLOBAL__N_124unique_dim_cuda_templateIfEESt5tupleIJNSH_6TensorESM_SM_EERKSM_lbbbEUlllE0_EEPmJS6_EEE10hipError_tPvRmT3_T4_T5_T6_T7_T9_mT8_P12ihipStream_tbDpT10_ENKUlT_T0_E_clISt17integral_constantIbLb0EES1B_IbLb1EEEEDaS17_S18_EUlS17_E_NS1_11comp_targetILNS1_3genE9ELNS1_11target_archE1100ELNS1_3gpuE3ELNS1_3repE0EEENS1_30default_config_static_selectorELNS0_4arch9wavefront6targetE1EEEvT1_,"axG",@progbits,_ZN7rocprim17ROCPRIM_400000_NS6detail17trampoline_kernelINS0_14default_configENS1_25partition_config_selectorILNS1_17partition_subalgoE8ElNS0_10empty_typeEbEEZZNS1_14partition_implILS5_8ELb0ES3_jPlPS6_PKS6_NS0_5tupleIJS9_S6_EEENSD_IJSA_SA_EEENS0_18inequality_wrapperIZN2at6native12_GLOBAL__N_124unique_dim_cuda_templateIfEESt5tupleIJNSH_6TensorESM_SM_EERKSM_lbbbEUlllE0_EEPmJS6_EEE10hipError_tPvRmT3_T4_T5_T6_T7_T9_mT8_P12ihipStream_tbDpT10_ENKUlT_T0_E_clISt17integral_constantIbLb0EES1B_IbLb1EEEEDaS17_S18_EUlS17_E_NS1_11comp_targetILNS1_3genE9ELNS1_11target_archE1100ELNS1_3gpuE3ELNS1_3repE0EEENS1_30default_config_static_selectorELNS0_4arch9wavefront6targetE1EEEvT1_,comdat
	.globl	_ZN7rocprim17ROCPRIM_400000_NS6detail17trampoline_kernelINS0_14default_configENS1_25partition_config_selectorILNS1_17partition_subalgoE8ElNS0_10empty_typeEbEEZZNS1_14partition_implILS5_8ELb0ES3_jPlPS6_PKS6_NS0_5tupleIJS9_S6_EEENSD_IJSA_SA_EEENS0_18inequality_wrapperIZN2at6native12_GLOBAL__N_124unique_dim_cuda_templateIfEESt5tupleIJNSH_6TensorESM_SM_EERKSM_lbbbEUlllE0_EEPmJS6_EEE10hipError_tPvRmT3_T4_T5_T6_T7_T9_mT8_P12ihipStream_tbDpT10_ENKUlT_T0_E_clISt17integral_constantIbLb0EES1B_IbLb1EEEEDaS17_S18_EUlS17_E_NS1_11comp_targetILNS1_3genE9ELNS1_11target_archE1100ELNS1_3gpuE3ELNS1_3repE0EEENS1_30default_config_static_selectorELNS0_4arch9wavefront6targetE1EEEvT1_ ; -- Begin function _ZN7rocprim17ROCPRIM_400000_NS6detail17trampoline_kernelINS0_14default_configENS1_25partition_config_selectorILNS1_17partition_subalgoE8ElNS0_10empty_typeEbEEZZNS1_14partition_implILS5_8ELb0ES3_jPlPS6_PKS6_NS0_5tupleIJS9_S6_EEENSD_IJSA_SA_EEENS0_18inequality_wrapperIZN2at6native12_GLOBAL__N_124unique_dim_cuda_templateIfEESt5tupleIJNSH_6TensorESM_SM_EERKSM_lbbbEUlllE0_EEPmJS6_EEE10hipError_tPvRmT3_T4_T5_T6_T7_T9_mT8_P12ihipStream_tbDpT10_ENKUlT_T0_E_clISt17integral_constantIbLb0EES1B_IbLb1EEEEDaS17_S18_EUlS17_E_NS1_11comp_targetILNS1_3genE9ELNS1_11target_archE1100ELNS1_3gpuE3ELNS1_3repE0EEENS1_30default_config_static_selectorELNS0_4arch9wavefront6targetE1EEEvT1_
	.p2align	8
	.type	_ZN7rocprim17ROCPRIM_400000_NS6detail17trampoline_kernelINS0_14default_configENS1_25partition_config_selectorILNS1_17partition_subalgoE8ElNS0_10empty_typeEbEEZZNS1_14partition_implILS5_8ELb0ES3_jPlPS6_PKS6_NS0_5tupleIJS9_S6_EEENSD_IJSA_SA_EEENS0_18inequality_wrapperIZN2at6native12_GLOBAL__N_124unique_dim_cuda_templateIfEESt5tupleIJNSH_6TensorESM_SM_EERKSM_lbbbEUlllE0_EEPmJS6_EEE10hipError_tPvRmT3_T4_T5_T6_T7_T9_mT8_P12ihipStream_tbDpT10_ENKUlT_T0_E_clISt17integral_constantIbLb0EES1B_IbLb1EEEEDaS17_S18_EUlS17_E_NS1_11comp_targetILNS1_3genE9ELNS1_11target_archE1100ELNS1_3gpuE3ELNS1_3repE0EEENS1_30default_config_static_selectorELNS0_4arch9wavefront6targetE1EEEvT1_,@function
_ZN7rocprim17ROCPRIM_400000_NS6detail17trampoline_kernelINS0_14default_configENS1_25partition_config_selectorILNS1_17partition_subalgoE8ElNS0_10empty_typeEbEEZZNS1_14partition_implILS5_8ELb0ES3_jPlPS6_PKS6_NS0_5tupleIJS9_S6_EEENSD_IJSA_SA_EEENS0_18inequality_wrapperIZN2at6native12_GLOBAL__N_124unique_dim_cuda_templateIfEESt5tupleIJNSH_6TensorESM_SM_EERKSM_lbbbEUlllE0_EEPmJS6_EEE10hipError_tPvRmT3_T4_T5_T6_T7_T9_mT8_P12ihipStream_tbDpT10_ENKUlT_T0_E_clISt17integral_constantIbLb0EES1B_IbLb1EEEEDaS17_S18_EUlS17_E_NS1_11comp_targetILNS1_3genE9ELNS1_11target_archE1100ELNS1_3gpuE3ELNS1_3repE0EEENS1_30default_config_static_selectorELNS0_4arch9wavefront6targetE1EEEvT1_: ; @_ZN7rocprim17ROCPRIM_400000_NS6detail17trampoline_kernelINS0_14default_configENS1_25partition_config_selectorILNS1_17partition_subalgoE8ElNS0_10empty_typeEbEEZZNS1_14partition_implILS5_8ELb0ES3_jPlPS6_PKS6_NS0_5tupleIJS9_S6_EEENSD_IJSA_SA_EEENS0_18inequality_wrapperIZN2at6native12_GLOBAL__N_124unique_dim_cuda_templateIfEESt5tupleIJNSH_6TensorESM_SM_EERKSM_lbbbEUlllE0_EEPmJS6_EEE10hipError_tPvRmT3_T4_T5_T6_T7_T9_mT8_P12ihipStream_tbDpT10_ENKUlT_T0_E_clISt17integral_constantIbLb0EES1B_IbLb1EEEEDaS17_S18_EUlS17_E_NS1_11comp_targetILNS1_3genE9ELNS1_11target_archE1100ELNS1_3gpuE3ELNS1_3repE0EEENS1_30default_config_static_selectorELNS0_4arch9wavefront6targetE1EEEvT1_
; %bb.0:
	.section	.rodata,"a",@progbits
	.p2align	6, 0x0
	.amdhsa_kernel _ZN7rocprim17ROCPRIM_400000_NS6detail17trampoline_kernelINS0_14default_configENS1_25partition_config_selectorILNS1_17partition_subalgoE8ElNS0_10empty_typeEbEEZZNS1_14partition_implILS5_8ELb0ES3_jPlPS6_PKS6_NS0_5tupleIJS9_S6_EEENSD_IJSA_SA_EEENS0_18inequality_wrapperIZN2at6native12_GLOBAL__N_124unique_dim_cuda_templateIfEESt5tupleIJNSH_6TensorESM_SM_EERKSM_lbbbEUlllE0_EEPmJS6_EEE10hipError_tPvRmT3_T4_T5_T6_T7_T9_mT8_P12ihipStream_tbDpT10_ENKUlT_T0_E_clISt17integral_constantIbLb0EES1B_IbLb1EEEEDaS17_S18_EUlS17_E_NS1_11comp_targetILNS1_3genE9ELNS1_11target_archE1100ELNS1_3gpuE3ELNS1_3repE0EEENS1_30default_config_static_selectorELNS0_4arch9wavefront6targetE1EEEvT1_
		.amdhsa_group_segment_fixed_size 0
		.amdhsa_private_segment_fixed_size 0
		.amdhsa_kernarg_size 136
		.amdhsa_user_sgpr_count 2
		.amdhsa_user_sgpr_dispatch_ptr 0
		.amdhsa_user_sgpr_queue_ptr 0
		.amdhsa_user_sgpr_kernarg_segment_ptr 1
		.amdhsa_user_sgpr_dispatch_id 0
		.amdhsa_user_sgpr_kernarg_preload_length 0
		.amdhsa_user_sgpr_kernarg_preload_offset 0
		.amdhsa_user_sgpr_private_segment_size 0
		.amdhsa_uses_dynamic_stack 0
		.amdhsa_enable_private_segment 0
		.amdhsa_system_sgpr_workgroup_id_x 1
		.amdhsa_system_sgpr_workgroup_id_y 0
		.amdhsa_system_sgpr_workgroup_id_z 0
		.amdhsa_system_sgpr_workgroup_info 0
		.amdhsa_system_vgpr_workitem_id 0
		.amdhsa_next_free_vgpr 1
		.amdhsa_next_free_sgpr 0
		.amdhsa_accum_offset 4
		.amdhsa_reserve_vcc 0
		.amdhsa_float_round_mode_32 0
		.amdhsa_float_round_mode_16_64 0
		.amdhsa_float_denorm_mode_32 3
		.amdhsa_float_denorm_mode_16_64 3
		.amdhsa_dx10_clamp 1
		.amdhsa_ieee_mode 1
		.amdhsa_fp16_overflow 0
		.amdhsa_tg_split 0
		.amdhsa_exception_fp_ieee_invalid_op 0
		.amdhsa_exception_fp_denorm_src 0
		.amdhsa_exception_fp_ieee_div_zero 0
		.amdhsa_exception_fp_ieee_overflow 0
		.amdhsa_exception_fp_ieee_underflow 0
		.amdhsa_exception_fp_ieee_inexact 0
		.amdhsa_exception_int_div_zero 0
	.end_amdhsa_kernel
	.section	.text._ZN7rocprim17ROCPRIM_400000_NS6detail17trampoline_kernelINS0_14default_configENS1_25partition_config_selectorILNS1_17partition_subalgoE8ElNS0_10empty_typeEbEEZZNS1_14partition_implILS5_8ELb0ES3_jPlPS6_PKS6_NS0_5tupleIJS9_S6_EEENSD_IJSA_SA_EEENS0_18inequality_wrapperIZN2at6native12_GLOBAL__N_124unique_dim_cuda_templateIfEESt5tupleIJNSH_6TensorESM_SM_EERKSM_lbbbEUlllE0_EEPmJS6_EEE10hipError_tPvRmT3_T4_T5_T6_T7_T9_mT8_P12ihipStream_tbDpT10_ENKUlT_T0_E_clISt17integral_constantIbLb0EES1B_IbLb1EEEEDaS17_S18_EUlS17_E_NS1_11comp_targetILNS1_3genE9ELNS1_11target_archE1100ELNS1_3gpuE3ELNS1_3repE0EEENS1_30default_config_static_selectorELNS0_4arch9wavefront6targetE1EEEvT1_,"axG",@progbits,_ZN7rocprim17ROCPRIM_400000_NS6detail17trampoline_kernelINS0_14default_configENS1_25partition_config_selectorILNS1_17partition_subalgoE8ElNS0_10empty_typeEbEEZZNS1_14partition_implILS5_8ELb0ES3_jPlPS6_PKS6_NS0_5tupleIJS9_S6_EEENSD_IJSA_SA_EEENS0_18inequality_wrapperIZN2at6native12_GLOBAL__N_124unique_dim_cuda_templateIfEESt5tupleIJNSH_6TensorESM_SM_EERKSM_lbbbEUlllE0_EEPmJS6_EEE10hipError_tPvRmT3_T4_T5_T6_T7_T9_mT8_P12ihipStream_tbDpT10_ENKUlT_T0_E_clISt17integral_constantIbLb0EES1B_IbLb1EEEEDaS17_S18_EUlS17_E_NS1_11comp_targetILNS1_3genE9ELNS1_11target_archE1100ELNS1_3gpuE3ELNS1_3repE0EEENS1_30default_config_static_selectorELNS0_4arch9wavefront6targetE1EEEvT1_,comdat
.Lfunc_end959:
	.size	_ZN7rocprim17ROCPRIM_400000_NS6detail17trampoline_kernelINS0_14default_configENS1_25partition_config_selectorILNS1_17partition_subalgoE8ElNS0_10empty_typeEbEEZZNS1_14partition_implILS5_8ELb0ES3_jPlPS6_PKS6_NS0_5tupleIJS9_S6_EEENSD_IJSA_SA_EEENS0_18inequality_wrapperIZN2at6native12_GLOBAL__N_124unique_dim_cuda_templateIfEESt5tupleIJNSH_6TensorESM_SM_EERKSM_lbbbEUlllE0_EEPmJS6_EEE10hipError_tPvRmT3_T4_T5_T6_T7_T9_mT8_P12ihipStream_tbDpT10_ENKUlT_T0_E_clISt17integral_constantIbLb0EES1B_IbLb1EEEEDaS17_S18_EUlS17_E_NS1_11comp_targetILNS1_3genE9ELNS1_11target_archE1100ELNS1_3gpuE3ELNS1_3repE0EEENS1_30default_config_static_selectorELNS0_4arch9wavefront6targetE1EEEvT1_, .Lfunc_end959-_ZN7rocprim17ROCPRIM_400000_NS6detail17trampoline_kernelINS0_14default_configENS1_25partition_config_selectorILNS1_17partition_subalgoE8ElNS0_10empty_typeEbEEZZNS1_14partition_implILS5_8ELb0ES3_jPlPS6_PKS6_NS0_5tupleIJS9_S6_EEENSD_IJSA_SA_EEENS0_18inequality_wrapperIZN2at6native12_GLOBAL__N_124unique_dim_cuda_templateIfEESt5tupleIJNSH_6TensorESM_SM_EERKSM_lbbbEUlllE0_EEPmJS6_EEE10hipError_tPvRmT3_T4_T5_T6_T7_T9_mT8_P12ihipStream_tbDpT10_ENKUlT_T0_E_clISt17integral_constantIbLb0EES1B_IbLb1EEEEDaS17_S18_EUlS17_E_NS1_11comp_targetILNS1_3genE9ELNS1_11target_archE1100ELNS1_3gpuE3ELNS1_3repE0EEENS1_30default_config_static_selectorELNS0_4arch9wavefront6targetE1EEEvT1_
                                        ; -- End function
	.set _ZN7rocprim17ROCPRIM_400000_NS6detail17trampoline_kernelINS0_14default_configENS1_25partition_config_selectorILNS1_17partition_subalgoE8ElNS0_10empty_typeEbEEZZNS1_14partition_implILS5_8ELb0ES3_jPlPS6_PKS6_NS0_5tupleIJS9_S6_EEENSD_IJSA_SA_EEENS0_18inequality_wrapperIZN2at6native12_GLOBAL__N_124unique_dim_cuda_templateIfEESt5tupleIJNSH_6TensorESM_SM_EERKSM_lbbbEUlllE0_EEPmJS6_EEE10hipError_tPvRmT3_T4_T5_T6_T7_T9_mT8_P12ihipStream_tbDpT10_ENKUlT_T0_E_clISt17integral_constantIbLb0EES1B_IbLb1EEEEDaS17_S18_EUlS17_E_NS1_11comp_targetILNS1_3genE9ELNS1_11target_archE1100ELNS1_3gpuE3ELNS1_3repE0EEENS1_30default_config_static_selectorELNS0_4arch9wavefront6targetE1EEEvT1_.num_vgpr, 0
	.set _ZN7rocprim17ROCPRIM_400000_NS6detail17trampoline_kernelINS0_14default_configENS1_25partition_config_selectorILNS1_17partition_subalgoE8ElNS0_10empty_typeEbEEZZNS1_14partition_implILS5_8ELb0ES3_jPlPS6_PKS6_NS0_5tupleIJS9_S6_EEENSD_IJSA_SA_EEENS0_18inequality_wrapperIZN2at6native12_GLOBAL__N_124unique_dim_cuda_templateIfEESt5tupleIJNSH_6TensorESM_SM_EERKSM_lbbbEUlllE0_EEPmJS6_EEE10hipError_tPvRmT3_T4_T5_T6_T7_T9_mT8_P12ihipStream_tbDpT10_ENKUlT_T0_E_clISt17integral_constantIbLb0EES1B_IbLb1EEEEDaS17_S18_EUlS17_E_NS1_11comp_targetILNS1_3genE9ELNS1_11target_archE1100ELNS1_3gpuE3ELNS1_3repE0EEENS1_30default_config_static_selectorELNS0_4arch9wavefront6targetE1EEEvT1_.num_agpr, 0
	.set _ZN7rocprim17ROCPRIM_400000_NS6detail17trampoline_kernelINS0_14default_configENS1_25partition_config_selectorILNS1_17partition_subalgoE8ElNS0_10empty_typeEbEEZZNS1_14partition_implILS5_8ELb0ES3_jPlPS6_PKS6_NS0_5tupleIJS9_S6_EEENSD_IJSA_SA_EEENS0_18inequality_wrapperIZN2at6native12_GLOBAL__N_124unique_dim_cuda_templateIfEESt5tupleIJNSH_6TensorESM_SM_EERKSM_lbbbEUlllE0_EEPmJS6_EEE10hipError_tPvRmT3_T4_T5_T6_T7_T9_mT8_P12ihipStream_tbDpT10_ENKUlT_T0_E_clISt17integral_constantIbLb0EES1B_IbLb1EEEEDaS17_S18_EUlS17_E_NS1_11comp_targetILNS1_3genE9ELNS1_11target_archE1100ELNS1_3gpuE3ELNS1_3repE0EEENS1_30default_config_static_selectorELNS0_4arch9wavefront6targetE1EEEvT1_.numbered_sgpr, 0
	.set _ZN7rocprim17ROCPRIM_400000_NS6detail17trampoline_kernelINS0_14default_configENS1_25partition_config_selectorILNS1_17partition_subalgoE8ElNS0_10empty_typeEbEEZZNS1_14partition_implILS5_8ELb0ES3_jPlPS6_PKS6_NS0_5tupleIJS9_S6_EEENSD_IJSA_SA_EEENS0_18inequality_wrapperIZN2at6native12_GLOBAL__N_124unique_dim_cuda_templateIfEESt5tupleIJNSH_6TensorESM_SM_EERKSM_lbbbEUlllE0_EEPmJS6_EEE10hipError_tPvRmT3_T4_T5_T6_T7_T9_mT8_P12ihipStream_tbDpT10_ENKUlT_T0_E_clISt17integral_constantIbLb0EES1B_IbLb1EEEEDaS17_S18_EUlS17_E_NS1_11comp_targetILNS1_3genE9ELNS1_11target_archE1100ELNS1_3gpuE3ELNS1_3repE0EEENS1_30default_config_static_selectorELNS0_4arch9wavefront6targetE1EEEvT1_.num_named_barrier, 0
	.set _ZN7rocprim17ROCPRIM_400000_NS6detail17trampoline_kernelINS0_14default_configENS1_25partition_config_selectorILNS1_17partition_subalgoE8ElNS0_10empty_typeEbEEZZNS1_14partition_implILS5_8ELb0ES3_jPlPS6_PKS6_NS0_5tupleIJS9_S6_EEENSD_IJSA_SA_EEENS0_18inequality_wrapperIZN2at6native12_GLOBAL__N_124unique_dim_cuda_templateIfEESt5tupleIJNSH_6TensorESM_SM_EERKSM_lbbbEUlllE0_EEPmJS6_EEE10hipError_tPvRmT3_T4_T5_T6_T7_T9_mT8_P12ihipStream_tbDpT10_ENKUlT_T0_E_clISt17integral_constantIbLb0EES1B_IbLb1EEEEDaS17_S18_EUlS17_E_NS1_11comp_targetILNS1_3genE9ELNS1_11target_archE1100ELNS1_3gpuE3ELNS1_3repE0EEENS1_30default_config_static_selectorELNS0_4arch9wavefront6targetE1EEEvT1_.private_seg_size, 0
	.set _ZN7rocprim17ROCPRIM_400000_NS6detail17trampoline_kernelINS0_14default_configENS1_25partition_config_selectorILNS1_17partition_subalgoE8ElNS0_10empty_typeEbEEZZNS1_14partition_implILS5_8ELb0ES3_jPlPS6_PKS6_NS0_5tupleIJS9_S6_EEENSD_IJSA_SA_EEENS0_18inequality_wrapperIZN2at6native12_GLOBAL__N_124unique_dim_cuda_templateIfEESt5tupleIJNSH_6TensorESM_SM_EERKSM_lbbbEUlllE0_EEPmJS6_EEE10hipError_tPvRmT3_T4_T5_T6_T7_T9_mT8_P12ihipStream_tbDpT10_ENKUlT_T0_E_clISt17integral_constantIbLb0EES1B_IbLb1EEEEDaS17_S18_EUlS17_E_NS1_11comp_targetILNS1_3genE9ELNS1_11target_archE1100ELNS1_3gpuE3ELNS1_3repE0EEENS1_30default_config_static_selectorELNS0_4arch9wavefront6targetE1EEEvT1_.uses_vcc, 0
	.set _ZN7rocprim17ROCPRIM_400000_NS6detail17trampoline_kernelINS0_14default_configENS1_25partition_config_selectorILNS1_17partition_subalgoE8ElNS0_10empty_typeEbEEZZNS1_14partition_implILS5_8ELb0ES3_jPlPS6_PKS6_NS0_5tupleIJS9_S6_EEENSD_IJSA_SA_EEENS0_18inequality_wrapperIZN2at6native12_GLOBAL__N_124unique_dim_cuda_templateIfEESt5tupleIJNSH_6TensorESM_SM_EERKSM_lbbbEUlllE0_EEPmJS6_EEE10hipError_tPvRmT3_T4_T5_T6_T7_T9_mT8_P12ihipStream_tbDpT10_ENKUlT_T0_E_clISt17integral_constantIbLb0EES1B_IbLb1EEEEDaS17_S18_EUlS17_E_NS1_11comp_targetILNS1_3genE9ELNS1_11target_archE1100ELNS1_3gpuE3ELNS1_3repE0EEENS1_30default_config_static_selectorELNS0_4arch9wavefront6targetE1EEEvT1_.uses_flat_scratch, 0
	.set _ZN7rocprim17ROCPRIM_400000_NS6detail17trampoline_kernelINS0_14default_configENS1_25partition_config_selectorILNS1_17partition_subalgoE8ElNS0_10empty_typeEbEEZZNS1_14partition_implILS5_8ELb0ES3_jPlPS6_PKS6_NS0_5tupleIJS9_S6_EEENSD_IJSA_SA_EEENS0_18inequality_wrapperIZN2at6native12_GLOBAL__N_124unique_dim_cuda_templateIfEESt5tupleIJNSH_6TensorESM_SM_EERKSM_lbbbEUlllE0_EEPmJS6_EEE10hipError_tPvRmT3_T4_T5_T6_T7_T9_mT8_P12ihipStream_tbDpT10_ENKUlT_T0_E_clISt17integral_constantIbLb0EES1B_IbLb1EEEEDaS17_S18_EUlS17_E_NS1_11comp_targetILNS1_3genE9ELNS1_11target_archE1100ELNS1_3gpuE3ELNS1_3repE0EEENS1_30default_config_static_selectorELNS0_4arch9wavefront6targetE1EEEvT1_.has_dyn_sized_stack, 0
	.set _ZN7rocprim17ROCPRIM_400000_NS6detail17trampoline_kernelINS0_14default_configENS1_25partition_config_selectorILNS1_17partition_subalgoE8ElNS0_10empty_typeEbEEZZNS1_14partition_implILS5_8ELb0ES3_jPlPS6_PKS6_NS0_5tupleIJS9_S6_EEENSD_IJSA_SA_EEENS0_18inequality_wrapperIZN2at6native12_GLOBAL__N_124unique_dim_cuda_templateIfEESt5tupleIJNSH_6TensorESM_SM_EERKSM_lbbbEUlllE0_EEPmJS6_EEE10hipError_tPvRmT3_T4_T5_T6_T7_T9_mT8_P12ihipStream_tbDpT10_ENKUlT_T0_E_clISt17integral_constantIbLb0EES1B_IbLb1EEEEDaS17_S18_EUlS17_E_NS1_11comp_targetILNS1_3genE9ELNS1_11target_archE1100ELNS1_3gpuE3ELNS1_3repE0EEENS1_30default_config_static_selectorELNS0_4arch9wavefront6targetE1EEEvT1_.has_recursion, 0
	.set _ZN7rocprim17ROCPRIM_400000_NS6detail17trampoline_kernelINS0_14default_configENS1_25partition_config_selectorILNS1_17partition_subalgoE8ElNS0_10empty_typeEbEEZZNS1_14partition_implILS5_8ELb0ES3_jPlPS6_PKS6_NS0_5tupleIJS9_S6_EEENSD_IJSA_SA_EEENS0_18inequality_wrapperIZN2at6native12_GLOBAL__N_124unique_dim_cuda_templateIfEESt5tupleIJNSH_6TensorESM_SM_EERKSM_lbbbEUlllE0_EEPmJS6_EEE10hipError_tPvRmT3_T4_T5_T6_T7_T9_mT8_P12ihipStream_tbDpT10_ENKUlT_T0_E_clISt17integral_constantIbLb0EES1B_IbLb1EEEEDaS17_S18_EUlS17_E_NS1_11comp_targetILNS1_3genE9ELNS1_11target_archE1100ELNS1_3gpuE3ELNS1_3repE0EEENS1_30default_config_static_selectorELNS0_4arch9wavefront6targetE1EEEvT1_.has_indirect_call, 0
	.section	.AMDGPU.csdata,"",@progbits
; Kernel info:
; codeLenInByte = 0
; TotalNumSgprs: 6
; NumVgprs: 0
; NumAgprs: 0
; TotalNumVgprs: 0
; ScratchSize: 0
; MemoryBound: 0
; FloatMode: 240
; IeeeMode: 1
; LDSByteSize: 0 bytes/workgroup (compile time only)
; SGPRBlocks: 0
; VGPRBlocks: 0
; NumSGPRsForWavesPerEU: 6
; NumVGPRsForWavesPerEU: 1
; AccumOffset: 4
; Occupancy: 8
; WaveLimiterHint : 0
; COMPUTE_PGM_RSRC2:SCRATCH_EN: 0
; COMPUTE_PGM_RSRC2:USER_SGPR: 2
; COMPUTE_PGM_RSRC2:TRAP_HANDLER: 0
; COMPUTE_PGM_RSRC2:TGID_X_EN: 1
; COMPUTE_PGM_RSRC2:TGID_Y_EN: 0
; COMPUTE_PGM_RSRC2:TGID_Z_EN: 0
; COMPUTE_PGM_RSRC2:TIDIG_COMP_CNT: 0
; COMPUTE_PGM_RSRC3_GFX90A:ACCUM_OFFSET: 0
; COMPUTE_PGM_RSRC3_GFX90A:TG_SPLIT: 0
	.section	.text._ZN7rocprim17ROCPRIM_400000_NS6detail17trampoline_kernelINS0_14default_configENS1_25partition_config_selectorILNS1_17partition_subalgoE8ElNS0_10empty_typeEbEEZZNS1_14partition_implILS5_8ELb0ES3_jPlPS6_PKS6_NS0_5tupleIJS9_S6_EEENSD_IJSA_SA_EEENS0_18inequality_wrapperIZN2at6native12_GLOBAL__N_124unique_dim_cuda_templateIfEESt5tupleIJNSH_6TensorESM_SM_EERKSM_lbbbEUlllE0_EEPmJS6_EEE10hipError_tPvRmT3_T4_T5_T6_T7_T9_mT8_P12ihipStream_tbDpT10_ENKUlT_T0_E_clISt17integral_constantIbLb0EES1B_IbLb1EEEEDaS17_S18_EUlS17_E_NS1_11comp_targetILNS1_3genE8ELNS1_11target_archE1030ELNS1_3gpuE2ELNS1_3repE0EEENS1_30default_config_static_selectorELNS0_4arch9wavefront6targetE1EEEvT1_,"axG",@progbits,_ZN7rocprim17ROCPRIM_400000_NS6detail17trampoline_kernelINS0_14default_configENS1_25partition_config_selectorILNS1_17partition_subalgoE8ElNS0_10empty_typeEbEEZZNS1_14partition_implILS5_8ELb0ES3_jPlPS6_PKS6_NS0_5tupleIJS9_S6_EEENSD_IJSA_SA_EEENS0_18inequality_wrapperIZN2at6native12_GLOBAL__N_124unique_dim_cuda_templateIfEESt5tupleIJNSH_6TensorESM_SM_EERKSM_lbbbEUlllE0_EEPmJS6_EEE10hipError_tPvRmT3_T4_T5_T6_T7_T9_mT8_P12ihipStream_tbDpT10_ENKUlT_T0_E_clISt17integral_constantIbLb0EES1B_IbLb1EEEEDaS17_S18_EUlS17_E_NS1_11comp_targetILNS1_3genE8ELNS1_11target_archE1030ELNS1_3gpuE2ELNS1_3repE0EEENS1_30default_config_static_selectorELNS0_4arch9wavefront6targetE1EEEvT1_,comdat
	.globl	_ZN7rocprim17ROCPRIM_400000_NS6detail17trampoline_kernelINS0_14default_configENS1_25partition_config_selectorILNS1_17partition_subalgoE8ElNS0_10empty_typeEbEEZZNS1_14partition_implILS5_8ELb0ES3_jPlPS6_PKS6_NS0_5tupleIJS9_S6_EEENSD_IJSA_SA_EEENS0_18inequality_wrapperIZN2at6native12_GLOBAL__N_124unique_dim_cuda_templateIfEESt5tupleIJNSH_6TensorESM_SM_EERKSM_lbbbEUlllE0_EEPmJS6_EEE10hipError_tPvRmT3_T4_T5_T6_T7_T9_mT8_P12ihipStream_tbDpT10_ENKUlT_T0_E_clISt17integral_constantIbLb0EES1B_IbLb1EEEEDaS17_S18_EUlS17_E_NS1_11comp_targetILNS1_3genE8ELNS1_11target_archE1030ELNS1_3gpuE2ELNS1_3repE0EEENS1_30default_config_static_selectorELNS0_4arch9wavefront6targetE1EEEvT1_ ; -- Begin function _ZN7rocprim17ROCPRIM_400000_NS6detail17trampoline_kernelINS0_14default_configENS1_25partition_config_selectorILNS1_17partition_subalgoE8ElNS0_10empty_typeEbEEZZNS1_14partition_implILS5_8ELb0ES3_jPlPS6_PKS6_NS0_5tupleIJS9_S6_EEENSD_IJSA_SA_EEENS0_18inequality_wrapperIZN2at6native12_GLOBAL__N_124unique_dim_cuda_templateIfEESt5tupleIJNSH_6TensorESM_SM_EERKSM_lbbbEUlllE0_EEPmJS6_EEE10hipError_tPvRmT3_T4_T5_T6_T7_T9_mT8_P12ihipStream_tbDpT10_ENKUlT_T0_E_clISt17integral_constantIbLb0EES1B_IbLb1EEEEDaS17_S18_EUlS17_E_NS1_11comp_targetILNS1_3genE8ELNS1_11target_archE1030ELNS1_3gpuE2ELNS1_3repE0EEENS1_30default_config_static_selectorELNS0_4arch9wavefront6targetE1EEEvT1_
	.p2align	8
	.type	_ZN7rocprim17ROCPRIM_400000_NS6detail17trampoline_kernelINS0_14default_configENS1_25partition_config_selectorILNS1_17partition_subalgoE8ElNS0_10empty_typeEbEEZZNS1_14partition_implILS5_8ELb0ES3_jPlPS6_PKS6_NS0_5tupleIJS9_S6_EEENSD_IJSA_SA_EEENS0_18inequality_wrapperIZN2at6native12_GLOBAL__N_124unique_dim_cuda_templateIfEESt5tupleIJNSH_6TensorESM_SM_EERKSM_lbbbEUlllE0_EEPmJS6_EEE10hipError_tPvRmT3_T4_T5_T6_T7_T9_mT8_P12ihipStream_tbDpT10_ENKUlT_T0_E_clISt17integral_constantIbLb0EES1B_IbLb1EEEEDaS17_S18_EUlS17_E_NS1_11comp_targetILNS1_3genE8ELNS1_11target_archE1030ELNS1_3gpuE2ELNS1_3repE0EEENS1_30default_config_static_selectorELNS0_4arch9wavefront6targetE1EEEvT1_,@function
_ZN7rocprim17ROCPRIM_400000_NS6detail17trampoline_kernelINS0_14default_configENS1_25partition_config_selectorILNS1_17partition_subalgoE8ElNS0_10empty_typeEbEEZZNS1_14partition_implILS5_8ELb0ES3_jPlPS6_PKS6_NS0_5tupleIJS9_S6_EEENSD_IJSA_SA_EEENS0_18inequality_wrapperIZN2at6native12_GLOBAL__N_124unique_dim_cuda_templateIfEESt5tupleIJNSH_6TensorESM_SM_EERKSM_lbbbEUlllE0_EEPmJS6_EEE10hipError_tPvRmT3_T4_T5_T6_T7_T9_mT8_P12ihipStream_tbDpT10_ENKUlT_T0_E_clISt17integral_constantIbLb0EES1B_IbLb1EEEEDaS17_S18_EUlS17_E_NS1_11comp_targetILNS1_3genE8ELNS1_11target_archE1030ELNS1_3gpuE2ELNS1_3repE0EEENS1_30default_config_static_selectorELNS0_4arch9wavefront6targetE1EEEvT1_: ; @_ZN7rocprim17ROCPRIM_400000_NS6detail17trampoline_kernelINS0_14default_configENS1_25partition_config_selectorILNS1_17partition_subalgoE8ElNS0_10empty_typeEbEEZZNS1_14partition_implILS5_8ELb0ES3_jPlPS6_PKS6_NS0_5tupleIJS9_S6_EEENSD_IJSA_SA_EEENS0_18inequality_wrapperIZN2at6native12_GLOBAL__N_124unique_dim_cuda_templateIfEESt5tupleIJNSH_6TensorESM_SM_EERKSM_lbbbEUlllE0_EEPmJS6_EEE10hipError_tPvRmT3_T4_T5_T6_T7_T9_mT8_P12ihipStream_tbDpT10_ENKUlT_T0_E_clISt17integral_constantIbLb0EES1B_IbLb1EEEEDaS17_S18_EUlS17_E_NS1_11comp_targetILNS1_3genE8ELNS1_11target_archE1030ELNS1_3gpuE2ELNS1_3repE0EEENS1_30default_config_static_selectorELNS0_4arch9wavefront6targetE1EEEvT1_
; %bb.0:
	.section	.rodata,"a",@progbits
	.p2align	6, 0x0
	.amdhsa_kernel _ZN7rocprim17ROCPRIM_400000_NS6detail17trampoline_kernelINS0_14default_configENS1_25partition_config_selectorILNS1_17partition_subalgoE8ElNS0_10empty_typeEbEEZZNS1_14partition_implILS5_8ELb0ES3_jPlPS6_PKS6_NS0_5tupleIJS9_S6_EEENSD_IJSA_SA_EEENS0_18inequality_wrapperIZN2at6native12_GLOBAL__N_124unique_dim_cuda_templateIfEESt5tupleIJNSH_6TensorESM_SM_EERKSM_lbbbEUlllE0_EEPmJS6_EEE10hipError_tPvRmT3_T4_T5_T6_T7_T9_mT8_P12ihipStream_tbDpT10_ENKUlT_T0_E_clISt17integral_constantIbLb0EES1B_IbLb1EEEEDaS17_S18_EUlS17_E_NS1_11comp_targetILNS1_3genE8ELNS1_11target_archE1030ELNS1_3gpuE2ELNS1_3repE0EEENS1_30default_config_static_selectorELNS0_4arch9wavefront6targetE1EEEvT1_
		.amdhsa_group_segment_fixed_size 0
		.amdhsa_private_segment_fixed_size 0
		.amdhsa_kernarg_size 136
		.amdhsa_user_sgpr_count 2
		.amdhsa_user_sgpr_dispatch_ptr 0
		.amdhsa_user_sgpr_queue_ptr 0
		.amdhsa_user_sgpr_kernarg_segment_ptr 1
		.amdhsa_user_sgpr_dispatch_id 0
		.amdhsa_user_sgpr_kernarg_preload_length 0
		.amdhsa_user_sgpr_kernarg_preload_offset 0
		.amdhsa_user_sgpr_private_segment_size 0
		.amdhsa_uses_dynamic_stack 0
		.amdhsa_enable_private_segment 0
		.amdhsa_system_sgpr_workgroup_id_x 1
		.amdhsa_system_sgpr_workgroup_id_y 0
		.amdhsa_system_sgpr_workgroup_id_z 0
		.amdhsa_system_sgpr_workgroup_info 0
		.amdhsa_system_vgpr_workitem_id 0
		.amdhsa_next_free_vgpr 1
		.amdhsa_next_free_sgpr 0
		.amdhsa_accum_offset 4
		.amdhsa_reserve_vcc 0
		.amdhsa_float_round_mode_32 0
		.amdhsa_float_round_mode_16_64 0
		.amdhsa_float_denorm_mode_32 3
		.amdhsa_float_denorm_mode_16_64 3
		.amdhsa_dx10_clamp 1
		.amdhsa_ieee_mode 1
		.amdhsa_fp16_overflow 0
		.amdhsa_tg_split 0
		.amdhsa_exception_fp_ieee_invalid_op 0
		.amdhsa_exception_fp_denorm_src 0
		.amdhsa_exception_fp_ieee_div_zero 0
		.amdhsa_exception_fp_ieee_overflow 0
		.amdhsa_exception_fp_ieee_underflow 0
		.amdhsa_exception_fp_ieee_inexact 0
		.amdhsa_exception_int_div_zero 0
	.end_amdhsa_kernel
	.section	.text._ZN7rocprim17ROCPRIM_400000_NS6detail17trampoline_kernelINS0_14default_configENS1_25partition_config_selectorILNS1_17partition_subalgoE8ElNS0_10empty_typeEbEEZZNS1_14partition_implILS5_8ELb0ES3_jPlPS6_PKS6_NS0_5tupleIJS9_S6_EEENSD_IJSA_SA_EEENS0_18inequality_wrapperIZN2at6native12_GLOBAL__N_124unique_dim_cuda_templateIfEESt5tupleIJNSH_6TensorESM_SM_EERKSM_lbbbEUlllE0_EEPmJS6_EEE10hipError_tPvRmT3_T4_T5_T6_T7_T9_mT8_P12ihipStream_tbDpT10_ENKUlT_T0_E_clISt17integral_constantIbLb0EES1B_IbLb1EEEEDaS17_S18_EUlS17_E_NS1_11comp_targetILNS1_3genE8ELNS1_11target_archE1030ELNS1_3gpuE2ELNS1_3repE0EEENS1_30default_config_static_selectorELNS0_4arch9wavefront6targetE1EEEvT1_,"axG",@progbits,_ZN7rocprim17ROCPRIM_400000_NS6detail17trampoline_kernelINS0_14default_configENS1_25partition_config_selectorILNS1_17partition_subalgoE8ElNS0_10empty_typeEbEEZZNS1_14partition_implILS5_8ELb0ES3_jPlPS6_PKS6_NS0_5tupleIJS9_S6_EEENSD_IJSA_SA_EEENS0_18inequality_wrapperIZN2at6native12_GLOBAL__N_124unique_dim_cuda_templateIfEESt5tupleIJNSH_6TensorESM_SM_EERKSM_lbbbEUlllE0_EEPmJS6_EEE10hipError_tPvRmT3_T4_T5_T6_T7_T9_mT8_P12ihipStream_tbDpT10_ENKUlT_T0_E_clISt17integral_constantIbLb0EES1B_IbLb1EEEEDaS17_S18_EUlS17_E_NS1_11comp_targetILNS1_3genE8ELNS1_11target_archE1030ELNS1_3gpuE2ELNS1_3repE0EEENS1_30default_config_static_selectorELNS0_4arch9wavefront6targetE1EEEvT1_,comdat
.Lfunc_end960:
	.size	_ZN7rocprim17ROCPRIM_400000_NS6detail17trampoline_kernelINS0_14default_configENS1_25partition_config_selectorILNS1_17partition_subalgoE8ElNS0_10empty_typeEbEEZZNS1_14partition_implILS5_8ELb0ES3_jPlPS6_PKS6_NS0_5tupleIJS9_S6_EEENSD_IJSA_SA_EEENS0_18inequality_wrapperIZN2at6native12_GLOBAL__N_124unique_dim_cuda_templateIfEESt5tupleIJNSH_6TensorESM_SM_EERKSM_lbbbEUlllE0_EEPmJS6_EEE10hipError_tPvRmT3_T4_T5_T6_T7_T9_mT8_P12ihipStream_tbDpT10_ENKUlT_T0_E_clISt17integral_constantIbLb0EES1B_IbLb1EEEEDaS17_S18_EUlS17_E_NS1_11comp_targetILNS1_3genE8ELNS1_11target_archE1030ELNS1_3gpuE2ELNS1_3repE0EEENS1_30default_config_static_selectorELNS0_4arch9wavefront6targetE1EEEvT1_, .Lfunc_end960-_ZN7rocprim17ROCPRIM_400000_NS6detail17trampoline_kernelINS0_14default_configENS1_25partition_config_selectorILNS1_17partition_subalgoE8ElNS0_10empty_typeEbEEZZNS1_14partition_implILS5_8ELb0ES3_jPlPS6_PKS6_NS0_5tupleIJS9_S6_EEENSD_IJSA_SA_EEENS0_18inequality_wrapperIZN2at6native12_GLOBAL__N_124unique_dim_cuda_templateIfEESt5tupleIJNSH_6TensorESM_SM_EERKSM_lbbbEUlllE0_EEPmJS6_EEE10hipError_tPvRmT3_T4_T5_T6_T7_T9_mT8_P12ihipStream_tbDpT10_ENKUlT_T0_E_clISt17integral_constantIbLb0EES1B_IbLb1EEEEDaS17_S18_EUlS17_E_NS1_11comp_targetILNS1_3genE8ELNS1_11target_archE1030ELNS1_3gpuE2ELNS1_3repE0EEENS1_30default_config_static_selectorELNS0_4arch9wavefront6targetE1EEEvT1_
                                        ; -- End function
	.set _ZN7rocprim17ROCPRIM_400000_NS6detail17trampoline_kernelINS0_14default_configENS1_25partition_config_selectorILNS1_17partition_subalgoE8ElNS0_10empty_typeEbEEZZNS1_14partition_implILS5_8ELb0ES3_jPlPS6_PKS6_NS0_5tupleIJS9_S6_EEENSD_IJSA_SA_EEENS0_18inequality_wrapperIZN2at6native12_GLOBAL__N_124unique_dim_cuda_templateIfEESt5tupleIJNSH_6TensorESM_SM_EERKSM_lbbbEUlllE0_EEPmJS6_EEE10hipError_tPvRmT3_T4_T5_T6_T7_T9_mT8_P12ihipStream_tbDpT10_ENKUlT_T0_E_clISt17integral_constantIbLb0EES1B_IbLb1EEEEDaS17_S18_EUlS17_E_NS1_11comp_targetILNS1_3genE8ELNS1_11target_archE1030ELNS1_3gpuE2ELNS1_3repE0EEENS1_30default_config_static_selectorELNS0_4arch9wavefront6targetE1EEEvT1_.num_vgpr, 0
	.set _ZN7rocprim17ROCPRIM_400000_NS6detail17trampoline_kernelINS0_14default_configENS1_25partition_config_selectorILNS1_17partition_subalgoE8ElNS0_10empty_typeEbEEZZNS1_14partition_implILS5_8ELb0ES3_jPlPS6_PKS6_NS0_5tupleIJS9_S6_EEENSD_IJSA_SA_EEENS0_18inequality_wrapperIZN2at6native12_GLOBAL__N_124unique_dim_cuda_templateIfEESt5tupleIJNSH_6TensorESM_SM_EERKSM_lbbbEUlllE0_EEPmJS6_EEE10hipError_tPvRmT3_T4_T5_T6_T7_T9_mT8_P12ihipStream_tbDpT10_ENKUlT_T0_E_clISt17integral_constantIbLb0EES1B_IbLb1EEEEDaS17_S18_EUlS17_E_NS1_11comp_targetILNS1_3genE8ELNS1_11target_archE1030ELNS1_3gpuE2ELNS1_3repE0EEENS1_30default_config_static_selectorELNS0_4arch9wavefront6targetE1EEEvT1_.num_agpr, 0
	.set _ZN7rocprim17ROCPRIM_400000_NS6detail17trampoline_kernelINS0_14default_configENS1_25partition_config_selectorILNS1_17partition_subalgoE8ElNS0_10empty_typeEbEEZZNS1_14partition_implILS5_8ELb0ES3_jPlPS6_PKS6_NS0_5tupleIJS9_S6_EEENSD_IJSA_SA_EEENS0_18inequality_wrapperIZN2at6native12_GLOBAL__N_124unique_dim_cuda_templateIfEESt5tupleIJNSH_6TensorESM_SM_EERKSM_lbbbEUlllE0_EEPmJS6_EEE10hipError_tPvRmT3_T4_T5_T6_T7_T9_mT8_P12ihipStream_tbDpT10_ENKUlT_T0_E_clISt17integral_constantIbLb0EES1B_IbLb1EEEEDaS17_S18_EUlS17_E_NS1_11comp_targetILNS1_3genE8ELNS1_11target_archE1030ELNS1_3gpuE2ELNS1_3repE0EEENS1_30default_config_static_selectorELNS0_4arch9wavefront6targetE1EEEvT1_.numbered_sgpr, 0
	.set _ZN7rocprim17ROCPRIM_400000_NS6detail17trampoline_kernelINS0_14default_configENS1_25partition_config_selectorILNS1_17partition_subalgoE8ElNS0_10empty_typeEbEEZZNS1_14partition_implILS5_8ELb0ES3_jPlPS6_PKS6_NS0_5tupleIJS9_S6_EEENSD_IJSA_SA_EEENS0_18inequality_wrapperIZN2at6native12_GLOBAL__N_124unique_dim_cuda_templateIfEESt5tupleIJNSH_6TensorESM_SM_EERKSM_lbbbEUlllE0_EEPmJS6_EEE10hipError_tPvRmT3_T4_T5_T6_T7_T9_mT8_P12ihipStream_tbDpT10_ENKUlT_T0_E_clISt17integral_constantIbLb0EES1B_IbLb1EEEEDaS17_S18_EUlS17_E_NS1_11comp_targetILNS1_3genE8ELNS1_11target_archE1030ELNS1_3gpuE2ELNS1_3repE0EEENS1_30default_config_static_selectorELNS0_4arch9wavefront6targetE1EEEvT1_.num_named_barrier, 0
	.set _ZN7rocprim17ROCPRIM_400000_NS6detail17trampoline_kernelINS0_14default_configENS1_25partition_config_selectorILNS1_17partition_subalgoE8ElNS0_10empty_typeEbEEZZNS1_14partition_implILS5_8ELb0ES3_jPlPS6_PKS6_NS0_5tupleIJS9_S6_EEENSD_IJSA_SA_EEENS0_18inequality_wrapperIZN2at6native12_GLOBAL__N_124unique_dim_cuda_templateIfEESt5tupleIJNSH_6TensorESM_SM_EERKSM_lbbbEUlllE0_EEPmJS6_EEE10hipError_tPvRmT3_T4_T5_T6_T7_T9_mT8_P12ihipStream_tbDpT10_ENKUlT_T0_E_clISt17integral_constantIbLb0EES1B_IbLb1EEEEDaS17_S18_EUlS17_E_NS1_11comp_targetILNS1_3genE8ELNS1_11target_archE1030ELNS1_3gpuE2ELNS1_3repE0EEENS1_30default_config_static_selectorELNS0_4arch9wavefront6targetE1EEEvT1_.private_seg_size, 0
	.set _ZN7rocprim17ROCPRIM_400000_NS6detail17trampoline_kernelINS0_14default_configENS1_25partition_config_selectorILNS1_17partition_subalgoE8ElNS0_10empty_typeEbEEZZNS1_14partition_implILS5_8ELb0ES3_jPlPS6_PKS6_NS0_5tupleIJS9_S6_EEENSD_IJSA_SA_EEENS0_18inequality_wrapperIZN2at6native12_GLOBAL__N_124unique_dim_cuda_templateIfEESt5tupleIJNSH_6TensorESM_SM_EERKSM_lbbbEUlllE0_EEPmJS6_EEE10hipError_tPvRmT3_T4_T5_T6_T7_T9_mT8_P12ihipStream_tbDpT10_ENKUlT_T0_E_clISt17integral_constantIbLb0EES1B_IbLb1EEEEDaS17_S18_EUlS17_E_NS1_11comp_targetILNS1_3genE8ELNS1_11target_archE1030ELNS1_3gpuE2ELNS1_3repE0EEENS1_30default_config_static_selectorELNS0_4arch9wavefront6targetE1EEEvT1_.uses_vcc, 0
	.set _ZN7rocprim17ROCPRIM_400000_NS6detail17trampoline_kernelINS0_14default_configENS1_25partition_config_selectorILNS1_17partition_subalgoE8ElNS0_10empty_typeEbEEZZNS1_14partition_implILS5_8ELb0ES3_jPlPS6_PKS6_NS0_5tupleIJS9_S6_EEENSD_IJSA_SA_EEENS0_18inequality_wrapperIZN2at6native12_GLOBAL__N_124unique_dim_cuda_templateIfEESt5tupleIJNSH_6TensorESM_SM_EERKSM_lbbbEUlllE0_EEPmJS6_EEE10hipError_tPvRmT3_T4_T5_T6_T7_T9_mT8_P12ihipStream_tbDpT10_ENKUlT_T0_E_clISt17integral_constantIbLb0EES1B_IbLb1EEEEDaS17_S18_EUlS17_E_NS1_11comp_targetILNS1_3genE8ELNS1_11target_archE1030ELNS1_3gpuE2ELNS1_3repE0EEENS1_30default_config_static_selectorELNS0_4arch9wavefront6targetE1EEEvT1_.uses_flat_scratch, 0
	.set _ZN7rocprim17ROCPRIM_400000_NS6detail17trampoline_kernelINS0_14default_configENS1_25partition_config_selectorILNS1_17partition_subalgoE8ElNS0_10empty_typeEbEEZZNS1_14partition_implILS5_8ELb0ES3_jPlPS6_PKS6_NS0_5tupleIJS9_S6_EEENSD_IJSA_SA_EEENS0_18inequality_wrapperIZN2at6native12_GLOBAL__N_124unique_dim_cuda_templateIfEESt5tupleIJNSH_6TensorESM_SM_EERKSM_lbbbEUlllE0_EEPmJS6_EEE10hipError_tPvRmT3_T4_T5_T6_T7_T9_mT8_P12ihipStream_tbDpT10_ENKUlT_T0_E_clISt17integral_constantIbLb0EES1B_IbLb1EEEEDaS17_S18_EUlS17_E_NS1_11comp_targetILNS1_3genE8ELNS1_11target_archE1030ELNS1_3gpuE2ELNS1_3repE0EEENS1_30default_config_static_selectorELNS0_4arch9wavefront6targetE1EEEvT1_.has_dyn_sized_stack, 0
	.set _ZN7rocprim17ROCPRIM_400000_NS6detail17trampoline_kernelINS0_14default_configENS1_25partition_config_selectorILNS1_17partition_subalgoE8ElNS0_10empty_typeEbEEZZNS1_14partition_implILS5_8ELb0ES3_jPlPS6_PKS6_NS0_5tupleIJS9_S6_EEENSD_IJSA_SA_EEENS0_18inequality_wrapperIZN2at6native12_GLOBAL__N_124unique_dim_cuda_templateIfEESt5tupleIJNSH_6TensorESM_SM_EERKSM_lbbbEUlllE0_EEPmJS6_EEE10hipError_tPvRmT3_T4_T5_T6_T7_T9_mT8_P12ihipStream_tbDpT10_ENKUlT_T0_E_clISt17integral_constantIbLb0EES1B_IbLb1EEEEDaS17_S18_EUlS17_E_NS1_11comp_targetILNS1_3genE8ELNS1_11target_archE1030ELNS1_3gpuE2ELNS1_3repE0EEENS1_30default_config_static_selectorELNS0_4arch9wavefront6targetE1EEEvT1_.has_recursion, 0
	.set _ZN7rocprim17ROCPRIM_400000_NS6detail17trampoline_kernelINS0_14default_configENS1_25partition_config_selectorILNS1_17partition_subalgoE8ElNS0_10empty_typeEbEEZZNS1_14partition_implILS5_8ELb0ES3_jPlPS6_PKS6_NS0_5tupleIJS9_S6_EEENSD_IJSA_SA_EEENS0_18inequality_wrapperIZN2at6native12_GLOBAL__N_124unique_dim_cuda_templateIfEESt5tupleIJNSH_6TensorESM_SM_EERKSM_lbbbEUlllE0_EEPmJS6_EEE10hipError_tPvRmT3_T4_T5_T6_T7_T9_mT8_P12ihipStream_tbDpT10_ENKUlT_T0_E_clISt17integral_constantIbLb0EES1B_IbLb1EEEEDaS17_S18_EUlS17_E_NS1_11comp_targetILNS1_3genE8ELNS1_11target_archE1030ELNS1_3gpuE2ELNS1_3repE0EEENS1_30default_config_static_selectorELNS0_4arch9wavefront6targetE1EEEvT1_.has_indirect_call, 0
	.section	.AMDGPU.csdata,"",@progbits
; Kernel info:
; codeLenInByte = 0
; TotalNumSgprs: 6
; NumVgprs: 0
; NumAgprs: 0
; TotalNumVgprs: 0
; ScratchSize: 0
; MemoryBound: 0
; FloatMode: 240
; IeeeMode: 1
; LDSByteSize: 0 bytes/workgroup (compile time only)
; SGPRBlocks: 0
; VGPRBlocks: 0
; NumSGPRsForWavesPerEU: 6
; NumVGPRsForWavesPerEU: 1
; AccumOffset: 4
; Occupancy: 8
; WaveLimiterHint : 0
; COMPUTE_PGM_RSRC2:SCRATCH_EN: 0
; COMPUTE_PGM_RSRC2:USER_SGPR: 2
; COMPUTE_PGM_RSRC2:TRAP_HANDLER: 0
; COMPUTE_PGM_RSRC2:TGID_X_EN: 1
; COMPUTE_PGM_RSRC2:TGID_Y_EN: 0
; COMPUTE_PGM_RSRC2:TGID_Z_EN: 0
; COMPUTE_PGM_RSRC2:TIDIG_COMP_CNT: 0
; COMPUTE_PGM_RSRC3_GFX90A:ACCUM_OFFSET: 0
; COMPUTE_PGM_RSRC3_GFX90A:TG_SPLIT: 0
	.section	.text._ZN7rocprim17ROCPRIM_400000_NS6detail17trampoline_kernelINS0_14default_configENS1_25partition_config_selectorILNS1_17partition_subalgoE9EllbEEZZNS1_14partition_implILS5_9ELb0ES3_jPlS8_PNS0_10empty_typeENS0_5tupleIJS8_S9_EEENSB_IJS8_SA_EEENS0_18inequality_wrapperIZN2at6native12_GLOBAL__N_124unique_dim_cuda_templateIfEESt5tupleIJNSF_6TensorESK_SK_EERKSK_lbbbEUlllE0_EEPmJS9_EEE10hipError_tPvRmT3_T4_T5_T6_T7_T9_mT8_P12ihipStream_tbDpT10_ENKUlT_T0_E_clISt17integral_constantIbLb0EES1A_EEDaS15_S16_EUlS15_E_NS1_11comp_targetILNS1_3genE0ELNS1_11target_archE4294967295ELNS1_3gpuE0ELNS1_3repE0EEENS1_30default_config_static_selectorELNS0_4arch9wavefront6targetE1EEEvT1_,"axG",@progbits,_ZN7rocprim17ROCPRIM_400000_NS6detail17trampoline_kernelINS0_14default_configENS1_25partition_config_selectorILNS1_17partition_subalgoE9EllbEEZZNS1_14partition_implILS5_9ELb0ES3_jPlS8_PNS0_10empty_typeENS0_5tupleIJS8_S9_EEENSB_IJS8_SA_EEENS0_18inequality_wrapperIZN2at6native12_GLOBAL__N_124unique_dim_cuda_templateIfEESt5tupleIJNSF_6TensorESK_SK_EERKSK_lbbbEUlllE0_EEPmJS9_EEE10hipError_tPvRmT3_T4_T5_T6_T7_T9_mT8_P12ihipStream_tbDpT10_ENKUlT_T0_E_clISt17integral_constantIbLb0EES1A_EEDaS15_S16_EUlS15_E_NS1_11comp_targetILNS1_3genE0ELNS1_11target_archE4294967295ELNS1_3gpuE0ELNS1_3repE0EEENS1_30default_config_static_selectorELNS0_4arch9wavefront6targetE1EEEvT1_,comdat
	.globl	_ZN7rocprim17ROCPRIM_400000_NS6detail17trampoline_kernelINS0_14default_configENS1_25partition_config_selectorILNS1_17partition_subalgoE9EllbEEZZNS1_14partition_implILS5_9ELb0ES3_jPlS8_PNS0_10empty_typeENS0_5tupleIJS8_S9_EEENSB_IJS8_SA_EEENS0_18inequality_wrapperIZN2at6native12_GLOBAL__N_124unique_dim_cuda_templateIfEESt5tupleIJNSF_6TensorESK_SK_EERKSK_lbbbEUlllE0_EEPmJS9_EEE10hipError_tPvRmT3_T4_T5_T6_T7_T9_mT8_P12ihipStream_tbDpT10_ENKUlT_T0_E_clISt17integral_constantIbLb0EES1A_EEDaS15_S16_EUlS15_E_NS1_11comp_targetILNS1_3genE0ELNS1_11target_archE4294967295ELNS1_3gpuE0ELNS1_3repE0EEENS1_30default_config_static_selectorELNS0_4arch9wavefront6targetE1EEEvT1_ ; -- Begin function _ZN7rocprim17ROCPRIM_400000_NS6detail17trampoline_kernelINS0_14default_configENS1_25partition_config_selectorILNS1_17partition_subalgoE9EllbEEZZNS1_14partition_implILS5_9ELb0ES3_jPlS8_PNS0_10empty_typeENS0_5tupleIJS8_S9_EEENSB_IJS8_SA_EEENS0_18inequality_wrapperIZN2at6native12_GLOBAL__N_124unique_dim_cuda_templateIfEESt5tupleIJNSF_6TensorESK_SK_EERKSK_lbbbEUlllE0_EEPmJS9_EEE10hipError_tPvRmT3_T4_T5_T6_T7_T9_mT8_P12ihipStream_tbDpT10_ENKUlT_T0_E_clISt17integral_constantIbLb0EES1A_EEDaS15_S16_EUlS15_E_NS1_11comp_targetILNS1_3genE0ELNS1_11target_archE4294967295ELNS1_3gpuE0ELNS1_3repE0EEENS1_30default_config_static_selectorELNS0_4arch9wavefront6targetE1EEEvT1_
	.p2align	8
	.type	_ZN7rocprim17ROCPRIM_400000_NS6detail17trampoline_kernelINS0_14default_configENS1_25partition_config_selectorILNS1_17partition_subalgoE9EllbEEZZNS1_14partition_implILS5_9ELb0ES3_jPlS8_PNS0_10empty_typeENS0_5tupleIJS8_S9_EEENSB_IJS8_SA_EEENS0_18inequality_wrapperIZN2at6native12_GLOBAL__N_124unique_dim_cuda_templateIfEESt5tupleIJNSF_6TensorESK_SK_EERKSK_lbbbEUlllE0_EEPmJS9_EEE10hipError_tPvRmT3_T4_T5_T6_T7_T9_mT8_P12ihipStream_tbDpT10_ENKUlT_T0_E_clISt17integral_constantIbLb0EES1A_EEDaS15_S16_EUlS15_E_NS1_11comp_targetILNS1_3genE0ELNS1_11target_archE4294967295ELNS1_3gpuE0ELNS1_3repE0EEENS1_30default_config_static_selectorELNS0_4arch9wavefront6targetE1EEEvT1_,@function
_ZN7rocprim17ROCPRIM_400000_NS6detail17trampoline_kernelINS0_14default_configENS1_25partition_config_selectorILNS1_17partition_subalgoE9EllbEEZZNS1_14partition_implILS5_9ELb0ES3_jPlS8_PNS0_10empty_typeENS0_5tupleIJS8_S9_EEENSB_IJS8_SA_EEENS0_18inequality_wrapperIZN2at6native12_GLOBAL__N_124unique_dim_cuda_templateIfEESt5tupleIJNSF_6TensorESK_SK_EERKSK_lbbbEUlllE0_EEPmJS9_EEE10hipError_tPvRmT3_T4_T5_T6_T7_T9_mT8_P12ihipStream_tbDpT10_ENKUlT_T0_E_clISt17integral_constantIbLb0EES1A_EEDaS15_S16_EUlS15_E_NS1_11comp_targetILNS1_3genE0ELNS1_11target_archE4294967295ELNS1_3gpuE0ELNS1_3repE0EEENS1_30default_config_static_selectorELNS0_4arch9wavefront6targetE1EEEvT1_: ; @_ZN7rocprim17ROCPRIM_400000_NS6detail17trampoline_kernelINS0_14default_configENS1_25partition_config_selectorILNS1_17partition_subalgoE9EllbEEZZNS1_14partition_implILS5_9ELb0ES3_jPlS8_PNS0_10empty_typeENS0_5tupleIJS8_S9_EEENSB_IJS8_SA_EEENS0_18inequality_wrapperIZN2at6native12_GLOBAL__N_124unique_dim_cuda_templateIfEESt5tupleIJNSF_6TensorESK_SK_EERKSK_lbbbEUlllE0_EEPmJS9_EEE10hipError_tPvRmT3_T4_T5_T6_T7_T9_mT8_P12ihipStream_tbDpT10_ENKUlT_T0_E_clISt17integral_constantIbLb0EES1A_EEDaS15_S16_EUlS15_E_NS1_11comp_targetILNS1_3genE0ELNS1_11target_archE4294967295ELNS1_3gpuE0ELNS1_3repE0EEENS1_30default_config_static_selectorELNS0_4arch9wavefront6targetE1EEEvT1_
; %bb.0:
	s_load_dwordx4 s[4:7], s[0:1], 0x8
	s_load_dwordx2 s[10:11], s[0:1], 0x18
	s_load_dwordx8 s[24:31], s[0:1], 0x40
	s_load_dword s3, s[0:1], 0x70
	s_mul_i32 s12, s2, 0x280
	s_waitcnt lgkmcnt(0)
	s_lshl_b64 s[14:15], s[6:7], 3
	s_add_u32 s18, s4, s14
	s_addc_u32 s19, s5, s15
	s_mul_i32 s4, s3, 0x280
	s_add_i32 s8, s3, -1
	s_add_i32 s3, s4, s6
	s_sub_i32 s3, s28, s3
	s_addk_i32 s3, 0x280
	s_add_u32 s4, s6, s4
	s_addc_u32 s5, s7, 0
	v_mov_b64_e32 v[2:3], s[4:5]
	s_cmp_eq_u32 s2, s8
	s_load_dwordx2 s[26:27], s[26:27], 0x0
	v_cmp_le_u64_e32 vcc, s[28:29], v[2:3]
	s_cselect_b64 s[28:29], -1, 0
	s_mov_b32 s13, 0
	s_and_b64 s[8:9], s[28:29], vcc
	s_xor_b64 s[34:35], s[8:9], -1
	s_lshl_b64 s[16:17], s[12:13], 3
	s_add_u32 s12, s18, s16
	s_mov_b64 s[4:5], -1
	s_addc_u32 s13, s19, s17
	s_and_b64 vcc, exec, s[34:35]
	v_lshlrev_b32_e32 v1, 3, v0
	s_cbranch_vccz .LBB961_2
; %bb.1:
	v_lshlrev_b32_e32 v2, 3, v0
	v_mov_b32_e32 v3, 0
	v_lshl_add_u64 v[4:5], s[12:13], 0, v[2:3]
	v_add_co_u32_e32 v4, vcc, 0x1000, v4
	global_load_dwordx2 v[6:7], v2, s[12:13] offset:3072
	s_nop 0
	v_addc_co_u32_e32 v5, vcc, 0, v5, vcc
	global_load_dwordx2 v[8:9], v2, s[12:13]
	global_load_dwordx2 v[10:11], v2, s[12:13] offset:1024
	global_load_dwordx2 v[12:13], v2, s[12:13] offset:2048
	global_load_dwordx2 v[14:15], v[4:5], off
	s_mov_b64 s[4:5], 0
	s_waitcnt vmcnt(2)
	ds_write2st64_b64 v2, v[8:9], v[10:11] offset1:2
	s_waitcnt vmcnt(1)
	ds_write2st64_b64 v2, v[12:13], v[6:7] offset0:4 offset1:6
	s_waitcnt vmcnt(0)
	ds_write_b64 v2, v[14:15] offset:4096
	s_waitcnt lgkmcnt(0)
	s_barrier
.LBB961_2:
	s_load_dwordx4 s[20:23], s[0:1], 0x60
	s_andn2_b64 vcc, exec, s[4:5]
	v_cmp_gt_u32_e64 s[4:5], s3, v0
	s_cbranch_vccnz .LBB961_14
; %bb.3:
	v_mov_b32_e32 v2, 0
	v_mov_b32_e32 v3, v2
	;; [unrolled: 1-line block ×10, first 2 shown]
	s_and_saveexec_b64 s[18:19], s[4:5]
	s_cbranch_execz .LBB961_5
; %bb.4:
	v_lshlrev_b32_e32 v3, 3, v0
	global_load_dwordx2 v[4:5], v3, s[12:13]
	v_mov_b32_e32 v6, v2
	v_mov_b32_e32 v7, v2
	;; [unrolled: 1-line block ×8, first 2 shown]
	s_waitcnt vmcnt(0)
	v_mov_b64_e32 v[2:3], v[4:5]
	v_mov_b64_e32 v[4:5], v[6:7]
	;; [unrolled: 1-line block ×8, first 2 shown]
.LBB961_5:
	s_or_b64 exec, exec, s[18:19]
	v_or_b32_e32 v12, 0x80, v0
	v_cmp_gt_u32_e32 vcc, s3, v12
	s_and_saveexec_b64 s[4:5], vcc
	s_cbranch_execz .LBB961_7
; %bb.6:
	v_lshlrev_b32_e32 v4, 3, v0
	global_load_dwordx2 v[4:5], v4, s[12:13] offset:1024
.LBB961_7:
	s_or_b64 exec, exec, s[4:5]
	v_or_b32_e32 v12, 0x100, v0
	v_cmp_gt_u32_e32 vcc, s3, v12
	s_and_saveexec_b64 s[4:5], vcc
	s_cbranch_execz .LBB961_9
; %bb.8:
	v_lshlrev_b32_e32 v6, 3, v0
	global_load_dwordx2 v[6:7], v6, s[12:13] offset:2048
.LBB961_9:
	;; [unrolled: 9-line block ×3, first 2 shown]
	s_or_b64 exec, exec, s[4:5]
	v_or_b32_e32 v12, 0x200, v0
	v_cmp_gt_u32_e32 vcc, s3, v12
	s_and_saveexec_b64 s[4:5], vcc
	s_cbranch_execz .LBB961_13
; %bb.12:
	v_lshlrev_b32_e32 v10, 3, v12
	global_load_dwordx2 v[10:11], v10, s[12:13]
.LBB961_13:
	s_or_b64 exec, exec, s[4:5]
	v_lshlrev_b32_e32 v12, 3, v0
	s_waitcnt vmcnt(0)
	ds_write2st64_b64 v12, v[2:3], v[4:5] offset1:2
	ds_write2st64_b64 v12, v[6:7], v[8:9] offset0:4 offset1:6
	ds_write_b64 v12, v[10:11] offset:4096
	s_waitcnt lgkmcnt(0)
	s_barrier
.LBB961_14:
	v_mul_u32_u24_e32 v22, 5, v0
	v_lshlrev_b32_e32 v20, 3, v22
	s_waitcnt lgkmcnt(0)
	ds_read2_b64 v[6:9], v20 offset1:1
	ds_read2_b64 v[2:5], v20 offset0:2 offset1:3
	ds_read_b64 v[12:13], v20 offset:32
	s_add_u32 s4, s10, s14
	s_addc_u32 s5, s11, s15
	s_add_u32 s4, s4, s16
	s_addc_u32 s5, s5, s17
	s_mov_b64 s[10:11], -1
	s_and_b64 vcc, exec, s[34:35]
	s_waitcnt lgkmcnt(0)
	s_barrier
	s_cbranch_vccz .LBB961_16
; %bb.15:
	v_lshlrev_b32_e32 v10, 3, v0
	v_mov_b32_e32 v11, 0
	v_lshl_add_u64 v[14:15], s[4:5], 0, v[10:11]
	v_add_co_u32_e32 v14, vcc, 0x1000, v14
	global_load_dwordx2 v[16:17], v10, s[4:5] offset:3072
	s_nop 0
	v_addc_co_u32_e32 v15, vcc, 0, v15, vcc
	global_load_dwordx2 v[18:19], v10, s[4:5]
	global_load_dwordx2 v[24:25], v10, s[4:5] offset:1024
	global_load_dwordx2 v[26:27], v10, s[4:5] offset:2048
	global_load_dwordx2 v[28:29], v[14:15], off
	s_mov_b64 s[10:11], 0
	s_waitcnt vmcnt(2)
	ds_write2st64_b64 v10, v[18:19], v[24:25] offset1:2
	s_waitcnt vmcnt(1)
	ds_write2st64_b64 v10, v[26:27], v[16:17] offset0:4 offset1:6
	s_waitcnt vmcnt(0)
	ds_write_b64 v10, v[28:29] offset:4096
	s_waitcnt lgkmcnt(0)
	s_barrier
.LBB961_16:
	s_andn2_b64 vcc, exec, s[10:11]
	s_cbranch_vccnz .LBB961_28
; %bb.17:
	v_cmp_gt_u32_e32 vcc, s3, v0
                                        ; implicit-def: $vgpr10_vgpr11
	s_and_saveexec_b64 s[10:11], vcc
	s_cbranch_execz .LBB961_19
; %bb.18:
	v_lshlrev_b32_e32 v10, 3, v0
	global_load_dwordx2 v[10:11], v10, s[4:5]
.LBB961_19:
	s_or_b64 exec, exec, s[10:11]
	v_or_b32_e32 v14, 0x80, v0
	v_cmp_gt_u32_e32 vcc, s3, v14
                                        ; implicit-def: $vgpr14_vgpr15
	s_and_saveexec_b64 s[10:11], vcc
	s_cbranch_execz .LBB961_21
; %bb.20:
	v_lshlrev_b32_e32 v14, 3, v0
	global_load_dwordx2 v[14:15], v14, s[4:5] offset:1024
.LBB961_21:
	s_or_b64 exec, exec, s[10:11]
	v_or_b32_e32 v16, 0x100, v0
	v_cmp_gt_u32_e32 vcc, s3, v16
                                        ; implicit-def: $vgpr16_vgpr17
	s_and_saveexec_b64 s[10:11], vcc
	s_cbranch_execz .LBB961_23
; %bb.22:
	v_lshlrev_b32_e32 v16, 3, v0
	global_load_dwordx2 v[16:17], v16, s[4:5] offset:2048
.LBB961_23:
	s_or_b64 exec, exec, s[10:11]
	v_or_b32_e32 v18, 0x180, v0
	v_cmp_gt_u32_e32 vcc, s3, v18
                                        ; implicit-def: $vgpr18_vgpr19
	s_and_saveexec_b64 s[10:11], vcc
	s_cbranch_execz .LBB961_25
; %bb.24:
	v_lshlrev_b32_e32 v18, 3, v0
	global_load_dwordx2 v[18:19], v18, s[4:5] offset:3072
.LBB961_25:
	s_or_b64 exec, exec, s[10:11]
	v_or_b32_e32 v21, 0x200, v0
	v_cmp_gt_u32_e32 vcc, s3, v21
                                        ; implicit-def: $vgpr24_vgpr25
	s_and_saveexec_b64 s[10:11], vcc
	s_cbranch_execz .LBB961_27
; %bb.26:
	v_lshlrev_b32_e32 v21, 3, v21
	global_load_dwordx2 v[24:25], v21, s[4:5]
.LBB961_27:
	s_or_b64 exec, exec, s[10:11]
	v_lshlrev_b32_e32 v21, 5, v0
	v_sub_u32_e32 v21, v20, v21
	s_waitcnt vmcnt(0)
	ds_write2st64_b64 v21, v[10:11], v[14:15] offset1:2
	ds_write2st64_b64 v21, v[16:17], v[18:19] offset0:4 offset1:6
	ds_write_b64 v21, v[24:25] offset:4096
	s_waitcnt lgkmcnt(0)
	s_barrier
.LBB961_28:
	ds_read_b64 v[10:11], v20 offset:32
	ds_read2_b64 v[52:55], v20 offset0:2 offset1:3
	ds_read2_b64 v[56:59], v20 offset1:1
	s_cmp_lg_u32 s2, 0
	s_cselect_b64 s[16:17], -1, 0
	s_cmp_lg_u64 s[6:7], 0
	s_cselect_b64 s[4:5], -1, 0
	s_or_b64 s[4:5], s[16:17], s[4:5]
	s_mov_b64 s[10:11], 0
	s_and_b64 vcc, exec, s[4:5]
	v_cmp_gt_i64_e64 s[4:5], s[30:31], 0
	s_waitcnt lgkmcnt(0)
	s_barrier
	s_cbranch_vccz .LBB961_40
; %bb.29:
	s_add_u32 s6, s12, -8
	s_addc_u32 s7, s13, -1
	s_load_dwordx2 s[10:11], s[6:7], 0x0
	v_cndmask_b32_e64 v14, 0, 1, s[4:5]
	v_lshlrev_b32_e32 v21, 3, v0
	s_mov_b64 s[6:7], 0
	s_and_b64 vcc, exec, s[34:35]
	v_cmp_ne_u32_e64 s[4:5], 1, v14
	ds_write_b64 v21, v[12:13]
	s_cbranch_vccz .LBB961_42
; %bb.30:
	s_and_b64 vcc, exec, s[4:5]
	s_cbranch_vccnz .LBB961_43
; %bb.31:
	v_mul_lo_u32 v16, v5, s30
	v_mul_lo_u32 v17, v4, s31
	v_mad_u64_u32 v[14:15], s[6:7], v4, s30, 0
	v_add3_u32 v15, v15, v17, v16
	v_mul_lo_u32 v18, v13, s30
	v_mul_lo_u32 v19, v12, s31
	v_mad_u64_u32 v[16:17], s[6:7], v12, s30, 0
	s_add_u32 s14, s30, -1
	v_lshl_add_u64 v[14:15], v[14:15], 2, s[20:21]
	v_add3_u32 v17, v17, v19, v18
	s_addc_u32 s15, s31, -1
	v_lshl_add_u64 v[16:17], v[16:17], 2, s[20:21]
	s_mov_b64 s[18:19], 0
	s_mov_b64 s[36:37], s[14:15]
	v_mov_b64_e32 v[18:19], v[14:15]
                                        ; implicit-def: $sgpr12_sgpr13
.LBB961_32:                             ; =>This Inner Loop Header: Depth=1
	global_load_dword v23, v[18:19], off
	global_load_dword v24, v[16:17], off
	s_add_u32 s6, s36, -1
	s_addc_u32 s7, s37, -1
	s_cmp_eq_u64 s[36:37], 0
	s_mov_b64 s[36:37], s[6:7]
	s_cselect_b64 s[38:39], -1, 0
	v_lshl_add_u64 v[18:19], v[18:19], 0, 4
	v_lshl_add_u64 v[16:17], v[16:17], 0, 4
	s_waitcnt vmcnt(0)
	v_cmp_neq_f32_e64 s[6:7], v23, v24
	s_or_b64 s[6:7], s[6:7], s[38:39]
	s_and_b64 s[6:7], exec, s[6:7]
	v_cmp_eq_f32_e32 vcc, v23, v24
	s_or_b64 s[18:19], s[6:7], s[18:19]
	s_andn2_b64 s[6:7], s[12:13], exec
	s_and_b64 s[12:13], vcc, exec
	s_or_b64 s[12:13], s[6:7], s[12:13]
	s_andn2_b64 exec, exec, s[18:19]
	s_cbranch_execnz .LBB961_32
; %bb.33:
	s_or_b64 exec, exec, s[18:19]
	v_mul_lo_u32 v18, v3, s30
	v_mul_lo_u32 v19, v2, s31
	v_mad_u64_u32 v[16:17], s[6:7], v2, s30, 0
	v_add3_u32 v17, v17, v19, v18
	v_lshl_add_u64 v[16:17], v[16:17], 2, s[20:21]
	s_mov_b64 s[36:37], 0
	s_mov_b64 s[38:39], s[14:15]
	v_mov_b64_e32 v[18:19], v[16:17]
                                        ; implicit-def: $sgpr18_sgpr19
.LBB961_34:                             ; =>This Inner Loop Header: Depth=1
	global_load_dword v23, v[18:19], off
	global_load_dword v24, v[14:15], off
	s_add_u32 s6, s38, -1
	s_addc_u32 s7, s39, -1
	s_cmp_eq_u64 s[38:39], 0
	s_mov_b64 s[38:39], s[6:7]
	s_cselect_b64 s[40:41], -1, 0
	v_lshl_add_u64 v[18:19], v[18:19], 0, 4
	v_lshl_add_u64 v[14:15], v[14:15], 0, 4
	s_waitcnt vmcnt(0)
	v_cmp_neq_f32_e64 s[6:7], v23, v24
	s_or_b64 s[6:7], s[6:7], s[40:41]
	s_and_b64 s[6:7], exec, s[6:7]
	v_cmp_eq_f32_e32 vcc, v23, v24
	s_or_b64 s[36:37], s[6:7], s[36:37]
	s_andn2_b64 s[6:7], s[18:19], exec
	s_and_b64 s[18:19], vcc, exec
	s_or_b64 s[18:19], s[6:7], s[18:19]
	s_andn2_b64 exec, exec, s[36:37]
	s_cbranch_execnz .LBB961_34
; %bb.35:
	s_or_b64 exec, exec, s[36:37]
	v_mul_lo_u32 v18, v9, s30
	v_mul_lo_u32 v19, v8, s31
	v_mad_u64_u32 v[14:15], s[6:7], v8, s30, 0
	v_add3_u32 v15, v15, v19, v18
	v_lshl_add_u64 v[14:15], v[14:15], 2, s[20:21]
	s_mov_b64 s[38:39], 0
	s_mov_b64 s[40:41], s[14:15]
	v_mov_b64_e32 v[18:19], v[14:15]
                                        ; implicit-def: $sgpr36_sgpr37
.LBB961_36:                             ; =>This Inner Loop Header: Depth=1
	global_load_dword v23, v[18:19], off
	global_load_dword v24, v[16:17], off
	s_add_u32 s6, s40, -1
	s_addc_u32 s7, s41, -1
	s_cmp_eq_u64 s[40:41], 0
	s_mov_b64 s[40:41], s[6:7]
	s_cselect_b64 s[42:43], -1, 0
	v_lshl_add_u64 v[18:19], v[18:19], 0, 4
	v_lshl_add_u64 v[16:17], v[16:17], 0, 4
	s_waitcnt vmcnt(0)
	v_cmp_neq_f32_e64 s[6:7], v23, v24
	s_or_b64 s[6:7], s[6:7], s[42:43]
	s_and_b64 s[6:7], exec, s[6:7]
	v_cmp_eq_f32_e32 vcc, v23, v24
	s_or_b64 s[38:39], s[6:7], s[38:39]
	s_andn2_b64 s[6:7], s[36:37], exec
	s_and_b64 s[36:37], vcc, exec
	s_or_b64 s[36:37], s[6:7], s[36:37]
	s_andn2_b64 exec, exec, s[38:39]
	s_cbranch_execnz .LBB961_36
; %bb.37:
	s_or_b64 exec, exec, s[38:39]
	v_mul_lo_u32 v18, v7, s30
	v_mul_lo_u32 v19, v6, s31
	v_mad_u64_u32 v[16:17], s[6:7], v6, s30, 0
	v_add3_u32 v17, v17, v19, v18
	v_lshl_add_u64 v[16:17], v[16:17], 2, s[20:21]
	s_mov_b64 s[40:41], 0
                                        ; implicit-def: $sgpr38_sgpr39
.LBB961_38:                             ; =>This Inner Loop Header: Depth=1
	global_load_dword v18, v[16:17], off
	global_load_dword v19, v[14:15], off
	s_add_u32 s6, s14, -1
	s_addc_u32 s7, s15, -1
	s_cmp_eq_u64 s[14:15], 0
	s_mov_b64 s[14:15], s[6:7]
	s_cselect_b64 s[42:43], -1, 0
	v_lshl_add_u64 v[16:17], v[16:17], 0, 4
	v_lshl_add_u64 v[14:15], v[14:15], 0, 4
	s_waitcnt vmcnt(0)
	v_cmp_neq_f32_e64 s[6:7], v18, v19
	s_or_b64 s[6:7], s[6:7], s[42:43]
	s_and_b64 s[6:7], exec, s[6:7]
	v_cmp_eq_f32_e32 vcc, v18, v19
	s_or_b64 s[40:41], s[6:7], s[40:41]
	s_andn2_b64 s[6:7], s[38:39], exec
	s_and_b64 s[38:39], vcc, exec
	s_or_b64 s[38:39], s[6:7], s[38:39]
	s_andn2_b64 exec, exec, s[40:41]
	s_cbranch_execnz .LBB961_38
; %bb.39:
	s_or_b64 exec, exec, s[40:41]
	s_xor_b64 s[6:7], s[12:13], -1
	v_cndmask_b32_e64 v32, 0, 1, s[6:7]
	s_xor_b64 s[6:7], s[18:19], -1
	v_cndmask_b32_e64 v14, 0, 1, s[6:7]
	v_lshlrev_b16_e32 v14, 8, v14
	v_mov_b32_e32 v15, 8
	s_xor_b64 s[12:13], s[36:37], -1
	v_lshrrev_b32_sdwa v14, v15, v14 dst_sel:BYTE_1 dst_unused:UNUSED_PAD src0_sel:DWORD src1_sel:DWORD
	v_cndmask_b32_e64 v15, 0, 1, s[12:13]
	s_xor_b64 s[6:7], s[38:39], -1
	v_or_b32_sdwa v16, v15, v14 dst_sel:WORD_1 dst_unused:UNUSED_PAD src0_sel:DWORD src1_sel:DWORD
	s_branch .LBB961_44
.LBB961_40:
                                        ; implicit-def: $sgpr6_sgpr7
                                        ; implicit-def: $vgpr32
                                        ; implicit-def: $vgpr15
	s_branch .LBB961_85
.LBB961_41:
                                        ; implicit-def: $vgpr16
                                        ; implicit-def: $vgpr34
                                        ; implicit-def: $vgpr33
                                        ; implicit-def: $vgpr14
	s_branch .LBB961_138
.LBB961_42:
                                        ; implicit-def: $sgpr6_sgpr7
                                        ; implicit-def: $vgpr32
                                        ; implicit-def: $vgpr15
	s_cbranch_execnz .LBB961_51
	s_branch .LBB961_84
.LBB961_43:
	v_mov_b32_e32 v16, 0
	v_mov_b32_e32 v32, 0
.LBB961_44:
	v_cmp_ne_u32_e32 vcc, 0, v0
	s_waitcnt lgkmcnt(0)
	v_mov_b64_e32 v[14:15], s[10:11]
	s_barrier
	s_and_saveexec_b64 s[12:13], vcc
; %bb.45:
	v_add_u32_e32 v14, -8, v21
	ds_read_b64 v[14:15], v14
; %bb.46:
	s_or_b64 exec, exec, s[12:13]
	v_cndmask_b32_e64 v17, 0, 1, s[6:7]
	v_lshrrev_b32_e32 v18, 16, v16
	s_mov_b32 s6, 0xc0c0304
	v_perm_b32 v18, v18, v16, s6
	v_lshlrev_b16_e32 v17, 8, v17
	s_movk_i32 s6, 0xff
	v_bitop3_b16 v16, v16, v17, s6 bitop3:0xec
	v_and_b32_e32 v19, 0xffff, v16
	s_mov_b64 s[12:13], 0
	s_and_b64 vcc, exec, s[4:5]
	s_mov_b64 s[6:7], 0
	s_cbranch_vccnz .LBB961_50
; %bb.47:
	s_waitcnt lgkmcnt(0)
	v_mul_lo_u32 v16, v15, s30
	v_mul_lo_u32 v17, v14, s31
	v_mad_u64_u32 v[14:15], s[6:7], v14, s30, 0
	v_add3_u32 v15, v15, v17, v16
	v_mul_lo_u32 v23, v7, s30
	v_mul_lo_u32 v24, v6, s31
	v_mad_u64_u32 v[16:17], s[6:7], v6, s30, 0
	v_add3_u32 v17, v17, v24, v23
	s_add_u32 s36, s30, -1
	v_lshl_add_u64 v[14:15], v[14:15], 2, s[20:21]
	v_lshl_add_u64 v[16:17], v[16:17], 2, s[20:21]
	s_addc_u32 s37, s31, -1
	s_mov_b64 s[14:15], 0
                                        ; implicit-def: $sgpr18_sgpr19
.LBB961_48:                             ; =>This Inner Loop Header: Depth=1
	global_load_dword v23, v[14:15], off
	global_load_dword v24, v[16:17], off
	s_add_u32 s6, s36, -1
	s_addc_u32 s7, s37, -1
	s_cmp_eq_u64 s[36:37], 0
	s_mov_b64 s[36:37], s[6:7]
	s_cselect_b64 s[38:39], -1, 0
	v_lshl_add_u64 v[14:15], v[14:15], 0, 4
	v_lshl_add_u64 v[16:17], v[16:17], 0, 4
	s_waitcnt vmcnt(0)
	v_cmp_neq_f32_e64 s[6:7], v23, v24
	s_or_b64 s[6:7], s[6:7], s[38:39]
	s_and_b64 s[6:7], exec, s[6:7]
	v_cmp_eq_f32_e32 vcc, v23, v24
	s_or_b64 s[14:15], s[6:7], s[14:15]
	s_andn2_b64 s[6:7], s[18:19], exec
	s_and_b64 s[18:19], vcc, exec
	s_or_b64 s[18:19], s[6:7], s[18:19]
	s_andn2_b64 exec, exec, s[14:15]
	s_cbranch_execnz .LBB961_48
; %bb.49:
	s_or_b64 exec, exec, s[14:15]
	s_xor_b64 s[6:7], s[18:19], -1
.LBB961_50:
	s_waitcnt lgkmcnt(0)
	v_lshl_or_b32 v15, v18, 16, v19
	s_and_b64 vcc, exec, s[12:13]
	s_cbranch_vccz .LBB961_84
.LBB961_51:
	v_add_u32_e32 v14, 4, v22
	v_cmp_gt_u32_e32 vcc, s3, v14
	s_mov_b64 s[14:15], 0
	s_mov_b64 s[12:13], 0
	s_and_saveexec_b64 s[18:19], vcc
	s_cbranch_execz .LBB961_57
; %bb.52:
	s_and_b64 vcc, exec, s[4:5]
	s_mov_b64 s[6:7], 0
	s_cbranch_vccnz .LBB961_56
; %bb.53:
	v_mul_lo_u32 v16, v5, s30
	v_mul_lo_u32 v17, v4, s31
	v_mad_u64_u32 v[14:15], s[6:7], v4, s30, 0
	v_add3_u32 v15, v15, v17, v16
	v_mul_lo_u32 v18, v13, s30
	v_mul_lo_u32 v19, v12, s31
	v_mad_u64_u32 v[16:17], s[6:7], v12, s30, 0
	v_add3_u32 v17, v17, v19, v18
	s_add_u32 s38, s30, -1
	v_lshl_add_u64 v[14:15], v[14:15], 2, s[20:21]
	v_lshl_add_u64 v[16:17], v[16:17], 2, s[20:21]
	s_addc_u32 s39, s31, -1
                                        ; implicit-def: $sgpr36_sgpr37
.LBB961_54:                             ; =>This Inner Loop Header: Depth=1
	global_load_dword v18, v[14:15], off
	global_load_dword v19, v[16:17], off
	s_add_u32 s6, s38, -1
	s_addc_u32 s7, s39, -1
	s_cmp_eq_u64 s[38:39], 0
	s_mov_b64 s[38:39], s[6:7]
	s_cselect_b64 s[40:41], -1, 0
	v_lshl_add_u64 v[14:15], v[14:15], 0, 4
	v_lshl_add_u64 v[16:17], v[16:17], 0, 4
	s_waitcnt vmcnt(0)
	v_cmp_neq_f32_e64 s[6:7], v18, v19
	s_or_b64 s[6:7], s[6:7], s[40:41]
	s_and_b64 s[6:7], exec, s[6:7]
	v_cmp_eq_f32_e32 vcc, v18, v19
	s_or_b64 s[12:13], s[6:7], s[12:13]
	s_andn2_b64 s[6:7], s[36:37], exec
	s_and_b64 s[36:37], vcc, exec
	s_or_b64 s[36:37], s[6:7], s[36:37]
	s_andn2_b64 exec, exec, s[12:13]
	s_cbranch_execnz .LBB961_54
; %bb.55:
	s_or_b64 exec, exec, s[12:13]
	s_xor_b64 s[6:7], s[36:37], -1
.LBB961_56:
	s_and_b64 s[12:13], s[6:7], exec
.LBB961_57:
	s_or_b64 exec, exec, s[18:19]
	v_add_u32_e32 v14, 3, v22
	v_cmp_gt_u32_e32 vcc, s3, v14
	s_and_saveexec_b64 s[18:19], vcc
	s_cbranch_execz .LBB961_63
; %bb.58:
	s_and_b64 vcc, exec, s[4:5]
	s_mov_b64 s[6:7], 0
	s_cbranch_vccnz .LBB961_62
; %bb.59:
	v_mul_lo_u32 v16, v3, s30
	v_mul_lo_u32 v17, v2, s31
	v_mad_u64_u32 v[14:15], s[6:7], v2, s30, 0
	v_add3_u32 v15, v15, v17, v16
	v_mul_lo_u32 v18, v5, s30
	v_mul_lo_u32 v19, v4, s31
	v_mad_u64_u32 v[16:17], s[6:7], v4, s30, 0
	v_add3_u32 v17, v17, v19, v18
	s_add_u32 s38, s30, -1
	v_lshl_add_u64 v[14:15], v[14:15], 2, s[20:21]
	v_lshl_add_u64 v[16:17], v[16:17], 2, s[20:21]
	s_addc_u32 s39, s31, -1
	s_mov_b64 s[14:15], 0
                                        ; implicit-def: $sgpr36_sgpr37
.LBB961_60:                             ; =>This Inner Loop Header: Depth=1
	global_load_dword v18, v[14:15], off
	global_load_dword v19, v[16:17], off
	s_add_u32 s6, s38, -1
	s_addc_u32 s7, s39, -1
	s_cmp_eq_u64 s[38:39], 0
	s_mov_b64 s[38:39], s[6:7]
	s_cselect_b64 s[40:41], -1, 0
	v_lshl_add_u64 v[14:15], v[14:15], 0, 4
	v_lshl_add_u64 v[16:17], v[16:17], 0, 4
	s_waitcnt vmcnt(0)
	v_cmp_neq_f32_e64 s[6:7], v18, v19
	s_or_b64 s[6:7], s[6:7], s[40:41]
	s_and_b64 s[6:7], exec, s[6:7]
	v_cmp_eq_f32_e32 vcc, v18, v19
	s_or_b64 s[14:15], s[6:7], s[14:15]
	s_andn2_b64 s[6:7], s[36:37], exec
	s_and_b64 s[36:37], vcc, exec
	s_or_b64 s[36:37], s[6:7], s[36:37]
	s_andn2_b64 exec, exec, s[14:15]
	s_cbranch_execnz .LBB961_60
; %bb.61:
	s_or_b64 exec, exec, s[14:15]
	s_xor_b64 s[6:7], s[36:37], -1
.LBB961_62:
	s_and_b64 s[14:15], s[6:7], exec
.LBB961_63:
	s_or_b64 exec, exec, s[18:19]
	v_add_u32_e32 v14, 2, v22
	v_cmp_gt_u32_e32 vcc, s3, v14
	s_mov_b64 s[18:19], 0
	s_mov_b64 s[36:37], 0
	s_and_saveexec_b64 s[38:39], vcc
	s_cbranch_execz .LBB961_69
; %bb.64:
	s_and_b64 vcc, exec, s[4:5]
	s_mov_b64 s[6:7], 0
	s_cbranch_vccnz .LBB961_68
; %bb.65:
	v_mul_lo_u32 v16, v9, s30
	v_mul_lo_u32 v17, v8, s31
	v_mad_u64_u32 v[14:15], s[6:7], v8, s30, 0
	v_add3_u32 v15, v15, v17, v16
	v_mul_lo_u32 v18, v3, s30
	v_mul_lo_u32 v19, v2, s31
	v_mad_u64_u32 v[16:17], s[6:7], v2, s30, 0
	v_add3_u32 v17, v17, v19, v18
	s_add_u32 s42, s30, -1
	v_lshl_add_u64 v[14:15], v[14:15], 2, s[20:21]
	v_lshl_add_u64 v[16:17], v[16:17], 2, s[20:21]
	s_addc_u32 s43, s31, -1
                                        ; implicit-def: $sgpr40_sgpr41
.LBB961_66:                             ; =>This Inner Loop Header: Depth=1
	global_load_dword v18, v[14:15], off
	global_load_dword v19, v[16:17], off
	s_add_u32 s6, s42, -1
	s_addc_u32 s7, s43, -1
	s_cmp_eq_u64 s[42:43], 0
	s_mov_b64 s[42:43], s[6:7]
	s_cselect_b64 s[44:45], -1, 0
	v_lshl_add_u64 v[14:15], v[14:15], 0, 4
	v_lshl_add_u64 v[16:17], v[16:17], 0, 4
	s_waitcnt vmcnt(0)
	v_cmp_neq_f32_e64 s[6:7], v18, v19
	s_or_b64 s[6:7], s[6:7], s[44:45]
	s_and_b64 s[6:7], exec, s[6:7]
	v_cmp_eq_f32_e32 vcc, v18, v19
	s_or_b64 s[36:37], s[6:7], s[36:37]
	s_andn2_b64 s[6:7], s[40:41], exec
	s_and_b64 s[40:41], vcc, exec
	s_or_b64 s[40:41], s[6:7], s[40:41]
	s_andn2_b64 exec, exec, s[36:37]
	s_cbranch_execnz .LBB961_66
; %bb.67:
	s_or_b64 exec, exec, s[36:37]
	s_xor_b64 s[6:7], s[40:41], -1
.LBB961_68:
	s_and_b64 s[36:37], s[6:7], exec
.LBB961_69:
	s_or_b64 exec, exec, s[38:39]
	v_add_u32_e32 v14, 1, v22
	v_cmp_gt_u32_e32 vcc, s3, v14
	s_and_saveexec_b64 s[38:39], vcc
	s_cbranch_execz .LBB961_75
; %bb.70:
	s_and_b64 vcc, exec, s[4:5]
	s_mov_b64 s[6:7], 0
	s_cbranch_vccnz .LBB961_74
; %bb.71:
	v_mul_lo_u32 v16, v7, s30
	v_mul_lo_u32 v17, v6, s31
	v_mad_u64_u32 v[14:15], s[6:7], v6, s30, 0
	v_add3_u32 v15, v15, v17, v16
	v_mul_lo_u32 v18, v9, s30
	v_mul_lo_u32 v19, v8, s31
	v_mad_u64_u32 v[16:17], s[6:7], v8, s30, 0
	v_add3_u32 v17, v17, v19, v18
	s_add_u32 s42, s30, -1
	v_lshl_add_u64 v[14:15], v[14:15], 2, s[20:21]
	v_lshl_add_u64 v[16:17], v[16:17], 2, s[20:21]
	s_addc_u32 s43, s31, -1
	s_mov_b64 s[18:19], 0
                                        ; implicit-def: $sgpr40_sgpr41
.LBB961_72:                             ; =>This Inner Loop Header: Depth=1
	global_load_dword v18, v[14:15], off
	global_load_dword v19, v[16:17], off
	s_add_u32 s6, s42, -1
	s_addc_u32 s7, s43, -1
	s_cmp_eq_u64 s[42:43], 0
	s_mov_b64 s[42:43], s[6:7]
	s_cselect_b64 s[44:45], -1, 0
	v_lshl_add_u64 v[14:15], v[14:15], 0, 4
	v_lshl_add_u64 v[16:17], v[16:17], 0, 4
	s_waitcnt vmcnt(0)
	v_cmp_neq_f32_e64 s[6:7], v18, v19
	s_or_b64 s[6:7], s[6:7], s[44:45]
	s_and_b64 s[6:7], exec, s[6:7]
	v_cmp_eq_f32_e32 vcc, v18, v19
	s_or_b64 s[18:19], s[6:7], s[18:19]
	s_andn2_b64 s[6:7], s[40:41], exec
	s_and_b64 s[40:41], vcc, exec
	s_or_b64 s[40:41], s[6:7], s[40:41]
	s_andn2_b64 exec, exec, s[18:19]
	s_cbranch_execnz .LBB961_72
; %bb.73:
	s_or_b64 exec, exec, s[18:19]
	s_xor_b64 s[6:7], s[40:41], -1
.LBB961_74:
	s_and_b64 s[18:19], s[6:7], exec
.LBB961_75:
	s_or_b64 exec, exec, s[38:39]
	v_cmp_ne_u32_e32 vcc, 0, v0
	s_waitcnt lgkmcnt(0)
	v_mov_b64_e32 v[14:15], s[10:11]
	s_barrier
	s_and_saveexec_b64 s[6:7], vcc
; %bb.76:
	v_add_u32_e32 v14, -8, v21
	ds_read_b64 v[14:15], v14
; %bb.77:
	s_or_b64 exec, exec, s[6:7]
	v_cndmask_b32_e64 v17, 0, 1, s[14:15]
	v_cndmask_b32_e64 v16, 0, 1, s[36:37]
	;; [unrolled: 1-line block ×3, first 2 shown]
	v_lshlrev_b16_e32 v17, 8, v17
	v_cmp_gt_u32_e32 vcc, s3, v22
	v_lshlrev_b16_e32 v18, 8, v18
	v_or_b32_sdwa v19, v16, v17 dst_sel:WORD_1 dst_unused:UNUSED_PAD src0_sel:DWORD src1_sel:DWORD
	s_mov_b64 s[6:7], 0
	s_and_saveexec_b64 s[10:11], vcc
	s_cbranch_execz .LBB961_83
; %bb.78:
	s_and_b64 vcc, exec, s[4:5]
	s_mov_b64 s[4:5], 0
	s_cbranch_vccnz .LBB961_82
; %bb.79:
	s_waitcnt lgkmcnt(0)
	v_mul_lo_u32 v16, v15, s30
	v_mul_lo_u32 v17, v14, s31
	v_mad_u64_u32 v[14:15], s[4:5], v14, s30, 0
	v_add3_u32 v15, v15, v17, v16
	v_mul_lo_u32 v21, v7, s30
	v_mul_lo_u32 v23, v6, s31
	v_mad_u64_u32 v[16:17], s[4:5], v6, s30, 0
	v_add3_u32 v17, v17, v23, v21
	s_add_u32 s18, s30, -1
	v_lshl_add_u64 v[14:15], v[14:15], 2, s[20:21]
	v_lshl_add_u64 v[16:17], v[16:17], 2, s[20:21]
	s_addc_u32 s19, s31, -1
                                        ; implicit-def: $sgpr14_sgpr15
.LBB961_80:                             ; =>This Inner Loop Header: Depth=1
	global_load_dword v21, v[14:15], off
	global_load_dword v23, v[16:17], off
	s_add_u32 s4, s18, -1
	s_addc_u32 s5, s19, -1
	s_cmp_eq_u64 s[18:19], 0
	s_mov_b64 s[18:19], s[4:5]
	s_cselect_b64 s[36:37], -1, 0
	v_lshl_add_u64 v[14:15], v[14:15], 0, 4
	v_lshl_add_u64 v[16:17], v[16:17], 0, 4
	s_waitcnt vmcnt(0)
	v_cmp_neq_f32_e64 s[4:5], v21, v23
	s_or_b64 s[4:5], s[4:5], s[36:37]
	s_and_b64 s[4:5], exec, s[4:5]
	v_cmp_eq_f32_e32 vcc, v21, v23
	s_or_b64 s[6:7], s[4:5], s[6:7]
	s_andn2_b64 s[4:5], s[14:15], exec
	s_and_b64 s[14:15], vcc, exec
	s_or_b64 s[14:15], s[4:5], s[14:15]
	s_andn2_b64 exec, exec, s[6:7]
	s_cbranch_execnz .LBB961_80
; %bb.81:
	s_or_b64 exec, exec, s[6:7]
	s_xor_b64 s[4:5], s[14:15], -1
.LBB961_82:
	s_and_b64 s[6:7], s[4:5], exec
.LBB961_83:
	s_or_b64 exec, exec, s[10:11]
	v_cndmask_b32_e64 v32, 0, 1, s[12:13]
	s_waitcnt lgkmcnt(0)
	v_or_b32_e32 v15, v18, v19
.LBB961_84:
	s_waitcnt lgkmcnt(0)
	s_mov_b64 s[10:11], -1
	s_cbranch_execnz .LBB961_41
.LBB961_85:
	v_lshlrev_b32_e32 v14, 5, v0
	v_sub_u32_e32 v23, v20, v14
	s_mov_b64 s[6:7], 0
	v_cmp_gt_i64_e64 s[12:13], s[30:31], 0
	s_and_b64 vcc, exec, s[34:35]
	ds_write_b64 v23, v[12:13]
	s_cbranch_vccz .LBB961_96
; %bb.86:
	v_cndmask_b32_e64 v14, 0, 1, s[12:13]
	v_cmp_ne_u32_e64 s[4:5], 1, v14
	s_andn2_b64 vcc, exec, s[12:13]
	s_cbranch_vccnz .LBB961_97
; %bb.87:
	v_mul_lo_u32 v16, v5, s30
	v_mul_lo_u32 v17, v4, s31
	v_mad_u64_u32 v[14:15], s[6:7], v4, s30, 0
	v_add3_u32 v15, v15, v17, v16
	v_mul_lo_u32 v18, v13, s30
	v_mul_lo_u32 v19, v12, s31
	v_mad_u64_u32 v[16:17], s[6:7], v12, s30, 0
	s_add_u32 s18, s30, -1
	v_lshl_add_u64 v[14:15], v[14:15], 2, s[20:21]
	v_add3_u32 v17, v17, v19, v18
	s_addc_u32 s19, s31, -1
	v_lshl_add_u64 v[16:17], v[16:17], 2, s[20:21]
	s_mov_b64 s[36:37], 0
	s_mov_b64 s[38:39], s[18:19]
	v_mov_b64_e32 v[18:19], v[14:15]
                                        ; implicit-def: $sgpr14_sgpr15
.LBB961_88:                             ; =>This Inner Loop Header: Depth=1
	global_load_dword v20, v[18:19], off
	global_load_dword v21, v[16:17], off
	s_add_u32 s6, s38, -1
	s_addc_u32 s7, s39, -1
	s_cmp_eq_u64 s[38:39], 0
	s_mov_b64 s[38:39], s[6:7]
	s_cselect_b64 s[40:41], -1, 0
	v_lshl_add_u64 v[18:19], v[18:19], 0, 4
	v_lshl_add_u64 v[16:17], v[16:17], 0, 4
	s_waitcnt vmcnt(0)
	v_cmp_neq_f32_e64 s[6:7], v20, v21
	s_or_b64 s[6:7], s[6:7], s[40:41]
	s_and_b64 s[6:7], exec, s[6:7]
	v_cmp_eq_f32_e32 vcc, v20, v21
	s_or_b64 s[36:37], s[6:7], s[36:37]
	s_andn2_b64 s[6:7], s[14:15], exec
	s_and_b64 s[14:15], vcc, exec
	s_or_b64 s[14:15], s[6:7], s[14:15]
	s_andn2_b64 exec, exec, s[36:37]
	s_cbranch_execnz .LBB961_88
; %bb.89:
	s_or_b64 exec, exec, s[36:37]
	v_mul_lo_u32 v18, v3, s30
	v_mul_lo_u32 v19, v2, s31
	v_mad_u64_u32 v[16:17], s[6:7], v2, s30, 0
	v_add3_u32 v17, v17, v19, v18
	v_lshl_add_u64 v[16:17], v[16:17], 2, s[20:21]
	s_mov_b64 s[38:39], 0
	s_mov_b64 s[40:41], s[18:19]
	v_mov_b64_e32 v[18:19], v[16:17]
                                        ; implicit-def: $sgpr36_sgpr37
.LBB961_90:                             ; =>This Inner Loop Header: Depth=1
	global_load_dword v20, v[18:19], off
	global_load_dword v21, v[14:15], off
	s_add_u32 s6, s40, -1
	s_addc_u32 s7, s41, -1
	s_cmp_eq_u64 s[40:41], 0
	s_mov_b64 s[40:41], s[6:7]
	s_cselect_b64 s[42:43], -1, 0
	v_lshl_add_u64 v[18:19], v[18:19], 0, 4
	v_lshl_add_u64 v[14:15], v[14:15], 0, 4
	s_waitcnt vmcnt(0)
	v_cmp_neq_f32_e64 s[6:7], v20, v21
	s_or_b64 s[6:7], s[6:7], s[42:43]
	s_and_b64 s[6:7], exec, s[6:7]
	v_cmp_eq_f32_e32 vcc, v20, v21
	s_or_b64 s[38:39], s[6:7], s[38:39]
	s_andn2_b64 s[6:7], s[36:37], exec
	s_and_b64 s[36:37], vcc, exec
	s_or_b64 s[36:37], s[6:7], s[36:37]
	s_andn2_b64 exec, exec, s[38:39]
	s_cbranch_execnz .LBB961_90
; %bb.91:
	s_or_b64 exec, exec, s[38:39]
	v_mul_lo_u32 v18, v9, s30
	v_mul_lo_u32 v19, v8, s31
	v_mad_u64_u32 v[14:15], s[6:7], v8, s30, 0
	v_add3_u32 v15, v15, v19, v18
	v_lshl_add_u64 v[14:15], v[14:15], 2, s[20:21]
	s_mov_b64 s[40:41], 0
	s_mov_b64 s[42:43], s[18:19]
	v_mov_b64_e32 v[18:19], v[14:15]
                                        ; implicit-def: $sgpr38_sgpr39
.LBB961_92:                             ; =>This Inner Loop Header: Depth=1
	global_load_dword v20, v[18:19], off
	global_load_dword v21, v[16:17], off
	s_add_u32 s6, s42, -1
	s_addc_u32 s7, s43, -1
	s_cmp_eq_u64 s[42:43], 0
	s_mov_b64 s[42:43], s[6:7]
	s_cselect_b64 s[44:45], -1, 0
	v_lshl_add_u64 v[18:19], v[18:19], 0, 4
	v_lshl_add_u64 v[16:17], v[16:17], 0, 4
	s_waitcnt vmcnt(0)
	v_cmp_neq_f32_e64 s[6:7], v20, v21
	s_or_b64 s[6:7], s[6:7], s[44:45]
	s_and_b64 s[6:7], exec, s[6:7]
	v_cmp_eq_f32_e32 vcc, v20, v21
	s_or_b64 s[40:41], s[6:7], s[40:41]
	s_andn2_b64 s[6:7], s[38:39], exec
	s_and_b64 s[38:39], vcc, exec
	s_or_b64 s[38:39], s[6:7], s[38:39]
	s_andn2_b64 exec, exec, s[40:41]
	s_cbranch_execnz .LBB961_92
; %bb.93:
	s_or_b64 exec, exec, s[40:41]
	v_mul_lo_u32 v18, v7, s30
	v_mul_lo_u32 v19, v6, s31
	v_mad_u64_u32 v[16:17], s[6:7], v6, s30, 0
	v_add3_u32 v17, v17, v19, v18
	v_lshl_add_u64 v[16:17], v[16:17], 2, s[20:21]
	s_mov_b64 s[42:43], 0
                                        ; implicit-def: $sgpr40_sgpr41
.LBB961_94:                             ; =>This Inner Loop Header: Depth=1
	global_load_dword v18, v[16:17], off
	global_load_dword v19, v[14:15], off
	s_add_u32 s6, s18, -1
	s_addc_u32 s7, s19, -1
	s_cmp_eq_u64 s[18:19], 0
	s_mov_b64 s[18:19], s[6:7]
	s_cselect_b64 s[44:45], -1, 0
	v_lshl_add_u64 v[16:17], v[16:17], 0, 4
	v_lshl_add_u64 v[14:15], v[14:15], 0, 4
	s_waitcnt vmcnt(0)
	v_cmp_neq_f32_e64 s[6:7], v18, v19
	s_or_b64 s[6:7], s[6:7], s[44:45]
	s_and_b64 s[6:7], exec, s[6:7]
	v_cmp_eq_f32_e32 vcc, v18, v19
	s_or_b64 s[42:43], s[6:7], s[42:43]
	s_andn2_b64 s[6:7], s[40:41], exec
	s_and_b64 s[40:41], vcc, exec
	s_or_b64 s[40:41], s[6:7], s[40:41]
	s_andn2_b64 exec, exec, s[42:43]
	s_cbranch_execnz .LBB961_94
; %bb.95:
	s_or_b64 exec, exec, s[42:43]
	s_xor_b64 s[6:7], s[14:15], -1
	v_cndmask_b32_e64 v32, 0, 1, s[6:7]
	s_xor_b64 s[6:7], s[36:37], -1
	v_cndmask_b32_e64 v14, 0, 1, s[6:7]
	v_lshlrev_b16_e32 v14, 8, v14
	v_mov_b32_e32 v15, 8
	s_xor_b64 s[14:15], s[38:39], -1
	v_lshrrev_b32_sdwa v14, v15, v14 dst_sel:BYTE_1 dst_unused:UNUSED_PAD src0_sel:DWORD src1_sel:DWORD
	v_cndmask_b32_e64 v15, 0, 1, s[14:15]
	s_xor_b64 s[6:7], s[40:41], -1
	v_or_b32_sdwa v14, v15, v14 dst_sel:WORD_1 dst_unused:UNUSED_PAD src0_sel:DWORD src1_sel:DWORD
	s_branch .LBB961_98
.LBB961_96:
                                        ; implicit-def: $sgpr6_sgpr7
                                        ; implicit-def: $vgpr32
                                        ; implicit-def: $vgpr15
                                        ; implicit-def: $vgpr16
                                        ; implicit-def: $vgpr34
                                        ; implicit-def: $vgpr33
                                        ; implicit-def: $vgpr14
	s_cbranch_execnz .LBB961_105
	s_branch .LBB961_138
.LBB961_97:
	v_mov_b32_e32 v14, 0
	v_mov_b32_e32 v32, 0
.LBB961_98:
	v_lshrrev_b32_e32 v33, 16, v14
	v_lshrrev_b32_e32 v14, 24, v14
	v_cndmask_b32_e64 v34, 0, 1, s[6:7]
	v_mov_b32_e32 v16, 1
	v_cmp_ne_u32_e32 vcc, 0, v0
	s_waitcnt lgkmcnt(0)
	s_barrier
                                        ; implicit-def: $sgpr6_sgpr7
                                        ; implicit-def: $vgpr15
	s_and_saveexec_b64 s[14:15], vcc
	s_xor_b64 s[14:15], exec, s[14:15]
	s_cbranch_execz .LBB961_104
; %bb.99:
	v_lshlrev_b16_e32 v15, 8, v14
	s_movk_i32 s6, 0xff
	v_bitop3_b16 v15, v33, v15, s6 bitop3:0xec
	v_lshlrev_b16_e32 v17, 8, v34
	v_lshlrev_b32_e32 v15, 16, v15
	v_or_b32_e32 v17, 1, v17
	v_or_b32_sdwa v15, v17, v15 dst_sel:DWORD dst_unused:UNUSED_PAD src0_sel:WORD_0 src1_sel:DWORD
	s_mov_b32 s33, 0x3020104
	s_and_b64 vcc, exec, s[4:5]
	s_mov_b64 s[6:7], 0
	s_cbranch_vccnz .LBB961_103
; %bb.100:
	v_add_u32_e32 v17, -8, v23
	ds_read_b64 v[18:19], v17
	v_mul_lo_u32 v17, v7, s30
	v_mul_lo_u32 v24, v6, s31
	s_add_u32 s36, s30, -1
	s_addc_u32 s37, s31, -1
	s_waitcnt lgkmcnt(0)
	v_mul_lo_u32 v20, v19, s30
	v_mul_lo_u32 v21, v18, s31
	v_mad_u64_u32 v[18:19], s[4:5], v18, s30, 0
	v_add3_u32 v19, v19, v21, v20
	v_mad_u64_u32 v[20:21], s[4:5], v6, s30, 0
	v_add3_u32 v21, v21, v24, v17
	v_lshl_add_u64 v[18:19], v[18:19], 2, s[20:21]
	v_lshl_add_u64 v[20:21], v[20:21], 2, s[20:21]
                                        ; implicit-def: $sgpr18_sgpr19
.LBB961_101:                            ; =>This Inner Loop Header: Depth=1
	global_load_dword v17, v[18:19], off
	global_load_dword v24, v[20:21], off
	s_add_u32 s4, s36, -1
	s_addc_u32 s5, s37, -1
	s_cmp_eq_u64 s[36:37], 0
	s_mov_b64 s[36:37], s[4:5]
	s_cselect_b64 s[38:39], -1, 0
	v_lshl_add_u64 v[18:19], v[18:19], 0, 4
	v_lshl_add_u64 v[20:21], v[20:21], 0, 4
	s_waitcnt vmcnt(0)
	v_cmp_neq_f32_e64 s[4:5], v17, v24
	s_or_b64 s[4:5], s[4:5], s[38:39]
	s_and_b64 s[4:5], exec, s[4:5]
	v_cmp_eq_f32_e32 vcc, v17, v24
	s_or_b64 s[6:7], s[4:5], s[6:7]
	s_andn2_b64 s[4:5], s[18:19], exec
	s_and_b64 s[18:19], vcc, exec
	s_or_b64 s[18:19], s[4:5], s[18:19]
	s_andn2_b64 exec, exec, s[6:7]
	s_cbranch_execnz .LBB961_101
; %bb.102:
	s_or_b64 exec, exec, s[6:7]
	s_xor_b64 s[6:7], s[18:19], -1
.LBB961_103:
	v_perm_b32 v15, v15, v15, s33
	s_or_b64 s[10:11], s[10:11], exec
.LBB961_104:
	s_or_b64 exec, exec, s[14:15]
	s_branch .LBB961_138
.LBB961_105:
	v_add_u32_e32 v14, 4, v22
	v_cmp_gt_u32_e32 vcc, s3, v14
	s_mov_b64 s[6:7], 0
	s_mov_b64 s[14:15], 0
	s_and_saveexec_b64 s[18:19], vcc
	s_cbranch_execz .LBB961_111
; %bb.106:
	s_andn2_b64 vcc, exec, s[12:13]
	s_mov_b64 s[4:5], 0
	s_cbranch_vccnz .LBB961_110
; %bb.107:
	v_mul_lo_u32 v16, v5, s30
	v_mul_lo_u32 v17, v4, s31
	v_mad_u64_u32 v[14:15], s[4:5], v4, s30, 0
	v_add3_u32 v15, v15, v17, v16
	v_mul_lo_u32 v18, v13, s30
	v_mul_lo_u32 v19, v12, s31
	v_mad_u64_u32 v[16:17], s[4:5], v12, s30, 0
	v_add3_u32 v17, v17, v19, v18
	s_add_u32 s38, s30, -1
	v_lshl_add_u64 v[14:15], v[14:15], 2, s[20:21]
	v_lshl_add_u64 v[16:17], v[16:17], 2, s[20:21]
	s_addc_u32 s39, s31, -1
                                        ; implicit-def: $sgpr36_sgpr37
.LBB961_108:                            ; =>This Inner Loop Header: Depth=1
	global_load_dword v18, v[14:15], off
	global_load_dword v19, v[16:17], off
	s_add_u32 s4, s38, -1
	s_addc_u32 s5, s39, -1
	s_cmp_eq_u64 s[38:39], 0
	s_mov_b64 s[38:39], s[4:5]
	s_cselect_b64 s[40:41], -1, 0
	v_lshl_add_u64 v[14:15], v[14:15], 0, 4
	v_lshl_add_u64 v[16:17], v[16:17], 0, 4
	s_waitcnt vmcnt(0)
	v_cmp_neq_f32_e64 s[4:5], v18, v19
	s_or_b64 s[4:5], s[4:5], s[40:41]
	s_and_b64 s[4:5], exec, s[4:5]
	v_cmp_eq_f32_e32 vcc, v18, v19
	s_or_b64 s[14:15], s[4:5], s[14:15]
	s_andn2_b64 s[4:5], s[36:37], exec
	s_and_b64 s[36:37], vcc, exec
	s_or_b64 s[36:37], s[4:5], s[36:37]
	s_andn2_b64 exec, exec, s[14:15]
	s_cbranch_execnz .LBB961_108
; %bb.109:
	s_or_b64 exec, exec, s[14:15]
	s_xor_b64 s[4:5], s[36:37], -1
.LBB961_110:
	s_and_b64 s[14:15], s[4:5], exec
.LBB961_111:
	s_or_b64 exec, exec, s[18:19]
	v_add_u32_e32 v14, 3, v22
	v_cmp_gt_u32_e32 vcc, s3, v14
	s_and_saveexec_b64 s[18:19], vcc
	s_cbranch_execz .LBB961_117
; %bb.112:
	s_andn2_b64 vcc, exec, s[12:13]
	s_mov_b64 s[4:5], 0
	s_cbranch_vccnz .LBB961_116
; %bb.113:
	v_mul_lo_u32 v16, v3, s30
	v_mul_lo_u32 v17, v2, s31
	v_mad_u64_u32 v[14:15], s[4:5], v2, s30, 0
	v_add3_u32 v15, v15, v17, v16
	v_mul_lo_u32 v18, v5, s30
	v_mul_lo_u32 v19, v4, s31
	v_mad_u64_u32 v[16:17], s[4:5], v4, s30, 0
	v_add3_u32 v17, v17, v19, v18
	s_add_u32 s38, s30, -1
	v_lshl_add_u64 v[14:15], v[14:15], 2, s[20:21]
	v_lshl_add_u64 v[16:17], v[16:17], 2, s[20:21]
	s_addc_u32 s39, s31, -1
	s_mov_b64 s[6:7], 0
                                        ; implicit-def: $sgpr36_sgpr37
.LBB961_114:                            ; =>This Inner Loop Header: Depth=1
	global_load_dword v18, v[14:15], off
	global_load_dword v19, v[16:17], off
	s_add_u32 s4, s38, -1
	s_addc_u32 s5, s39, -1
	s_cmp_eq_u64 s[38:39], 0
	s_mov_b64 s[38:39], s[4:5]
	s_cselect_b64 s[40:41], -1, 0
	v_lshl_add_u64 v[14:15], v[14:15], 0, 4
	v_lshl_add_u64 v[16:17], v[16:17], 0, 4
	s_waitcnt vmcnt(0)
	v_cmp_neq_f32_e64 s[4:5], v18, v19
	s_or_b64 s[4:5], s[4:5], s[40:41]
	s_and_b64 s[4:5], exec, s[4:5]
	v_cmp_eq_f32_e32 vcc, v18, v19
	s_or_b64 s[6:7], s[4:5], s[6:7]
	s_andn2_b64 s[4:5], s[36:37], exec
	s_and_b64 s[36:37], vcc, exec
	s_or_b64 s[36:37], s[4:5], s[36:37]
	s_andn2_b64 exec, exec, s[6:7]
	s_cbranch_execnz .LBB961_114
; %bb.115:
	s_or_b64 exec, exec, s[6:7]
	s_xor_b64 s[4:5], s[36:37], -1
.LBB961_116:
	s_and_b64 s[6:7], s[4:5], exec
.LBB961_117:
	s_or_b64 exec, exec, s[18:19]
	v_add_u32_e32 v14, 2, v22
	v_cmp_gt_u32_e32 vcc, s3, v14
	s_mov_b64 s[18:19], 0
	s_mov_b64 s[36:37], 0
	s_and_saveexec_b64 s[38:39], vcc
	s_cbranch_execz .LBB961_123
; %bb.118:
	s_andn2_b64 vcc, exec, s[12:13]
	s_mov_b64 s[4:5], 0
	s_cbranch_vccnz .LBB961_122
; %bb.119:
	v_mul_lo_u32 v16, v9, s30
	v_mul_lo_u32 v17, v8, s31
	v_mad_u64_u32 v[14:15], s[4:5], v8, s30, 0
	v_add3_u32 v15, v15, v17, v16
	v_mul_lo_u32 v18, v3, s30
	v_mul_lo_u32 v19, v2, s31
	v_mad_u64_u32 v[16:17], s[4:5], v2, s30, 0
	v_add3_u32 v17, v17, v19, v18
	s_add_u32 s42, s30, -1
	v_lshl_add_u64 v[14:15], v[14:15], 2, s[20:21]
	v_lshl_add_u64 v[16:17], v[16:17], 2, s[20:21]
	s_addc_u32 s43, s31, -1
                                        ; implicit-def: $sgpr40_sgpr41
.LBB961_120:                            ; =>This Inner Loop Header: Depth=1
	global_load_dword v18, v[14:15], off
	global_load_dword v19, v[16:17], off
	s_add_u32 s4, s42, -1
	s_addc_u32 s5, s43, -1
	s_cmp_eq_u64 s[42:43], 0
	s_mov_b64 s[42:43], s[4:5]
	s_cselect_b64 s[44:45], -1, 0
	v_lshl_add_u64 v[14:15], v[14:15], 0, 4
	v_lshl_add_u64 v[16:17], v[16:17], 0, 4
	s_waitcnt vmcnt(0)
	v_cmp_neq_f32_e64 s[4:5], v18, v19
	s_or_b64 s[4:5], s[4:5], s[44:45]
	s_and_b64 s[4:5], exec, s[4:5]
	v_cmp_eq_f32_e32 vcc, v18, v19
	s_or_b64 s[36:37], s[4:5], s[36:37]
	s_andn2_b64 s[4:5], s[40:41], exec
	s_and_b64 s[40:41], vcc, exec
	s_or_b64 s[40:41], s[4:5], s[40:41]
	s_andn2_b64 exec, exec, s[36:37]
	s_cbranch_execnz .LBB961_120
; %bb.121:
	s_or_b64 exec, exec, s[36:37]
	s_xor_b64 s[4:5], s[40:41], -1
.LBB961_122:
	s_and_b64 s[36:37], s[4:5], exec
.LBB961_123:
	s_or_b64 exec, exec, s[38:39]
	v_add_u32_e32 v14, 1, v22
	v_cmp_gt_u32_e32 vcc, s3, v14
	s_and_saveexec_b64 s[38:39], vcc
	s_cbranch_execz .LBB961_129
; %bb.124:
	s_andn2_b64 vcc, exec, s[12:13]
	s_mov_b64 s[4:5], 0
	s_cbranch_vccnz .LBB961_128
; %bb.125:
	v_mul_lo_u32 v16, v7, s30
	v_mul_lo_u32 v17, v6, s31
	v_mad_u64_u32 v[14:15], s[4:5], v6, s30, 0
	v_add3_u32 v15, v15, v17, v16
	v_mul_lo_u32 v18, v9, s30
	v_mul_lo_u32 v19, v8, s31
	v_mad_u64_u32 v[16:17], s[4:5], v8, s30, 0
	v_add3_u32 v17, v17, v19, v18
	s_add_u32 s42, s30, -1
	v_lshl_add_u64 v[14:15], v[14:15], 2, s[20:21]
	v_lshl_add_u64 v[16:17], v[16:17], 2, s[20:21]
	s_addc_u32 s43, s31, -1
	s_mov_b64 s[18:19], 0
                                        ; implicit-def: $sgpr40_sgpr41
.LBB961_126:                            ; =>This Inner Loop Header: Depth=1
	global_load_dword v18, v[14:15], off
	global_load_dword v19, v[16:17], off
	s_add_u32 s4, s42, -1
	s_addc_u32 s5, s43, -1
	s_cmp_eq_u64 s[42:43], 0
	s_mov_b64 s[42:43], s[4:5]
	s_cselect_b64 s[44:45], -1, 0
	v_lshl_add_u64 v[14:15], v[14:15], 0, 4
	v_lshl_add_u64 v[16:17], v[16:17], 0, 4
	s_waitcnt vmcnt(0)
	v_cmp_neq_f32_e64 s[4:5], v18, v19
	s_or_b64 s[4:5], s[4:5], s[44:45]
	s_and_b64 s[4:5], exec, s[4:5]
	v_cmp_eq_f32_e32 vcc, v18, v19
	s_or_b64 s[18:19], s[4:5], s[18:19]
	s_andn2_b64 s[4:5], s[40:41], exec
	s_and_b64 s[40:41], vcc, exec
	s_or_b64 s[40:41], s[4:5], s[40:41]
	s_andn2_b64 exec, exec, s[18:19]
	s_cbranch_execnz .LBB961_126
; %bb.127:
	s_or_b64 exec, exec, s[18:19]
	s_xor_b64 s[4:5], s[40:41], -1
.LBB961_128:
	s_and_b64 s[18:19], s[4:5], exec
.LBB961_129:
	s_or_b64 exec, exec, s[38:39]
	v_cndmask_b32_e64 v32, 0, 1, s[14:15]
	v_cndmask_b32_e64 v33, 0, 1, s[36:37]
	;; [unrolled: 1-line block ×4, first 2 shown]
	v_mov_b32_e32 v16, 1
	v_cmp_ne_u32_e32 vcc, 0, v0
	s_waitcnt lgkmcnt(0)
	s_barrier
                                        ; implicit-def: $sgpr6_sgpr7
                                        ; implicit-def: $vgpr15
	s_and_saveexec_b64 s[14:15], vcc
	s_cbranch_execz .LBB961_137
; %bb.130:
	v_lshlrev_b16_e32 v15, 8, v34
	v_lshlrev_b16_e32 v17, 8, v14
	v_or_b32_e32 v15, 1, v15
	v_or_b32_sdwa v17, v33, v17 dst_sel:WORD_1 dst_unused:UNUSED_PAD src0_sel:DWORD src1_sel:DWORD
	v_cmp_gt_u32_e32 vcc, s3, v22
	v_or_b32_sdwa v15, v15, v17 dst_sel:DWORD dst_unused:UNUSED_PAD src0_sel:WORD_0 src1_sel:DWORD
	s_mov_b32 s33, 0x3020104
	s_mov_b64 s[6:7], 0
	s_and_saveexec_b64 s[18:19], vcc
	s_cbranch_execz .LBB961_136
; %bb.131:
	s_andn2_b64 vcc, exec, s[12:13]
	s_mov_b64 s[4:5], 0
	s_cbranch_vccnz .LBB961_135
; %bb.132:
	v_add_u32_e32 v17, -8, v23
	ds_read_b64 v[18:19], v17
	v_mul_lo_u32 v17, v7, s30
	v_mul_lo_u32 v23, v6, s31
                                        ; implicit-def: $sgpr12_sgpr13
	s_waitcnt lgkmcnt(0)
	v_mul_lo_u32 v20, v19, s30
	v_mul_lo_u32 v21, v18, s31
	v_mad_u64_u32 v[18:19], s[4:5], v18, s30, 0
	v_add3_u32 v19, v19, v21, v20
	v_mad_u64_u32 v[20:21], s[4:5], v6, s30, 0
	v_add3_u32 v21, v21, v23, v17
	v_lshl_add_u64 v[18:19], v[18:19], 2, s[20:21]
	v_lshl_add_u64 v[20:21], v[20:21], 2, s[20:21]
	s_add_u32 s20, s30, -1
	s_addc_u32 s21, s31, -1
.LBB961_133:                            ; =>This Inner Loop Header: Depth=1
	global_load_dword v17, v[18:19], off
	global_load_dword v23, v[20:21], off
	s_add_u32 s4, s20, -1
	s_addc_u32 s5, s21, -1
	s_cmp_eq_u64 s[20:21], 0
	s_mov_b64 s[20:21], s[4:5]
	s_cselect_b64 s[30:31], -1, 0
	v_lshl_add_u64 v[18:19], v[18:19], 0, 4
	v_lshl_add_u64 v[20:21], v[20:21], 0, 4
	s_waitcnt vmcnt(0)
	v_cmp_neq_f32_e64 s[4:5], v17, v23
	s_or_b64 s[4:5], s[4:5], s[30:31]
	s_and_b64 s[4:5], exec, s[4:5]
	v_cmp_eq_f32_e32 vcc, v17, v23
	s_or_b64 s[6:7], s[4:5], s[6:7]
	s_andn2_b64 s[4:5], s[12:13], exec
	s_and_b64 s[12:13], vcc, exec
	s_or_b64 s[12:13], s[4:5], s[12:13]
	s_andn2_b64 exec, exec, s[6:7]
	s_cbranch_execnz .LBB961_133
; %bb.134:
	s_or_b64 exec, exec, s[6:7]
	s_xor_b64 s[4:5], s[12:13], -1
.LBB961_135:
	s_and_b64 s[6:7], s[4:5], exec
.LBB961_136:
	s_or_b64 exec, exec, s[18:19]
	v_perm_b32 v15, v15, v15, s33
	s_or_b64 s[10:11], s[10:11], exec
.LBB961_137:
	s_or_b64 exec, exec, s[14:15]
.LBB961_138:
	s_and_saveexec_b64 s[4:5], s[10:11]
; %bb.139:
	v_lshrrev_b32_e32 v14, 24, v15
	v_lshrrev_b32_e32 v33, 16, v15
	;; [unrolled: 1-line block ×3, first 2 shown]
	v_cndmask_b32_e64 v16, 0, 1, s[6:7]
; %bb.140:
	s_or_b64 exec, exec, s[4:5]
	s_andn2_b64 vcc, exec, s[8:9]
	s_cbranch_vccnz .LBB961_144
; %bb.141:
	s_mov_b32 s4, 0xc0c0004
	v_perm_b32 v14, v33, v14, s4
	v_perm_b32 v15, v16, v34, s4
	v_lshlrev_b32_e32 v14, 16, v14
	v_or_b32_e32 v15, v15, v14
	v_cmp_gt_u32_e32 vcc, s3, v22
	v_add_u32_e32 v16, 1, v22
	s_mov_b32 s4, 0x40c0100
	v_cndmask_b32_e32 v14, v14, v15, vcc
	v_and_b32_e32 v14, 0xffff00ff, v14
	v_cmp_gt_u32_e32 vcc, s3, v16
	v_add_u32_e32 v16, 2, v22
	v_and_b32_e32 v32, 0xff, v32
	v_cndmask_b32_e32 v14, v14, v15, vcc
	v_lshrrev_b32_e32 v18, 24, v14
	v_perm_b32 v14, v18, v14, s4
	v_cmp_gt_u32_e32 vcc, s3, v16
	v_add_u32_e32 v16, 3, v22
	v_and_b32_e32 v17, 0xffff, v32
	v_cndmask_b32_e32 v14, v14, v15, vcc
	v_and_b32_e32 v14, 0xffffff, v14
	v_cmp_gt_u32_e32 vcc, s3, v16
	s_nop 1
	v_cndmask_b32_e32 v16, v14, v15, vcc
	v_lshrrev_b64 v[14:15], 24, v[16:17]
	v_add_u32_e32 v15, 4, v22
	v_lshrrev_b32_e32 v33, 16, v16
	v_lshrrev_b32_e32 v34, 8, v16
	v_cmp_le_u32_e32 vcc, s3, v15
	s_and_saveexec_b64 s[4:5], vcc
; %bb.142:
	v_mov_b32_e32 v32, 0
; %bb.143:
	s_or_b64 exec, exec, s[4:5]
.LBB961_144:
	v_and_b32_e32 v15, 0xff, v16
	v_and_b32_e32 v17, 0xff, v34
	;; [unrolled: 1-line block ×5, first 2 shown]
	v_add3_u32 v19, v17, v15, v29
	v_add3_u32 v37, v19, v31, v18
	v_mbcnt_lo_u32_b32 v18, -1, 0
	v_mbcnt_hi_u32_b32 v35, -1, v18
	v_and_b32_e32 v18, 15, v35
	v_cmp_eq_u32_e64 s[14:15], 0, v18
	v_cmp_lt_u32_e64 s[12:13], 1, v18
	v_cmp_lt_u32_e64 s[10:11], 3, v18
	;; [unrolled: 1-line block ×3, first 2 shown]
	v_and_b32_e32 v18, 16, v35
	v_cmp_eq_u32_e64 s[6:7], 0, v18
	v_or_b32_e32 v18, 63, v0
	v_cmp_lt_u32_e64 s[18:19], 31, v35
	v_lshrrev_b32_e32 v36, 6, v0
	v_cmp_eq_u32_e64 s[4:5], v0, v18
	s_and_b64 vcc, exec, s[16:17]
	s_waitcnt lgkmcnt(0)
	s_barrier
	s_cbranch_vccz .LBB961_166
; %bb.145:
	v_mov_b32_dpp v18, v37 row_shr:1 row_mask:0xf bank_mask:0xf
	v_cndmask_b32_e64 v18, v18, 0, s[14:15]
	v_add_u32_e32 v18, v18, v37
	s_nop 1
	v_mov_b32_dpp v19, v18 row_shr:2 row_mask:0xf bank_mask:0xf
	v_cndmask_b32_e64 v19, 0, v19, s[12:13]
	v_add_u32_e32 v18, v18, v19
	s_nop 1
	;; [unrolled: 4-line block ×4, first 2 shown]
	v_mov_b32_dpp v19, v18 row_bcast:15 row_mask:0xf bank_mask:0xf
	v_cndmask_b32_e64 v19, v19, 0, s[6:7]
	v_add_u32_e32 v18, v18, v19
	s_nop 1
	v_mov_b32_dpp v19, v18 row_bcast:31 row_mask:0xf bank_mask:0xf
	v_cndmask_b32_e64 v19, 0, v19, s[18:19]
	v_add_u32_e32 v18, v18, v19
	s_and_saveexec_b64 s[16:17], s[4:5]
; %bb.146:
	v_lshlrev_b32_e32 v19, 2, v36
	ds_write_b32 v19, v18
; %bb.147:
	s_or_b64 exec, exec, s[16:17]
	v_cmp_gt_u32_e32 vcc, 2, v0
	s_waitcnt lgkmcnt(0)
	s_barrier
	s_and_saveexec_b64 s[16:17], vcc
	s_cbranch_execz .LBB961_149
; %bb.148:
	v_lshlrev_b32_e32 v19, 2, v0
	ds_read_b32 v20, v19
	v_bfe_i32 v21, v35, 0, 1
	s_waitcnt lgkmcnt(0)
	v_mov_b32_dpp v22, v20 row_shr:1 row_mask:0xf bank_mask:0xf
	v_and_b32_e32 v21, v21, v22
	v_add_u32_e32 v20, v21, v20
	ds_write_b32 v19, v20
.LBB961_149:
	s_or_b64 exec, exec, s[16:17]
	v_cmp_gt_u32_e32 vcc, 64, v0
	v_cmp_lt_u32_e64 s[16:17], 63, v0
	s_waitcnt lgkmcnt(0)
	s_barrier
                                        ; implicit-def: $vgpr28
	s_and_saveexec_b64 s[20:21], s[16:17]
	s_cbranch_execz .LBB961_151
; %bb.150:
	v_lshl_add_u32 v19, v36, 2, -4
	ds_read_b32 v28, v19
	s_waitcnt lgkmcnt(0)
	v_add_u32_e32 v18, v28, v18
.LBB961_151:
	s_or_b64 exec, exec, s[20:21]
	v_subrev_co_u32_e64 v19, s[16:17], 1, v35
	v_and_b32_e32 v20, 64, v35
	v_cmp_lt_i32_e64 s[20:21], v19, v20
	s_nop 1
	v_cndmask_b32_e64 v19, v19, v35, s[20:21]
	v_lshlrev_b32_e32 v19, 2, v19
	ds_bpermute_b32 v30, v19, v18
	s_and_saveexec_b64 s[20:21], vcc
	s_cbranch_execz .LBB961_171
; %bb.152:
	v_mov_b32_e32 v25, 0
	ds_read_b32 v18, v25 offset:4
	s_and_saveexec_b64 s[30:31], s[16:17]
	s_cbranch_execz .LBB961_154
; %bb.153:
	s_add_i32 s36, s2, 64
	s_mov_b32 s37, 0
	s_lshl_b64 s[36:37], s[36:37], 3
	s_add_u32 s36, s22, s36
	v_mov_b32_e32 v19, 1
	s_addc_u32 s37, s23, s37
	s_waitcnt lgkmcnt(0)
	global_store_dwordx2 v25, v[18:19], s[36:37] sc1
.LBB961_154:
	s_or_b64 exec, exec, s[30:31]
	v_xad_u32 v20, v35, -1, s2
	v_add_u32_e32 v24, 64, v20
	v_lshl_add_u64 v[26:27], v[24:25], 3, s[22:23]
	global_load_dwordx2 v[22:23], v[26:27], off sc1
	s_waitcnt vmcnt(0)
	v_cmp_eq_u16_sdwa s[36:37], v23, v25 src0_sel:BYTE_0 src1_sel:DWORD
	s_and_saveexec_b64 s[30:31], s[36:37]
	s_cbranch_execz .LBB961_158
; %bb.155:
	s_mov_b64 s[36:37], 0
	v_mov_b32_e32 v19, 0
.LBB961_156:                            ; =>This Inner Loop Header: Depth=1
	global_load_dwordx2 v[22:23], v[26:27], off sc1
	s_waitcnt vmcnt(0)
	v_cmp_ne_u16_sdwa s[38:39], v23, v19 src0_sel:BYTE_0 src1_sel:DWORD
	s_or_b64 s[36:37], s[38:39], s[36:37]
	s_andn2_b64 exec, exec, s[36:37]
	s_cbranch_execnz .LBB961_156
; %bb.157:
	s_or_b64 exec, exec, s[36:37]
.LBB961_158:
	s_or_b64 exec, exec, s[30:31]
	v_and_b32_e32 v39, 63, v35
	v_mov_b32_e32 v38, 2
	v_cmp_ne_u32_e32 vcc, 63, v39
	v_cmp_eq_u16_sdwa s[30:31], v23, v38 src0_sel:BYTE_0 src1_sel:DWORD
	v_lshlrev_b64 v[24:25], v35, -1
	v_addc_co_u32_e32 v26, vcc, 0, v35, vcc
	v_and_b32_e32 v19, s31, v25
	v_lshlrev_b32_e32 v40, 2, v26
	v_or_b32_e32 v19, 0x80000000, v19
	ds_bpermute_b32 v26, v40, v22
	v_and_b32_e32 v21, s30, v24
	v_ffbl_b32_e32 v19, v19
	v_add_u32_e32 v19, 32, v19
	v_ffbl_b32_e32 v21, v21
	v_min_u32_e32 v19, v21, v19
	v_cmp_lt_u32_e32 vcc, v39, v19
	v_add_u32_e32 v42, 2, v39
	v_add_u32_e32 v44, 4, v39
	s_waitcnt lgkmcnt(0)
	v_cndmask_b32_e32 v21, 0, v26, vcc
	v_cmp_gt_u32_e32 vcc, 62, v39
	v_add_u32_e32 v21, v21, v22
	v_add_u32_e32 v46, 8, v39
	v_cndmask_b32_e64 v22, 0, 2, vcc
	v_add_lshl_u32 v41, v22, v35, 2
	ds_bpermute_b32 v22, v41, v21
	v_cmp_le_u32_e32 vcc, v42, v19
	v_add_u32_e32 v48, 16, v39
	v_add_u32_e32 v50, 32, v39
	s_waitcnt lgkmcnt(0)
	v_cndmask_b32_e32 v22, 0, v22, vcc
	v_cmp_gt_u32_e32 vcc, 60, v39
	v_add_u32_e32 v21, v21, v22
	s_nop 0
	v_cndmask_b32_e64 v22, 0, 4, vcc
	v_add_lshl_u32 v43, v22, v35, 2
	ds_bpermute_b32 v22, v43, v21
	v_cmp_le_u32_e32 vcc, v44, v19
	s_waitcnt lgkmcnt(0)
	s_nop 0
	v_cndmask_b32_e32 v22, 0, v22, vcc
	v_cmp_gt_u32_e32 vcc, 56, v39
	v_add_u32_e32 v21, v21, v22
	s_nop 0
	v_cndmask_b32_e64 v22, 0, 8, vcc
	v_add_lshl_u32 v45, v22, v35, 2
	ds_bpermute_b32 v22, v45, v21
	v_cmp_le_u32_e32 vcc, v46, v19
	s_waitcnt lgkmcnt(0)
	s_nop 0
	v_cndmask_b32_e32 v22, 0, v22, vcc
	v_cmp_gt_u32_e32 vcc, 48, v39
	v_add_u32_e32 v21, v21, v22
	s_nop 0
	v_cndmask_b32_e64 v22, 0, 16, vcc
	v_add_lshl_u32 v47, v22, v35, 2
	ds_bpermute_b32 v22, v47, v21
	v_cmp_le_u32_e32 vcc, v48, v19
	s_waitcnt lgkmcnt(0)
	s_nop 0
	v_cndmask_b32_e32 v22, 0, v22, vcc
	v_add_u32_e32 v21, v21, v22
	v_mov_b32_e32 v22, 0x80
	v_lshl_or_b32 v49, v35, 2, v22
	ds_bpermute_b32 v22, v49, v21
	v_cmp_le_u32_e32 vcc, v50, v19
	s_waitcnt lgkmcnt(0)
	s_nop 0
	v_cndmask_b32_e32 v19, 0, v22, vcc
	v_add_u32_e32 v22, v21, v19
	v_mov_b32_e32 v21, 0
	s_branch .LBB961_161
.LBB961_159:                            ;   in Loop: Header=BB961_161 Depth=1
	s_or_b64 exec, exec, s[30:31]
	v_cmp_eq_u16_sdwa s[30:31], v23, v38 src0_sel:BYTE_0 src1_sel:DWORD
	ds_bpermute_b32 v51, v40, v22
	v_subrev_u32_e32 v20, 64, v20
	v_and_b32_e32 v26, s31, v25
	v_or_b32_e32 v26, 0x80000000, v26
	v_and_b32_e32 v27, s30, v24
	v_ffbl_b32_e32 v26, v26
	v_add_u32_e32 v26, 32, v26
	v_ffbl_b32_e32 v27, v27
	v_min_u32_e32 v26, v27, v26
	v_cmp_lt_u32_e32 vcc, v39, v26
	s_mov_b64 s[30:31], 0
	s_waitcnt lgkmcnt(0)
	v_cndmask_b32_e32 v27, 0, v51, vcc
	v_add_u32_e32 v22, v27, v22
	ds_bpermute_b32 v27, v41, v22
	v_cmp_le_u32_e32 vcc, v42, v26
	s_waitcnt lgkmcnt(0)
	s_nop 0
	v_cndmask_b32_e32 v27, 0, v27, vcc
	v_add_u32_e32 v22, v22, v27
	ds_bpermute_b32 v27, v43, v22
	v_cmp_le_u32_e32 vcc, v44, v26
	s_waitcnt lgkmcnt(0)
	s_nop 0
	;; [unrolled: 6-line block ×5, first 2 shown]
	v_cndmask_b32_e32 v26, 0, v27, vcc
	v_add3_u32 v22, v26, v19, v22
.LBB961_160:                            ;   in Loop: Header=BB961_161 Depth=1
	s_and_b64 vcc, exec, s[30:31]
	s_cbranch_vccnz .LBB961_167
.LBB961_161:                            ; =>This Loop Header: Depth=1
                                        ;     Child Loop BB961_164 Depth 2
	v_cmp_ne_u16_sdwa s[30:31], v23, v38 src0_sel:BYTE_0 src1_sel:DWORD
	v_mov_b32_e32 v19, v22
	s_cmp_lg_u64 s[30:31], exec
	s_mov_b64 s[30:31], -1
                                        ; implicit-def: $vgpr22
                                        ; implicit-def: $vgpr23
	s_cbranch_scc1 .LBB961_160
; %bb.162:                              ;   in Loop: Header=BB961_161 Depth=1
	v_lshl_add_u64 v[26:27], v[20:21], 3, s[22:23]
	global_load_dwordx2 v[22:23], v[26:27], off sc1
	s_waitcnt vmcnt(0)
	v_cmp_eq_u16_sdwa s[36:37], v23, v21 src0_sel:BYTE_0 src1_sel:DWORD
	s_and_saveexec_b64 s[30:31], s[36:37]
	s_cbranch_execz .LBB961_159
; %bb.163:                              ;   in Loop: Header=BB961_161 Depth=1
	s_mov_b64 s[36:37], 0
.LBB961_164:                            ;   Parent Loop BB961_161 Depth=1
                                        ; =>  This Inner Loop Header: Depth=2
	global_load_dwordx2 v[22:23], v[26:27], off sc1
	s_waitcnt vmcnt(0)
	v_cmp_ne_u16_sdwa s[38:39], v23, v21 src0_sel:BYTE_0 src1_sel:DWORD
	s_or_b64 s[36:37], s[38:39], s[36:37]
	s_andn2_b64 exec, exec, s[36:37]
	s_cbranch_execnz .LBB961_164
; %bb.165:                              ;   in Loop: Header=BB961_161 Depth=1
	s_or_b64 exec, exec, s[36:37]
	s_branch .LBB961_159
.LBB961_166:
                                        ; implicit-def: $vgpr22
                                        ; implicit-def: $vgpr24
                                        ; implicit-def: $vgpr26
                                        ; implicit-def: $vgpr28
                                        ; implicit-def: $vgpr30
                                        ; implicit-def: $vgpr20
                                        ; implicit-def: $vgpr18
	s_cbranch_execnz .LBB961_172
	s_branch .LBB961_181
.LBB961_167:
	s_and_saveexec_b64 s[30:31], s[16:17]
	s_cbranch_execz .LBB961_169
; %bb.168:
	s_add_i32 s2, s2, 64
	s_mov_b32 s3, 0
	s_lshl_b64 s[2:3], s[2:3], 3
	s_add_u32 s2, s22, s2
	v_add_u32_e32 v20, v19, v18
	v_mov_b32_e32 v21, 2
	s_addc_u32 s3, s23, s3
	v_mov_b32_e32 v22, 0
	global_store_dwordx2 v22, v[20:21], s[2:3] sc1
	ds_write_b64 v22, v[18:19] offset:5120
.LBB961_169:
	s_or_b64 exec, exec, s[30:31]
	v_cmp_eq_u32_e32 vcc, 0, v0
	s_and_b64 exec, exec, vcc
; %bb.170:
	v_mov_b32_e32 v18, 0
	ds_write_b32 v18, v19 offset:4
.LBB961_171:
	s_or_b64 exec, exec, s[20:21]
	v_mov_b32_e32 v18, 0
	s_waitcnt lgkmcnt(0)
	s_barrier
	ds_read_b32 v19, v18 offset:4
	v_cndmask_b32_e64 v20, v30, v28, s[16:17]
	v_cmp_ne_u32_e32 vcc, 0, v0
	s_waitcnt lgkmcnt(0)
	s_barrier
	v_cndmask_b32_e32 v20, 0, v20, vcc
	v_add_u32_e32 v30, v19, v20
	ds_read_b64 v[18:19], v18 offset:5120
	v_add_u32_e32 v28, v30, v15
	v_add_u32_e32 v26, v28, v17
	;; [unrolled: 1-line block ×4, first 2 shown]
	s_waitcnt lgkmcnt(0)
	v_mov_b32_e32 v20, v19
	s_branch .LBB961_181
.LBB961_172:
	v_mov_b32_dpp v18, v37 row_shr:1 row_mask:0xf bank_mask:0xf
	v_cndmask_b32_e64 v18, v18, 0, s[14:15]
	v_add_u32_e32 v18, v18, v37
	s_nop 1
	v_mov_b32_dpp v19, v18 row_shr:2 row_mask:0xf bank_mask:0xf
	v_cndmask_b32_e64 v19, 0, v19, s[12:13]
	v_add_u32_e32 v18, v18, v19
	s_nop 1
	;; [unrolled: 4-line block ×4, first 2 shown]
	v_mov_b32_dpp v19, v18 row_bcast:15 row_mask:0xf bank_mask:0xf
	v_cndmask_b32_e64 v19, v19, 0, s[6:7]
	v_add_u32_e32 v18, v18, v19
	s_nop 1
	v_mov_b32_dpp v19, v18 row_bcast:31 row_mask:0xf bank_mask:0xf
	v_cndmask_b32_e64 v19, 0, v19, s[18:19]
	v_add_u32_e32 v18, v18, v19
	s_and_saveexec_b64 s[2:3], s[4:5]
; %bb.173:
	v_lshlrev_b32_e32 v19, 2, v36
	ds_write_b32 v19, v18
; %bb.174:
	s_or_b64 exec, exec, s[2:3]
	v_cmp_gt_u32_e32 vcc, 2, v0
	s_waitcnt lgkmcnt(0)
	s_barrier
	s_and_saveexec_b64 s[2:3], vcc
	s_cbranch_execz .LBB961_176
; %bb.175:
	v_lshlrev_b32_e32 v19, 2, v0
	ds_read_b32 v20, v19
	v_bfe_i32 v21, v35, 0, 1
	s_waitcnt lgkmcnt(0)
	v_mov_b32_dpp v22, v20 row_shr:1 row_mask:0xf bank_mask:0xf
	v_and_b32_e32 v21, v21, v22
	v_add_u32_e32 v20, v21, v20
	ds_write_b32 v19, v20
.LBB961_176:
	s_or_b64 exec, exec, s[2:3]
	v_cmp_lt_u32_e32 vcc, 63, v0
	v_mov_b32_e32 v19, 0
	v_mov_b32_e32 v20, 0
	s_waitcnt lgkmcnt(0)
	s_barrier
	s_and_saveexec_b64 s[2:3], vcc
; %bb.177:
	v_lshl_add_u32 v20, v36, 2, -4
	ds_read_b32 v20, v20
; %bb.178:
	s_or_b64 exec, exec, s[2:3]
	v_subrev_co_u32_e32 v21, vcc, 1, v35
	v_and_b32_e32 v22, 64, v35
	v_cmp_lt_i32_e64 s[2:3], v21, v22
	s_waitcnt lgkmcnt(0)
	v_add_u32_e32 v18, v20, v18
	v_cndmask_b32_e64 v21, v21, v35, s[2:3]
	v_lshlrev_b32_e32 v21, 2, v21
	ds_bpermute_b32 v21, v21, v18
	ds_read_b32 v18, v19 offset:4
	v_cmp_eq_u32_e64 s[2:3], 0, v0
	s_and_saveexec_b64 s[4:5], s[2:3]
	s_cbranch_execz .LBB961_180
; %bb.179:
	v_mov_b32_e32 v22, 0
	v_mov_b32_e32 v19, 2
	s_waitcnt lgkmcnt(0)
	global_store_dwordx2 v22, v[18:19], s[22:23] offset:512 sc1
.LBB961_180:
	s_or_b64 exec, exec, s[4:5]
	s_waitcnt lgkmcnt(1)
	v_cndmask_b32_e32 v19, v21, v20, vcc
	v_cndmask_b32_e64 v30, v19, 0, s[2:3]
	v_add_u32_e32 v28, v30, v15
	v_add_u32_e32 v26, v28, v17
	;; [unrolled: 1-line block ×4, first 2 shown]
	s_waitcnt lgkmcnt(0)
	s_barrier
	v_mov_b32_e32 v20, 0
.LBB961_181:
	s_load_dwordx4 s[8:11], s[0:1], 0x28
	s_movk_i32 s0, 0x81
	v_cmp_gt_u32_e64 s[0:1], s0, v18
	v_add_u32_e32 v17, v20, v18
	v_and_b32_e32 v15, 1, v16
	s_mov_b64 s[6:7], -1
	s_and_b64 vcc, exec, s[0:1]
	v_cmp_lt_u32_e64 s[2:3], v30, v17
	v_cmp_eq_u32_e64 s[4:5], 1, v15
	s_cbranch_vccz .LBB961_193
; %bb.182:
	s_or_b64 s[2:3], s[34:35], s[2:3]
	s_and_b64 s[4:5], s[2:3], s[4:5]
	s_and_saveexec_b64 s[2:3], s[4:5]
	s_cbranch_execz .LBB961_184
; %bb.183:
	s_lshl_b64 s[4:5], s[26:27], 3
	s_waitcnt lgkmcnt(0)
	s_add_u32 s4, s8, s4
	s_addc_u32 s5, s9, s5
	v_mov_b32_e32 v31, 0
	v_lshl_add_u64 v[36:37], v[30:31], 3, s[4:5]
	global_store_dwordx2 v[36:37], v[6:7], off
.LBB961_184:
	s_or_b64 exec, exec, s[2:3]
	v_cmp_lt_u32_e32 vcc, v28, v17
	v_and_b32_e32 v16, 1, v34
	s_or_b64 s[2:3], s[34:35], vcc
	v_cmp_eq_u32_e32 vcc, 1, v16
	s_and_b64 s[4:5], s[2:3], vcc
	s_and_saveexec_b64 s[2:3], s[4:5]
	s_cbranch_execz .LBB961_186
; %bb.185:
	s_lshl_b64 s[4:5], s[26:27], 3
	s_waitcnt lgkmcnt(0)
	s_add_u32 s4, s8, s4
	s_addc_u32 s5, s9, s5
	v_mov_b32_e32 v29, 0
	v_lshl_add_u64 v[36:37], v[28:29], 3, s[4:5]
	global_store_dwordx2 v[36:37], v[8:9], off
.LBB961_186:
	s_or_b64 exec, exec, s[2:3]
	v_cmp_lt_u32_e32 vcc, v26, v17
	v_and_b32_e32 v16, 1, v33
	s_or_b64 s[2:3], s[34:35], vcc
	v_cmp_eq_u32_e32 vcc, 1, v16
	s_and_b64 s[4:5], s[2:3], vcc
	;; [unrolled: 17-line block ×4, first 2 shown]
	s_and_saveexec_b64 s[2:3], s[4:5]
	s_cbranch_execz .LBB961_192
; %bb.191:
	s_lshl_b64 s[4:5], s[26:27], 3
	s_waitcnt lgkmcnt(0)
	s_add_u32 s4, s8, s4
	s_addc_u32 s5, s9, s5
	v_mov_b32_e32 v23, 0
	v_lshl_add_u64 v[36:37], v[22:23], 3, s[4:5]
	global_store_dwordx2 v[36:37], v[12:13], off
.LBB961_192:
	s_or_b64 exec, exec, s[2:3]
	s_mov_b64 s[6:7], 0
.LBB961_193:
	s_and_b64 vcc, exec, s[6:7]
	s_cbranch_vccz .LBB961_207
; %bb.194:
	v_cmp_eq_u32_e32 vcc, 1, v15
	s_and_saveexec_b64 s[2:3], vcc
; %bb.195:
	v_sub_u32_e32 v16, v30, v20
	v_lshlrev_b32_e32 v16, 3, v16
	ds_write_b64 v16, v[6:7]
; %bb.196:
	s_or_b64 exec, exec, s[2:3]
	v_and_b32_e32 v6, 1, v34
	v_cmp_eq_u32_e32 vcc, 1, v6
	s_and_saveexec_b64 s[2:3], vcc
; %bb.197:
	v_sub_u32_e32 v6, v28, v20
	v_lshlrev_b32_e32 v6, 3, v6
	ds_write_b64 v6, v[8:9]
; %bb.198:
	s_or_b64 exec, exec, s[2:3]
	v_and_b32_e32 v6, 1, v33
	;; [unrolled: 9-line block ×4, first 2 shown]
	v_cmp_eq_u32_e32 vcc, 1, v2
	s_and_saveexec_b64 s[2:3], vcc
; %bb.203:
	v_sub_u32_e32 v2, v22, v20
	v_lshlrev_b32_e32 v2, 3, v2
	ds_write_b64 v2, v[12:13]
; %bb.204:
	s_or_b64 exec, exec, s[2:3]
	v_mov_b32_e32 v3, 0
	v_mov_b32_e32 v21, v3
	v_lshlrev_b64 v[4:5], 3, v[20:21]
	s_waitcnt lgkmcnt(0)
	v_lshl_add_u64 v[4:5], s[8:9], 0, v[4:5]
	s_lshl_b64 s[2:3], s[26:27], 3
	v_lshl_add_u64 v[4:5], v[4:5], 0, s[2:3]
	v_lshlrev_b32_e32 v6, 3, v0
	s_mov_b64 s[2:3], 0
	v_mov_b32_e32 v2, v0
	s_barrier
.LBB961_205:                            ; =>This Inner Loop Header: Depth=1
	ds_read_b64 v[8:9], v6
	v_lshl_add_u64 v[12:13], v[2:3], 3, v[4:5]
	v_add_u32_e32 v2, 0x80, v2
	v_cmp_ge_u32_e32 vcc, v2, v18
	v_add_u32_e32 v6, 0x400, v6
	s_or_b64 s[2:3], vcc, s[2:3]
	s_waitcnt lgkmcnt(0)
	global_store_dwordx2 v[12:13], v[8:9], off
	s_andn2_b64 exec, exec, s[2:3]
	s_cbranch_execnz .LBB961_205
; %bb.206:
	s_or_b64 exec, exec, s[2:3]
.LBB961_207:
	s_mov_b64 s[2:3], -1
	s_and_b64 vcc, exec, s[0:1]
	s_waitcnt lgkmcnt(0)
	s_barrier
	s_cbranch_vccnz .LBB961_211
; %bb.208:
	s_and_b64 vcc, exec, s[2:3]
	s_cbranch_vccnz .LBB961_222
.LBB961_209:
	v_cmp_eq_u32_e32 vcc, 0, v0
	s_and_b64 s[0:1], vcc, s[28:29]
	s_and_saveexec_b64 s[2:3], s[0:1]
	s_cbranch_execnz .LBB961_235
.LBB961_210:
	s_endpgm
.LBB961_211:
	v_cmp_lt_u32_e32 vcc, v30, v17
	s_or_b64 s[0:1], s[34:35], vcc
	v_cmp_eq_u32_e32 vcc, 1, v15
	s_and_b64 s[2:3], s[0:1], vcc
	s_and_saveexec_b64 s[0:1], s[2:3]
	s_cbranch_execz .LBB961_213
; %bb.212:
	s_lshl_b64 s[2:3], s[26:27], 3
	s_add_u32 s2, s10, s2
	s_addc_u32 s3, s11, s3
	v_mov_b32_e32 v31, 0
	v_lshl_add_u64 v[2:3], v[30:31], 3, s[2:3]
	global_store_dwordx2 v[2:3], v[56:57], off
.LBB961_213:
	s_or_b64 exec, exec, s[0:1]
	v_cmp_lt_u32_e32 vcc, v28, v17
	v_and_b32_e32 v2, 1, v34
	s_or_b64 s[0:1], s[34:35], vcc
	v_cmp_eq_u32_e32 vcc, 1, v2
	s_and_b64 s[2:3], s[0:1], vcc
	s_and_saveexec_b64 s[0:1], s[2:3]
	s_cbranch_execz .LBB961_215
; %bb.214:
	s_lshl_b64 s[2:3], s[26:27], 3
	s_add_u32 s2, s10, s2
	s_addc_u32 s3, s11, s3
	v_mov_b32_e32 v29, 0
	v_lshl_add_u64 v[2:3], v[28:29], 3, s[2:3]
	global_store_dwordx2 v[2:3], v[58:59], off
.LBB961_215:
	s_or_b64 exec, exec, s[0:1]
	v_cmp_lt_u32_e32 vcc, v26, v17
	v_and_b32_e32 v2, 1, v33
	;; [unrolled: 16-line block ×4, first 2 shown]
	s_or_b64 s[0:1], s[34:35], vcc
	v_cmp_eq_u32_e32 vcc, 1, v2
	s_and_b64 s[2:3], s[0:1], vcc
	s_and_saveexec_b64 s[0:1], s[2:3]
	s_cbranch_execz .LBB961_221
; %bb.220:
	s_lshl_b64 s[2:3], s[26:27], 3
	s_add_u32 s2, s10, s2
	s_addc_u32 s3, s11, s3
	v_mov_b32_e32 v23, 0
	v_lshl_add_u64 v[2:3], v[22:23], 3, s[2:3]
	global_store_dwordx2 v[2:3], v[10:11], off
.LBB961_221:
	s_or_b64 exec, exec, s[0:1]
	s_branch .LBB961_209
.LBB961_222:
	v_cmp_eq_u32_e32 vcc, 1, v15
	s_and_saveexec_b64 s[0:1], vcc
; %bb.223:
	v_sub_u32_e32 v2, v30, v20
	v_lshlrev_b32_e32 v2, 3, v2
	ds_write_b64 v2, v[56:57]
; %bb.224:
	s_or_b64 exec, exec, s[0:1]
	v_and_b32_e32 v2, 1, v34
	v_cmp_eq_u32_e32 vcc, 1, v2
	s_and_saveexec_b64 s[0:1], vcc
; %bb.225:
	v_sub_u32_e32 v2, v28, v20
	v_lshlrev_b32_e32 v2, 3, v2
	ds_write_b64 v2, v[58:59]
; %bb.226:
	s_or_b64 exec, exec, s[0:1]
	v_and_b32_e32 v2, 1, v33
	;; [unrolled: 9-line block ×4, first 2 shown]
	v_cmp_eq_u32_e32 vcc, 1, v2
	s_and_saveexec_b64 s[0:1], vcc
; %bb.231:
	v_sub_u32_e32 v2, v22, v20
	v_lshlrev_b32_e32 v2, 3, v2
	ds_write_b64 v2, v[10:11]
; %bb.232:
	s_or_b64 exec, exec, s[0:1]
	v_mov_b32_e32 v3, 0
	v_mov_b32_e32 v21, v3
	v_lshlrev_b64 v[4:5], 3, v[20:21]
	v_lshl_add_u64 v[4:5], s[10:11], 0, v[4:5]
	s_lshl_b64 s[0:1], s[26:27], 3
	v_lshl_add_u64 v[4:5], v[4:5], 0, s[0:1]
	s_mov_b64 s[0:1], 0
	v_mov_b32_e32 v2, v0
	s_waitcnt lgkmcnt(0)
	s_barrier
.LBB961_233:                            ; =>This Inner Loop Header: Depth=1
	ds_read_b64 v[6:7], v1
	v_lshl_add_u64 v[8:9], v[2:3], 3, v[4:5]
	v_add_u32_e32 v2, 0x80, v2
	v_cmp_ge_u32_e32 vcc, v2, v18
	v_add_u32_e32 v1, 0x400, v1
	s_or_b64 s[0:1], vcc, s[0:1]
	s_waitcnt lgkmcnt(0)
	global_store_dwordx2 v[8:9], v[6:7], off
	s_andn2_b64 exec, exec, s[0:1]
	s_cbranch_execnz .LBB961_233
; %bb.234:
	s_or_b64 exec, exec, s[0:1]
	v_cmp_eq_u32_e32 vcc, 0, v0
	s_and_b64 s[0:1], vcc, s[28:29]
	s_and_saveexec_b64 s[2:3], s[0:1]
	s_cbranch_execz .LBB961_210
.LBB961_235:
	v_mov_b32_e32 v19, 0
	v_lshl_add_u64 v[0:1], s[26:27], 0, v[18:19]
	v_mov_b32_e32 v21, v19
	v_lshl_add_u64 v[0:1], v[0:1], 0, v[20:21]
	global_store_dwordx2 v19, v[0:1], s[24:25]
	s_endpgm
	.section	.rodata,"a",@progbits
	.p2align	6, 0x0
	.amdhsa_kernel _ZN7rocprim17ROCPRIM_400000_NS6detail17trampoline_kernelINS0_14default_configENS1_25partition_config_selectorILNS1_17partition_subalgoE9EllbEEZZNS1_14partition_implILS5_9ELb0ES3_jPlS8_PNS0_10empty_typeENS0_5tupleIJS8_S9_EEENSB_IJS8_SA_EEENS0_18inequality_wrapperIZN2at6native12_GLOBAL__N_124unique_dim_cuda_templateIfEESt5tupleIJNSF_6TensorESK_SK_EERKSK_lbbbEUlllE0_EEPmJS9_EEE10hipError_tPvRmT3_T4_T5_T6_T7_T9_mT8_P12ihipStream_tbDpT10_ENKUlT_T0_E_clISt17integral_constantIbLb0EES1A_EEDaS15_S16_EUlS15_E_NS1_11comp_targetILNS1_3genE0ELNS1_11target_archE4294967295ELNS1_3gpuE0ELNS1_3repE0EEENS1_30default_config_static_selectorELNS0_4arch9wavefront6targetE1EEEvT1_
		.amdhsa_group_segment_fixed_size 5128
		.amdhsa_private_segment_fixed_size 0
		.amdhsa_kernarg_size 120
		.amdhsa_user_sgpr_count 2
		.amdhsa_user_sgpr_dispatch_ptr 0
		.amdhsa_user_sgpr_queue_ptr 0
		.amdhsa_user_sgpr_kernarg_segment_ptr 1
		.amdhsa_user_sgpr_dispatch_id 0
		.amdhsa_user_sgpr_kernarg_preload_length 0
		.amdhsa_user_sgpr_kernarg_preload_offset 0
		.amdhsa_user_sgpr_private_segment_size 0
		.amdhsa_uses_dynamic_stack 0
		.amdhsa_enable_private_segment 0
		.amdhsa_system_sgpr_workgroup_id_x 1
		.amdhsa_system_sgpr_workgroup_id_y 0
		.amdhsa_system_sgpr_workgroup_id_z 0
		.amdhsa_system_sgpr_workgroup_info 0
		.amdhsa_system_vgpr_workitem_id 0
		.amdhsa_next_free_vgpr 60
		.amdhsa_next_free_sgpr 46
		.amdhsa_accum_offset 60
		.amdhsa_reserve_vcc 1
		.amdhsa_float_round_mode_32 0
		.amdhsa_float_round_mode_16_64 0
		.amdhsa_float_denorm_mode_32 3
		.amdhsa_float_denorm_mode_16_64 3
		.amdhsa_dx10_clamp 1
		.amdhsa_ieee_mode 1
		.amdhsa_fp16_overflow 0
		.amdhsa_tg_split 0
		.amdhsa_exception_fp_ieee_invalid_op 0
		.amdhsa_exception_fp_denorm_src 0
		.amdhsa_exception_fp_ieee_div_zero 0
		.amdhsa_exception_fp_ieee_overflow 0
		.amdhsa_exception_fp_ieee_underflow 0
		.amdhsa_exception_fp_ieee_inexact 0
		.amdhsa_exception_int_div_zero 0
	.end_amdhsa_kernel
	.section	.text._ZN7rocprim17ROCPRIM_400000_NS6detail17trampoline_kernelINS0_14default_configENS1_25partition_config_selectorILNS1_17partition_subalgoE9EllbEEZZNS1_14partition_implILS5_9ELb0ES3_jPlS8_PNS0_10empty_typeENS0_5tupleIJS8_S9_EEENSB_IJS8_SA_EEENS0_18inequality_wrapperIZN2at6native12_GLOBAL__N_124unique_dim_cuda_templateIfEESt5tupleIJNSF_6TensorESK_SK_EERKSK_lbbbEUlllE0_EEPmJS9_EEE10hipError_tPvRmT3_T4_T5_T6_T7_T9_mT8_P12ihipStream_tbDpT10_ENKUlT_T0_E_clISt17integral_constantIbLb0EES1A_EEDaS15_S16_EUlS15_E_NS1_11comp_targetILNS1_3genE0ELNS1_11target_archE4294967295ELNS1_3gpuE0ELNS1_3repE0EEENS1_30default_config_static_selectorELNS0_4arch9wavefront6targetE1EEEvT1_,"axG",@progbits,_ZN7rocprim17ROCPRIM_400000_NS6detail17trampoline_kernelINS0_14default_configENS1_25partition_config_selectorILNS1_17partition_subalgoE9EllbEEZZNS1_14partition_implILS5_9ELb0ES3_jPlS8_PNS0_10empty_typeENS0_5tupleIJS8_S9_EEENSB_IJS8_SA_EEENS0_18inequality_wrapperIZN2at6native12_GLOBAL__N_124unique_dim_cuda_templateIfEESt5tupleIJNSF_6TensorESK_SK_EERKSK_lbbbEUlllE0_EEPmJS9_EEE10hipError_tPvRmT3_T4_T5_T6_T7_T9_mT8_P12ihipStream_tbDpT10_ENKUlT_T0_E_clISt17integral_constantIbLb0EES1A_EEDaS15_S16_EUlS15_E_NS1_11comp_targetILNS1_3genE0ELNS1_11target_archE4294967295ELNS1_3gpuE0ELNS1_3repE0EEENS1_30default_config_static_selectorELNS0_4arch9wavefront6targetE1EEEvT1_,comdat
.Lfunc_end961:
	.size	_ZN7rocprim17ROCPRIM_400000_NS6detail17trampoline_kernelINS0_14default_configENS1_25partition_config_selectorILNS1_17partition_subalgoE9EllbEEZZNS1_14partition_implILS5_9ELb0ES3_jPlS8_PNS0_10empty_typeENS0_5tupleIJS8_S9_EEENSB_IJS8_SA_EEENS0_18inequality_wrapperIZN2at6native12_GLOBAL__N_124unique_dim_cuda_templateIfEESt5tupleIJNSF_6TensorESK_SK_EERKSK_lbbbEUlllE0_EEPmJS9_EEE10hipError_tPvRmT3_T4_T5_T6_T7_T9_mT8_P12ihipStream_tbDpT10_ENKUlT_T0_E_clISt17integral_constantIbLb0EES1A_EEDaS15_S16_EUlS15_E_NS1_11comp_targetILNS1_3genE0ELNS1_11target_archE4294967295ELNS1_3gpuE0ELNS1_3repE0EEENS1_30default_config_static_selectorELNS0_4arch9wavefront6targetE1EEEvT1_, .Lfunc_end961-_ZN7rocprim17ROCPRIM_400000_NS6detail17trampoline_kernelINS0_14default_configENS1_25partition_config_selectorILNS1_17partition_subalgoE9EllbEEZZNS1_14partition_implILS5_9ELb0ES3_jPlS8_PNS0_10empty_typeENS0_5tupleIJS8_S9_EEENSB_IJS8_SA_EEENS0_18inequality_wrapperIZN2at6native12_GLOBAL__N_124unique_dim_cuda_templateIfEESt5tupleIJNSF_6TensorESK_SK_EERKSK_lbbbEUlllE0_EEPmJS9_EEE10hipError_tPvRmT3_T4_T5_T6_T7_T9_mT8_P12ihipStream_tbDpT10_ENKUlT_T0_E_clISt17integral_constantIbLb0EES1A_EEDaS15_S16_EUlS15_E_NS1_11comp_targetILNS1_3genE0ELNS1_11target_archE4294967295ELNS1_3gpuE0ELNS1_3repE0EEENS1_30default_config_static_selectorELNS0_4arch9wavefront6targetE1EEEvT1_
                                        ; -- End function
	.set _ZN7rocprim17ROCPRIM_400000_NS6detail17trampoline_kernelINS0_14default_configENS1_25partition_config_selectorILNS1_17partition_subalgoE9EllbEEZZNS1_14partition_implILS5_9ELb0ES3_jPlS8_PNS0_10empty_typeENS0_5tupleIJS8_S9_EEENSB_IJS8_SA_EEENS0_18inequality_wrapperIZN2at6native12_GLOBAL__N_124unique_dim_cuda_templateIfEESt5tupleIJNSF_6TensorESK_SK_EERKSK_lbbbEUlllE0_EEPmJS9_EEE10hipError_tPvRmT3_T4_T5_T6_T7_T9_mT8_P12ihipStream_tbDpT10_ENKUlT_T0_E_clISt17integral_constantIbLb0EES1A_EEDaS15_S16_EUlS15_E_NS1_11comp_targetILNS1_3genE0ELNS1_11target_archE4294967295ELNS1_3gpuE0ELNS1_3repE0EEENS1_30default_config_static_selectorELNS0_4arch9wavefront6targetE1EEEvT1_.num_vgpr, 60
	.set _ZN7rocprim17ROCPRIM_400000_NS6detail17trampoline_kernelINS0_14default_configENS1_25partition_config_selectorILNS1_17partition_subalgoE9EllbEEZZNS1_14partition_implILS5_9ELb0ES3_jPlS8_PNS0_10empty_typeENS0_5tupleIJS8_S9_EEENSB_IJS8_SA_EEENS0_18inequality_wrapperIZN2at6native12_GLOBAL__N_124unique_dim_cuda_templateIfEESt5tupleIJNSF_6TensorESK_SK_EERKSK_lbbbEUlllE0_EEPmJS9_EEE10hipError_tPvRmT3_T4_T5_T6_T7_T9_mT8_P12ihipStream_tbDpT10_ENKUlT_T0_E_clISt17integral_constantIbLb0EES1A_EEDaS15_S16_EUlS15_E_NS1_11comp_targetILNS1_3genE0ELNS1_11target_archE4294967295ELNS1_3gpuE0ELNS1_3repE0EEENS1_30default_config_static_selectorELNS0_4arch9wavefront6targetE1EEEvT1_.num_agpr, 0
	.set _ZN7rocprim17ROCPRIM_400000_NS6detail17trampoline_kernelINS0_14default_configENS1_25partition_config_selectorILNS1_17partition_subalgoE9EllbEEZZNS1_14partition_implILS5_9ELb0ES3_jPlS8_PNS0_10empty_typeENS0_5tupleIJS8_S9_EEENSB_IJS8_SA_EEENS0_18inequality_wrapperIZN2at6native12_GLOBAL__N_124unique_dim_cuda_templateIfEESt5tupleIJNSF_6TensorESK_SK_EERKSK_lbbbEUlllE0_EEPmJS9_EEE10hipError_tPvRmT3_T4_T5_T6_T7_T9_mT8_P12ihipStream_tbDpT10_ENKUlT_T0_E_clISt17integral_constantIbLb0EES1A_EEDaS15_S16_EUlS15_E_NS1_11comp_targetILNS1_3genE0ELNS1_11target_archE4294967295ELNS1_3gpuE0ELNS1_3repE0EEENS1_30default_config_static_selectorELNS0_4arch9wavefront6targetE1EEEvT1_.numbered_sgpr, 46
	.set _ZN7rocprim17ROCPRIM_400000_NS6detail17trampoline_kernelINS0_14default_configENS1_25partition_config_selectorILNS1_17partition_subalgoE9EllbEEZZNS1_14partition_implILS5_9ELb0ES3_jPlS8_PNS0_10empty_typeENS0_5tupleIJS8_S9_EEENSB_IJS8_SA_EEENS0_18inequality_wrapperIZN2at6native12_GLOBAL__N_124unique_dim_cuda_templateIfEESt5tupleIJNSF_6TensorESK_SK_EERKSK_lbbbEUlllE0_EEPmJS9_EEE10hipError_tPvRmT3_T4_T5_T6_T7_T9_mT8_P12ihipStream_tbDpT10_ENKUlT_T0_E_clISt17integral_constantIbLb0EES1A_EEDaS15_S16_EUlS15_E_NS1_11comp_targetILNS1_3genE0ELNS1_11target_archE4294967295ELNS1_3gpuE0ELNS1_3repE0EEENS1_30default_config_static_selectorELNS0_4arch9wavefront6targetE1EEEvT1_.num_named_barrier, 0
	.set _ZN7rocprim17ROCPRIM_400000_NS6detail17trampoline_kernelINS0_14default_configENS1_25partition_config_selectorILNS1_17partition_subalgoE9EllbEEZZNS1_14partition_implILS5_9ELb0ES3_jPlS8_PNS0_10empty_typeENS0_5tupleIJS8_S9_EEENSB_IJS8_SA_EEENS0_18inequality_wrapperIZN2at6native12_GLOBAL__N_124unique_dim_cuda_templateIfEESt5tupleIJNSF_6TensorESK_SK_EERKSK_lbbbEUlllE0_EEPmJS9_EEE10hipError_tPvRmT3_T4_T5_T6_T7_T9_mT8_P12ihipStream_tbDpT10_ENKUlT_T0_E_clISt17integral_constantIbLb0EES1A_EEDaS15_S16_EUlS15_E_NS1_11comp_targetILNS1_3genE0ELNS1_11target_archE4294967295ELNS1_3gpuE0ELNS1_3repE0EEENS1_30default_config_static_selectorELNS0_4arch9wavefront6targetE1EEEvT1_.private_seg_size, 0
	.set _ZN7rocprim17ROCPRIM_400000_NS6detail17trampoline_kernelINS0_14default_configENS1_25partition_config_selectorILNS1_17partition_subalgoE9EllbEEZZNS1_14partition_implILS5_9ELb0ES3_jPlS8_PNS0_10empty_typeENS0_5tupleIJS8_S9_EEENSB_IJS8_SA_EEENS0_18inequality_wrapperIZN2at6native12_GLOBAL__N_124unique_dim_cuda_templateIfEESt5tupleIJNSF_6TensorESK_SK_EERKSK_lbbbEUlllE0_EEPmJS9_EEE10hipError_tPvRmT3_T4_T5_T6_T7_T9_mT8_P12ihipStream_tbDpT10_ENKUlT_T0_E_clISt17integral_constantIbLb0EES1A_EEDaS15_S16_EUlS15_E_NS1_11comp_targetILNS1_3genE0ELNS1_11target_archE4294967295ELNS1_3gpuE0ELNS1_3repE0EEENS1_30default_config_static_selectorELNS0_4arch9wavefront6targetE1EEEvT1_.uses_vcc, 1
	.set _ZN7rocprim17ROCPRIM_400000_NS6detail17trampoline_kernelINS0_14default_configENS1_25partition_config_selectorILNS1_17partition_subalgoE9EllbEEZZNS1_14partition_implILS5_9ELb0ES3_jPlS8_PNS0_10empty_typeENS0_5tupleIJS8_S9_EEENSB_IJS8_SA_EEENS0_18inequality_wrapperIZN2at6native12_GLOBAL__N_124unique_dim_cuda_templateIfEESt5tupleIJNSF_6TensorESK_SK_EERKSK_lbbbEUlllE0_EEPmJS9_EEE10hipError_tPvRmT3_T4_T5_T6_T7_T9_mT8_P12ihipStream_tbDpT10_ENKUlT_T0_E_clISt17integral_constantIbLb0EES1A_EEDaS15_S16_EUlS15_E_NS1_11comp_targetILNS1_3genE0ELNS1_11target_archE4294967295ELNS1_3gpuE0ELNS1_3repE0EEENS1_30default_config_static_selectorELNS0_4arch9wavefront6targetE1EEEvT1_.uses_flat_scratch, 0
	.set _ZN7rocprim17ROCPRIM_400000_NS6detail17trampoline_kernelINS0_14default_configENS1_25partition_config_selectorILNS1_17partition_subalgoE9EllbEEZZNS1_14partition_implILS5_9ELb0ES3_jPlS8_PNS0_10empty_typeENS0_5tupleIJS8_S9_EEENSB_IJS8_SA_EEENS0_18inequality_wrapperIZN2at6native12_GLOBAL__N_124unique_dim_cuda_templateIfEESt5tupleIJNSF_6TensorESK_SK_EERKSK_lbbbEUlllE0_EEPmJS9_EEE10hipError_tPvRmT3_T4_T5_T6_T7_T9_mT8_P12ihipStream_tbDpT10_ENKUlT_T0_E_clISt17integral_constantIbLb0EES1A_EEDaS15_S16_EUlS15_E_NS1_11comp_targetILNS1_3genE0ELNS1_11target_archE4294967295ELNS1_3gpuE0ELNS1_3repE0EEENS1_30default_config_static_selectorELNS0_4arch9wavefront6targetE1EEEvT1_.has_dyn_sized_stack, 0
	.set _ZN7rocprim17ROCPRIM_400000_NS6detail17trampoline_kernelINS0_14default_configENS1_25partition_config_selectorILNS1_17partition_subalgoE9EllbEEZZNS1_14partition_implILS5_9ELb0ES3_jPlS8_PNS0_10empty_typeENS0_5tupleIJS8_S9_EEENSB_IJS8_SA_EEENS0_18inequality_wrapperIZN2at6native12_GLOBAL__N_124unique_dim_cuda_templateIfEESt5tupleIJNSF_6TensorESK_SK_EERKSK_lbbbEUlllE0_EEPmJS9_EEE10hipError_tPvRmT3_T4_T5_T6_T7_T9_mT8_P12ihipStream_tbDpT10_ENKUlT_T0_E_clISt17integral_constantIbLb0EES1A_EEDaS15_S16_EUlS15_E_NS1_11comp_targetILNS1_3genE0ELNS1_11target_archE4294967295ELNS1_3gpuE0ELNS1_3repE0EEENS1_30default_config_static_selectorELNS0_4arch9wavefront6targetE1EEEvT1_.has_recursion, 0
	.set _ZN7rocprim17ROCPRIM_400000_NS6detail17trampoline_kernelINS0_14default_configENS1_25partition_config_selectorILNS1_17partition_subalgoE9EllbEEZZNS1_14partition_implILS5_9ELb0ES3_jPlS8_PNS0_10empty_typeENS0_5tupleIJS8_S9_EEENSB_IJS8_SA_EEENS0_18inequality_wrapperIZN2at6native12_GLOBAL__N_124unique_dim_cuda_templateIfEESt5tupleIJNSF_6TensorESK_SK_EERKSK_lbbbEUlllE0_EEPmJS9_EEE10hipError_tPvRmT3_T4_T5_T6_T7_T9_mT8_P12ihipStream_tbDpT10_ENKUlT_T0_E_clISt17integral_constantIbLb0EES1A_EEDaS15_S16_EUlS15_E_NS1_11comp_targetILNS1_3genE0ELNS1_11target_archE4294967295ELNS1_3gpuE0ELNS1_3repE0EEENS1_30default_config_static_selectorELNS0_4arch9wavefront6targetE1EEEvT1_.has_indirect_call, 0
	.section	.AMDGPU.csdata,"",@progbits
; Kernel info:
; codeLenInByte = 9496
; TotalNumSgprs: 52
; NumVgprs: 60
; NumAgprs: 0
; TotalNumVgprs: 60
; ScratchSize: 0
; MemoryBound: 0
; FloatMode: 240
; IeeeMode: 1
; LDSByteSize: 5128 bytes/workgroup (compile time only)
; SGPRBlocks: 6
; VGPRBlocks: 7
; NumSGPRsForWavesPerEU: 52
; NumVGPRsForWavesPerEU: 60
; AccumOffset: 60
; Occupancy: 8
; WaveLimiterHint : 1
; COMPUTE_PGM_RSRC2:SCRATCH_EN: 0
; COMPUTE_PGM_RSRC2:USER_SGPR: 2
; COMPUTE_PGM_RSRC2:TRAP_HANDLER: 0
; COMPUTE_PGM_RSRC2:TGID_X_EN: 1
; COMPUTE_PGM_RSRC2:TGID_Y_EN: 0
; COMPUTE_PGM_RSRC2:TGID_Z_EN: 0
; COMPUTE_PGM_RSRC2:TIDIG_COMP_CNT: 0
; COMPUTE_PGM_RSRC3_GFX90A:ACCUM_OFFSET: 14
; COMPUTE_PGM_RSRC3_GFX90A:TG_SPLIT: 0
	.section	.text._ZN7rocprim17ROCPRIM_400000_NS6detail17trampoline_kernelINS0_14default_configENS1_25partition_config_selectorILNS1_17partition_subalgoE9EllbEEZZNS1_14partition_implILS5_9ELb0ES3_jPlS8_PNS0_10empty_typeENS0_5tupleIJS8_S9_EEENSB_IJS8_SA_EEENS0_18inequality_wrapperIZN2at6native12_GLOBAL__N_124unique_dim_cuda_templateIfEESt5tupleIJNSF_6TensorESK_SK_EERKSK_lbbbEUlllE0_EEPmJS9_EEE10hipError_tPvRmT3_T4_T5_T6_T7_T9_mT8_P12ihipStream_tbDpT10_ENKUlT_T0_E_clISt17integral_constantIbLb0EES1A_EEDaS15_S16_EUlS15_E_NS1_11comp_targetILNS1_3genE5ELNS1_11target_archE942ELNS1_3gpuE9ELNS1_3repE0EEENS1_30default_config_static_selectorELNS0_4arch9wavefront6targetE1EEEvT1_,"axG",@progbits,_ZN7rocprim17ROCPRIM_400000_NS6detail17trampoline_kernelINS0_14default_configENS1_25partition_config_selectorILNS1_17partition_subalgoE9EllbEEZZNS1_14partition_implILS5_9ELb0ES3_jPlS8_PNS0_10empty_typeENS0_5tupleIJS8_S9_EEENSB_IJS8_SA_EEENS0_18inequality_wrapperIZN2at6native12_GLOBAL__N_124unique_dim_cuda_templateIfEESt5tupleIJNSF_6TensorESK_SK_EERKSK_lbbbEUlllE0_EEPmJS9_EEE10hipError_tPvRmT3_T4_T5_T6_T7_T9_mT8_P12ihipStream_tbDpT10_ENKUlT_T0_E_clISt17integral_constantIbLb0EES1A_EEDaS15_S16_EUlS15_E_NS1_11comp_targetILNS1_3genE5ELNS1_11target_archE942ELNS1_3gpuE9ELNS1_3repE0EEENS1_30default_config_static_selectorELNS0_4arch9wavefront6targetE1EEEvT1_,comdat
	.globl	_ZN7rocprim17ROCPRIM_400000_NS6detail17trampoline_kernelINS0_14default_configENS1_25partition_config_selectorILNS1_17partition_subalgoE9EllbEEZZNS1_14partition_implILS5_9ELb0ES3_jPlS8_PNS0_10empty_typeENS0_5tupleIJS8_S9_EEENSB_IJS8_SA_EEENS0_18inequality_wrapperIZN2at6native12_GLOBAL__N_124unique_dim_cuda_templateIfEESt5tupleIJNSF_6TensorESK_SK_EERKSK_lbbbEUlllE0_EEPmJS9_EEE10hipError_tPvRmT3_T4_T5_T6_T7_T9_mT8_P12ihipStream_tbDpT10_ENKUlT_T0_E_clISt17integral_constantIbLb0EES1A_EEDaS15_S16_EUlS15_E_NS1_11comp_targetILNS1_3genE5ELNS1_11target_archE942ELNS1_3gpuE9ELNS1_3repE0EEENS1_30default_config_static_selectorELNS0_4arch9wavefront6targetE1EEEvT1_ ; -- Begin function _ZN7rocprim17ROCPRIM_400000_NS6detail17trampoline_kernelINS0_14default_configENS1_25partition_config_selectorILNS1_17partition_subalgoE9EllbEEZZNS1_14partition_implILS5_9ELb0ES3_jPlS8_PNS0_10empty_typeENS0_5tupleIJS8_S9_EEENSB_IJS8_SA_EEENS0_18inequality_wrapperIZN2at6native12_GLOBAL__N_124unique_dim_cuda_templateIfEESt5tupleIJNSF_6TensorESK_SK_EERKSK_lbbbEUlllE0_EEPmJS9_EEE10hipError_tPvRmT3_T4_T5_T6_T7_T9_mT8_P12ihipStream_tbDpT10_ENKUlT_T0_E_clISt17integral_constantIbLb0EES1A_EEDaS15_S16_EUlS15_E_NS1_11comp_targetILNS1_3genE5ELNS1_11target_archE942ELNS1_3gpuE9ELNS1_3repE0EEENS1_30default_config_static_selectorELNS0_4arch9wavefront6targetE1EEEvT1_
	.p2align	8
	.type	_ZN7rocprim17ROCPRIM_400000_NS6detail17trampoline_kernelINS0_14default_configENS1_25partition_config_selectorILNS1_17partition_subalgoE9EllbEEZZNS1_14partition_implILS5_9ELb0ES3_jPlS8_PNS0_10empty_typeENS0_5tupleIJS8_S9_EEENSB_IJS8_SA_EEENS0_18inequality_wrapperIZN2at6native12_GLOBAL__N_124unique_dim_cuda_templateIfEESt5tupleIJNSF_6TensorESK_SK_EERKSK_lbbbEUlllE0_EEPmJS9_EEE10hipError_tPvRmT3_T4_T5_T6_T7_T9_mT8_P12ihipStream_tbDpT10_ENKUlT_T0_E_clISt17integral_constantIbLb0EES1A_EEDaS15_S16_EUlS15_E_NS1_11comp_targetILNS1_3genE5ELNS1_11target_archE942ELNS1_3gpuE9ELNS1_3repE0EEENS1_30default_config_static_selectorELNS0_4arch9wavefront6targetE1EEEvT1_,@function
_ZN7rocprim17ROCPRIM_400000_NS6detail17trampoline_kernelINS0_14default_configENS1_25partition_config_selectorILNS1_17partition_subalgoE9EllbEEZZNS1_14partition_implILS5_9ELb0ES3_jPlS8_PNS0_10empty_typeENS0_5tupleIJS8_S9_EEENSB_IJS8_SA_EEENS0_18inequality_wrapperIZN2at6native12_GLOBAL__N_124unique_dim_cuda_templateIfEESt5tupleIJNSF_6TensorESK_SK_EERKSK_lbbbEUlllE0_EEPmJS9_EEE10hipError_tPvRmT3_T4_T5_T6_T7_T9_mT8_P12ihipStream_tbDpT10_ENKUlT_T0_E_clISt17integral_constantIbLb0EES1A_EEDaS15_S16_EUlS15_E_NS1_11comp_targetILNS1_3genE5ELNS1_11target_archE942ELNS1_3gpuE9ELNS1_3repE0EEENS1_30default_config_static_selectorELNS0_4arch9wavefront6targetE1EEEvT1_: ; @_ZN7rocprim17ROCPRIM_400000_NS6detail17trampoline_kernelINS0_14default_configENS1_25partition_config_selectorILNS1_17partition_subalgoE9EllbEEZZNS1_14partition_implILS5_9ELb0ES3_jPlS8_PNS0_10empty_typeENS0_5tupleIJS8_S9_EEENSB_IJS8_SA_EEENS0_18inequality_wrapperIZN2at6native12_GLOBAL__N_124unique_dim_cuda_templateIfEESt5tupleIJNSF_6TensorESK_SK_EERKSK_lbbbEUlllE0_EEPmJS9_EEE10hipError_tPvRmT3_T4_T5_T6_T7_T9_mT8_P12ihipStream_tbDpT10_ENKUlT_T0_E_clISt17integral_constantIbLb0EES1A_EEDaS15_S16_EUlS15_E_NS1_11comp_targetILNS1_3genE5ELNS1_11target_archE942ELNS1_3gpuE9ELNS1_3repE0EEENS1_30default_config_static_selectorELNS0_4arch9wavefront6targetE1EEEvT1_
; %bb.0:
	.section	.rodata,"a",@progbits
	.p2align	6, 0x0
	.amdhsa_kernel _ZN7rocprim17ROCPRIM_400000_NS6detail17trampoline_kernelINS0_14default_configENS1_25partition_config_selectorILNS1_17partition_subalgoE9EllbEEZZNS1_14partition_implILS5_9ELb0ES3_jPlS8_PNS0_10empty_typeENS0_5tupleIJS8_S9_EEENSB_IJS8_SA_EEENS0_18inequality_wrapperIZN2at6native12_GLOBAL__N_124unique_dim_cuda_templateIfEESt5tupleIJNSF_6TensorESK_SK_EERKSK_lbbbEUlllE0_EEPmJS9_EEE10hipError_tPvRmT3_T4_T5_T6_T7_T9_mT8_P12ihipStream_tbDpT10_ENKUlT_T0_E_clISt17integral_constantIbLb0EES1A_EEDaS15_S16_EUlS15_E_NS1_11comp_targetILNS1_3genE5ELNS1_11target_archE942ELNS1_3gpuE9ELNS1_3repE0EEENS1_30default_config_static_selectorELNS0_4arch9wavefront6targetE1EEEvT1_
		.amdhsa_group_segment_fixed_size 0
		.amdhsa_private_segment_fixed_size 0
		.amdhsa_kernarg_size 120
		.amdhsa_user_sgpr_count 2
		.amdhsa_user_sgpr_dispatch_ptr 0
		.amdhsa_user_sgpr_queue_ptr 0
		.amdhsa_user_sgpr_kernarg_segment_ptr 1
		.amdhsa_user_sgpr_dispatch_id 0
		.amdhsa_user_sgpr_kernarg_preload_length 0
		.amdhsa_user_sgpr_kernarg_preload_offset 0
		.amdhsa_user_sgpr_private_segment_size 0
		.amdhsa_uses_dynamic_stack 0
		.amdhsa_enable_private_segment 0
		.amdhsa_system_sgpr_workgroup_id_x 1
		.amdhsa_system_sgpr_workgroup_id_y 0
		.amdhsa_system_sgpr_workgroup_id_z 0
		.amdhsa_system_sgpr_workgroup_info 0
		.amdhsa_system_vgpr_workitem_id 0
		.amdhsa_next_free_vgpr 1
		.amdhsa_next_free_sgpr 0
		.amdhsa_accum_offset 4
		.amdhsa_reserve_vcc 0
		.amdhsa_float_round_mode_32 0
		.amdhsa_float_round_mode_16_64 0
		.amdhsa_float_denorm_mode_32 3
		.amdhsa_float_denorm_mode_16_64 3
		.amdhsa_dx10_clamp 1
		.amdhsa_ieee_mode 1
		.amdhsa_fp16_overflow 0
		.amdhsa_tg_split 0
		.amdhsa_exception_fp_ieee_invalid_op 0
		.amdhsa_exception_fp_denorm_src 0
		.amdhsa_exception_fp_ieee_div_zero 0
		.amdhsa_exception_fp_ieee_overflow 0
		.amdhsa_exception_fp_ieee_underflow 0
		.amdhsa_exception_fp_ieee_inexact 0
		.amdhsa_exception_int_div_zero 0
	.end_amdhsa_kernel
	.section	.text._ZN7rocprim17ROCPRIM_400000_NS6detail17trampoline_kernelINS0_14default_configENS1_25partition_config_selectorILNS1_17partition_subalgoE9EllbEEZZNS1_14partition_implILS5_9ELb0ES3_jPlS8_PNS0_10empty_typeENS0_5tupleIJS8_S9_EEENSB_IJS8_SA_EEENS0_18inequality_wrapperIZN2at6native12_GLOBAL__N_124unique_dim_cuda_templateIfEESt5tupleIJNSF_6TensorESK_SK_EERKSK_lbbbEUlllE0_EEPmJS9_EEE10hipError_tPvRmT3_T4_T5_T6_T7_T9_mT8_P12ihipStream_tbDpT10_ENKUlT_T0_E_clISt17integral_constantIbLb0EES1A_EEDaS15_S16_EUlS15_E_NS1_11comp_targetILNS1_3genE5ELNS1_11target_archE942ELNS1_3gpuE9ELNS1_3repE0EEENS1_30default_config_static_selectorELNS0_4arch9wavefront6targetE1EEEvT1_,"axG",@progbits,_ZN7rocprim17ROCPRIM_400000_NS6detail17trampoline_kernelINS0_14default_configENS1_25partition_config_selectorILNS1_17partition_subalgoE9EllbEEZZNS1_14partition_implILS5_9ELb0ES3_jPlS8_PNS0_10empty_typeENS0_5tupleIJS8_S9_EEENSB_IJS8_SA_EEENS0_18inequality_wrapperIZN2at6native12_GLOBAL__N_124unique_dim_cuda_templateIfEESt5tupleIJNSF_6TensorESK_SK_EERKSK_lbbbEUlllE0_EEPmJS9_EEE10hipError_tPvRmT3_T4_T5_T6_T7_T9_mT8_P12ihipStream_tbDpT10_ENKUlT_T0_E_clISt17integral_constantIbLb0EES1A_EEDaS15_S16_EUlS15_E_NS1_11comp_targetILNS1_3genE5ELNS1_11target_archE942ELNS1_3gpuE9ELNS1_3repE0EEENS1_30default_config_static_selectorELNS0_4arch9wavefront6targetE1EEEvT1_,comdat
.Lfunc_end962:
	.size	_ZN7rocprim17ROCPRIM_400000_NS6detail17trampoline_kernelINS0_14default_configENS1_25partition_config_selectorILNS1_17partition_subalgoE9EllbEEZZNS1_14partition_implILS5_9ELb0ES3_jPlS8_PNS0_10empty_typeENS0_5tupleIJS8_S9_EEENSB_IJS8_SA_EEENS0_18inequality_wrapperIZN2at6native12_GLOBAL__N_124unique_dim_cuda_templateIfEESt5tupleIJNSF_6TensorESK_SK_EERKSK_lbbbEUlllE0_EEPmJS9_EEE10hipError_tPvRmT3_T4_T5_T6_T7_T9_mT8_P12ihipStream_tbDpT10_ENKUlT_T0_E_clISt17integral_constantIbLb0EES1A_EEDaS15_S16_EUlS15_E_NS1_11comp_targetILNS1_3genE5ELNS1_11target_archE942ELNS1_3gpuE9ELNS1_3repE0EEENS1_30default_config_static_selectorELNS0_4arch9wavefront6targetE1EEEvT1_, .Lfunc_end962-_ZN7rocprim17ROCPRIM_400000_NS6detail17trampoline_kernelINS0_14default_configENS1_25partition_config_selectorILNS1_17partition_subalgoE9EllbEEZZNS1_14partition_implILS5_9ELb0ES3_jPlS8_PNS0_10empty_typeENS0_5tupleIJS8_S9_EEENSB_IJS8_SA_EEENS0_18inequality_wrapperIZN2at6native12_GLOBAL__N_124unique_dim_cuda_templateIfEESt5tupleIJNSF_6TensorESK_SK_EERKSK_lbbbEUlllE0_EEPmJS9_EEE10hipError_tPvRmT3_T4_T5_T6_T7_T9_mT8_P12ihipStream_tbDpT10_ENKUlT_T0_E_clISt17integral_constantIbLb0EES1A_EEDaS15_S16_EUlS15_E_NS1_11comp_targetILNS1_3genE5ELNS1_11target_archE942ELNS1_3gpuE9ELNS1_3repE0EEENS1_30default_config_static_selectorELNS0_4arch9wavefront6targetE1EEEvT1_
                                        ; -- End function
	.set _ZN7rocprim17ROCPRIM_400000_NS6detail17trampoline_kernelINS0_14default_configENS1_25partition_config_selectorILNS1_17partition_subalgoE9EllbEEZZNS1_14partition_implILS5_9ELb0ES3_jPlS8_PNS0_10empty_typeENS0_5tupleIJS8_S9_EEENSB_IJS8_SA_EEENS0_18inequality_wrapperIZN2at6native12_GLOBAL__N_124unique_dim_cuda_templateIfEESt5tupleIJNSF_6TensorESK_SK_EERKSK_lbbbEUlllE0_EEPmJS9_EEE10hipError_tPvRmT3_T4_T5_T6_T7_T9_mT8_P12ihipStream_tbDpT10_ENKUlT_T0_E_clISt17integral_constantIbLb0EES1A_EEDaS15_S16_EUlS15_E_NS1_11comp_targetILNS1_3genE5ELNS1_11target_archE942ELNS1_3gpuE9ELNS1_3repE0EEENS1_30default_config_static_selectorELNS0_4arch9wavefront6targetE1EEEvT1_.num_vgpr, 0
	.set _ZN7rocprim17ROCPRIM_400000_NS6detail17trampoline_kernelINS0_14default_configENS1_25partition_config_selectorILNS1_17partition_subalgoE9EllbEEZZNS1_14partition_implILS5_9ELb0ES3_jPlS8_PNS0_10empty_typeENS0_5tupleIJS8_S9_EEENSB_IJS8_SA_EEENS0_18inequality_wrapperIZN2at6native12_GLOBAL__N_124unique_dim_cuda_templateIfEESt5tupleIJNSF_6TensorESK_SK_EERKSK_lbbbEUlllE0_EEPmJS9_EEE10hipError_tPvRmT3_T4_T5_T6_T7_T9_mT8_P12ihipStream_tbDpT10_ENKUlT_T0_E_clISt17integral_constantIbLb0EES1A_EEDaS15_S16_EUlS15_E_NS1_11comp_targetILNS1_3genE5ELNS1_11target_archE942ELNS1_3gpuE9ELNS1_3repE0EEENS1_30default_config_static_selectorELNS0_4arch9wavefront6targetE1EEEvT1_.num_agpr, 0
	.set _ZN7rocprim17ROCPRIM_400000_NS6detail17trampoline_kernelINS0_14default_configENS1_25partition_config_selectorILNS1_17partition_subalgoE9EllbEEZZNS1_14partition_implILS5_9ELb0ES3_jPlS8_PNS0_10empty_typeENS0_5tupleIJS8_S9_EEENSB_IJS8_SA_EEENS0_18inequality_wrapperIZN2at6native12_GLOBAL__N_124unique_dim_cuda_templateIfEESt5tupleIJNSF_6TensorESK_SK_EERKSK_lbbbEUlllE0_EEPmJS9_EEE10hipError_tPvRmT3_T4_T5_T6_T7_T9_mT8_P12ihipStream_tbDpT10_ENKUlT_T0_E_clISt17integral_constantIbLb0EES1A_EEDaS15_S16_EUlS15_E_NS1_11comp_targetILNS1_3genE5ELNS1_11target_archE942ELNS1_3gpuE9ELNS1_3repE0EEENS1_30default_config_static_selectorELNS0_4arch9wavefront6targetE1EEEvT1_.numbered_sgpr, 0
	.set _ZN7rocprim17ROCPRIM_400000_NS6detail17trampoline_kernelINS0_14default_configENS1_25partition_config_selectorILNS1_17partition_subalgoE9EllbEEZZNS1_14partition_implILS5_9ELb0ES3_jPlS8_PNS0_10empty_typeENS0_5tupleIJS8_S9_EEENSB_IJS8_SA_EEENS0_18inequality_wrapperIZN2at6native12_GLOBAL__N_124unique_dim_cuda_templateIfEESt5tupleIJNSF_6TensorESK_SK_EERKSK_lbbbEUlllE0_EEPmJS9_EEE10hipError_tPvRmT3_T4_T5_T6_T7_T9_mT8_P12ihipStream_tbDpT10_ENKUlT_T0_E_clISt17integral_constantIbLb0EES1A_EEDaS15_S16_EUlS15_E_NS1_11comp_targetILNS1_3genE5ELNS1_11target_archE942ELNS1_3gpuE9ELNS1_3repE0EEENS1_30default_config_static_selectorELNS0_4arch9wavefront6targetE1EEEvT1_.num_named_barrier, 0
	.set _ZN7rocprim17ROCPRIM_400000_NS6detail17trampoline_kernelINS0_14default_configENS1_25partition_config_selectorILNS1_17partition_subalgoE9EllbEEZZNS1_14partition_implILS5_9ELb0ES3_jPlS8_PNS0_10empty_typeENS0_5tupleIJS8_S9_EEENSB_IJS8_SA_EEENS0_18inequality_wrapperIZN2at6native12_GLOBAL__N_124unique_dim_cuda_templateIfEESt5tupleIJNSF_6TensorESK_SK_EERKSK_lbbbEUlllE0_EEPmJS9_EEE10hipError_tPvRmT3_T4_T5_T6_T7_T9_mT8_P12ihipStream_tbDpT10_ENKUlT_T0_E_clISt17integral_constantIbLb0EES1A_EEDaS15_S16_EUlS15_E_NS1_11comp_targetILNS1_3genE5ELNS1_11target_archE942ELNS1_3gpuE9ELNS1_3repE0EEENS1_30default_config_static_selectorELNS0_4arch9wavefront6targetE1EEEvT1_.private_seg_size, 0
	.set _ZN7rocprim17ROCPRIM_400000_NS6detail17trampoline_kernelINS0_14default_configENS1_25partition_config_selectorILNS1_17partition_subalgoE9EllbEEZZNS1_14partition_implILS5_9ELb0ES3_jPlS8_PNS0_10empty_typeENS0_5tupleIJS8_S9_EEENSB_IJS8_SA_EEENS0_18inequality_wrapperIZN2at6native12_GLOBAL__N_124unique_dim_cuda_templateIfEESt5tupleIJNSF_6TensorESK_SK_EERKSK_lbbbEUlllE0_EEPmJS9_EEE10hipError_tPvRmT3_T4_T5_T6_T7_T9_mT8_P12ihipStream_tbDpT10_ENKUlT_T0_E_clISt17integral_constantIbLb0EES1A_EEDaS15_S16_EUlS15_E_NS1_11comp_targetILNS1_3genE5ELNS1_11target_archE942ELNS1_3gpuE9ELNS1_3repE0EEENS1_30default_config_static_selectorELNS0_4arch9wavefront6targetE1EEEvT1_.uses_vcc, 0
	.set _ZN7rocprim17ROCPRIM_400000_NS6detail17trampoline_kernelINS0_14default_configENS1_25partition_config_selectorILNS1_17partition_subalgoE9EllbEEZZNS1_14partition_implILS5_9ELb0ES3_jPlS8_PNS0_10empty_typeENS0_5tupleIJS8_S9_EEENSB_IJS8_SA_EEENS0_18inequality_wrapperIZN2at6native12_GLOBAL__N_124unique_dim_cuda_templateIfEESt5tupleIJNSF_6TensorESK_SK_EERKSK_lbbbEUlllE0_EEPmJS9_EEE10hipError_tPvRmT3_T4_T5_T6_T7_T9_mT8_P12ihipStream_tbDpT10_ENKUlT_T0_E_clISt17integral_constantIbLb0EES1A_EEDaS15_S16_EUlS15_E_NS1_11comp_targetILNS1_3genE5ELNS1_11target_archE942ELNS1_3gpuE9ELNS1_3repE0EEENS1_30default_config_static_selectorELNS0_4arch9wavefront6targetE1EEEvT1_.uses_flat_scratch, 0
	.set _ZN7rocprim17ROCPRIM_400000_NS6detail17trampoline_kernelINS0_14default_configENS1_25partition_config_selectorILNS1_17partition_subalgoE9EllbEEZZNS1_14partition_implILS5_9ELb0ES3_jPlS8_PNS0_10empty_typeENS0_5tupleIJS8_S9_EEENSB_IJS8_SA_EEENS0_18inequality_wrapperIZN2at6native12_GLOBAL__N_124unique_dim_cuda_templateIfEESt5tupleIJNSF_6TensorESK_SK_EERKSK_lbbbEUlllE0_EEPmJS9_EEE10hipError_tPvRmT3_T4_T5_T6_T7_T9_mT8_P12ihipStream_tbDpT10_ENKUlT_T0_E_clISt17integral_constantIbLb0EES1A_EEDaS15_S16_EUlS15_E_NS1_11comp_targetILNS1_3genE5ELNS1_11target_archE942ELNS1_3gpuE9ELNS1_3repE0EEENS1_30default_config_static_selectorELNS0_4arch9wavefront6targetE1EEEvT1_.has_dyn_sized_stack, 0
	.set _ZN7rocprim17ROCPRIM_400000_NS6detail17trampoline_kernelINS0_14default_configENS1_25partition_config_selectorILNS1_17partition_subalgoE9EllbEEZZNS1_14partition_implILS5_9ELb0ES3_jPlS8_PNS0_10empty_typeENS0_5tupleIJS8_S9_EEENSB_IJS8_SA_EEENS0_18inequality_wrapperIZN2at6native12_GLOBAL__N_124unique_dim_cuda_templateIfEESt5tupleIJNSF_6TensorESK_SK_EERKSK_lbbbEUlllE0_EEPmJS9_EEE10hipError_tPvRmT3_T4_T5_T6_T7_T9_mT8_P12ihipStream_tbDpT10_ENKUlT_T0_E_clISt17integral_constantIbLb0EES1A_EEDaS15_S16_EUlS15_E_NS1_11comp_targetILNS1_3genE5ELNS1_11target_archE942ELNS1_3gpuE9ELNS1_3repE0EEENS1_30default_config_static_selectorELNS0_4arch9wavefront6targetE1EEEvT1_.has_recursion, 0
	.set _ZN7rocprim17ROCPRIM_400000_NS6detail17trampoline_kernelINS0_14default_configENS1_25partition_config_selectorILNS1_17partition_subalgoE9EllbEEZZNS1_14partition_implILS5_9ELb0ES3_jPlS8_PNS0_10empty_typeENS0_5tupleIJS8_S9_EEENSB_IJS8_SA_EEENS0_18inequality_wrapperIZN2at6native12_GLOBAL__N_124unique_dim_cuda_templateIfEESt5tupleIJNSF_6TensorESK_SK_EERKSK_lbbbEUlllE0_EEPmJS9_EEE10hipError_tPvRmT3_T4_T5_T6_T7_T9_mT8_P12ihipStream_tbDpT10_ENKUlT_T0_E_clISt17integral_constantIbLb0EES1A_EEDaS15_S16_EUlS15_E_NS1_11comp_targetILNS1_3genE5ELNS1_11target_archE942ELNS1_3gpuE9ELNS1_3repE0EEENS1_30default_config_static_selectorELNS0_4arch9wavefront6targetE1EEEvT1_.has_indirect_call, 0
	.section	.AMDGPU.csdata,"",@progbits
; Kernel info:
; codeLenInByte = 0
; TotalNumSgprs: 6
; NumVgprs: 0
; NumAgprs: 0
; TotalNumVgprs: 0
; ScratchSize: 0
; MemoryBound: 0
; FloatMode: 240
; IeeeMode: 1
; LDSByteSize: 0 bytes/workgroup (compile time only)
; SGPRBlocks: 0
; VGPRBlocks: 0
; NumSGPRsForWavesPerEU: 6
; NumVGPRsForWavesPerEU: 1
; AccumOffset: 4
; Occupancy: 8
; WaveLimiterHint : 0
; COMPUTE_PGM_RSRC2:SCRATCH_EN: 0
; COMPUTE_PGM_RSRC2:USER_SGPR: 2
; COMPUTE_PGM_RSRC2:TRAP_HANDLER: 0
; COMPUTE_PGM_RSRC2:TGID_X_EN: 1
; COMPUTE_PGM_RSRC2:TGID_Y_EN: 0
; COMPUTE_PGM_RSRC2:TGID_Z_EN: 0
; COMPUTE_PGM_RSRC2:TIDIG_COMP_CNT: 0
; COMPUTE_PGM_RSRC3_GFX90A:ACCUM_OFFSET: 0
; COMPUTE_PGM_RSRC3_GFX90A:TG_SPLIT: 0
	.section	.text._ZN7rocprim17ROCPRIM_400000_NS6detail17trampoline_kernelINS0_14default_configENS1_25partition_config_selectorILNS1_17partition_subalgoE9EllbEEZZNS1_14partition_implILS5_9ELb0ES3_jPlS8_PNS0_10empty_typeENS0_5tupleIJS8_S9_EEENSB_IJS8_SA_EEENS0_18inequality_wrapperIZN2at6native12_GLOBAL__N_124unique_dim_cuda_templateIfEESt5tupleIJNSF_6TensorESK_SK_EERKSK_lbbbEUlllE0_EEPmJS9_EEE10hipError_tPvRmT3_T4_T5_T6_T7_T9_mT8_P12ihipStream_tbDpT10_ENKUlT_T0_E_clISt17integral_constantIbLb0EES1A_EEDaS15_S16_EUlS15_E_NS1_11comp_targetILNS1_3genE4ELNS1_11target_archE910ELNS1_3gpuE8ELNS1_3repE0EEENS1_30default_config_static_selectorELNS0_4arch9wavefront6targetE1EEEvT1_,"axG",@progbits,_ZN7rocprim17ROCPRIM_400000_NS6detail17trampoline_kernelINS0_14default_configENS1_25partition_config_selectorILNS1_17partition_subalgoE9EllbEEZZNS1_14partition_implILS5_9ELb0ES3_jPlS8_PNS0_10empty_typeENS0_5tupleIJS8_S9_EEENSB_IJS8_SA_EEENS0_18inequality_wrapperIZN2at6native12_GLOBAL__N_124unique_dim_cuda_templateIfEESt5tupleIJNSF_6TensorESK_SK_EERKSK_lbbbEUlllE0_EEPmJS9_EEE10hipError_tPvRmT3_T4_T5_T6_T7_T9_mT8_P12ihipStream_tbDpT10_ENKUlT_T0_E_clISt17integral_constantIbLb0EES1A_EEDaS15_S16_EUlS15_E_NS1_11comp_targetILNS1_3genE4ELNS1_11target_archE910ELNS1_3gpuE8ELNS1_3repE0EEENS1_30default_config_static_selectorELNS0_4arch9wavefront6targetE1EEEvT1_,comdat
	.globl	_ZN7rocprim17ROCPRIM_400000_NS6detail17trampoline_kernelINS0_14default_configENS1_25partition_config_selectorILNS1_17partition_subalgoE9EllbEEZZNS1_14partition_implILS5_9ELb0ES3_jPlS8_PNS0_10empty_typeENS0_5tupleIJS8_S9_EEENSB_IJS8_SA_EEENS0_18inequality_wrapperIZN2at6native12_GLOBAL__N_124unique_dim_cuda_templateIfEESt5tupleIJNSF_6TensorESK_SK_EERKSK_lbbbEUlllE0_EEPmJS9_EEE10hipError_tPvRmT3_T4_T5_T6_T7_T9_mT8_P12ihipStream_tbDpT10_ENKUlT_T0_E_clISt17integral_constantIbLb0EES1A_EEDaS15_S16_EUlS15_E_NS1_11comp_targetILNS1_3genE4ELNS1_11target_archE910ELNS1_3gpuE8ELNS1_3repE0EEENS1_30default_config_static_selectorELNS0_4arch9wavefront6targetE1EEEvT1_ ; -- Begin function _ZN7rocprim17ROCPRIM_400000_NS6detail17trampoline_kernelINS0_14default_configENS1_25partition_config_selectorILNS1_17partition_subalgoE9EllbEEZZNS1_14partition_implILS5_9ELb0ES3_jPlS8_PNS0_10empty_typeENS0_5tupleIJS8_S9_EEENSB_IJS8_SA_EEENS0_18inequality_wrapperIZN2at6native12_GLOBAL__N_124unique_dim_cuda_templateIfEESt5tupleIJNSF_6TensorESK_SK_EERKSK_lbbbEUlllE0_EEPmJS9_EEE10hipError_tPvRmT3_T4_T5_T6_T7_T9_mT8_P12ihipStream_tbDpT10_ENKUlT_T0_E_clISt17integral_constantIbLb0EES1A_EEDaS15_S16_EUlS15_E_NS1_11comp_targetILNS1_3genE4ELNS1_11target_archE910ELNS1_3gpuE8ELNS1_3repE0EEENS1_30default_config_static_selectorELNS0_4arch9wavefront6targetE1EEEvT1_
	.p2align	8
	.type	_ZN7rocprim17ROCPRIM_400000_NS6detail17trampoline_kernelINS0_14default_configENS1_25partition_config_selectorILNS1_17partition_subalgoE9EllbEEZZNS1_14partition_implILS5_9ELb0ES3_jPlS8_PNS0_10empty_typeENS0_5tupleIJS8_S9_EEENSB_IJS8_SA_EEENS0_18inequality_wrapperIZN2at6native12_GLOBAL__N_124unique_dim_cuda_templateIfEESt5tupleIJNSF_6TensorESK_SK_EERKSK_lbbbEUlllE0_EEPmJS9_EEE10hipError_tPvRmT3_T4_T5_T6_T7_T9_mT8_P12ihipStream_tbDpT10_ENKUlT_T0_E_clISt17integral_constantIbLb0EES1A_EEDaS15_S16_EUlS15_E_NS1_11comp_targetILNS1_3genE4ELNS1_11target_archE910ELNS1_3gpuE8ELNS1_3repE0EEENS1_30default_config_static_selectorELNS0_4arch9wavefront6targetE1EEEvT1_,@function
_ZN7rocprim17ROCPRIM_400000_NS6detail17trampoline_kernelINS0_14default_configENS1_25partition_config_selectorILNS1_17partition_subalgoE9EllbEEZZNS1_14partition_implILS5_9ELb0ES3_jPlS8_PNS0_10empty_typeENS0_5tupleIJS8_S9_EEENSB_IJS8_SA_EEENS0_18inequality_wrapperIZN2at6native12_GLOBAL__N_124unique_dim_cuda_templateIfEESt5tupleIJNSF_6TensorESK_SK_EERKSK_lbbbEUlllE0_EEPmJS9_EEE10hipError_tPvRmT3_T4_T5_T6_T7_T9_mT8_P12ihipStream_tbDpT10_ENKUlT_T0_E_clISt17integral_constantIbLb0EES1A_EEDaS15_S16_EUlS15_E_NS1_11comp_targetILNS1_3genE4ELNS1_11target_archE910ELNS1_3gpuE8ELNS1_3repE0EEENS1_30default_config_static_selectorELNS0_4arch9wavefront6targetE1EEEvT1_: ; @_ZN7rocprim17ROCPRIM_400000_NS6detail17trampoline_kernelINS0_14default_configENS1_25partition_config_selectorILNS1_17partition_subalgoE9EllbEEZZNS1_14partition_implILS5_9ELb0ES3_jPlS8_PNS0_10empty_typeENS0_5tupleIJS8_S9_EEENSB_IJS8_SA_EEENS0_18inequality_wrapperIZN2at6native12_GLOBAL__N_124unique_dim_cuda_templateIfEESt5tupleIJNSF_6TensorESK_SK_EERKSK_lbbbEUlllE0_EEPmJS9_EEE10hipError_tPvRmT3_T4_T5_T6_T7_T9_mT8_P12ihipStream_tbDpT10_ENKUlT_T0_E_clISt17integral_constantIbLb0EES1A_EEDaS15_S16_EUlS15_E_NS1_11comp_targetILNS1_3genE4ELNS1_11target_archE910ELNS1_3gpuE8ELNS1_3repE0EEENS1_30default_config_static_selectorELNS0_4arch9wavefront6targetE1EEEvT1_
; %bb.0:
	.section	.rodata,"a",@progbits
	.p2align	6, 0x0
	.amdhsa_kernel _ZN7rocprim17ROCPRIM_400000_NS6detail17trampoline_kernelINS0_14default_configENS1_25partition_config_selectorILNS1_17partition_subalgoE9EllbEEZZNS1_14partition_implILS5_9ELb0ES3_jPlS8_PNS0_10empty_typeENS0_5tupleIJS8_S9_EEENSB_IJS8_SA_EEENS0_18inequality_wrapperIZN2at6native12_GLOBAL__N_124unique_dim_cuda_templateIfEESt5tupleIJNSF_6TensorESK_SK_EERKSK_lbbbEUlllE0_EEPmJS9_EEE10hipError_tPvRmT3_T4_T5_T6_T7_T9_mT8_P12ihipStream_tbDpT10_ENKUlT_T0_E_clISt17integral_constantIbLb0EES1A_EEDaS15_S16_EUlS15_E_NS1_11comp_targetILNS1_3genE4ELNS1_11target_archE910ELNS1_3gpuE8ELNS1_3repE0EEENS1_30default_config_static_selectorELNS0_4arch9wavefront6targetE1EEEvT1_
		.amdhsa_group_segment_fixed_size 0
		.amdhsa_private_segment_fixed_size 0
		.amdhsa_kernarg_size 120
		.amdhsa_user_sgpr_count 2
		.amdhsa_user_sgpr_dispatch_ptr 0
		.amdhsa_user_sgpr_queue_ptr 0
		.amdhsa_user_sgpr_kernarg_segment_ptr 1
		.amdhsa_user_sgpr_dispatch_id 0
		.amdhsa_user_sgpr_kernarg_preload_length 0
		.amdhsa_user_sgpr_kernarg_preload_offset 0
		.amdhsa_user_sgpr_private_segment_size 0
		.amdhsa_uses_dynamic_stack 0
		.amdhsa_enable_private_segment 0
		.amdhsa_system_sgpr_workgroup_id_x 1
		.amdhsa_system_sgpr_workgroup_id_y 0
		.amdhsa_system_sgpr_workgroup_id_z 0
		.amdhsa_system_sgpr_workgroup_info 0
		.amdhsa_system_vgpr_workitem_id 0
		.amdhsa_next_free_vgpr 1
		.amdhsa_next_free_sgpr 0
		.amdhsa_accum_offset 4
		.amdhsa_reserve_vcc 0
		.amdhsa_float_round_mode_32 0
		.amdhsa_float_round_mode_16_64 0
		.amdhsa_float_denorm_mode_32 3
		.amdhsa_float_denorm_mode_16_64 3
		.amdhsa_dx10_clamp 1
		.amdhsa_ieee_mode 1
		.amdhsa_fp16_overflow 0
		.amdhsa_tg_split 0
		.amdhsa_exception_fp_ieee_invalid_op 0
		.amdhsa_exception_fp_denorm_src 0
		.amdhsa_exception_fp_ieee_div_zero 0
		.amdhsa_exception_fp_ieee_overflow 0
		.amdhsa_exception_fp_ieee_underflow 0
		.amdhsa_exception_fp_ieee_inexact 0
		.amdhsa_exception_int_div_zero 0
	.end_amdhsa_kernel
	.section	.text._ZN7rocprim17ROCPRIM_400000_NS6detail17trampoline_kernelINS0_14default_configENS1_25partition_config_selectorILNS1_17partition_subalgoE9EllbEEZZNS1_14partition_implILS5_9ELb0ES3_jPlS8_PNS0_10empty_typeENS0_5tupleIJS8_S9_EEENSB_IJS8_SA_EEENS0_18inequality_wrapperIZN2at6native12_GLOBAL__N_124unique_dim_cuda_templateIfEESt5tupleIJNSF_6TensorESK_SK_EERKSK_lbbbEUlllE0_EEPmJS9_EEE10hipError_tPvRmT3_T4_T5_T6_T7_T9_mT8_P12ihipStream_tbDpT10_ENKUlT_T0_E_clISt17integral_constantIbLb0EES1A_EEDaS15_S16_EUlS15_E_NS1_11comp_targetILNS1_3genE4ELNS1_11target_archE910ELNS1_3gpuE8ELNS1_3repE0EEENS1_30default_config_static_selectorELNS0_4arch9wavefront6targetE1EEEvT1_,"axG",@progbits,_ZN7rocprim17ROCPRIM_400000_NS6detail17trampoline_kernelINS0_14default_configENS1_25partition_config_selectorILNS1_17partition_subalgoE9EllbEEZZNS1_14partition_implILS5_9ELb0ES3_jPlS8_PNS0_10empty_typeENS0_5tupleIJS8_S9_EEENSB_IJS8_SA_EEENS0_18inequality_wrapperIZN2at6native12_GLOBAL__N_124unique_dim_cuda_templateIfEESt5tupleIJNSF_6TensorESK_SK_EERKSK_lbbbEUlllE0_EEPmJS9_EEE10hipError_tPvRmT3_T4_T5_T6_T7_T9_mT8_P12ihipStream_tbDpT10_ENKUlT_T0_E_clISt17integral_constantIbLb0EES1A_EEDaS15_S16_EUlS15_E_NS1_11comp_targetILNS1_3genE4ELNS1_11target_archE910ELNS1_3gpuE8ELNS1_3repE0EEENS1_30default_config_static_selectorELNS0_4arch9wavefront6targetE1EEEvT1_,comdat
.Lfunc_end963:
	.size	_ZN7rocprim17ROCPRIM_400000_NS6detail17trampoline_kernelINS0_14default_configENS1_25partition_config_selectorILNS1_17partition_subalgoE9EllbEEZZNS1_14partition_implILS5_9ELb0ES3_jPlS8_PNS0_10empty_typeENS0_5tupleIJS8_S9_EEENSB_IJS8_SA_EEENS0_18inequality_wrapperIZN2at6native12_GLOBAL__N_124unique_dim_cuda_templateIfEESt5tupleIJNSF_6TensorESK_SK_EERKSK_lbbbEUlllE0_EEPmJS9_EEE10hipError_tPvRmT3_T4_T5_T6_T7_T9_mT8_P12ihipStream_tbDpT10_ENKUlT_T0_E_clISt17integral_constantIbLb0EES1A_EEDaS15_S16_EUlS15_E_NS1_11comp_targetILNS1_3genE4ELNS1_11target_archE910ELNS1_3gpuE8ELNS1_3repE0EEENS1_30default_config_static_selectorELNS0_4arch9wavefront6targetE1EEEvT1_, .Lfunc_end963-_ZN7rocprim17ROCPRIM_400000_NS6detail17trampoline_kernelINS0_14default_configENS1_25partition_config_selectorILNS1_17partition_subalgoE9EllbEEZZNS1_14partition_implILS5_9ELb0ES3_jPlS8_PNS0_10empty_typeENS0_5tupleIJS8_S9_EEENSB_IJS8_SA_EEENS0_18inequality_wrapperIZN2at6native12_GLOBAL__N_124unique_dim_cuda_templateIfEESt5tupleIJNSF_6TensorESK_SK_EERKSK_lbbbEUlllE0_EEPmJS9_EEE10hipError_tPvRmT3_T4_T5_T6_T7_T9_mT8_P12ihipStream_tbDpT10_ENKUlT_T0_E_clISt17integral_constantIbLb0EES1A_EEDaS15_S16_EUlS15_E_NS1_11comp_targetILNS1_3genE4ELNS1_11target_archE910ELNS1_3gpuE8ELNS1_3repE0EEENS1_30default_config_static_selectorELNS0_4arch9wavefront6targetE1EEEvT1_
                                        ; -- End function
	.set _ZN7rocprim17ROCPRIM_400000_NS6detail17trampoline_kernelINS0_14default_configENS1_25partition_config_selectorILNS1_17partition_subalgoE9EllbEEZZNS1_14partition_implILS5_9ELb0ES3_jPlS8_PNS0_10empty_typeENS0_5tupleIJS8_S9_EEENSB_IJS8_SA_EEENS0_18inequality_wrapperIZN2at6native12_GLOBAL__N_124unique_dim_cuda_templateIfEESt5tupleIJNSF_6TensorESK_SK_EERKSK_lbbbEUlllE0_EEPmJS9_EEE10hipError_tPvRmT3_T4_T5_T6_T7_T9_mT8_P12ihipStream_tbDpT10_ENKUlT_T0_E_clISt17integral_constantIbLb0EES1A_EEDaS15_S16_EUlS15_E_NS1_11comp_targetILNS1_3genE4ELNS1_11target_archE910ELNS1_3gpuE8ELNS1_3repE0EEENS1_30default_config_static_selectorELNS0_4arch9wavefront6targetE1EEEvT1_.num_vgpr, 0
	.set _ZN7rocprim17ROCPRIM_400000_NS6detail17trampoline_kernelINS0_14default_configENS1_25partition_config_selectorILNS1_17partition_subalgoE9EllbEEZZNS1_14partition_implILS5_9ELb0ES3_jPlS8_PNS0_10empty_typeENS0_5tupleIJS8_S9_EEENSB_IJS8_SA_EEENS0_18inequality_wrapperIZN2at6native12_GLOBAL__N_124unique_dim_cuda_templateIfEESt5tupleIJNSF_6TensorESK_SK_EERKSK_lbbbEUlllE0_EEPmJS9_EEE10hipError_tPvRmT3_T4_T5_T6_T7_T9_mT8_P12ihipStream_tbDpT10_ENKUlT_T0_E_clISt17integral_constantIbLb0EES1A_EEDaS15_S16_EUlS15_E_NS1_11comp_targetILNS1_3genE4ELNS1_11target_archE910ELNS1_3gpuE8ELNS1_3repE0EEENS1_30default_config_static_selectorELNS0_4arch9wavefront6targetE1EEEvT1_.num_agpr, 0
	.set _ZN7rocprim17ROCPRIM_400000_NS6detail17trampoline_kernelINS0_14default_configENS1_25partition_config_selectorILNS1_17partition_subalgoE9EllbEEZZNS1_14partition_implILS5_9ELb0ES3_jPlS8_PNS0_10empty_typeENS0_5tupleIJS8_S9_EEENSB_IJS8_SA_EEENS0_18inequality_wrapperIZN2at6native12_GLOBAL__N_124unique_dim_cuda_templateIfEESt5tupleIJNSF_6TensorESK_SK_EERKSK_lbbbEUlllE0_EEPmJS9_EEE10hipError_tPvRmT3_T4_T5_T6_T7_T9_mT8_P12ihipStream_tbDpT10_ENKUlT_T0_E_clISt17integral_constantIbLb0EES1A_EEDaS15_S16_EUlS15_E_NS1_11comp_targetILNS1_3genE4ELNS1_11target_archE910ELNS1_3gpuE8ELNS1_3repE0EEENS1_30default_config_static_selectorELNS0_4arch9wavefront6targetE1EEEvT1_.numbered_sgpr, 0
	.set _ZN7rocprim17ROCPRIM_400000_NS6detail17trampoline_kernelINS0_14default_configENS1_25partition_config_selectorILNS1_17partition_subalgoE9EllbEEZZNS1_14partition_implILS5_9ELb0ES3_jPlS8_PNS0_10empty_typeENS0_5tupleIJS8_S9_EEENSB_IJS8_SA_EEENS0_18inequality_wrapperIZN2at6native12_GLOBAL__N_124unique_dim_cuda_templateIfEESt5tupleIJNSF_6TensorESK_SK_EERKSK_lbbbEUlllE0_EEPmJS9_EEE10hipError_tPvRmT3_T4_T5_T6_T7_T9_mT8_P12ihipStream_tbDpT10_ENKUlT_T0_E_clISt17integral_constantIbLb0EES1A_EEDaS15_S16_EUlS15_E_NS1_11comp_targetILNS1_3genE4ELNS1_11target_archE910ELNS1_3gpuE8ELNS1_3repE0EEENS1_30default_config_static_selectorELNS0_4arch9wavefront6targetE1EEEvT1_.num_named_barrier, 0
	.set _ZN7rocprim17ROCPRIM_400000_NS6detail17trampoline_kernelINS0_14default_configENS1_25partition_config_selectorILNS1_17partition_subalgoE9EllbEEZZNS1_14partition_implILS5_9ELb0ES3_jPlS8_PNS0_10empty_typeENS0_5tupleIJS8_S9_EEENSB_IJS8_SA_EEENS0_18inequality_wrapperIZN2at6native12_GLOBAL__N_124unique_dim_cuda_templateIfEESt5tupleIJNSF_6TensorESK_SK_EERKSK_lbbbEUlllE0_EEPmJS9_EEE10hipError_tPvRmT3_T4_T5_T6_T7_T9_mT8_P12ihipStream_tbDpT10_ENKUlT_T0_E_clISt17integral_constantIbLb0EES1A_EEDaS15_S16_EUlS15_E_NS1_11comp_targetILNS1_3genE4ELNS1_11target_archE910ELNS1_3gpuE8ELNS1_3repE0EEENS1_30default_config_static_selectorELNS0_4arch9wavefront6targetE1EEEvT1_.private_seg_size, 0
	.set _ZN7rocprim17ROCPRIM_400000_NS6detail17trampoline_kernelINS0_14default_configENS1_25partition_config_selectorILNS1_17partition_subalgoE9EllbEEZZNS1_14partition_implILS5_9ELb0ES3_jPlS8_PNS0_10empty_typeENS0_5tupleIJS8_S9_EEENSB_IJS8_SA_EEENS0_18inequality_wrapperIZN2at6native12_GLOBAL__N_124unique_dim_cuda_templateIfEESt5tupleIJNSF_6TensorESK_SK_EERKSK_lbbbEUlllE0_EEPmJS9_EEE10hipError_tPvRmT3_T4_T5_T6_T7_T9_mT8_P12ihipStream_tbDpT10_ENKUlT_T0_E_clISt17integral_constantIbLb0EES1A_EEDaS15_S16_EUlS15_E_NS1_11comp_targetILNS1_3genE4ELNS1_11target_archE910ELNS1_3gpuE8ELNS1_3repE0EEENS1_30default_config_static_selectorELNS0_4arch9wavefront6targetE1EEEvT1_.uses_vcc, 0
	.set _ZN7rocprim17ROCPRIM_400000_NS6detail17trampoline_kernelINS0_14default_configENS1_25partition_config_selectorILNS1_17partition_subalgoE9EllbEEZZNS1_14partition_implILS5_9ELb0ES3_jPlS8_PNS0_10empty_typeENS0_5tupleIJS8_S9_EEENSB_IJS8_SA_EEENS0_18inequality_wrapperIZN2at6native12_GLOBAL__N_124unique_dim_cuda_templateIfEESt5tupleIJNSF_6TensorESK_SK_EERKSK_lbbbEUlllE0_EEPmJS9_EEE10hipError_tPvRmT3_T4_T5_T6_T7_T9_mT8_P12ihipStream_tbDpT10_ENKUlT_T0_E_clISt17integral_constantIbLb0EES1A_EEDaS15_S16_EUlS15_E_NS1_11comp_targetILNS1_3genE4ELNS1_11target_archE910ELNS1_3gpuE8ELNS1_3repE0EEENS1_30default_config_static_selectorELNS0_4arch9wavefront6targetE1EEEvT1_.uses_flat_scratch, 0
	.set _ZN7rocprim17ROCPRIM_400000_NS6detail17trampoline_kernelINS0_14default_configENS1_25partition_config_selectorILNS1_17partition_subalgoE9EllbEEZZNS1_14partition_implILS5_9ELb0ES3_jPlS8_PNS0_10empty_typeENS0_5tupleIJS8_S9_EEENSB_IJS8_SA_EEENS0_18inequality_wrapperIZN2at6native12_GLOBAL__N_124unique_dim_cuda_templateIfEESt5tupleIJNSF_6TensorESK_SK_EERKSK_lbbbEUlllE0_EEPmJS9_EEE10hipError_tPvRmT3_T4_T5_T6_T7_T9_mT8_P12ihipStream_tbDpT10_ENKUlT_T0_E_clISt17integral_constantIbLb0EES1A_EEDaS15_S16_EUlS15_E_NS1_11comp_targetILNS1_3genE4ELNS1_11target_archE910ELNS1_3gpuE8ELNS1_3repE0EEENS1_30default_config_static_selectorELNS0_4arch9wavefront6targetE1EEEvT1_.has_dyn_sized_stack, 0
	.set _ZN7rocprim17ROCPRIM_400000_NS6detail17trampoline_kernelINS0_14default_configENS1_25partition_config_selectorILNS1_17partition_subalgoE9EllbEEZZNS1_14partition_implILS5_9ELb0ES3_jPlS8_PNS0_10empty_typeENS0_5tupleIJS8_S9_EEENSB_IJS8_SA_EEENS0_18inequality_wrapperIZN2at6native12_GLOBAL__N_124unique_dim_cuda_templateIfEESt5tupleIJNSF_6TensorESK_SK_EERKSK_lbbbEUlllE0_EEPmJS9_EEE10hipError_tPvRmT3_T4_T5_T6_T7_T9_mT8_P12ihipStream_tbDpT10_ENKUlT_T0_E_clISt17integral_constantIbLb0EES1A_EEDaS15_S16_EUlS15_E_NS1_11comp_targetILNS1_3genE4ELNS1_11target_archE910ELNS1_3gpuE8ELNS1_3repE0EEENS1_30default_config_static_selectorELNS0_4arch9wavefront6targetE1EEEvT1_.has_recursion, 0
	.set _ZN7rocprim17ROCPRIM_400000_NS6detail17trampoline_kernelINS0_14default_configENS1_25partition_config_selectorILNS1_17partition_subalgoE9EllbEEZZNS1_14partition_implILS5_9ELb0ES3_jPlS8_PNS0_10empty_typeENS0_5tupleIJS8_S9_EEENSB_IJS8_SA_EEENS0_18inequality_wrapperIZN2at6native12_GLOBAL__N_124unique_dim_cuda_templateIfEESt5tupleIJNSF_6TensorESK_SK_EERKSK_lbbbEUlllE0_EEPmJS9_EEE10hipError_tPvRmT3_T4_T5_T6_T7_T9_mT8_P12ihipStream_tbDpT10_ENKUlT_T0_E_clISt17integral_constantIbLb0EES1A_EEDaS15_S16_EUlS15_E_NS1_11comp_targetILNS1_3genE4ELNS1_11target_archE910ELNS1_3gpuE8ELNS1_3repE0EEENS1_30default_config_static_selectorELNS0_4arch9wavefront6targetE1EEEvT1_.has_indirect_call, 0
	.section	.AMDGPU.csdata,"",@progbits
; Kernel info:
; codeLenInByte = 0
; TotalNumSgprs: 6
; NumVgprs: 0
; NumAgprs: 0
; TotalNumVgprs: 0
; ScratchSize: 0
; MemoryBound: 0
; FloatMode: 240
; IeeeMode: 1
; LDSByteSize: 0 bytes/workgroup (compile time only)
; SGPRBlocks: 0
; VGPRBlocks: 0
; NumSGPRsForWavesPerEU: 6
; NumVGPRsForWavesPerEU: 1
; AccumOffset: 4
; Occupancy: 8
; WaveLimiterHint : 0
; COMPUTE_PGM_RSRC2:SCRATCH_EN: 0
; COMPUTE_PGM_RSRC2:USER_SGPR: 2
; COMPUTE_PGM_RSRC2:TRAP_HANDLER: 0
; COMPUTE_PGM_RSRC2:TGID_X_EN: 1
; COMPUTE_PGM_RSRC2:TGID_Y_EN: 0
; COMPUTE_PGM_RSRC2:TGID_Z_EN: 0
; COMPUTE_PGM_RSRC2:TIDIG_COMP_CNT: 0
; COMPUTE_PGM_RSRC3_GFX90A:ACCUM_OFFSET: 0
; COMPUTE_PGM_RSRC3_GFX90A:TG_SPLIT: 0
	.section	.text._ZN7rocprim17ROCPRIM_400000_NS6detail17trampoline_kernelINS0_14default_configENS1_25partition_config_selectorILNS1_17partition_subalgoE9EllbEEZZNS1_14partition_implILS5_9ELb0ES3_jPlS8_PNS0_10empty_typeENS0_5tupleIJS8_S9_EEENSB_IJS8_SA_EEENS0_18inequality_wrapperIZN2at6native12_GLOBAL__N_124unique_dim_cuda_templateIfEESt5tupleIJNSF_6TensorESK_SK_EERKSK_lbbbEUlllE0_EEPmJS9_EEE10hipError_tPvRmT3_T4_T5_T6_T7_T9_mT8_P12ihipStream_tbDpT10_ENKUlT_T0_E_clISt17integral_constantIbLb0EES1A_EEDaS15_S16_EUlS15_E_NS1_11comp_targetILNS1_3genE3ELNS1_11target_archE908ELNS1_3gpuE7ELNS1_3repE0EEENS1_30default_config_static_selectorELNS0_4arch9wavefront6targetE1EEEvT1_,"axG",@progbits,_ZN7rocprim17ROCPRIM_400000_NS6detail17trampoline_kernelINS0_14default_configENS1_25partition_config_selectorILNS1_17partition_subalgoE9EllbEEZZNS1_14partition_implILS5_9ELb0ES3_jPlS8_PNS0_10empty_typeENS0_5tupleIJS8_S9_EEENSB_IJS8_SA_EEENS0_18inequality_wrapperIZN2at6native12_GLOBAL__N_124unique_dim_cuda_templateIfEESt5tupleIJNSF_6TensorESK_SK_EERKSK_lbbbEUlllE0_EEPmJS9_EEE10hipError_tPvRmT3_T4_T5_T6_T7_T9_mT8_P12ihipStream_tbDpT10_ENKUlT_T0_E_clISt17integral_constantIbLb0EES1A_EEDaS15_S16_EUlS15_E_NS1_11comp_targetILNS1_3genE3ELNS1_11target_archE908ELNS1_3gpuE7ELNS1_3repE0EEENS1_30default_config_static_selectorELNS0_4arch9wavefront6targetE1EEEvT1_,comdat
	.globl	_ZN7rocprim17ROCPRIM_400000_NS6detail17trampoline_kernelINS0_14default_configENS1_25partition_config_selectorILNS1_17partition_subalgoE9EllbEEZZNS1_14partition_implILS5_9ELb0ES3_jPlS8_PNS0_10empty_typeENS0_5tupleIJS8_S9_EEENSB_IJS8_SA_EEENS0_18inequality_wrapperIZN2at6native12_GLOBAL__N_124unique_dim_cuda_templateIfEESt5tupleIJNSF_6TensorESK_SK_EERKSK_lbbbEUlllE0_EEPmJS9_EEE10hipError_tPvRmT3_T4_T5_T6_T7_T9_mT8_P12ihipStream_tbDpT10_ENKUlT_T0_E_clISt17integral_constantIbLb0EES1A_EEDaS15_S16_EUlS15_E_NS1_11comp_targetILNS1_3genE3ELNS1_11target_archE908ELNS1_3gpuE7ELNS1_3repE0EEENS1_30default_config_static_selectorELNS0_4arch9wavefront6targetE1EEEvT1_ ; -- Begin function _ZN7rocprim17ROCPRIM_400000_NS6detail17trampoline_kernelINS0_14default_configENS1_25partition_config_selectorILNS1_17partition_subalgoE9EllbEEZZNS1_14partition_implILS5_9ELb0ES3_jPlS8_PNS0_10empty_typeENS0_5tupleIJS8_S9_EEENSB_IJS8_SA_EEENS0_18inequality_wrapperIZN2at6native12_GLOBAL__N_124unique_dim_cuda_templateIfEESt5tupleIJNSF_6TensorESK_SK_EERKSK_lbbbEUlllE0_EEPmJS9_EEE10hipError_tPvRmT3_T4_T5_T6_T7_T9_mT8_P12ihipStream_tbDpT10_ENKUlT_T0_E_clISt17integral_constantIbLb0EES1A_EEDaS15_S16_EUlS15_E_NS1_11comp_targetILNS1_3genE3ELNS1_11target_archE908ELNS1_3gpuE7ELNS1_3repE0EEENS1_30default_config_static_selectorELNS0_4arch9wavefront6targetE1EEEvT1_
	.p2align	8
	.type	_ZN7rocprim17ROCPRIM_400000_NS6detail17trampoline_kernelINS0_14default_configENS1_25partition_config_selectorILNS1_17partition_subalgoE9EllbEEZZNS1_14partition_implILS5_9ELb0ES3_jPlS8_PNS0_10empty_typeENS0_5tupleIJS8_S9_EEENSB_IJS8_SA_EEENS0_18inequality_wrapperIZN2at6native12_GLOBAL__N_124unique_dim_cuda_templateIfEESt5tupleIJNSF_6TensorESK_SK_EERKSK_lbbbEUlllE0_EEPmJS9_EEE10hipError_tPvRmT3_T4_T5_T6_T7_T9_mT8_P12ihipStream_tbDpT10_ENKUlT_T0_E_clISt17integral_constantIbLb0EES1A_EEDaS15_S16_EUlS15_E_NS1_11comp_targetILNS1_3genE3ELNS1_11target_archE908ELNS1_3gpuE7ELNS1_3repE0EEENS1_30default_config_static_selectorELNS0_4arch9wavefront6targetE1EEEvT1_,@function
_ZN7rocprim17ROCPRIM_400000_NS6detail17trampoline_kernelINS0_14default_configENS1_25partition_config_selectorILNS1_17partition_subalgoE9EllbEEZZNS1_14partition_implILS5_9ELb0ES3_jPlS8_PNS0_10empty_typeENS0_5tupleIJS8_S9_EEENSB_IJS8_SA_EEENS0_18inequality_wrapperIZN2at6native12_GLOBAL__N_124unique_dim_cuda_templateIfEESt5tupleIJNSF_6TensorESK_SK_EERKSK_lbbbEUlllE0_EEPmJS9_EEE10hipError_tPvRmT3_T4_T5_T6_T7_T9_mT8_P12ihipStream_tbDpT10_ENKUlT_T0_E_clISt17integral_constantIbLb0EES1A_EEDaS15_S16_EUlS15_E_NS1_11comp_targetILNS1_3genE3ELNS1_11target_archE908ELNS1_3gpuE7ELNS1_3repE0EEENS1_30default_config_static_selectorELNS0_4arch9wavefront6targetE1EEEvT1_: ; @_ZN7rocprim17ROCPRIM_400000_NS6detail17trampoline_kernelINS0_14default_configENS1_25partition_config_selectorILNS1_17partition_subalgoE9EllbEEZZNS1_14partition_implILS5_9ELb0ES3_jPlS8_PNS0_10empty_typeENS0_5tupleIJS8_S9_EEENSB_IJS8_SA_EEENS0_18inequality_wrapperIZN2at6native12_GLOBAL__N_124unique_dim_cuda_templateIfEESt5tupleIJNSF_6TensorESK_SK_EERKSK_lbbbEUlllE0_EEPmJS9_EEE10hipError_tPvRmT3_T4_T5_T6_T7_T9_mT8_P12ihipStream_tbDpT10_ENKUlT_T0_E_clISt17integral_constantIbLb0EES1A_EEDaS15_S16_EUlS15_E_NS1_11comp_targetILNS1_3genE3ELNS1_11target_archE908ELNS1_3gpuE7ELNS1_3repE0EEENS1_30default_config_static_selectorELNS0_4arch9wavefront6targetE1EEEvT1_
; %bb.0:
	.section	.rodata,"a",@progbits
	.p2align	6, 0x0
	.amdhsa_kernel _ZN7rocprim17ROCPRIM_400000_NS6detail17trampoline_kernelINS0_14default_configENS1_25partition_config_selectorILNS1_17partition_subalgoE9EllbEEZZNS1_14partition_implILS5_9ELb0ES3_jPlS8_PNS0_10empty_typeENS0_5tupleIJS8_S9_EEENSB_IJS8_SA_EEENS0_18inequality_wrapperIZN2at6native12_GLOBAL__N_124unique_dim_cuda_templateIfEESt5tupleIJNSF_6TensorESK_SK_EERKSK_lbbbEUlllE0_EEPmJS9_EEE10hipError_tPvRmT3_T4_T5_T6_T7_T9_mT8_P12ihipStream_tbDpT10_ENKUlT_T0_E_clISt17integral_constantIbLb0EES1A_EEDaS15_S16_EUlS15_E_NS1_11comp_targetILNS1_3genE3ELNS1_11target_archE908ELNS1_3gpuE7ELNS1_3repE0EEENS1_30default_config_static_selectorELNS0_4arch9wavefront6targetE1EEEvT1_
		.amdhsa_group_segment_fixed_size 0
		.amdhsa_private_segment_fixed_size 0
		.amdhsa_kernarg_size 120
		.amdhsa_user_sgpr_count 2
		.amdhsa_user_sgpr_dispatch_ptr 0
		.amdhsa_user_sgpr_queue_ptr 0
		.amdhsa_user_sgpr_kernarg_segment_ptr 1
		.amdhsa_user_sgpr_dispatch_id 0
		.amdhsa_user_sgpr_kernarg_preload_length 0
		.amdhsa_user_sgpr_kernarg_preload_offset 0
		.amdhsa_user_sgpr_private_segment_size 0
		.amdhsa_uses_dynamic_stack 0
		.amdhsa_enable_private_segment 0
		.amdhsa_system_sgpr_workgroup_id_x 1
		.amdhsa_system_sgpr_workgroup_id_y 0
		.amdhsa_system_sgpr_workgroup_id_z 0
		.amdhsa_system_sgpr_workgroup_info 0
		.amdhsa_system_vgpr_workitem_id 0
		.amdhsa_next_free_vgpr 1
		.amdhsa_next_free_sgpr 0
		.amdhsa_accum_offset 4
		.amdhsa_reserve_vcc 0
		.amdhsa_float_round_mode_32 0
		.amdhsa_float_round_mode_16_64 0
		.amdhsa_float_denorm_mode_32 3
		.amdhsa_float_denorm_mode_16_64 3
		.amdhsa_dx10_clamp 1
		.amdhsa_ieee_mode 1
		.amdhsa_fp16_overflow 0
		.amdhsa_tg_split 0
		.amdhsa_exception_fp_ieee_invalid_op 0
		.amdhsa_exception_fp_denorm_src 0
		.amdhsa_exception_fp_ieee_div_zero 0
		.amdhsa_exception_fp_ieee_overflow 0
		.amdhsa_exception_fp_ieee_underflow 0
		.amdhsa_exception_fp_ieee_inexact 0
		.amdhsa_exception_int_div_zero 0
	.end_amdhsa_kernel
	.section	.text._ZN7rocprim17ROCPRIM_400000_NS6detail17trampoline_kernelINS0_14default_configENS1_25partition_config_selectorILNS1_17partition_subalgoE9EllbEEZZNS1_14partition_implILS5_9ELb0ES3_jPlS8_PNS0_10empty_typeENS0_5tupleIJS8_S9_EEENSB_IJS8_SA_EEENS0_18inequality_wrapperIZN2at6native12_GLOBAL__N_124unique_dim_cuda_templateIfEESt5tupleIJNSF_6TensorESK_SK_EERKSK_lbbbEUlllE0_EEPmJS9_EEE10hipError_tPvRmT3_T4_T5_T6_T7_T9_mT8_P12ihipStream_tbDpT10_ENKUlT_T0_E_clISt17integral_constantIbLb0EES1A_EEDaS15_S16_EUlS15_E_NS1_11comp_targetILNS1_3genE3ELNS1_11target_archE908ELNS1_3gpuE7ELNS1_3repE0EEENS1_30default_config_static_selectorELNS0_4arch9wavefront6targetE1EEEvT1_,"axG",@progbits,_ZN7rocprim17ROCPRIM_400000_NS6detail17trampoline_kernelINS0_14default_configENS1_25partition_config_selectorILNS1_17partition_subalgoE9EllbEEZZNS1_14partition_implILS5_9ELb0ES3_jPlS8_PNS0_10empty_typeENS0_5tupleIJS8_S9_EEENSB_IJS8_SA_EEENS0_18inequality_wrapperIZN2at6native12_GLOBAL__N_124unique_dim_cuda_templateIfEESt5tupleIJNSF_6TensorESK_SK_EERKSK_lbbbEUlllE0_EEPmJS9_EEE10hipError_tPvRmT3_T4_T5_T6_T7_T9_mT8_P12ihipStream_tbDpT10_ENKUlT_T0_E_clISt17integral_constantIbLb0EES1A_EEDaS15_S16_EUlS15_E_NS1_11comp_targetILNS1_3genE3ELNS1_11target_archE908ELNS1_3gpuE7ELNS1_3repE0EEENS1_30default_config_static_selectorELNS0_4arch9wavefront6targetE1EEEvT1_,comdat
.Lfunc_end964:
	.size	_ZN7rocprim17ROCPRIM_400000_NS6detail17trampoline_kernelINS0_14default_configENS1_25partition_config_selectorILNS1_17partition_subalgoE9EllbEEZZNS1_14partition_implILS5_9ELb0ES3_jPlS8_PNS0_10empty_typeENS0_5tupleIJS8_S9_EEENSB_IJS8_SA_EEENS0_18inequality_wrapperIZN2at6native12_GLOBAL__N_124unique_dim_cuda_templateIfEESt5tupleIJNSF_6TensorESK_SK_EERKSK_lbbbEUlllE0_EEPmJS9_EEE10hipError_tPvRmT3_T4_T5_T6_T7_T9_mT8_P12ihipStream_tbDpT10_ENKUlT_T0_E_clISt17integral_constantIbLb0EES1A_EEDaS15_S16_EUlS15_E_NS1_11comp_targetILNS1_3genE3ELNS1_11target_archE908ELNS1_3gpuE7ELNS1_3repE0EEENS1_30default_config_static_selectorELNS0_4arch9wavefront6targetE1EEEvT1_, .Lfunc_end964-_ZN7rocprim17ROCPRIM_400000_NS6detail17trampoline_kernelINS0_14default_configENS1_25partition_config_selectorILNS1_17partition_subalgoE9EllbEEZZNS1_14partition_implILS5_9ELb0ES3_jPlS8_PNS0_10empty_typeENS0_5tupleIJS8_S9_EEENSB_IJS8_SA_EEENS0_18inequality_wrapperIZN2at6native12_GLOBAL__N_124unique_dim_cuda_templateIfEESt5tupleIJNSF_6TensorESK_SK_EERKSK_lbbbEUlllE0_EEPmJS9_EEE10hipError_tPvRmT3_T4_T5_T6_T7_T9_mT8_P12ihipStream_tbDpT10_ENKUlT_T0_E_clISt17integral_constantIbLb0EES1A_EEDaS15_S16_EUlS15_E_NS1_11comp_targetILNS1_3genE3ELNS1_11target_archE908ELNS1_3gpuE7ELNS1_3repE0EEENS1_30default_config_static_selectorELNS0_4arch9wavefront6targetE1EEEvT1_
                                        ; -- End function
	.set _ZN7rocprim17ROCPRIM_400000_NS6detail17trampoline_kernelINS0_14default_configENS1_25partition_config_selectorILNS1_17partition_subalgoE9EllbEEZZNS1_14partition_implILS5_9ELb0ES3_jPlS8_PNS0_10empty_typeENS0_5tupleIJS8_S9_EEENSB_IJS8_SA_EEENS0_18inequality_wrapperIZN2at6native12_GLOBAL__N_124unique_dim_cuda_templateIfEESt5tupleIJNSF_6TensorESK_SK_EERKSK_lbbbEUlllE0_EEPmJS9_EEE10hipError_tPvRmT3_T4_T5_T6_T7_T9_mT8_P12ihipStream_tbDpT10_ENKUlT_T0_E_clISt17integral_constantIbLb0EES1A_EEDaS15_S16_EUlS15_E_NS1_11comp_targetILNS1_3genE3ELNS1_11target_archE908ELNS1_3gpuE7ELNS1_3repE0EEENS1_30default_config_static_selectorELNS0_4arch9wavefront6targetE1EEEvT1_.num_vgpr, 0
	.set _ZN7rocprim17ROCPRIM_400000_NS6detail17trampoline_kernelINS0_14default_configENS1_25partition_config_selectorILNS1_17partition_subalgoE9EllbEEZZNS1_14partition_implILS5_9ELb0ES3_jPlS8_PNS0_10empty_typeENS0_5tupleIJS8_S9_EEENSB_IJS8_SA_EEENS0_18inequality_wrapperIZN2at6native12_GLOBAL__N_124unique_dim_cuda_templateIfEESt5tupleIJNSF_6TensorESK_SK_EERKSK_lbbbEUlllE0_EEPmJS9_EEE10hipError_tPvRmT3_T4_T5_T6_T7_T9_mT8_P12ihipStream_tbDpT10_ENKUlT_T0_E_clISt17integral_constantIbLb0EES1A_EEDaS15_S16_EUlS15_E_NS1_11comp_targetILNS1_3genE3ELNS1_11target_archE908ELNS1_3gpuE7ELNS1_3repE0EEENS1_30default_config_static_selectorELNS0_4arch9wavefront6targetE1EEEvT1_.num_agpr, 0
	.set _ZN7rocprim17ROCPRIM_400000_NS6detail17trampoline_kernelINS0_14default_configENS1_25partition_config_selectorILNS1_17partition_subalgoE9EllbEEZZNS1_14partition_implILS5_9ELb0ES3_jPlS8_PNS0_10empty_typeENS0_5tupleIJS8_S9_EEENSB_IJS8_SA_EEENS0_18inequality_wrapperIZN2at6native12_GLOBAL__N_124unique_dim_cuda_templateIfEESt5tupleIJNSF_6TensorESK_SK_EERKSK_lbbbEUlllE0_EEPmJS9_EEE10hipError_tPvRmT3_T4_T5_T6_T7_T9_mT8_P12ihipStream_tbDpT10_ENKUlT_T0_E_clISt17integral_constantIbLb0EES1A_EEDaS15_S16_EUlS15_E_NS1_11comp_targetILNS1_3genE3ELNS1_11target_archE908ELNS1_3gpuE7ELNS1_3repE0EEENS1_30default_config_static_selectorELNS0_4arch9wavefront6targetE1EEEvT1_.numbered_sgpr, 0
	.set _ZN7rocprim17ROCPRIM_400000_NS6detail17trampoline_kernelINS0_14default_configENS1_25partition_config_selectorILNS1_17partition_subalgoE9EllbEEZZNS1_14partition_implILS5_9ELb0ES3_jPlS8_PNS0_10empty_typeENS0_5tupleIJS8_S9_EEENSB_IJS8_SA_EEENS0_18inequality_wrapperIZN2at6native12_GLOBAL__N_124unique_dim_cuda_templateIfEESt5tupleIJNSF_6TensorESK_SK_EERKSK_lbbbEUlllE0_EEPmJS9_EEE10hipError_tPvRmT3_T4_T5_T6_T7_T9_mT8_P12ihipStream_tbDpT10_ENKUlT_T0_E_clISt17integral_constantIbLb0EES1A_EEDaS15_S16_EUlS15_E_NS1_11comp_targetILNS1_3genE3ELNS1_11target_archE908ELNS1_3gpuE7ELNS1_3repE0EEENS1_30default_config_static_selectorELNS0_4arch9wavefront6targetE1EEEvT1_.num_named_barrier, 0
	.set _ZN7rocprim17ROCPRIM_400000_NS6detail17trampoline_kernelINS0_14default_configENS1_25partition_config_selectorILNS1_17partition_subalgoE9EllbEEZZNS1_14partition_implILS5_9ELb0ES3_jPlS8_PNS0_10empty_typeENS0_5tupleIJS8_S9_EEENSB_IJS8_SA_EEENS0_18inequality_wrapperIZN2at6native12_GLOBAL__N_124unique_dim_cuda_templateIfEESt5tupleIJNSF_6TensorESK_SK_EERKSK_lbbbEUlllE0_EEPmJS9_EEE10hipError_tPvRmT3_T4_T5_T6_T7_T9_mT8_P12ihipStream_tbDpT10_ENKUlT_T0_E_clISt17integral_constantIbLb0EES1A_EEDaS15_S16_EUlS15_E_NS1_11comp_targetILNS1_3genE3ELNS1_11target_archE908ELNS1_3gpuE7ELNS1_3repE0EEENS1_30default_config_static_selectorELNS0_4arch9wavefront6targetE1EEEvT1_.private_seg_size, 0
	.set _ZN7rocprim17ROCPRIM_400000_NS6detail17trampoline_kernelINS0_14default_configENS1_25partition_config_selectorILNS1_17partition_subalgoE9EllbEEZZNS1_14partition_implILS5_9ELb0ES3_jPlS8_PNS0_10empty_typeENS0_5tupleIJS8_S9_EEENSB_IJS8_SA_EEENS0_18inequality_wrapperIZN2at6native12_GLOBAL__N_124unique_dim_cuda_templateIfEESt5tupleIJNSF_6TensorESK_SK_EERKSK_lbbbEUlllE0_EEPmJS9_EEE10hipError_tPvRmT3_T4_T5_T6_T7_T9_mT8_P12ihipStream_tbDpT10_ENKUlT_T0_E_clISt17integral_constantIbLb0EES1A_EEDaS15_S16_EUlS15_E_NS1_11comp_targetILNS1_3genE3ELNS1_11target_archE908ELNS1_3gpuE7ELNS1_3repE0EEENS1_30default_config_static_selectorELNS0_4arch9wavefront6targetE1EEEvT1_.uses_vcc, 0
	.set _ZN7rocprim17ROCPRIM_400000_NS6detail17trampoline_kernelINS0_14default_configENS1_25partition_config_selectorILNS1_17partition_subalgoE9EllbEEZZNS1_14partition_implILS5_9ELb0ES3_jPlS8_PNS0_10empty_typeENS0_5tupleIJS8_S9_EEENSB_IJS8_SA_EEENS0_18inequality_wrapperIZN2at6native12_GLOBAL__N_124unique_dim_cuda_templateIfEESt5tupleIJNSF_6TensorESK_SK_EERKSK_lbbbEUlllE0_EEPmJS9_EEE10hipError_tPvRmT3_T4_T5_T6_T7_T9_mT8_P12ihipStream_tbDpT10_ENKUlT_T0_E_clISt17integral_constantIbLb0EES1A_EEDaS15_S16_EUlS15_E_NS1_11comp_targetILNS1_3genE3ELNS1_11target_archE908ELNS1_3gpuE7ELNS1_3repE0EEENS1_30default_config_static_selectorELNS0_4arch9wavefront6targetE1EEEvT1_.uses_flat_scratch, 0
	.set _ZN7rocprim17ROCPRIM_400000_NS6detail17trampoline_kernelINS0_14default_configENS1_25partition_config_selectorILNS1_17partition_subalgoE9EllbEEZZNS1_14partition_implILS5_9ELb0ES3_jPlS8_PNS0_10empty_typeENS0_5tupleIJS8_S9_EEENSB_IJS8_SA_EEENS0_18inequality_wrapperIZN2at6native12_GLOBAL__N_124unique_dim_cuda_templateIfEESt5tupleIJNSF_6TensorESK_SK_EERKSK_lbbbEUlllE0_EEPmJS9_EEE10hipError_tPvRmT3_T4_T5_T6_T7_T9_mT8_P12ihipStream_tbDpT10_ENKUlT_T0_E_clISt17integral_constantIbLb0EES1A_EEDaS15_S16_EUlS15_E_NS1_11comp_targetILNS1_3genE3ELNS1_11target_archE908ELNS1_3gpuE7ELNS1_3repE0EEENS1_30default_config_static_selectorELNS0_4arch9wavefront6targetE1EEEvT1_.has_dyn_sized_stack, 0
	.set _ZN7rocprim17ROCPRIM_400000_NS6detail17trampoline_kernelINS0_14default_configENS1_25partition_config_selectorILNS1_17partition_subalgoE9EllbEEZZNS1_14partition_implILS5_9ELb0ES3_jPlS8_PNS0_10empty_typeENS0_5tupleIJS8_S9_EEENSB_IJS8_SA_EEENS0_18inequality_wrapperIZN2at6native12_GLOBAL__N_124unique_dim_cuda_templateIfEESt5tupleIJNSF_6TensorESK_SK_EERKSK_lbbbEUlllE0_EEPmJS9_EEE10hipError_tPvRmT3_T4_T5_T6_T7_T9_mT8_P12ihipStream_tbDpT10_ENKUlT_T0_E_clISt17integral_constantIbLb0EES1A_EEDaS15_S16_EUlS15_E_NS1_11comp_targetILNS1_3genE3ELNS1_11target_archE908ELNS1_3gpuE7ELNS1_3repE0EEENS1_30default_config_static_selectorELNS0_4arch9wavefront6targetE1EEEvT1_.has_recursion, 0
	.set _ZN7rocprim17ROCPRIM_400000_NS6detail17trampoline_kernelINS0_14default_configENS1_25partition_config_selectorILNS1_17partition_subalgoE9EllbEEZZNS1_14partition_implILS5_9ELb0ES3_jPlS8_PNS0_10empty_typeENS0_5tupleIJS8_S9_EEENSB_IJS8_SA_EEENS0_18inequality_wrapperIZN2at6native12_GLOBAL__N_124unique_dim_cuda_templateIfEESt5tupleIJNSF_6TensorESK_SK_EERKSK_lbbbEUlllE0_EEPmJS9_EEE10hipError_tPvRmT3_T4_T5_T6_T7_T9_mT8_P12ihipStream_tbDpT10_ENKUlT_T0_E_clISt17integral_constantIbLb0EES1A_EEDaS15_S16_EUlS15_E_NS1_11comp_targetILNS1_3genE3ELNS1_11target_archE908ELNS1_3gpuE7ELNS1_3repE0EEENS1_30default_config_static_selectorELNS0_4arch9wavefront6targetE1EEEvT1_.has_indirect_call, 0
	.section	.AMDGPU.csdata,"",@progbits
; Kernel info:
; codeLenInByte = 0
; TotalNumSgprs: 6
; NumVgprs: 0
; NumAgprs: 0
; TotalNumVgprs: 0
; ScratchSize: 0
; MemoryBound: 0
; FloatMode: 240
; IeeeMode: 1
; LDSByteSize: 0 bytes/workgroup (compile time only)
; SGPRBlocks: 0
; VGPRBlocks: 0
; NumSGPRsForWavesPerEU: 6
; NumVGPRsForWavesPerEU: 1
; AccumOffset: 4
; Occupancy: 8
; WaveLimiterHint : 0
; COMPUTE_PGM_RSRC2:SCRATCH_EN: 0
; COMPUTE_PGM_RSRC2:USER_SGPR: 2
; COMPUTE_PGM_RSRC2:TRAP_HANDLER: 0
; COMPUTE_PGM_RSRC2:TGID_X_EN: 1
; COMPUTE_PGM_RSRC2:TGID_Y_EN: 0
; COMPUTE_PGM_RSRC2:TGID_Z_EN: 0
; COMPUTE_PGM_RSRC2:TIDIG_COMP_CNT: 0
; COMPUTE_PGM_RSRC3_GFX90A:ACCUM_OFFSET: 0
; COMPUTE_PGM_RSRC3_GFX90A:TG_SPLIT: 0
	.section	.text._ZN7rocprim17ROCPRIM_400000_NS6detail17trampoline_kernelINS0_14default_configENS1_25partition_config_selectorILNS1_17partition_subalgoE9EllbEEZZNS1_14partition_implILS5_9ELb0ES3_jPlS8_PNS0_10empty_typeENS0_5tupleIJS8_S9_EEENSB_IJS8_SA_EEENS0_18inequality_wrapperIZN2at6native12_GLOBAL__N_124unique_dim_cuda_templateIfEESt5tupleIJNSF_6TensorESK_SK_EERKSK_lbbbEUlllE0_EEPmJS9_EEE10hipError_tPvRmT3_T4_T5_T6_T7_T9_mT8_P12ihipStream_tbDpT10_ENKUlT_T0_E_clISt17integral_constantIbLb0EES1A_EEDaS15_S16_EUlS15_E_NS1_11comp_targetILNS1_3genE2ELNS1_11target_archE906ELNS1_3gpuE6ELNS1_3repE0EEENS1_30default_config_static_selectorELNS0_4arch9wavefront6targetE1EEEvT1_,"axG",@progbits,_ZN7rocprim17ROCPRIM_400000_NS6detail17trampoline_kernelINS0_14default_configENS1_25partition_config_selectorILNS1_17partition_subalgoE9EllbEEZZNS1_14partition_implILS5_9ELb0ES3_jPlS8_PNS0_10empty_typeENS0_5tupleIJS8_S9_EEENSB_IJS8_SA_EEENS0_18inequality_wrapperIZN2at6native12_GLOBAL__N_124unique_dim_cuda_templateIfEESt5tupleIJNSF_6TensorESK_SK_EERKSK_lbbbEUlllE0_EEPmJS9_EEE10hipError_tPvRmT3_T4_T5_T6_T7_T9_mT8_P12ihipStream_tbDpT10_ENKUlT_T0_E_clISt17integral_constantIbLb0EES1A_EEDaS15_S16_EUlS15_E_NS1_11comp_targetILNS1_3genE2ELNS1_11target_archE906ELNS1_3gpuE6ELNS1_3repE0EEENS1_30default_config_static_selectorELNS0_4arch9wavefront6targetE1EEEvT1_,comdat
	.globl	_ZN7rocprim17ROCPRIM_400000_NS6detail17trampoline_kernelINS0_14default_configENS1_25partition_config_selectorILNS1_17partition_subalgoE9EllbEEZZNS1_14partition_implILS5_9ELb0ES3_jPlS8_PNS0_10empty_typeENS0_5tupleIJS8_S9_EEENSB_IJS8_SA_EEENS0_18inequality_wrapperIZN2at6native12_GLOBAL__N_124unique_dim_cuda_templateIfEESt5tupleIJNSF_6TensorESK_SK_EERKSK_lbbbEUlllE0_EEPmJS9_EEE10hipError_tPvRmT3_T4_T5_T6_T7_T9_mT8_P12ihipStream_tbDpT10_ENKUlT_T0_E_clISt17integral_constantIbLb0EES1A_EEDaS15_S16_EUlS15_E_NS1_11comp_targetILNS1_3genE2ELNS1_11target_archE906ELNS1_3gpuE6ELNS1_3repE0EEENS1_30default_config_static_selectorELNS0_4arch9wavefront6targetE1EEEvT1_ ; -- Begin function _ZN7rocprim17ROCPRIM_400000_NS6detail17trampoline_kernelINS0_14default_configENS1_25partition_config_selectorILNS1_17partition_subalgoE9EllbEEZZNS1_14partition_implILS5_9ELb0ES3_jPlS8_PNS0_10empty_typeENS0_5tupleIJS8_S9_EEENSB_IJS8_SA_EEENS0_18inequality_wrapperIZN2at6native12_GLOBAL__N_124unique_dim_cuda_templateIfEESt5tupleIJNSF_6TensorESK_SK_EERKSK_lbbbEUlllE0_EEPmJS9_EEE10hipError_tPvRmT3_T4_T5_T6_T7_T9_mT8_P12ihipStream_tbDpT10_ENKUlT_T0_E_clISt17integral_constantIbLb0EES1A_EEDaS15_S16_EUlS15_E_NS1_11comp_targetILNS1_3genE2ELNS1_11target_archE906ELNS1_3gpuE6ELNS1_3repE0EEENS1_30default_config_static_selectorELNS0_4arch9wavefront6targetE1EEEvT1_
	.p2align	8
	.type	_ZN7rocprim17ROCPRIM_400000_NS6detail17trampoline_kernelINS0_14default_configENS1_25partition_config_selectorILNS1_17partition_subalgoE9EllbEEZZNS1_14partition_implILS5_9ELb0ES3_jPlS8_PNS0_10empty_typeENS0_5tupleIJS8_S9_EEENSB_IJS8_SA_EEENS0_18inequality_wrapperIZN2at6native12_GLOBAL__N_124unique_dim_cuda_templateIfEESt5tupleIJNSF_6TensorESK_SK_EERKSK_lbbbEUlllE0_EEPmJS9_EEE10hipError_tPvRmT3_T4_T5_T6_T7_T9_mT8_P12ihipStream_tbDpT10_ENKUlT_T0_E_clISt17integral_constantIbLb0EES1A_EEDaS15_S16_EUlS15_E_NS1_11comp_targetILNS1_3genE2ELNS1_11target_archE906ELNS1_3gpuE6ELNS1_3repE0EEENS1_30default_config_static_selectorELNS0_4arch9wavefront6targetE1EEEvT1_,@function
_ZN7rocprim17ROCPRIM_400000_NS6detail17trampoline_kernelINS0_14default_configENS1_25partition_config_selectorILNS1_17partition_subalgoE9EllbEEZZNS1_14partition_implILS5_9ELb0ES3_jPlS8_PNS0_10empty_typeENS0_5tupleIJS8_S9_EEENSB_IJS8_SA_EEENS0_18inequality_wrapperIZN2at6native12_GLOBAL__N_124unique_dim_cuda_templateIfEESt5tupleIJNSF_6TensorESK_SK_EERKSK_lbbbEUlllE0_EEPmJS9_EEE10hipError_tPvRmT3_T4_T5_T6_T7_T9_mT8_P12ihipStream_tbDpT10_ENKUlT_T0_E_clISt17integral_constantIbLb0EES1A_EEDaS15_S16_EUlS15_E_NS1_11comp_targetILNS1_3genE2ELNS1_11target_archE906ELNS1_3gpuE6ELNS1_3repE0EEENS1_30default_config_static_selectorELNS0_4arch9wavefront6targetE1EEEvT1_: ; @_ZN7rocprim17ROCPRIM_400000_NS6detail17trampoline_kernelINS0_14default_configENS1_25partition_config_selectorILNS1_17partition_subalgoE9EllbEEZZNS1_14partition_implILS5_9ELb0ES3_jPlS8_PNS0_10empty_typeENS0_5tupleIJS8_S9_EEENSB_IJS8_SA_EEENS0_18inequality_wrapperIZN2at6native12_GLOBAL__N_124unique_dim_cuda_templateIfEESt5tupleIJNSF_6TensorESK_SK_EERKSK_lbbbEUlllE0_EEPmJS9_EEE10hipError_tPvRmT3_T4_T5_T6_T7_T9_mT8_P12ihipStream_tbDpT10_ENKUlT_T0_E_clISt17integral_constantIbLb0EES1A_EEDaS15_S16_EUlS15_E_NS1_11comp_targetILNS1_3genE2ELNS1_11target_archE906ELNS1_3gpuE6ELNS1_3repE0EEENS1_30default_config_static_selectorELNS0_4arch9wavefront6targetE1EEEvT1_
; %bb.0:
	.section	.rodata,"a",@progbits
	.p2align	6, 0x0
	.amdhsa_kernel _ZN7rocprim17ROCPRIM_400000_NS6detail17trampoline_kernelINS0_14default_configENS1_25partition_config_selectorILNS1_17partition_subalgoE9EllbEEZZNS1_14partition_implILS5_9ELb0ES3_jPlS8_PNS0_10empty_typeENS0_5tupleIJS8_S9_EEENSB_IJS8_SA_EEENS0_18inequality_wrapperIZN2at6native12_GLOBAL__N_124unique_dim_cuda_templateIfEESt5tupleIJNSF_6TensorESK_SK_EERKSK_lbbbEUlllE0_EEPmJS9_EEE10hipError_tPvRmT3_T4_T5_T6_T7_T9_mT8_P12ihipStream_tbDpT10_ENKUlT_T0_E_clISt17integral_constantIbLb0EES1A_EEDaS15_S16_EUlS15_E_NS1_11comp_targetILNS1_3genE2ELNS1_11target_archE906ELNS1_3gpuE6ELNS1_3repE0EEENS1_30default_config_static_selectorELNS0_4arch9wavefront6targetE1EEEvT1_
		.amdhsa_group_segment_fixed_size 0
		.amdhsa_private_segment_fixed_size 0
		.amdhsa_kernarg_size 120
		.amdhsa_user_sgpr_count 2
		.amdhsa_user_sgpr_dispatch_ptr 0
		.amdhsa_user_sgpr_queue_ptr 0
		.amdhsa_user_sgpr_kernarg_segment_ptr 1
		.amdhsa_user_sgpr_dispatch_id 0
		.amdhsa_user_sgpr_kernarg_preload_length 0
		.amdhsa_user_sgpr_kernarg_preload_offset 0
		.amdhsa_user_sgpr_private_segment_size 0
		.amdhsa_uses_dynamic_stack 0
		.amdhsa_enable_private_segment 0
		.amdhsa_system_sgpr_workgroup_id_x 1
		.amdhsa_system_sgpr_workgroup_id_y 0
		.amdhsa_system_sgpr_workgroup_id_z 0
		.amdhsa_system_sgpr_workgroup_info 0
		.amdhsa_system_vgpr_workitem_id 0
		.amdhsa_next_free_vgpr 1
		.amdhsa_next_free_sgpr 0
		.amdhsa_accum_offset 4
		.amdhsa_reserve_vcc 0
		.amdhsa_float_round_mode_32 0
		.amdhsa_float_round_mode_16_64 0
		.amdhsa_float_denorm_mode_32 3
		.amdhsa_float_denorm_mode_16_64 3
		.amdhsa_dx10_clamp 1
		.amdhsa_ieee_mode 1
		.amdhsa_fp16_overflow 0
		.amdhsa_tg_split 0
		.amdhsa_exception_fp_ieee_invalid_op 0
		.amdhsa_exception_fp_denorm_src 0
		.amdhsa_exception_fp_ieee_div_zero 0
		.amdhsa_exception_fp_ieee_overflow 0
		.amdhsa_exception_fp_ieee_underflow 0
		.amdhsa_exception_fp_ieee_inexact 0
		.amdhsa_exception_int_div_zero 0
	.end_amdhsa_kernel
	.section	.text._ZN7rocprim17ROCPRIM_400000_NS6detail17trampoline_kernelINS0_14default_configENS1_25partition_config_selectorILNS1_17partition_subalgoE9EllbEEZZNS1_14partition_implILS5_9ELb0ES3_jPlS8_PNS0_10empty_typeENS0_5tupleIJS8_S9_EEENSB_IJS8_SA_EEENS0_18inequality_wrapperIZN2at6native12_GLOBAL__N_124unique_dim_cuda_templateIfEESt5tupleIJNSF_6TensorESK_SK_EERKSK_lbbbEUlllE0_EEPmJS9_EEE10hipError_tPvRmT3_T4_T5_T6_T7_T9_mT8_P12ihipStream_tbDpT10_ENKUlT_T0_E_clISt17integral_constantIbLb0EES1A_EEDaS15_S16_EUlS15_E_NS1_11comp_targetILNS1_3genE2ELNS1_11target_archE906ELNS1_3gpuE6ELNS1_3repE0EEENS1_30default_config_static_selectorELNS0_4arch9wavefront6targetE1EEEvT1_,"axG",@progbits,_ZN7rocprim17ROCPRIM_400000_NS6detail17trampoline_kernelINS0_14default_configENS1_25partition_config_selectorILNS1_17partition_subalgoE9EllbEEZZNS1_14partition_implILS5_9ELb0ES3_jPlS8_PNS0_10empty_typeENS0_5tupleIJS8_S9_EEENSB_IJS8_SA_EEENS0_18inequality_wrapperIZN2at6native12_GLOBAL__N_124unique_dim_cuda_templateIfEESt5tupleIJNSF_6TensorESK_SK_EERKSK_lbbbEUlllE0_EEPmJS9_EEE10hipError_tPvRmT3_T4_T5_T6_T7_T9_mT8_P12ihipStream_tbDpT10_ENKUlT_T0_E_clISt17integral_constantIbLb0EES1A_EEDaS15_S16_EUlS15_E_NS1_11comp_targetILNS1_3genE2ELNS1_11target_archE906ELNS1_3gpuE6ELNS1_3repE0EEENS1_30default_config_static_selectorELNS0_4arch9wavefront6targetE1EEEvT1_,comdat
.Lfunc_end965:
	.size	_ZN7rocprim17ROCPRIM_400000_NS6detail17trampoline_kernelINS0_14default_configENS1_25partition_config_selectorILNS1_17partition_subalgoE9EllbEEZZNS1_14partition_implILS5_9ELb0ES3_jPlS8_PNS0_10empty_typeENS0_5tupleIJS8_S9_EEENSB_IJS8_SA_EEENS0_18inequality_wrapperIZN2at6native12_GLOBAL__N_124unique_dim_cuda_templateIfEESt5tupleIJNSF_6TensorESK_SK_EERKSK_lbbbEUlllE0_EEPmJS9_EEE10hipError_tPvRmT3_T4_T5_T6_T7_T9_mT8_P12ihipStream_tbDpT10_ENKUlT_T0_E_clISt17integral_constantIbLb0EES1A_EEDaS15_S16_EUlS15_E_NS1_11comp_targetILNS1_3genE2ELNS1_11target_archE906ELNS1_3gpuE6ELNS1_3repE0EEENS1_30default_config_static_selectorELNS0_4arch9wavefront6targetE1EEEvT1_, .Lfunc_end965-_ZN7rocprim17ROCPRIM_400000_NS6detail17trampoline_kernelINS0_14default_configENS1_25partition_config_selectorILNS1_17partition_subalgoE9EllbEEZZNS1_14partition_implILS5_9ELb0ES3_jPlS8_PNS0_10empty_typeENS0_5tupleIJS8_S9_EEENSB_IJS8_SA_EEENS0_18inequality_wrapperIZN2at6native12_GLOBAL__N_124unique_dim_cuda_templateIfEESt5tupleIJNSF_6TensorESK_SK_EERKSK_lbbbEUlllE0_EEPmJS9_EEE10hipError_tPvRmT3_T4_T5_T6_T7_T9_mT8_P12ihipStream_tbDpT10_ENKUlT_T0_E_clISt17integral_constantIbLb0EES1A_EEDaS15_S16_EUlS15_E_NS1_11comp_targetILNS1_3genE2ELNS1_11target_archE906ELNS1_3gpuE6ELNS1_3repE0EEENS1_30default_config_static_selectorELNS0_4arch9wavefront6targetE1EEEvT1_
                                        ; -- End function
	.set _ZN7rocprim17ROCPRIM_400000_NS6detail17trampoline_kernelINS0_14default_configENS1_25partition_config_selectorILNS1_17partition_subalgoE9EllbEEZZNS1_14partition_implILS5_9ELb0ES3_jPlS8_PNS0_10empty_typeENS0_5tupleIJS8_S9_EEENSB_IJS8_SA_EEENS0_18inequality_wrapperIZN2at6native12_GLOBAL__N_124unique_dim_cuda_templateIfEESt5tupleIJNSF_6TensorESK_SK_EERKSK_lbbbEUlllE0_EEPmJS9_EEE10hipError_tPvRmT3_T4_T5_T6_T7_T9_mT8_P12ihipStream_tbDpT10_ENKUlT_T0_E_clISt17integral_constantIbLb0EES1A_EEDaS15_S16_EUlS15_E_NS1_11comp_targetILNS1_3genE2ELNS1_11target_archE906ELNS1_3gpuE6ELNS1_3repE0EEENS1_30default_config_static_selectorELNS0_4arch9wavefront6targetE1EEEvT1_.num_vgpr, 0
	.set _ZN7rocprim17ROCPRIM_400000_NS6detail17trampoline_kernelINS0_14default_configENS1_25partition_config_selectorILNS1_17partition_subalgoE9EllbEEZZNS1_14partition_implILS5_9ELb0ES3_jPlS8_PNS0_10empty_typeENS0_5tupleIJS8_S9_EEENSB_IJS8_SA_EEENS0_18inequality_wrapperIZN2at6native12_GLOBAL__N_124unique_dim_cuda_templateIfEESt5tupleIJNSF_6TensorESK_SK_EERKSK_lbbbEUlllE0_EEPmJS9_EEE10hipError_tPvRmT3_T4_T5_T6_T7_T9_mT8_P12ihipStream_tbDpT10_ENKUlT_T0_E_clISt17integral_constantIbLb0EES1A_EEDaS15_S16_EUlS15_E_NS1_11comp_targetILNS1_3genE2ELNS1_11target_archE906ELNS1_3gpuE6ELNS1_3repE0EEENS1_30default_config_static_selectorELNS0_4arch9wavefront6targetE1EEEvT1_.num_agpr, 0
	.set _ZN7rocprim17ROCPRIM_400000_NS6detail17trampoline_kernelINS0_14default_configENS1_25partition_config_selectorILNS1_17partition_subalgoE9EllbEEZZNS1_14partition_implILS5_9ELb0ES3_jPlS8_PNS0_10empty_typeENS0_5tupleIJS8_S9_EEENSB_IJS8_SA_EEENS0_18inequality_wrapperIZN2at6native12_GLOBAL__N_124unique_dim_cuda_templateIfEESt5tupleIJNSF_6TensorESK_SK_EERKSK_lbbbEUlllE0_EEPmJS9_EEE10hipError_tPvRmT3_T4_T5_T6_T7_T9_mT8_P12ihipStream_tbDpT10_ENKUlT_T0_E_clISt17integral_constantIbLb0EES1A_EEDaS15_S16_EUlS15_E_NS1_11comp_targetILNS1_3genE2ELNS1_11target_archE906ELNS1_3gpuE6ELNS1_3repE0EEENS1_30default_config_static_selectorELNS0_4arch9wavefront6targetE1EEEvT1_.numbered_sgpr, 0
	.set _ZN7rocprim17ROCPRIM_400000_NS6detail17trampoline_kernelINS0_14default_configENS1_25partition_config_selectorILNS1_17partition_subalgoE9EllbEEZZNS1_14partition_implILS5_9ELb0ES3_jPlS8_PNS0_10empty_typeENS0_5tupleIJS8_S9_EEENSB_IJS8_SA_EEENS0_18inequality_wrapperIZN2at6native12_GLOBAL__N_124unique_dim_cuda_templateIfEESt5tupleIJNSF_6TensorESK_SK_EERKSK_lbbbEUlllE0_EEPmJS9_EEE10hipError_tPvRmT3_T4_T5_T6_T7_T9_mT8_P12ihipStream_tbDpT10_ENKUlT_T0_E_clISt17integral_constantIbLb0EES1A_EEDaS15_S16_EUlS15_E_NS1_11comp_targetILNS1_3genE2ELNS1_11target_archE906ELNS1_3gpuE6ELNS1_3repE0EEENS1_30default_config_static_selectorELNS0_4arch9wavefront6targetE1EEEvT1_.num_named_barrier, 0
	.set _ZN7rocprim17ROCPRIM_400000_NS6detail17trampoline_kernelINS0_14default_configENS1_25partition_config_selectorILNS1_17partition_subalgoE9EllbEEZZNS1_14partition_implILS5_9ELb0ES3_jPlS8_PNS0_10empty_typeENS0_5tupleIJS8_S9_EEENSB_IJS8_SA_EEENS0_18inequality_wrapperIZN2at6native12_GLOBAL__N_124unique_dim_cuda_templateIfEESt5tupleIJNSF_6TensorESK_SK_EERKSK_lbbbEUlllE0_EEPmJS9_EEE10hipError_tPvRmT3_T4_T5_T6_T7_T9_mT8_P12ihipStream_tbDpT10_ENKUlT_T0_E_clISt17integral_constantIbLb0EES1A_EEDaS15_S16_EUlS15_E_NS1_11comp_targetILNS1_3genE2ELNS1_11target_archE906ELNS1_3gpuE6ELNS1_3repE0EEENS1_30default_config_static_selectorELNS0_4arch9wavefront6targetE1EEEvT1_.private_seg_size, 0
	.set _ZN7rocprim17ROCPRIM_400000_NS6detail17trampoline_kernelINS0_14default_configENS1_25partition_config_selectorILNS1_17partition_subalgoE9EllbEEZZNS1_14partition_implILS5_9ELb0ES3_jPlS8_PNS0_10empty_typeENS0_5tupleIJS8_S9_EEENSB_IJS8_SA_EEENS0_18inequality_wrapperIZN2at6native12_GLOBAL__N_124unique_dim_cuda_templateIfEESt5tupleIJNSF_6TensorESK_SK_EERKSK_lbbbEUlllE0_EEPmJS9_EEE10hipError_tPvRmT3_T4_T5_T6_T7_T9_mT8_P12ihipStream_tbDpT10_ENKUlT_T0_E_clISt17integral_constantIbLb0EES1A_EEDaS15_S16_EUlS15_E_NS1_11comp_targetILNS1_3genE2ELNS1_11target_archE906ELNS1_3gpuE6ELNS1_3repE0EEENS1_30default_config_static_selectorELNS0_4arch9wavefront6targetE1EEEvT1_.uses_vcc, 0
	.set _ZN7rocprim17ROCPRIM_400000_NS6detail17trampoline_kernelINS0_14default_configENS1_25partition_config_selectorILNS1_17partition_subalgoE9EllbEEZZNS1_14partition_implILS5_9ELb0ES3_jPlS8_PNS0_10empty_typeENS0_5tupleIJS8_S9_EEENSB_IJS8_SA_EEENS0_18inequality_wrapperIZN2at6native12_GLOBAL__N_124unique_dim_cuda_templateIfEESt5tupleIJNSF_6TensorESK_SK_EERKSK_lbbbEUlllE0_EEPmJS9_EEE10hipError_tPvRmT3_T4_T5_T6_T7_T9_mT8_P12ihipStream_tbDpT10_ENKUlT_T0_E_clISt17integral_constantIbLb0EES1A_EEDaS15_S16_EUlS15_E_NS1_11comp_targetILNS1_3genE2ELNS1_11target_archE906ELNS1_3gpuE6ELNS1_3repE0EEENS1_30default_config_static_selectorELNS0_4arch9wavefront6targetE1EEEvT1_.uses_flat_scratch, 0
	.set _ZN7rocprim17ROCPRIM_400000_NS6detail17trampoline_kernelINS0_14default_configENS1_25partition_config_selectorILNS1_17partition_subalgoE9EllbEEZZNS1_14partition_implILS5_9ELb0ES3_jPlS8_PNS0_10empty_typeENS0_5tupleIJS8_S9_EEENSB_IJS8_SA_EEENS0_18inequality_wrapperIZN2at6native12_GLOBAL__N_124unique_dim_cuda_templateIfEESt5tupleIJNSF_6TensorESK_SK_EERKSK_lbbbEUlllE0_EEPmJS9_EEE10hipError_tPvRmT3_T4_T5_T6_T7_T9_mT8_P12ihipStream_tbDpT10_ENKUlT_T0_E_clISt17integral_constantIbLb0EES1A_EEDaS15_S16_EUlS15_E_NS1_11comp_targetILNS1_3genE2ELNS1_11target_archE906ELNS1_3gpuE6ELNS1_3repE0EEENS1_30default_config_static_selectorELNS0_4arch9wavefront6targetE1EEEvT1_.has_dyn_sized_stack, 0
	.set _ZN7rocprim17ROCPRIM_400000_NS6detail17trampoline_kernelINS0_14default_configENS1_25partition_config_selectorILNS1_17partition_subalgoE9EllbEEZZNS1_14partition_implILS5_9ELb0ES3_jPlS8_PNS0_10empty_typeENS0_5tupleIJS8_S9_EEENSB_IJS8_SA_EEENS0_18inequality_wrapperIZN2at6native12_GLOBAL__N_124unique_dim_cuda_templateIfEESt5tupleIJNSF_6TensorESK_SK_EERKSK_lbbbEUlllE0_EEPmJS9_EEE10hipError_tPvRmT3_T4_T5_T6_T7_T9_mT8_P12ihipStream_tbDpT10_ENKUlT_T0_E_clISt17integral_constantIbLb0EES1A_EEDaS15_S16_EUlS15_E_NS1_11comp_targetILNS1_3genE2ELNS1_11target_archE906ELNS1_3gpuE6ELNS1_3repE0EEENS1_30default_config_static_selectorELNS0_4arch9wavefront6targetE1EEEvT1_.has_recursion, 0
	.set _ZN7rocprim17ROCPRIM_400000_NS6detail17trampoline_kernelINS0_14default_configENS1_25partition_config_selectorILNS1_17partition_subalgoE9EllbEEZZNS1_14partition_implILS5_9ELb0ES3_jPlS8_PNS0_10empty_typeENS0_5tupleIJS8_S9_EEENSB_IJS8_SA_EEENS0_18inequality_wrapperIZN2at6native12_GLOBAL__N_124unique_dim_cuda_templateIfEESt5tupleIJNSF_6TensorESK_SK_EERKSK_lbbbEUlllE0_EEPmJS9_EEE10hipError_tPvRmT3_T4_T5_T6_T7_T9_mT8_P12ihipStream_tbDpT10_ENKUlT_T0_E_clISt17integral_constantIbLb0EES1A_EEDaS15_S16_EUlS15_E_NS1_11comp_targetILNS1_3genE2ELNS1_11target_archE906ELNS1_3gpuE6ELNS1_3repE0EEENS1_30default_config_static_selectorELNS0_4arch9wavefront6targetE1EEEvT1_.has_indirect_call, 0
	.section	.AMDGPU.csdata,"",@progbits
; Kernel info:
; codeLenInByte = 0
; TotalNumSgprs: 6
; NumVgprs: 0
; NumAgprs: 0
; TotalNumVgprs: 0
; ScratchSize: 0
; MemoryBound: 0
; FloatMode: 240
; IeeeMode: 1
; LDSByteSize: 0 bytes/workgroup (compile time only)
; SGPRBlocks: 0
; VGPRBlocks: 0
; NumSGPRsForWavesPerEU: 6
; NumVGPRsForWavesPerEU: 1
; AccumOffset: 4
; Occupancy: 8
; WaveLimiterHint : 0
; COMPUTE_PGM_RSRC2:SCRATCH_EN: 0
; COMPUTE_PGM_RSRC2:USER_SGPR: 2
; COMPUTE_PGM_RSRC2:TRAP_HANDLER: 0
; COMPUTE_PGM_RSRC2:TGID_X_EN: 1
; COMPUTE_PGM_RSRC2:TGID_Y_EN: 0
; COMPUTE_PGM_RSRC2:TGID_Z_EN: 0
; COMPUTE_PGM_RSRC2:TIDIG_COMP_CNT: 0
; COMPUTE_PGM_RSRC3_GFX90A:ACCUM_OFFSET: 0
; COMPUTE_PGM_RSRC3_GFX90A:TG_SPLIT: 0
	.section	.text._ZN7rocprim17ROCPRIM_400000_NS6detail17trampoline_kernelINS0_14default_configENS1_25partition_config_selectorILNS1_17partition_subalgoE9EllbEEZZNS1_14partition_implILS5_9ELb0ES3_jPlS8_PNS0_10empty_typeENS0_5tupleIJS8_S9_EEENSB_IJS8_SA_EEENS0_18inequality_wrapperIZN2at6native12_GLOBAL__N_124unique_dim_cuda_templateIfEESt5tupleIJNSF_6TensorESK_SK_EERKSK_lbbbEUlllE0_EEPmJS9_EEE10hipError_tPvRmT3_T4_T5_T6_T7_T9_mT8_P12ihipStream_tbDpT10_ENKUlT_T0_E_clISt17integral_constantIbLb0EES1A_EEDaS15_S16_EUlS15_E_NS1_11comp_targetILNS1_3genE10ELNS1_11target_archE1200ELNS1_3gpuE4ELNS1_3repE0EEENS1_30default_config_static_selectorELNS0_4arch9wavefront6targetE1EEEvT1_,"axG",@progbits,_ZN7rocprim17ROCPRIM_400000_NS6detail17trampoline_kernelINS0_14default_configENS1_25partition_config_selectorILNS1_17partition_subalgoE9EllbEEZZNS1_14partition_implILS5_9ELb0ES3_jPlS8_PNS0_10empty_typeENS0_5tupleIJS8_S9_EEENSB_IJS8_SA_EEENS0_18inequality_wrapperIZN2at6native12_GLOBAL__N_124unique_dim_cuda_templateIfEESt5tupleIJNSF_6TensorESK_SK_EERKSK_lbbbEUlllE0_EEPmJS9_EEE10hipError_tPvRmT3_T4_T5_T6_T7_T9_mT8_P12ihipStream_tbDpT10_ENKUlT_T0_E_clISt17integral_constantIbLb0EES1A_EEDaS15_S16_EUlS15_E_NS1_11comp_targetILNS1_3genE10ELNS1_11target_archE1200ELNS1_3gpuE4ELNS1_3repE0EEENS1_30default_config_static_selectorELNS0_4arch9wavefront6targetE1EEEvT1_,comdat
	.globl	_ZN7rocprim17ROCPRIM_400000_NS6detail17trampoline_kernelINS0_14default_configENS1_25partition_config_selectorILNS1_17partition_subalgoE9EllbEEZZNS1_14partition_implILS5_9ELb0ES3_jPlS8_PNS0_10empty_typeENS0_5tupleIJS8_S9_EEENSB_IJS8_SA_EEENS0_18inequality_wrapperIZN2at6native12_GLOBAL__N_124unique_dim_cuda_templateIfEESt5tupleIJNSF_6TensorESK_SK_EERKSK_lbbbEUlllE0_EEPmJS9_EEE10hipError_tPvRmT3_T4_T5_T6_T7_T9_mT8_P12ihipStream_tbDpT10_ENKUlT_T0_E_clISt17integral_constantIbLb0EES1A_EEDaS15_S16_EUlS15_E_NS1_11comp_targetILNS1_3genE10ELNS1_11target_archE1200ELNS1_3gpuE4ELNS1_3repE0EEENS1_30default_config_static_selectorELNS0_4arch9wavefront6targetE1EEEvT1_ ; -- Begin function _ZN7rocprim17ROCPRIM_400000_NS6detail17trampoline_kernelINS0_14default_configENS1_25partition_config_selectorILNS1_17partition_subalgoE9EllbEEZZNS1_14partition_implILS5_9ELb0ES3_jPlS8_PNS0_10empty_typeENS0_5tupleIJS8_S9_EEENSB_IJS8_SA_EEENS0_18inequality_wrapperIZN2at6native12_GLOBAL__N_124unique_dim_cuda_templateIfEESt5tupleIJNSF_6TensorESK_SK_EERKSK_lbbbEUlllE0_EEPmJS9_EEE10hipError_tPvRmT3_T4_T5_T6_T7_T9_mT8_P12ihipStream_tbDpT10_ENKUlT_T0_E_clISt17integral_constantIbLb0EES1A_EEDaS15_S16_EUlS15_E_NS1_11comp_targetILNS1_3genE10ELNS1_11target_archE1200ELNS1_3gpuE4ELNS1_3repE0EEENS1_30default_config_static_selectorELNS0_4arch9wavefront6targetE1EEEvT1_
	.p2align	8
	.type	_ZN7rocprim17ROCPRIM_400000_NS6detail17trampoline_kernelINS0_14default_configENS1_25partition_config_selectorILNS1_17partition_subalgoE9EllbEEZZNS1_14partition_implILS5_9ELb0ES3_jPlS8_PNS0_10empty_typeENS0_5tupleIJS8_S9_EEENSB_IJS8_SA_EEENS0_18inequality_wrapperIZN2at6native12_GLOBAL__N_124unique_dim_cuda_templateIfEESt5tupleIJNSF_6TensorESK_SK_EERKSK_lbbbEUlllE0_EEPmJS9_EEE10hipError_tPvRmT3_T4_T5_T6_T7_T9_mT8_P12ihipStream_tbDpT10_ENKUlT_T0_E_clISt17integral_constantIbLb0EES1A_EEDaS15_S16_EUlS15_E_NS1_11comp_targetILNS1_3genE10ELNS1_11target_archE1200ELNS1_3gpuE4ELNS1_3repE0EEENS1_30default_config_static_selectorELNS0_4arch9wavefront6targetE1EEEvT1_,@function
_ZN7rocprim17ROCPRIM_400000_NS6detail17trampoline_kernelINS0_14default_configENS1_25partition_config_selectorILNS1_17partition_subalgoE9EllbEEZZNS1_14partition_implILS5_9ELb0ES3_jPlS8_PNS0_10empty_typeENS0_5tupleIJS8_S9_EEENSB_IJS8_SA_EEENS0_18inequality_wrapperIZN2at6native12_GLOBAL__N_124unique_dim_cuda_templateIfEESt5tupleIJNSF_6TensorESK_SK_EERKSK_lbbbEUlllE0_EEPmJS9_EEE10hipError_tPvRmT3_T4_T5_T6_T7_T9_mT8_P12ihipStream_tbDpT10_ENKUlT_T0_E_clISt17integral_constantIbLb0EES1A_EEDaS15_S16_EUlS15_E_NS1_11comp_targetILNS1_3genE10ELNS1_11target_archE1200ELNS1_3gpuE4ELNS1_3repE0EEENS1_30default_config_static_selectorELNS0_4arch9wavefront6targetE1EEEvT1_: ; @_ZN7rocprim17ROCPRIM_400000_NS6detail17trampoline_kernelINS0_14default_configENS1_25partition_config_selectorILNS1_17partition_subalgoE9EllbEEZZNS1_14partition_implILS5_9ELb0ES3_jPlS8_PNS0_10empty_typeENS0_5tupleIJS8_S9_EEENSB_IJS8_SA_EEENS0_18inequality_wrapperIZN2at6native12_GLOBAL__N_124unique_dim_cuda_templateIfEESt5tupleIJNSF_6TensorESK_SK_EERKSK_lbbbEUlllE0_EEPmJS9_EEE10hipError_tPvRmT3_T4_T5_T6_T7_T9_mT8_P12ihipStream_tbDpT10_ENKUlT_T0_E_clISt17integral_constantIbLb0EES1A_EEDaS15_S16_EUlS15_E_NS1_11comp_targetILNS1_3genE10ELNS1_11target_archE1200ELNS1_3gpuE4ELNS1_3repE0EEENS1_30default_config_static_selectorELNS0_4arch9wavefront6targetE1EEEvT1_
; %bb.0:
	.section	.rodata,"a",@progbits
	.p2align	6, 0x0
	.amdhsa_kernel _ZN7rocprim17ROCPRIM_400000_NS6detail17trampoline_kernelINS0_14default_configENS1_25partition_config_selectorILNS1_17partition_subalgoE9EllbEEZZNS1_14partition_implILS5_9ELb0ES3_jPlS8_PNS0_10empty_typeENS0_5tupleIJS8_S9_EEENSB_IJS8_SA_EEENS0_18inequality_wrapperIZN2at6native12_GLOBAL__N_124unique_dim_cuda_templateIfEESt5tupleIJNSF_6TensorESK_SK_EERKSK_lbbbEUlllE0_EEPmJS9_EEE10hipError_tPvRmT3_T4_T5_T6_T7_T9_mT8_P12ihipStream_tbDpT10_ENKUlT_T0_E_clISt17integral_constantIbLb0EES1A_EEDaS15_S16_EUlS15_E_NS1_11comp_targetILNS1_3genE10ELNS1_11target_archE1200ELNS1_3gpuE4ELNS1_3repE0EEENS1_30default_config_static_selectorELNS0_4arch9wavefront6targetE1EEEvT1_
		.amdhsa_group_segment_fixed_size 0
		.amdhsa_private_segment_fixed_size 0
		.amdhsa_kernarg_size 120
		.amdhsa_user_sgpr_count 2
		.amdhsa_user_sgpr_dispatch_ptr 0
		.amdhsa_user_sgpr_queue_ptr 0
		.amdhsa_user_sgpr_kernarg_segment_ptr 1
		.amdhsa_user_sgpr_dispatch_id 0
		.amdhsa_user_sgpr_kernarg_preload_length 0
		.amdhsa_user_sgpr_kernarg_preload_offset 0
		.amdhsa_user_sgpr_private_segment_size 0
		.amdhsa_uses_dynamic_stack 0
		.amdhsa_enable_private_segment 0
		.amdhsa_system_sgpr_workgroup_id_x 1
		.amdhsa_system_sgpr_workgroup_id_y 0
		.amdhsa_system_sgpr_workgroup_id_z 0
		.amdhsa_system_sgpr_workgroup_info 0
		.amdhsa_system_vgpr_workitem_id 0
		.amdhsa_next_free_vgpr 1
		.amdhsa_next_free_sgpr 0
		.amdhsa_accum_offset 4
		.amdhsa_reserve_vcc 0
		.amdhsa_float_round_mode_32 0
		.amdhsa_float_round_mode_16_64 0
		.amdhsa_float_denorm_mode_32 3
		.amdhsa_float_denorm_mode_16_64 3
		.amdhsa_dx10_clamp 1
		.amdhsa_ieee_mode 1
		.amdhsa_fp16_overflow 0
		.amdhsa_tg_split 0
		.amdhsa_exception_fp_ieee_invalid_op 0
		.amdhsa_exception_fp_denorm_src 0
		.amdhsa_exception_fp_ieee_div_zero 0
		.amdhsa_exception_fp_ieee_overflow 0
		.amdhsa_exception_fp_ieee_underflow 0
		.amdhsa_exception_fp_ieee_inexact 0
		.amdhsa_exception_int_div_zero 0
	.end_amdhsa_kernel
	.section	.text._ZN7rocprim17ROCPRIM_400000_NS6detail17trampoline_kernelINS0_14default_configENS1_25partition_config_selectorILNS1_17partition_subalgoE9EllbEEZZNS1_14partition_implILS5_9ELb0ES3_jPlS8_PNS0_10empty_typeENS0_5tupleIJS8_S9_EEENSB_IJS8_SA_EEENS0_18inequality_wrapperIZN2at6native12_GLOBAL__N_124unique_dim_cuda_templateIfEESt5tupleIJNSF_6TensorESK_SK_EERKSK_lbbbEUlllE0_EEPmJS9_EEE10hipError_tPvRmT3_T4_T5_T6_T7_T9_mT8_P12ihipStream_tbDpT10_ENKUlT_T0_E_clISt17integral_constantIbLb0EES1A_EEDaS15_S16_EUlS15_E_NS1_11comp_targetILNS1_3genE10ELNS1_11target_archE1200ELNS1_3gpuE4ELNS1_3repE0EEENS1_30default_config_static_selectorELNS0_4arch9wavefront6targetE1EEEvT1_,"axG",@progbits,_ZN7rocprim17ROCPRIM_400000_NS6detail17trampoline_kernelINS0_14default_configENS1_25partition_config_selectorILNS1_17partition_subalgoE9EllbEEZZNS1_14partition_implILS5_9ELb0ES3_jPlS8_PNS0_10empty_typeENS0_5tupleIJS8_S9_EEENSB_IJS8_SA_EEENS0_18inequality_wrapperIZN2at6native12_GLOBAL__N_124unique_dim_cuda_templateIfEESt5tupleIJNSF_6TensorESK_SK_EERKSK_lbbbEUlllE0_EEPmJS9_EEE10hipError_tPvRmT3_T4_T5_T6_T7_T9_mT8_P12ihipStream_tbDpT10_ENKUlT_T0_E_clISt17integral_constantIbLb0EES1A_EEDaS15_S16_EUlS15_E_NS1_11comp_targetILNS1_3genE10ELNS1_11target_archE1200ELNS1_3gpuE4ELNS1_3repE0EEENS1_30default_config_static_selectorELNS0_4arch9wavefront6targetE1EEEvT1_,comdat
.Lfunc_end966:
	.size	_ZN7rocprim17ROCPRIM_400000_NS6detail17trampoline_kernelINS0_14default_configENS1_25partition_config_selectorILNS1_17partition_subalgoE9EllbEEZZNS1_14partition_implILS5_9ELb0ES3_jPlS8_PNS0_10empty_typeENS0_5tupleIJS8_S9_EEENSB_IJS8_SA_EEENS0_18inequality_wrapperIZN2at6native12_GLOBAL__N_124unique_dim_cuda_templateIfEESt5tupleIJNSF_6TensorESK_SK_EERKSK_lbbbEUlllE0_EEPmJS9_EEE10hipError_tPvRmT3_T4_T5_T6_T7_T9_mT8_P12ihipStream_tbDpT10_ENKUlT_T0_E_clISt17integral_constantIbLb0EES1A_EEDaS15_S16_EUlS15_E_NS1_11comp_targetILNS1_3genE10ELNS1_11target_archE1200ELNS1_3gpuE4ELNS1_3repE0EEENS1_30default_config_static_selectorELNS0_4arch9wavefront6targetE1EEEvT1_, .Lfunc_end966-_ZN7rocprim17ROCPRIM_400000_NS6detail17trampoline_kernelINS0_14default_configENS1_25partition_config_selectorILNS1_17partition_subalgoE9EllbEEZZNS1_14partition_implILS5_9ELb0ES3_jPlS8_PNS0_10empty_typeENS0_5tupleIJS8_S9_EEENSB_IJS8_SA_EEENS0_18inequality_wrapperIZN2at6native12_GLOBAL__N_124unique_dim_cuda_templateIfEESt5tupleIJNSF_6TensorESK_SK_EERKSK_lbbbEUlllE0_EEPmJS9_EEE10hipError_tPvRmT3_T4_T5_T6_T7_T9_mT8_P12ihipStream_tbDpT10_ENKUlT_T0_E_clISt17integral_constantIbLb0EES1A_EEDaS15_S16_EUlS15_E_NS1_11comp_targetILNS1_3genE10ELNS1_11target_archE1200ELNS1_3gpuE4ELNS1_3repE0EEENS1_30default_config_static_selectorELNS0_4arch9wavefront6targetE1EEEvT1_
                                        ; -- End function
	.set _ZN7rocprim17ROCPRIM_400000_NS6detail17trampoline_kernelINS0_14default_configENS1_25partition_config_selectorILNS1_17partition_subalgoE9EllbEEZZNS1_14partition_implILS5_9ELb0ES3_jPlS8_PNS0_10empty_typeENS0_5tupleIJS8_S9_EEENSB_IJS8_SA_EEENS0_18inequality_wrapperIZN2at6native12_GLOBAL__N_124unique_dim_cuda_templateIfEESt5tupleIJNSF_6TensorESK_SK_EERKSK_lbbbEUlllE0_EEPmJS9_EEE10hipError_tPvRmT3_T4_T5_T6_T7_T9_mT8_P12ihipStream_tbDpT10_ENKUlT_T0_E_clISt17integral_constantIbLb0EES1A_EEDaS15_S16_EUlS15_E_NS1_11comp_targetILNS1_3genE10ELNS1_11target_archE1200ELNS1_3gpuE4ELNS1_3repE0EEENS1_30default_config_static_selectorELNS0_4arch9wavefront6targetE1EEEvT1_.num_vgpr, 0
	.set _ZN7rocprim17ROCPRIM_400000_NS6detail17trampoline_kernelINS0_14default_configENS1_25partition_config_selectorILNS1_17partition_subalgoE9EllbEEZZNS1_14partition_implILS5_9ELb0ES3_jPlS8_PNS0_10empty_typeENS0_5tupleIJS8_S9_EEENSB_IJS8_SA_EEENS0_18inequality_wrapperIZN2at6native12_GLOBAL__N_124unique_dim_cuda_templateIfEESt5tupleIJNSF_6TensorESK_SK_EERKSK_lbbbEUlllE0_EEPmJS9_EEE10hipError_tPvRmT3_T4_T5_T6_T7_T9_mT8_P12ihipStream_tbDpT10_ENKUlT_T0_E_clISt17integral_constantIbLb0EES1A_EEDaS15_S16_EUlS15_E_NS1_11comp_targetILNS1_3genE10ELNS1_11target_archE1200ELNS1_3gpuE4ELNS1_3repE0EEENS1_30default_config_static_selectorELNS0_4arch9wavefront6targetE1EEEvT1_.num_agpr, 0
	.set _ZN7rocprim17ROCPRIM_400000_NS6detail17trampoline_kernelINS0_14default_configENS1_25partition_config_selectorILNS1_17partition_subalgoE9EllbEEZZNS1_14partition_implILS5_9ELb0ES3_jPlS8_PNS0_10empty_typeENS0_5tupleIJS8_S9_EEENSB_IJS8_SA_EEENS0_18inequality_wrapperIZN2at6native12_GLOBAL__N_124unique_dim_cuda_templateIfEESt5tupleIJNSF_6TensorESK_SK_EERKSK_lbbbEUlllE0_EEPmJS9_EEE10hipError_tPvRmT3_T4_T5_T6_T7_T9_mT8_P12ihipStream_tbDpT10_ENKUlT_T0_E_clISt17integral_constantIbLb0EES1A_EEDaS15_S16_EUlS15_E_NS1_11comp_targetILNS1_3genE10ELNS1_11target_archE1200ELNS1_3gpuE4ELNS1_3repE0EEENS1_30default_config_static_selectorELNS0_4arch9wavefront6targetE1EEEvT1_.numbered_sgpr, 0
	.set _ZN7rocprim17ROCPRIM_400000_NS6detail17trampoline_kernelINS0_14default_configENS1_25partition_config_selectorILNS1_17partition_subalgoE9EllbEEZZNS1_14partition_implILS5_9ELb0ES3_jPlS8_PNS0_10empty_typeENS0_5tupleIJS8_S9_EEENSB_IJS8_SA_EEENS0_18inequality_wrapperIZN2at6native12_GLOBAL__N_124unique_dim_cuda_templateIfEESt5tupleIJNSF_6TensorESK_SK_EERKSK_lbbbEUlllE0_EEPmJS9_EEE10hipError_tPvRmT3_T4_T5_T6_T7_T9_mT8_P12ihipStream_tbDpT10_ENKUlT_T0_E_clISt17integral_constantIbLb0EES1A_EEDaS15_S16_EUlS15_E_NS1_11comp_targetILNS1_3genE10ELNS1_11target_archE1200ELNS1_3gpuE4ELNS1_3repE0EEENS1_30default_config_static_selectorELNS0_4arch9wavefront6targetE1EEEvT1_.num_named_barrier, 0
	.set _ZN7rocprim17ROCPRIM_400000_NS6detail17trampoline_kernelINS0_14default_configENS1_25partition_config_selectorILNS1_17partition_subalgoE9EllbEEZZNS1_14partition_implILS5_9ELb0ES3_jPlS8_PNS0_10empty_typeENS0_5tupleIJS8_S9_EEENSB_IJS8_SA_EEENS0_18inequality_wrapperIZN2at6native12_GLOBAL__N_124unique_dim_cuda_templateIfEESt5tupleIJNSF_6TensorESK_SK_EERKSK_lbbbEUlllE0_EEPmJS9_EEE10hipError_tPvRmT3_T4_T5_T6_T7_T9_mT8_P12ihipStream_tbDpT10_ENKUlT_T0_E_clISt17integral_constantIbLb0EES1A_EEDaS15_S16_EUlS15_E_NS1_11comp_targetILNS1_3genE10ELNS1_11target_archE1200ELNS1_3gpuE4ELNS1_3repE0EEENS1_30default_config_static_selectorELNS0_4arch9wavefront6targetE1EEEvT1_.private_seg_size, 0
	.set _ZN7rocprim17ROCPRIM_400000_NS6detail17trampoline_kernelINS0_14default_configENS1_25partition_config_selectorILNS1_17partition_subalgoE9EllbEEZZNS1_14partition_implILS5_9ELb0ES3_jPlS8_PNS0_10empty_typeENS0_5tupleIJS8_S9_EEENSB_IJS8_SA_EEENS0_18inequality_wrapperIZN2at6native12_GLOBAL__N_124unique_dim_cuda_templateIfEESt5tupleIJNSF_6TensorESK_SK_EERKSK_lbbbEUlllE0_EEPmJS9_EEE10hipError_tPvRmT3_T4_T5_T6_T7_T9_mT8_P12ihipStream_tbDpT10_ENKUlT_T0_E_clISt17integral_constantIbLb0EES1A_EEDaS15_S16_EUlS15_E_NS1_11comp_targetILNS1_3genE10ELNS1_11target_archE1200ELNS1_3gpuE4ELNS1_3repE0EEENS1_30default_config_static_selectorELNS0_4arch9wavefront6targetE1EEEvT1_.uses_vcc, 0
	.set _ZN7rocprim17ROCPRIM_400000_NS6detail17trampoline_kernelINS0_14default_configENS1_25partition_config_selectorILNS1_17partition_subalgoE9EllbEEZZNS1_14partition_implILS5_9ELb0ES3_jPlS8_PNS0_10empty_typeENS0_5tupleIJS8_S9_EEENSB_IJS8_SA_EEENS0_18inequality_wrapperIZN2at6native12_GLOBAL__N_124unique_dim_cuda_templateIfEESt5tupleIJNSF_6TensorESK_SK_EERKSK_lbbbEUlllE0_EEPmJS9_EEE10hipError_tPvRmT3_T4_T5_T6_T7_T9_mT8_P12ihipStream_tbDpT10_ENKUlT_T0_E_clISt17integral_constantIbLb0EES1A_EEDaS15_S16_EUlS15_E_NS1_11comp_targetILNS1_3genE10ELNS1_11target_archE1200ELNS1_3gpuE4ELNS1_3repE0EEENS1_30default_config_static_selectorELNS0_4arch9wavefront6targetE1EEEvT1_.uses_flat_scratch, 0
	.set _ZN7rocprim17ROCPRIM_400000_NS6detail17trampoline_kernelINS0_14default_configENS1_25partition_config_selectorILNS1_17partition_subalgoE9EllbEEZZNS1_14partition_implILS5_9ELb0ES3_jPlS8_PNS0_10empty_typeENS0_5tupleIJS8_S9_EEENSB_IJS8_SA_EEENS0_18inequality_wrapperIZN2at6native12_GLOBAL__N_124unique_dim_cuda_templateIfEESt5tupleIJNSF_6TensorESK_SK_EERKSK_lbbbEUlllE0_EEPmJS9_EEE10hipError_tPvRmT3_T4_T5_T6_T7_T9_mT8_P12ihipStream_tbDpT10_ENKUlT_T0_E_clISt17integral_constantIbLb0EES1A_EEDaS15_S16_EUlS15_E_NS1_11comp_targetILNS1_3genE10ELNS1_11target_archE1200ELNS1_3gpuE4ELNS1_3repE0EEENS1_30default_config_static_selectorELNS0_4arch9wavefront6targetE1EEEvT1_.has_dyn_sized_stack, 0
	.set _ZN7rocprim17ROCPRIM_400000_NS6detail17trampoline_kernelINS0_14default_configENS1_25partition_config_selectorILNS1_17partition_subalgoE9EllbEEZZNS1_14partition_implILS5_9ELb0ES3_jPlS8_PNS0_10empty_typeENS0_5tupleIJS8_S9_EEENSB_IJS8_SA_EEENS0_18inequality_wrapperIZN2at6native12_GLOBAL__N_124unique_dim_cuda_templateIfEESt5tupleIJNSF_6TensorESK_SK_EERKSK_lbbbEUlllE0_EEPmJS9_EEE10hipError_tPvRmT3_T4_T5_T6_T7_T9_mT8_P12ihipStream_tbDpT10_ENKUlT_T0_E_clISt17integral_constantIbLb0EES1A_EEDaS15_S16_EUlS15_E_NS1_11comp_targetILNS1_3genE10ELNS1_11target_archE1200ELNS1_3gpuE4ELNS1_3repE0EEENS1_30default_config_static_selectorELNS0_4arch9wavefront6targetE1EEEvT1_.has_recursion, 0
	.set _ZN7rocprim17ROCPRIM_400000_NS6detail17trampoline_kernelINS0_14default_configENS1_25partition_config_selectorILNS1_17partition_subalgoE9EllbEEZZNS1_14partition_implILS5_9ELb0ES3_jPlS8_PNS0_10empty_typeENS0_5tupleIJS8_S9_EEENSB_IJS8_SA_EEENS0_18inequality_wrapperIZN2at6native12_GLOBAL__N_124unique_dim_cuda_templateIfEESt5tupleIJNSF_6TensorESK_SK_EERKSK_lbbbEUlllE0_EEPmJS9_EEE10hipError_tPvRmT3_T4_T5_T6_T7_T9_mT8_P12ihipStream_tbDpT10_ENKUlT_T0_E_clISt17integral_constantIbLb0EES1A_EEDaS15_S16_EUlS15_E_NS1_11comp_targetILNS1_3genE10ELNS1_11target_archE1200ELNS1_3gpuE4ELNS1_3repE0EEENS1_30default_config_static_selectorELNS0_4arch9wavefront6targetE1EEEvT1_.has_indirect_call, 0
	.section	.AMDGPU.csdata,"",@progbits
; Kernel info:
; codeLenInByte = 0
; TotalNumSgprs: 6
; NumVgprs: 0
; NumAgprs: 0
; TotalNumVgprs: 0
; ScratchSize: 0
; MemoryBound: 0
; FloatMode: 240
; IeeeMode: 1
; LDSByteSize: 0 bytes/workgroup (compile time only)
; SGPRBlocks: 0
; VGPRBlocks: 0
; NumSGPRsForWavesPerEU: 6
; NumVGPRsForWavesPerEU: 1
; AccumOffset: 4
; Occupancy: 8
; WaveLimiterHint : 0
; COMPUTE_PGM_RSRC2:SCRATCH_EN: 0
; COMPUTE_PGM_RSRC2:USER_SGPR: 2
; COMPUTE_PGM_RSRC2:TRAP_HANDLER: 0
; COMPUTE_PGM_RSRC2:TGID_X_EN: 1
; COMPUTE_PGM_RSRC2:TGID_Y_EN: 0
; COMPUTE_PGM_RSRC2:TGID_Z_EN: 0
; COMPUTE_PGM_RSRC2:TIDIG_COMP_CNT: 0
; COMPUTE_PGM_RSRC3_GFX90A:ACCUM_OFFSET: 0
; COMPUTE_PGM_RSRC3_GFX90A:TG_SPLIT: 0
	.section	.text._ZN7rocprim17ROCPRIM_400000_NS6detail17trampoline_kernelINS0_14default_configENS1_25partition_config_selectorILNS1_17partition_subalgoE9EllbEEZZNS1_14partition_implILS5_9ELb0ES3_jPlS8_PNS0_10empty_typeENS0_5tupleIJS8_S9_EEENSB_IJS8_SA_EEENS0_18inequality_wrapperIZN2at6native12_GLOBAL__N_124unique_dim_cuda_templateIfEESt5tupleIJNSF_6TensorESK_SK_EERKSK_lbbbEUlllE0_EEPmJS9_EEE10hipError_tPvRmT3_T4_T5_T6_T7_T9_mT8_P12ihipStream_tbDpT10_ENKUlT_T0_E_clISt17integral_constantIbLb0EES1A_EEDaS15_S16_EUlS15_E_NS1_11comp_targetILNS1_3genE9ELNS1_11target_archE1100ELNS1_3gpuE3ELNS1_3repE0EEENS1_30default_config_static_selectorELNS0_4arch9wavefront6targetE1EEEvT1_,"axG",@progbits,_ZN7rocprim17ROCPRIM_400000_NS6detail17trampoline_kernelINS0_14default_configENS1_25partition_config_selectorILNS1_17partition_subalgoE9EllbEEZZNS1_14partition_implILS5_9ELb0ES3_jPlS8_PNS0_10empty_typeENS0_5tupleIJS8_S9_EEENSB_IJS8_SA_EEENS0_18inequality_wrapperIZN2at6native12_GLOBAL__N_124unique_dim_cuda_templateIfEESt5tupleIJNSF_6TensorESK_SK_EERKSK_lbbbEUlllE0_EEPmJS9_EEE10hipError_tPvRmT3_T4_T5_T6_T7_T9_mT8_P12ihipStream_tbDpT10_ENKUlT_T0_E_clISt17integral_constantIbLb0EES1A_EEDaS15_S16_EUlS15_E_NS1_11comp_targetILNS1_3genE9ELNS1_11target_archE1100ELNS1_3gpuE3ELNS1_3repE0EEENS1_30default_config_static_selectorELNS0_4arch9wavefront6targetE1EEEvT1_,comdat
	.globl	_ZN7rocprim17ROCPRIM_400000_NS6detail17trampoline_kernelINS0_14default_configENS1_25partition_config_selectorILNS1_17partition_subalgoE9EllbEEZZNS1_14partition_implILS5_9ELb0ES3_jPlS8_PNS0_10empty_typeENS0_5tupleIJS8_S9_EEENSB_IJS8_SA_EEENS0_18inequality_wrapperIZN2at6native12_GLOBAL__N_124unique_dim_cuda_templateIfEESt5tupleIJNSF_6TensorESK_SK_EERKSK_lbbbEUlllE0_EEPmJS9_EEE10hipError_tPvRmT3_T4_T5_T6_T7_T9_mT8_P12ihipStream_tbDpT10_ENKUlT_T0_E_clISt17integral_constantIbLb0EES1A_EEDaS15_S16_EUlS15_E_NS1_11comp_targetILNS1_3genE9ELNS1_11target_archE1100ELNS1_3gpuE3ELNS1_3repE0EEENS1_30default_config_static_selectorELNS0_4arch9wavefront6targetE1EEEvT1_ ; -- Begin function _ZN7rocprim17ROCPRIM_400000_NS6detail17trampoline_kernelINS0_14default_configENS1_25partition_config_selectorILNS1_17partition_subalgoE9EllbEEZZNS1_14partition_implILS5_9ELb0ES3_jPlS8_PNS0_10empty_typeENS0_5tupleIJS8_S9_EEENSB_IJS8_SA_EEENS0_18inequality_wrapperIZN2at6native12_GLOBAL__N_124unique_dim_cuda_templateIfEESt5tupleIJNSF_6TensorESK_SK_EERKSK_lbbbEUlllE0_EEPmJS9_EEE10hipError_tPvRmT3_T4_T5_T6_T7_T9_mT8_P12ihipStream_tbDpT10_ENKUlT_T0_E_clISt17integral_constantIbLb0EES1A_EEDaS15_S16_EUlS15_E_NS1_11comp_targetILNS1_3genE9ELNS1_11target_archE1100ELNS1_3gpuE3ELNS1_3repE0EEENS1_30default_config_static_selectorELNS0_4arch9wavefront6targetE1EEEvT1_
	.p2align	8
	.type	_ZN7rocprim17ROCPRIM_400000_NS6detail17trampoline_kernelINS0_14default_configENS1_25partition_config_selectorILNS1_17partition_subalgoE9EllbEEZZNS1_14partition_implILS5_9ELb0ES3_jPlS8_PNS0_10empty_typeENS0_5tupleIJS8_S9_EEENSB_IJS8_SA_EEENS0_18inequality_wrapperIZN2at6native12_GLOBAL__N_124unique_dim_cuda_templateIfEESt5tupleIJNSF_6TensorESK_SK_EERKSK_lbbbEUlllE0_EEPmJS9_EEE10hipError_tPvRmT3_T4_T5_T6_T7_T9_mT8_P12ihipStream_tbDpT10_ENKUlT_T0_E_clISt17integral_constantIbLb0EES1A_EEDaS15_S16_EUlS15_E_NS1_11comp_targetILNS1_3genE9ELNS1_11target_archE1100ELNS1_3gpuE3ELNS1_3repE0EEENS1_30default_config_static_selectorELNS0_4arch9wavefront6targetE1EEEvT1_,@function
_ZN7rocprim17ROCPRIM_400000_NS6detail17trampoline_kernelINS0_14default_configENS1_25partition_config_selectorILNS1_17partition_subalgoE9EllbEEZZNS1_14partition_implILS5_9ELb0ES3_jPlS8_PNS0_10empty_typeENS0_5tupleIJS8_S9_EEENSB_IJS8_SA_EEENS0_18inequality_wrapperIZN2at6native12_GLOBAL__N_124unique_dim_cuda_templateIfEESt5tupleIJNSF_6TensorESK_SK_EERKSK_lbbbEUlllE0_EEPmJS9_EEE10hipError_tPvRmT3_T4_T5_T6_T7_T9_mT8_P12ihipStream_tbDpT10_ENKUlT_T0_E_clISt17integral_constantIbLb0EES1A_EEDaS15_S16_EUlS15_E_NS1_11comp_targetILNS1_3genE9ELNS1_11target_archE1100ELNS1_3gpuE3ELNS1_3repE0EEENS1_30default_config_static_selectorELNS0_4arch9wavefront6targetE1EEEvT1_: ; @_ZN7rocprim17ROCPRIM_400000_NS6detail17trampoline_kernelINS0_14default_configENS1_25partition_config_selectorILNS1_17partition_subalgoE9EllbEEZZNS1_14partition_implILS5_9ELb0ES3_jPlS8_PNS0_10empty_typeENS0_5tupleIJS8_S9_EEENSB_IJS8_SA_EEENS0_18inequality_wrapperIZN2at6native12_GLOBAL__N_124unique_dim_cuda_templateIfEESt5tupleIJNSF_6TensorESK_SK_EERKSK_lbbbEUlllE0_EEPmJS9_EEE10hipError_tPvRmT3_T4_T5_T6_T7_T9_mT8_P12ihipStream_tbDpT10_ENKUlT_T0_E_clISt17integral_constantIbLb0EES1A_EEDaS15_S16_EUlS15_E_NS1_11comp_targetILNS1_3genE9ELNS1_11target_archE1100ELNS1_3gpuE3ELNS1_3repE0EEENS1_30default_config_static_selectorELNS0_4arch9wavefront6targetE1EEEvT1_
; %bb.0:
	.section	.rodata,"a",@progbits
	.p2align	6, 0x0
	.amdhsa_kernel _ZN7rocprim17ROCPRIM_400000_NS6detail17trampoline_kernelINS0_14default_configENS1_25partition_config_selectorILNS1_17partition_subalgoE9EllbEEZZNS1_14partition_implILS5_9ELb0ES3_jPlS8_PNS0_10empty_typeENS0_5tupleIJS8_S9_EEENSB_IJS8_SA_EEENS0_18inequality_wrapperIZN2at6native12_GLOBAL__N_124unique_dim_cuda_templateIfEESt5tupleIJNSF_6TensorESK_SK_EERKSK_lbbbEUlllE0_EEPmJS9_EEE10hipError_tPvRmT3_T4_T5_T6_T7_T9_mT8_P12ihipStream_tbDpT10_ENKUlT_T0_E_clISt17integral_constantIbLb0EES1A_EEDaS15_S16_EUlS15_E_NS1_11comp_targetILNS1_3genE9ELNS1_11target_archE1100ELNS1_3gpuE3ELNS1_3repE0EEENS1_30default_config_static_selectorELNS0_4arch9wavefront6targetE1EEEvT1_
		.amdhsa_group_segment_fixed_size 0
		.amdhsa_private_segment_fixed_size 0
		.amdhsa_kernarg_size 120
		.amdhsa_user_sgpr_count 2
		.amdhsa_user_sgpr_dispatch_ptr 0
		.amdhsa_user_sgpr_queue_ptr 0
		.amdhsa_user_sgpr_kernarg_segment_ptr 1
		.amdhsa_user_sgpr_dispatch_id 0
		.amdhsa_user_sgpr_kernarg_preload_length 0
		.amdhsa_user_sgpr_kernarg_preload_offset 0
		.amdhsa_user_sgpr_private_segment_size 0
		.amdhsa_uses_dynamic_stack 0
		.amdhsa_enable_private_segment 0
		.amdhsa_system_sgpr_workgroup_id_x 1
		.amdhsa_system_sgpr_workgroup_id_y 0
		.amdhsa_system_sgpr_workgroup_id_z 0
		.amdhsa_system_sgpr_workgroup_info 0
		.amdhsa_system_vgpr_workitem_id 0
		.amdhsa_next_free_vgpr 1
		.amdhsa_next_free_sgpr 0
		.amdhsa_accum_offset 4
		.amdhsa_reserve_vcc 0
		.amdhsa_float_round_mode_32 0
		.amdhsa_float_round_mode_16_64 0
		.amdhsa_float_denorm_mode_32 3
		.amdhsa_float_denorm_mode_16_64 3
		.amdhsa_dx10_clamp 1
		.amdhsa_ieee_mode 1
		.amdhsa_fp16_overflow 0
		.amdhsa_tg_split 0
		.amdhsa_exception_fp_ieee_invalid_op 0
		.amdhsa_exception_fp_denorm_src 0
		.amdhsa_exception_fp_ieee_div_zero 0
		.amdhsa_exception_fp_ieee_overflow 0
		.amdhsa_exception_fp_ieee_underflow 0
		.amdhsa_exception_fp_ieee_inexact 0
		.amdhsa_exception_int_div_zero 0
	.end_amdhsa_kernel
	.section	.text._ZN7rocprim17ROCPRIM_400000_NS6detail17trampoline_kernelINS0_14default_configENS1_25partition_config_selectorILNS1_17partition_subalgoE9EllbEEZZNS1_14partition_implILS5_9ELb0ES3_jPlS8_PNS0_10empty_typeENS0_5tupleIJS8_S9_EEENSB_IJS8_SA_EEENS0_18inequality_wrapperIZN2at6native12_GLOBAL__N_124unique_dim_cuda_templateIfEESt5tupleIJNSF_6TensorESK_SK_EERKSK_lbbbEUlllE0_EEPmJS9_EEE10hipError_tPvRmT3_T4_T5_T6_T7_T9_mT8_P12ihipStream_tbDpT10_ENKUlT_T0_E_clISt17integral_constantIbLb0EES1A_EEDaS15_S16_EUlS15_E_NS1_11comp_targetILNS1_3genE9ELNS1_11target_archE1100ELNS1_3gpuE3ELNS1_3repE0EEENS1_30default_config_static_selectorELNS0_4arch9wavefront6targetE1EEEvT1_,"axG",@progbits,_ZN7rocprim17ROCPRIM_400000_NS6detail17trampoline_kernelINS0_14default_configENS1_25partition_config_selectorILNS1_17partition_subalgoE9EllbEEZZNS1_14partition_implILS5_9ELb0ES3_jPlS8_PNS0_10empty_typeENS0_5tupleIJS8_S9_EEENSB_IJS8_SA_EEENS0_18inequality_wrapperIZN2at6native12_GLOBAL__N_124unique_dim_cuda_templateIfEESt5tupleIJNSF_6TensorESK_SK_EERKSK_lbbbEUlllE0_EEPmJS9_EEE10hipError_tPvRmT3_T4_T5_T6_T7_T9_mT8_P12ihipStream_tbDpT10_ENKUlT_T0_E_clISt17integral_constantIbLb0EES1A_EEDaS15_S16_EUlS15_E_NS1_11comp_targetILNS1_3genE9ELNS1_11target_archE1100ELNS1_3gpuE3ELNS1_3repE0EEENS1_30default_config_static_selectorELNS0_4arch9wavefront6targetE1EEEvT1_,comdat
.Lfunc_end967:
	.size	_ZN7rocprim17ROCPRIM_400000_NS6detail17trampoline_kernelINS0_14default_configENS1_25partition_config_selectorILNS1_17partition_subalgoE9EllbEEZZNS1_14partition_implILS5_9ELb0ES3_jPlS8_PNS0_10empty_typeENS0_5tupleIJS8_S9_EEENSB_IJS8_SA_EEENS0_18inequality_wrapperIZN2at6native12_GLOBAL__N_124unique_dim_cuda_templateIfEESt5tupleIJNSF_6TensorESK_SK_EERKSK_lbbbEUlllE0_EEPmJS9_EEE10hipError_tPvRmT3_T4_T5_T6_T7_T9_mT8_P12ihipStream_tbDpT10_ENKUlT_T0_E_clISt17integral_constantIbLb0EES1A_EEDaS15_S16_EUlS15_E_NS1_11comp_targetILNS1_3genE9ELNS1_11target_archE1100ELNS1_3gpuE3ELNS1_3repE0EEENS1_30default_config_static_selectorELNS0_4arch9wavefront6targetE1EEEvT1_, .Lfunc_end967-_ZN7rocprim17ROCPRIM_400000_NS6detail17trampoline_kernelINS0_14default_configENS1_25partition_config_selectorILNS1_17partition_subalgoE9EllbEEZZNS1_14partition_implILS5_9ELb0ES3_jPlS8_PNS0_10empty_typeENS0_5tupleIJS8_S9_EEENSB_IJS8_SA_EEENS0_18inequality_wrapperIZN2at6native12_GLOBAL__N_124unique_dim_cuda_templateIfEESt5tupleIJNSF_6TensorESK_SK_EERKSK_lbbbEUlllE0_EEPmJS9_EEE10hipError_tPvRmT3_T4_T5_T6_T7_T9_mT8_P12ihipStream_tbDpT10_ENKUlT_T0_E_clISt17integral_constantIbLb0EES1A_EEDaS15_S16_EUlS15_E_NS1_11comp_targetILNS1_3genE9ELNS1_11target_archE1100ELNS1_3gpuE3ELNS1_3repE0EEENS1_30default_config_static_selectorELNS0_4arch9wavefront6targetE1EEEvT1_
                                        ; -- End function
	.set _ZN7rocprim17ROCPRIM_400000_NS6detail17trampoline_kernelINS0_14default_configENS1_25partition_config_selectorILNS1_17partition_subalgoE9EllbEEZZNS1_14partition_implILS5_9ELb0ES3_jPlS8_PNS0_10empty_typeENS0_5tupleIJS8_S9_EEENSB_IJS8_SA_EEENS0_18inequality_wrapperIZN2at6native12_GLOBAL__N_124unique_dim_cuda_templateIfEESt5tupleIJNSF_6TensorESK_SK_EERKSK_lbbbEUlllE0_EEPmJS9_EEE10hipError_tPvRmT3_T4_T5_T6_T7_T9_mT8_P12ihipStream_tbDpT10_ENKUlT_T0_E_clISt17integral_constantIbLb0EES1A_EEDaS15_S16_EUlS15_E_NS1_11comp_targetILNS1_3genE9ELNS1_11target_archE1100ELNS1_3gpuE3ELNS1_3repE0EEENS1_30default_config_static_selectorELNS0_4arch9wavefront6targetE1EEEvT1_.num_vgpr, 0
	.set _ZN7rocprim17ROCPRIM_400000_NS6detail17trampoline_kernelINS0_14default_configENS1_25partition_config_selectorILNS1_17partition_subalgoE9EllbEEZZNS1_14partition_implILS5_9ELb0ES3_jPlS8_PNS0_10empty_typeENS0_5tupleIJS8_S9_EEENSB_IJS8_SA_EEENS0_18inequality_wrapperIZN2at6native12_GLOBAL__N_124unique_dim_cuda_templateIfEESt5tupleIJNSF_6TensorESK_SK_EERKSK_lbbbEUlllE0_EEPmJS9_EEE10hipError_tPvRmT3_T4_T5_T6_T7_T9_mT8_P12ihipStream_tbDpT10_ENKUlT_T0_E_clISt17integral_constantIbLb0EES1A_EEDaS15_S16_EUlS15_E_NS1_11comp_targetILNS1_3genE9ELNS1_11target_archE1100ELNS1_3gpuE3ELNS1_3repE0EEENS1_30default_config_static_selectorELNS0_4arch9wavefront6targetE1EEEvT1_.num_agpr, 0
	.set _ZN7rocprim17ROCPRIM_400000_NS6detail17trampoline_kernelINS0_14default_configENS1_25partition_config_selectorILNS1_17partition_subalgoE9EllbEEZZNS1_14partition_implILS5_9ELb0ES3_jPlS8_PNS0_10empty_typeENS0_5tupleIJS8_S9_EEENSB_IJS8_SA_EEENS0_18inequality_wrapperIZN2at6native12_GLOBAL__N_124unique_dim_cuda_templateIfEESt5tupleIJNSF_6TensorESK_SK_EERKSK_lbbbEUlllE0_EEPmJS9_EEE10hipError_tPvRmT3_T4_T5_T6_T7_T9_mT8_P12ihipStream_tbDpT10_ENKUlT_T0_E_clISt17integral_constantIbLb0EES1A_EEDaS15_S16_EUlS15_E_NS1_11comp_targetILNS1_3genE9ELNS1_11target_archE1100ELNS1_3gpuE3ELNS1_3repE0EEENS1_30default_config_static_selectorELNS0_4arch9wavefront6targetE1EEEvT1_.numbered_sgpr, 0
	.set _ZN7rocprim17ROCPRIM_400000_NS6detail17trampoline_kernelINS0_14default_configENS1_25partition_config_selectorILNS1_17partition_subalgoE9EllbEEZZNS1_14partition_implILS5_9ELb0ES3_jPlS8_PNS0_10empty_typeENS0_5tupleIJS8_S9_EEENSB_IJS8_SA_EEENS0_18inequality_wrapperIZN2at6native12_GLOBAL__N_124unique_dim_cuda_templateIfEESt5tupleIJNSF_6TensorESK_SK_EERKSK_lbbbEUlllE0_EEPmJS9_EEE10hipError_tPvRmT3_T4_T5_T6_T7_T9_mT8_P12ihipStream_tbDpT10_ENKUlT_T0_E_clISt17integral_constantIbLb0EES1A_EEDaS15_S16_EUlS15_E_NS1_11comp_targetILNS1_3genE9ELNS1_11target_archE1100ELNS1_3gpuE3ELNS1_3repE0EEENS1_30default_config_static_selectorELNS0_4arch9wavefront6targetE1EEEvT1_.num_named_barrier, 0
	.set _ZN7rocprim17ROCPRIM_400000_NS6detail17trampoline_kernelINS0_14default_configENS1_25partition_config_selectorILNS1_17partition_subalgoE9EllbEEZZNS1_14partition_implILS5_9ELb0ES3_jPlS8_PNS0_10empty_typeENS0_5tupleIJS8_S9_EEENSB_IJS8_SA_EEENS0_18inequality_wrapperIZN2at6native12_GLOBAL__N_124unique_dim_cuda_templateIfEESt5tupleIJNSF_6TensorESK_SK_EERKSK_lbbbEUlllE0_EEPmJS9_EEE10hipError_tPvRmT3_T4_T5_T6_T7_T9_mT8_P12ihipStream_tbDpT10_ENKUlT_T0_E_clISt17integral_constantIbLb0EES1A_EEDaS15_S16_EUlS15_E_NS1_11comp_targetILNS1_3genE9ELNS1_11target_archE1100ELNS1_3gpuE3ELNS1_3repE0EEENS1_30default_config_static_selectorELNS0_4arch9wavefront6targetE1EEEvT1_.private_seg_size, 0
	.set _ZN7rocprim17ROCPRIM_400000_NS6detail17trampoline_kernelINS0_14default_configENS1_25partition_config_selectorILNS1_17partition_subalgoE9EllbEEZZNS1_14partition_implILS5_9ELb0ES3_jPlS8_PNS0_10empty_typeENS0_5tupleIJS8_S9_EEENSB_IJS8_SA_EEENS0_18inequality_wrapperIZN2at6native12_GLOBAL__N_124unique_dim_cuda_templateIfEESt5tupleIJNSF_6TensorESK_SK_EERKSK_lbbbEUlllE0_EEPmJS9_EEE10hipError_tPvRmT3_T4_T5_T6_T7_T9_mT8_P12ihipStream_tbDpT10_ENKUlT_T0_E_clISt17integral_constantIbLb0EES1A_EEDaS15_S16_EUlS15_E_NS1_11comp_targetILNS1_3genE9ELNS1_11target_archE1100ELNS1_3gpuE3ELNS1_3repE0EEENS1_30default_config_static_selectorELNS0_4arch9wavefront6targetE1EEEvT1_.uses_vcc, 0
	.set _ZN7rocprim17ROCPRIM_400000_NS6detail17trampoline_kernelINS0_14default_configENS1_25partition_config_selectorILNS1_17partition_subalgoE9EllbEEZZNS1_14partition_implILS5_9ELb0ES3_jPlS8_PNS0_10empty_typeENS0_5tupleIJS8_S9_EEENSB_IJS8_SA_EEENS0_18inequality_wrapperIZN2at6native12_GLOBAL__N_124unique_dim_cuda_templateIfEESt5tupleIJNSF_6TensorESK_SK_EERKSK_lbbbEUlllE0_EEPmJS9_EEE10hipError_tPvRmT3_T4_T5_T6_T7_T9_mT8_P12ihipStream_tbDpT10_ENKUlT_T0_E_clISt17integral_constantIbLb0EES1A_EEDaS15_S16_EUlS15_E_NS1_11comp_targetILNS1_3genE9ELNS1_11target_archE1100ELNS1_3gpuE3ELNS1_3repE0EEENS1_30default_config_static_selectorELNS0_4arch9wavefront6targetE1EEEvT1_.uses_flat_scratch, 0
	.set _ZN7rocprim17ROCPRIM_400000_NS6detail17trampoline_kernelINS0_14default_configENS1_25partition_config_selectorILNS1_17partition_subalgoE9EllbEEZZNS1_14partition_implILS5_9ELb0ES3_jPlS8_PNS0_10empty_typeENS0_5tupleIJS8_S9_EEENSB_IJS8_SA_EEENS0_18inequality_wrapperIZN2at6native12_GLOBAL__N_124unique_dim_cuda_templateIfEESt5tupleIJNSF_6TensorESK_SK_EERKSK_lbbbEUlllE0_EEPmJS9_EEE10hipError_tPvRmT3_T4_T5_T6_T7_T9_mT8_P12ihipStream_tbDpT10_ENKUlT_T0_E_clISt17integral_constantIbLb0EES1A_EEDaS15_S16_EUlS15_E_NS1_11comp_targetILNS1_3genE9ELNS1_11target_archE1100ELNS1_3gpuE3ELNS1_3repE0EEENS1_30default_config_static_selectorELNS0_4arch9wavefront6targetE1EEEvT1_.has_dyn_sized_stack, 0
	.set _ZN7rocprim17ROCPRIM_400000_NS6detail17trampoline_kernelINS0_14default_configENS1_25partition_config_selectorILNS1_17partition_subalgoE9EllbEEZZNS1_14partition_implILS5_9ELb0ES3_jPlS8_PNS0_10empty_typeENS0_5tupleIJS8_S9_EEENSB_IJS8_SA_EEENS0_18inequality_wrapperIZN2at6native12_GLOBAL__N_124unique_dim_cuda_templateIfEESt5tupleIJNSF_6TensorESK_SK_EERKSK_lbbbEUlllE0_EEPmJS9_EEE10hipError_tPvRmT3_T4_T5_T6_T7_T9_mT8_P12ihipStream_tbDpT10_ENKUlT_T0_E_clISt17integral_constantIbLb0EES1A_EEDaS15_S16_EUlS15_E_NS1_11comp_targetILNS1_3genE9ELNS1_11target_archE1100ELNS1_3gpuE3ELNS1_3repE0EEENS1_30default_config_static_selectorELNS0_4arch9wavefront6targetE1EEEvT1_.has_recursion, 0
	.set _ZN7rocprim17ROCPRIM_400000_NS6detail17trampoline_kernelINS0_14default_configENS1_25partition_config_selectorILNS1_17partition_subalgoE9EllbEEZZNS1_14partition_implILS5_9ELb0ES3_jPlS8_PNS0_10empty_typeENS0_5tupleIJS8_S9_EEENSB_IJS8_SA_EEENS0_18inequality_wrapperIZN2at6native12_GLOBAL__N_124unique_dim_cuda_templateIfEESt5tupleIJNSF_6TensorESK_SK_EERKSK_lbbbEUlllE0_EEPmJS9_EEE10hipError_tPvRmT3_T4_T5_T6_T7_T9_mT8_P12ihipStream_tbDpT10_ENKUlT_T0_E_clISt17integral_constantIbLb0EES1A_EEDaS15_S16_EUlS15_E_NS1_11comp_targetILNS1_3genE9ELNS1_11target_archE1100ELNS1_3gpuE3ELNS1_3repE0EEENS1_30default_config_static_selectorELNS0_4arch9wavefront6targetE1EEEvT1_.has_indirect_call, 0
	.section	.AMDGPU.csdata,"",@progbits
; Kernel info:
; codeLenInByte = 0
; TotalNumSgprs: 6
; NumVgprs: 0
; NumAgprs: 0
; TotalNumVgprs: 0
; ScratchSize: 0
; MemoryBound: 0
; FloatMode: 240
; IeeeMode: 1
; LDSByteSize: 0 bytes/workgroup (compile time only)
; SGPRBlocks: 0
; VGPRBlocks: 0
; NumSGPRsForWavesPerEU: 6
; NumVGPRsForWavesPerEU: 1
; AccumOffset: 4
; Occupancy: 8
; WaveLimiterHint : 0
; COMPUTE_PGM_RSRC2:SCRATCH_EN: 0
; COMPUTE_PGM_RSRC2:USER_SGPR: 2
; COMPUTE_PGM_RSRC2:TRAP_HANDLER: 0
; COMPUTE_PGM_RSRC2:TGID_X_EN: 1
; COMPUTE_PGM_RSRC2:TGID_Y_EN: 0
; COMPUTE_PGM_RSRC2:TGID_Z_EN: 0
; COMPUTE_PGM_RSRC2:TIDIG_COMP_CNT: 0
; COMPUTE_PGM_RSRC3_GFX90A:ACCUM_OFFSET: 0
; COMPUTE_PGM_RSRC3_GFX90A:TG_SPLIT: 0
	.section	.text._ZN7rocprim17ROCPRIM_400000_NS6detail17trampoline_kernelINS0_14default_configENS1_25partition_config_selectorILNS1_17partition_subalgoE9EllbEEZZNS1_14partition_implILS5_9ELb0ES3_jPlS8_PNS0_10empty_typeENS0_5tupleIJS8_S9_EEENSB_IJS8_SA_EEENS0_18inequality_wrapperIZN2at6native12_GLOBAL__N_124unique_dim_cuda_templateIfEESt5tupleIJNSF_6TensorESK_SK_EERKSK_lbbbEUlllE0_EEPmJS9_EEE10hipError_tPvRmT3_T4_T5_T6_T7_T9_mT8_P12ihipStream_tbDpT10_ENKUlT_T0_E_clISt17integral_constantIbLb0EES1A_EEDaS15_S16_EUlS15_E_NS1_11comp_targetILNS1_3genE8ELNS1_11target_archE1030ELNS1_3gpuE2ELNS1_3repE0EEENS1_30default_config_static_selectorELNS0_4arch9wavefront6targetE1EEEvT1_,"axG",@progbits,_ZN7rocprim17ROCPRIM_400000_NS6detail17trampoline_kernelINS0_14default_configENS1_25partition_config_selectorILNS1_17partition_subalgoE9EllbEEZZNS1_14partition_implILS5_9ELb0ES3_jPlS8_PNS0_10empty_typeENS0_5tupleIJS8_S9_EEENSB_IJS8_SA_EEENS0_18inequality_wrapperIZN2at6native12_GLOBAL__N_124unique_dim_cuda_templateIfEESt5tupleIJNSF_6TensorESK_SK_EERKSK_lbbbEUlllE0_EEPmJS9_EEE10hipError_tPvRmT3_T4_T5_T6_T7_T9_mT8_P12ihipStream_tbDpT10_ENKUlT_T0_E_clISt17integral_constantIbLb0EES1A_EEDaS15_S16_EUlS15_E_NS1_11comp_targetILNS1_3genE8ELNS1_11target_archE1030ELNS1_3gpuE2ELNS1_3repE0EEENS1_30default_config_static_selectorELNS0_4arch9wavefront6targetE1EEEvT1_,comdat
	.globl	_ZN7rocprim17ROCPRIM_400000_NS6detail17trampoline_kernelINS0_14default_configENS1_25partition_config_selectorILNS1_17partition_subalgoE9EllbEEZZNS1_14partition_implILS5_9ELb0ES3_jPlS8_PNS0_10empty_typeENS0_5tupleIJS8_S9_EEENSB_IJS8_SA_EEENS0_18inequality_wrapperIZN2at6native12_GLOBAL__N_124unique_dim_cuda_templateIfEESt5tupleIJNSF_6TensorESK_SK_EERKSK_lbbbEUlllE0_EEPmJS9_EEE10hipError_tPvRmT3_T4_T5_T6_T7_T9_mT8_P12ihipStream_tbDpT10_ENKUlT_T0_E_clISt17integral_constantIbLb0EES1A_EEDaS15_S16_EUlS15_E_NS1_11comp_targetILNS1_3genE8ELNS1_11target_archE1030ELNS1_3gpuE2ELNS1_3repE0EEENS1_30default_config_static_selectorELNS0_4arch9wavefront6targetE1EEEvT1_ ; -- Begin function _ZN7rocprim17ROCPRIM_400000_NS6detail17trampoline_kernelINS0_14default_configENS1_25partition_config_selectorILNS1_17partition_subalgoE9EllbEEZZNS1_14partition_implILS5_9ELb0ES3_jPlS8_PNS0_10empty_typeENS0_5tupleIJS8_S9_EEENSB_IJS8_SA_EEENS0_18inequality_wrapperIZN2at6native12_GLOBAL__N_124unique_dim_cuda_templateIfEESt5tupleIJNSF_6TensorESK_SK_EERKSK_lbbbEUlllE0_EEPmJS9_EEE10hipError_tPvRmT3_T4_T5_T6_T7_T9_mT8_P12ihipStream_tbDpT10_ENKUlT_T0_E_clISt17integral_constantIbLb0EES1A_EEDaS15_S16_EUlS15_E_NS1_11comp_targetILNS1_3genE8ELNS1_11target_archE1030ELNS1_3gpuE2ELNS1_3repE0EEENS1_30default_config_static_selectorELNS0_4arch9wavefront6targetE1EEEvT1_
	.p2align	8
	.type	_ZN7rocprim17ROCPRIM_400000_NS6detail17trampoline_kernelINS0_14default_configENS1_25partition_config_selectorILNS1_17partition_subalgoE9EllbEEZZNS1_14partition_implILS5_9ELb0ES3_jPlS8_PNS0_10empty_typeENS0_5tupleIJS8_S9_EEENSB_IJS8_SA_EEENS0_18inequality_wrapperIZN2at6native12_GLOBAL__N_124unique_dim_cuda_templateIfEESt5tupleIJNSF_6TensorESK_SK_EERKSK_lbbbEUlllE0_EEPmJS9_EEE10hipError_tPvRmT3_T4_T5_T6_T7_T9_mT8_P12ihipStream_tbDpT10_ENKUlT_T0_E_clISt17integral_constantIbLb0EES1A_EEDaS15_S16_EUlS15_E_NS1_11comp_targetILNS1_3genE8ELNS1_11target_archE1030ELNS1_3gpuE2ELNS1_3repE0EEENS1_30default_config_static_selectorELNS0_4arch9wavefront6targetE1EEEvT1_,@function
_ZN7rocprim17ROCPRIM_400000_NS6detail17trampoline_kernelINS0_14default_configENS1_25partition_config_selectorILNS1_17partition_subalgoE9EllbEEZZNS1_14partition_implILS5_9ELb0ES3_jPlS8_PNS0_10empty_typeENS0_5tupleIJS8_S9_EEENSB_IJS8_SA_EEENS0_18inequality_wrapperIZN2at6native12_GLOBAL__N_124unique_dim_cuda_templateIfEESt5tupleIJNSF_6TensorESK_SK_EERKSK_lbbbEUlllE0_EEPmJS9_EEE10hipError_tPvRmT3_T4_T5_T6_T7_T9_mT8_P12ihipStream_tbDpT10_ENKUlT_T0_E_clISt17integral_constantIbLb0EES1A_EEDaS15_S16_EUlS15_E_NS1_11comp_targetILNS1_3genE8ELNS1_11target_archE1030ELNS1_3gpuE2ELNS1_3repE0EEENS1_30default_config_static_selectorELNS0_4arch9wavefront6targetE1EEEvT1_: ; @_ZN7rocprim17ROCPRIM_400000_NS6detail17trampoline_kernelINS0_14default_configENS1_25partition_config_selectorILNS1_17partition_subalgoE9EllbEEZZNS1_14partition_implILS5_9ELb0ES3_jPlS8_PNS0_10empty_typeENS0_5tupleIJS8_S9_EEENSB_IJS8_SA_EEENS0_18inequality_wrapperIZN2at6native12_GLOBAL__N_124unique_dim_cuda_templateIfEESt5tupleIJNSF_6TensorESK_SK_EERKSK_lbbbEUlllE0_EEPmJS9_EEE10hipError_tPvRmT3_T4_T5_T6_T7_T9_mT8_P12ihipStream_tbDpT10_ENKUlT_T0_E_clISt17integral_constantIbLb0EES1A_EEDaS15_S16_EUlS15_E_NS1_11comp_targetILNS1_3genE8ELNS1_11target_archE1030ELNS1_3gpuE2ELNS1_3repE0EEENS1_30default_config_static_selectorELNS0_4arch9wavefront6targetE1EEEvT1_
; %bb.0:
	.section	.rodata,"a",@progbits
	.p2align	6, 0x0
	.amdhsa_kernel _ZN7rocprim17ROCPRIM_400000_NS6detail17trampoline_kernelINS0_14default_configENS1_25partition_config_selectorILNS1_17partition_subalgoE9EllbEEZZNS1_14partition_implILS5_9ELb0ES3_jPlS8_PNS0_10empty_typeENS0_5tupleIJS8_S9_EEENSB_IJS8_SA_EEENS0_18inequality_wrapperIZN2at6native12_GLOBAL__N_124unique_dim_cuda_templateIfEESt5tupleIJNSF_6TensorESK_SK_EERKSK_lbbbEUlllE0_EEPmJS9_EEE10hipError_tPvRmT3_T4_T5_T6_T7_T9_mT8_P12ihipStream_tbDpT10_ENKUlT_T0_E_clISt17integral_constantIbLb0EES1A_EEDaS15_S16_EUlS15_E_NS1_11comp_targetILNS1_3genE8ELNS1_11target_archE1030ELNS1_3gpuE2ELNS1_3repE0EEENS1_30default_config_static_selectorELNS0_4arch9wavefront6targetE1EEEvT1_
		.amdhsa_group_segment_fixed_size 0
		.amdhsa_private_segment_fixed_size 0
		.amdhsa_kernarg_size 120
		.amdhsa_user_sgpr_count 2
		.amdhsa_user_sgpr_dispatch_ptr 0
		.amdhsa_user_sgpr_queue_ptr 0
		.amdhsa_user_sgpr_kernarg_segment_ptr 1
		.amdhsa_user_sgpr_dispatch_id 0
		.amdhsa_user_sgpr_kernarg_preload_length 0
		.amdhsa_user_sgpr_kernarg_preload_offset 0
		.amdhsa_user_sgpr_private_segment_size 0
		.amdhsa_uses_dynamic_stack 0
		.amdhsa_enable_private_segment 0
		.amdhsa_system_sgpr_workgroup_id_x 1
		.amdhsa_system_sgpr_workgroup_id_y 0
		.amdhsa_system_sgpr_workgroup_id_z 0
		.amdhsa_system_sgpr_workgroup_info 0
		.amdhsa_system_vgpr_workitem_id 0
		.amdhsa_next_free_vgpr 1
		.amdhsa_next_free_sgpr 0
		.amdhsa_accum_offset 4
		.amdhsa_reserve_vcc 0
		.amdhsa_float_round_mode_32 0
		.amdhsa_float_round_mode_16_64 0
		.amdhsa_float_denorm_mode_32 3
		.amdhsa_float_denorm_mode_16_64 3
		.amdhsa_dx10_clamp 1
		.amdhsa_ieee_mode 1
		.amdhsa_fp16_overflow 0
		.amdhsa_tg_split 0
		.amdhsa_exception_fp_ieee_invalid_op 0
		.amdhsa_exception_fp_denorm_src 0
		.amdhsa_exception_fp_ieee_div_zero 0
		.amdhsa_exception_fp_ieee_overflow 0
		.amdhsa_exception_fp_ieee_underflow 0
		.amdhsa_exception_fp_ieee_inexact 0
		.amdhsa_exception_int_div_zero 0
	.end_amdhsa_kernel
	.section	.text._ZN7rocprim17ROCPRIM_400000_NS6detail17trampoline_kernelINS0_14default_configENS1_25partition_config_selectorILNS1_17partition_subalgoE9EllbEEZZNS1_14partition_implILS5_9ELb0ES3_jPlS8_PNS0_10empty_typeENS0_5tupleIJS8_S9_EEENSB_IJS8_SA_EEENS0_18inequality_wrapperIZN2at6native12_GLOBAL__N_124unique_dim_cuda_templateIfEESt5tupleIJNSF_6TensorESK_SK_EERKSK_lbbbEUlllE0_EEPmJS9_EEE10hipError_tPvRmT3_T4_T5_T6_T7_T9_mT8_P12ihipStream_tbDpT10_ENKUlT_T0_E_clISt17integral_constantIbLb0EES1A_EEDaS15_S16_EUlS15_E_NS1_11comp_targetILNS1_3genE8ELNS1_11target_archE1030ELNS1_3gpuE2ELNS1_3repE0EEENS1_30default_config_static_selectorELNS0_4arch9wavefront6targetE1EEEvT1_,"axG",@progbits,_ZN7rocprim17ROCPRIM_400000_NS6detail17trampoline_kernelINS0_14default_configENS1_25partition_config_selectorILNS1_17partition_subalgoE9EllbEEZZNS1_14partition_implILS5_9ELb0ES3_jPlS8_PNS0_10empty_typeENS0_5tupleIJS8_S9_EEENSB_IJS8_SA_EEENS0_18inequality_wrapperIZN2at6native12_GLOBAL__N_124unique_dim_cuda_templateIfEESt5tupleIJNSF_6TensorESK_SK_EERKSK_lbbbEUlllE0_EEPmJS9_EEE10hipError_tPvRmT3_T4_T5_T6_T7_T9_mT8_P12ihipStream_tbDpT10_ENKUlT_T0_E_clISt17integral_constantIbLb0EES1A_EEDaS15_S16_EUlS15_E_NS1_11comp_targetILNS1_3genE8ELNS1_11target_archE1030ELNS1_3gpuE2ELNS1_3repE0EEENS1_30default_config_static_selectorELNS0_4arch9wavefront6targetE1EEEvT1_,comdat
.Lfunc_end968:
	.size	_ZN7rocprim17ROCPRIM_400000_NS6detail17trampoline_kernelINS0_14default_configENS1_25partition_config_selectorILNS1_17partition_subalgoE9EllbEEZZNS1_14partition_implILS5_9ELb0ES3_jPlS8_PNS0_10empty_typeENS0_5tupleIJS8_S9_EEENSB_IJS8_SA_EEENS0_18inequality_wrapperIZN2at6native12_GLOBAL__N_124unique_dim_cuda_templateIfEESt5tupleIJNSF_6TensorESK_SK_EERKSK_lbbbEUlllE0_EEPmJS9_EEE10hipError_tPvRmT3_T4_T5_T6_T7_T9_mT8_P12ihipStream_tbDpT10_ENKUlT_T0_E_clISt17integral_constantIbLb0EES1A_EEDaS15_S16_EUlS15_E_NS1_11comp_targetILNS1_3genE8ELNS1_11target_archE1030ELNS1_3gpuE2ELNS1_3repE0EEENS1_30default_config_static_selectorELNS0_4arch9wavefront6targetE1EEEvT1_, .Lfunc_end968-_ZN7rocprim17ROCPRIM_400000_NS6detail17trampoline_kernelINS0_14default_configENS1_25partition_config_selectorILNS1_17partition_subalgoE9EllbEEZZNS1_14partition_implILS5_9ELb0ES3_jPlS8_PNS0_10empty_typeENS0_5tupleIJS8_S9_EEENSB_IJS8_SA_EEENS0_18inequality_wrapperIZN2at6native12_GLOBAL__N_124unique_dim_cuda_templateIfEESt5tupleIJNSF_6TensorESK_SK_EERKSK_lbbbEUlllE0_EEPmJS9_EEE10hipError_tPvRmT3_T4_T5_T6_T7_T9_mT8_P12ihipStream_tbDpT10_ENKUlT_T0_E_clISt17integral_constantIbLb0EES1A_EEDaS15_S16_EUlS15_E_NS1_11comp_targetILNS1_3genE8ELNS1_11target_archE1030ELNS1_3gpuE2ELNS1_3repE0EEENS1_30default_config_static_selectorELNS0_4arch9wavefront6targetE1EEEvT1_
                                        ; -- End function
	.set _ZN7rocprim17ROCPRIM_400000_NS6detail17trampoline_kernelINS0_14default_configENS1_25partition_config_selectorILNS1_17partition_subalgoE9EllbEEZZNS1_14partition_implILS5_9ELb0ES3_jPlS8_PNS0_10empty_typeENS0_5tupleIJS8_S9_EEENSB_IJS8_SA_EEENS0_18inequality_wrapperIZN2at6native12_GLOBAL__N_124unique_dim_cuda_templateIfEESt5tupleIJNSF_6TensorESK_SK_EERKSK_lbbbEUlllE0_EEPmJS9_EEE10hipError_tPvRmT3_T4_T5_T6_T7_T9_mT8_P12ihipStream_tbDpT10_ENKUlT_T0_E_clISt17integral_constantIbLb0EES1A_EEDaS15_S16_EUlS15_E_NS1_11comp_targetILNS1_3genE8ELNS1_11target_archE1030ELNS1_3gpuE2ELNS1_3repE0EEENS1_30default_config_static_selectorELNS0_4arch9wavefront6targetE1EEEvT1_.num_vgpr, 0
	.set _ZN7rocprim17ROCPRIM_400000_NS6detail17trampoline_kernelINS0_14default_configENS1_25partition_config_selectorILNS1_17partition_subalgoE9EllbEEZZNS1_14partition_implILS5_9ELb0ES3_jPlS8_PNS0_10empty_typeENS0_5tupleIJS8_S9_EEENSB_IJS8_SA_EEENS0_18inequality_wrapperIZN2at6native12_GLOBAL__N_124unique_dim_cuda_templateIfEESt5tupleIJNSF_6TensorESK_SK_EERKSK_lbbbEUlllE0_EEPmJS9_EEE10hipError_tPvRmT3_T4_T5_T6_T7_T9_mT8_P12ihipStream_tbDpT10_ENKUlT_T0_E_clISt17integral_constantIbLb0EES1A_EEDaS15_S16_EUlS15_E_NS1_11comp_targetILNS1_3genE8ELNS1_11target_archE1030ELNS1_3gpuE2ELNS1_3repE0EEENS1_30default_config_static_selectorELNS0_4arch9wavefront6targetE1EEEvT1_.num_agpr, 0
	.set _ZN7rocprim17ROCPRIM_400000_NS6detail17trampoline_kernelINS0_14default_configENS1_25partition_config_selectorILNS1_17partition_subalgoE9EllbEEZZNS1_14partition_implILS5_9ELb0ES3_jPlS8_PNS0_10empty_typeENS0_5tupleIJS8_S9_EEENSB_IJS8_SA_EEENS0_18inequality_wrapperIZN2at6native12_GLOBAL__N_124unique_dim_cuda_templateIfEESt5tupleIJNSF_6TensorESK_SK_EERKSK_lbbbEUlllE0_EEPmJS9_EEE10hipError_tPvRmT3_T4_T5_T6_T7_T9_mT8_P12ihipStream_tbDpT10_ENKUlT_T0_E_clISt17integral_constantIbLb0EES1A_EEDaS15_S16_EUlS15_E_NS1_11comp_targetILNS1_3genE8ELNS1_11target_archE1030ELNS1_3gpuE2ELNS1_3repE0EEENS1_30default_config_static_selectorELNS0_4arch9wavefront6targetE1EEEvT1_.numbered_sgpr, 0
	.set _ZN7rocprim17ROCPRIM_400000_NS6detail17trampoline_kernelINS0_14default_configENS1_25partition_config_selectorILNS1_17partition_subalgoE9EllbEEZZNS1_14partition_implILS5_9ELb0ES3_jPlS8_PNS0_10empty_typeENS0_5tupleIJS8_S9_EEENSB_IJS8_SA_EEENS0_18inequality_wrapperIZN2at6native12_GLOBAL__N_124unique_dim_cuda_templateIfEESt5tupleIJNSF_6TensorESK_SK_EERKSK_lbbbEUlllE0_EEPmJS9_EEE10hipError_tPvRmT3_T4_T5_T6_T7_T9_mT8_P12ihipStream_tbDpT10_ENKUlT_T0_E_clISt17integral_constantIbLb0EES1A_EEDaS15_S16_EUlS15_E_NS1_11comp_targetILNS1_3genE8ELNS1_11target_archE1030ELNS1_3gpuE2ELNS1_3repE0EEENS1_30default_config_static_selectorELNS0_4arch9wavefront6targetE1EEEvT1_.num_named_barrier, 0
	.set _ZN7rocprim17ROCPRIM_400000_NS6detail17trampoline_kernelINS0_14default_configENS1_25partition_config_selectorILNS1_17partition_subalgoE9EllbEEZZNS1_14partition_implILS5_9ELb0ES3_jPlS8_PNS0_10empty_typeENS0_5tupleIJS8_S9_EEENSB_IJS8_SA_EEENS0_18inequality_wrapperIZN2at6native12_GLOBAL__N_124unique_dim_cuda_templateIfEESt5tupleIJNSF_6TensorESK_SK_EERKSK_lbbbEUlllE0_EEPmJS9_EEE10hipError_tPvRmT3_T4_T5_T6_T7_T9_mT8_P12ihipStream_tbDpT10_ENKUlT_T0_E_clISt17integral_constantIbLb0EES1A_EEDaS15_S16_EUlS15_E_NS1_11comp_targetILNS1_3genE8ELNS1_11target_archE1030ELNS1_3gpuE2ELNS1_3repE0EEENS1_30default_config_static_selectorELNS0_4arch9wavefront6targetE1EEEvT1_.private_seg_size, 0
	.set _ZN7rocprim17ROCPRIM_400000_NS6detail17trampoline_kernelINS0_14default_configENS1_25partition_config_selectorILNS1_17partition_subalgoE9EllbEEZZNS1_14partition_implILS5_9ELb0ES3_jPlS8_PNS0_10empty_typeENS0_5tupleIJS8_S9_EEENSB_IJS8_SA_EEENS0_18inequality_wrapperIZN2at6native12_GLOBAL__N_124unique_dim_cuda_templateIfEESt5tupleIJNSF_6TensorESK_SK_EERKSK_lbbbEUlllE0_EEPmJS9_EEE10hipError_tPvRmT3_T4_T5_T6_T7_T9_mT8_P12ihipStream_tbDpT10_ENKUlT_T0_E_clISt17integral_constantIbLb0EES1A_EEDaS15_S16_EUlS15_E_NS1_11comp_targetILNS1_3genE8ELNS1_11target_archE1030ELNS1_3gpuE2ELNS1_3repE0EEENS1_30default_config_static_selectorELNS0_4arch9wavefront6targetE1EEEvT1_.uses_vcc, 0
	.set _ZN7rocprim17ROCPRIM_400000_NS6detail17trampoline_kernelINS0_14default_configENS1_25partition_config_selectorILNS1_17partition_subalgoE9EllbEEZZNS1_14partition_implILS5_9ELb0ES3_jPlS8_PNS0_10empty_typeENS0_5tupleIJS8_S9_EEENSB_IJS8_SA_EEENS0_18inequality_wrapperIZN2at6native12_GLOBAL__N_124unique_dim_cuda_templateIfEESt5tupleIJNSF_6TensorESK_SK_EERKSK_lbbbEUlllE0_EEPmJS9_EEE10hipError_tPvRmT3_T4_T5_T6_T7_T9_mT8_P12ihipStream_tbDpT10_ENKUlT_T0_E_clISt17integral_constantIbLb0EES1A_EEDaS15_S16_EUlS15_E_NS1_11comp_targetILNS1_3genE8ELNS1_11target_archE1030ELNS1_3gpuE2ELNS1_3repE0EEENS1_30default_config_static_selectorELNS0_4arch9wavefront6targetE1EEEvT1_.uses_flat_scratch, 0
	.set _ZN7rocprim17ROCPRIM_400000_NS6detail17trampoline_kernelINS0_14default_configENS1_25partition_config_selectorILNS1_17partition_subalgoE9EllbEEZZNS1_14partition_implILS5_9ELb0ES3_jPlS8_PNS0_10empty_typeENS0_5tupleIJS8_S9_EEENSB_IJS8_SA_EEENS0_18inequality_wrapperIZN2at6native12_GLOBAL__N_124unique_dim_cuda_templateIfEESt5tupleIJNSF_6TensorESK_SK_EERKSK_lbbbEUlllE0_EEPmJS9_EEE10hipError_tPvRmT3_T4_T5_T6_T7_T9_mT8_P12ihipStream_tbDpT10_ENKUlT_T0_E_clISt17integral_constantIbLb0EES1A_EEDaS15_S16_EUlS15_E_NS1_11comp_targetILNS1_3genE8ELNS1_11target_archE1030ELNS1_3gpuE2ELNS1_3repE0EEENS1_30default_config_static_selectorELNS0_4arch9wavefront6targetE1EEEvT1_.has_dyn_sized_stack, 0
	.set _ZN7rocprim17ROCPRIM_400000_NS6detail17trampoline_kernelINS0_14default_configENS1_25partition_config_selectorILNS1_17partition_subalgoE9EllbEEZZNS1_14partition_implILS5_9ELb0ES3_jPlS8_PNS0_10empty_typeENS0_5tupleIJS8_S9_EEENSB_IJS8_SA_EEENS0_18inequality_wrapperIZN2at6native12_GLOBAL__N_124unique_dim_cuda_templateIfEESt5tupleIJNSF_6TensorESK_SK_EERKSK_lbbbEUlllE0_EEPmJS9_EEE10hipError_tPvRmT3_T4_T5_T6_T7_T9_mT8_P12ihipStream_tbDpT10_ENKUlT_T0_E_clISt17integral_constantIbLb0EES1A_EEDaS15_S16_EUlS15_E_NS1_11comp_targetILNS1_3genE8ELNS1_11target_archE1030ELNS1_3gpuE2ELNS1_3repE0EEENS1_30default_config_static_selectorELNS0_4arch9wavefront6targetE1EEEvT1_.has_recursion, 0
	.set _ZN7rocprim17ROCPRIM_400000_NS6detail17trampoline_kernelINS0_14default_configENS1_25partition_config_selectorILNS1_17partition_subalgoE9EllbEEZZNS1_14partition_implILS5_9ELb0ES3_jPlS8_PNS0_10empty_typeENS0_5tupleIJS8_S9_EEENSB_IJS8_SA_EEENS0_18inequality_wrapperIZN2at6native12_GLOBAL__N_124unique_dim_cuda_templateIfEESt5tupleIJNSF_6TensorESK_SK_EERKSK_lbbbEUlllE0_EEPmJS9_EEE10hipError_tPvRmT3_T4_T5_T6_T7_T9_mT8_P12ihipStream_tbDpT10_ENKUlT_T0_E_clISt17integral_constantIbLb0EES1A_EEDaS15_S16_EUlS15_E_NS1_11comp_targetILNS1_3genE8ELNS1_11target_archE1030ELNS1_3gpuE2ELNS1_3repE0EEENS1_30default_config_static_selectorELNS0_4arch9wavefront6targetE1EEEvT1_.has_indirect_call, 0
	.section	.AMDGPU.csdata,"",@progbits
; Kernel info:
; codeLenInByte = 0
; TotalNumSgprs: 6
; NumVgprs: 0
; NumAgprs: 0
; TotalNumVgprs: 0
; ScratchSize: 0
; MemoryBound: 0
; FloatMode: 240
; IeeeMode: 1
; LDSByteSize: 0 bytes/workgroup (compile time only)
; SGPRBlocks: 0
; VGPRBlocks: 0
; NumSGPRsForWavesPerEU: 6
; NumVGPRsForWavesPerEU: 1
; AccumOffset: 4
; Occupancy: 8
; WaveLimiterHint : 0
; COMPUTE_PGM_RSRC2:SCRATCH_EN: 0
; COMPUTE_PGM_RSRC2:USER_SGPR: 2
; COMPUTE_PGM_RSRC2:TRAP_HANDLER: 0
; COMPUTE_PGM_RSRC2:TGID_X_EN: 1
; COMPUTE_PGM_RSRC2:TGID_Y_EN: 0
; COMPUTE_PGM_RSRC2:TGID_Z_EN: 0
; COMPUTE_PGM_RSRC2:TIDIG_COMP_CNT: 0
; COMPUTE_PGM_RSRC3_GFX90A:ACCUM_OFFSET: 0
; COMPUTE_PGM_RSRC3_GFX90A:TG_SPLIT: 0
	.section	.text._ZN7rocprim17ROCPRIM_400000_NS6detail17trampoline_kernelINS0_14default_configENS1_25partition_config_selectorILNS1_17partition_subalgoE9EllbEEZZNS1_14partition_implILS5_9ELb0ES3_jPlS8_PNS0_10empty_typeENS0_5tupleIJS8_S9_EEENSB_IJS8_SA_EEENS0_18inequality_wrapperIZN2at6native12_GLOBAL__N_124unique_dim_cuda_templateIfEESt5tupleIJNSF_6TensorESK_SK_EERKSK_lbbbEUlllE0_EEPmJS9_EEE10hipError_tPvRmT3_T4_T5_T6_T7_T9_mT8_P12ihipStream_tbDpT10_ENKUlT_T0_E_clISt17integral_constantIbLb1EES1A_EEDaS15_S16_EUlS15_E_NS1_11comp_targetILNS1_3genE0ELNS1_11target_archE4294967295ELNS1_3gpuE0ELNS1_3repE0EEENS1_30default_config_static_selectorELNS0_4arch9wavefront6targetE1EEEvT1_,"axG",@progbits,_ZN7rocprim17ROCPRIM_400000_NS6detail17trampoline_kernelINS0_14default_configENS1_25partition_config_selectorILNS1_17partition_subalgoE9EllbEEZZNS1_14partition_implILS5_9ELb0ES3_jPlS8_PNS0_10empty_typeENS0_5tupleIJS8_S9_EEENSB_IJS8_SA_EEENS0_18inequality_wrapperIZN2at6native12_GLOBAL__N_124unique_dim_cuda_templateIfEESt5tupleIJNSF_6TensorESK_SK_EERKSK_lbbbEUlllE0_EEPmJS9_EEE10hipError_tPvRmT3_T4_T5_T6_T7_T9_mT8_P12ihipStream_tbDpT10_ENKUlT_T0_E_clISt17integral_constantIbLb1EES1A_EEDaS15_S16_EUlS15_E_NS1_11comp_targetILNS1_3genE0ELNS1_11target_archE4294967295ELNS1_3gpuE0ELNS1_3repE0EEENS1_30default_config_static_selectorELNS0_4arch9wavefront6targetE1EEEvT1_,comdat
	.globl	_ZN7rocprim17ROCPRIM_400000_NS6detail17trampoline_kernelINS0_14default_configENS1_25partition_config_selectorILNS1_17partition_subalgoE9EllbEEZZNS1_14partition_implILS5_9ELb0ES3_jPlS8_PNS0_10empty_typeENS0_5tupleIJS8_S9_EEENSB_IJS8_SA_EEENS0_18inequality_wrapperIZN2at6native12_GLOBAL__N_124unique_dim_cuda_templateIfEESt5tupleIJNSF_6TensorESK_SK_EERKSK_lbbbEUlllE0_EEPmJS9_EEE10hipError_tPvRmT3_T4_T5_T6_T7_T9_mT8_P12ihipStream_tbDpT10_ENKUlT_T0_E_clISt17integral_constantIbLb1EES1A_EEDaS15_S16_EUlS15_E_NS1_11comp_targetILNS1_3genE0ELNS1_11target_archE4294967295ELNS1_3gpuE0ELNS1_3repE0EEENS1_30default_config_static_selectorELNS0_4arch9wavefront6targetE1EEEvT1_ ; -- Begin function _ZN7rocprim17ROCPRIM_400000_NS6detail17trampoline_kernelINS0_14default_configENS1_25partition_config_selectorILNS1_17partition_subalgoE9EllbEEZZNS1_14partition_implILS5_9ELb0ES3_jPlS8_PNS0_10empty_typeENS0_5tupleIJS8_S9_EEENSB_IJS8_SA_EEENS0_18inequality_wrapperIZN2at6native12_GLOBAL__N_124unique_dim_cuda_templateIfEESt5tupleIJNSF_6TensorESK_SK_EERKSK_lbbbEUlllE0_EEPmJS9_EEE10hipError_tPvRmT3_T4_T5_T6_T7_T9_mT8_P12ihipStream_tbDpT10_ENKUlT_T0_E_clISt17integral_constantIbLb1EES1A_EEDaS15_S16_EUlS15_E_NS1_11comp_targetILNS1_3genE0ELNS1_11target_archE4294967295ELNS1_3gpuE0ELNS1_3repE0EEENS1_30default_config_static_selectorELNS0_4arch9wavefront6targetE1EEEvT1_
	.p2align	8
	.type	_ZN7rocprim17ROCPRIM_400000_NS6detail17trampoline_kernelINS0_14default_configENS1_25partition_config_selectorILNS1_17partition_subalgoE9EllbEEZZNS1_14partition_implILS5_9ELb0ES3_jPlS8_PNS0_10empty_typeENS0_5tupleIJS8_S9_EEENSB_IJS8_SA_EEENS0_18inequality_wrapperIZN2at6native12_GLOBAL__N_124unique_dim_cuda_templateIfEESt5tupleIJNSF_6TensorESK_SK_EERKSK_lbbbEUlllE0_EEPmJS9_EEE10hipError_tPvRmT3_T4_T5_T6_T7_T9_mT8_P12ihipStream_tbDpT10_ENKUlT_T0_E_clISt17integral_constantIbLb1EES1A_EEDaS15_S16_EUlS15_E_NS1_11comp_targetILNS1_3genE0ELNS1_11target_archE4294967295ELNS1_3gpuE0ELNS1_3repE0EEENS1_30default_config_static_selectorELNS0_4arch9wavefront6targetE1EEEvT1_,@function
_ZN7rocprim17ROCPRIM_400000_NS6detail17trampoline_kernelINS0_14default_configENS1_25partition_config_selectorILNS1_17partition_subalgoE9EllbEEZZNS1_14partition_implILS5_9ELb0ES3_jPlS8_PNS0_10empty_typeENS0_5tupleIJS8_S9_EEENSB_IJS8_SA_EEENS0_18inequality_wrapperIZN2at6native12_GLOBAL__N_124unique_dim_cuda_templateIfEESt5tupleIJNSF_6TensorESK_SK_EERKSK_lbbbEUlllE0_EEPmJS9_EEE10hipError_tPvRmT3_T4_T5_T6_T7_T9_mT8_P12ihipStream_tbDpT10_ENKUlT_T0_E_clISt17integral_constantIbLb1EES1A_EEDaS15_S16_EUlS15_E_NS1_11comp_targetILNS1_3genE0ELNS1_11target_archE4294967295ELNS1_3gpuE0ELNS1_3repE0EEENS1_30default_config_static_selectorELNS0_4arch9wavefront6targetE1EEEvT1_: ; @_ZN7rocprim17ROCPRIM_400000_NS6detail17trampoline_kernelINS0_14default_configENS1_25partition_config_selectorILNS1_17partition_subalgoE9EllbEEZZNS1_14partition_implILS5_9ELb0ES3_jPlS8_PNS0_10empty_typeENS0_5tupleIJS8_S9_EEENSB_IJS8_SA_EEENS0_18inequality_wrapperIZN2at6native12_GLOBAL__N_124unique_dim_cuda_templateIfEESt5tupleIJNSF_6TensorESK_SK_EERKSK_lbbbEUlllE0_EEPmJS9_EEE10hipError_tPvRmT3_T4_T5_T6_T7_T9_mT8_P12ihipStream_tbDpT10_ENKUlT_T0_E_clISt17integral_constantIbLb1EES1A_EEDaS15_S16_EUlS15_E_NS1_11comp_targetILNS1_3genE0ELNS1_11target_archE4294967295ELNS1_3gpuE0ELNS1_3repE0EEENS1_30default_config_static_selectorELNS0_4arch9wavefront6targetE1EEEvT1_
; %bb.0:
	s_endpgm
	.section	.rodata,"a",@progbits
	.p2align	6, 0x0
	.amdhsa_kernel _ZN7rocprim17ROCPRIM_400000_NS6detail17trampoline_kernelINS0_14default_configENS1_25partition_config_selectorILNS1_17partition_subalgoE9EllbEEZZNS1_14partition_implILS5_9ELb0ES3_jPlS8_PNS0_10empty_typeENS0_5tupleIJS8_S9_EEENSB_IJS8_SA_EEENS0_18inequality_wrapperIZN2at6native12_GLOBAL__N_124unique_dim_cuda_templateIfEESt5tupleIJNSF_6TensorESK_SK_EERKSK_lbbbEUlllE0_EEPmJS9_EEE10hipError_tPvRmT3_T4_T5_T6_T7_T9_mT8_P12ihipStream_tbDpT10_ENKUlT_T0_E_clISt17integral_constantIbLb1EES1A_EEDaS15_S16_EUlS15_E_NS1_11comp_targetILNS1_3genE0ELNS1_11target_archE4294967295ELNS1_3gpuE0ELNS1_3repE0EEENS1_30default_config_static_selectorELNS0_4arch9wavefront6targetE1EEEvT1_
		.amdhsa_group_segment_fixed_size 0
		.amdhsa_private_segment_fixed_size 0
		.amdhsa_kernarg_size 136
		.amdhsa_user_sgpr_count 2
		.amdhsa_user_sgpr_dispatch_ptr 0
		.amdhsa_user_sgpr_queue_ptr 0
		.amdhsa_user_sgpr_kernarg_segment_ptr 1
		.amdhsa_user_sgpr_dispatch_id 0
		.amdhsa_user_sgpr_kernarg_preload_length 0
		.amdhsa_user_sgpr_kernarg_preload_offset 0
		.amdhsa_user_sgpr_private_segment_size 0
		.amdhsa_uses_dynamic_stack 0
		.amdhsa_enable_private_segment 0
		.amdhsa_system_sgpr_workgroup_id_x 1
		.amdhsa_system_sgpr_workgroup_id_y 0
		.amdhsa_system_sgpr_workgroup_id_z 0
		.amdhsa_system_sgpr_workgroup_info 0
		.amdhsa_system_vgpr_workitem_id 0
		.amdhsa_next_free_vgpr 1
		.amdhsa_next_free_sgpr 0
		.amdhsa_accum_offset 4
		.amdhsa_reserve_vcc 0
		.amdhsa_float_round_mode_32 0
		.amdhsa_float_round_mode_16_64 0
		.amdhsa_float_denorm_mode_32 3
		.amdhsa_float_denorm_mode_16_64 3
		.amdhsa_dx10_clamp 1
		.amdhsa_ieee_mode 1
		.amdhsa_fp16_overflow 0
		.amdhsa_tg_split 0
		.amdhsa_exception_fp_ieee_invalid_op 0
		.amdhsa_exception_fp_denorm_src 0
		.amdhsa_exception_fp_ieee_div_zero 0
		.amdhsa_exception_fp_ieee_overflow 0
		.amdhsa_exception_fp_ieee_underflow 0
		.amdhsa_exception_fp_ieee_inexact 0
		.amdhsa_exception_int_div_zero 0
	.end_amdhsa_kernel
	.section	.text._ZN7rocprim17ROCPRIM_400000_NS6detail17trampoline_kernelINS0_14default_configENS1_25partition_config_selectorILNS1_17partition_subalgoE9EllbEEZZNS1_14partition_implILS5_9ELb0ES3_jPlS8_PNS0_10empty_typeENS0_5tupleIJS8_S9_EEENSB_IJS8_SA_EEENS0_18inequality_wrapperIZN2at6native12_GLOBAL__N_124unique_dim_cuda_templateIfEESt5tupleIJNSF_6TensorESK_SK_EERKSK_lbbbEUlllE0_EEPmJS9_EEE10hipError_tPvRmT3_T4_T5_T6_T7_T9_mT8_P12ihipStream_tbDpT10_ENKUlT_T0_E_clISt17integral_constantIbLb1EES1A_EEDaS15_S16_EUlS15_E_NS1_11comp_targetILNS1_3genE0ELNS1_11target_archE4294967295ELNS1_3gpuE0ELNS1_3repE0EEENS1_30default_config_static_selectorELNS0_4arch9wavefront6targetE1EEEvT1_,"axG",@progbits,_ZN7rocprim17ROCPRIM_400000_NS6detail17trampoline_kernelINS0_14default_configENS1_25partition_config_selectorILNS1_17partition_subalgoE9EllbEEZZNS1_14partition_implILS5_9ELb0ES3_jPlS8_PNS0_10empty_typeENS0_5tupleIJS8_S9_EEENSB_IJS8_SA_EEENS0_18inequality_wrapperIZN2at6native12_GLOBAL__N_124unique_dim_cuda_templateIfEESt5tupleIJNSF_6TensorESK_SK_EERKSK_lbbbEUlllE0_EEPmJS9_EEE10hipError_tPvRmT3_T4_T5_T6_T7_T9_mT8_P12ihipStream_tbDpT10_ENKUlT_T0_E_clISt17integral_constantIbLb1EES1A_EEDaS15_S16_EUlS15_E_NS1_11comp_targetILNS1_3genE0ELNS1_11target_archE4294967295ELNS1_3gpuE0ELNS1_3repE0EEENS1_30default_config_static_selectorELNS0_4arch9wavefront6targetE1EEEvT1_,comdat
.Lfunc_end969:
	.size	_ZN7rocprim17ROCPRIM_400000_NS6detail17trampoline_kernelINS0_14default_configENS1_25partition_config_selectorILNS1_17partition_subalgoE9EllbEEZZNS1_14partition_implILS5_9ELb0ES3_jPlS8_PNS0_10empty_typeENS0_5tupleIJS8_S9_EEENSB_IJS8_SA_EEENS0_18inequality_wrapperIZN2at6native12_GLOBAL__N_124unique_dim_cuda_templateIfEESt5tupleIJNSF_6TensorESK_SK_EERKSK_lbbbEUlllE0_EEPmJS9_EEE10hipError_tPvRmT3_T4_T5_T6_T7_T9_mT8_P12ihipStream_tbDpT10_ENKUlT_T0_E_clISt17integral_constantIbLb1EES1A_EEDaS15_S16_EUlS15_E_NS1_11comp_targetILNS1_3genE0ELNS1_11target_archE4294967295ELNS1_3gpuE0ELNS1_3repE0EEENS1_30default_config_static_selectorELNS0_4arch9wavefront6targetE1EEEvT1_, .Lfunc_end969-_ZN7rocprim17ROCPRIM_400000_NS6detail17trampoline_kernelINS0_14default_configENS1_25partition_config_selectorILNS1_17partition_subalgoE9EllbEEZZNS1_14partition_implILS5_9ELb0ES3_jPlS8_PNS0_10empty_typeENS0_5tupleIJS8_S9_EEENSB_IJS8_SA_EEENS0_18inequality_wrapperIZN2at6native12_GLOBAL__N_124unique_dim_cuda_templateIfEESt5tupleIJNSF_6TensorESK_SK_EERKSK_lbbbEUlllE0_EEPmJS9_EEE10hipError_tPvRmT3_T4_T5_T6_T7_T9_mT8_P12ihipStream_tbDpT10_ENKUlT_T0_E_clISt17integral_constantIbLb1EES1A_EEDaS15_S16_EUlS15_E_NS1_11comp_targetILNS1_3genE0ELNS1_11target_archE4294967295ELNS1_3gpuE0ELNS1_3repE0EEENS1_30default_config_static_selectorELNS0_4arch9wavefront6targetE1EEEvT1_
                                        ; -- End function
	.set _ZN7rocprim17ROCPRIM_400000_NS6detail17trampoline_kernelINS0_14default_configENS1_25partition_config_selectorILNS1_17partition_subalgoE9EllbEEZZNS1_14partition_implILS5_9ELb0ES3_jPlS8_PNS0_10empty_typeENS0_5tupleIJS8_S9_EEENSB_IJS8_SA_EEENS0_18inequality_wrapperIZN2at6native12_GLOBAL__N_124unique_dim_cuda_templateIfEESt5tupleIJNSF_6TensorESK_SK_EERKSK_lbbbEUlllE0_EEPmJS9_EEE10hipError_tPvRmT3_T4_T5_T6_T7_T9_mT8_P12ihipStream_tbDpT10_ENKUlT_T0_E_clISt17integral_constantIbLb1EES1A_EEDaS15_S16_EUlS15_E_NS1_11comp_targetILNS1_3genE0ELNS1_11target_archE4294967295ELNS1_3gpuE0ELNS1_3repE0EEENS1_30default_config_static_selectorELNS0_4arch9wavefront6targetE1EEEvT1_.num_vgpr, 0
	.set _ZN7rocprim17ROCPRIM_400000_NS6detail17trampoline_kernelINS0_14default_configENS1_25partition_config_selectorILNS1_17partition_subalgoE9EllbEEZZNS1_14partition_implILS5_9ELb0ES3_jPlS8_PNS0_10empty_typeENS0_5tupleIJS8_S9_EEENSB_IJS8_SA_EEENS0_18inequality_wrapperIZN2at6native12_GLOBAL__N_124unique_dim_cuda_templateIfEESt5tupleIJNSF_6TensorESK_SK_EERKSK_lbbbEUlllE0_EEPmJS9_EEE10hipError_tPvRmT3_T4_T5_T6_T7_T9_mT8_P12ihipStream_tbDpT10_ENKUlT_T0_E_clISt17integral_constantIbLb1EES1A_EEDaS15_S16_EUlS15_E_NS1_11comp_targetILNS1_3genE0ELNS1_11target_archE4294967295ELNS1_3gpuE0ELNS1_3repE0EEENS1_30default_config_static_selectorELNS0_4arch9wavefront6targetE1EEEvT1_.num_agpr, 0
	.set _ZN7rocprim17ROCPRIM_400000_NS6detail17trampoline_kernelINS0_14default_configENS1_25partition_config_selectorILNS1_17partition_subalgoE9EllbEEZZNS1_14partition_implILS5_9ELb0ES3_jPlS8_PNS0_10empty_typeENS0_5tupleIJS8_S9_EEENSB_IJS8_SA_EEENS0_18inequality_wrapperIZN2at6native12_GLOBAL__N_124unique_dim_cuda_templateIfEESt5tupleIJNSF_6TensorESK_SK_EERKSK_lbbbEUlllE0_EEPmJS9_EEE10hipError_tPvRmT3_T4_T5_T6_T7_T9_mT8_P12ihipStream_tbDpT10_ENKUlT_T0_E_clISt17integral_constantIbLb1EES1A_EEDaS15_S16_EUlS15_E_NS1_11comp_targetILNS1_3genE0ELNS1_11target_archE4294967295ELNS1_3gpuE0ELNS1_3repE0EEENS1_30default_config_static_selectorELNS0_4arch9wavefront6targetE1EEEvT1_.numbered_sgpr, 0
	.set _ZN7rocprim17ROCPRIM_400000_NS6detail17trampoline_kernelINS0_14default_configENS1_25partition_config_selectorILNS1_17partition_subalgoE9EllbEEZZNS1_14partition_implILS5_9ELb0ES3_jPlS8_PNS0_10empty_typeENS0_5tupleIJS8_S9_EEENSB_IJS8_SA_EEENS0_18inequality_wrapperIZN2at6native12_GLOBAL__N_124unique_dim_cuda_templateIfEESt5tupleIJNSF_6TensorESK_SK_EERKSK_lbbbEUlllE0_EEPmJS9_EEE10hipError_tPvRmT3_T4_T5_T6_T7_T9_mT8_P12ihipStream_tbDpT10_ENKUlT_T0_E_clISt17integral_constantIbLb1EES1A_EEDaS15_S16_EUlS15_E_NS1_11comp_targetILNS1_3genE0ELNS1_11target_archE4294967295ELNS1_3gpuE0ELNS1_3repE0EEENS1_30default_config_static_selectorELNS0_4arch9wavefront6targetE1EEEvT1_.num_named_barrier, 0
	.set _ZN7rocprim17ROCPRIM_400000_NS6detail17trampoline_kernelINS0_14default_configENS1_25partition_config_selectorILNS1_17partition_subalgoE9EllbEEZZNS1_14partition_implILS5_9ELb0ES3_jPlS8_PNS0_10empty_typeENS0_5tupleIJS8_S9_EEENSB_IJS8_SA_EEENS0_18inequality_wrapperIZN2at6native12_GLOBAL__N_124unique_dim_cuda_templateIfEESt5tupleIJNSF_6TensorESK_SK_EERKSK_lbbbEUlllE0_EEPmJS9_EEE10hipError_tPvRmT3_T4_T5_T6_T7_T9_mT8_P12ihipStream_tbDpT10_ENKUlT_T0_E_clISt17integral_constantIbLb1EES1A_EEDaS15_S16_EUlS15_E_NS1_11comp_targetILNS1_3genE0ELNS1_11target_archE4294967295ELNS1_3gpuE0ELNS1_3repE0EEENS1_30default_config_static_selectorELNS0_4arch9wavefront6targetE1EEEvT1_.private_seg_size, 0
	.set _ZN7rocprim17ROCPRIM_400000_NS6detail17trampoline_kernelINS0_14default_configENS1_25partition_config_selectorILNS1_17partition_subalgoE9EllbEEZZNS1_14partition_implILS5_9ELb0ES3_jPlS8_PNS0_10empty_typeENS0_5tupleIJS8_S9_EEENSB_IJS8_SA_EEENS0_18inequality_wrapperIZN2at6native12_GLOBAL__N_124unique_dim_cuda_templateIfEESt5tupleIJNSF_6TensorESK_SK_EERKSK_lbbbEUlllE0_EEPmJS9_EEE10hipError_tPvRmT3_T4_T5_T6_T7_T9_mT8_P12ihipStream_tbDpT10_ENKUlT_T0_E_clISt17integral_constantIbLb1EES1A_EEDaS15_S16_EUlS15_E_NS1_11comp_targetILNS1_3genE0ELNS1_11target_archE4294967295ELNS1_3gpuE0ELNS1_3repE0EEENS1_30default_config_static_selectorELNS0_4arch9wavefront6targetE1EEEvT1_.uses_vcc, 0
	.set _ZN7rocprim17ROCPRIM_400000_NS6detail17trampoline_kernelINS0_14default_configENS1_25partition_config_selectorILNS1_17partition_subalgoE9EllbEEZZNS1_14partition_implILS5_9ELb0ES3_jPlS8_PNS0_10empty_typeENS0_5tupleIJS8_S9_EEENSB_IJS8_SA_EEENS0_18inequality_wrapperIZN2at6native12_GLOBAL__N_124unique_dim_cuda_templateIfEESt5tupleIJNSF_6TensorESK_SK_EERKSK_lbbbEUlllE0_EEPmJS9_EEE10hipError_tPvRmT3_T4_T5_T6_T7_T9_mT8_P12ihipStream_tbDpT10_ENKUlT_T0_E_clISt17integral_constantIbLb1EES1A_EEDaS15_S16_EUlS15_E_NS1_11comp_targetILNS1_3genE0ELNS1_11target_archE4294967295ELNS1_3gpuE0ELNS1_3repE0EEENS1_30default_config_static_selectorELNS0_4arch9wavefront6targetE1EEEvT1_.uses_flat_scratch, 0
	.set _ZN7rocprim17ROCPRIM_400000_NS6detail17trampoline_kernelINS0_14default_configENS1_25partition_config_selectorILNS1_17partition_subalgoE9EllbEEZZNS1_14partition_implILS5_9ELb0ES3_jPlS8_PNS0_10empty_typeENS0_5tupleIJS8_S9_EEENSB_IJS8_SA_EEENS0_18inequality_wrapperIZN2at6native12_GLOBAL__N_124unique_dim_cuda_templateIfEESt5tupleIJNSF_6TensorESK_SK_EERKSK_lbbbEUlllE0_EEPmJS9_EEE10hipError_tPvRmT3_T4_T5_T6_T7_T9_mT8_P12ihipStream_tbDpT10_ENKUlT_T0_E_clISt17integral_constantIbLb1EES1A_EEDaS15_S16_EUlS15_E_NS1_11comp_targetILNS1_3genE0ELNS1_11target_archE4294967295ELNS1_3gpuE0ELNS1_3repE0EEENS1_30default_config_static_selectorELNS0_4arch9wavefront6targetE1EEEvT1_.has_dyn_sized_stack, 0
	.set _ZN7rocprim17ROCPRIM_400000_NS6detail17trampoline_kernelINS0_14default_configENS1_25partition_config_selectorILNS1_17partition_subalgoE9EllbEEZZNS1_14partition_implILS5_9ELb0ES3_jPlS8_PNS0_10empty_typeENS0_5tupleIJS8_S9_EEENSB_IJS8_SA_EEENS0_18inequality_wrapperIZN2at6native12_GLOBAL__N_124unique_dim_cuda_templateIfEESt5tupleIJNSF_6TensorESK_SK_EERKSK_lbbbEUlllE0_EEPmJS9_EEE10hipError_tPvRmT3_T4_T5_T6_T7_T9_mT8_P12ihipStream_tbDpT10_ENKUlT_T0_E_clISt17integral_constantIbLb1EES1A_EEDaS15_S16_EUlS15_E_NS1_11comp_targetILNS1_3genE0ELNS1_11target_archE4294967295ELNS1_3gpuE0ELNS1_3repE0EEENS1_30default_config_static_selectorELNS0_4arch9wavefront6targetE1EEEvT1_.has_recursion, 0
	.set _ZN7rocprim17ROCPRIM_400000_NS6detail17trampoline_kernelINS0_14default_configENS1_25partition_config_selectorILNS1_17partition_subalgoE9EllbEEZZNS1_14partition_implILS5_9ELb0ES3_jPlS8_PNS0_10empty_typeENS0_5tupleIJS8_S9_EEENSB_IJS8_SA_EEENS0_18inequality_wrapperIZN2at6native12_GLOBAL__N_124unique_dim_cuda_templateIfEESt5tupleIJNSF_6TensorESK_SK_EERKSK_lbbbEUlllE0_EEPmJS9_EEE10hipError_tPvRmT3_T4_T5_T6_T7_T9_mT8_P12ihipStream_tbDpT10_ENKUlT_T0_E_clISt17integral_constantIbLb1EES1A_EEDaS15_S16_EUlS15_E_NS1_11comp_targetILNS1_3genE0ELNS1_11target_archE4294967295ELNS1_3gpuE0ELNS1_3repE0EEENS1_30default_config_static_selectorELNS0_4arch9wavefront6targetE1EEEvT1_.has_indirect_call, 0
	.section	.AMDGPU.csdata,"",@progbits
; Kernel info:
; codeLenInByte = 4
; TotalNumSgprs: 6
; NumVgprs: 0
; NumAgprs: 0
; TotalNumVgprs: 0
; ScratchSize: 0
; MemoryBound: 0
; FloatMode: 240
; IeeeMode: 1
; LDSByteSize: 0 bytes/workgroup (compile time only)
; SGPRBlocks: 0
; VGPRBlocks: 0
; NumSGPRsForWavesPerEU: 6
; NumVGPRsForWavesPerEU: 1
; AccumOffset: 4
; Occupancy: 8
; WaveLimiterHint : 0
; COMPUTE_PGM_RSRC2:SCRATCH_EN: 0
; COMPUTE_PGM_RSRC2:USER_SGPR: 2
; COMPUTE_PGM_RSRC2:TRAP_HANDLER: 0
; COMPUTE_PGM_RSRC2:TGID_X_EN: 1
; COMPUTE_PGM_RSRC2:TGID_Y_EN: 0
; COMPUTE_PGM_RSRC2:TGID_Z_EN: 0
; COMPUTE_PGM_RSRC2:TIDIG_COMP_CNT: 0
; COMPUTE_PGM_RSRC3_GFX90A:ACCUM_OFFSET: 0
; COMPUTE_PGM_RSRC3_GFX90A:TG_SPLIT: 0
	.section	.text._ZN7rocprim17ROCPRIM_400000_NS6detail17trampoline_kernelINS0_14default_configENS1_25partition_config_selectorILNS1_17partition_subalgoE9EllbEEZZNS1_14partition_implILS5_9ELb0ES3_jPlS8_PNS0_10empty_typeENS0_5tupleIJS8_S9_EEENSB_IJS8_SA_EEENS0_18inequality_wrapperIZN2at6native12_GLOBAL__N_124unique_dim_cuda_templateIfEESt5tupleIJNSF_6TensorESK_SK_EERKSK_lbbbEUlllE0_EEPmJS9_EEE10hipError_tPvRmT3_T4_T5_T6_T7_T9_mT8_P12ihipStream_tbDpT10_ENKUlT_T0_E_clISt17integral_constantIbLb1EES1A_EEDaS15_S16_EUlS15_E_NS1_11comp_targetILNS1_3genE5ELNS1_11target_archE942ELNS1_3gpuE9ELNS1_3repE0EEENS1_30default_config_static_selectorELNS0_4arch9wavefront6targetE1EEEvT1_,"axG",@progbits,_ZN7rocprim17ROCPRIM_400000_NS6detail17trampoline_kernelINS0_14default_configENS1_25partition_config_selectorILNS1_17partition_subalgoE9EllbEEZZNS1_14partition_implILS5_9ELb0ES3_jPlS8_PNS0_10empty_typeENS0_5tupleIJS8_S9_EEENSB_IJS8_SA_EEENS0_18inequality_wrapperIZN2at6native12_GLOBAL__N_124unique_dim_cuda_templateIfEESt5tupleIJNSF_6TensorESK_SK_EERKSK_lbbbEUlllE0_EEPmJS9_EEE10hipError_tPvRmT3_T4_T5_T6_T7_T9_mT8_P12ihipStream_tbDpT10_ENKUlT_T0_E_clISt17integral_constantIbLb1EES1A_EEDaS15_S16_EUlS15_E_NS1_11comp_targetILNS1_3genE5ELNS1_11target_archE942ELNS1_3gpuE9ELNS1_3repE0EEENS1_30default_config_static_selectorELNS0_4arch9wavefront6targetE1EEEvT1_,comdat
	.globl	_ZN7rocprim17ROCPRIM_400000_NS6detail17trampoline_kernelINS0_14default_configENS1_25partition_config_selectorILNS1_17partition_subalgoE9EllbEEZZNS1_14partition_implILS5_9ELb0ES3_jPlS8_PNS0_10empty_typeENS0_5tupleIJS8_S9_EEENSB_IJS8_SA_EEENS0_18inequality_wrapperIZN2at6native12_GLOBAL__N_124unique_dim_cuda_templateIfEESt5tupleIJNSF_6TensorESK_SK_EERKSK_lbbbEUlllE0_EEPmJS9_EEE10hipError_tPvRmT3_T4_T5_T6_T7_T9_mT8_P12ihipStream_tbDpT10_ENKUlT_T0_E_clISt17integral_constantIbLb1EES1A_EEDaS15_S16_EUlS15_E_NS1_11comp_targetILNS1_3genE5ELNS1_11target_archE942ELNS1_3gpuE9ELNS1_3repE0EEENS1_30default_config_static_selectorELNS0_4arch9wavefront6targetE1EEEvT1_ ; -- Begin function _ZN7rocprim17ROCPRIM_400000_NS6detail17trampoline_kernelINS0_14default_configENS1_25partition_config_selectorILNS1_17partition_subalgoE9EllbEEZZNS1_14partition_implILS5_9ELb0ES3_jPlS8_PNS0_10empty_typeENS0_5tupleIJS8_S9_EEENSB_IJS8_SA_EEENS0_18inequality_wrapperIZN2at6native12_GLOBAL__N_124unique_dim_cuda_templateIfEESt5tupleIJNSF_6TensorESK_SK_EERKSK_lbbbEUlllE0_EEPmJS9_EEE10hipError_tPvRmT3_T4_T5_T6_T7_T9_mT8_P12ihipStream_tbDpT10_ENKUlT_T0_E_clISt17integral_constantIbLb1EES1A_EEDaS15_S16_EUlS15_E_NS1_11comp_targetILNS1_3genE5ELNS1_11target_archE942ELNS1_3gpuE9ELNS1_3repE0EEENS1_30default_config_static_selectorELNS0_4arch9wavefront6targetE1EEEvT1_
	.p2align	8
	.type	_ZN7rocprim17ROCPRIM_400000_NS6detail17trampoline_kernelINS0_14default_configENS1_25partition_config_selectorILNS1_17partition_subalgoE9EllbEEZZNS1_14partition_implILS5_9ELb0ES3_jPlS8_PNS0_10empty_typeENS0_5tupleIJS8_S9_EEENSB_IJS8_SA_EEENS0_18inequality_wrapperIZN2at6native12_GLOBAL__N_124unique_dim_cuda_templateIfEESt5tupleIJNSF_6TensorESK_SK_EERKSK_lbbbEUlllE0_EEPmJS9_EEE10hipError_tPvRmT3_T4_T5_T6_T7_T9_mT8_P12ihipStream_tbDpT10_ENKUlT_T0_E_clISt17integral_constantIbLb1EES1A_EEDaS15_S16_EUlS15_E_NS1_11comp_targetILNS1_3genE5ELNS1_11target_archE942ELNS1_3gpuE9ELNS1_3repE0EEENS1_30default_config_static_selectorELNS0_4arch9wavefront6targetE1EEEvT1_,@function
_ZN7rocprim17ROCPRIM_400000_NS6detail17trampoline_kernelINS0_14default_configENS1_25partition_config_selectorILNS1_17partition_subalgoE9EllbEEZZNS1_14partition_implILS5_9ELb0ES3_jPlS8_PNS0_10empty_typeENS0_5tupleIJS8_S9_EEENSB_IJS8_SA_EEENS0_18inequality_wrapperIZN2at6native12_GLOBAL__N_124unique_dim_cuda_templateIfEESt5tupleIJNSF_6TensorESK_SK_EERKSK_lbbbEUlllE0_EEPmJS9_EEE10hipError_tPvRmT3_T4_T5_T6_T7_T9_mT8_P12ihipStream_tbDpT10_ENKUlT_T0_E_clISt17integral_constantIbLb1EES1A_EEDaS15_S16_EUlS15_E_NS1_11comp_targetILNS1_3genE5ELNS1_11target_archE942ELNS1_3gpuE9ELNS1_3repE0EEENS1_30default_config_static_selectorELNS0_4arch9wavefront6targetE1EEEvT1_: ; @_ZN7rocprim17ROCPRIM_400000_NS6detail17trampoline_kernelINS0_14default_configENS1_25partition_config_selectorILNS1_17partition_subalgoE9EllbEEZZNS1_14partition_implILS5_9ELb0ES3_jPlS8_PNS0_10empty_typeENS0_5tupleIJS8_S9_EEENSB_IJS8_SA_EEENS0_18inequality_wrapperIZN2at6native12_GLOBAL__N_124unique_dim_cuda_templateIfEESt5tupleIJNSF_6TensorESK_SK_EERKSK_lbbbEUlllE0_EEPmJS9_EEE10hipError_tPvRmT3_T4_T5_T6_T7_T9_mT8_P12ihipStream_tbDpT10_ENKUlT_T0_E_clISt17integral_constantIbLb1EES1A_EEDaS15_S16_EUlS15_E_NS1_11comp_targetILNS1_3genE5ELNS1_11target_archE942ELNS1_3gpuE9ELNS1_3repE0EEENS1_30default_config_static_selectorELNS0_4arch9wavefront6targetE1EEEvT1_
; %bb.0:
	.section	.rodata,"a",@progbits
	.p2align	6, 0x0
	.amdhsa_kernel _ZN7rocprim17ROCPRIM_400000_NS6detail17trampoline_kernelINS0_14default_configENS1_25partition_config_selectorILNS1_17partition_subalgoE9EllbEEZZNS1_14partition_implILS5_9ELb0ES3_jPlS8_PNS0_10empty_typeENS0_5tupleIJS8_S9_EEENSB_IJS8_SA_EEENS0_18inequality_wrapperIZN2at6native12_GLOBAL__N_124unique_dim_cuda_templateIfEESt5tupleIJNSF_6TensorESK_SK_EERKSK_lbbbEUlllE0_EEPmJS9_EEE10hipError_tPvRmT3_T4_T5_T6_T7_T9_mT8_P12ihipStream_tbDpT10_ENKUlT_T0_E_clISt17integral_constantIbLb1EES1A_EEDaS15_S16_EUlS15_E_NS1_11comp_targetILNS1_3genE5ELNS1_11target_archE942ELNS1_3gpuE9ELNS1_3repE0EEENS1_30default_config_static_selectorELNS0_4arch9wavefront6targetE1EEEvT1_
		.amdhsa_group_segment_fixed_size 0
		.amdhsa_private_segment_fixed_size 0
		.amdhsa_kernarg_size 136
		.amdhsa_user_sgpr_count 2
		.amdhsa_user_sgpr_dispatch_ptr 0
		.amdhsa_user_sgpr_queue_ptr 0
		.amdhsa_user_sgpr_kernarg_segment_ptr 1
		.amdhsa_user_sgpr_dispatch_id 0
		.amdhsa_user_sgpr_kernarg_preload_length 0
		.amdhsa_user_sgpr_kernarg_preload_offset 0
		.amdhsa_user_sgpr_private_segment_size 0
		.amdhsa_uses_dynamic_stack 0
		.amdhsa_enable_private_segment 0
		.amdhsa_system_sgpr_workgroup_id_x 1
		.amdhsa_system_sgpr_workgroup_id_y 0
		.amdhsa_system_sgpr_workgroup_id_z 0
		.amdhsa_system_sgpr_workgroup_info 0
		.amdhsa_system_vgpr_workitem_id 0
		.amdhsa_next_free_vgpr 1
		.amdhsa_next_free_sgpr 0
		.amdhsa_accum_offset 4
		.amdhsa_reserve_vcc 0
		.amdhsa_float_round_mode_32 0
		.amdhsa_float_round_mode_16_64 0
		.amdhsa_float_denorm_mode_32 3
		.amdhsa_float_denorm_mode_16_64 3
		.amdhsa_dx10_clamp 1
		.amdhsa_ieee_mode 1
		.amdhsa_fp16_overflow 0
		.amdhsa_tg_split 0
		.amdhsa_exception_fp_ieee_invalid_op 0
		.amdhsa_exception_fp_denorm_src 0
		.amdhsa_exception_fp_ieee_div_zero 0
		.amdhsa_exception_fp_ieee_overflow 0
		.amdhsa_exception_fp_ieee_underflow 0
		.amdhsa_exception_fp_ieee_inexact 0
		.amdhsa_exception_int_div_zero 0
	.end_amdhsa_kernel
	.section	.text._ZN7rocprim17ROCPRIM_400000_NS6detail17trampoline_kernelINS0_14default_configENS1_25partition_config_selectorILNS1_17partition_subalgoE9EllbEEZZNS1_14partition_implILS5_9ELb0ES3_jPlS8_PNS0_10empty_typeENS0_5tupleIJS8_S9_EEENSB_IJS8_SA_EEENS0_18inequality_wrapperIZN2at6native12_GLOBAL__N_124unique_dim_cuda_templateIfEESt5tupleIJNSF_6TensorESK_SK_EERKSK_lbbbEUlllE0_EEPmJS9_EEE10hipError_tPvRmT3_T4_T5_T6_T7_T9_mT8_P12ihipStream_tbDpT10_ENKUlT_T0_E_clISt17integral_constantIbLb1EES1A_EEDaS15_S16_EUlS15_E_NS1_11comp_targetILNS1_3genE5ELNS1_11target_archE942ELNS1_3gpuE9ELNS1_3repE0EEENS1_30default_config_static_selectorELNS0_4arch9wavefront6targetE1EEEvT1_,"axG",@progbits,_ZN7rocprim17ROCPRIM_400000_NS6detail17trampoline_kernelINS0_14default_configENS1_25partition_config_selectorILNS1_17partition_subalgoE9EllbEEZZNS1_14partition_implILS5_9ELb0ES3_jPlS8_PNS0_10empty_typeENS0_5tupleIJS8_S9_EEENSB_IJS8_SA_EEENS0_18inequality_wrapperIZN2at6native12_GLOBAL__N_124unique_dim_cuda_templateIfEESt5tupleIJNSF_6TensorESK_SK_EERKSK_lbbbEUlllE0_EEPmJS9_EEE10hipError_tPvRmT3_T4_T5_T6_T7_T9_mT8_P12ihipStream_tbDpT10_ENKUlT_T0_E_clISt17integral_constantIbLb1EES1A_EEDaS15_S16_EUlS15_E_NS1_11comp_targetILNS1_3genE5ELNS1_11target_archE942ELNS1_3gpuE9ELNS1_3repE0EEENS1_30default_config_static_selectorELNS0_4arch9wavefront6targetE1EEEvT1_,comdat
.Lfunc_end970:
	.size	_ZN7rocprim17ROCPRIM_400000_NS6detail17trampoline_kernelINS0_14default_configENS1_25partition_config_selectorILNS1_17partition_subalgoE9EllbEEZZNS1_14partition_implILS5_9ELb0ES3_jPlS8_PNS0_10empty_typeENS0_5tupleIJS8_S9_EEENSB_IJS8_SA_EEENS0_18inequality_wrapperIZN2at6native12_GLOBAL__N_124unique_dim_cuda_templateIfEESt5tupleIJNSF_6TensorESK_SK_EERKSK_lbbbEUlllE0_EEPmJS9_EEE10hipError_tPvRmT3_T4_T5_T6_T7_T9_mT8_P12ihipStream_tbDpT10_ENKUlT_T0_E_clISt17integral_constantIbLb1EES1A_EEDaS15_S16_EUlS15_E_NS1_11comp_targetILNS1_3genE5ELNS1_11target_archE942ELNS1_3gpuE9ELNS1_3repE0EEENS1_30default_config_static_selectorELNS0_4arch9wavefront6targetE1EEEvT1_, .Lfunc_end970-_ZN7rocprim17ROCPRIM_400000_NS6detail17trampoline_kernelINS0_14default_configENS1_25partition_config_selectorILNS1_17partition_subalgoE9EllbEEZZNS1_14partition_implILS5_9ELb0ES3_jPlS8_PNS0_10empty_typeENS0_5tupleIJS8_S9_EEENSB_IJS8_SA_EEENS0_18inequality_wrapperIZN2at6native12_GLOBAL__N_124unique_dim_cuda_templateIfEESt5tupleIJNSF_6TensorESK_SK_EERKSK_lbbbEUlllE0_EEPmJS9_EEE10hipError_tPvRmT3_T4_T5_T6_T7_T9_mT8_P12ihipStream_tbDpT10_ENKUlT_T0_E_clISt17integral_constantIbLb1EES1A_EEDaS15_S16_EUlS15_E_NS1_11comp_targetILNS1_3genE5ELNS1_11target_archE942ELNS1_3gpuE9ELNS1_3repE0EEENS1_30default_config_static_selectorELNS0_4arch9wavefront6targetE1EEEvT1_
                                        ; -- End function
	.set _ZN7rocprim17ROCPRIM_400000_NS6detail17trampoline_kernelINS0_14default_configENS1_25partition_config_selectorILNS1_17partition_subalgoE9EllbEEZZNS1_14partition_implILS5_9ELb0ES3_jPlS8_PNS0_10empty_typeENS0_5tupleIJS8_S9_EEENSB_IJS8_SA_EEENS0_18inequality_wrapperIZN2at6native12_GLOBAL__N_124unique_dim_cuda_templateIfEESt5tupleIJNSF_6TensorESK_SK_EERKSK_lbbbEUlllE0_EEPmJS9_EEE10hipError_tPvRmT3_T4_T5_T6_T7_T9_mT8_P12ihipStream_tbDpT10_ENKUlT_T0_E_clISt17integral_constantIbLb1EES1A_EEDaS15_S16_EUlS15_E_NS1_11comp_targetILNS1_3genE5ELNS1_11target_archE942ELNS1_3gpuE9ELNS1_3repE0EEENS1_30default_config_static_selectorELNS0_4arch9wavefront6targetE1EEEvT1_.num_vgpr, 0
	.set _ZN7rocprim17ROCPRIM_400000_NS6detail17trampoline_kernelINS0_14default_configENS1_25partition_config_selectorILNS1_17partition_subalgoE9EllbEEZZNS1_14partition_implILS5_9ELb0ES3_jPlS8_PNS0_10empty_typeENS0_5tupleIJS8_S9_EEENSB_IJS8_SA_EEENS0_18inequality_wrapperIZN2at6native12_GLOBAL__N_124unique_dim_cuda_templateIfEESt5tupleIJNSF_6TensorESK_SK_EERKSK_lbbbEUlllE0_EEPmJS9_EEE10hipError_tPvRmT3_T4_T5_T6_T7_T9_mT8_P12ihipStream_tbDpT10_ENKUlT_T0_E_clISt17integral_constantIbLb1EES1A_EEDaS15_S16_EUlS15_E_NS1_11comp_targetILNS1_3genE5ELNS1_11target_archE942ELNS1_3gpuE9ELNS1_3repE0EEENS1_30default_config_static_selectorELNS0_4arch9wavefront6targetE1EEEvT1_.num_agpr, 0
	.set _ZN7rocprim17ROCPRIM_400000_NS6detail17trampoline_kernelINS0_14default_configENS1_25partition_config_selectorILNS1_17partition_subalgoE9EllbEEZZNS1_14partition_implILS5_9ELb0ES3_jPlS8_PNS0_10empty_typeENS0_5tupleIJS8_S9_EEENSB_IJS8_SA_EEENS0_18inequality_wrapperIZN2at6native12_GLOBAL__N_124unique_dim_cuda_templateIfEESt5tupleIJNSF_6TensorESK_SK_EERKSK_lbbbEUlllE0_EEPmJS9_EEE10hipError_tPvRmT3_T4_T5_T6_T7_T9_mT8_P12ihipStream_tbDpT10_ENKUlT_T0_E_clISt17integral_constantIbLb1EES1A_EEDaS15_S16_EUlS15_E_NS1_11comp_targetILNS1_3genE5ELNS1_11target_archE942ELNS1_3gpuE9ELNS1_3repE0EEENS1_30default_config_static_selectorELNS0_4arch9wavefront6targetE1EEEvT1_.numbered_sgpr, 0
	.set _ZN7rocprim17ROCPRIM_400000_NS6detail17trampoline_kernelINS0_14default_configENS1_25partition_config_selectorILNS1_17partition_subalgoE9EllbEEZZNS1_14partition_implILS5_9ELb0ES3_jPlS8_PNS0_10empty_typeENS0_5tupleIJS8_S9_EEENSB_IJS8_SA_EEENS0_18inequality_wrapperIZN2at6native12_GLOBAL__N_124unique_dim_cuda_templateIfEESt5tupleIJNSF_6TensorESK_SK_EERKSK_lbbbEUlllE0_EEPmJS9_EEE10hipError_tPvRmT3_T4_T5_T6_T7_T9_mT8_P12ihipStream_tbDpT10_ENKUlT_T0_E_clISt17integral_constantIbLb1EES1A_EEDaS15_S16_EUlS15_E_NS1_11comp_targetILNS1_3genE5ELNS1_11target_archE942ELNS1_3gpuE9ELNS1_3repE0EEENS1_30default_config_static_selectorELNS0_4arch9wavefront6targetE1EEEvT1_.num_named_barrier, 0
	.set _ZN7rocprim17ROCPRIM_400000_NS6detail17trampoline_kernelINS0_14default_configENS1_25partition_config_selectorILNS1_17partition_subalgoE9EllbEEZZNS1_14partition_implILS5_9ELb0ES3_jPlS8_PNS0_10empty_typeENS0_5tupleIJS8_S9_EEENSB_IJS8_SA_EEENS0_18inequality_wrapperIZN2at6native12_GLOBAL__N_124unique_dim_cuda_templateIfEESt5tupleIJNSF_6TensorESK_SK_EERKSK_lbbbEUlllE0_EEPmJS9_EEE10hipError_tPvRmT3_T4_T5_T6_T7_T9_mT8_P12ihipStream_tbDpT10_ENKUlT_T0_E_clISt17integral_constantIbLb1EES1A_EEDaS15_S16_EUlS15_E_NS1_11comp_targetILNS1_3genE5ELNS1_11target_archE942ELNS1_3gpuE9ELNS1_3repE0EEENS1_30default_config_static_selectorELNS0_4arch9wavefront6targetE1EEEvT1_.private_seg_size, 0
	.set _ZN7rocprim17ROCPRIM_400000_NS6detail17trampoline_kernelINS0_14default_configENS1_25partition_config_selectorILNS1_17partition_subalgoE9EllbEEZZNS1_14partition_implILS5_9ELb0ES3_jPlS8_PNS0_10empty_typeENS0_5tupleIJS8_S9_EEENSB_IJS8_SA_EEENS0_18inequality_wrapperIZN2at6native12_GLOBAL__N_124unique_dim_cuda_templateIfEESt5tupleIJNSF_6TensorESK_SK_EERKSK_lbbbEUlllE0_EEPmJS9_EEE10hipError_tPvRmT3_T4_T5_T6_T7_T9_mT8_P12ihipStream_tbDpT10_ENKUlT_T0_E_clISt17integral_constantIbLb1EES1A_EEDaS15_S16_EUlS15_E_NS1_11comp_targetILNS1_3genE5ELNS1_11target_archE942ELNS1_3gpuE9ELNS1_3repE0EEENS1_30default_config_static_selectorELNS0_4arch9wavefront6targetE1EEEvT1_.uses_vcc, 0
	.set _ZN7rocprim17ROCPRIM_400000_NS6detail17trampoline_kernelINS0_14default_configENS1_25partition_config_selectorILNS1_17partition_subalgoE9EllbEEZZNS1_14partition_implILS5_9ELb0ES3_jPlS8_PNS0_10empty_typeENS0_5tupleIJS8_S9_EEENSB_IJS8_SA_EEENS0_18inequality_wrapperIZN2at6native12_GLOBAL__N_124unique_dim_cuda_templateIfEESt5tupleIJNSF_6TensorESK_SK_EERKSK_lbbbEUlllE0_EEPmJS9_EEE10hipError_tPvRmT3_T4_T5_T6_T7_T9_mT8_P12ihipStream_tbDpT10_ENKUlT_T0_E_clISt17integral_constantIbLb1EES1A_EEDaS15_S16_EUlS15_E_NS1_11comp_targetILNS1_3genE5ELNS1_11target_archE942ELNS1_3gpuE9ELNS1_3repE0EEENS1_30default_config_static_selectorELNS0_4arch9wavefront6targetE1EEEvT1_.uses_flat_scratch, 0
	.set _ZN7rocprim17ROCPRIM_400000_NS6detail17trampoline_kernelINS0_14default_configENS1_25partition_config_selectorILNS1_17partition_subalgoE9EllbEEZZNS1_14partition_implILS5_9ELb0ES3_jPlS8_PNS0_10empty_typeENS0_5tupleIJS8_S9_EEENSB_IJS8_SA_EEENS0_18inequality_wrapperIZN2at6native12_GLOBAL__N_124unique_dim_cuda_templateIfEESt5tupleIJNSF_6TensorESK_SK_EERKSK_lbbbEUlllE0_EEPmJS9_EEE10hipError_tPvRmT3_T4_T5_T6_T7_T9_mT8_P12ihipStream_tbDpT10_ENKUlT_T0_E_clISt17integral_constantIbLb1EES1A_EEDaS15_S16_EUlS15_E_NS1_11comp_targetILNS1_3genE5ELNS1_11target_archE942ELNS1_3gpuE9ELNS1_3repE0EEENS1_30default_config_static_selectorELNS0_4arch9wavefront6targetE1EEEvT1_.has_dyn_sized_stack, 0
	.set _ZN7rocprim17ROCPRIM_400000_NS6detail17trampoline_kernelINS0_14default_configENS1_25partition_config_selectorILNS1_17partition_subalgoE9EllbEEZZNS1_14partition_implILS5_9ELb0ES3_jPlS8_PNS0_10empty_typeENS0_5tupleIJS8_S9_EEENSB_IJS8_SA_EEENS0_18inequality_wrapperIZN2at6native12_GLOBAL__N_124unique_dim_cuda_templateIfEESt5tupleIJNSF_6TensorESK_SK_EERKSK_lbbbEUlllE0_EEPmJS9_EEE10hipError_tPvRmT3_T4_T5_T6_T7_T9_mT8_P12ihipStream_tbDpT10_ENKUlT_T0_E_clISt17integral_constantIbLb1EES1A_EEDaS15_S16_EUlS15_E_NS1_11comp_targetILNS1_3genE5ELNS1_11target_archE942ELNS1_3gpuE9ELNS1_3repE0EEENS1_30default_config_static_selectorELNS0_4arch9wavefront6targetE1EEEvT1_.has_recursion, 0
	.set _ZN7rocprim17ROCPRIM_400000_NS6detail17trampoline_kernelINS0_14default_configENS1_25partition_config_selectorILNS1_17partition_subalgoE9EllbEEZZNS1_14partition_implILS5_9ELb0ES3_jPlS8_PNS0_10empty_typeENS0_5tupleIJS8_S9_EEENSB_IJS8_SA_EEENS0_18inequality_wrapperIZN2at6native12_GLOBAL__N_124unique_dim_cuda_templateIfEESt5tupleIJNSF_6TensorESK_SK_EERKSK_lbbbEUlllE0_EEPmJS9_EEE10hipError_tPvRmT3_T4_T5_T6_T7_T9_mT8_P12ihipStream_tbDpT10_ENKUlT_T0_E_clISt17integral_constantIbLb1EES1A_EEDaS15_S16_EUlS15_E_NS1_11comp_targetILNS1_3genE5ELNS1_11target_archE942ELNS1_3gpuE9ELNS1_3repE0EEENS1_30default_config_static_selectorELNS0_4arch9wavefront6targetE1EEEvT1_.has_indirect_call, 0
	.section	.AMDGPU.csdata,"",@progbits
; Kernel info:
; codeLenInByte = 0
; TotalNumSgprs: 6
; NumVgprs: 0
; NumAgprs: 0
; TotalNumVgprs: 0
; ScratchSize: 0
; MemoryBound: 0
; FloatMode: 240
; IeeeMode: 1
; LDSByteSize: 0 bytes/workgroup (compile time only)
; SGPRBlocks: 0
; VGPRBlocks: 0
; NumSGPRsForWavesPerEU: 6
; NumVGPRsForWavesPerEU: 1
; AccumOffset: 4
; Occupancy: 8
; WaveLimiterHint : 0
; COMPUTE_PGM_RSRC2:SCRATCH_EN: 0
; COMPUTE_PGM_RSRC2:USER_SGPR: 2
; COMPUTE_PGM_RSRC2:TRAP_HANDLER: 0
; COMPUTE_PGM_RSRC2:TGID_X_EN: 1
; COMPUTE_PGM_RSRC2:TGID_Y_EN: 0
; COMPUTE_PGM_RSRC2:TGID_Z_EN: 0
; COMPUTE_PGM_RSRC2:TIDIG_COMP_CNT: 0
; COMPUTE_PGM_RSRC3_GFX90A:ACCUM_OFFSET: 0
; COMPUTE_PGM_RSRC3_GFX90A:TG_SPLIT: 0
	.section	.text._ZN7rocprim17ROCPRIM_400000_NS6detail17trampoline_kernelINS0_14default_configENS1_25partition_config_selectorILNS1_17partition_subalgoE9EllbEEZZNS1_14partition_implILS5_9ELb0ES3_jPlS8_PNS0_10empty_typeENS0_5tupleIJS8_S9_EEENSB_IJS8_SA_EEENS0_18inequality_wrapperIZN2at6native12_GLOBAL__N_124unique_dim_cuda_templateIfEESt5tupleIJNSF_6TensorESK_SK_EERKSK_lbbbEUlllE0_EEPmJS9_EEE10hipError_tPvRmT3_T4_T5_T6_T7_T9_mT8_P12ihipStream_tbDpT10_ENKUlT_T0_E_clISt17integral_constantIbLb1EES1A_EEDaS15_S16_EUlS15_E_NS1_11comp_targetILNS1_3genE4ELNS1_11target_archE910ELNS1_3gpuE8ELNS1_3repE0EEENS1_30default_config_static_selectorELNS0_4arch9wavefront6targetE1EEEvT1_,"axG",@progbits,_ZN7rocprim17ROCPRIM_400000_NS6detail17trampoline_kernelINS0_14default_configENS1_25partition_config_selectorILNS1_17partition_subalgoE9EllbEEZZNS1_14partition_implILS5_9ELb0ES3_jPlS8_PNS0_10empty_typeENS0_5tupleIJS8_S9_EEENSB_IJS8_SA_EEENS0_18inequality_wrapperIZN2at6native12_GLOBAL__N_124unique_dim_cuda_templateIfEESt5tupleIJNSF_6TensorESK_SK_EERKSK_lbbbEUlllE0_EEPmJS9_EEE10hipError_tPvRmT3_T4_T5_T6_T7_T9_mT8_P12ihipStream_tbDpT10_ENKUlT_T0_E_clISt17integral_constantIbLb1EES1A_EEDaS15_S16_EUlS15_E_NS1_11comp_targetILNS1_3genE4ELNS1_11target_archE910ELNS1_3gpuE8ELNS1_3repE0EEENS1_30default_config_static_selectorELNS0_4arch9wavefront6targetE1EEEvT1_,comdat
	.globl	_ZN7rocprim17ROCPRIM_400000_NS6detail17trampoline_kernelINS0_14default_configENS1_25partition_config_selectorILNS1_17partition_subalgoE9EllbEEZZNS1_14partition_implILS5_9ELb0ES3_jPlS8_PNS0_10empty_typeENS0_5tupleIJS8_S9_EEENSB_IJS8_SA_EEENS0_18inequality_wrapperIZN2at6native12_GLOBAL__N_124unique_dim_cuda_templateIfEESt5tupleIJNSF_6TensorESK_SK_EERKSK_lbbbEUlllE0_EEPmJS9_EEE10hipError_tPvRmT3_T4_T5_T6_T7_T9_mT8_P12ihipStream_tbDpT10_ENKUlT_T0_E_clISt17integral_constantIbLb1EES1A_EEDaS15_S16_EUlS15_E_NS1_11comp_targetILNS1_3genE4ELNS1_11target_archE910ELNS1_3gpuE8ELNS1_3repE0EEENS1_30default_config_static_selectorELNS0_4arch9wavefront6targetE1EEEvT1_ ; -- Begin function _ZN7rocprim17ROCPRIM_400000_NS6detail17trampoline_kernelINS0_14default_configENS1_25partition_config_selectorILNS1_17partition_subalgoE9EllbEEZZNS1_14partition_implILS5_9ELb0ES3_jPlS8_PNS0_10empty_typeENS0_5tupleIJS8_S9_EEENSB_IJS8_SA_EEENS0_18inequality_wrapperIZN2at6native12_GLOBAL__N_124unique_dim_cuda_templateIfEESt5tupleIJNSF_6TensorESK_SK_EERKSK_lbbbEUlllE0_EEPmJS9_EEE10hipError_tPvRmT3_T4_T5_T6_T7_T9_mT8_P12ihipStream_tbDpT10_ENKUlT_T0_E_clISt17integral_constantIbLb1EES1A_EEDaS15_S16_EUlS15_E_NS1_11comp_targetILNS1_3genE4ELNS1_11target_archE910ELNS1_3gpuE8ELNS1_3repE0EEENS1_30default_config_static_selectorELNS0_4arch9wavefront6targetE1EEEvT1_
	.p2align	8
	.type	_ZN7rocprim17ROCPRIM_400000_NS6detail17trampoline_kernelINS0_14default_configENS1_25partition_config_selectorILNS1_17partition_subalgoE9EllbEEZZNS1_14partition_implILS5_9ELb0ES3_jPlS8_PNS0_10empty_typeENS0_5tupleIJS8_S9_EEENSB_IJS8_SA_EEENS0_18inequality_wrapperIZN2at6native12_GLOBAL__N_124unique_dim_cuda_templateIfEESt5tupleIJNSF_6TensorESK_SK_EERKSK_lbbbEUlllE0_EEPmJS9_EEE10hipError_tPvRmT3_T4_T5_T6_T7_T9_mT8_P12ihipStream_tbDpT10_ENKUlT_T0_E_clISt17integral_constantIbLb1EES1A_EEDaS15_S16_EUlS15_E_NS1_11comp_targetILNS1_3genE4ELNS1_11target_archE910ELNS1_3gpuE8ELNS1_3repE0EEENS1_30default_config_static_selectorELNS0_4arch9wavefront6targetE1EEEvT1_,@function
_ZN7rocprim17ROCPRIM_400000_NS6detail17trampoline_kernelINS0_14default_configENS1_25partition_config_selectorILNS1_17partition_subalgoE9EllbEEZZNS1_14partition_implILS5_9ELb0ES3_jPlS8_PNS0_10empty_typeENS0_5tupleIJS8_S9_EEENSB_IJS8_SA_EEENS0_18inequality_wrapperIZN2at6native12_GLOBAL__N_124unique_dim_cuda_templateIfEESt5tupleIJNSF_6TensorESK_SK_EERKSK_lbbbEUlllE0_EEPmJS9_EEE10hipError_tPvRmT3_T4_T5_T6_T7_T9_mT8_P12ihipStream_tbDpT10_ENKUlT_T0_E_clISt17integral_constantIbLb1EES1A_EEDaS15_S16_EUlS15_E_NS1_11comp_targetILNS1_3genE4ELNS1_11target_archE910ELNS1_3gpuE8ELNS1_3repE0EEENS1_30default_config_static_selectorELNS0_4arch9wavefront6targetE1EEEvT1_: ; @_ZN7rocprim17ROCPRIM_400000_NS6detail17trampoline_kernelINS0_14default_configENS1_25partition_config_selectorILNS1_17partition_subalgoE9EllbEEZZNS1_14partition_implILS5_9ELb0ES3_jPlS8_PNS0_10empty_typeENS0_5tupleIJS8_S9_EEENSB_IJS8_SA_EEENS0_18inequality_wrapperIZN2at6native12_GLOBAL__N_124unique_dim_cuda_templateIfEESt5tupleIJNSF_6TensorESK_SK_EERKSK_lbbbEUlllE0_EEPmJS9_EEE10hipError_tPvRmT3_T4_T5_T6_T7_T9_mT8_P12ihipStream_tbDpT10_ENKUlT_T0_E_clISt17integral_constantIbLb1EES1A_EEDaS15_S16_EUlS15_E_NS1_11comp_targetILNS1_3genE4ELNS1_11target_archE910ELNS1_3gpuE8ELNS1_3repE0EEENS1_30default_config_static_selectorELNS0_4arch9wavefront6targetE1EEEvT1_
; %bb.0:
	.section	.rodata,"a",@progbits
	.p2align	6, 0x0
	.amdhsa_kernel _ZN7rocprim17ROCPRIM_400000_NS6detail17trampoline_kernelINS0_14default_configENS1_25partition_config_selectorILNS1_17partition_subalgoE9EllbEEZZNS1_14partition_implILS5_9ELb0ES3_jPlS8_PNS0_10empty_typeENS0_5tupleIJS8_S9_EEENSB_IJS8_SA_EEENS0_18inequality_wrapperIZN2at6native12_GLOBAL__N_124unique_dim_cuda_templateIfEESt5tupleIJNSF_6TensorESK_SK_EERKSK_lbbbEUlllE0_EEPmJS9_EEE10hipError_tPvRmT3_T4_T5_T6_T7_T9_mT8_P12ihipStream_tbDpT10_ENKUlT_T0_E_clISt17integral_constantIbLb1EES1A_EEDaS15_S16_EUlS15_E_NS1_11comp_targetILNS1_3genE4ELNS1_11target_archE910ELNS1_3gpuE8ELNS1_3repE0EEENS1_30default_config_static_selectorELNS0_4arch9wavefront6targetE1EEEvT1_
		.amdhsa_group_segment_fixed_size 0
		.amdhsa_private_segment_fixed_size 0
		.amdhsa_kernarg_size 136
		.amdhsa_user_sgpr_count 2
		.amdhsa_user_sgpr_dispatch_ptr 0
		.amdhsa_user_sgpr_queue_ptr 0
		.amdhsa_user_sgpr_kernarg_segment_ptr 1
		.amdhsa_user_sgpr_dispatch_id 0
		.amdhsa_user_sgpr_kernarg_preload_length 0
		.amdhsa_user_sgpr_kernarg_preload_offset 0
		.amdhsa_user_sgpr_private_segment_size 0
		.amdhsa_uses_dynamic_stack 0
		.amdhsa_enable_private_segment 0
		.amdhsa_system_sgpr_workgroup_id_x 1
		.amdhsa_system_sgpr_workgroup_id_y 0
		.amdhsa_system_sgpr_workgroup_id_z 0
		.amdhsa_system_sgpr_workgroup_info 0
		.amdhsa_system_vgpr_workitem_id 0
		.amdhsa_next_free_vgpr 1
		.amdhsa_next_free_sgpr 0
		.amdhsa_accum_offset 4
		.amdhsa_reserve_vcc 0
		.amdhsa_float_round_mode_32 0
		.amdhsa_float_round_mode_16_64 0
		.amdhsa_float_denorm_mode_32 3
		.amdhsa_float_denorm_mode_16_64 3
		.amdhsa_dx10_clamp 1
		.amdhsa_ieee_mode 1
		.amdhsa_fp16_overflow 0
		.amdhsa_tg_split 0
		.amdhsa_exception_fp_ieee_invalid_op 0
		.amdhsa_exception_fp_denorm_src 0
		.amdhsa_exception_fp_ieee_div_zero 0
		.amdhsa_exception_fp_ieee_overflow 0
		.amdhsa_exception_fp_ieee_underflow 0
		.amdhsa_exception_fp_ieee_inexact 0
		.amdhsa_exception_int_div_zero 0
	.end_amdhsa_kernel
	.section	.text._ZN7rocprim17ROCPRIM_400000_NS6detail17trampoline_kernelINS0_14default_configENS1_25partition_config_selectorILNS1_17partition_subalgoE9EllbEEZZNS1_14partition_implILS5_9ELb0ES3_jPlS8_PNS0_10empty_typeENS0_5tupleIJS8_S9_EEENSB_IJS8_SA_EEENS0_18inequality_wrapperIZN2at6native12_GLOBAL__N_124unique_dim_cuda_templateIfEESt5tupleIJNSF_6TensorESK_SK_EERKSK_lbbbEUlllE0_EEPmJS9_EEE10hipError_tPvRmT3_T4_T5_T6_T7_T9_mT8_P12ihipStream_tbDpT10_ENKUlT_T0_E_clISt17integral_constantIbLb1EES1A_EEDaS15_S16_EUlS15_E_NS1_11comp_targetILNS1_3genE4ELNS1_11target_archE910ELNS1_3gpuE8ELNS1_3repE0EEENS1_30default_config_static_selectorELNS0_4arch9wavefront6targetE1EEEvT1_,"axG",@progbits,_ZN7rocprim17ROCPRIM_400000_NS6detail17trampoline_kernelINS0_14default_configENS1_25partition_config_selectorILNS1_17partition_subalgoE9EllbEEZZNS1_14partition_implILS5_9ELb0ES3_jPlS8_PNS0_10empty_typeENS0_5tupleIJS8_S9_EEENSB_IJS8_SA_EEENS0_18inequality_wrapperIZN2at6native12_GLOBAL__N_124unique_dim_cuda_templateIfEESt5tupleIJNSF_6TensorESK_SK_EERKSK_lbbbEUlllE0_EEPmJS9_EEE10hipError_tPvRmT3_T4_T5_T6_T7_T9_mT8_P12ihipStream_tbDpT10_ENKUlT_T0_E_clISt17integral_constantIbLb1EES1A_EEDaS15_S16_EUlS15_E_NS1_11comp_targetILNS1_3genE4ELNS1_11target_archE910ELNS1_3gpuE8ELNS1_3repE0EEENS1_30default_config_static_selectorELNS0_4arch9wavefront6targetE1EEEvT1_,comdat
.Lfunc_end971:
	.size	_ZN7rocprim17ROCPRIM_400000_NS6detail17trampoline_kernelINS0_14default_configENS1_25partition_config_selectorILNS1_17partition_subalgoE9EllbEEZZNS1_14partition_implILS5_9ELb0ES3_jPlS8_PNS0_10empty_typeENS0_5tupleIJS8_S9_EEENSB_IJS8_SA_EEENS0_18inequality_wrapperIZN2at6native12_GLOBAL__N_124unique_dim_cuda_templateIfEESt5tupleIJNSF_6TensorESK_SK_EERKSK_lbbbEUlllE0_EEPmJS9_EEE10hipError_tPvRmT3_T4_T5_T6_T7_T9_mT8_P12ihipStream_tbDpT10_ENKUlT_T0_E_clISt17integral_constantIbLb1EES1A_EEDaS15_S16_EUlS15_E_NS1_11comp_targetILNS1_3genE4ELNS1_11target_archE910ELNS1_3gpuE8ELNS1_3repE0EEENS1_30default_config_static_selectorELNS0_4arch9wavefront6targetE1EEEvT1_, .Lfunc_end971-_ZN7rocprim17ROCPRIM_400000_NS6detail17trampoline_kernelINS0_14default_configENS1_25partition_config_selectorILNS1_17partition_subalgoE9EllbEEZZNS1_14partition_implILS5_9ELb0ES3_jPlS8_PNS0_10empty_typeENS0_5tupleIJS8_S9_EEENSB_IJS8_SA_EEENS0_18inequality_wrapperIZN2at6native12_GLOBAL__N_124unique_dim_cuda_templateIfEESt5tupleIJNSF_6TensorESK_SK_EERKSK_lbbbEUlllE0_EEPmJS9_EEE10hipError_tPvRmT3_T4_T5_T6_T7_T9_mT8_P12ihipStream_tbDpT10_ENKUlT_T0_E_clISt17integral_constantIbLb1EES1A_EEDaS15_S16_EUlS15_E_NS1_11comp_targetILNS1_3genE4ELNS1_11target_archE910ELNS1_3gpuE8ELNS1_3repE0EEENS1_30default_config_static_selectorELNS0_4arch9wavefront6targetE1EEEvT1_
                                        ; -- End function
	.set _ZN7rocprim17ROCPRIM_400000_NS6detail17trampoline_kernelINS0_14default_configENS1_25partition_config_selectorILNS1_17partition_subalgoE9EllbEEZZNS1_14partition_implILS5_9ELb0ES3_jPlS8_PNS0_10empty_typeENS0_5tupleIJS8_S9_EEENSB_IJS8_SA_EEENS0_18inequality_wrapperIZN2at6native12_GLOBAL__N_124unique_dim_cuda_templateIfEESt5tupleIJNSF_6TensorESK_SK_EERKSK_lbbbEUlllE0_EEPmJS9_EEE10hipError_tPvRmT3_T4_T5_T6_T7_T9_mT8_P12ihipStream_tbDpT10_ENKUlT_T0_E_clISt17integral_constantIbLb1EES1A_EEDaS15_S16_EUlS15_E_NS1_11comp_targetILNS1_3genE4ELNS1_11target_archE910ELNS1_3gpuE8ELNS1_3repE0EEENS1_30default_config_static_selectorELNS0_4arch9wavefront6targetE1EEEvT1_.num_vgpr, 0
	.set _ZN7rocprim17ROCPRIM_400000_NS6detail17trampoline_kernelINS0_14default_configENS1_25partition_config_selectorILNS1_17partition_subalgoE9EllbEEZZNS1_14partition_implILS5_9ELb0ES3_jPlS8_PNS0_10empty_typeENS0_5tupleIJS8_S9_EEENSB_IJS8_SA_EEENS0_18inequality_wrapperIZN2at6native12_GLOBAL__N_124unique_dim_cuda_templateIfEESt5tupleIJNSF_6TensorESK_SK_EERKSK_lbbbEUlllE0_EEPmJS9_EEE10hipError_tPvRmT3_T4_T5_T6_T7_T9_mT8_P12ihipStream_tbDpT10_ENKUlT_T0_E_clISt17integral_constantIbLb1EES1A_EEDaS15_S16_EUlS15_E_NS1_11comp_targetILNS1_3genE4ELNS1_11target_archE910ELNS1_3gpuE8ELNS1_3repE0EEENS1_30default_config_static_selectorELNS0_4arch9wavefront6targetE1EEEvT1_.num_agpr, 0
	.set _ZN7rocprim17ROCPRIM_400000_NS6detail17trampoline_kernelINS0_14default_configENS1_25partition_config_selectorILNS1_17partition_subalgoE9EllbEEZZNS1_14partition_implILS5_9ELb0ES3_jPlS8_PNS0_10empty_typeENS0_5tupleIJS8_S9_EEENSB_IJS8_SA_EEENS0_18inequality_wrapperIZN2at6native12_GLOBAL__N_124unique_dim_cuda_templateIfEESt5tupleIJNSF_6TensorESK_SK_EERKSK_lbbbEUlllE0_EEPmJS9_EEE10hipError_tPvRmT3_T4_T5_T6_T7_T9_mT8_P12ihipStream_tbDpT10_ENKUlT_T0_E_clISt17integral_constantIbLb1EES1A_EEDaS15_S16_EUlS15_E_NS1_11comp_targetILNS1_3genE4ELNS1_11target_archE910ELNS1_3gpuE8ELNS1_3repE0EEENS1_30default_config_static_selectorELNS0_4arch9wavefront6targetE1EEEvT1_.numbered_sgpr, 0
	.set _ZN7rocprim17ROCPRIM_400000_NS6detail17trampoline_kernelINS0_14default_configENS1_25partition_config_selectorILNS1_17partition_subalgoE9EllbEEZZNS1_14partition_implILS5_9ELb0ES3_jPlS8_PNS0_10empty_typeENS0_5tupleIJS8_S9_EEENSB_IJS8_SA_EEENS0_18inequality_wrapperIZN2at6native12_GLOBAL__N_124unique_dim_cuda_templateIfEESt5tupleIJNSF_6TensorESK_SK_EERKSK_lbbbEUlllE0_EEPmJS9_EEE10hipError_tPvRmT3_T4_T5_T6_T7_T9_mT8_P12ihipStream_tbDpT10_ENKUlT_T0_E_clISt17integral_constantIbLb1EES1A_EEDaS15_S16_EUlS15_E_NS1_11comp_targetILNS1_3genE4ELNS1_11target_archE910ELNS1_3gpuE8ELNS1_3repE0EEENS1_30default_config_static_selectorELNS0_4arch9wavefront6targetE1EEEvT1_.num_named_barrier, 0
	.set _ZN7rocprim17ROCPRIM_400000_NS6detail17trampoline_kernelINS0_14default_configENS1_25partition_config_selectorILNS1_17partition_subalgoE9EllbEEZZNS1_14partition_implILS5_9ELb0ES3_jPlS8_PNS0_10empty_typeENS0_5tupleIJS8_S9_EEENSB_IJS8_SA_EEENS0_18inequality_wrapperIZN2at6native12_GLOBAL__N_124unique_dim_cuda_templateIfEESt5tupleIJNSF_6TensorESK_SK_EERKSK_lbbbEUlllE0_EEPmJS9_EEE10hipError_tPvRmT3_T4_T5_T6_T7_T9_mT8_P12ihipStream_tbDpT10_ENKUlT_T0_E_clISt17integral_constantIbLb1EES1A_EEDaS15_S16_EUlS15_E_NS1_11comp_targetILNS1_3genE4ELNS1_11target_archE910ELNS1_3gpuE8ELNS1_3repE0EEENS1_30default_config_static_selectorELNS0_4arch9wavefront6targetE1EEEvT1_.private_seg_size, 0
	.set _ZN7rocprim17ROCPRIM_400000_NS6detail17trampoline_kernelINS0_14default_configENS1_25partition_config_selectorILNS1_17partition_subalgoE9EllbEEZZNS1_14partition_implILS5_9ELb0ES3_jPlS8_PNS0_10empty_typeENS0_5tupleIJS8_S9_EEENSB_IJS8_SA_EEENS0_18inequality_wrapperIZN2at6native12_GLOBAL__N_124unique_dim_cuda_templateIfEESt5tupleIJNSF_6TensorESK_SK_EERKSK_lbbbEUlllE0_EEPmJS9_EEE10hipError_tPvRmT3_T4_T5_T6_T7_T9_mT8_P12ihipStream_tbDpT10_ENKUlT_T0_E_clISt17integral_constantIbLb1EES1A_EEDaS15_S16_EUlS15_E_NS1_11comp_targetILNS1_3genE4ELNS1_11target_archE910ELNS1_3gpuE8ELNS1_3repE0EEENS1_30default_config_static_selectorELNS0_4arch9wavefront6targetE1EEEvT1_.uses_vcc, 0
	.set _ZN7rocprim17ROCPRIM_400000_NS6detail17trampoline_kernelINS0_14default_configENS1_25partition_config_selectorILNS1_17partition_subalgoE9EllbEEZZNS1_14partition_implILS5_9ELb0ES3_jPlS8_PNS0_10empty_typeENS0_5tupleIJS8_S9_EEENSB_IJS8_SA_EEENS0_18inequality_wrapperIZN2at6native12_GLOBAL__N_124unique_dim_cuda_templateIfEESt5tupleIJNSF_6TensorESK_SK_EERKSK_lbbbEUlllE0_EEPmJS9_EEE10hipError_tPvRmT3_T4_T5_T6_T7_T9_mT8_P12ihipStream_tbDpT10_ENKUlT_T0_E_clISt17integral_constantIbLb1EES1A_EEDaS15_S16_EUlS15_E_NS1_11comp_targetILNS1_3genE4ELNS1_11target_archE910ELNS1_3gpuE8ELNS1_3repE0EEENS1_30default_config_static_selectorELNS0_4arch9wavefront6targetE1EEEvT1_.uses_flat_scratch, 0
	.set _ZN7rocprim17ROCPRIM_400000_NS6detail17trampoline_kernelINS0_14default_configENS1_25partition_config_selectorILNS1_17partition_subalgoE9EllbEEZZNS1_14partition_implILS5_9ELb0ES3_jPlS8_PNS0_10empty_typeENS0_5tupleIJS8_S9_EEENSB_IJS8_SA_EEENS0_18inequality_wrapperIZN2at6native12_GLOBAL__N_124unique_dim_cuda_templateIfEESt5tupleIJNSF_6TensorESK_SK_EERKSK_lbbbEUlllE0_EEPmJS9_EEE10hipError_tPvRmT3_T4_T5_T6_T7_T9_mT8_P12ihipStream_tbDpT10_ENKUlT_T0_E_clISt17integral_constantIbLb1EES1A_EEDaS15_S16_EUlS15_E_NS1_11comp_targetILNS1_3genE4ELNS1_11target_archE910ELNS1_3gpuE8ELNS1_3repE0EEENS1_30default_config_static_selectorELNS0_4arch9wavefront6targetE1EEEvT1_.has_dyn_sized_stack, 0
	.set _ZN7rocprim17ROCPRIM_400000_NS6detail17trampoline_kernelINS0_14default_configENS1_25partition_config_selectorILNS1_17partition_subalgoE9EllbEEZZNS1_14partition_implILS5_9ELb0ES3_jPlS8_PNS0_10empty_typeENS0_5tupleIJS8_S9_EEENSB_IJS8_SA_EEENS0_18inequality_wrapperIZN2at6native12_GLOBAL__N_124unique_dim_cuda_templateIfEESt5tupleIJNSF_6TensorESK_SK_EERKSK_lbbbEUlllE0_EEPmJS9_EEE10hipError_tPvRmT3_T4_T5_T6_T7_T9_mT8_P12ihipStream_tbDpT10_ENKUlT_T0_E_clISt17integral_constantIbLb1EES1A_EEDaS15_S16_EUlS15_E_NS1_11comp_targetILNS1_3genE4ELNS1_11target_archE910ELNS1_3gpuE8ELNS1_3repE0EEENS1_30default_config_static_selectorELNS0_4arch9wavefront6targetE1EEEvT1_.has_recursion, 0
	.set _ZN7rocprim17ROCPRIM_400000_NS6detail17trampoline_kernelINS0_14default_configENS1_25partition_config_selectorILNS1_17partition_subalgoE9EllbEEZZNS1_14partition_implILS5_9ELb0ES3_jPlS8_PNS0_10empty_typeENS0_5tupleIJS8_S9_EEENSB_IJS8_SA_EEENS0_18inequality_wrapperIZN2at6native12_GLOBAL__N_124unique_dim_cuda_templateIfEESt5tupleIJNSF_6TensorESK_SK_EERKSK_lbbbEUlllE0_EEPmJS9_EEE10hipError_tPvRmT3_T4_T5_T6_T7_T9_mT8_P12ihipStream_tbDpT10_ENKUlT_T0_E_clISt17integral_constantIbLb1EES1A_EEDaS15_S16_EUlS15_E_NS1_11comp_targetILNS1_3genE4ELNS1_11target_archE910ELNS1_3gpuE8ELNS1_3repE0EEENS1_30default_config_static_selectorELNS0_4arch9wavefront6targetE1EEEvT1_.has_indirect_call, 0
	.section	.AMDGPU.csdata,"",@progbits
; Kernel info:
; codeLenInByte = 0
; TotalNumSgprs: 6
; NumVgprs: 0
; NumAgprs: 0
; TotalNumVgprs: 0
; ScratchSize: 0
; MemoryBound: 0
; FloatMode: 240
; IeeeMode: 1
; LDSByteSize: 0 bytes/workgroup (compile time only)
; SGPRBlocks: 0
; VGPRBlocks: 0
; NumSGPRsForWavesPerEU: 6
; NumVGPRsForWavesPerEU: 1
; AccumOffset: 4
; Occupancy: 8
; WaveLimiterHint : 0
; COMPUTE_PGM_RSRC2:SCRATCH_EN: 0
; COMPUTE_PGM_RSRC2:USER_SGPR: 2
; COMPUTE_PGM_RSRC2:TRAP_HANDLER: 0
; COMPUTE_PGM_RSRC2:TGID_X_EN: 1
; COMPUTE_PGM_RSRC2:TGID_Y_EN: 0
; COMPUTE_PGM_RSRC2:TGID_Z_EN: 0
; COMPUTE_PGM_RSRC2:TIDIG_COMP_CNT: 0
; COMPUTE_PGM_RSRC3_GFX90A:ACCUM_OFFSET: 0
; COMPUTE_PGM_RSRC3_GFX90A:TG_SPLIT: 0
	.section	.text._ZN7rocprim17ROCPRIM_400000_NS6detail17trampoline_kernelINS0_14default_configENS1_25partition_config_selectorILNS1_17partition_subalgoE9EllbEEZZNS1_14partition_implILS5_9ELb0ES3_jPlS8_PNS0_10empty_typeENS0_5tupleIJS8_S9_EEENSB_IJS8_SA_EEENS0_18inequality_wrapperIZN2at6native12_GLOBAL__N_124unique_dim_cuda_templateIfEESt5tupleIJNSF_6TensorESK_SK_EERKSK_lbbbEUlllE0_EEPmJS9_EEE10hipError_tPvRmT3_T4_T5_T6_T7_T9_mT8_P12ihipStream_tbDpT10_ENKUlT_T0_E_clISt17integral_constantIbLb1EES1A_EEDaS15_S16_EUlS15_E_NS1_11comp_targetILNS1_3genE3ELNS1_11target_archE908ELNS1_3gpuE7ELNS1_3repE0EEENS1_30default_config_static_selectorELNS0_4arch9wavefront6targetE1EEEvT1_,"axG",@progbits,_ZN7rocprim17ROCPRIM_400000_NS6detail17trampoline_kernelINS0_14default_configENS1_25partition_config_selectorILNS1_17partition_subalgoE9EllbEEZZNS1_14partition_implILS5_9ELb0ES3_jPlS8_PNS0_10empty_typeENS0_5tupleIJS8_S9_EEENSB_IJS8_SA_EEENS0_18inequality_wrapperIZN2at6native12_GLOBAL__N_124unique_dim_cuda_templateIfEESt5tupleIJNSF_6TensorESK_SK_EERKSK_lbbbEUlllE0_EEPmJS9_EEE10hipError_tPvRmT3_T4_T5_T6_T7_T9_mT8_P12ihipStream_tbDpT10_ENKUlT_T0_E_clISt17integral_constantIbLb1EES1A_EEDaS15_S16_EUlS15_E_NS1_11comp_targetILNS1_3genE3ELNS1_11target_archE908ELNS1_3gpuE7ELNS1_3repE0EEENS1_30default_config_static_selectorELNS0_4arch9wavefront6targetE1EEEvT1_,comdat
	.globl	_ZN7rocprim17ROCPRIM_400000_NS6detail17trampoline_kernelINS0_14default_configENS1_25partition_config_selectorILNS1_17partition_subalgoE9EllbEEZZNS1_14partition_implILS5_9ELb0ES3_jPlS8_PNS0_10empty_typeENS0_5tupleIJS8_S9_EEENSB_IJS8_SA_EEENS0_18inequality_wrapperIZN2at6native12_GLOBAL__N_124unique_dim_cuda_templateIfEESt5tupleIJNSF_6TensorESK_SK_EERKSK_lbbbEUlllE0_EEPmJS9_EEE10hipError_tPvRmT3_T4_T5_T6_T7_T9_mT8_P12ihipStream_tbDpT10_ENKUlT_T0_E_clISt17integral_constantIbLb1EES1A_EEDaS15_S16_EUlS15_E_NS1_11comp_targetILNS1_3genE3ELNS1_11target_archE908ELNS1_3gpuE7ELNS1_3repE0EEENS1_30default_config_static_selectorELNS0_4arch9wavefront6targetE1EEEvT1_ ; -- Begin function _ZN7rocprim17ROCPRIM_400000_NS6detail17trampoline_kernelINS0_14default_configENS1_25partition_config_selectorILNS1_17partition_subalgoE9EllbEEZZNS1_14partition_implILS5_9ELb0ES3_jPlS8_PNS0_10empty_typeENS0_5tupleIJS8_S9_EEENSB_IJS8_SA_EEENS0_18inequality_wrapperIZN2at6native12_GLOBAL__N_124unique_dim_cuda_templateIfEESt5tupleIJNSF_6TensorESK_SK_EERKSK_lbbbEUlllE0_EEPmJS9_EEE10hipError_tPvRmT3_T4_T5_T6_T7_T9_mT8_P12ihipStream_tbDpT10_ENKUlT_T0_E_clISt17integral_constantIbLb1EES1A_EEDaS15_S16_EUlS15_E_NS1_11comp_targetILNS1_3genE3ELNS1_11target_archE908ELNS1_3gpuE7ELNS1_3repE0EEENS1_30default_config_static_selectorELNS0_4arch9wavefront6targetE1EEEvT1_
	.p2align	8
	.type	_ZN7rocprim17ROCPRIM_400000_NS6detail17trampoline_kernelINS0_14default_configENS1_25partition_config_selectorILNS1_17partition_subalgoE9EllbEEZZNS1_14partition_implILS5_9ELb0ES3_jPlS8_PNS0_10empty_typeENS0_5tupleIJS8_S9_EEENSB_IJS8_SA_EEENS0_18inequality_wrapperIZN2at6native12_GLOBAL__N_124unique_dim_cuda_templateIfEESt5tupleIJNSF_6TensorESK_SK_EERKSK_lbbbEUlllE0_EEPmJS9_EEE10hipError_tPvRmT3_T4_T5_T6_T7_T9_mT8_P12ihipStream_tbDpT10_ENKUlT_T0_E_clISt17integral_constantIbLb1EES1A_EEDaS15_S16_EUlS15_E_NS1_11comp_targetILNS1_3genE3ELNS1_11target_archE908ELNS1_3gpuE7ELNS1_3repE0EEENS1_30default_config_static_selectorELNS0_4arch9wavefront6targetE1EEEvT1_,@function
_ZN7rocprim17ROCPRIM_400000_NS6detail17trampoline_kernelINS0_14default_configENS1_25partition_config_selectorILNS1_17partition_subalgoE9EllbEEZZNS1_14partition_implILS5_9ELb0ES3_jPlS8_PNS0_10empty_typeENS0_5tupleIJS8_S9_EEENSB_IJS8_SA_EEENS0_18inequality_wrapperIZN2at6native12_GLOBAL__N_124unique_dim_cuda_templateIfEESt5tupleIJNSF_6TensorESK_SK_EERKSK_lbbbEUlllE0_EEPmJS9_EEE10hipError_tPvRmT3_T4_T5_T6_T7_T9_mT8_P12ihipStream_tbDpT10_ENKUlT_T0_E_clISt17integral_constantIbLb1EES1A_EEDaS15_S16_EUlS15_E_NS1_11comp_targetILNS1_3genE3ELNS1_11target_archE908ELNS1_3gpuE7ELNS1_3repE0EEENS1_30default_config_static_selectorELNS0_4arch9wavefront6targetE1EEEvT1_: ; @_ZN7rocprim17ROCPRIM_400000_NS6detail17trampoline_kernelINS0_14default_configENS1_25partition_config_selectorILNS1_17partition_subalgoE9EllbEEZZNS1_14partition_implILS5_9ELb0ES3_jPlS8_PNS0_10empty_typeENS0_5tupleIJS8_S9_EEENSB_IJS8_SA_EEENS0_18inequality_wrapperIZN2at6native12_GLOBAL__N_124unique_dim_cuda_templateIfEESt5tupleIJNSF_6TensorESK_SK_EERKSK_lbbbEUlllE0_EEPmJS9_EEE10hipError_tPvRmT3_T4_T5_T6_T7_T9_mT8_P12ihipStream_tbDpT10_ENKUlT_T0_E_clISt17integral_constantIbLb1EES1A_EEDaS15_S16_EUlS15_E_NS1_11comp_targetILNS1_3genE3ELNS1_11target_archE908ELNS1_3gpuE7ELNS1_3repE0EEENS1_30default_config_static_selectorELNS0_4arch9wavefront6targetE1EEEvT1_
; %bb.0:
	.section	.rodata,"a",@progbits
	.p2align	6, 0x0
	.amdhsa_kernel _ZN7rocprim17ROCPRIM_400000_NS6detail17trampoline_kernelINS0_14default_configENS1_25partition_config_selectorILNS1_17partition_subalgoE9EllbEEZZNS1_14partition_implILS5_9ELb0ES3_jPlS8_PNS0_10empty_typeENS0_5tupleIJS8_S9_EEENSB_IJS8_SA_EEENS0_18inequality_wrapperIZN2at6native12_GLOBAL__N_124unique_dim_cuda_templateIfEESt5tupleIJNSF_6TensorESK_SK_EERKSK_lbbbEUlllE0_EEPmJS9_EEE10hipError_tPvRmT3_T4_T5_T6_T7_T9_mT8_P12ihipStream_tbDpT10_ENKUlT_T0_E_clISt17integral_constantIbLb1EES1A_EEDaS15_S16_EUlS15_E_NS1_11comp_targetILNS1_3genE3ELNS1_11target_archE908ELNS1_3gpuE7ELNS1_3repE0EEENS1_30default_config_static_selectorELNS0_4arch9wavefront6targetE1EEEvT1_
		.amdhsa_group_segment_fixed_size 0
		.amdhsa_private_segment_fixed_size 0
		.amdhsa_kernarg_size 136
		.amdhsa_user_sgpr_count 2
		.amdhsa_user_sgpr_dispatch_ptr 0
		.amdhsa_user_sgpr_queue_ptr 0
		.amdhsa_user_sgpr_kernarg_segment_ptr 1
		.amdhsa_user_sgpr_dispatch_id 0
		.amdhsa_user_sgpr_kernarg_preload_length 0
		.amdhsa_user_sgpr_kernarg_preload_offset 0
		.amdhsa_user_sgpr_private_segment_size 0
		.amdhsa_uses_dynamic_stack 0
		.amdhsa_enable_private_segment 0
		.amdhsa_system_sgpr_workgroup_id_x 1
		.amdhsa_system_sgpr_workgroup_id_y 0
		.amdhsa_system_sgpr_workgroup_id_z 0
		.amdhsa_system_sgpr_workgroup_info 0
		.amdhsa_system_vgpr_workitem_id 0
		.amdhsa_next_free_vgpr 1
		.amdhsa_next_free_sgpr 0
		.amdhsa_accum_offset 4
		.amdhsa_reserve_vcc 0
		.amdhsa_float_round_mode_32 0
		.amdhsa_float_round_mode_16_64 0
		.amdhsa_float_denorm_mode_32 3
		.amdhsa_float_denorm_mode_16_64 3
		.amdhsa_dx10_clamp 1
		.amdhsa_ieee_mode 1
		.amdhsa_fp16_overflow 0
		.amdhsa_tg_split 0
		.amdhsa_exception_fp_ieee_invalid_op 0
		.amdhsa_exception_fp_denorm_src 0
		.amdhsa_exception_fp_ieee_div_zero 0
		.amdhsa_exception_fp_ieee_overflow 0
		.amdhsa_exception_fp_ieee_underflow 0
		.amdhsa_exception_fp_ieee_inexact 0
		.amdhsa_exception_int_div_zero 0
	.end_amdhsa_kernel
	.section	.text._ZN7rocprim17ROCPRIM_400000_NS6detail17trampoline_kernelINS0_14default_configENS1_25partition_config_selectorILNS1_17partition_subalgoE9EllbEEZZNS1_14partition_implILS5_9ELb0ES3_jPlS8_PNS0_10empty_typeENS0_5tupleIJS8_S9_EEENSB_IJS8_SA_EEENS0_18inequality_wrapperIZN2at6native12_GLOBAL__N_124unique_dim_cuda_templateIfEESt5tupleIJNSF_6TensorESK_SK_EERKSK_lbbbEUlllE0_EEPmJS9_EEE10hipError_tPvRmT3_T4_T5_T6_T7_T9_mT8_P12ihipStream_tbDpT10_ENKUlT_T0_E_clISt17integral_constantIbLb1EES1A_EEDaS15_S16_EUlS15_E_NS1_11comp_targetILNS1_3genE3ELNS1_11target_archE908ELNS1_3gpuE7ELNS1_3repE0EEENS1_30default_config_static_selectorELNS0_4arch9wavefront6targetE1EEEvT1_,"axG",@progbits,_ZN7rocprim17ROCPRIM_400000_NS6detail17trampoline_kernelINS0_14default_configENS1_25partition_config_selectorILNS1_17partition_subalgoE9EllbEEZZNS1_14partition_implILS5_9ELb0ES3_jPlS8_PNS0_10empty_typeENS0_5tupleIJS8_S9_EEENSB_IJS8_SA_EEENS0_18inequality_wrapperIZN2at6native12_GLOBAL__N_124unique_dim_cuda_templateIfEESt5tupleIJNSF_6TensorESK_SK_EERKSK_lbbbEUlllE0_EEPmJS9_EEE10hipError_tPvRmT3_T4_T5_T6_T7_T9_mT8_P12ihipStream_tbDpT10_ENKUlT_T0_E_clISt17integral_constantIbLb1EES1A_EEDaS15_S16_EUlS15_E_NS1_11comp_targetILNS1_3genE3ELNS1_11target_archE908ELNS1_3gpuE7ELNS1_3repE0EEENS1_30default_config_static_selectorELNS0_4arch9wavefront6targetE1EEEvT1_,comdat
.Lfunc_end972:
	.size	_ZN7rocprim17ROCPRIM_400000_NS6detail17trampoline_kernelINS0_14default_configENS1_25partition_config_selectorILNS1_17partition_subalgoE9EllbEEZZNS1_14partition_implILS5_9ELb0ES3_jPlS8_PNS0_10empty_typeENS0_5tupleIJS8_S9_EEENSB_IJS8_SA_EEENS0_18inequality_wrapperIZN2at6native12_GLOBAL__N_124unique_dim_cuda_templateIfEESt5tupleIJNSF_6TensorESK_SK_EERKSK_lbbbEUlllE0_EEPmJS9_EEE10hipError_tPvRmT3_T4_T5_T6_T7_T9_mT8_P12ihipStream_tbDpT10_ENKUlT_T0_E_clISt17integral_constantIbLb1EES1A_EEDaS15_S16_EUlS15_E_NS1_11comp_targetILNS1_3genE3ELNS1_11target_archE908ELNS1_3gpuE7ELNS1_3repE0EEENS1_30default_config_static_selectorELNS0_4arch9wavefront6targetE1EEEvT1_, .Lfunc_end972-_ZN7rocprim17ROCPRIM_400000_NS6detail17trampoline_kernelINS0_14default_configENS1_25partition_config_selectorILNS1_17partition_subalgoE9EllbEEZZNS1_14partition_implILS5_9ELb0ES3_jPlS8_PNS0_10empty_typeENS0_5tupleIJS8_S9_EEENSB_IJS8_SA_EEENS0_18inequality_wrapperIZN2at6native12_GLOBAL__N_124unique_dim_cuda_templateIfEESt5tupleIJNSF_6TensorESK_SK_EERKSK_lbbbEUlllE0_EEPmJS9_EEE10hipError_tPvRmT3_T4_T5_T6_T7_T9_mT8_P12ihipStream_tbDpT10_ENKUlT_T0_E_clISt17integral_constantIbLb1EES1A_EEDaS15_S16_EUlS15_E_NS1_11comp_targetILNS1_3genE3ELNS1_11target_archE908ELNS1_3gpuE7ELNS1_3repE0EEENS1_30default_config_static_selectorELNS0_4arch9wavefront6targetE1EEEvT1_
                                        ; -- End function
	.set _ZN7rocprim17ROCPRIM_400000_NS6detail17trampoline_kernelINS0_14default_configENS1_25partition_config_selectorILNS1_17partition_subalgoE9EllbEEZZNS1_14partition_implILS5_9ELb0ES3_jPlS8_PNS0_10empty_typeENS0_5tupleIJS8_S9_EEENSB_IJS8_SA_EEENS0_18inequality_wrapperIZN2at6native12_GLOBAL__N_124unique_dim_cuda_templateIfEESt5tupleIJNSF_6TensorESK_SK_EERKSK_lbbbEUlllE0_EEPmJS9_EEE10hipError_tPvRmT3_T4_T5_T6_T7_T9_mT8_P12ihipStream_tbDpT10_ENKUlT_T0_E_clISt17integral_constantIbLb1EES1A_EEDaS15_S16_EUlS15_E_NS1_11comp_targetILNS1_3genE3ELNS1_11target_archE908ELNS1_3gpuE7ELNS1_3repE0EEENS1_30default_config_static_selectorELNS0_4arch9wavefront6targetE1EEEvT1_.num_vgpr, 0
	.set _ZN7rocprim17ROCPRIM_400000_NS6detail17trampoline_kernelINS0_14default_configENS1_25partition_config_selectorILNS1_17partition_subalgoE9EllbEEZZNS1_14partition_implILS5_9ELb0ES3_jPlS8_PNS0_10empty_typeENS0_5tupleIJS8_S9_EEENSB_IJS8_SA_EEENS0_18inequality_wrapperIZN2at6native12_GLOBAL__N_124unique_dim_cuda_templateIfEESt5tupleIJNSF_6TensorESK_SK_EERKSK_lbbbEUlllE0_EEPmJS9_EEE10hipError_tPvRmT3_T4_T5_T6_T7_T9_mT8_P12ihipStream_tbDpT10_ENKUlT_T0_E_clISt17integral_constantIbLb1EES1A_EEDaS15_S16_EUlS15_E_NS1_11comp_targetILNS1_3genE3ELNS1_11target_archE908ELNS1_3gpuE7ELNS1_3repE0EEENS1_30default_config_static_selectorELNS0_4arch9wavefront6targetE1EEEvT1_.num_agpr, 0
	.set _ZN7rocprim17ROCPRIM_400000_NS6detail17trampoline_kernelINS0_14default_configENS1_25partition_config_selectorILNS1_17partition_subalgoE9EllbEEZZNS1_14partition_implILS5_9ELb0ES3_jPlS8_PNS0_10empty_typeENS0_5tupleIJS8_S9_EEENSB_IJS8_SA_EEENS0_18inequality_wrapperIZN2at6native12_GLOBAL__N_124unique_dim_cuda_templateIfEESt5tupleIJNSF_6TensorESK_SK_EERKSK_lbbbEUlllE0_EEPmJS9_EEE10hipError_tPvRmT3_T4_T5_T6_T7_T9_mT8_P12ihipStream_tbDpT10_ENKUlT_T0_E_clISt17integral_constantIbLb1EES1A_EEDaS15_S16_EUlS15_E_NS1_11comp_targetILNS1_3genE3ELNS1_11target_archE908ELNS1_3gpuE7ELNS1_3repE0EEENS1_30default_config_static_selectorELNS0_4arch9wavefront6targetE1EEEvT1_.numbered_sgpr, 0
	.set _ZN7rocprim17ROCPRIM_400000_NS6detail17trampoline_kernelINS0_14default_configENS1_25partition_config_selectorILNS1_17partition_subalgoE9EllbEEZZNS1_14partition_implILS5_9ELb0ES3_jPlS8_PNS0_10empty_typeENS0_5tupleIJS8_S9_EEENSB_IJS8_SA_EEENS0_18inequality_wrapperIZN2at6native12_GLOBAL__N_124unique_dim_cuda_templateIfEESt5tupleIJNSF_6TensorESK_SK_EERKSK_lbbbEUlllE0_EEPmJS9_EEE10hipError_tPvRmT3_T4_T5_T6_T7_T9_mT8_P12ihipStream_tbDpT10_ENKUlT_T0_E_clISt17integral_constantIbLb1EES1A_EEDaS15_S16_EUlS15_E_NS1_11comp_targetILNS1_3genE3ELNS1_11target_archE908ELNS1_3gpuE7ELNS1_3repE0EEENS1_30default_config_static_selectorELNS0_4arch9wavefront6targetE1EEEvT1_.num_named_barrier, 0
	.set _ZN7rocprim17ROCPRIM_400000_NS6detail17trampoline_kernelINS0_14default_configENS1_25partition_config_selectorILNS1_17partition_subalgoE9EllbEEZZNS1_14partition_implILS5_9ELb0ES3_jPlS8_PNS0_10empty_typeENS0_5tupleIJS8_S9_EEENSB_IJS8_SA_EEENS0_18inequality_wrapperIZN2at6native12_GLOBAL__N_124unique_dim_cuda_templateIfEESt5tupleIJNSF_6TensorESK_SK_EERKSK_lbbbEUlllE0_EEPmJS9_EEE10hipError_tPvRmT3_T4_T5_T6_T7_T9_mT8_P12ihipStream_tbDpT10_ENKUlT_T0_E_clISt17integral_constantIbLb1EES1A_EEDaS15_S16_EUlS15_E_NS1_11comp_targetILNS1_3genE3ELNS1_11target_archE908ELNS1_3gpuE7ELNS1_3repE0EEENS1_30default_config_static_selectorELNS0_4arch9wavefront6targetE1EEEvT1_.private_seg_size, 0
	.set _ZN7rocprim17ROCPRIM_400000_NS6detail17trampoline_kernelINS0_14default_configENS1_25partition_config_selectorILNS1_17partition_subalgoE9EllbEEZZNS1_14partition_implILS5_9ELb0ES3_jPlS8_PNS0_10empty_typeENS0_5tupleIJS8_S9_EEENSB_IJS8_SA_EEENS0_18inequality_wrapperIZN2at6native12_GLOBAL__N_124unique_dim_cuda_templateIfEESt5tupleIJNSF_6TensorESK_SK_EERKSK_lbbbEUlllE0_EEPmJS9_EEE10hipError_tPvRmT3_T4_T5_T6_T7_T9_mT8_P12ihipStream_tbDpT10_ENKUlT_T0_E_clISt17integral_constantIbLb1EES1A_EEDaS15_S16_EUlS15_E_NS1_11comp_targetILNS1_3genE3ELNS1_11target_archE908ELNS1_3gpuE7ELNS1_3repE0EEENS1_30default_config_static_selectorELNS0_4arch9wavefront6targetE1EEEvT1_.uses_vcc, 0
	.set _ZN7rocprim17ROCPRIM_400000_NS6detail17trampoline_kernelINS0_14default_configENS1_25partition_config_selectorILNS1_17partition_subalgoE9EllbEEZZNS1_14partition_implILS5_9ELb0ES3_jPlS8_PNS0_10empty_typeENS0_5tupleIJS8_S9_EEENSB_IJS8_SA_EEENS0_18inequality_wrapperIZN2at6native12_GLOBAL__N_124unique_dim_cuda_templateIfEESt5tupleIJNSF_6TensorESK_SK_EERKSK_lbbbEUlllE0_EEPmJS9_EEE10hipError_tPvRmT3_T4_T5_T6_T7_T9_mT8_P12ihipStream_tbDpT10_ENKUlT_T0_E_clISt17integral_constantIbLb1EES1A_EEDaS15_S16_EUlS15_E_NS1_11comp_targetILNS1_3genE3ELNS1_11target_archE908ELNS1_3gpuE7ELNS1_3repE0EEENS1_30default_config_static_selectorELNS0_4arch9wavefront6targetE1EEEvT1_.uses_flat_scratch, 0
	.set _ZN7rocprim17ROCPRIM_400000_NS6detail17trampoline_kernelINS0_14default_configENS1_25partition_config_selectorILNS1_17partition_subalgoE9EllbEEZZNS1_14partition_implILS5_9ELb0ES3_jPlS8_PNS0_10empty_typeENS0_5tupleIJS8_S9_EEENSB_IJS8_SA_EEENS0_18inequality_wrapperIZN2at6native12_GLOBAL__N_124unique_dim_cuda_templateIfEESt5tupleIJNSF_6TensorESK_SK_EERKSK_lbbbEUlllE0_EEPmJS9_EEE10hipError_tPvRmT3_T4_T5_T6_T7_T9_mT8_P12ihipStream_tbDpT10_ENKUlT_T0_E_clISt17integral_constantIbLb1EES1A_EEDaS15_S16_EUlS15_E_NS1_11comp_targetILNS1_3genE3ELNS1_11target_archE908ELNS1_3gpuE7ELNS1_3repE0EEENS1_30default_config_static_selectorELNS0_4arch9wavefront6targetE1EEEvT1_.has_dyn_sized_stack, 0
	.set _ZN7rocprim17ROCPRIM_400000_NS6detail17trampoline_kernelINS0_14default_configENS1_25partition_config_selectorILNS1_17partition_subalgoE9EllbEEZZNS1_14partition_implILS5_9ELb0ES3_jPlS8_PNS0_10empty_typeENS0_5tupleIJS8_S9_EEENSB_IJS8_SA_EEENS0_18inequality_wrapperIZN2at6native12_GLOBAL__N_124unique_dim_cuda_templateIfEESt5tupleIJNSF_6TensorESK_SK_EERKSK_lbbbEUlllE0_EEPmJS9_EEE10hipError_tPvRmT3_T4_T5_T6_T7_T9_mT8_P12ihipStream_tbDpT10_ENKUlT_T0_E_clISt17integral_constantIbLb1EES1A_EEDaS15_S16_EUlS15_E_NS1_11comp_targetILNS1_3genE3ELNS1_11target_archE908ELNS1_3gpuE7ELNS1_3repE0EEENS1_30default_config_static_selectorELNS0_4arch9wavefront6targetE1EEEvT1_.has_recursion, 0
	.set _ZN7rocprim17ROCPRIM_400000_NS6detail17trampoline_kernelINS0_14default_configENS1_25partition_config_selectorILNS1_17partition_subalgoE9EllbEEZZNS1_14partition_implILS5_9ELb0ES3_jPlS8_PNS0_10empty_typeENS0_5tupleIJS8_S9_EEENSB_IJS8_SA_EEENS0_18inequality_wrapperIZN2at6native12_GLOBAL__N_124unique_dim_cuda_templateIfEESt5tupleIJNSF_6TensorESK_SK_EERKSK_lbbbEUlllE0_EEPmJS9_EEE10hipError_tPvRmT3_T4_T5_T6_T7_T9_mT8_P12ihipStream_tbDpT10_ENKUlT_T0_E_clISt17integral_constantIbLb1EES1A_EEDaS15_S16_EUlS15_E_NS1_11comp_targetILNS1_3genE3ELNS1_11target_archE908ELNS1_3gpuE7ELNS1_3repE0EEENS1_30default_config_static_selectorELNS0_4arch9wavefront6targetE1EEEvT1_.has_indirect_call, 0
	.section	.AMDGPU.csdata,"",@progbits
; Kernel info:
; codeLenInByte = 0
; TotalNumSgprs: 6
; NumVgprs: 0
; NumAgprs: 0
; TotalNumVgprs: 0
; ScratchSize: 0
; MemoryBound: 0
; FloatMode: 240
; IeeeMode: 1
; LDSByteSize: 0 bytes/workgroup (compile time only)
; SGPRBlocks: 0
; VGPRBlocks: 0
; NumSGPRsForWavesPerEU: 6
; NumVGPRsForWavesPerEU: 1
; AccumOffset: 4
; Occupancy: 8
; WaveLimiterHint : 0
; COMPUTE_PGM_RSRC2:SCRATCH_EN: 0
; COMPUTE_PGM_RSRC2:USER_SGPR: 2
; COMPUTE_PGM_RSRC2:TRAP_HANDLER: 0
; COMPUTE_PGM_RSRC2:TGID_X_EN: 1
; COMPUTE_PGM_RSRC2:TGID_Y_EN: 0
; COMPUTE_PGM_RSRC2:TGID_Z_EN: 0
; COMPUTE_PGM_RSRC2:TIDIG_COMP_CNT: 0
; COMPUTE_PGM_RSRC3_GFX90A:ACCUM_OFFSET: 0
; COMPUTE_PGM_RSRC3_GFX90A:TG_SPLIT: 0
	.section	.text._ZN7rocprim17ROCPRIM_400000_NS6detail17trampoline_kernelINS0_14default_configENS1_25partition_config_selectorILNS1_17partition_subalgoE9EllbEEZZNS1_14partition_implILS5_9ELb0ES3_jPlS8_PNS0_10empty_typeENS0_5tupleIJS8_S9_EEENSB_IJS8_SA_EEENS0_18inequality_wrapperIZN2at6native12_GLOBAL__N_124unique_dim_cuda_templateIfEESt5tupleIJNSF_6TensorESK_SK_EERKSK_lbbbEUlllE0_EEPmJS9_EEE10hipError_tPvRmT3_T4_T5_T6_T7_T9_mT8_P12ihipStream_tbDpT10_ENKUlT_T0_E_clISt17integral_constantIbLb1EES1A_EEDaS15_S16_EUlS15_E_NS1_11comp_targetILNS1_3genE2ELNS1_11target_archE906ELNS1_3gpuE6ELNS1_3repE0EEENS1_30default_config_static_selectorELNS0_4arch9wavefront6targetE1EEEvT1_,"axG",@progbits,_ZN7rocprim17ROCPRIM_400000_NS6detail17trampoline_kernelINS0_14default_configENS1_25partition_config_selectorILNS1_17partition_subalgoE9EllbEEZZNS1_14partition_implILS5_9ELb0ES3_jPlS8_PNS0_10empty_typeENS0_5tupleIJS8_S9_EEENSB_IJS8_SA_EEENS0_18inequality_wrapperIZN2at6native12_GLOBAL__N_124unique_dim_cuda_templateIfEESt5tupleIJNSF_6TensorESK_SK_EERKSK_lbbbEUlllE0_EEPmJS9_EEE10hipError_tPvRmT3_T4_T5_T6_T7_T9_mT8_P12ihipStream_tbDpT10_ENKUlT_T0_E_clISt17integral_constantIbLb1EES1A_EEDaS15_S16_EUlS15_E_NS1_11comp_targetILNS1_3genE2ELNS1_11target_archE906ELNS1_3gpuE6ELNS1_3repE0EEENS1_30default_config_static_selectorELNS0_4arch9wavefront6targetE1EEEvT1_,comdat
	.globl	_ZN7rocprim17ROCPRIM_400000_NS6detail17trampoline_kernelINS0_14default_configENS1_25partition_config_selectorILNS1_17partition_subalgoE9EllbEEZZNS1_14partition_implILS5_9ELb0ES3_jPlS8_PNS0_10empty_typeENS0_5tupleIJS8_S9_EEENSB_IJS8_SA_EEENS0_18inequality_wrapperIZN2at6native12_GLOBAL__N_124unique_dim_cuda_templateIfEESt5tupleIJNSF_6TensorESK_SK_EERKSK_lbbbEUlllE0_EEPmJS9_EEE10hipError_tPvRmT3_T4_T5_T6_T7_T9_mT8_P12ihipStream_tbDpT10_ENKUlT_T0_E_clISt17integral_constantIbLb1EES1A_EEDaS15_S16_EUlS15_E_NS1_11comp_targetILNS1_3genE2ELNS1_11target_archE906ELNS1_3gpuE6ELNS1_3repE0EEENS1_30default_config_static_selectorELNS0_4arch9wavefront6targetE1EEEvT1_ ; -- Begin function _ZN7rocprim17ROCPRIM_400000_NS6detail17trampoline_kernelINS0_14default_configENS1_25partition_config_selectorILNS1_17partition_subalgoE9EllbEEZZNS1_14partition_implILS5_9ELb0ES3_jPlS8_PNS0_10empty_typeENS0_5tupleIJS8_S9_EEENSB_IJS8_SA_EEENS0_18inequality_wrapperIZN2at6native12_GLOBAL__N_124unique_dim_cuda_templateIfEESt5tupleIJNSF_6TensorESK_SK_EERKSK_lbbbEUlllE0_EEPmJS9_EEE10hipError_tPvRmT3_T4_T5_T6_T7_T9_mT8_P12ihipStream_tbDpT10_ENKUlT_T0_E_clISt17integral_constantIbLb1EES1A_EEDaS15_S16_EUlS15_E_NS1_11comp_targetILNS1_3genE2ELNS1_11target_archE906ELNS1_3gpuE6ELNS1_3repE0EEENS1_30default_config_static_selectorELNS0_4arch9wavefront6targetE1EEEvT1_
	.p2align	8
	.type	_ZN7rocprim17ROCPRIM_400000_NS6detail17trampoline_kernelINS0_14default_configENS1_25partition_config_selectorILNS1_17partition_subalgoE9EllbEEZZNS1_14partition_implILS5_9ELb0ES3_jPlS8_PNS0_10empty_typeENS0_5tupleIJS8_S9_EEENSB_IJS8_SA_EEENS0_18inequality_wrapperIZN2at6native12_GLOBAL__N_124unique_dim_cuda_templateIfEESt5tupleIJNSF_6TensorESK_SK_EERKSK_lbbbEUlllE0_EEPmJS9_EEE10hipError_tPvRmT3_T4_T5_T6_T7_T9_mT8_P12ihipStream_tbDpT10_ENKUlT_T0_E_clISt17integral_constantIbLb1EES1A_EEDaS15_S16_EUlS15_E_NS1_11comp_targetILNS1_3genE2ELNS1_11target_archE906ELNS1_3gpuE6ELNS1_3repE0EEENS1_30default_config_static_selectorELNS0_4arch9wavefront6targetE1EEEvT1_,@function
_ZN7rocprim17ROCPRIM_400000_NS6detail17trampoline_kernelINS0_14default_configENS1_25partition_config_selectorILNS1_17partition_subalgoE9EllbEEZZNS1_14partition_implILS5_9ELb0ES3_jPlS8_PNS0_10empty_typeENS0_5tupleIJS8_S9_EEENSB_IJS8_SA_EEENS0_18inequality_wrapperIZN2at6native12_GLOBAL__N_124unique_dim_cuda_templateIfEESt5tupleIJNSF_6TensorESK_SK_EERKSK_lbbbEUlllE0_EEPmJS9_EEE10hipError_tPvRmT3_T4_T5_T6_T7_T9_mT8_P12ihipStream_tbDpT10_ENKUlT_T0_E_clISt17integral_constantIbLb1EES1A_EEDaS15_S16_EUlS15_E_NS1_11comp_targetILNS1_3genE2ELNS1_11target_archE906ELNS1_3gpuE6ELNS1_3repE0EEENS1_30default_config_static_selectorELNS0_4arch9wavefront6targetE1EEEvT1_: ; @_ZN7rocprim17ROCPRIM_400000_NS6detail17trampoline_kernelINS0_14default_configENS1_25partition_config_selectorILNS1_17partition_subalgoE9EllbEEZZNS1_14partition_implILS5_9ELb0ES3_jPlS8_PNS0_10empty_typeENS0_5tupleIJS8_S9_EEENSB_IJS8_SA_EEENS0_18inequality_wrapperIZN2at6native12_GLOBAL__N_124unique_dim_cuda_templateIfEESt5tupleIJNSF_6TensorESK_SK_EERKSK_lbbbEUlllE0_EEPmJS9_EEE10hipError_tPvRmT3_T4_T5_T6_T7_T9_mT8_P12ihipStream_tbDpT10_ENKUlT_T0_E_clISt17integral_constantIbLb1EES1A_EEDaS15_S16_EUlS15_E_NS1_11comp_targetILNS1_3genE2ELNS1_11target_archE906ELNS1_3gpuE6ELNS1_3repE0EEENS1_30default_config_static_selectorELNS0_4arch9wavefront6targetE1EEEvT1_
; %bb.0:
	.section	.rodata,"a",@progbits
	.p2align	6, 0x0
	.amdhsa_kernel _ZN7rocprim17ROCPRIM_400000_NS6detail17trampoline_kernelINS0_14default_configENS1_25partition_config_selectorILNS1_17partition_subalgoE9EllbEEZZNS1_14partition_implILS5_9ELb0ES3_jPlS8_PNS0_10empty_typeENS0_5tupleIJS8_S9_EEENSB_IJS8_SA_EEENS0_18inequality_wrapperIZN2at6native12_GLOBAL__N_124unique_dim_cuda_templateIfEESt5tupleIJNSF_6TensorESK_SK_EERKSK_lbbbEUlllE0_EEPmJS9_EEE10hipError_tPvRmT3_T4_T5_T6_T7_T9_mT8_P12ihipStream_tbDpT10_ENKUlT_T0_E_clISt17integral_constantIbLb1EES1A_EEDaS15_S16_EUlS15_E_NS1_11comp_targetILNS1_3genE2ELNS1_11target_archE906ELNS1_3gpuE6ELNS1_3repE0EEENS1_30default_config_static_selectorELNS0_4arch9wavefront6targetE1EEEvT1_
		.amdhsa_group_segment_fixed_size 0
		.amdhsa_private_segment_fixed_size 0
		.amdhsa_kernarg_size 136
		.amdhsa_user_sgpr_count 2
		.amdhsa_user_sgpr_dispatch_ptr 0
		.amdhsa_user_sgpr_queue_ptr 0
		.amdhsa_user_sgpr_kernarg_segment_ptr 1
		.amdhsa_user_sgpr_dispatch_id 0
		.amdhsa_user_sgpr_kernarg_preload_length 0
		.amdhsa_user_sgpr_kernarg_preload_offset 0
		.amdhsa_user_sgpr_private_segment_size 0
		.amdhsa_uses_dynamic_stack 0
		.amdhsa_enable_private_segment 0
		.amdhsa_system_sgpr_workgroup_id_x 1
		.amdhsa_system_sgpr_workgroup_id_y 0
		.amdhsa_system_sgpr_workgroup_id_z 0
		.amdhsa_system_sgpr_workgroup_info 0
		.amdhsa_system_vgpr_workitem_id 0
		.amdhsa_next_free_vgpr 1
		.amdhsa_next_free_sgpr 0
		.amdhsa_accum_offset 4
		.amdhsa_reserve_vcc 0
		.amdhsa_float_round_mode_32 0
		.amdhsa_float_round_mode_16_64 0
		.amdhsa_float_denorm_mode_32 3
		.amdhsa_float_denorm_mode_16_64 3
		.amdhsa_dx10_clamp 1
		.amdhsa_ieee_mode 1
		.amdhsa_fp16_overflow 0
		.amdhsa_tg_split 0
		.amdhsa_exception_fp_ieee_invalid_op 0
		.amdhsa_exception_fp_denorm_src 0
		.amdhsa_exception_fp_ieee_div_zero 0
		.amdhsa_exception_fp_ieee_overflow 0
		.amdhsa_exception_fp_ieee_underflow 0
		.amdhsa_exception_fp_ieee_inexact 0
		.amdhsa_exception_int_div_zero 0
	.end_amdhsa_kernel
	.section	.text._ZN7rocprim17ROCPRIM_400000_NS6detail17trampoline_kernelINS0_14default_configENS1_25partition_config_selectorILNS1_17partition_subalgoE9EllbEEZZNS1_14partition_implILS5_9ELb0ES3_jPlS8_PNS0_10empty_typeENS0_5tupleIJS8_S9_EEENSB_IJS8_SA_EEENS0_18inequality_wrapperIZN2at6native12_GLOBAL__N_124unique_dim_cuda_templateIfEESt5tupleIJNSF_6TensorESK_SK_EERKSK_lbbbEUlllE0_EEPmJS9_EEE10hipError_tPvRmT3_T4_T5_T6_T7_T9_mT8_P12ihipStream_tbDpT10_ENKUlT_T0_E_clISt17integral_constantIbLb1EES1A_EEDaS15_S16_EUlS15_E_NS1_11comp_targetILNS1_3genE2ELNS1_11target_archE906ELNS1_3gpuE6ELNS1_3repE0EEENS1_30default_config_static_selectorELNS0_4arch9wavefront6targetE1EEEvT1_,"axG",@progbits,_ZN7rocprim17ROCPRIM_400000_NS6detail17trampoline_kernelINS0_14default_configENS1_25partition_config_selectorILNS1_17partition_subalgoE9EllbEEZZNS1_14partition_implILS5_9ELb0ES3_jPlS8_PNS0_10empty_typeENS0_5tupleIJS8_S9_EEENSB_IJS8_SA_EEENS0_18inequality_wrapperIZN2at6native12_GLOBAL__N_124unique_dim_cuda_templateIfEESt5tupleIJNSF_6TensorESK_SK_EERKSK_lbbbEUlllE0_EEPmJS9_EEE10hipError_tPvRmT3_T4_T5_T6_T7_T9_mT8_P12ihipStream_tbDpT10_ENKUlT_T0_E_clISt17integral_constantIbLb1EES1A_EEDaS15_S16_EUlS15_E_NS1_11comp_targetILNS1_3genE2ELNS1_11target_archE906ELNS1_3gpuE6ELNS1_3repE0EEENS1_30default_config_static_selectorELNS0_4arch9wavefront6targetE1EEEvT1_,comdat
.Lfunc_end973:
	.size	_ZN7rocprim17ROCPRIM_400000_NS6detail17trampoline_kernelINS0_14default_configENS1_25partition_config_selectorILNS1_17partition_subalgoE9EllbEEZZNS1_14partition_implILS5_9ELb0ES3_jPlS8_PNS0_10empty_typeENS0_5tupleIJS8_S9_EEENSB_IJS8_SA_EEENS0_18inequality_wrapperIZN2at6native12_GLOBAL__N_124unique_dim_cuda_templateIfEESt5tupleIJNSF_6TensorESK_SK_EERKSK_lbbbEUlllE0_EEPmJS9_EEE10hipError_tPvRmT3_T4_T5_T6_T7_T9_mT8_P12ihipStream_tbDpT10_ENKUlT_T0_E_clISt17integral_constantIbLb1EES1A_EEDaS15_S16_EUlS15_E_NS1_11comp_targetILNS1_3genE2ELNS1_11target_archE906ELNS1_3gpuE6ELNS1_3repE0EEENS1_30default_config_static_selectorELNS0_4arch9wavefront6targetE1EEEvT1_, .Lfunc_end973-_ZN7rocprim17ROCPRIM_400000_NS6detail17trampoline_kernelINS0_14default_configENS1_25partition_config_selectorILNS1_17partition_subalgoE9EllbEEZZNS1_14partition_implILS5_9ELb0ES3_jPlS8_PNS0_10empty_typeENS0_5tupleIJS8_S9_EEENSB_IJS8_SA_EEENS0_18inequality_wrapperIZN2at6native12_GLOBAL__N_124unique_dim_cuda_templateIfEESt5tupleIJNSF_6TensorESK_SK_EERKSK_lbbbEUlllE0_EEPmJS9_EEE10hipError_tPvRmT3_T4_T5_T6_T7_T9_mT8_P12ihipStream_tbDpT10_ENKUlT_T0_E_clISt17integral_constantIbLb1EES1A_EEDaS15_S16_EUlS15_E_NS1_11comp_targetILNS1_3genE2ELNS1_11target_archE906ELNS1_3gpuE6ELNS1_3repE0EEENS1_30default_config_static_selectorELNS0_4arch9wavefront6targetE1EEEvT1_
                                        ; -- End function
	.set _ZN7rocprim17ROCPRIM_400000_NS6detail17trampoline_kernelINS0_14default_configENS1_25partition_config_selectorILNS1_17partition_subalgoE9EllbEEZZNS1_14partition_implILS5_9ELb0ES3_jPlS8_PNS0_10empty_typeENS0_5tupleIJS8_S9_EEENSB_IJS8_SA_EEENS0_18inequality_wrapperIZN2at6native12_GLOBAL__N_124unique_dim_cuda_templateIfEESt5tupleIJNSF_6TensorESK_SK_EERKSK_lbbbEUlllE0_EEPmJS9_EEE10hipError_tPvRmT3_T4_T5_T6_T7_T9_mT8_P12ihipStream_tbDpT10_ENKUlT_T0_E_clISt17integral_constantIbLb1EES1A_EEDaS15_S16_EUlS15_E_NS1_11comp_targetILNS1_3genE2ELNS1_11target_archE906ELNS1_3gpuE6ELNS1_3repE0EEENS1_30default_config_static_selectorELNS0_4arch9wavefront6targetE1EEEvT1_.num_vgpr, 0
	.set _ZN7rocprim17ROCPRIM_400000_NS6detail17trampoline_kernelINS0_14default_configENS1_25partition_config_selectorILNS1_17partition_subalgoE9EllbEEZZNS1_14partition_implILS5_9ELb0ES3_jPlS8_PNS0_10empty_typeENS0_5tupleIJS8_S9_EEENSB_IJS8_SA_EEENS0_18inequality_wrapperIZN2at6native12_GLOBAL__N_124unique_dim_cuda_templateIfEESt5tupleIJNSF_6TensorESK_SK_EERKSK_lbbbEUlllE0_EEPmJS9_EEE10hipError_tPvRmT3_T4_T5_T6_T7_T9_mT8_P12ihipStream_tbDpT10_ENKUlT_T0_E_clISt17integral_constantIbLb1EES1A_EEDaS15_S16_EUlS15_E_NS1_11comp_targetILNS1_3genE2ELNS1_11target_archE906ELNS1_3gpuE6ELNS1_3repE0EEENS1_30default_config_static_selectorELNS0_4arch9wavefront6targetE1EEEvT1_.num_agpr, 0
	.set _ZN7rocprim17ROCPRIM_400000_NS6detail17trampoline_kernelINS0_14default_configENS1_25partition_config_selectorILNS1_17partition_subalgoE9EllbEEZZNS1_14partition_implILS5_9ELb0ES3_jPlS8_PNS0_10empty_typeENS0_5tupleIJS8_S9_EEENSB_IJS8_SA_EEENS0_18inequality_wrapperIZN2at6native12_GLOBAL__N_124unique_dim_cuda_templateIfEESt5tupleIJNSF_6TensorESK_SK_EERKSK_lbbbEUlllE0_EEPmJS9_EEE10hipError_tPvRmT3_T4_T5_T6_T7_T9_mT8_P12ihipStream_tbDpT10_ENKUlT_T0_E_clISt17integral_constantIbLb1EES1A_EEDaS15_S16_EUlS15_E_NS1_11comp_targetILNS1_3genE2ELNS1_11target_archE906ELNS1_3gpuE6ELNS1_3repE0EEENS1_30default_config_static_selectorELNS0_4arch9wavefront6targetE1EEEvT1_.numbered_sgpr, 0
	.set _ZN7rocprim17ROCPRIM_400000_NS6detail17trampoline_kernelINS0_14default_configENS1_25partition_config_selectorILNS1_17partition_subalgoE9EllbEEZZNS1_14partition_implILS5_9ELb0ES3_jPlS8_PNS0_10empty_typeENS0_5tupleIJS8_S9_EEENSB_IJS8_SA_EEENS0_18inequality_wrapperIZN2at6native12_GLOBAL__N_124unique_dim_cuda_templateIfEESt5tupleIJNSF_6TensorESK_SK_EERKSK_lbbbEUlllE0_EEPmJS9_EEE10hipError_tPvRmT3_T4_T5_T6_T7_T9_mT8_P12ihipStream_tbDpT10_ENKUlT_T0_E_clISt17integral_constantIbLb1EES1A_EEDaS15_S16_EUlS15_E_NS1_11comp_targetILNS1_3genE2ELNS1_11target_archE906ELNS1_3gpuE6ELNS1_3repE0EEENS1_30default_config_static_selectorELNS0_4arch9wavefront6targetE1EEEvT1_.num_named_barrier, 0
	.set _ZN7rocprim17ROCPRIM_400000_NS6detail17trampoline_kernelINS0_14default_configENS1_25partition_config_selectorILNS1_17partition_subalgoE9EllbEEZZNS1_14partition_implILS5_9ELb0ES3_jPlS8_PNS0_10empty_typeENS0_5tupleIJS8_S9_EEENSB_IJS8_SA_EEENS0_18inequality_wrapperIZN2at6native12_GLOBAL__N_124unique_dim_cuda_templateIfEESt5tupleIJNSF_6TensorESK_SK_EERKSK_lbbbEUlllE0_EEPmJS9_EEE10hipError_tPvRmT3_T4_T5_T6_T7_T9_mT8_P12ihipStream_tbDpT10_ENKUlT_T0_E_clISt17integral_constantIbLb1EES1A_EEDaS15_S16_EUlS15_E_NS1_11comp_targetILNS1_3genE2ELNS1_11target_archE906ELNS1_3gpuE6ELNS1_3repE0EEENS1_30default_config_static_selectorELNS0_4arch9wavefront6targetE1EEEvT1_.private_seg_size, 0
	.set _ZN7rocprim17ROCPRIM_400000_NS6detail17trampoline_kernelINS0_14default_configENS1_25partition_config_selectorILNS1_17partition_subalgoE9EllbEEZZNS1_14partition_implILS5_9ELb0ES3_jPlS8_PNS0_10empty_typeENS0_5tupleIJS8_S9_EEENSB_IJS8_SA_EEENS0_18inequality_wrapperIZN2at6native12_GLOBAL__N_124unique_dim_cuda_templateIfEESt5tupleIJNSF_6TensorESK_SK_EERKSK_lbbbEUlllE0_EEPmJS9_EEE10hipError_tPvRmT3_T4_T5_T6_T7_T9_mT8_P12ihipStream_tbDpT10_ENKUlT_T0_E_clISt17integral_constantIbLb1EES1A_EEDaS15_S16_EUlS15_E_NS1_11comp_targetILNS1_3genE2ELNS1_11target_archE906ELNS1_3gpuE6ELNS1_3repE0EEENS1_30default_config_static_selectorELNS0_4arch9wavefront6targetE1EEEvT1_.uses_vcc, 0
	.set _ZN7rocprim17ROCPRIM_400000_NS6detail17trampoline_kernelINS0_14default_configENS1_25partition_config_selectorILNS1_17partition_subalgoE9EllbEEZZNS1_14partition_implILS5_9ELb0ES3_jPlS8_PNS0_10empty_typeENS0_5tupleIJS8_S9_EEENSB_IJS8_SA_EEENS0_18inequality_wrapperIZN2at6native12_GLOBAL__N_124unique_dim_cuda_templateIfEESt5tupleIJNSF_6TensorESK_SK_EERKSK_lbbbEUlllE0_EEPmJS9_EEE10hipError_tPvRmT3_T4_T5_T6_T7_T9_mT8_P12ihipStream_tbDpT10_ENKUlT_T0_E_clISt17integral_constantIbLb1EES1A_EEDaS15_S16_EUlS15_E_NS1_11comp_targetILNS1_3genE2ELNS1_11target_archE906ELNS1_3gpuE6ELNS1_3repE0EEENS1_30default_config_static_selectorELNS0_4arch9wavefront6targetE1EEEvT1_.uses_flat_scratch, 0
	.set _ZN7rocprim17ROCPRIM_400000_NS6detail17trampoline_kernelINS0_14default_configENS1_25partition_config_selectorILNS1_17partition_subalgoE9EllbEEZZNS1_14partition_implILS5_9ELb0ES3_jPlS8_PNS0_10empty_typeENS0_5tupleIJS8_S9_EEENSB_IJS8_SA_EEENS0_18inequality_wrapperIZN2at6native12_GLOBAL__N_124unique_dim_cuda_templateIfEESt5tupleIJNSF_6TensorESK_SK_EERKSK_lbbbEUlllE0_EEPmJS9_EEE10hipError_tPvRmT3_T4_T5_T6_T7_T9_mT8_P12ihipStream_tbDpT10_ENKUlT_T0_E_clISt17integral_constantIbLb1EES1A_EEDaS15_S16_EUlS15_E_NS1_11comp_targetILNS1_3genE2ELNS1_11target_archE906ELNS1_3gpuE6ELNS1_3repE0EEENS1_30default_config_static_selectorELNS0_4arch9wavefront6targetE1EEEvT1_.has_dyn_sized_stack, 0
	.set _ZN7rocprim17ROCPRIM_400000_NS6detail17trampoline_kernelINS0_14default_configENS1_25partition_config_selectorILNS1_17partition_subalgoE9EllbEEZZNS1_14partition_implILS5_9ELb0ES3_jPlS8_PNS0_10empty_typeENS0_5tupleIJS8_S9_EEENSB_IJS8_SA_EEENS0_18inequality_wrapperIZN2at6native12_GLOBAL__N_124unique_dim_cuda_templateIfEESt5tupleIJNSF_6TensorESK_SK_EERKSK_lbbbEUlllE0_EEPmJS9_EEE10hipError_tPvRmT3_T4_T5_T6_T7_T9_mT8_P12ihipStream_tbDpT10_ENKUlT_T0_E_clISt17integral_constantIbLb1EES1A_EEDaS15_S16_EUlS15_E_NS1_11comp_targetILNS1_3genE2ELNS1_11target_archE906ELNS1_3gpuE6ELNS1_3repE0EEENS1_30default_config_static_selectorELNS0_4arch9wavefront6targetE1EEEvT1_.has_recursion, 0
	.set _ZN7rocprim17ROCPRIM_400000_NS6detail17trampoline_kernelINS0_14default_configENS1_25partition_config_selectorILNS1_17partition_subalgoE9EllbEEZZNS1_14partition_implILS5_9ELb0ES3_jPlS8_PNS0_10empty_typeENS0_5tupleIJS8_S9_EEENSB_IJS8_SA_EEENS0_18inequality_wrapperIZN2at6native12_GLOBAL__N_124unique_dim_cuda_templateIfEESt5tupleIJNSF_6TensorESK_SK_EERKSK_lbbbEUlllE0_EEPmJS9_EEE10hipError_tPvRmT3_T4_T5_T6_T7_T9_mT8_P12ihipStream_tbDpT10_ENKUlT_T0_E_clISt17integral_constantIbLb1EES1A_EEDaS15_S16_EUlS15_E_NS1_11comp_targetILNS1_3genE2ELNS1_11target_archE906ELNS1_3gpuE6ELNS1_3repE0EEENS1_30default_config_static_selectorELNS0_4arch9wavefront6targetE1EEEvT1_.has_indirect_call, 0
	.section	.AMDGPU.csdata,"",@progbits
; Kernel info:
; codeLenInByte = 0
; TotalNumSgprs: 6
; NumVgprs: 0
; NumAgprs: 0
; TotalNumVgprs: 0
; ScratchSize: 0
; MemoryBound: 0
; FloatMode: 240
; IeeeMode: 1
; LDSByteSize: 0 bytes/workgroup (compile time only)
; SGPRBlocks: 0
; VGPRBlocks: 0
; NumSGPRsForWavesPerEU: 6
; NumVGPRsForWavesPerEU: 1
; AccumOffset: 4
; Occupancy: 8
; WaveLimiterHint : 0
; COMPUTE_PGM_RSRC2:SCRATCH_EN: 0
; COMPUTE_PGM_RSRC2:USER_SGPR: 2
; COMPUTE_PGM_RSRC2:TRAP_HANDLER: 0
; COMPUTE_PGM_RSRC2:TGID_X_EN: 1
; COMPUTE_PGM_RSRC2:TGID_Y_EN: 0
; COMPUTE_PGM_RSRC2:TGID_Z_EN: 0
; COMPUTE_PGM_RSRC2:TIDIG_COMP_CNT: 0
; COMPUTE_PGM_RSRC3_GFX90A:ACCUM_OFFSET: 0
; COMPUTE_PGM_RSRC3_GFX90A:TG_SPLIT: 0
	.section	.text._ZN7rocprim17ROCPRIM_400000_NS6detail17trampoline_kernelINS0_14default_configENS1_25partition_config_selectorILNS1_17partition_subalgoE9EllbEEZZNS1_14partition_implILS5_9ELb0ES3_jPlS8_PNS0_10empty_typeENS0_5tupleIJS8_S9_EEENSB_IJS8_SA_EEENS0_18inequality_wrapperIZN2at6native12_GLOBAL__N_124unique_dim_cuda_templateIfEESt5tupleIJNSF_6TensorESK_SK_EERKSK_lbbbEUlllE0_EEPmJS9_EEE10hipError_tPvRmT3_T4_T5_T6_T7_T9_mT8_P12ihipStream_tbDpT10_ENKUlT_T0_E_clISt17integral_constantIbLb1EES1A_EEDaS15_S16_EUlS15_E_NS1_11comp_targetILNS1_3genE10ELNS1_11target_archE1200ELNS1_3gpuE4ELNS1_3repE0EEENS1_30default_config_static_selectorELNS0_4arch9wavefront6targetE1EEEvT1_,"axG",@progbits,_ZN7rocprim17ROCPRIM_400000_NS6detail17trampoline_kernelINS0_14default_configENS1_25partition_config_selectorILNS1_17partition_subalgoE9EllbEEZZNS1_14partition_implILS5_9ELb0ES3_jPlS8_PNS0_10empty_typeENS0_5tupleIJS8_S9_EEENSB_IJS8_SA_EEENS0_18inequality_wrapperIZN2at6native12_GLOBAL__N_124unique_dim_cuda_templateIfEESt5tupleIJNSF_6TensorESK_SK_EERKSK_lbbbEUlllE0_EEPmJS9_EEE10hipError_tPvRmT3_T4_T5_T6_T7_T9_mT8_P12ihipStream_tbDpT10_ENKUlT_T0_E_clISt17integral_constantIbLb1EES1A_EEDaS15_S16_EUlS15_E_NS1_11comp_targetILNS1_3genE10ELNS1_11target_archE1200ELNS1_3gpuE4ELNS1_3repE0EEENS1_30default_config_static_selectorELNS0_4arch9wavefront6targetE1EEEvT1_,comdat
	.globl	_ZN7rocprim17ROCPRIM_400000_NS6detail17trampoline_kernelINS0_14default_configENS1_25partition_config_selectorILNS1_17partition_subalgoE9EllbEEZZNS1_14partition_implILS5_9ELb0ES3_jPlS8_PNS0_10empty_typeENS0_5tupleIJS8_S9_EEENSB_IJS8_SA_EEENS0_18inequality_wrapperIZN2at6native12_GLOBAL__N_124unique_dim_cuda_templateIfEESt5tupleIJNSF_6TensorESK_SK_EERKSK_lbbbEUlllE0_EEPmJS9_EEE10hipError_tPvRmT3_T4_T5_T6_T7_T9_mT8_P12ihipStream_tbDpT10_ENKUlT_T0_E_clISt17integral_constantIbLb1EES1A_EEDaS15_S16_EUlS15_E_NS1_11comp_targetILNS1_3genE10ELNS1_11target_archE1200ELNS1_3gpuE4ELNS1_3repE0EEENS1_30default_config_static_selectorELNS0_4arch9wavefront6targetE1EEEvT1_ ; -- Begin function _ZN7rocprim17ROCPRIM_400000_NS6detail17trampoline_kernelINS0_14default_configENS1_25partition_config_selectorILNS1_17partition_subalgoE9EllbEEZZNS1_14partition_implILS5_9ELb0ES3_jPlS8_PNS0_10empty_typeENS0_5tupleIJS8_S9_EEENSB_IJS8_SA_EEENS0_18inequality_wrapperIZN2at6native12_GLOBAL__N_124unique_dim_cuda_templateIfEESt5tupleIJNSF_6TensorESK_SK_EERKSK_lbbbEUlllE0_EEPmJS9_EEE10hipError_tPvRmT3_T4_T5_T6_T7_T9_mT8_P12ihipStream_tbDpT10_ENKUlT_T0_E_clISt17integral_constantIbLb1EES1A_EEDaS15_S16_EUlS15_E_NS1_11comp_targetILNS1_3genE10ELNS1_11target_archE1200ELNS1_3gpuE4ELNS1_3repE0EEENS1_30default_config_static_selectorELNS0_4arch9wavefront6targetE1EEEvT1_
	.p2align	8
	.type	_ZN7rocprim17ROCPRIM_400000_NS6detail17trampoline_kernelINS0_14default_configENS1_25partition_config_selectorILNS1_17partition_subalgoE9EllbEEZZNS1_14partition_implILS5_9ELb0ES3_jPlS8_PNS0_10empty_typeENS0_5tupleIJS8_S9_EEENSB_IJS8_SA_EEENS0_18inequality_wrapperIZN2at6native12_GLOBAL__N_124unique_dim_cuda_templateIfEESt5tupleIJNSF_6TensorESK_SK_EERKSK_lbbbEUlllE0_EEPmJS9_EEE10hipError_tPvRmT3_T4_T5_T6_T7_T9_mT8_P12ihipStream_tbDpT10_ENKUlT_T0_E_clISt17integral_constantIbLb1EES1A_EEDaS15_S16_EUlS15_E_NS1_11comp_targetILNS1_3genE10ELNS1_11target_archE1200ELNS1_3gpuE4ELNS1_3repE0EEENS1_30default_config_static_selectorELNS0_4arch9wavefront6targetE1EEEvT1_,@function
_ZN7rocprim17ROCPRIM_400000_NS6detail17trampoline_kernelINS0_14default_configENS1_25partition_config_selectorILNS1_17partition_subalgoE9EllbEEZZNS1_14partition_implILS5_9ELb0ES3_jPlS8_PNS0_10empty_typeENS0_5tupleIJS8_S9_EEENSB_IJS8_SA_EEENS0_18inequality_wrapperIZN2at6native12_GLOBAL__N_124unique_dim_cuda_templateIfEESt5tupleIJNSF_6TensorESK_SK_EERKSK_lbbbEUlllE0_EEPmJS9_EEE10hipError_tPvRmT3_T4_T5_T6_T7_T9_mT8_P12ihipStream_tbDpT10_ENKUlT_T0_E_clISt17integral_constantIbLb1EES1A_EEDaS15_S16_EUlS15_E_NS1_11comp_targetILNS1_3genE10ELNS1_11target_archE1200ELNS1_3gpuE4ELNS1_3repE0EEENS1_30default_config_static_selectorELNS0_4arch9wavefront6targetE1EEEvT1_: ; @_ZN7rocprim17ROCPRIM_400000_NS6detail17trampoline_kernelINS0_14default_configENS1_25partition_config_selectorILNS1_17partition_subalgoE9EllbEEZZNS1_14partition_implILS5_9ELb0ES3_jPlS8_PNS0_10empty_typeENS0_5tupleIJS8_S9_EEENSB_IJS8_SA_EEENS0_18inequality_wrapperIZN2at6native12_GLOBAL__N_124unique_dim_cuda_templateIfEESt5tupleIJNSF_6TensorESK_SK_EERKSK_lbbbEUlllE0_EEPmJS9_EEE10hipError_tPvRmT3_T4_T5_T6_T7_T9_mT8_P12ihipStream_tbDpT10_ENKUlT_T0_E_clISt17integral_constantIbLb1EES1A_EEDaS15_S16_EUlS15_E_NS1_11comp_targetILNS1_3genE10ELNS1_11target_archE1200ELNS1_3gpuE4ELNS1_3repE0EEENS1_30default_config_static_selectorELNS0_4arch9wavefront6targetE1EEEvT1_
; %bb.0:
	.section	.rodata,"a",@progbits
	.p2align	6, 0x0
	.amdhsa_kernel _ZN7rocprim17ROCPRIM_400000_NS6detail17trampoline_kernelINS0_14default_configENS1_25partition_config_selectorILNS1_17partition_subalgoE9EllbEEZZNS1_14partition_implILS5_9ELb0ES3_jPlS8_PNS0_10empty_typeENS0_5tupleIJS8_S9_EEENSB_IJS8_SA_EEENS0_18inequality_wrapperIZN2at6native12_GLOBAL__N_124unique_dim_cuda_templateIfEESt5tupleIJNSF_6TensorESK_SK_EERKSK_lbbbEUlllE0_EEPmJS9_EEE10hipError_tPvRmT3_T4_T5_T6_T7_T9_mT8_P12ihipStream_tbDpT10_ENKUlT_T0_E_clISt17integral_constantIbLb1EES1A_EEDaS15_S16_EUlS15_E_NS1_11comp_targetILNS1_3genE10ELNS1_11target_archE1200ELNS1_3gpuE4ELNS1_3repE0EEENS1_30default_config_static_selectorELNS0_4arch9wavefront6targetE1EEEvT1_
		.amdhsa_group_segment_fixed_size 0
		.amdhsa_private_segment_fixed_size 0
		.amdhsa_kernarg_size 136
		.amdhsa_user_sgpr_count 2
		.amdhsa_user_sgpr_dispatch_ptr 0
		.amdhsa_user_sgpr_queue_ptr 0
		.amdhsa_user_sgpr_kernarg_segment_ptr 1
		.amdhsa_user_sgpr_dispatch_id 0
		.amdhsa_user_sgpr_kernarg_preload_length 0
		.amdhsa_user_sgpr_kernarg_preload_offset 0
		.amdhsa_user_sgpr_private_segment_size 0
		.amdhsa_uses_dynamic_stack 0
		.amdhsa_enable_private_segment 0
		.amdhsa_system_sgpr_workgroup_id_x 1
		.amdhsa_system_sgpr_workgroup_id_y 0
		.amdhsa_system_sgpr_workgroup_id_z 0
		.amdhsa_system_sgpr_workgroup_info 0
		.amdhsa_system_vgpr_workitem_id 0
		.amdhsa_next_free_vgpr 1
		.amdhsa_next_free_sgpr 0
		.amdhsa_accum_offset 4
		.amdhsa_reserve_vcc 0
		.amdhsa_float_round_mode_32 0
		.amdhsa_float_round_mode_16_64 0
		.amdhsa_float_denorm_mode_32 3
		.amdhsa_float_denorm_mode_16_64 3
		.amdhsa_dx10_clamp 1
		.amdhsa_ieee_mode 1
		.amdhsa_fp16_overflow 0
		.amdhsa_tg_split 0
		.amdhsa_exception_fp_ieee_invalid_op 0
		.amdhsa_exception_fp_denorm_src 0
		.amdhsa_exception_fp_ieee_div_zero 0
		.amdhsa_exception_fp_ieee_overflow 0
		.amdhsa_exception_fp_ieee_underflow 0
		.amdhsa_exception_fp_ieee_inexact 0
		.amdhsa_exception_int_div_zero 0
	.end_amdhsa_kernel
	.section	.text._ZN7rocprim17ROCPRIM_400000_NS6detail17trampoline_kernelINS0_14default_configENS1_25partition_config_selectorILNS1_17partition_subalgoE9EllbEEZZNS1_14partition_implILS5_9ELb0ES3_jPlS8_PNS0_10empty_typeENS0_5tupleIJS8_S9_EEENSB_IJS8_SA_EEENS0_18inequality_wrapperIZN2at6native12_GLOBAL__N_124unique_dim_cuda_templateIfEESt5tupleIJNSF_6TensorESK_SK_EERKSK_lbbbEUlllE0_EEPmJS9_EEE10hipError_tPvRmT3_T4_T5_T6_T7_T9_mT8_P12ihipStream_tbDpT10_ENKUlT_T0_E_clISt17integral_constantIbLb1EES1A_EEDaS15_S16_EUlS15_E_NS1_11comp_targetILNS1_3genE10ELNS1_11target_archE1200ELNS1_3gpuE4ELNS1_3repE0EEENS1_30default_config_static_selectorELNS0_4arch9wavefront6targetE1EEEvT1_,"axG",@progbits,_ZN7rocprim17ROCPRIM_400000_NS6detail17trampoline_kernelINS0_14default_configENS1_25partition_config_selectorILNS1_17partition_subalgoE9EllbEEZZNS1_14partition_implILS5_9ELb0ES3_jPlS8_PNS0_10empty_typeENS0_5tupleIJS8_S9_EEENSB_IJS8_SA_EEENS0_18inequality_wrapperIZN2at6native12_GLOBAL__N_124unique_dim_cuda_templateIfEESt5tupleIJNSF_6TensorESK_SK_EERKSK_lbbbEUlllE0_EEPmJS9_EEE10hipError_tPvRmT3_T4_T5_T6_T7_T9_mT8_P12ihipStream_tbDpT10_ENKUlT_T0_E_clISt17integral_constantIbLb1EES1A_EEDaS15_S16_EUlS15_E_NS1_11comp_targetILNS1_3genE10ELNS1_11target_archE1200ELNS1_3gpuE4ELNS1_3repE0EEENS1_30default_config_static_selectorELNS0_4arch9wavefront6targetE1EEEvT1_,comdat
.Lfunc_end974:
	.size	_ZN7rocprim17ROCPRIM_400000_NS6detail17trampoline_kernelINS0_14default_configENS1_25partition_config_selectorILNS1_17partition_subalgoE9EllbEEZZNS1_14partition_implILS5_9ELb0ES3_jPlS8_PNS0_10empty_typeENS0_5tupleIJS8_S9_EEENSB_IJS8_SA_EEENS0_18inequality_wrapperIZN2at6native12_GLOBAL__N_124unique_dim_cuda_templateIfEESt5tupleIJNSF_6TensorESK_SK_EERKSK_lbbbEUlllE0_EEPmJS9_EEE10hipError_tPvRmT3_T4_T5_T6_T7_T9_mT8_P12ihipStream_tbDpT10_ENKUlT_T0_E_clISt17integral_constantIbLb1EES1A_EEDaS15_S16_EUlS15_E_NS1_11comp_targetILNS1_3genE10ELNS1_11target_archE1200ELNS1_3gpuE4ELNS1_3repE0EEENS1_30default_config_static_selectorELNS0_4arch9wavefront6targetE1EEEvT1_, .Lfunc_end974-_ZN7rocprim17ROCPRIM_400000_NS6detail17trampoline_kernelINS0_14default_configENS1_25partition_config_selectorILNS1_17partition_subalgoE9EllbEEZZNS1_14partition_implILS5_9ELb0ES3_jPlS8_PNS0_10empty_typeENS0_5tupleIJS8_S9_EEENSB_IJS8_SA_EEENS0_18inequality_wrapperIZN2at6native12_GLOBAL__N_124unique_dim_cuda_templateIfEESt5tupleIJNSF_6TensorESK_SK_EERKSK_lbbbEUlllE0_EEPmJS9_EEE10hipError_tPvRmT3_T4_T5_T6_T7_T9_mT8_P12ihipStream_tbDpT10_ENKUlT_T0_E_clISt17integral_constantIbLb1EES1A_EEDaS15_S16_EUlS15_E_NS1_11comp_targetILNS1_3genE10ELNS1_11target_archE1200ELNS1_3gpuE4ELNS1_3repE0EEENS1_30default_config_static_selectorELNS0_4arch9wavefront6targetE1EEEvT1_
                                        ; -- End function
	.set _ZN7rocprim17ROCPRIM_400000_NS6detail17trampoline_kernelINS0_14default_configENS1_25partition_config_selectorILNS1_17partition_subalgoE9EllbEEZZNS1_14partition_implILS5_9ELb0ES3_jPlS8_PNS0_10empty_typeENS0_5tupleIJS8_S9_EEENSB_IJS8_SA_EEENS0_18inequality_wrapperIZN2at6native12_GLOBAL__N_124unique_dim_cuda_templateIfEESt5tupleIJNSF_6TensorESK_SK_EERKSK_lbbbEUlllE0_EEPmJS9_EEE10hipError_tPvRmT3_T4_T5_T6_T7_T9_mT8_P12ihipStream_tbDpT10_ENKUlT_T0_E_clISt17integral_constantIbLb1EES1A_EEDaS15_S16_EUlS15_E_NS1_11comp_targetILNS1_3genE10ELNS1_11target_archE1200ELNS1_3gpuE4ELNS1_3repE0EEENS1_30default_config_static_selectorELNS0_4arch9wavefront6targetE1EEEvT1_.num_vgpr, 0
	.set _ZN7rocprim17ROCPRIM_400000_NS6detail17trampoline_kernelINS0_14default_configENS1_25partition_config_selectorILNS1_17partition_subalgoE9EllbEEZZNS1_14partition_implILS5_9ELb0ES3_jPlS8_PNS0_10empty_typeENS0_5tupleIJS8_S9_EEENSB_IJS8_SA_EEENS0_18inequality_wrapperIZN2at6native12_GLOBAL__N_124unique_dim_cuda_templateIfEESt5tupleIJNSF_6TensorESK_SK_EERKSK_lbbbEUlllE0_EEPmJS9_EEE10hipError_tPvRmT3_T4_T5_T6_T7_T9_mT8_P12ihipStream_tbDpT10_ENKUlT_T0_E_clISt17integral_constantIbLb1EES1A_EEDaS15_S16_EUlS15_E_NS1_11comp_targetILNS1_3genE10ELNS1_11target_archE1200ELNS1_3gpuE4ELNS1_3repE0EEENS1_30default_config_static_selectorELNS0_4arch9wavefront6targetE1EEEvT1_.num_agpr, 0
	.set _ZN7rocprim17ROCPRIM_400000_NS6detail17trampoline_kernelINS0_14default_configENS1_25partition_config_selectorILNS1_17partition_subalgoE9EllbEEZZNS1_14partition_implILS5_9ELb0ES3_jPlS8_PNS0_10empty_typeENS0_5tupleIJS8_S9_EEENSB_IJS8_SA_EEENS0_18inequality_wrapperIZN2at6native12_GLOBAL__N_124unique_dim_cuda_templateIfEESt5tupleIJNSF_6TensorESK_SK_EERKSK_lbbbEUlllE0_EEPmJS9_EEE10hipError_tPvRmT3_T4_T5_T6_T7_T9_mT8_P12ihipStream_tbDpT10_ENKUlT_T0_E_clISt17integral_constantIbLb1EES1A_EEDaS15_S16_EUlS15_E_NS1_11comp_targetILNS1_3genE10ELNS1_11target_archE1200ELNS1_3gpuE4ELNS1_3repE0EEENS1_30default_config_static_selectorELNS0_4arch9wavefront6targetE1EEEvT1_.numbered_sgpr, 0
	.set _ZN7rocprim17ROCPRIM_400000_NS6detail17trampoline_kernelINS0_14default_configENS1_25partition_config_selectorILNS1_17partition_subalgoE9EllbEEZZNS1_14partition_implILS5_9ELb0ES3_jPlS8_PNS0_10empty_typeENS0_5tupleIJS8_S9_EEENSB_IJS8_SA_EEENS0_18inequality_wrapperIZN2at6native12_GLOBAL__N_124unique_dim_cuda_templateIfEESt5tupleIJNSF_6TensorESK_SK_EERKSK_lbbbEUlllE0_EEPmJS9_EEE10hipError_tPvRmT3_T4_T5_T6_T7_T9_mT8_P12ihipStream_tbDpT10_ENKUlT_T0_E_clISt17integral_constantIbLb1EES1A_EEDaS15_S16_EUlS15_E_NS1_11comp_targetILNS1_3genE10ELNS1_11target_archE1200ELNS1_3gpuE4ELNS1_3repE0EEENS1_30default_config_static_selectorELNS0_4arch9wavefront6targetE1EEEvT1_.num_named_barrier, 0
	.set _ZN7rocprim17ROCPRIM_400000_NS6detail17trampoline_kernelINS0_14default_configENS1_25partition_config_selectorILNS1_17partition_subalgoE9EllbEEZZNS1_14partition_implILS5_9ELb0ES3_jPlS8_PNS0_10empty_typeENS0_5tupleIJS8_S9_EEENSB_IJS8_SA_EEENS0_18inequality_wrapperIZN2at6native12_GLOBAL__N_124unique_dim_cuda_templateIfEESt5tupleIJNSF_6TensorESK_SK_EERKSK_lbbbEUlllE0_EEPmJS9_EEE10hipError_tPvRmT3_T4_T5_T6_T7_T9_mT8_P12ihipStream_tbDpT10_ENKUlT_T0_E_clISt17integral_constantIbLb1EES1A_EEDaS15_S16_EUlS15_E_NS1_11comp_targetILNS1_3genE10ELNS1_11target_archE1200ELNS1_3gpuE4ELNS1_3repE0EEENS1_30default_config_static_selectorELNS0_4arch9wavefront6targetE1EEEvT1_.private_seg_size, 0
	.set _ZN7rocprim17ROCPRIM_400000_NS6detail17trampoline_kernelINS0_14default_configENS1_25partition_config_selectorILNS1_17partition_subalgoE9EllbEEZZNS1_14partition_implILS5_9ELb0ES3_jPlS8_PNS0_10empty_typeENS0_5tupleIJS8_S9_EEENSB_IJS8_SA_EEENS0_18inequality_wrapperIZN2at6native12_GLOBAL__N_124unique_dim_cuda_templateIfEESt5tupleIJNSF_6TensorESK_SK_EERKSK_lbbbEUlllE0_EEPmJS9_EEE10hipError_tPvRmT3_T4_T5_T6_T7_T9_mT8_P12ihipStream_tbDpT10_ENKUlT_T0_E_clISt17integral_constantIbLb1EES1A_EEDaS15_S16_EUlS15_E_NS1_11comp_targetILNS1_3genE10ELNS1_11target_archE1200ELNS1_3gpuE4ELNS1_3repE0EEENS1_30default_config_static_selectorELNS0_4arch9wavefront6targetE1EEEvT1_.uses_vcc, 0
	.set _ZN7rocprim17ROCPRIM_400000_NS6detail17trampoline_kernelINS0_14default_configENS1_25partition_config_selectorILNS1_17partition_subalgoE9EllbEEZZNS1_14partition_implILS5_9ELb0ES3_jPlS8_PNS0_10empty_typeENS0_5tupleIJS8_S9_EEENSB_IJS8_SA_EEENS0_18inequality_wrapperIZN2at6native12_GLOBAL__N_124unique_dim_cuda_templateIfEESt5tupleIJNSF_6TensorESK_SK_EERKSK_lbbbEUlllE0_EEPmJS9_EEE10hipError_tPvRmT3_T4_T5_T6_T7_T9_mT8_P12ihipStream_tbDpT10_ENKUlT_T0_E_clISt17integral_constantIbLb1EES1A_EEDaS15_S16_EUlS15_E_NS1_11comp_targetILNS1_3genE10ELNS1_11target_archE1200ELNS1_3gpuE4ELNS1_3repE0EEENS1_30default_config_static_selectorELNS0_4arch9wavefront6targetE1EEEvT1_.uses_flat_scratch, 0
	.set _ZN7rocprim17ROCPRIM_400000_NS6detail17trampoline_kernelINS0_14default_configENS1_25partition_config_selectorILNS1_17partition_subalgoE9EllbEEZZNS1_14partition_implILS5_9ELb0ES3_jPlS8_PNS0_10empty_typeENS0_5tupleIJS8_S9_EEENSB_IJS8_SA_EEENS0_18inequality_wrapperIZN2at6native12_GLOBAL__N_124unique_dim_cuda_templateIfEESt5tupleIJNSF_6TensorESK_SK_EERKSK_lbbbEUlllE0_EEPmJS9_EEE10hipError_tPvRmT3_T4_T5_T6_T7_T9_mT8_P12ihipStream_tbDpT10_ENKUlT_T0_E_clISt17integral_constantIbLb1EES1A_EEDaS15_S16_EUlS15_E_NS1_11comp_targetILNS1_3genE10ELNS1_11target_archE1200ELNS1_3gpuE4ELNS1_3repE0EEENS1_30default_config_static_selectorELNS0_4arch9wavefront6targetE1EEEvT1_.has_dyn_sized_stack, 0
	.set _ZN7rocprim17ROCPRIM_400000_NS6detail17trampoline_kernelINS0_14default_configENS1_25partition_config_selectorILNS1_17partition_subalgoE9EllbEEZZNS1_14partition_implILS5_9ELb0ES3_jPlS8_PNS0_10empty_typeENS0_5tupleIJS8_S9_EEENSB_IJS8_SA_EEENS0_18inequality_wrapperIZN2at6native12_GLOBAL__N_124unique_dim_cuda_templateIfEESt5tupleIJNSF_6TensorESK_SK_EERKSK_lbbbEUlllE0_EEPmJS9_EEE10hipError_tPvRmT3_T4_T5_T6_T7_T9_mT8_P12ihipStream_tbDpT10_ENKUlT_T0_E_clISt17integral_constantIbLb1EES1A_EEDaS15_S16_EUlS15_E_NS1_11comp_targetILNS1_3genE10ELNS1_11target_archE1200ELNS1_3gpuE4ELNS1_3repE0EEENS1_30default_config_static_selectorELNS0_4arch9wavefront6targetE1EEEvT1_.has_recursion, 0
	.set _ZN7rocprim17ROCPRIM_400000_NS6detail17trampoline_kernelINS0_14default_configENS1_25partition_config_selectorILNS1_17partition_subalgoE9EllbEEZZNS1_14partition_implILS5_9ELb0ES3_jPlS8_PNS0_10empty_typeENS0_5tupleIJS8_S9_EEENSB_IJS8_SA_EEENS0_18inequality_wrapperIZN2at6native12_GLOBAL__N_124unique_dim_cuda_templateIfEESt5tupleIJNSF_6TensorESK_SK_EERKSK_lbbbEUlllE0_EEPmJS9_EEE10hipError_tPvRmT3_T4_T5_T6_T7_T9_mT8_P12ihipStream_tbDpT10_ENKUlT_T0_E_clISt17integral_constantIbLb1EES1A_EEDaS15_S16_EUlS15_E_NS1_11comp_targetILNS1_3genE10ELNS1_11target_archE1200ELNS1_3gpuE4ELNS1_3repE0EEENS1_30default_config_static_selectorELNS0_4arch9wavefront6targetE1EEEvT1_.has_indirect_call, 0
	.section	.AMDGPU.csdata,"",@progbits
; Kernel info:
; codeLenInByte = 0
; TotalNumSgprs: 6
; NumVgprs: 0
; NumAgprs: 0
; TotalNumVgprs: 0
; ScratchSize: 0
; MemoryBound: 0
; FloatMode: 240
; IeeeMode: 1
; LDSByteSize: 0 bytes/workgroup (compile time only)
; SGPRBlocks: 0
; VGPRBlocks: 0
; NumSGPRsForWavesPerEU: 6
; NumVGPRsForWavesPerEU: 1
; AccumOffset: 4
; Occupancy: 8
; WaveLimiterHint : 0
; COMPUTE_PGM_RSRC2:SCRATCH_EN: 0
; COMPUTE_PGM_RSRC2:USER_SGPR: 2
; COMPUTE_PGM_RSRC2:TRAP_HANDLER: 0
; COMPUTE_PGM_RSRC2:TGID_X_EN: 1
; COMPUTE_PGM_RSRC2:TGID_Y_EN: 0
; COMPUTE_PGM_RSRC2:TGID_Z_EN: 0
; COMPUTE_PGM_RSRC2:TIDIG_COMP_CNT: 0
; COMPUTE_PGM_RSRC3_GFX90A:ACCUM_OFFSET: 0
; COMPUTE_PGM_RSRC3_GFX90A:TG_SPLIT: 0
	.section	.text._ZN7rocprim17ROCPRIM_400000_NS6detail17trampoline_kernelINS0_14default_configENS1_25partition_config_selectorILNS1_17partition_subalgoE9EllbEEZZNS1_14partition_implILS5_9ELb0ES3_jPlS8_PNS0_10empty_typeENS0_5tupleIJS8_S9_EEENSB_IJS8_SA_EEENS0_18inequality_wrapperIZN2at6native12_GLOBAL__N_124unique_dim_cuda_templateIfEESt5tupleIJNSF_6TensorESK_SK_EERKSK_lbbbEUlllE0_EEPmJS9_EEE10hipError_tPvRmT3_T4_T5_T6_T7_T9_mT8_P12ihipStream_tbDpT10_ENKUlT_T0_E_clISt17integral_constantIbLb1EES1A_EEDaS15_S16_EUlS15_E_NS1_11comp_targetILNS1_3genE9ELNS1_11target_archE1100ELNS1_3gpuE3ELNS1_3repE0EEENS1_30default_config_static_selectorELNS0_4arch9wavefront6targetE1EEEvT1_,"axG",@progbits,_ZN7rocprim17ROCPRIM_400000_NS6detail17trampoline_kernelINS0_14default_configENS1_25partition_config_selectorILNS1_17partition_subalgoE9EllbEEZZNS1_14partition_implILS5_9ELb0ES3_jPlS8_PNS0_10empty_typeENS0_5tupleIJS8_S9_EEENSB_IJS8_SA_EEENS0_18inequality_wrapperIZN2at6native12_GLOBAL__N_124unique_dim_cuda_templateIfEESt5tupleIJNSF_6TensorESK_SK_EERKSK_lbbbEUlllE0_EEPmJS9_EEE10hipError_tPvRmT3_T4_T5_T6_T7_T9_mT8_P12ihipStream_tbDpT10_ENKUlT_T0_E_clISt17integral_constantIbLb1EES1A_EEDaS15_S16_EUlS15_E_NS1_11comp_targetILNS1_3genE9ELNS1_11target_archE1100ELNS1_3gpuE3ELNS1_3repE0EEENS1_30default_config_static_selectorELNS0_4arch9wavefront6targetE1EEEvT1_,comdat
	.globl	_ZN7rocprim17ROCPRIM_400000_NS6detail17trampoline_kernelINS0_14default_configENS1_25partition_config_selectorILNS1_17partition_subalgoE9EllbEEZZNS1_14partition_implILS5_9ELb0ES3_jPlS8_PNS0_10empty_typeENS0_5tupleIJS8_S9_EEENSB_IJS8_SA_EEENS0_18inequality_wrapperIZN2at6native12_GLOBAL__N_124unique_dim_cuda_templateIfEESt5tupleIJNSF_6TensorESK_SK_EERKSK_lbbbEUlllE0_EEPmJS9_EEE10hipError_tPvRmT3_T4_T5_T6_T7_T9_mT8_P12ihipStream_tbDpT10_ENKUlT_T0_E_clISt17integral_constantIbLb1EES1A_EEDaS15_S16_EUlS15_E_NS1_11comp_targetILNS1_3genE9ELNS1_11target_archE1100ELNS1_3gpuE3ELNS1_3repE0EEENS1_30default_config_static_selectorELNS0_4arch9wavefront6targetE1EEEvT1_ ; -- Begin function _ZN7rocprim17ROCPRIM_400000_NS6detail17trampoline_kernelINS0_14default_configENS1_25partition_config_selectorILNS1_17partition_subalgoE9EllbEEZZNS1_14partition_implILS5_9ELb0ES3_jPlS8_PNS0_10empty_typeENS0_5tupleIJS8_S9_EEENSB_IJS8_SA_EEENS0_18inequality_wrapperIZN2at6native12_GLOBAL__N_124unique_dim_cuda_templateIfEESt5tupleIJNSF_6TensorESK_SK_EERKSK_lbbbEUlllE0_EEPmJS9_EEE10hipError_tPvRmT3_T4_T5_T6_T7_T9_mT8_P12ihipStream_tbDpT10_ENKUlT_T0_E_clISt17integral_constantIbLb1EES1A_EEDaS15_S16_EUlS15_E_NS1_11comp_targetILNS1_3genE9ELNS1_11target_archE1100ELNS1_3gpuE3ELNS1_3repE0EEENS1_30default_config_static_selectorELNS0_4arch9wavefront6targetE1EEEvT1_
	.p2align	8
	.type	_ZN7rocprim17ROCPRIM_400000_NS6detail17trampoline_kernelINS0_14default_configENS1_25partition_config_selectorILNS1_17partition_subalgoE9EllbEEZZNS1_14partition_implILS5_9ELb0ES3_jPlS8_PNS0_10empty_typeENS0_5tupleIJS8_S9_EEENSB_IJS8_SA_EEENS0_18inequality_wrapperIZN2at6native12_GLOBAL__N_124unique_dim_cuda_templateIfEESt5tupleIJNSF_6TensorESK_SK_EERKSK_lbbbEUlllE0_EEPmJS9_EEE10hipError_tPvRmT3_T4_T5_T6_T7_T9_mT8_P12ihipStream_tbDpT10_ENKUlT_T0_E_clISt17integral_constantIbLb1EES1A_EEDaS15_S16_EUlS15_E_NS1_11comp_targetILNS1_3genE9ELNS1_11target_archE1100ELNS1_3gpuE3ELNS1_3repE0EEENS1_30default_config_static_selectorELNS0_4arch9wavefront6targetE1EEEvT1_,@function
_ZN7rocprim17ROCPRIM_400000_NS6detail17trampoline_kernelINS0_14default_configENS1_25partition_config_selectorILNS1_17partition_subalgoE9EllbEEZZNS1_14partition_implILS5_9ELb0ES3_jPlS8_PNS0_10empty_typeENS0_5tupleIJS8_S9_EEENSB_IJS8_SA_EEENS0_18inequality_wrapperIZN2at6native12_GLOBAL__N_124unique_dim_cuda_templateIfEESt5tupleIJNSF_6TensorESK_SK_EERKSK_lbbbEUlllE0_EEPmJS9_EEE10hipError_tPvRmT3_T4_T5_T6_T7_T9_mT8_P12ihipStream_tbDpT10_ENKUlT_T0_E_clISt17integral_constantIbLb1EES1A_EEDaS15_S16_EUlS15_E_NS1_11comp_targetILNS1_3genE9ELNS1_11target_archE1100ELNS1_3gpuE3ELNS1_3repE0EEENS1_30default_config_static_selectorELNS0_4arch9wavefront6targetE1EEEvT1_: ; @_ZN7rocprim17ROCPRIM_400000_NS6detail17trampoline_kernelINS0_14default_configENS1_25partition_config_selectorILNS1_17partition_subalgoE9EllbEEZZNS1_14partition_implILS5_9ELb0ES3_jPlS8_PNS0_10empty_typeENS0_5tupleIJS8_S9_EEENSB_IJS8_SA_EEENS0_18inequality_wrapperIZN2at6native12_GLOBAL__N_124unique_dim_cuda_templateIfEESt5tupleIJNSF_6TensorESK_SK_EERKSK_lbbbEUlllE0_EEPmJS9_EEE10hipError_tPvRmT3_T4_T5_T6_T7_T9_mT8_P12ihipStream_tbDpT10_ENKUlT_T0_E_clISt17integral_constantIbLb1EES1A_EEDaS15_S16_EUlS15_E_NS1_11comp_targetILNS1_3genE9ELNS1_11target_archE1100ELNS1_3gpuE3ELNS1_3repE0EEENS1_30default_config_static_selectorELNS0_4arch9wavefront6targetE1EEEvT1_
; %bb.0:
	.section	.rodata,"a",@progbits
	.p2align	6, 0x0
	.amdhsa_kernel _ZN7rocprim17ROCPRIM_400000_NS6detail17trampoline_kernelINS0_14default_configENS1_25partition_config_selectorILNS1_17partition_subalgoE9EllbEEZZNS1_14partition_implILS5_9ELb0ES3_jPlS8_PNS0_10empty_typeENS0_5tupleIJS8_S9_EEENSB_IJS8_SA_EEENS0_18inequality_wrapperIZN2at6native12_GLOBAL__N_124unique_dim_cuda_templateIfEESt5tupleIJNSF_6TensorESK_SK_EERKSK_lbbbEUlllE0_EEPmJS9_EEE10hipError_tPvRmT3_T4_T5_T6_T7_T9_mT8_P12ihipStream_tbDpT10_ENKUlT_T0_E_clISt17integral_constantIbLb1EES1A_EEDaS15_S16_EUlS15_E_NS1_11comp_targetILNS1_3genE9ELNS1_11target_archE1100ELNS1_3gpuE3ELNS1_3repE0EEENS1_30default_config_static_selectorELNS0_4arch9wavefront6targetE1EEEvT1_
		.amdhsa_group_segment_fixed_size 0
		.amdhsa_private_segment_fixed_size 0
		.amdhsa_kernarg_size 136
		.amdhsa_user_sgpr_count 2
		.amdhsa_user_sgpr_dispatch_ptr 0
		.amdhsa_user_sgpr_queue_ptr 0
		.amdhsa_user_sgpr_kernarg_segment_ptr 1
		.amdhsa_user_sgpr_dispatch_id 0
		.amdhsa_user_sgpr_kernarg_preload_length 0
		.amdhsa_user_sgpr_kernarg_preload_offset 0
		.amdhsa_user_sgpr_private_segment_size 0
		.amdhsa_uses_dynamic_stack 0
		.amdhsa_enable_private_segment 0
		.amdhsa_system_sgpr_workgroup_id_x 1
		.amdhsa_system_sgpr_workgroup_id_y 0
		.amdhsa_system_sgpr_workgroup_id_z 0
		.amdhsa_system_sgpr_workgroup_info 0
		.amdhsa_system_vgpr_workitem_id 0
		.amdhsa_next_free_vgpr 1
		.amdhsa_next_free_sgpr 0
		.amdhsa_accum_offset 4
		.amdhsa_reserve_vcc 0
		.amdhsa_float_round_mode_32 0
		.amdhsa_float_round_mode_16_64 0
		.amdhsa_float_denorm_mode_32 3
		.amdhsa_float_denorm_mode_16_64 3
		.amdhsa_dx10_clamp 1
		.amdhsa_ieee_mode 1
		.amdhsa_fp16_overflow 0
		.amdhsa_tg_split 0
		.amdhsa_exception_fp_ieee_invalid_op 0
		.amdhsa_exception_fp_denorm_src 0
		.amdhsa_exception_fp_ieee_div_zero 0
		.amdhsa_exception_fp_ieee_overflow 0
		.amdhsa_exception_fp_ieee_underflow 0
		.amdhsa_exception_fp_ieee_inexact 0
		.amdhsa_exception_int_div_zero 0
	.end_amdhsa_kernel
	.section	.text._ZN7rocprim17ROCPRIM_400000_NS6detail17trampoline_kernelINS0_14default_configENS1_25partition_config_selectorILNS1_17partition_subalgoE9EllbEEZZNS1_14partition_implILS5_9ELb0ES3_jPlS8_PNS0_10empty_typeENS0_5tupleIJS8_S9_EEENSB_IJS8_SA_EEENS0_18inequality_wrapperIZN2at6native12_GLOBAL__N_124unique_dim_cuda_templateIfEESt5tupleIJNSF_6TensorESK_SK_EERKSK_lbbbEUlllE0_EEPmJS9_EEE10hipError_tPvRmT3_T4_T5_T6_T7_T9_mT8_P12ihipStream_tbDpT10_ENKUlT_T0_E_clISt17integral_constantIbLb1EES1A_EEDaS15_S16_EUlS15_E_NS1_11comp_targetILNS1_3genE9ELNS1_11target_archE1100ELNS1_3gpuE3ELNS1_3repE0EEENS1_30default_config_static_selectorELNS0_4arch9wavefront6targetE1EEEvT1_,"axG",@progbits,_ZN7rocprim17ROCPRIM_400000_NS6detail17trampoline_kernelINS0_14default_configENS1_25partition_config_selectorILNS1_17partition_subalgoE9EllbEEZZNS1_14partition_implILS5_9ELb0ES3_jPlS8_PNS0_10empty_typeENS0_5tupleIJS8_S9_EEENSB_IJS8_SA_EEENS0_18inequality_wrapperIZN2at6native12_GLOBAL__N_124unique_dim_cuda_templateIfEESt5tupleIJNSF_6TensorESK_SK_EERKSK_lbbbEUlllE0_EEPmJS9_EEE10hipError_tPvRmT3_T4_T5_T6_T7_T9_mT8_P12ihipStream_tbDpT10_ENKUlT_T0_E_clISt17integral_constantIbLb1EES1A_EEDaS15_S16_EUlS15_E_NS1_11comp_targetILNS1_3genE9ELNS1_11target_archE1100ELNS1_3gpuE3ELNS1_3repE0EEENS1_30default_config_static_selectorELNS0_4arch9wavefront6targetE1EEEvT1_,comdat
.Lfunc_end975:
	.size	_ZN7rocprim17ROCPRIM_400000_NS6detail17trampoline_kernelINS0_14default_configENS1_25partition_config_selectorILNS1_17partition_subalgoE9EllbEEZZNS1_14partition_implILS5_9ELb0ES3_jPlS8_PNS0_10empty_typeENS0_5tupleIJS8_S9_EEENSB_IJS8_SA_EEENS0_18inequality_wrapperIZN2at6native12_GLOBAL__N_124unique_dim_cuda_templateIfEESt5tupleIJNSF_6TensorESK_SK_EERKSK_lbbbEUlllE0_EEPmJS9_EEE10hipError_tPvRmT3_T4_T5_T6_T7_T9_mT8_P12ihipStream_tbDpT10_ENKUlT_T0_E_clISt17integral_constantIbLb1EES1A_EEDaS15_S16_EUlS15_E_NS1_11comp_targetILNS1_3genE9ELNS1_11target_archE1100ELNS1_3gpuE3ELNS1_3repE0EEENS1_30default_config_static_selectorELNS0_4arch9wavefront6targetE1EEEvT1_, .Lfunc_end975-_ZN7rocprim17ROCPRIM_400000_NS6detail17trampoline_kernelINS0_14default_configENS1_25partition_config_selectorILNS1_17partition_subalgoE9EllbEEZZNS1_14partition_implILS5_9ELb0ES3_jPlS8_PNS0_10empty_typeENS0_5tupleIJS8_S9_EEENSB_IJS8_SA_EEENS0_18inequality_wrapperIZN2at6native12_GLOBAL__N_124unique_dim_cuda_templateIfEESt5tupleIJNSF_6TensorESK_SK_EERKSK_lbbbEUlllE0_EEPmJS9_EEE10hipError_tPvRmT3_T4_T5_T6_T7_T9_mT8_P12ihipStream_tbDpT10_ENKUlT_T0_E_clISt17integral_constantIbLb1EES1A_EEDaS15_S16_EUlS15_E_NS1_11comp_targetILNS1_3genE9ELNS1_11target_archE1100ELNS1_3gpuE3ELNS1_3repE0EEENS1_30default_config_static_selectorELNS0_4arch9wavefront6targetE1EEEvT1_
                                        ; -- End function
	.set _ZN7rocprim17ROCPRIM_400000_NS6detail17trampoline_kernelINS0_14default_configENS1_25partition_config_selectorILNS1_17partition_subalgoE9EllbEEZZNS1_14partition_implILS5_9ELb0ES3_jPlS8_PNS0_10empty_typeENS0_5tupleIJS8_S9_EEENSB_IJS8_SA_EEENS0_18inequality_wrapperIZN2at6native12_GLOBAL__N_124unique_dim_cuda_templateIfEESt5tupleIJNSF_6TensorESK_SK_EERKSK_lbbbEUlllE0_EEPmJS9_EEE10hipError_tPvRmT3_T4_T5_T6_T7_T9_mT8_P12ihipStream_tbDpT10_ENKUlT_T0_E_clISt17integral_constantIbLb1EES1A_EEDaS15_S16_EUlS15_E_NS1_11comp_targetILNS1_3genE9ELNS1_11target_archE1100ELNS1_3gpuE3ELNS1_3repE0EEENS1_30default_config_static_selectorELNS0_4arch9wavefront6targetE1EEEvT1_.num_vgpr, 0
	.set _ZN7rocprim17ROCPRIM_400000_NS6detail17trampoline_kernelINS0_14default_configENS1_25partition_config_selectorILNS1_17partition_subalgoE9EllbEEZZNS1_14partition_implILS5_9ELb0ES3_jPlS8_PNS0_10empty_typeENS0_5tupleIJS8_S9_EEENSB_IJS8_SA_EEENS0_18inequality_wrapperIZN2at6native12_GLOBAL__N_124unique_dim_cuda_templateIfEESt5tupleIJNSF_6TensorESK_SK_EERKSK_lbbbEUlllE0_EEPmJS9_EEE10hipError_tPvRmT3_T4_T5_T6_T7_T9_mT8_P12ihipStream_tbDpT10_ENKUlT_T0_E_clISt17integral_constantIbLb1EES1A_EEDaS15_S16_EUlS15_E_NS1_11comp_targetILNS1_3genE9ELNS1_11target_archE1100ELNS1_3gpuE3ELNS1_3repE0EEENS1_30default_config_static_selectorELNS0_4arch9wavefront6targetE1EEEvT1_.num_agpr, 0
	.set _ZN7rocprim17ROCPRIM_400000_NS6detail17trampoline_kernelINS0_14default_configENS1_25partition_config_selectorILNS1_17partition_subalgoE9EllbEEZZNS1_14partition_implILS5_9ELb0ES3_jPlS8_PNS0_10empty_typeENS0_5tupleIJS8_S9_EEENSB_IJS8_SA_EEENS0_18inequality_wrapperIZN2at6native12_GLOBAL__N_124unique_dim_cuda_templateIfEESt5tupleIJNSF_6TensorESK_SK_EERKSK_lbbbEUlllE0_EEPmJS9_EEE10hipError_tPvRmT3_T4_T5_T6_T7_T9_mT8_P12ihipStream_tbDpT10_ENKUlT_T0_E_clISt17integral_constantIbLb1EES1A_EEDaS15_S16_EUlS15_E_NS1_11comp_targetILNS1_3genE9ELNS1_11target_archE1100ELNS1_3gpuE3ELNS1_3repE0EEENS1_30default_config_static_selectorELNS0_4arch9wavefront6targetE1EEEvT1_.numbered_sgpr, 0
	.set _ZN7rocprim17ROCPRIM_400000_NS6detail17trampoline_kernelINS0_14default_configENS1_25partition_config_selectorILNS1_17partition_subalgoE9EllbEEZZNS1_14partition_implILS5_9ELb0ES3_jPlS8_PNS0_10empty_typeENS0_5tupleIJS8_S9_EEENSB_IJS8_SA_EEENS0_18inequality_wrapperIZN2at6native12_GLOBAL__N_124unique_dim_cuda_templateIfEESt5tupleIJNSF_6TensorESK_SK_EERKSK_lbbbEUlllE0_EEPmJS9_EEE10hipError_tPvRmT3_T4_T5_T6_T7_T9_mT8_P12ihipStream_tbDpT10_ENKUlT_T0_E_clISt17integral_constantIbLb1EES1A_EEDaS15_S16_EUlS15_E_NS1_11comp_targetILNS1_3genE9ELNS1_11target_archE1100ELNS1_3gpuE3ELNS1_3repE0EEENS1_30default_config_static_selectorELNS0_4arch9wavefront6targetE1EEEvT1_.num_named_barrier, 0
	.set _ZN7rocprim17ROCPRIM_400000_NS6detail17trampoline_kernelINS0_14default_configENS1_25partition_config_selectorILNS1_17partition_subalgoE9EllbEEZZNS1_14partition_implILS5_9ELb0ES3_jPlS8_PNS0_10empty_typeENS0_5tupleIJS8_S9_EEENSB_IJS8_SA_EEENS0_18inequality_wrapperIZN2at6native12_GLOBAL__N_124unique_dim_cuda_templateIfEESt5tupleIJNSF_6TensorESK_SK_EERKSK_lbbbEUlllE0_EEPmJS9_EEE10hipError_tPvRmT3_T4_T5_T6_T7_T9_mT8_P12ihipStream_tbDpT10_ENKUlT_T0_E_clISt17integral_constantIbLb1EES1A_EEDaS15_S16_EUlS15_E_NS1_11comp_targetILNS1_3genE9ELNS1_11target_archE1100ELNS1_3gpuE3ELNS1_3repE0EEENS1_30default_config_static_selectorELNS0_4arch9wavefront6targetE1EEEvT1_.private_seg_size, 0
	.set _ZN7rocprim17ROCPRIM_400000_NS6detail17trampoline_kernelINS0_14default_configENS1_25partition_config_selectorILNS1_17partition_subalgoE9EllbEEZZNS1_14partition_implILS5_9ELb0ES3_jPlS8_PNS0_10empty_typeENS0_5tupleIJS8_S9_EEENSB_IJS8_SA_EEENS0_18inequality_wrapperIZN2at6native12_GLOBAL__N_124unique_dim_cuda_templateIfEESt5tupleIJNSF_6TensorESK_SK_EERKSK_lbbbEUlllE0_EEPmJS9_EEE10hipError_tPvRmT3_T4_T5_T6_T7_T9_mT8_P12ihipStream_tbDpT10_ENKUlT_T0_E_clISt17integral_constantIbLb1EES1A_EEDaS15_S16_EUlS15_E_NS1_11comp_targetILNS1_3genE9ELNS1_11target_archE1100ELNS1_3gpuE3ELNS1_3repE0EEENS1_30default_config_static_selectorELNS0_4arch9wavefront6targetE1EEEvT1_.uses_vcc, 0
	.set _ZN7rocprim17ROCPRIM_400000_NS6detail17trampoline_kernelINS0_14default_configENS1_25partition_config_selectorILNS1_17partition_subalgoE9EllbEEZZNS1_14partition_implILS5_9ELb0ES3_jPlS8_PNS0_10empty_typeENS0_5tupleIJS8_S9_EEENSB_IJS8_SA_EEENS0_18inequality_wrapperIZN2at6native12_GLOBAL__N_124unique_dim_cuda_templateIfEESt5tupleIJNSF_6TensorESK_SK_EERKSK_lbbbEUlllE0_EEPmJS9_EEE10hipError_tPvRmT3_T4_T5_T6_T7_T9_mT8_P12ihipStream_tbDpT10_ENKUlT_T0_E_clISt17integral_constantIbLb1EES1A_EEDaS15_S16_EUlS15_E_NS1_11comp_targetILNS1_3genE9ELNS1_11target_archE1100ELNS1_3gpuE3ELNS1_3repE0EEENS1_30default_config_static_selectorELNS0_4arch9wavefront6targetE1EEEvT1_.uses_flat_scratch, 0
	.set _ZN7rocprim17ROCPRIM_400000_NS6detail17trampoline_kernelINS0_14default_configENS1_25partition_config_selectorILNS1_17partition_subalgoE9EllbEEZZNS1_14partition_implILS5_9ELb0ES3_jPlS8_PNS0_10empty_typeENS0_5tupleIJS8_S9_EEENSB_IJS8_SA_EEENS0_18inequality_wrapperIZN2at6native12_GLOBAL__N_124unique_dim_cuda_templateIfEESt5tupleIJNSF_6TensorESK_SK_EERKSK_lbbbEUlllE0_EEPmJS9_EEE10hipError_tPvRmT3_T4_T5_T6_T7_T9_mT8_P12ihipStream_tbDpT10_ENKUlT_T0_E_clISt17integral_constantIbLb1EES1A_EEDaS15_S16_EUlS15_E_NS1_11comp_targetILNS1_3genE9ELNS1_11target_archE1100ELNS1_3gpuE3ELNS1_3repE0EEENS1_30default_config_static_selectorELNS0_4arch9wavefront6targetE1EEEvT1_.has_dyn_sized_stack, 0
	.set _ZN7rocprim17ROCPRIM_400000_NS6detail17trampoline_kernelINS0_14default_configENS1_25partition_config_selectorILNS1_17partition_subalgoE9EllbEEZZNS1_14partition_implILS5_9ELb0ES3_jPlS8_PNS0_10empty_typeENS0_5tupleIJS8_S9_EEENSB_IJS8_SA_EEENS0_18inequality_wrapperIZN2at6native12_GLOBAL__N_124unique_dim_cuda_templateIfEESt5tupleIJNSF_6TensorESK_SK_EERKSK_lbbbEUlllE0_EEPmJS9_EEE10hipError_tPvRmT3_T4_T5_T6_T7_T9_mT8_P12ihipStream_tbDpT10_ENKUlT_T0_E_clISt17integral_constantIbLb1EES1A_EEDaS15_S16_EUlS15_E_NS1_11comp_targetILNS1_3genE9ELNS1_11target_archE1100ELNS1_3gpuE3ELNS1_3repE0EEENS1_30default_config_static_selectorELNS0_4arch9wavefront6targetE1EEEvT1_.has_recursion, 0
	.set _ZN7rocprim17ROCPRIM_400000_NS6detail17trampoline_kernelINS0_14default_configENS1_25partition_config_selectorILNS1_17partition_subalgoE9EllbEEZZNS1_14partition_implILS5_9ELb0ES3_jPlS8_PNS0_10empty_typeENS0_5tupleIJS8_S9_EEENSB_IJS8_SA_EEENS0_18inequality_wrapperIZN2at6native12_GLOBAL__N_124unique_dim_cuda_templateIfEESt5tupleIJNSF_6TensorESK_SK_EERKSK_lbbbEUlllE0_EEPmJS9_EEE10hipError_tPvRmT3_T4_T5_T6_T7_T9_mT8_P12ihipStream_tbDpT10_ENKUlT_T0_E_clISt17integral_constantIbLb1EES1A_EEDaS15_S16_EUlS15_E_NS1_11comp_targetILNS1_3genE9ELNS1_11target_archE1100ELNS1_3gpuE3ELNS1_3repE0EEENS1_30default_config_static_selectorELNS0_4arch9wavefront6targetE1EEEvT1_.has_indirect_call, 0
	.section	.AMDGPU.csdata,"",@progbits
; Kernel info:
; codeLenInByte = 0
; TotalNumSgprs: 6
; NumVgprs: 0
; NumAgprs: 0
; TotalNumVgprs: 0
; ScratchSize: 0
; MemoryBound: 0
; FloatMode: 240
; IeeeMode: 1
; LDSByteSize: 0 bytes/workgroup (compile time only)
; SGPRBlocks: 0
; VGPRBlocks: 0
; NumSGPRsForWavesPerEU: 6
; NumVGPRsForWavesPerEU: 1
; AccumOffset: 4
; Occupancy: 8
; WaveLimiterHint : 0
; COMPUTE_PGM_RSRC2:SCRATCH_EN: 0
; COMPUTE_PGM_RSRC2:USER_SGPR: 2
; COMPUTE_PGM_RSRC2:TRAP_HANDLER: 0
; COMPUTE_PGM_RSRC2:TGID_X_EN: 1
; COMPUTE_PGM_RSRC2:TGID_Y_EN: 0
; COMPUTE_PGM_RSRC2:TGID_Z_EN: 0
; COMPUTE_PGM_RSRC2:TIDIG_COMP_CNT: 0
; COMPUTE_PGM_RSRC3_GFX90A:ACCUM_OFFSET: 0
; COMPUTE_PGM_RSRC3_GFX90A:TG_SPLIT: 0
	.section	.text._ZN7rocprim17ROCPRIM_400000_NS6detail17trampoline_kernelINS0_14default_configENS1_25partition_config_selectorILNS1_17partition_subalgoE9EllbEEZZNS1_14partition_implILS5_9ELb0ES3_jPlS8_PNS0_10empty_typeENS0_5tupleIJS8_S9_EEENSB_IJS8_SA_EEENS0_18inequality_wrapperIZN2at6native12_GLOBAL__N_124unique_dim_cuda_templateIfEESt5tupleIJNSF_6TensorESK_SK_EERKSK_lbbbEUlllE0_EEPmJS9_EEE10hipError_tPvRmT3_T4_T5_T6_T7_T9_mT8_P12ihipStream_tbDpT10_ENKUlT_T0_E_clISt17integral_constantIbLb1EES1A_EEDaS15_S16_EUlS15_E_NS1_11comp_targetILNS1_3genE8ELNS1_11target_archE1030ELNS1_3gpuE2ELNS1_3repE0EEENS1_30default_config_static_selectorELNS0_4arch9wavefront6targetE1EEEvT1_,"axG",@progbits,_ZN7rocprim17ROCPRIM_400000_NS6detail17trampoline_kernelINS0_14default_configENS1_25partition_config_selectorILNS1_17partition_subalgoE9EllbEEZZNS1_14partition_implILS5_9ELb0ES3_jPlS8_PNS0_10empty_typeENS0_5tupleIJS8_S9_EEENSB_IJS8_SA_EEENS0_18inequality_wrapperIZN2at6native12_GLOBAL__N_124unique_dim_cuda_templateIfEESt5tupleIJNSF_6TensorESK_SK_EERKSK_lbbbEUlllE0_EEPmJS9_EEE10hipError_tPvRmT3_T4_T5_T6_T7_T9_mT8_P12ihipStream_tbDpT10_ENKUlT_T0_E_clISt17integral_constantIbLb1EES1A_EEDaS15_S16_EUlS15_E_NS1_11comp_targetILNS1_3genE8ELNS1_11target_archE1030ELNS1_3gpuE2ELNS1_3repE0EEENS1_30default_config_static_selectorELNS0_4arch9wavefront6targetE1EEEvT1_,comdat
	.globl	_ZN7rocprim17ROCPRIM_400000_NS6detail17trampoline_kernelINS0_14default_configENS1_25partition_config_selectorILNS1_17partition_subalgoE9EllbEEZZNS1_14partition_implILS5_9ELb0ES3_jPlS8_PNS0_10empty_typeENS0_5tupleIJS8_S9_EEENSB_IJS8_SA_EEENS0_18inequality_wrapperIZN2at6native12_GLOBAL__N_124unique_dim_cuda_templateIfEESt5tupleIJNSF_6TensorESK_SK_EERKSK_lbbbEUlllE0_EEPmJS9_EEE10hipError_tPvRmT3_T4_T5_T6_T7_T9_mT8_P12ihipStream_tbDpT10_ENKUlT_T0_E_clISt17integral_constantIbLb1EES1A_EEDaS15_S16_EUlS15_E_NS1_11comp_targetILNS1_3genE8ELNS1_11target_archE1030ELNS1_3gpuE2ELNS1_3repE0EEENS1_30default_config_static_selectorELNS0_4arch9wavefront6targetE1EEEvT1_ ; -- Begin function _ZN7rocprim17ROCPRIM_400000_NS6detail17trampoline_kernelINS0_14default_configENS1_25partition_config_selectorILNS1_17partition_subalgoE9EllbEEZZNS1_14partition_implILS5_9ELb0ES3_jPlS8_PNS0_10empty_typeENS0_5tupleIJS8_S9_EEENSB_IJS8_SA_EEENS0_18inequality_wrapperIZN2at6native12_GLOBAL__N_124unique_dim_cuda_templateIfEESt5tupleIJNSF_6TensorESK_SK_EERKSK_lbbbEUlllE0_EEPmJS9_EEE10hipError_tPvRmT3_T4_T5_T6_T7_T9_mT8_P12ihipStream_tbDpT10_ENKUlT_T0_E_clISt17integral_constantIbLb1EES1A_EEDaS15_S16_EUlS15_E_NS1_11comp_targetILNS1_3genE8ELNS1_11target_archE1030ELNS1_3gpuE2ELNS1_3repE0EEENS1_30default_config_static_selectorELNS0_4arch9wavefront6targetE1EEEvT1_
	.p2align	8
	.type	_ZN7rocprim17ROCPRIM_400000_NS6detail17trampoline_kernelINS0_14default_configENS1_25partition_config_selectorILNS1_17partition_subalgoE9EllbEEZZNS1_14partition_implILS5_9ELb0ES3_jPlS8_PNS0_10empty_typeENS0_5tupleIJS8_S9_EEENSB_IJS8_SA_EEENS0_18inequality_wrapperIZN2at6native12_GLOBAL__N_124unique_dim_cuda_templateIfEESt5tupleIJNSF_6TensorESK_SK_EERKSK_lbbbEUlllE0_EEPmJS9_EEE10hipError_tPvRmT3_T4_T5_T6_T7_T9_mT8_P12ihipStream_tbDpT10_ENKUlT_T0_E_clISt17integral_constantIbLb1EES1A_EEDaS15_S16_EUlS15_E_NS1_11comp_targetILNS1_3genE8ELNS1_11target_archE1030ELNS1_3gpuE2ELNS1_3repE0EEENS1_30default_config_static_selectorELNS0_4arch9wavefront6targetE1EEEvT1_,@function
_ZN7rocprim17ROCPRIM_400000_NS6detail17trampoline_kernelINS0_14default_configENS1_25partition_config_selectorILNS1_17partition_subalgoE9EllbEEZZNS1_14partition_implILS5_9ELb0ES3_jPlS8_PNS0_10empty_typeENS0_5tupleIJS8_S9_EEENSB_IJS8_SA_EEENS0_18inequality_wrapperIZN2at6native12_GLOBAL__N_124unique_dim_cuda_templateIfEESt5tupleIJNSF_6TensorESK_SK_EERKSK_lbbbEUlllE0_EEPmJS9_EEE10hipError_tPvRmT3_T4_T5_T6_T7_T9_mT8_P12ihipStream_tbDpT10_ENKUlT_T0_E_clISt17integral_constantIbLb1EES1A_EEDaS15_S16_EUlS15_E_NS1_11comp_targetILNS1_3genE8ELNS1_11target_archE1030ELNS1_3gpuE2ELNS1_3repE0EEENS1_30default_config_static_selectorELNS0_4arch9wavefront6targetE1EEEvT1_: ; @_ZN7rocprim17ROCPRIM_400000_NS6detail17trampoline_kernelINS0_14default_configENS1_25partition_config_selectorILNS1_17partition_subalgoE9EllbEEZZNS1_14partition_implILS5_9ELb0ES3_jPlS8_PNS0_10empty_typeENS0_5tupleIJS8_S9_EEENSB_IJS8_SA_EEENS0_18inequality_wrapperIZN2at6native12_GLOBAL__N_124unique_dim_cuda_templateIfEESt5tupleIJNSF_6TensorESK_SK_EERKSK_lbbbEUlllE0_EEPmJS9_EEE10hipError_tPvRmT3_T4_T5_T6_T7_T9_mT8_P12ihipStream_tbDpT10_ENKUlT_T0_E_clISt17integral_constantIbLb1EES1A_EEDaS15_S16_EUlS15_E_NS1_11comp_targetILNS1_3genE8ELNS1_11target_archE1030ELNS1_3gpuE2ELNS1_3repE0EEENS1_30default_config_static_selectorELNS0_4arch9wavefront6targetE1EEEvT1_
; %bb.0:
	.section	.rodata,"a",@progbits
	.p2align	6, 0x0
	.amdhsa_kernel _ZN7rocprim17ROCPRIM_400000_NS6detail17trampoline_kernelINS0_14default_configENS1_25partition_config_selectorILNS1_17partition_subalgoE9EllbEEZZNS1_14partition_implILS5_9ELb0ES3_jPlS8_PNS0_10empty_typeENS0_5tupleIJS8_S9_EEENSB_IJS8_SA_EEENS0_18inequality_wrapperIZN2at6native12_GLOBAL__N_124unique_dim_cuda_templateIfEESt5tupleIJNSF_6TensorESK_SK_EERKSK_lbbbEUlllE0_EEPmJS9_EEE10hipError_tPvRmT3_T4_T5_T6_T7_T9_mT8_P12ihipStream_tbDpT10_ENKUlT_T0_E_clISt17integral_constantIbLb1EES1A_EEDaS15_S16_EUlS15_E_NS1_11comp_targetILNS1_3genE8ELNS1_11target_archE1030ELNS1_3gpuE2ELNS1_3repE0EEENS1_30default_config_static_selectorELNS0_4arch9wavefront6targetE1EEEvT1_
		.amdhsa_group_segment_fixed_size 0
		.amdhsa_private_segment_fixed_size 0
		.amdhsa_kernarg_size 136
		.amdhsa_user_sgpr_count 2
		.amdhsa_user_sgpr_dispatch_ptr 0
		.amdhsa_user_sgpr_queue_ptr 0
		.amdhsa_user_sgpr_kernarg_segment_ptr 1
		.amdhsa_user_sgpr_dispatch_id 0
		.amdhsa_user_sgpr_kernarg_preload_length 0
		.amdhsa_user_sgpr_kernarg_preload_offset 0
		.amdhsa_user_sgpr_private_segment_size 0
		.amdhsa_uses_dynamic_stack 0
		.amdhsa_enable_private_segment 0
		.amdhsa_system_sgpr_workgroup_id_x 1
		.amdhsa_system_sgpr_workgroup_id_y 0
		.amdhsa_system_sgpr_workgroup_id_z 0
		.amdhsa_system_sgpr_workgroup_info 0
		.amdhsa_system_vgpr_workitem_id 0
		.amdhsa_next_free_vgpr 1
		.amdhsa_next_free_sgpr 0
		.amdhsa_accum_offset 4
		.amdhsa_reserve_vcc 0
		.amdhsa_float_round_mode_32 0
		.amdhsa_float_round_mode_16_64 0
		.amdhsa_float_denorm_mode_32 3
		.amdhsa_float_denorm_mode_16_64 3
		.amdhsa_dx10_clamp 1
		.amdhsa_ieee_mode 1
		.amdhsa_fp16_overflow 0
		.amdhsa_tg_split 0
		.amdhsa_exception_fp_ieee_invalid_op 0
		.amdhsa_exception_fp_denorm_src 0
		.amdhsa_exception_fp_ieee_div_zero 0
		.amdhsa_exception_fp_ieee_overflow 0
		.amdhsa_exception_fp_ieee_underflow 0
		.amdhsa_exception_fp_ieee_inexact 0
		.amdhsa_exception_int_div_zero 0
	.end_amdhsa_kernel
	.section	.text._ZN7rocprim17ROCPRIM_400000_NS6detail17trampoline_kernelINS0_14default_configENS1_25partition_config_selectorILNS1_17partition_subalgoE9EllbEEZZNS1_14partition_implILS5_9ELb0ES3_jPlS8_PNS0_10empty_typeENS0_5tupleIJS8_S9_EEENSB_IJS8_SA_EEENS0_18inequality_wrapperIZN2at6native12_GLOBAL__N_124unique_dim_cuda_templateIfEESt5tupleIJNSF_6TensorESK_SK_EERKSK_lbbbEUlllE0_EEPmJS9_EEE10hipError_tPvRmT3_T4_T5_T6_T7_T9_mT8_P12ihipStream_tbDpT10_ENKUlT_T0_E_clISt17integral_constantIbLb1EES1A_EEDaS15_S16_EUlS15_E_NS1_11comp_targetILNS1_3genE8ELNS1_11target_archE1030ELNS1_3gpuE2ELNS1_3repE0EEENS1_30default_config_static_selectorELNS0_4arch9wavefront6targetE1EEEvT1_,"axG",@progbits,_ZN7rocprim17ROCPRIM_400000_NS6detail17trampoline_kernelINS0_14default_configENS1_25partition_config_selectorILNS1_17partition_subalgoE9EllbEEZZNS1_14partition_implILS5_9ELb0ES3_jPlS8_PNS0_10empty_typeENS0_5tupleIJS8_S9_EEENSB_IJS8_SA_EEENS0_18inequality_wrapperIZN2at6native12_GLOBAL__N_124unique_dim_cuda_templateIfEESt5tupleIJNSF_6TensorESK_SK_EERKSK_lbbbEUlllE0_EEPmJS9_EEE10hipError_tPvRmT3_T4_T5_T6_T7_T9_mT8_P12ihipStream_tbDpT10_ENKUlT_T0_E_clISt17integral_constantIbLb1EES1A_EEDaS15_S16_EUlS15_E_NS1_11comp_targetILNS1_3genE8ELNS1_11target_archE1030ELNS1_3gpuE2ELNS1_3repE0EEENS1_30default_config_static_selectorELNS0_4arch9wavefront6targetE1EEEvT1_,comdat
.Lfunc_end976:
	.size	_ZN7rocprim17ROCPRIM_400000_NS6detail17trampoline_kernelINS0_14default_configENS1_25partition_config_selectorILNS1_17partition_subalgoE9EllbEEZZNS1_14partition_implILS5_9ELb0ES3_jPlS8_PNS0_10empty_typeENS0_5tupleIJS8_S9_EEENSB_IJS8_SA_EEENS0_18inequality_wrapperIZN2at6native12_GLOBAL__N_124unique_dim_cuda_templateIfEESt5tupleIJNSF_6TensorESK_SK_EERKSK_lbbbEUlllE0_EEPmJS9_EEE10hipError_tPvRmT3_T4_T5_T6_T7_T9_mT8_P12ihipStream_tbDpT10_ENKUlT_T0_E_clISt17integral_constantIbLb1EES1A_EEDaS15_S16_EUlS15_E_NS1_11comp_targetILNS1_3genE8ELNS1_11target_archE1030ELNS1_3gpuE2ELNS1_3repE0EEENS1_30default_config_static_selectorELNS0_4arch9wavefront6targetE1EEEvT1_, .Lfunc_end976-_ZN7rocprim17ROCPRIM_400000_NS6detail17trampoline_kernelINS0_14default_configENS1_25partition_config_selectorILNS1_17partition_subalgoE9EllbEEZZNS1_14partition_implILS5_9ELb0ES3_jPlS8_PNS0_10empty_typeENS0_5tupleIJS8_S9_EEENSB_IJS8_SA_EEENS0_18inequality_wrapperIZN2at6native12_GLOBAL__N_124unique_dim_cuda_templateIfEESt5tupleIJNSF_6TensorESK_SK_EERKSK_lbbbEUlllE0_EEPmJS9_EEE10hipError_tPvRmT3_T4_T5_T6_T7_T9_mT8_P12ihipStream_tbDpT10_ENKUlT_T0_E_clISt17integral_constantIbLb1EES1A_EEDaS15_S16_EUlS15_E_NS1_11comp_targetILNS1_3genE8ELNS1_11target_archE1030ELNS1_3gpuE2ELNS1_3repE0EEENS1_30default_config_static_selectorELNS0_4arch9wavefront6targetE1EEEvT1_
                                        ; -- End function
	.set _ZN7rocprim17ROCPRIM_400000_NS6detail17trampoline_kernelINS0_14default_configENS1_25partition_config_selectorILNS1_17partition_subalgoE9EllbEEZZNS1_14partition_implILS5_9ELb0ES3_jPlS8_PNS0_10empty_typeENS0_5tupleIJS8_S9_EEENSB_IJS8_SA_EEENS0_18inequality_wrapperIZN2at6native12_GLOBAL__N_124unique_dim_cuda_templateIfEESt5tupleIJNSF_6TensorESK_SK_EERKSK_lbbbEUlllE0_EEPmJS9_EEE10hipError_tPvRmT3_T4_T5_T6_T7_T9_mT8_P12ihipStream_tbDpT10_ENKUlT_T0_E_clISt17integral_constantIbLb1EES1A_EEDaS15_S16_EUlS15_E_NS1_11comp_targetILNS1_3genE8ELNS1_11target_archE1030ELNS1_3gpuE2ELNS1_3repE0EEENS1_30default_config_static_selectorELNS0_4arch9wavefront6targetE1EEEvT1_.num_vgpr, 0
	.set _ZN7rocprim17ROCPRIM_400000_NS6detail17trampoline_kernelINS0_14default_configENS1_25partition_config_selectorILNS1_17partition_subalgoE9EllbEEZZNS1_14partition_implILS5_9ELb0ES3_jPlS8_PNS0_10empty_typeENS0_5tupleIJS8_S9_EEENSB_IJS8_SA_EEENS0_18inequality_wrapperIZN2at6native12_GLOBAL__N_124unique_dim_cuda_templateIfEESt5tupleIJNSF_6TensorESK_SK_EERKSK_lbbbEUlllE0_EEPmJS9_EEE10hipError_tPvRmT3_T4_T5_T6_T7_T9_mT8_P12ihipStream_tbDpT10_ENKUlT_T0_E_clISt17integral_constantIbLb1EES1A_EEDaS15_S16_EUlS15_E_NS1_11comp_targetILNS1_3genE8ELNS1_11target_archE1030ELNS1_3gpuE2ELNS1_3repE0EEENS1_30default_config_static_selectorELNS0_4arch9wavefront6targetE1EEEvT1_.num_agpr, 0
	.set _ZN7rocprim17ROCPRIM_400000_NS6detail17trampoline_kernelINS0_14default_configENS1_25partition_config_selectorILNS1_17partition_subalgoE9EllbEEZZNS1_14partition_implILS5_9ELb0ES3_jPlS8_PNS0_10empty_typeENS0_5tupleIJS8_S9_EEENSB_IJS8_SA_EEENS0_18inequality_wrapperIZN2at6native12_GLOBAL__N_124unique_dim_cuda_templateIfEESt5tupleIJNSF_6TensorESK_SK_EERKSK_lbbbEUlllE0_EEPmJS9_EEE10hipError_tPvRmT3_T4_T5_T6_T7_T9_mT8_P12ihipStream_tbDpT10_ENKUlT_T0_E_clISt17integral_constantIbLb1EES1A_EEDaS15_S16_EUlS15_E_NS1_11comp_targetILNS1_3genE8ELNS1_11target_archE1030ELNS1_3gpuE2ELNS1_3repE0EEENS1_30default_config_static_selectorELNS0_4arch9wavefront6targetE1EEEvT1_.numbered_sgpr, 0
	.set _ZN7rocprim17ROCPRIM_400000_NS6detail17trampoline_kernelINS0_14default_configENS1_25partition_config_selectorILNS1_17partition_subalgoE9EllbEEZZNS1_14partition_implILS5_9ELb0ES3_jPlS8_PNS0_10empty_typeENS0_5tupleIJS8_S9_EEENSB_IJS8_SA_EEENS0_18inequality_wrapperIZN2at6native12_GLOBAL__N_124unique_dim_cuda_templateIfEESt5tupleIJNSF_6TensorESK_SK_EERKSK_lbbbEUlllE0_EEPmJS9_EEE10hipError_tPvRmT3_T4_T5_T6_T7_T9_mT8_P12ihipStream_tbDpT10_ENKUlT_T0_E_clISt17integral_constantIbLb1EES1A_EEDaS15_S16_EUlS15_E_NS1_11comp_targetILNS1_3genE8ELNS1_11target_archE1030ELNS1_3gpuE2ELNS1_3repE0EEENS1_30default_config_static_selectorELNS0_4arch9wavefront6targetE1EEEvT1_.num_named_barrier, 0
	.set _ZN7rocprim17ROCPRIM_400000_NS6detail17trampoline_kernelINS0_14default_configENS1_25partition_config_selectorILNS1_17partition_subalgoE9EllbEEZZNS1_14partition_implILS5_9ELb0ES3_jPlS8_PNS0_10empty_typeENS0_5tupleIJS8_S9_EEENSB_IJS8_SA_EEENS0_18inequality_wrapperIZN2at6native12_GLOBAL__N_124unique_dim_cuda_templateIfEESt5tupleIJNSF_6TensorESK_SK_EERKSK_lbbbEUlllE0_EEPmJS9_EEE10hipError_tPvRmT3_T4_T5_T6_T7_T9_mT8_P12ihipStream_tbDpT10_ENKUlT_T0_E_clISt17integral_constantIbLb1EES1A_EEDaS15_S16_EUlS15_E_NS1_11comp_targetILNS1_3genE8ELNS1_11target_archE1030ELNS1_3gpuE2ELNS1_3repE0EEENS1_30default_config_static_selectorELNS0_4arch9wavefront6targetE1EEEvT1_.private_seg_size, 0
	.set _ZN7rocprim17ROCPRIM_400000_NS6detail17trampoline_kernelINS0_14default_configENS1_25partition_config_selectorILNS1_17partition_subalgoE9EllbEEZZNS1_14partition_implILS5_9ELb0ES3_jPlS8_PNS0_10empty_typeENS0_5tupleIJS8_S9_EEENSB_IJS8_SA_EEENS0_18inequality_wrapperIZN2at6native12_GLOBAL__N_124unique_dim_cuda_templateIfEESt5tupleIJNSF_6TensorESK_SK_EERKSK_lbbbEUlllE0_EEPmJS9_EEE10hipError_tPvRmT3_T4_T5_T6_T7_T9_mT8_P12ihipStream_tbDpT10_ENKUlT_T0_E_clISt17integral_constantIbLb1EES1A_EEDaS15_S16_EUlS15_E_NS1_11comp_targetILNS1_3genE8ELNS1_11target_archE1030ELNS1_3gpuE2ELNS1_3repE0EEENS1_30default_config_static_selectorELNS0_4arch9wavefront6targetE1EEEvT1_.uses_vcc, 0
	.set _ZN7rocprim17ROCPRIM_400000_NS6detail17trampoline_kernelINS0_14default_configENS1_25partition_config_selectorILNS1_17partition_subalgoE9EllbEEZZNS1_14partition_implILS5_9ELb0ES3_jPlS8_PNS0_10empty_typeENS0_5tupleIJS8_S9_EEENSB_IJS8_SA_EEENS0_18inequality_wrapperIZN2at6native12_GLOBAL__N_124unique_dim_cuda_templateIfEESt5tupleIJNSF_6TensorESK_SK_EERKSK_lbbbEUlllE0_EEPmJS9_EEE10hipError_tPvRmT3_T4_T5_T6_T7_T9_mT8_P12ihipStream_tbDpT10_ENKUlT_T0_E_clISt17integral_constantIbLb1EES1A_EEDaS15_S16_EUlS15_E_NS1_11comp_targetILNS1_3genE8ELNS1_11target_archE1030ELNS1_3gpuE2ELNS1_3repE0EEENS1_30default_config_static_selectorELNS0_4arch9wavefront6targetE1EEEvT1_.uses_flat_scratch, 0
	.set _ZN7rocprim17ROCPRIM_400000_NS6detail17trampoline_kernelINS0_14default_configENS1_25partition_config_selectorILNS1_17partition_subalgoE9EllbEEZZNS1_14partition_implILS5_9ELb0ES3_jPlS8_PNS0_10empty_typeENS0_5tupleIJS8_S9_EEENSB_IJS8_SA_EEENS0_18inequality_wrapperIZN2at6native12_GLOBAL__N_124unique_dim_cuda_templateIfEESt5tupleIJNSF_6TensorESK_SK_EERKSK_lbbbEUlllE0_EEPmJS9_EEE10hipError_tPvRmT3_T4_T5_T6_T7_T9_mT8_P12ihipStream_tbDpT10_ENKUlT_T0_E_clISt17integral_constantIbLb1EES1A_EEDaS15_S16_EUlS15_E_NS1_11comp_targetILNS1_3genE8ELNS1_11target_archE1030ELNS1_3gpuE2ELNS1_3repE0EEENS1_30default_config_static_selectorELNS0_4arch9wavefront6targetE1EEEvT1_.has_dyn_sized_stack, 0
	.set _ZN7rocprim17ROCPRIM_400000_NS6detail17trampoline_kernelINS0_14default_configENS1_25partition_config_selectorILNS1_17partition_subalgoE9EllbEEZZNS1_14partition_implILS5_9ELb0ES3_jPlS8_PNS0_10empty_typeENS0_5tupleIJS8_S9_EEENSB_IJS8_SA_EEENS0_18inequality_wrapperIZN2at6native12_GLOBAL__N_124unique_dim_cuda_templateIfEESt5tupleIJNSF_6TensorESK_SK_EERKSK_lbbbEUlllE0_EEPmJS9_EEE10hipError_tPvRmT3_T4_T5_T6_T7_T9_mT8_P12ihipStream_tbDpT10_ENKUlT_T0_E_clISt17integral_constantIbLb1EES1A_EEDaS15_S16_EUlS15_E_NS1_11comp_targetILNS1_3genE8ELNS1_11target_archE1030ELNS1_3gpuE2ELNS1_3repE0EEENS1_30default_config_static_selectorELNS0_4arch9wavefront6targetE1EEEvT1_.has_recursion, 0
	.set _ZN7rocprim17ROCPRIM_400000_NS6detail17trampoline_kernelINS0_14default_configENS1_25partition_config_selectorILNS1_17partition_subalgoE9EllbEEZZNS1_14partition_implILS5_9ELb0ES3_jPlS8_PNS0_10empty_typeENS0_5tupleIJS8_S9_EEENSB_IJS8_SA_EEENS0_18inequality_wrapperIZN2at6native12_GLOBAL__N_124unique_dim_cuda_templateIfEESt5tupleIJNSF_6TensorESK_SK_EERKSK_lbbbEUlllE0_EEPmJS9_EEE10hipError_tPvRmT3_T4_T5_T6_T7_T9_mT8_P12ihipStream_tbDpT10_ENKUlT_T0_E_clISt17integral_constantIbLb1EES1A_EEDaS15_S16_EUlS15_E_NS1_11comp_targetILNS1_3genE8ELNS1_11target_archE1030ELNS1_3gpuE2ELNS1_3repE0EEENS1_30default_config_static_selectorELNS0_4arch9wavefront6targetE1EEEvT1_.has_indirect_call, 0
	.section	.AMDGPU.csdata,"",@progbits
; Kernel info:
; codeLenInByte = 0
; TotalNumSgprs: 6
; NumVgprs: 0
; NumAgprs: 0
; TotalNumVgprs: 0
; ScratchSize: 0
; MemoryBound: 0
; FloatMode: 240
; IeeeMode: 1
; LDSByteSize: 0 bytes/workgroup (compile time only)
; SGPRBlocks: 0
; VGPRBlocks: 0
; NumSGPRsForWavesPerEU: 6
; NumVGPRsForWavesPerEU: 1
; AccumOffset: 4
; Occupancy: 8
; WaveLimiterHint : 0
; COMPUTE_PGM_RSRC2:SCRATCH_EN: 0
; COMPUTE_PGM_RSRC2:USER_SGPR: 2
; COMPUTE_PGM_RSRC2:TRAP_HANDLER: 0
; COMPUTE_PGM_RSRC2:TGID_X_EN: 1
; COMPUTE_PGM_RSRC2:TGID_Y_EN: 0
; COMPUTE_PGM_RSRC2:TGID_Z_EN: 0
; COMPUTE_PGM_RSRC2:TIDIG_COMP_CNT: 0
; COMPUTE_PGM_RSRC3_GFX90A:ACCUM_OFFSET: 0
; COMPUTE_PGM_RSRC3_GFX90A:TG_SPLIT: 0
	.section	.text._ZN7rocprim17ROCPRIM_400000_NS6detail17trampoline_kernelINS0_14default_configENS1_25partition_config_selectorILNS1_17partition_subalgoE9EllbEEZZNS1_14partition_implILS5_9ELb0ES3_jPlS8_PNS0_10empty_typeENS0_5tupleIJS8_S9_EEENSB_IJS8_SA_EEENS0_18inequality_wrapperIZN2at6native12_GLOBAL__N_124unique_dim_cuda_templateIfEESt5tupleIJNSF_6TensorESK_SK_EERKSK_lbbbEUlllE0_EEPmJS9_EEE10hipError_tPvRmT3_T4_T5_T6_T7_T9_mT8_P12ihipStream_tbDpT10_ENKUlT_T0_E_clISt17integral_constantIbLb1EES19_IbLb0EEEEDaS15_S16_EUlS15_E_NS1_11comp_targetILNS1_3genE0ELNS1_11target_archE4294967295ELNS1_3gpuE0ELNS1_3repE0EEENS1_30default_config_static_selectorELNS0_4arch9wavefront6targetE1EEEvT1_,"axG",@progbits,_ZN7rocprim17ROCPRIM_400000_NS6detail17trampoline_kernelINS0_14default_configENS1_25partition_config_selectorILNS1_17partition_subalgoE9EllbEEZZNS1_14partition_implILS5_9ELb0ES3_jPlS8_PNS0_10empty_typeENS0_5tupleIJS8_S9_EEENSB_IJS8_SA_EEENS0_18inequality_wrapperIZN2at6native12_GLOBAL__N_124unique_dim_cuda_templateIfEESt5tupleIJNSF_6TensorESK_SK_EERKSK_lbbbEUlllE0_EEPmJS9_EEE10hipError_tPvRmT3_T4_T5_T6_T7_T9_mT8_P12ihipStream_tbDpT10_ENKUlT_T0_E_clISt17integral_constantIbLb1EES19_IbLb0EEEEDaS15_S16_EUlS15_E_NS1_11comp_targetILNS1_3genE0ELNS1_11target_archE4294967295ELNS1_3gpuE0ELNS1_3repE0EEENS1_30default_config_static_selectorELNS0_4arch9wavefront6targetE1EEEvT1_,comdat
	.globl	_ZN7rocprim17ROCPRIM_400000_NS6detail17trampoline_kernelINS0_14default_configENS1_25partition_config_selectorILNS1_17partition_subalgoE9EllbEEZZNS1_14partition_implILS5_9ELb0ES3_jPlS8_PNS0_10empty_typeENS0_5tupleIJS8_S9_EEENSB_IJS8_SA_EEENS0_18inequality_wrapperIZN2at6native12_GLOBAL__N_124unique_dim_cuda_templateIfEESt5tupleIJNSF_6TensorESK_SK_EERKSK_lbbbEUlllE0_EEPmJS9_EEE10hipError_tPvRmT3_T4_T5_T6_T7_T9_mT8_P12ihipStream_tbDpT10_ENKUlT_T0_E_clISt17integral_constantIbLb1EES19_IbLb0EEEEDaS15_S16_EUlS15_E_NS1_11comp_targetILNS1_3genE0ELNS1_11target_archE4294967295ELNS1_3gpuE0ELNS1_3repE0EEENS1_30default_config_static_selectorELNS0_4arch9wavefront6targetE1EEEvT1_ ; -- Begin function _ZN7rocprim17ROCPRIM_400000_NS6detail17trampoline_kernelINS0_14default_configENS1_25partition_config_selectorILNS1_17partition_subalgoE9EllbEEZZNS1_14partition_implILS5_9ELb0ES3_jPlS8_PNS0_10empty_typeENS0_5tupleIJS8_S9_EEENSB_IJS8_SA_EEENS0_18inequality_wrapperIZN2at6native12_GLOBAL__N_124unique_dim_cuda_templateIfEESt5tupleIJNSF_6TensorESK_SK_EERKSK_lbbbEUlllE0_EEPmJS9_EEE10hipError_tPvRmT3_T4_T5_T6_T7_T9_mT8_P12ihipStream_tbDpT10_ENKUlT_T0_E_clISt17integral_constantIbLb1EES19_IbLb0EEEEDaS15_S16_EUlS15_E_NS1_11comp_targetILNS1_3genE0ELNS1_11target_archE4294967295ELNS1_3gpuE0ELNS1_3repE0EEENS1_30default_config_static_selectorELNS0_4arch9wavefront6targetE1EEEvT1_
	.p2align	8
	.type	_ZN7rocprim17ROCPRIM_400000_NS6detail17trampoline_kernelINS0_14default_configENS1_25partition_config_selectorILNS1_17partition_subalgoE9EllbEEZZNS1_14partition_implILS5_9ELb0ES3_jPlS8_PNS0_10empty_typeENS0_5tupleIJS8_S9_EEENSB_IJS8_SA_EEENS0_18inequality_wrapperIZN2at6native12_GLOBAL__N_124unique_dim_cuda_templateIfEESt5tupleIJNSF_6TensorESK_SK_EERKSK_lbbbEUlllE0_EEPmJS9_EEE10hipError_tPvRmT3_T4_T5_T6_T7_T9_mT8_P12ihipStream_tbDpT10_ENKUlT_T0_E_clISt17integral_constantIbLb1EES19_IbLb0EEEEDaS15_S16_EUlS15_E_NS1_11comp_targetILNS1_3genE0ELNS1_11target_archE4294967295ELNS1_3gpuE0ELNS1_3repE0EEENS1_30default_config_static_selectorELNS0_4arch9wavefront6targetE1EEEvT1_,@function
_ZN7rocprim17ROCPRIM_400000_NS6detail17trampoline_kernelINS0_14default_configENS1_25partition_config_selectorILNS1_17partition_subalgoE9EllbEEZZNS1_14partition_implILS5_9ELb0ES3_jPlS8_PNS0_10empty_typeENS0_5tupleIJS8_S9_EEENSB_IJS8_SA_EEENS0_18inequality_wrapperIZN2at6native12_GLOBAL__N_124unique_dim_cuda_templateIfEESt5tupleIJNSF_6TensorESK_SK_EERKSK_lbbbEUlllE0_EEPmJS9_EEE10hipError_tPvRmT3_T4_T5_T6_T7_T9_mT8_P12ihipStream_tbDpT10_ENKUlT_T0_E_clISt17integral_constantIbLb1EES19_IbLb0EEEEDaS15_S16_EUlS15_E_NS1_11comp_targetILNS1_3genE0ELNS1_11target_archE4294967295ELNS1_3gpuE0ELNS1_3repE0EEENS1_30default_config_static_selectorELNS0_4arch9wavefront6targetE1EEEvT1_: ; @_ZN7rocprim17ROCPRIM_400000_NS6detail17trampoline_kernelINS0_14default_configENS1_25partition_config_selectorILNS1_17partition_subalgoE9EllbEEZZNS1_14partition_implILS5_9ELb0ES3_jPlS8_PNS0_10empty_typeENS0_5tupleIJS8_S9_EEENSB_IJS8_SA_EEENS0_18inequality_wrapperIZN2at6native12_GLOBAL__N_124unique_dim_cuda_templateIfEESt5tupleIJNSF_6TensorESK_SK_EERKSK_lbbbEUlllE0_EEPmJS9_EEE10hipError_tPvRmT3_T4_T5_T6_T7_T9_mT8_P12ihipStream_tbDpT10_ENKUlT_T0_E_clISt17integral_constantIbLb1EES19_IbLb0EEEEDaS15_S16_EUlS15_E_NS1_11comp_targetILNS1_3genE0ELNS1_11target_archE4294967295ELNS1_3gpuE0ELNS1_3repE0EEENS1_30default_config_static_selectorELNS0_4arch9wavefront6targetE1EEEvT1_
; %bb.0:
	s_endpgm
	.section	.rodata,"a",@progbits
	.p2align	6, 0x0
	.amdhsa_kernel _ZN7rocprim17ROCPRIM_400000_NS6detail17trampoline_kernelINS0_14default_configENS1_25partition_config_selectorILNS1_17partition_subalgoE9EllbEEZZNS1_14partition_implILS5_9ELb0ES3_jPlS8_PNS0_10empty_typeENS0_5tupleIJS8_S9_EEENSB_IJS8_SA_EEENS0_18inequality_wrapperIZN2at6native12_GLOBAL__N_124unique_dim_cuda_templateIfEESt5tupleIJNSF_6TensorESK_SK_EERKSK_lbbbEUlllE0_EEPmJS9_EEE10hipError_tPvRmT3_T4_T5_T6_T7_T9_mT8_P12ihipStream_tbDpT10_ENKUlT_T0_E_clISt17integral_constantIbLb1EES19_IbLb0EEEEDaS15_S16_EUlS15_E_NS1_11comp_targetILNS1_3genE0ELNS1_11target_archE4294967295ELNS1_3gpuE0ELNS1_3repE0EEENS1_30default_config_static_selectorELNS0_4arch9wavefront6targetE1EEEvT1_
		.amdhsa_group_segment_fixed_size 0
		.amdhsa_private_segment_fixed_size 0
		.amdhsa_kernarg_size 120
		.amdhsa_user_sgpr_count 2
		.amdhsa_user_sgpr_dispatch_ptr 0
		.amdhsa_user_sgpr_queue_ptr 0
		.amdhsa_user_sgpr_kernarg_segment_ptr 1
		.amdhsa_user_sgpr_dispatch_id 0
		.amdhsa_user_sgpr_kernarg_preload_length 0
		.amdhsa_user_sgpr_kernarg_preload_offset 0
		.amdhsa_user_sgpr_private_segment_size 0
		.amdhsa_uses_dynamic_stack 0
		.amdhsa_enable_private_segment 0
		.amdhsa_system_sgpr_workgroup_id_x 1
		.amdhsa_system_sgpr_workgroup_id_y 0
		.amdhsa_system_sgpr_workgroup_id_z 0
		.amdhsa_system_sgpr_workgroup_info 0
		.amdhsa_system_vgpr_workitem_id 0
		.amdhsa_next_free_vgpr 1
		.amdhsa_next_free_sgpr 0
		.amdhsa_accum_offset 4
		.amdhsa_reserve_vcc 0
		.amdhsa_float_round_mode_32 0
		.amdhsa_float_round_mode_16_64 0
		.amdhsa_float_denorm_mode_32 3
		.amdhsa_float_denorm_mode_16_64 3
		.amdhsa_dx10_clamp 1
		.amdhsa_ieee_mode 1
		.amdhsa_fp16_overflow 0
		.amdhsa_tg_split 0
		.amdhsa_exception_fp_ieee_invalid_op 0
		.amdhsa_exception_fp_denorm_src 0
		.amdhsa_exception_fp_ieee_div_zero 0
		.amdhsa_exception_fp_ieee_overflow 0
		.amdhsa_exception_fp_ieee_underflow 0
		.amdhsa_exception_fp_ieee_inexact 0
		.amdhsa_exception_int_div_zero 0
	.end_amdhsa_kernel
	.section	.text._ZN7rocprim17ROCPRIM_400000_NS6detail17trampoline_kernelINS0_14default_configENS1_25partition_config_selectorILNS1_17partition_subalgoE9EllbEEZZNS1_14partition_implILS5_9ELb0ES3_jPlS8_PNS0_10empty_typeENS0_5tupleIJS8_S9_EEENSB_IJS8_SA_EEENS0_18inequality_wrapperIZN2at6native12_GLOBAL__N_124unique_dim_cuda_templateIfEESt5tupleIJNSF_6TensorESK_SK_EERKSK_lbbbEUlllE0_EEPmJS9_EEE10hipError_tPvRmT3_T4_T5_T6_T7_T9_mT8_P12ihipStream_tbDpT10_ENKUlT_T0_E_clISt17integral_constantIbLb1EES19_IbLb0EEEEDaS15_S16_EUlS15_E_NS1_11comp_targetILNS1_3genE0ELNS1_11target_archE4294967295ELNS1_3gpuE0ELNS1_3repE0EEENS1_30default_config_static_selectorELNS0_4arch9wavefront6targetE1EEEvT1_,"axG",@progbits,_ZN7rocprim17ROCPRIM_400000_NS6detail17trampoline_kernelINS0_14default_configENS1_25partition_config_selectorILNS1_17partition_subalgoE9EllbEEZZNS1_14partition_implILS5_9ELb0ES3_jPlS8_PNS0_10empty_typeENS0_5tupleIJS8_S9_EEENSB_IJS8_SA_EEENS0_18inequality_wrapperIZN2at6native12_GLOBAL__N_124unique_dim_cuda_templateIfEESt5tupleIJNSF_6TensorESK_SK_EERKSK_lbbbEUlllE0_EEPmJS9_EEE10hipError_tPvRmT3_T4_T5_T6_T7_T9_mT8_P12ihipStream_tbDpT10_ENKUlT_T0_E_clISt17integral_constantIbLb1EES19_IbLb0EEEEDaS15_S16_EUlS15_E_NS1_11comp_targetILNS1_3genE0ELNS1_11target_archE4294967295ELNS1_3gpuE0ELNS1_3repE0EEENS1_30default_config_static_selectorELNS0_4arch9wavefront6targetE1EEEvT1_,comdat
.Lfunc_end977:
	.size	_ZN7rocprim17ROCPRIM_400000_NS6detail17trampoline_kernelINS0_14default_configENS1_25partition_config_selectorILNS1_17partition_subalgoE9EllbEEZZNS1_14partition_implILS5_9ELb0ES3_jPlS8_PNS0_10empty_typeENS0_5tupleIJS8_S9_EEENSB_IJS8_SA_EEENS0_18inequality_wrapperIZN2at6native12_GLOBAL__N_124unique_dim_cuda_templateIfEESt5tupleIJNSF_6TensorESK_SK_EERKSK_lbbbEUlllE0_EEPmJS9_EEE10hipError_tPvRmT3_T4_T5_T6_T7_T9_mT8_P12ihipStream_tbDpT10_ENKUlT_T0_E_clISt17integral_constantIbLb1EES19_IbLb0EEEEDaS15_S16_EUlS15_E_NS1_11comp_targetILNS1_3genE0ELNS1_11target_archE4294967295ELNS1_3gpuE0ELNS1_3repE0EEENS1_30default_config_static_selectorELNS0_4arch9wavefront6targetE1EEEvT1_, .Lfunc_end977-_ZN7rocprim17ROCPRIM_400000_NS6detail17trampoline_kernelINS0_14default_configENS1_25partition_config_selectorILNS1_17partition_subalgoE9EllbEEZZNS1_14partition_implILS5_9ELb0ES3_jPlS8_PNS0_10empty_typeENS0_5tupleIJS8_S9_EEENSB_IJS8_SA_EEENS0_18inequality_wrapperIZN2at6native12_GLOBAL__N_124unique_dim_cuda_templateIfEESt5tupleIJNSF_6TensorESK_SK_EERKSK_lbbbEUlllE0_EEPmJS9_EEE10hipError_tPvRmT3_T4_T5_T6_T7_T9_mT8_P12ihipStream_tbDpT10_ENKUlT_T0_E_clISt17integral_constantIbLb1EES19_IbLb0EEEEDaS15_S16_EUlS15_E_NS1_11comp_targetILNS1_3genE0ELNS1_11target_archE4294967295ELNS1_3gpuE0ELNS1_3repE0EEENS1_30default_config_static_selectorELNS0_4arch9wavefront6targetE1EEEvT1_
                                        ; -- End function
	.set _ZN7rocprim17ROCPRIM_400000_NS6detail17trampoline_kernelINS0_14default_configENS1_25partition_config_selectorILNS1_17partition_subalgoE9EllbEEZZNS1_14partition_implILS5_9ELb0ES3_jPlS8_PNS0_10empty_typeENS0_5tupleIJS8_S9_EEENSB_IJS8_SA_EEENS0_18inequality_wrapperIZN2at6native12_GLOBAL__N_124unique_dim_cuda_templateIfEESt5tupleIJNSF_6TensorESK_SK_EERKSK_lbbbEUlllE0_EEPmJS9_EEE10hipError_tPvRmT3_T4_T5_T6_T7_T9_mT8_P12ihipStream_tbDpT10_ENKUlT_T0_E_clISt17integral_constantIbLb1EES19_IbLb0EEEEDaS15_S16_EUlS15_E_NS1_11comp_targetILNS1_3genE0ELNS1_11target_archE4294967295ELNS1_3gpuE0ELNS1_3repE0EEENS1_30default_config_static_selectorELNS0_4arch9wavefront6targetE1EEEvT1_.num_vgpr, 0
	.set _ZN7rocprim17ROCPRIM_400000_NS6detail17trampoline_kernelINS0_14default_configENS1_25partition_config_selectorILNS1_17partition_subalgoE9EllbEEZZNS1_14partition_implILS5_9ELb0ES3_jPlS8_PNS0_10empty_typeENS0_5tupleIJS8_S9_EEENSB_IJS8_SA_EEENS0_18inequality_wrapperIZN2at6native12_GLOBAL__N_124unique_dim_cuda_templateIfEESt5tupleIJNSF_6TensorESK_SK_EERKSK_lbbbEUlllE0_EEPmJS9_EEE10hipError_tPvRmT3_T4_T5_T6_T7_T9_mT8_P12ihipStream_tbDpT10_ENKUlT_T0_E_clISt17integral_constantIbLb1EES19_IbLb0EEEEDaS15_S16_EUlS15_E_NS1_11comp_targetILNS1_3genE0ELNS1_11target_archE4294967295ELNS1_3gpuE0ELNS1_3repE0EEENS1_30default_config_static_selectorELNS0_4arch9wavefront6targetE1EEEvT1_.num_agpr, 0
	.set _ZN7rocprim17ROCPRIM_400000_NS6detail17trampoline_kernelINS0_14default_configENS1_25partition_config_selectorILNS1_17partition_subalgoE9EllbEEZZNS1_14partition_implILS5_9ELb0ES3_jPlS8_PNS0_10empty_typeENS0_5tupleIJS8_S9_EEENSB_IJS8_SA_EEENS0_18inequality_wrapperIZN2at6native12_GLOBAL__N_124unique_dim_cuda_templateIfEESt5tupleIJNSF_6TensorESK_SK_EERKSK_lbbbEUlllE0_EEPmJS9_EEE10hipError_tPvRmT3_T4_T5_T6_T7_T9_mT8_P12ihipStream_tbDpT10_ENKUlT_T0_E_clISt17integral_constantIbLb1EES19_IbLb0EEEEDaS15_S16_EUlS15_E_NS1_11comp_targetILNS1_3genE0ELNS1_11target_archE4294967295ELNS1_3gpuE0ELNS1_3repE0EEENS1_30default_config_static_selectorELNS0_4arch9wavefront6targetE1EEEvT1_.numbered_sgpr, 0
	.set _ZN7rocprim17ROCPRIM_400000_NS6detail17trampoline_kernelINS0_14default_configENS1_25partition_config_selectorILNS1_17partition_subalgoE9EllbEEZZNS1_14partition_implILS5_9ELb0ES3_jPlS8_PNS0_10empty_typeENS0_5tupleIJS8_S9_EEENSB_IJS8_SA_EEENS0_18inequality_wrapperIZN2at6native12_GLOBAL__N_124unique_dim_cuda_templateIfEESt5tupleIJNSF_6TensorESK_SK_EERKSK_lbbbEUlllE0_EEPmJS9_EEE10hipError_tPvRmT3_T4_T5_T6_T7_T9_mT8_P12ihipStream_tbDpT10_ENKUlT_T0_E_clISt17integral_constantIbLb1EES19_IbLb0EEEEDaS15_S16_EUlS15_E_NS1_11comp_targetILNS1_3genE0ELNS1_11target_archE4294967295ELNS1_3gpuE0ELNS1_3repE0EEENS1_30default_config_static_selectorELNS0_4arch9wavefront6targetE1EEEvT1_.num_named_barrier, 0
	.set _ZN7rocprim17ROCPRIM_400000_NS6detail17trampoline_kernelINS0_14default_configENS1_25partition_config_selectorILNS1_17partition_subalgoE9EllbEEZZNS1_14partition_implILS5_9ELb0ES3_jPlS8_PNS0_10empty_typeENS0_5tupleIJS8_S9_EEENSB_IJS8_SA_EEENS0_18inequality_wrapperIZN2at6native12_GLOBAL__N_124unique_dim_cuda_templateIfEESt5tupleIJNSF_6TensorESK_SK_EERKSK_lbbbEUlllE0_EEPmJS9_EEE10hipError_tPvRmT3_T4_T5_T6_T7_T9_mT8_P12ihipStream_tbDpT10_ENKUlT_T0_E_clISt17integral_constantIbLb1EES19_IbLb0EEEEDaS15_S16_EUlS15_E_NS1_11comp_targetILNS1_3genE0ELNS1_11target_archE4294967295ELNS1_3gpuE0ELNS1_3repE0EEENS1_30default_config_static_selectorELNS0_4arch9wavefront6targetE1EEEvT1_.private_seg_size, 0
	.set _ZN7rocprim17ROCPRIM_400000_NS6detail17trampoline_kernelINS0_14default_configENS1_25partition_config_selectorILNS1_17partition_subalgoE9EllbEEZZNS1_14partition_implILS5_9ELb0ES3_jPlS8_PNS0_10empty_typeENS0_5tupleIJS8_S9_EEENSB_IJS8_SA_EEENS0_18inequality_wrapperIZN2at6native12_GLOBAL__N_124unique_dim_cuda_templateIfEESt5tupleIJNSF_6TensorESK_SK_EERKSK_lbbbEUlllE0_EEPmJS9_EEE10hipError_tPvRmT3_T4_T5_T6_T7_T9_mT8_P12ihipStream_tbDpT10_ENKUlT_T0_E_clISt17integral_constantIbLb1EES19_IbLb0EEEEDaS15_S16_EUlS15_E_NS1_11comp_targetILNS1_3genE0ELNS1_11target_archE4294967295ELNS1_3gpuE0ELNS1_3repE0EEENS1_30default_config_static_selectorELNS0_4arch9wavefront6targetE1EEEvT1_.uses_vcc, 0
	.set _ZN7rocprim17ROCPRIM_400000_NS6detail17trampoline_kernelINS0_14default_configENS1_25partition_config_selectorILNS1_17partition_subalgoE9EllbEEZZNS1_14partition_implILS5_9ELb0ES3_jPlS8_PNS0_10empty_typeENS0_5tupleIJS8_S9_EEENSB_IJS8_SA_EEENS0_18inequality_wrapperIZN2at6native12_GLOBAL__N_124unique_dim_cuda_templateIfEESt5tupleIJNSF_6TensorESK_SK_EERKSK_lbbbEUlllE0_EEPmJS9_EEE10hipError_tPvRmT3_T4_T5_T6_T7_T9_mT8_P12ihipStream_tbDpT10_ENKUlT_T0_E_clISt17integral_constantIbLb1EES19_IbLb0EEEEDaS15_S16_EUlS15_E_NS1_11comp_targetILNS1_3genE0ELNS1_11target_archE4294967295ELNS1_3gpuE0ELNS1_3repE0EEENS1_30default_config_static_selectorELNS0_4arch9wavefront6targetE1EEEvT1_.uses_flat_scratch, 0
	.set _ZN7rocprim17ROCPRIM_400000_NS6detail17trampoline_kernelINS0_14default_configENS1_25partition_config_selectorILNS1_17partition_subalgoE9EllbEEZZNS1_14partition_implILS5_9ELb0ES3_jPlS8_PNS0_10empty_typeENS0_5tupleIJS8_S9_EEENSB_IJS8_SA_EEENS0_18inequality_wrapperIZN2at6native12_GLOBAL__N_124unique_dim_cuda_templateIfEESt5tupleIJNSF_6TensorESK_SK_EERKSK_lbbbEUlllE0_EEPmJS9_EEE10hipError_tPvRmT3_T4_T5_T6_T7_T9_mT8_P12ihipStream_tbDpT10_ENKUlT_T0_E_clISt17integral_constantIbLb1EES19_IbLb0EEEEDaS15_S16_EUlS15_E_NS1_11comp_targetILNS1_3genE0ELNS1_11target_archE4294967295ELNS1_3gpuE0ELNS1_3repE0EEENS1_30default_config_static_selectorELNS0_4arch9wavefront6targetE1EEEvT1_.has_dyn_sized_stack, 0
	.set _ZN7rocprim17ROCPRIM_400000_NS6detail17trampoline_kernelINS0_14default_configENS1_25partition_config_selectorILNS1_17partition_subalgoE9EllbEEZZNS1_14partition_implILS5_9ELb0ES3_jPlS8_PNS0_10empty_typeENS0_5tupleIJS8_S9_EEENSB_IJS8_SA_EEENS0_18inequality_wrapperIZN2at6native12_GLOBAL__N_124unique_dim_cuda_templateIfEESt5tupleIJNSF_6TensorESK_SK_EERKSK_lbbbEUlllE0_EEPmJS9_EEE10hipError_tPvRmT3_T4_T5_T6_T7_T9_mT8_P12ihipStream_tbDpT10_ENKUlT_T0_E_clISt17integral_constantIbLb1EES19_IbLb0EEEEDaS15_S16_EUlS15_E_NS1_11comp_targetILNS1_3genE0ELNS1_11target_archE4294967295ELNS1_3gpuE0ELNS1_3repE0EEENS1_30default_config_static_selectorELNS0_4arch9wavefront6targetE1EEEvT1_.has_recursion, 0
	.set _ZN7rocprim17ROCPRIM_400000_NS6detail17trampoline_kernelINS0_14default_configENS1_25partition_config_selectorILNS1_17partition_subalgoE9EllbEEZZNS1_14partition_implILS5_9ELb0ES3_jPlS8_PNS0_10empty_typeENS0_5tupleIJS8_S9_EEENSB_IJS8_SA_EEENS0_18inequality_wrapperIZN2at6native12_GLOBAL__N_124unique_dim_cuda_templateIfEESt5tupleIJNSF_6TensorESK_SK_EERKSK_lbbbEUlllE0_EEPmJS9_EEE10hipError_tPvRmT3_T4_T5_T6_T7_T9_mT8_P12ihipStream_tbDpT10_ENKUlT_T0_E_clISt17integral_constantIbLb1EES19_IbLb0EEEEDaS15_S16_EUlS15_E_NS1_11comp_targetILNS1_3genE0ELNS1_11target_archE4294967295ELNS1_3gpuE0ELNS1_3repE0EEENS1_30default_config_static_selectorELNS0_4arch9wavefront6targetE1EEEvT1_.has_indirect_call, 0
	.section	.AMDGPU.csdata,"",@progbits
; Kernel info:
; codeLenInByte = 4
; TotalNumSgprs: 6
; NumVgprs: 0
; NumAgprs: 0
; TotalNumVgprs: 0
; ScratchSize: 0
; MemoryBound: 0
; FloatMode: 240
; IeeeMode: 1
; LDSByteSize: 0 bytes/workgroup (compile time only)
; SGPRBlocks: 0
; VGPRBlocks: 0
; NumSGPRsForWavesPerEU: 6
; NumVGPRsForWavesPerEU: 1
; AccumOffset: 4
; Occupancy: 8
; WaveLimiterHint : 0
; COMPUTE_PGM_RSRC2:SCRATCH_EN: 0
; COMPUTE_PGM_RSRC2:USER_SGPR: 2
; COMPUTE_PGM_RSRC2:TRAP_HANDLER: 0
; COMPUTE_PGM_RSRC2:TGID_X_EN: 1
; COMPUTE_PGM_RSRC2:TGID_Y_EN: 0
; COMPUTE_PGM_RSRC2:TGID_Z_EN: 0
; COMPUTE_PGM_RSRC2:TIDIG_COMP_CNT: 0
; COMPUTE_PGM_RSRC3_GFX90A:ACCUM_OFFSET: 0
; COMPUTE_PGM_RSRC3_GFX90A:TG_SPLIT: 0
	.section	.text._ZN7rocprim17ROCPRIM_400000_NS6detail17trampoline_kernelINS0_14default_configENS1_25partition_config_selectorILNS1_17partition_subalgoE9EllbEEZZNS1_14partition_implILS5_9ELb0ES3_jPlS8_PNS0_10empty_typeENS0_5tupleIJS8_S9_EEENSB_IJS8_SA_EEENS0_18inequality_wrapperIZN2at6native12_GLOBAL__N_124unique_dim_cuda_templateIfEESt5tupleIJNSF_6TensorESK_SK_EERKSK_lbbbEUlllE0_EEPmJS9_EEE10hipError_tPvRmT3_T4_T5_T6_T7_T9_mT8_P12ihipStream_tbDpT10_ENKUlT_T0_E_clISt17integral_constantIbLb1EES19_IbLb0EEEEDaS15_S16_EUlS15_E_NS1_11comp_targetILNS1_3genE5ELNS1_11target_archE942ELNS1_3gpuE9ELNS1_3repE0EEENS1_30default_config_static_selectorELNS0_4arch9wavefront6targetE1EEEvT1_,"axG",@progbits,_ZN7rocprim17ROCPRIM_400000_NS6detail17trampoline_kernelINS0_14default_configENS1_25partition_config_selectorILNS1_17partition_subalgoE9EllbEEZZNS1_14partition_implILS5_9ELb0ES3_jPlS8_PNS0_10empty_typeENS0_5tupleIJS8_S9_EEENSB_IJS8_SA_EEENS0_18inequality_wrapperIZN2at6native12_GLOBAL__N_124unique_dim_cuda_templateIfEESt5tupleIJNSF_6TensorESK_SK_EERKSK_lbbbEUlllE0_EEPmJS9_EEE10hipError_tPvRmT3_T4_T5_T6_T7_T9_mT8_P12ihipStream_tbDpT10_ENKUlT_T0_E_clISt17integral_constantIbLb1EES19_IbLb0EEEEDaS15_S16_EUlS15_E_NS1_11comp_targetILNS1_3genE5ELNS1_11target_archE942ELNS1_3gpuE9ELNS1_3repE0EEENS1_30default_config_static_selectorELNS0_4arch9wavefront6targetE1EEEvT1_,comdat
	.globl	_ZN7rocprim17ROCPRIM_400000_NS6detail17trampoline_kernelINS0_14default_configENS1_25partition_config_selectorILNS1_17partition_subalgoE9EllbEEZZNS1_14partition_implILS5_9ELb0ES3_jPlS8_PNS0_10empty_typeENS0_5tupleIJS8_S9_EEENSB_IJS8_SA_EEENS0_18inequality_wrapperIZN2at6native12_GLOBAL__N_124unique_dim_cuda_templateIfEESt5tupleIJNSF_6TensorESK_SK_EERKSK_lbbbEUlllE0_EEPmJS9_EEE10hipError_tPvRmT3_T4_T5_T6_T7_T9_mT8_P12ihipStream_tbDpT10_ENKUlT_T0_E_clISt17integral_constantIbLb1EES19_IbLb0EEEEDaS15_S16_EUlS15_E_NS1_11comp_targetILNS1_3genE5ELNS1_11target_archE942ELNS1_3gpuE9ELNS1_3repE0EEENS1_30default_config_static_selectorELNS0_4arch9wavefront6targetE1EEEvT1_ ; -- Begin function _ZN7rocprim17ROCPRIM_400000_NS6detail17trampoline_kernelINS0_14default_configENS1_25partition_config_selectorILNS1_17partition_subalgoE9EllbEEZZNS1_14partition_implILS5_9ELb0ES3_jPlS8_PNS0_10empty_typeENS0_5tupleIJS8_S9_EEENSB_IJS8_SA_EEENS0_18inequality_wrapperIZN2at6native12_GLOBAL__N_124unique_dim_cuda_templateIfEESt5tupleIJNSF_6TensorESK_SK_EERKSK_lbbbEUlllE0_EEPmJS9_EEE10hipError_tPvRmT3_T4_T5_T6_T7_T9_mT8_P12ihipStream_tbDpT10_ENKUlT_T0_E_clISt17integral_constantIbLb1EES19_IbLb0EEEEDaS15_S16_EUlS15_E_NS1_11comp_targetILNS1_3genE5ELNS1_11target_archE942ELNS1_3gpuE9ELNS1_3repE0EEENS1_30default_config_static_selectorELNS0_4arch9wavefront6targetE1EEEvT1_
	.p2align	8
	.type	_ZN7rocprim17ROCPRIM_400000_NS6detail17trampoline_kernelINS0_14default_configENS1_25partition_config_selectorILNS1_17partition_subalgoE9EllbEEZZNS1_14partition_implILS5_9ELb0ES3_jPlS8_PNS0_10empty_typeENS0_5tupleIJS8_S9_EEENSB_IJS8_SA_EEENS0_18inequality_wrapperIZN2at6native12_GLOBAL__N_124unique_dim_cuda_templateIfEESt5tupleIJNSF_6TensorESK_SK_EERKSK_lbbbEUlllE0_EEPmJS9_EEE10hipError_tPvRmT3_T4_T5_T6_T7_T9_mT8_P12ihipStream_tbDpT10_ENKUlT_T0_E_clISt17integral_constantIbLb1EES19_IbLb0EEEEDaS15_S16_EUlS15_E_NS1_11comp_targetILNS1_3genE5ELNS1_11target_archE942ELNS1_3gpuE9ELNS1_3repE0EEENS1_30default_config_static_selectorELNS0_4arch9wavefront6targetE1EEEvT1_,@function
_ZN7rocprim17ROCPRIM_400000_NS6detail17trampoline_kernelINS0_14default_configENS1_25partition_config_selectorILNS1_17partition_subalgoE9EllbEEZZNS1_14partition_implILS5_9ELb0ES3_jPlS8_PNS0_10empty_typeENS0_5tupleIJS8_S9_EEENSB_IJS8_SA_EEENS0_18inequality_wrapperIZN2at6native12_GLOBAL__N_124unique_dim_cuda_templateIfEESt5tupleIJNSF_6TensorESK_SK_EERKSK_lbbbEUlllE0_EEPmJS9_EEE10hipError_tPvRmT3_T4_T5_T6_T7_T9_mT8_P12ihipStream_tbDpT10_ENKUlT_T0_E_clISt17integral_constantIbLb1EES19_IbLb0EEEEDaS15_S16_EUlS15_E_NS1_11comp_targetILNS1_3genE5ELNS1_11target_archE942ELNS1_3gpuE9ELNS1_3repE0EEENS1_30default_config_static_selectorELNS0_4arch9wavefront6targetE1EEEvT1_: ; @_ZN7rocprim17ROCPRIM_400000_NS6detail17trampoline_kernelINS0_14default_configENS1_25partition_config_selectorILNS1_17partition_subalgoE9EllbEEZZNS1_14partition_implILS5_9ELb0ES3_jPlS8_PNS0_10empty_typeENS0_5tupleIJS8_S9_EEENSB_IJS8_SA_EEENS0_18inequality_wrapperIZN2at6native12_GLOBAL__N_124unique_dim_cuda_templateIfEESt5tupleIJNSF_6TensorESK_SK_EERKSK_lbbbEUlllE0_EEPmJS9_EEE10hipError_tPvRmT3_T4_T5_T6_T7_T9_mT8_P12ihipStream_tbDpT10_ENKUlT_T0_E_clISt17integral_constantIbLb1EES19_IbLb0EEEEDaS15_S16_EUlS15_E_NS1_11comp_targetILNS1_3genE5ELNS1_11target_archE942ELNS1_3gpuE9ELNS1_3repE0EEENS1_30default_config_static_selectorELNS0_4arch9wavefront6targetE1EEEvT1_
; %bb.0:
	.section	.rodata,"a",@progbits
	.p2align	6, 0x0
	.amdhsa_kernel _ZN7rocprim17ROCPRIM_400000_NS6detail17trampoline_kernelINS0_14default_configENS1_25partition_config_selectorILNS1_17partition_subalgoE9EllbEEZZNS1_14partition_implILS5_9ELb0ES3_jPlS8_PNS0_10empty_typeENS0_5tupleIJS8_S9_EEENSB_IJS8_SA_EEENS0_18inequality_wrapperIZN2at6native12_GLOBAL__N_124unique_dim_cuda_templateIfEESt5tupleIJNSF_6TensorESK_SK_EERKSK_lbbbEUlllE0_EEPmJS9_EEE10hipError_tPvRmT3_T4_T5_T6_T7_T9_mT8_P12ihipStream_tbDpT10_ENKUlT_T0_E_clISt17integral_constantIbLb1EES19_IbLb0EEEEDaS15_S16_EUlS15_E_NS1_11comp_targetILNS1_3genE5ELNS1_11target_archE942ELNS1_3gpuE9ELNS1_3repE0EEENS1_30default_config_static_selectorELNS0_4arch9wavefront6targetE1EEEvT1_
		.amdhsa_group_segment_fixed_size 0
		.amdhsa_private_segment_fixed_size 0
		.amdhsa_kernarg_size 120
		.amdhsa_user_sgpr_count 2
		.amdhsa_user_sgpr_dispatch_ptr 0
		.amdhsa_user_sgpr_queue_ptr 0
		.amdhsa_user_sgpr_kernarg_segment_ptr 1
		.amdhsa_user_sgpr_dispatch_id 0
		.amdhsa_user_sgpr_kernarg_preload_length 0
		.amdhsa_user_sgpr_kernarg_preload_offset 0
		.amdhsa_user_sgpr_private_segment_size 0
		.amdhsa_uses_dynamic_stack 0
		.amdhsa_enable_private_segment 0
		.amdhsa_system_sgpr_workgroup_id_x 1
		.amdhsa_system_sgpr_workgroup_id_y 0
		.amdhsa_system_sgpr_workgroup_id_z 0
		.amdhsa_system_sgpr_workgroup_info 0
		.amdhsa_system_vgpr_workitem_id 0
		.amdhsa_next_free_vgpr 1
		.amdhsa_next_free_sgpr 0
		.amdhsa_accum_offset 4
		.amdhsa_reserve_vcc 0
		.amdhsa_float_round_mode_32 0
		.amdhsa_float_round_mode_16_64 0
		.amdhsa_float_denorm_mode_32 3
		.amdhsa_float_denorm_mode_16_64 3
		.amdhsa_dx10_clamp 1
		.amdhsa_ieee_mode 1
		.amdhsa_fp16_overflow 0
		.amdhsa_tg_split 0
		.amdhsa_exception_fp_ieee_invalid_op 0
		.amdhsa_exception_fp_denorm_src 0
		.amdhsa_exception_fp_ieee_div_zero 0
		.amdhsa_exception_fp_ieee_overflow 0
		.amdhsa_exception_fp_ieee_underflow 0
		.amdhsa_exception_fp_ieee_inexact 0
		.amdhsa_exception_int_div_zero 0
	.end_amdhsa_kernel
	.section	.text._ZN7rocprim17ROCPRIM_400000_NS6detail17trampoline_kernelINS0_14default_configENS1_25partition_config_selectorILNS1_17partition_subalgoE9EllbEEZZNS1_14partition_implILS5_9ELb0ES3_jPlS8_PNS0_10empty_typeENS0_5tupleIJS8_S9_EEENSB_IJS8_SA_EEENS0_18inequality_wrapperIZN2at6native12_GLOBAL__N_124unique_dim_cuda_templateIfEESt5tupleIJNSF_6TensorESK_SK_EERKSK_lbbbEUlllE0_EEPmJS9_EEE10hipError_tPvRmT3_T4_T5_T6_T7_T9_mT8_P12ihipStream_tbDpT10_ENKUlT_T0_E_clISt17integral_constantIbLb1EES19_IbLb0EEEEDaS15_S16_EUlS15_E_NS1_11comp_targetILNS1_3genE5ELNS1_11target_archE942ELNS1_3gpuE9ELNS1_3repE0EEENS1_30default_config_static_selectorELNS0_4arch9wavefront6targetE1EEEvT1_,"axG",@progbits,_ZN7rocprim17ROCPRIM_400000_NS6detail17trampoline_kernelINS0_14default_configENS1_25partition_config_selectorILNS1_17partition_subalgoE9EllbEEZZNS1_14partition_implILS5_9ELb0ES3_jPlS8_PNS0_10empty_typeENS0_5tupleIJS8_S9_EEENSB_IJS8_SA_EEENS0_18inequality_wrapperIZN2at6native12_GLOBAL__N_124unique_dim_cuda_templateIfEESt5tupleIJNSF_6TensorESK_SK_EERKSK_lbbbEUlllE0_EEPmJS9_EEE10hipError_tPvRmT3_T4_T5_T6_T7_T9_mT8_P12ihipStream_tbDpT10_ENKUlT_T0_E_clISt17integral_constantIbLb1EES19_IbLb0EEEEDaS15_S16_EUlS15_E_NS1_11comp_targetILNS1_3genE5ELNS1_11target_archE942ELNS1_3gpuE9ELNS1_3repE0EEENS1_30default_config_static_selectorELNS0_4arch9wavefront6targetE1EEEvT1_,comdat
.Lfunc_end978:
	.size	_ZN7rocprim17ROCPRIM_400000_NS6detail17trampoline_kernelINS0_14default_configENS1_25partition_config_selectorILNS1_17partition_subalgoE9EllbEEZZNS1_14partition_implILS5_9ELb0ES3_jPlS8_PNS0_10empty_typeENS0_5tupleIJS8_S9_EEENSB_IJS8_SA_EEENS0_18inequality_wrapperIZN2at6native12_GLOBAL__N_124unique_dim_cuda_templateIfEESt5tupleIJNSF_6TensorESK_SK_EERKSK_lbbbEUlllE0_EEPmJS9_EEE10hipError_tPvRmT3_T4_T5_T6_T7_T9_mT8_P12ihipStream_tbDpT10_ENKUlT_T0_E_clISt17integral_constantIbLb1EES19_IbLb0EEEEDaS15_S16_EUlS15_E_NS1_11comp_targetILNS1_3genE5ELNS1_11target_archE942ELNS1_3gpuE9ELNS1_3repE0EEENS1_30default_config_static_selectorELNS0_4arch9wavefront6targetE1EEEvT1_, .Lfunc_end978-_ZN7rocprim17ROCPRIM_400000_NS6detail17trampoline_kernelINS0_14default_configENS1_25partition_config_selectorILNS1_17partition_subalgoE9EllbEEZZNS1_14partition_implILS5_9ELb0ES3_jPlS8_PNS0_10empty_typeENS0_5tupleIJS8_S9_EEENSB_IJS8_SA_EEENS0_18inequality_wrapperIZN2at6native12_GLOBAL__N_124unique_dim_cuda_templateIfEESt5tupleIJNSF_6TensorESK_SK_EERKSK_lbbbEUlllE0_EEPmJS9_EEE10hipError_tPvRmT3_T4_T5_T6_T7_T9_mT8_P12ihipStream_tbDpT10_ENKUlT_T0_E_clISt17integral_constantIbLb1EES19_IbLb0EEEEDaS15_S16_EUlS15_E_NS1_11comp_targetILNS1_3genE5ELNS1_11target_archE942ELNS1_3gpuE9ELNS1_3repE0EEENS1_30default_config_static_selectorELNS0_4arch9wavefront6targetE1EEEvT1_
                                        ; -- End function
	.set _ZN7rocprim17ROCPRIM_400000_NS6detail17trampoline_kernelINS0_14default_configENS1_25partition_config_selectorILNS1_17partition_subalgoE9EllbEEZZNS1_14partition_implILS5_9ELb0ES3_jPlS8_PNS0_10empty_typeENS0_5tupleIJS8_S9_EEENSB_IJS8_SA_EEENS0_18inequality_wrapperIZN2at6native12_GLOBAL__N_124unique_dim_cuda_templateIfEESt5tupleIJNSF_6TensorESK_SK_EERKSK_lbbbEUlllE0_EEPmJS9_EEE10hipError_tPvRmT3_T4_T5_T6_T7_T9_mT8_P12ihipStream_tbDpT10_ENKUlT_T0_E_clISt17integral_constantIbLb1EES19_IbLb0EEEEDaS15_S16_EUlS15_E_NS1_11comp_targetILNS1_3genE5ELNS1_11target_archE942ELNS1_3gpuE9ELNS1_3repE0EEENS1_30default_config_static_selectorELNS0_4arch9wavefront6targetE1EEEvT1_.num_vgpr, 0
	.set _ZN7rocprim17ROCPRIM_400000_NS6detail17trampoline_kernelINS0_14default_configENS1_25partition_config_selectorILNS1_17partition_subalgoE9EllbEEZZNS1_14partition_implILS5_9ELb0ES3_jPlS8_PNS0_10empty_typeENS0_5tupleIJS8_S9_EEENSB_IJS8_SA_EEENS0_18inequality_wrapperIZN2at6native12_GLOBAL__N_124unique_dim_cuda_templateIfEESt5tupleIJNSF_6TensorESK_SK_EERKSK_lbbbEUlllE0_EEPmJS9_EEE10hipError_tPvRmT3_T4_T5_T6_T7_T9_mT8_P12ihipStream_tbDpT10_ENKUlT_T0_E_clISt17integral_constantIbLb1EES19_IbLb0EEEEDaS15_S16_EUlS15_E_NS1_11comp_targetILNS1_3genE5ELNS1_11target_archE942ELNS1_3gpuE9ELNS1_3repE0EEENS1_30default_config_static_selectorELNS0_4arch9wavefront6targetE1EEEvT1_.num_agpr, 0
	.set _ZN7rocprim17ROCPRIM_400000_NS6detail17trampoline_kernelINS0_14default_configENS1_25partition_config_selectorILNS1_17partition_subalgoE9EllbEEZZNS1_14partition_implILS5_9ELb0ES3_jPlS8_PNS0_10empty_typeENS0_5tupleIJS8_S9_EEENSB_IJS8_SA_EEENS0_18inequality_wrapperIZN2at6native12_GLOBAL__N_124unique_dim_cuda_templateIfEESt5tupleIJNSF_6TensorESK_SK_EERKSK_lbbbEUlllE0_EEPmJS9_EEE10hipError_tPvRmT3_T4_T5_T6_T7_T9_mT8_P12ihipStream_tbDpT10_ENKUlT_T0_E_clISt17integral_constantIbLb1EES19_IbLb0EEEEDaS15_S16_EUlS15_E_NS1_11comp_targetILNS1_3genE5ELNS1_11target_archE942ELNS1_3gpuE9ELNS1_3repE0EEENS1_30default_config_static_selectorELNS0_4arch9wavefront6targetE1EEEvT1_.numbered_sgpr, 0
	.set _ZN7rocprim17ROCPRIM_400000_NS6detail17trampoline_kernelINS0_14default_configENS1_25partition_config_selectorILNS1_17partition_subalgoE9EllbEEZZNS1_14partition_implILS5_9ELb0ES3_jPlS8_PNS0_10empty_typeENS0_5tupleIJS8_S9_EEENSB_IJS8_SA_EEENS0_18inequality_wrapperIZN2at6native12_GLOBAL__N_124unique_dim_cuda_templateIfEESt5tupleIJNSF_6TensorESK_SK_EERKSK_lbbbEUlllE0_EEPmJS9_EEE10hipError_tPvRmT3_T4_T5_T6_T7_T9_mT8_P12ihipStream_tbDpT10_ENKUlT_T0_E_clISt17integral_constantIbLb1EES19_IbLb0EEEEDaS15_S16_EUlS15_E_NS1_11comp_targetILNS1_3genE5ELNS1_11target_archE942ELNS1_3gpuE9ELNS1_3repE0EEENS1_30default_config_static_selectorELNS0_4arch9wavefront6targetE1EEEvT1_.num_named_barrier, 0
	.set _ZN7rocprim17ROCPRIM_400000_NS6detail17trampoline_kernelINS0_14default_configENS1_25partition_config_selectorILNS1_17partition_subalgoE9EllbEEZZNS1_14partition_implILS5_9ELb0ES3_jPlS8_PNS0_10empty_typeENS0_5tupleIJS8_S9_EEENSB_IJS8_SA_EEENS0_18inequality_wrapperIZN2at6native12_GLOBAL__N_124unique_dim_cuda_templateIfEESt5tupleIJNSF_6TensorESK_SK_EERKSK_lbbbEUlllE0_EEPmJS9_EEE10hipError_tPvRmT3_T4_T5_T6_T7_T9_mT8_P12ihipStream_tbDpT10_ENKUlT_T0_E_clISt17integral_constantIbLb1EES19_IbLb0EEEEDaS15_S16_EUlS15_E_NS1_11comp_targetILNS1_3genE5ELNS1_11target_archE942ELNS1_3gpuE9ELNS1_3repE0EEENS1_30default_config_static_selectorELNS0_4arch9wavefront6targetE1EEEvT1_.private_seg_size, 0
	.set _ZN7rocprim17ROCPRIM_400000_NS6detail17trampoline_kernelINS0_14default_configENS1_25partition_config_selectorILNS1_17partition_subalgoE9EllbEEZZNS1_14partition_implILS5_9ELb0ES3_jPlS8_PNS0_10empty_typeENS0_5tupleIJS8_S9_EEENSB_IJS8_SA_EEENS0_18inequality_wrapperIZN2at6native12_GLOBAL__N_124unique_dim_cuda_templateIfEESt5tupleIJNSF_6TensorESK_SK_EERKSK_lbbbEUlllE0_EEPmJS9_EEE10hipError_tPvRmT3_T4_T5_T6_T7_T9_mT8_P12ihipStream_tbDpT10_ENKUlT_T0_E_clISt17integral_constantIbLb1EES19_IbLb0EEEEDaS15_S16_EUlS15_E_NS1_11comp_targetILNS1_3genE5ELNS1_11target_archE942ELNS1_3gpuE9ELNS1_3repE0EEENS1_30default_config_static_selectorELNS0_4arch9wavefront6targetE1EEEvT1_.uses_vcc, 0
	.set _ZN7rocprim17ROCPRIM_400000_NS6detail17trampoline_kernelINS0_14default_configENS1_25partition_config_selectorILNS1_17partition_subalgoE9EllbEEZZNS1_14partition_implILS5_9ELb0ES3_jPlS8_PNS0_10empty_typeENS0_5tupleIJS8_S9_EEENSB_IJS8_SA_EEENS0_18inequality_wrapperIZN2at6native12_GLOBAL__N_124unique_dim_cuda_templateIfEESt5tupleIJNSF_6TensorESK_SK_EERKSK_lbbbEUlllE0_EEPmJS9_EEE10hipError_tPvRmT3_T4_T5_T6_T7_T9_mT8_P12ihipStream_tbDpT10_ENKUlT_T0_E_clISt17integral_constantIbLb1EES19_IbLb0EEEEDaS15_S16_EUlS15_E_NS1_11comp_targetILNS1_3genE5ELNS1_11target_archE942ELNS1_3gpuE9ELNS1_3repE0EEENS1_30default_config_static_selectorELNS0_4arch9wavefront6targetE1EEEvT1_.uses_flat_scratch, 0
	.set _ZN7rocprim17ROCPRIM_400000_NS6detail17trampoline_kernelINS0_14default_configENS1_25partition_config_selectorILNS1_17partition_subalgoE9EllbEEZZNS1_14partition_implILS5_9ELb0ES3_jPlS8_PNS0_10empty_typeENS0_5tupleIJS8_S9_EEENSB_IJS8_SA_EEENS0_18inequality_wrapperIZN2at6native12_GLOBAL__N_124unique_dim_cuda_templateIfEESt5tupleIJNSF_6TensorESK_SK_EERKSK_lbbbEUlllE0_EEPmJS9_EEE10hipError_tPvRmT3_T4_T5_T6_T7_T9_mT8_P12ihipStream_tbDpT10_ENKUlT_T0_E_clISt17integral_constantIbLb1EES19_IbLb0EEEEDaS15_S16_EUlS15_E_NS1_11comp_targetILNS1_3genE5ELNS1_11target_archE942ELNS1_3gpuE9ELNS1_3repE0EEENS1_30default_config_static_selectorELNS0_4arch9wavefront6targetE1EEEvT1_.has_dyn_sized_stack, 0
	.set _ZN7rocprim17ROCPRIM_400000_NS6detail17trampoline_kernelINS0_14default_configENS1_25partition_config_selectorILNS1_17partition_subalgoE9EllbEEZZNS1_14partition_implILS5_9ELb0ES3_jPlS8_PNS0_10empty_typeENS0_5tupleIJS8_S9_EEENSB_IJS8_SA_EEENS0_18inequality_wrapperIZN2at6native12_GLOBAL__N_124unique_dim_cuda_templateIfEESt5tupleIJNSF_6TensorESK_SK_EERKSK_lbbbEUlllE0_EEPmJS9_EEE10hipError_tPvRmT3_T4_T5_T6_T7_T9_mT8_P12ihipStream_tbDpT10_ENKUlT_T0_E_clISt17integral_constantIbLb1EES19_IbLb0EEEEDaS15_S16_EUlS15_E_NS1_11comp_targetILNS1_3genE5ELNS1_11target_archE942ELNS1_3gpuE9ELNS1_3repE0EEENS1_30default_config_static_selectorELNS0_4arch9wavefront6targetE1EEEvT1_.has_recursion, 0
	.set _ZN7rocprim17ROCPRIM_400000_NS6detail17trampoline_kernelINS0_14default_configENS1_25partition_config_selectorILNS1_17partition_subalgoE9EllbEEZZNS1_14partition_implILS5_9ELb0ES3_jPlS8_PNS0_10empty_typeENS0_5tupleIJS8_S9_EEENSB_IJS8_SA_EEENS0_18inequality_wrapperIZN2at6native12_GLOBAL__N_124unique_dim_cuda_templateIfEESt5tupleIJNSF_6TensorESK_SK_EERKSK_lbbbEUlllE0_EEPmJS9_EEE10hipError_tPvRmT3_T4_T5_T6_T7_T9_mT8_P12ihipStream_tbDpT10_ENKUlT_T0_E_clISt17integral_constantIbLb1EES19_IbLb0EEEEDaS15_S16_EUlS15_E_NS1_11comp_targetILNS1_3genE5ELNS1_11target_archE942ELNS1_3gpuE9ELNS1_3repE0EEENS1_30default_config_static_selectorELNS0_4arch9wavefront6targetE1EEEvT1_.has_indirect_call, 0
	.section	.AMDGPU.csdata,"",@progbits
; Kernel info:
; codeLenInByte = 0
; TotalNumSgprs: 6
; NumVgprs: 0
; NumAgprs: 0
; TotalNumVgprs: 0
; ScratchSize: 0
; MemoryBound: 0
; FloatMode: 240
; IeeeMode: 1
; LDSByteSize: 0 bytes/workgroup (compile time only)
; SGPRBlocks: 0
; VGPRBlocks: 0
; NumSGPRsForWavesPerEU: 6
; NumVGPRsForWavesPerEU: 1
; AccumOffset: 4
; Occupancy: 8
; WaveLimiterHint : 0
; COMPUTE_PGM_RSRC2:SCRATCH_EN: 0
; COMPUTE_PGM_RSRC2:USER_SGPR: 2
; COMPUTE_PGM_RSRC2:TRAP_HANDLER: 0
; COMPUTE_PGM_RSRC2:TGID_X_EN: 1
; COMPUTE_PGM_RSRC2:TGID_Y_EN: 0
; COMPUTE_PGM_RSRC2:TGID_Z_EN: 0
; COMPUTE_PGM_RSRC2:TIDIG_COMP_CNT: 0
; COMPUTE_PGM_RSRC3_GFX90A:ACCUM_OFFSET: 0
; COMPUTE_PGM_RSRC3_GFX90A:TG_SPLIT: 0
	.section	.text._ZN7rocprim17ROCPRIM_400000_NS6detail17trampoline_kernelINS0_14default_configENS1_25partition_config_selectorILNS1_17partition_subalgoE9EllbEEZZNS1_14partition_implILS5_9ELb0ES3_jPlS8_PNS0_10empty_typeENS0_5tupleIJS8_S9_EEENSB_IJS8_SA_EEENS0_18inequality_wrapperIZN2at6native12_GLOBAL__N_124unique_dim_cuda_templateIfEESt5tupleIJNSF_6TensorESK_SK_EERKSK_lbbbEUlllE0_EEPmJS9_EEE10hipError_tPvRmT3_T4_T5_T6_T7_T9_mT8_P12ihipStream_tbDpT10_ENKUlT_T0_E_clISt17integral_constantIbLb1EES19_IbLb0EEEEDaS15_S16_EUlS15_E_NS1_11comp_targetILNS1_3genE4ELNS1_11target_archE910ELNS1_3gpuE8ELNS1_3repE0EEENS1_30default_config_static_selectorELNS0_4arch9wavefront6targetE1EEEvT1_,"axG",@progbits,_ZN7rocprim17ROCPRIM_400000_NS6detail17trampoline_kernelINS0_14default_configENS1_25partition_config_selectorILNS1_17partition_subalgoE9EllbEEZZNS1_14partition_implILS5_9ELb0ES3_jPlS8_PNS0_10empty_typeENS0_5tupleIJS8_S9_EEENSB_IJS8_SA_EEENS0_18inequality_wrapperIZN2at6native12_GLOBAL__N_124unique_dim_cuda_templateIfEESt5tupleIJNSF_6TensorESK_SK_EERKSK_lbbbEUlllE0_EEPmJS9_EEE10hipError_tPvRmT3_T4_T5_T6_T7_T9_mT8_P12ihipStream_tbDpT10_ENKUlT_T0_E_clISt17integral_constantIbLb1EES19_IbLb0EEEEDaS15_S16_EUlS15_E_NS1_11comp_targetILNS1_3genE4ELNS1_11target_archE910ELNS1_3gpuE8ELNS1_3repE0EEENS1_30default_config_static_selectorELNS0_4arch9wavefront6targetE1EEEvT1_,comdat
	.globl	_ZN7rocprim17ROCPRIM_400000_NS6detail17trampoline_kernelINS0_14default_configENS1_25partition_config_selectorILNS1_17partition_subalgoE9EllbEEZZNS1_14partition_implILS5_9ELb0ES3_jPlS8_PNS0_10empty_typeENS0_5tupleIJS8_S9_EEENSB_IJS8_SA_EEENS0_18inequality_wrapperIZN2at6native12_GLOBAL__N_124unique_dim_cuda_templateIfEESt5tupleIJNSF_6TensorESK_SK_EERKSK_lbbbEUlllE0_EEPmJS9_EEE10hipError_tPvRmT3_T4_T5_T6_T7_T9_mT8_P12ihipStream_tbDpT10_ENKUlT_T0_E_clISt17integral_constantIbLb1EES19_IbLb0EEEEDaS15_S16_EUlS15_E_NS1_11comp_targetILNS1_3genE4ELNS1_11target_archE910ELNS1_3gpuE8ELNS1_3repE0EEENS1_30default_config_static_selectorELNS0_4arch9wavefront6targetE1EEEvT1_ ; -- Begin function _ZN7rocprim17ROCPRIM_400000_NS6detail17trampoline_kernelINS0_14default_configENS1_25partition_config_selectorILNS1_17partition_subalgoE9EllbEEZZNS1_14partition_implILS5_9ELb0ES3_jPlS8_PNS0_10empty_typeENS0_5tupleIJS8_S9_EEENSB_IJS8_SA_EEENS0_18inequality_wrapperIZN2at6native12_GLOBAL__N_124unique_dim_cuda_templateIfEESt5tupleIJNSF_6TensorESK_SK_EERKSK_lbbbEUlllE0_EEPmJS9_EEE10hipError_tPvRmT3_T4_T5_T6_T7_T9_mT8_P12ihipStream_tbDpT10_ENKUlT_T0_E_clISt17integral_constantIbLb1EES19_IbLb0EEEEDaS15_S16_EUlS15_E_NS1_11comp_targetILNS1_3genE4ELNS1_11target_archE910ELNS1_3gpuE8ELNS1_3repE0EEENS1_30default_config_static_selectorELNS0_4arch9wavefront6targetE1EEEvT1_
	.p2align	8
	.type	_ZN7rocprim17ROCPRIM_400000_NS6detail17trampoline_kernelINS0_14default_configENS1_25partition_config_selectorILNS1_17partition_subalgoE9EllbEEZZNS1_14partition_implILS5_9ELb0ES3_jPlS8_PNS0_10empty_typeENS0_5tupleIJS8_S9_EEENSB_IJS8_SA_EEENS0_18inequality_wrapperIZN2at6native12_GLOBAL__N_124unique_dim_cuda_templateIfEESt5tupleIJNSF_6TensorESK_SK_EERKSK_lbbbEUlllE0_EEPmJS9_EEE10hipError_tPvRmT3_T4_T5_T6_T7_T9_mT8_P12ihipStream_tbDpT10_ENKUlT_T0_E_clISt17integral_constantIbLb1EES19_IbLb0EEEEDaS15_S16_EUlS15_E_NS1_11comp_targetILNS1_3genE4ELNS1_11target_archE910ELNS1_3gpuE8ELNS1_3repE0EEENS1_30default_config_static_selectorELNS0_4arch9wavefront6targetE1EEEvT1_,@function
_ZN7rocprim17ROCPRIM_400000_NS6detail17trampoline_kernelINS0_14default_configENS1_25partition_config_selectorILNS1_17partition_subalgoE9EllbEEZZNS1_14partition_implILS5_9ELb0ES3_jPlS8_PNS0_10empty_typeENS0_5tupleIJS8_S9_EEENSB_IJS8_SA_EEENS0_18inequality_wrapperIZN2at6native12_GLOBAL__N_124unique_dim_cuda_templateIfEESt5tupleIJNSF_6TensorESK_SK_EERKSK_lbbbEUlllE0_EEPmJS9_EEE10hipError_tPvRmT3_T4_T5_T6_T7_T9_mT8_P12ihipStream_tbDpT10_ENKUlT_T0_E_clISt17integral_constantIbLb1EES19_IbLb0EEEEDaS15_S16_EUlS15_E_NS1_11comp_targetILNS1_3genE4ELNS1_11target_archE910ELNS1_3gpuE8ELNS1_3repE0EEENS1_30default_config_static_selectorELNS0_4arch9wavefront6targetE1EEEvT1_: ; @_ZN7rocprim17ROCPRIM_400000_NS6detail17trampoline_kernelINS0_14default_configENS1_25partition_config_selectorILNS1_17partition_subalgoE9EllbEEZZNS1_14partition_implILS5_9ELb0ES3_jPlS8_PNS0_10empty_typeENS0_5tupleIJS8_S9_EEENSB_IJS8_SA_EEENS0_18inequality_wrapperIZN2at6native12_GLOBAL__N_124unique_dim_cuda_templateIfEESt5tupleIJNSF_6TensorESK_SK_EERKSK_lbbbEUlllE0_EEPmJS9_EEE10hipError_tPvRmT3_T4_T5_T6_T7_T9_mT8_P12ihipStream_tbDpT10_ENKUlT_T0_E_clISt17integral_constantIbLb1EES19_IbLb0EEEEDaS15_S16_EUlS15_E_NS1_11comp_targetILNS1_3genE4ELNS1_11target_archE910ELNS1_3gpuE8ELNS1_3repE0EEENS1_30default_config_static_selectorELNS0_4arch9wavefront6targetE1EEEvT1_
; %bb.0:
	.section	.rodata,"a",@progbits
	.p2align	6, 0x0
	.amdhsa_kernel _ZN7rocprim17ROCPRIM_400000_NS6detail17trampoline_kernelINS0_14default_configENS1_25partition_config_selectorILNS1_17partition_subalgoE9EllbEEZZNS1_14partition_implILS5_9ELb0ES3_jPlS8_PNS0_10empty_typeENS0_5tupleIJS8_S9_EEENSB_IJS8_SA_EEENS0_18inequality_wrapperIZN2at6native12_GLOBAL__N_124unique_dim_cuda_templateIfEESt5tupleIJNSF_6TensorESK_SK_EERKSK_lbbbEUlllE0_EEPmJS9_EEE10hipError_tPvRmT3_T4_T5_T6_T7_T9_mT8_P12ihipStream_tbDpT10_ENKUlT_T0_E_clISt17integral_constantIbLb1EES19_IbLb0EEEEDaS15_S16_EUlS15_E_NS1_11comp_targetILNS1_3genE4ELNS1_11target_archE910ELNS1_3gpuE8ELNS1_3repE0EEENS1_30default_config_static_selectorELNS0_4arch9wavefront6targetE1EEEvT1_
		.amdhsa_group_segment_fixed_size 0
		.amdhsa_private_segment_fixed_size 0
		.amdhsa_kernarg_size 120
		.amdhsa_user_sgpr_count 2
		.amdhsa_user_sgpr_dispatch_ptr 0
		.amdhsa_user_sgpr_queue_ptr 0
		.amdhsa_user_sgpr_kernarg_segment_ptr 1
		.amdhsa_user_sgpr_dispatch_id 0
		.amdhsa_user_sgpr_kernarg_preload_length 0
		.amdhsa_user_sgpr_kernarg_preload_offset 0
		.amdhsa_user_sgpr_private_segment_size 0
		.amdhsa_uses_dynamic_stack 0
		.amdhsa_enable_private_segment 0
		.amdhsa_system_sgpr_workgroup_id_x 1
		.amdhsa_system_sgpr_workgroup_id_y 0
		.amdhsa_system_sgpr_workgroup_id_z 0
		.amdhsa_system_sgpr_workgroup_info 0
		.amdhsa_system_vgpr_workitem_id 0
		.amdhsa_next_free_vgpr 1
		.amdhsa_next_free_sgpr 0
		.amdhsa_accum_offset 4
		.amdhsa_reserve_vcc 0
		.amdhsa_float_round_mode_32 0
		.amdhsa_float_round_mode_16_64 0
		.amdhsa_float_denorm_mode_32 3
		.amdhsa_float_denorm_mode_16_64 3
		.amdhsa_dx10_clamp 1
		.amdhsa_ieee_mode 1
		.amdhsa_fp16_overflow 0
		.amdhsa_tg_split 0
		.amdhsa_exception_fp_ieee_invalid_op 0
		.amdhsa_exception_fp_denorm_src 0
		.amdhsa_exception_fp_ieee_div_zero 0
		.amdhsa_exception_fp_ieee_overflow 0
		.amdhsa_exception_fp_ieee_underflow 0
		.amdhsa_exception_fp_ieee_inexact 0
		.amdhsa_exception_int_div_zero 0
	.end_amdhsa_kernel
	.section	.text._ZN7rocprim17ROCPRIM_400000_NS6detail17trampoline_kernelINS0_14default_configENS1_25partition_config_selectorILNS1_17partition_subalgoE9EllbEEZZNS1_14partition_implILS5_9ELb0ES3_jPlS8_PNS0_10empty_typeENS0_5tupleIJS8_S9_EEENSB_IJS8_SA_EEENS0_18inequality_wrapperIZN2at6native12_GLOBAL__N_124unique_dim_cuda_templateIfEESt5tupleIJNSF_6TensorESK_SK_EERKSK_lbbbEUlllE0_EEPmJS9_EEE10hipError_tPvRmT3_T4_T5_T6_T7_T9_mT8_P12ihipStream_tbDpT10_ENKUlT_T0_E_clISt17integral_constantIbLb1EES19_IbLb0EEEEDaS15_S16_EUlS15_E_NS1_11comp_targetILNS1_3genE4ELNS1_11target_archE910ELNS1_3gpuE8ELNS1_3repE0EEENS1_30default_config_static_selectorELNS0_4arch9wavefront6targetE1EEEvT1_,"axG",@progbits,_ZN7rocprim17ROCPRIM_400000_NS6detail17trampoline_kernelINS0_14default_configENS1_25partition_config_selectorILNS1_17partition_subalgoE9EllbEEZZNS1_14partition_implILS5_9ELb0ES3_jPlS8_PNS0_10empty_typeENS0_5tupleIJS8_S9_EEENSB_IJS8_SA_EEENS0_18inequality_wrapperIZN2at6native12_GLOBAL__N_124unique_dim_cuda_templateIfEESt5tupleIJNSF_6TensorESK_SK_EERKSK_lbbbEUlllE0_EEPmJS9_EEE10hipError_tPvRmT3_T4_T5_T6_T7_T9_mT8_P12ihipStream_tbDpT10_ENKUlT_T0_E_clISt17integral_constantIbLb1EES19_IbLb0EEEEDaS15_S16_EUlS15_E_NS1_11comp_targetILNS1_3genE4ELNS1_11target_archE910ELNS1_3gpuE8ELNS1_3repE0EEENS1_30default_config_static_selectorELNS0_4arch9wavefront6targetE1EEEvT1_,comdat
.Lfunc_end979:
	.size	_ZN7rocprim17ROCPRIM_400000_NS6detail17trampoline_kernelINS0_14default_configENS1_25partition_config_selectorILNS1_17partition_subalgoE9EllbEEZZNS1_14partition_implILS5_9ELb0ES3_jPlS8_PNS0_10empty_typeENS0_5tupleIJS8_S9_EEENSB_IJS8_SA_EEENS0_18inequality_wrapperIZN2at6native12_GLOBAL__N_124unique_dim_cuda_templateIfEESt5tupleIJNSF_6TensorESK_SK_EERKSK_lbbbEUlllE0_EEPmJS9_EEE10hipError_tPvRmT3_T4_T5_T6_T7_T9_mT8_P12ihipStream_tbDpT10_ENKUlT_T0_E_clISt17integral_constantIbLb1EES19_IbLb0EEEEDaS15_S16_EUlS15_E_NS1_11comp_targetILNS1_3genE4ELNS1_11target_archE910ELNS1_3gpuE8ELNS1_3repE0EEENS1_30default_config_static_selectorELNS0_4arch9wavefront6targetE1EEEvT1_, .Lfunc_end979-_ZN7rocprim17ROCPRIM_400000_NS6detail17trampoline_kernelINS0_14default_configENS1_25partition_config_selectorILNS1_17partition_subalgoE9EllbEEZZNS1_14partition_implILS5_9ELb0ES3_jPlS8_PNS0_10empty_typeENS0_5tupleIJS8_S9_EEENSB_IJS8_SA_EEENS0_18inequality_wrapperIZN2at6native12_GLOBAL__N_124unique_dim_cuda_templateIfEESt5tupleIJNSF_6TensorESK_SK_EERKSK_lbbbEUlllE0_EEPmJS9_EEE10hipError_tPvRmT3_T4_T5_T6_T7_T9_mT8_P12ihipStream_tbDpT10_ENKUlT_T0_E_clISt17integral_constantIbLb1EES19_IbLb0EEEEDaS15_S16_EUlS15_E_NS1_11comp_targetILNS1_3genE4ELNS1_11target_archE910ELNS1_3gpuE8ELNS1_3repE0EEENS1_30default_config_static_selectorELNS0_4arch9wavefront6targetE1EEEvT1_
                                        ; -- End function
	.set _ZN7rocprim17ROCPRIM_400000_NS6detail17trampoline_kernelINS0_14default_configENS1_25partition_config_selectorILNS1_17partition_subalgoE9EllbEEZZNS1_14partition_implILS5_9ELb0ES3_jPlS8_PNS0_10empty_typeENS0_5tupleIJS8_S9_EEENSB_IJS8_SA_EEENS0_18inequality_wrapperIZN2at6native12_GLOBAL__N_124unique_dim_cuda_templateIfEESt5tupleIJNSF_6TensorESK_SK_EERKSK_lbbbEUlllE0_EEPmJS9_EEE10hipError_tPvRmT3_T4_T5_T6_T7_T9_mT8_P12ihipStream_tbDpT10_ENKUlT_T0_E_clISt17integral_constantIbLb1EES19_IbLb0EEEEDaS15_S16_EUlS15_E_NS1_11comp_targetILNS1_3genE4ELNS1_11target_archE910ELNS1_3gpuE8ELNS1_3repE0EEENS1_30default_config_static_selectorELNS0_4arch9wavefront6targetE1EEEvT1_.num_vgpr, 0
	.set _ZN7rocprim17ROCPRIM_400000_NS6detail17trampoline_kernelINS0_14default_configENS1_25partition_config_selectorILNS1_17partition_subalgoE9EllbEEZZNS1_14partition_implILS5_9ELb0ES3_jPlS8_PNS0_10empty_typeENS0_5tupleIJS8_S9_EEENSB_IJS8_SA_EEENS0_18inequality_wrapperIZN2at6native12_GLOBAL__N_124unique_dim_cuda_templateIfEESt5tupleIJNSF_6TensorESK_SK_EERKSK_lbbbEUlllE0_EEPmJS9_EEE10hipError_tPvRmT3_T4_T5_T6_T7_T9_mT8_P12ihipStream_tbDpT10_ENKUlT_T0_E_clISt17integral_constantIbLb1EES19_IbLb0EEEEDaS15_S16_EUlS15_E_NS1_11comp_targetILNS1_3genE4ELNS1_11target_archE910ELNS1_3gpuE8ELNS1_3repE0EEENS1_30default_config_static_selectorELNS0_4arch9wavefront6targetE1EEEvT1_.num_agpr, 0
	.set _ZN7rocprim17ROCPRIM_400000_NS6detail17trampoline_kernelINS0_14default_configENS1_25partition_config_selectorILNS1_17partition_subalgoE9EllbEEZZNS1_14partition_implILS5_9ELb0ES3_jPlS8_PNS0_10empty_typeENS0_5tupleIJS8_S9_EEENSB_IJS8_SA_EEENS0_18inequality_wrapperIZN2at6native12_GLOBAL__N_124unique_dim_cuda_templateIfEESt5tupleIJNSF_6TensorESK_SK_EERKSK_lbbbEUlllE0_EEPmJS9_EEE10hipError_tPvRmT3_T4_T5_T6_T7_T9_mT8_P12ihipStream_tbDpT10_ENKUlT_T0_E_clISt17integral_constantIbLb1EES19_IbLb0EEEEDaS15_S16_EUlS15_E_NS1_11comp_targetILNS1_3genE4ELNS1_11target_archE910ELNS1_3gpuE8ELNS1_3repE0EEENS1_30default_config_static_selectorELNS0_4arch9wavefront6targetE1EEEvT1_.numbered_sgpr, 0
	.set _ZN7rocprim17ROCPRIM_400000_NS6detail17trampoline_kernelINS0_14default_configENS1_25partition_config_selectorILNS1_17partition_subalgoE9EllbEEZZNS1_14partition_implILS5_9ELb0ES3_jPlS8_PNS0_10empty_typeENS0_5tupleIJS8_S9_EEENSB_IJS8_SA_EEENS0_18inequality_wrapperIZN2at6native12_GLOBAL__N_124unique_dim_cuda_templateIfEESt5tupleIJNSF_6TensorESK_SK_EERKSK_lbbbEUlllE0_EEPmJS9_EEE10hipError_tPvRmT3_T4_T5_T6_T7_T9_mT8_P12ihipStream_tbDpT10_ENKUlT_T0_E_clISt17integral_constantIbLb1EES19_IbLb0EEEEDaS15_S16_EUlS15_E_NS1_11comp_targetILNS1_3genE4ELNS1_11target_archE910ELNS1_3gpuE8ELNS1_3repE0EEENS1_30default_config_static_selectorELNS0_4arch9wavefront6targetE1EEEvT1_.num_named_barrier, 0
	.set _ZN7rocprim17ROCPRIM_400000_NS6detail17trampoline_kernelINS0_14default_configENS1_25partition_config_selectorILNS1_17partition_subalgoE9EllbEEZZNS1_14partition_implILS5_9ELb0ES3_jPlS8_PNS0_10empty_typeENS0_5tupleIJS8_S9_EEENSB_IJS8_SA_EEENS0_18inequality_wrapperIZN2at6native12_GLOBAL__N_124unique_dim_cuda_templateIfEESt5tupleIJNSF_6TensorESK_SK_EERKSK_lbbbEUlllE0_EEPmJS9_EEE10hipError_tPvRmT3_T4_T5_T6_T7_T9_mT8_P12ihipStream_tbDpT10_ENKUlT_T0_E_clISt17integral_constantIbLb1EES19_IbLb0EEEEDaS15_S16_EUlS15_E_NS1_11comp_targetILNS1_3genE4ELNS1_11target_archE910ELNS1_3gpuE8ELNS1_3repE0EEENS1_30default_config_static_selectorELNS0_4arch9wavefront6targetE1EEEvT1_.private_seg_size, 0
	.set _ZN7rocprim17ROCPRIM_400000_NS6detail17trampoline_kernelINS0_14default_configENS1_25partition_config_selectorILNS1_17partition_subalgoE9EllbEEZZNS1_14partition_implILS5_9ELb0ES3_jPlS8_PNS0_10empty_typeENS0_5tupleIJS8_S9_EEENSB_IJS8_SA_EEENS0_18inequality_wrapperIZN2at6native12_GLOBAL__N_124unique_dim_cuda_templateIfEESt5tupleIJNSF_6TensorESK_SK_EERKSK_lbbbEUlllE0_EEPmJS9_EEE10hipError_tPvRmT3_T4_T5_T6_T7_T9_mT8_P12ihipStream_tbDpT10_ENKUlT_T0_E_clISt17integral_constantIbLb1EES19_IbLb0EEEEDaS15_S16_EUlS15_E_NS1_11comp_targetILNS1_3genE4ELNS1_11target_archE910ELNS1_3gpuE8ELNS1_3repE0EEENS1_30default_config_static_selectorELNS0_4arch9wavefront6targetE1EEEvT1_.uses_vcc, 0
	.set _ZN7rocprim17ROCPRIM_400000_NS6detail17trampoline_kernelINS0_14default_configENS1_25partition_config_selectorILNS1_17partition_subalgoE9EllbEEZZNS1_14partition_implILS5_9ELb0ES3_jPlS8_PNS0_10empty_typeENS0_5tupleIJS8_S9_EEENSB_IJS8_SA_EEENS0_18inequality_wrapperIZN2at6native12_GLOBAL__N_124unique_dim_cuda_templateIfEESt5tupleIJNSF_6TensorESK_SK_EERKSK_lbbbEUlllE0_EEPmJS9_EEE10hipError_tPvRmT3_T4_T5_T6_T7_T9_mT8_P12ihipStream_tbDpT10_ENKUlT_T0_E_clISt17integral_constantIbLb1EES19_IbLb0EEEEDaS15_S16_EUlS15_E_NS1_11comp_targetILNS1_3genE4ELNS1_11target_archE910ELNS1_3gpuE8ELNS1_3repE0EEENS1_30default_config_static_selectorELNS0_4arch9wavefront6targetE1EEEvT1_.uses_flat_scratch, 0
	.set _ZN7rocprim17ROCPRIM_400000_NS6detail17trampoline_kernelINS0_14default_configENS1_25partition_config_selectorILNS1_17partition_subalgoE9EllbEEZZNS1_14partition_implILS5_9ELb0ES3_jPlS8_PNS0_10empty_typeENS0_5tupleIJS8_S9_EEENSB_IJS8_SA_EEENS0_18inequality_wrapperIZN2at6native12_GLOBAL__N_124unique_dim_cuda_templateIfEESt5tupleIJNSF_6TensorESK_SK_EERKSK_lbbbEUlllE0_EEPmJS9_EEE10hipError_tPvRmT3_T4_T5_T6_T7_T9_mT8_P12ihipStream_tbDpT10_ENKUlT_T0_E_clISt17integral_constantIbLb1EES19_IbLb0EEEEDaS15_S16_EUlS15_E_NS1_11comp_targetILNS1_3genE4ELNS1_11target_archE910ELNS1_3gpuE8ELNS1_3repE0EEENS1_30default_config_static_selectorELNS0_4arch9wavefront6targetE1EEEvT1_.has_dyn_sized_stack, 0
	.set _ZN7rocprim17ROCPRIM_400000_NS6detail17trampoline_kernelINS0_14default_configENS1_25partition_config_selectorILNS1_17partition_subalgoE9EllbEEZZNS1_14partition_implILS5_9ELb0ES3_jPlS8_PNS0_10empty_typeENS0_5tupleIJS8_S9_EEENSB_IJS8_SA_EEENS0_18inequality_wrapperIZN2at6native12_GLOBAL__N_124unique_dim_cuda_templateIfEESt5tupleIJNSF_6TensorESK_SK_EERKSK_lbbbEUlllE0_EEPmJS9_EEE10hipError_tPvRmT3_T4_T5_T6_T7_T9_mT8_P12ihipStream_tbDpT10_ENKUlT_T0_E_clISt17integral_constantIbLb1EES19_IbLb0EEEEDaS15_S16_EUlS15_E_NS1_11comp_targetILNS1_3genE4ELNS1_11target_archE910ELNS1_3gpuE8ELNS1_3repE0EEENS1_30default_config_static_selectorELNS0_4arch9wavefront6targetE1EEEvT1_.has_recursion, 0
	.set _ZN7rocprim17ROCPRIM_400000_NS6detail17trampoline_kernelINS0_14default_configENS1_25partition_config_selectorILNS1_17partition_subalgoE9EllbEEZZNS1_14partition_implILS5_9ELb0ES3_jPlS8_PNS0_10empty_typeENS0_5tupleIJS8_S9_EEENSB_IJS8_SA_EEENS0_18inequality_wrapperIZN2at6native12_GLOBAL__N_124unique_dim_cuda_templateIfEESt5tupleIJNSF_6TensorESK_SK_EERKSK_lbbbEUlllE0_EEPmJS9_EEE10hipError_tPvRmT3_T4_T5_T6_T7_T9_mT8_P12ihipStream_tbDpT10_ENKUlT_T0_E_clISt17integral_constantIbLb1EES19_IbLb0EEEEDaS15_S16_EUlS15_E_NS1_11comp_targetILNS1_3genE4ELNS1_11target_archE910ELNS1_3gpuE8ELNS1_3repE0EEENS1_30default_config_static_selectorELNS0_4arch9wavefront6targetE1EEEvT1_.has_indirect_call, 0
	.section	.AMDGPU.csdata,"",@progbits
; Kernel info:
; codeLenInByte = 0
; TotalNumSgprs: 6
; NumVgprs: 0
; NumAgprs: 0
; TotalNumVgprs: 0
; ScratchSize: 0
; MemoryBound: 0
; FloatMode: 240
; IeeeMode: 1
; LDSByteSize: 0 bytes/workgroup (compile time only)
; SGPRBlocks: 0
; VGPRBlocks: 0
; NumSGPRsForWavesPerEU: 6
; NumVGPRsForWavesPerEU: 1
; AccumOffset: 4
; Occupancy: 8
; WaveLimiterHint : 0
; COMPUTE_PGM_RSRC2:SCRATCH_EN: 0
; COMPUTE_PGM_RSRC2:USER_SGPR: 2
; COMPUTE_PGM_RSRC2:TRAP_HANDLER: 0
; COMPUTE_PGM_RSRC2:TGID_X_EN: 1
; COMPUTE_PGM_RSRC2:TGID_Y_EN: 0
; COMPUTE_PGM_RSRC2:TGID_Z_EN: 0
; COMPUTE_PGM_RSRC2:TIDIG_COMP_CNT: 0
; COMPUTE_PGM_RSRC3_GFX90A:ACCUM_OFFSET: 0
; COMPUTE_PGM_RSRC3_GFX90A:TG_SPLIT: 0
	.section	.text._ZN7rocprim17ROCPRIM_400000_NS6detail17trampoline_kernelINS0_14default_configENS1_25partition_config_selectorILNS1_17partition_subalgoE9EllbEEZZNS1_14partition_implILS5_9ELb0ES3_jPlS8_PNS0_10empty_typeENS0_5tupleIJS8_S9_EEENSB_IJS8_SA_EEENS0_18inequality_wrapperIZN2at6native12_GLOBAL__N_124unique_dim_cuda_templateIfEESt5tupleIJNSF_6TensorESK_SK_EERKSK_lbbbEUlllE0_EEPmJS9_EEE10hipError_tPvRmT3_T4_T5_T6_T7_T9_mT8_P12ihipStream_tbDpT10_ENKUlT_T0_E_clISt17integral_constantIbLb1EES19_IbLb0EEEEDaS15_S16_EUlS15_E_NS1_11comp_targetILNS1_3genE3ELNS1_11target_archE908ELNS1_3gpuE7ELNS1_3repE0EEENS1_30default_config_static_selectorELNS0_4arch9wavefront6targetE1EEEvT1_,"axG",@progbits,_ZN7rocprim17ROCPRIM_400000_NS6detail17trampoline_kernelINS0_14default_configENS1_25partition_config_selectorILNS1_17partition_subalgoE9EllbEEZZNS1_14partition_implILS5_9ELb0ES3_jPlS8_PNS0_10empty_typeENS0_5tupleIJS8_S9_EEENSB_IJS8_SA_EEENS0_18inequality_wrapperIZN2at6native12_GLOBAL__N_124unique_dim_cuda_templateIfEESt5tupleIJNSF_6TensorESK_SK_EERKSK_lbbbEUlllE0_EEPmJS9_EEE10hipError_tPvRmT3_T4_T5_T6_T7_T9_mT8_P12ihipStream_tbDpT10_ENKUlT_T0_E_clISt17integral_constantIbLb1EES19_IbLb0EEEEDaS15_S16_EUlS15_E_NS1_11comp_targetILNS1_3genE3ELNS1_11target_archE908ELNS1_3gpuE7ELNS1_3repE0EEENS1_30default_config_static_selectorELNS0_4arch9wavefront6targetE1EEEvT1_,comdat
	.globl	_ZN7rocprim17ROCPRIM_400000_NS6detail17trampoline_kernelINS0_14default_configENS1_25partition_config_selectorILNS1_17partition_subalgoE9EllbEEZZNS1_14partition_implILS5_9ELb0ES3_jPlS8_PNS0_10empty_typeENS0_5tupleIJS8_S9_EEENSB_IJS8_SA_EEENS0_18inequality_wrapperIZN2at6native12_GLOBAL__N_124unique_dim_cuda_templateIfEESt5tupleIJNSF_6TensorESK_SK_EERKSK_lbbbEUlllE0_EEPmJS9_EEE10hipError_tPvRmT3_T4_T5_T6_T7_T9_mT8_P12ihipStream_tbDpT10_ENKUlT_T0_E_clISt17integral_constantIbLb1EES19_IbLb0EEEEDaS15_S16_EUlS15_E_NS1_11comp_targetILNS1_3genE3ELNS1_11target_archE908ELNS1_3gpuE7ELNS1_3repE0EEENS1_30default_config_static_selectorELNS0_4arch9wavefront6targetE1EEEvT1_ ; -- Begin function _ZN7rocprim17ROCPRIM_400000_NS6detail17trampoline_kernelINS0_14default_configENS1_25partition_config_selectorILNS1_17partition_subalgoE9EllbEEZZNS1_14partition_implILS5_9ELb0ES3_jPlS8_PNS0_10empty_typeENS0_5tupleIJS8_S9_EEENSB_IJS8_SA_EEENS0_18inequality_wrapperIZN2at6native12_GLOBAL__N_124unique_dim_cuda_templateIfEESt5tupleIJNSF_6TensorESK_SK_EERKSK_lbbbEUlllE0_EEPmJS9_EEE10hipError_tPvRmT3_T4_T5_T6_T7_T9_mT8_P12ihipStream_tbDpT10_ENKUlT_T0_E_clISt17integral_constantIbLb1EES19_IbLb0EEEEDaS15_S16_EUlS15_E_NS1_11comp_targetILNS1_3genE3ELNS1_11target_archE908ELNS1_3gpuE7ELNS1_3repE0EEENS1_30default_config_static_selectorELNS0_4arch9wavefront6targetE1EEEvT1_
	.p2align	8
	.type	_ZN7rocprim17ROCPRIM_400000_NS6detail17trampoline_kernelINS0_14default_configENS1_25partition_config_selectorILNS1_17partition_subalgoE9EllbEEZZNS1_14partition_implILS5_9ELb0ES3_jPlS8_PNS0_10empty_typeENS0_5tupleIJS8_S9_EEENSB_IJS8_SA_EEENS0_18inequality_wrapperIZN2at6native12_GLOBAL__N_124unique_dim_cuda_templateIfEESt5tupleIJNSF_6TensorESK_SK_EERKSK_lbbbEUlllE0_EEPmJS9_EEE10hipError_tPvRmT3_T4_T5_T6_T7_T9_mT8_P12ihipStream_tbDpT10_ENKUlT_T0_E_clISt17integral_constantIbLb1EES19_IbLb0EEEEDaS15_S16_EUlS15_E_NS1_11comp_targetILNS1_3genE3ELNS1_11target_archE908ELNS1_3gpuE7ELNS1_3repE0EEENS1_30default_config_static_selectorELNS0_4arch9wavefront6targetE1EEEvT1_,@function
_ZN7rocprim17ROCPRIM_400000_NS6detail17trampoline_kernelINS0_14default_configENS1_25partition_config_selectorILNS1_17partition_subalgoE9EllbEEZZNS1_14partition_implILS5_9ELb0ES3_jPlS8_PNS0_10empty_typeENS0_5tupleIJS8_S9_EEENSB_IJS8_SA_EEENS0_18inequality_wrapperIZN2at6native12_GLOBAL__N_124unique_dim_cuda_templateIfEESt5tupleIJNSF_6TensorESK_SK_EERKSK_lbbbEUlllE0_EEPmJS9_EEE10hipError_tPvRmT3_T4_T5_T6_T7_T9_mT8_P12ihipStream_tbDpT10_ENKUlT_T0_E_clISt17integral_constantIbLb1EES19_IbLb0EEEEDaS15_S16_EUlS15_E_NS1_11comp_targetILNS1_3genE3ELNS1_11target_archE908ELNS1_3gpuE7ELNS1_3repE0EEENS1_30default_config_static_selectorELNS0_4arch9wavefront6targetE1EEEvT1_: ; @_ZN7rocprim17ROCPRIM_400000_NS6detail17trampoline_kernelINS0_14default_configENS1_25partition_config_selectorILNS1_17partition_subalgoE9EllbEEZZNS1_14partition_implILS5_9ELb0ES3_jPlS8_PNS0_10empty_typeENS0_5tupleIJS8_S9_EEENSB_IJS8_SA_EEENS0_18inequality_wrapperIZN2at6native12_GLOBAL__N_124unique_dim_cuda_templateIfEESt5tupleIJNSF_6TensorESK_SK_EERKSK_lbbbEUlllE0_EEPmJS9_EEE10hipError_tPvRmT3_T4_T5_T6_T7_T9_mT8_P12ihipStream_tbDpT10_ENKUlT_T0_E_clISt17integral_constantIbLb1EES19_IbLb0EEEEDaS15_S16_EUlS15_E_NS1_11comp_targetILNS1_3genE3ELNS1_11target_archE908ELNS1_3gpuE7ELNS1_3repE0EEENS1_30default_config_static_selectorELNS0_4arch9wavefront6targetE1EEEvT1_
; %bb.0:
	.section	.rodata,"a",@progbits
	.p2align	6, 0x0
	.amdhsa_kernel _ZN7rocprim17ROCPRIM_400000_NS6detail17trampoline_kernelINS0_14default_configENS1_25partition_config_selectorILNS1_17partition_subalgoE9EllbEEZZNS1_14partition_implILS5_9ELb0ES3_jPlS8_PNS0_10empty_typeENS0_5tupleIJS8_S9_EEENSB_IJS8_SA_EEENS0_18inequality_wrapperIZN2at6native12_GLOBAL__N_124unique_dim_cuda_templateIfEESt5tupleIJNSF_6TensorESK_SK_EERKSK_lbbbEUlllE0_EEPmJS9_EEE10hipError_tPvRmT3_T4_T5_T6_T7_T9_mT8_P12ihipStream_tbDpT10_ENKUlT_T0_E_clISt17integral_constantIbLb1EES19_IbLb0EEEEDaS15_S16_EUlS15_E_NS1_11comp_targetILNS1_3genE3ELNS1_11target_archE908ELNS1_3gpuE7ELNS1_3repE0EEENS1_30default_config_static_selectorELNS0_4arch9wavefront6targetE1EEEvT1_
		.amdhsa_group_segment_fixed_size 0
		.amdhsa_private_segment_fixed_size 0
		.amdhsa_kernarg_size 120
		.amdhsa_user_sgpr_count 2
		.amdhsa_user_sgpr_dispatch_ptr 0
		.amdhsa_user_sgpr_queue_ptr 0
		.amdhsa_user_sgpr_kernarg_segment_ptr 1
		.amdhsa_user_sgpr_dispatch_id 0
		.amdhsa_user_sgpr_kernarg_preload_length 0
		.amdhsa_user_sgpr_kernarg_preload_offset 0
		.amdhsa_user_sgpr_private_segment_size 0
		.amdhsa_uses_dynamic_stack 0
		.amdhsa_enable_private_segment 0
		.amdhsa_system_sgpr_workgroup_id_x 1
		.amdhsa_system_sgpr_workgroup_id_y 0
		.amdhsa_system_sgpr_workgroup_id_z 0
		.amdhsa_system_sgpr_workgroup_info 0
		.amdhsa_system_vgpr_workitem_id 0
		.amdhsa_next_free_vgpr 1
		.amdhsa_next_free_sgpr 0
		.amdhsa_accum_offset 4
		.amdhsa_reserve_vcc 0
		.amdhsa_float_round_mode_32 0
		.amdhsa_float_round_mode_16_64 0
		.amdhsa_float_denorm_mode_32 3
		.amdhsa_float_denorm_mode_16_64 3
		.amdhsa_dx10_clamp 1
		.amdhsa_ieee_mode 1
		.amdhsa_fp16_overflow 0
		.amdhsa_tg_split 0
		.amdhsa_exception_fp_ieee_invalid_op 0
		.amdhsa_exception_fp_denorm_src 0
		.amdhsa_exception_fp_ieee_div_zero 0
		.amdhsa_exception_fp_ieee_overflow 0
		.amdhsa_exception_fp_ieee_underflow 0
		.amdhsa_exception_fp_ieee_inexact 0
		.amdhsa_exception_int_div_zero 0
	.end_amdhsa_kernel
	.section	.text._ZN7rocprim17ROCPRIM_400000_NS6detail17trampoline_kernelINS0_14default_configENS1_25partition_config_selectorILNS1_17partition_subalgoE9EllbEEZZNS1_14partition_implILS5_9ELb0ES3_jPlS8_PNS0_10empty_typeENS0_5tupleIJS8_S9_EEENSB_IJS8_SA_EEENS0_18inequality_wrapperIZN2at6native12_GLOBAL__N_124unique_dim_cuda_templateIfEESt5tupleIJNSF_6TensorESK_SK_EERKSK_lbbbEUlllE0_EEPmJS9_EEE10hipError_tPvRmT3_T4_T5_T6_T7_T9_mT8_P12ihipStream_tbDpT10_ENKUlT_T0_E_clISt17integral_constantIbLb1EES19_IbLb0EEEEDaS15_S16_EUlS15_E_NS1_11comp_targetILNS1_3genE3ELNS1_11target_archE908ELNS1_3gpuE7ELNS1_3repE0EEENS1_30default_config_static_selectorELNS0_4arch9wavefront6targetE1EEEvT1_,"axG",@progbits,_ZN7rocprim17ROCPRIM_400000_NS6detail17trampoline_kernelINS0_14default_configENS1_25partition_config_selectorILNS1_17partition_subalgoE9EllbEEZZNS1_14partition_implILS5_9ELb0ES3_jPlS8_PNS0_10empty_typeENS0_5tupleIJS8_S9_EEENSB_IJS8_SA_EEENS0_18inequality_wrapperIZN2at6native12_GLOBAL__N_124unique_dim_cuda_templateIfEESt5tupleIJNSF_6TensorESK_SK_EERKSK_lbbbEUlllE0_EEPmJS9_EEE10hipError_tPvRmT3_T4_T5_T6_T7_T9_mT8_P12ihipStream_tbDpT10_ENKUlT_T0_E_clISt17integral_constantIbLb1EES19_IbLb0EEEEDaS15_S16_EUlS15_E_NS1_11comp_targetILNS1_3genE3ELNS1_11target_archE908ELNS1_3gpuE7ELNS1_3repE0EEENS1_30default_config_static_selectorELNS0_4arch9wavefront6targetE1EEEvT1_,comdat
.Lfunc_end980:
	.size	_ZN7rocprim17ROCPRIM_400000_NS6detail17trampoline_kernelINS0_14default_configENS1_25partition_config_selectorILNS1_17partition_subalgoE9EllbEEZZNS1_14partition_implILS5_9ELb0ES3_jPlS8_PNS0_10empty_typeENS0_5tupleIJS8_S9_EEENSB_IJS8_SA_EEENS0_18inequality_wrapperIZN2at6native12_GLOBAL__N_124unique_dim_cuda_templateIfEESt5tupleIJNSF_6TensorESK_SK_EERKSK_lbbbEUlllE0_EEPmJS9_EEE10hipError_tPvRmT3_T4_T5_T6_T7_T9_mT8_P12ihipStream_tbDpT10_ENKUlT_T0_E_clISt17integral_constantIbLb1EES19_IbLb0EEEEDaS15_S16_EUlS15_E_NS1_11comp_targetILNS1_3genE3ELNS1_11target_archE908ELNS1_3gpuE7ELNS1_3repE0EEENS1_30default_config_static_selectorELNS0_4arch9wavefront6targetE1EEEvT1_, .Lfunc_end980-_ZN7rocprim17ROCPRIM_400000_NS6detail17trampoline_kernelINS0_14default_configENS1_25partition_config_selectorILNS1_17partition_subalgoE9EllbEEZZNS1_14partition_implILS5_9ELb0ES3_jPlS8_PNS0_10empty_typeENS0_5tupleIJS8_S9_EEENSB_IJS8_SA_EEENS0_18inequality_wrapperIZN2at6native12_GLOBAL__N_124unique_dim_cuda_templateIfEESt5tupleIJNSF_6TensorESK_SK_EERKSK_lbbbEUlllE0_EEPmJS9_EEE10hipError_tPvRmT3_T4_T5_T6_T7_T9_mT8_P12ihipStream_tbDpT10_ENKUlT_T0_E_clISt17integral_constantIbLb1EES19_IbLb0EEEEDaS15_S16_EUlS15_E_NS1_11comp_targetILNS1_3genE3ELNS1_11target_archE908ELNS1_3gpuE7ELNS1_3repE0EEENS1_30default_config_static_selectorELNS0_4arch9wavefront6targetE1EEEvT1_
                                        ; -- End function
	.set _ZN7rocprim17ROCPRIM_400000_NS6detail17trampoline_kernelINS0_14default_configENS1_25partition_config_selectorILNS1_17partition_subalgoE9EllbEEZZNS1_14partition_implILS5_9ELb0ES3_jPlS8_PNS0_10empty_typeENS0_5tupleIJS8_S9_EEENSB_IJS8_SA_EEENS0_18inequality_wrapperIZN2at6native12_GLOBAL__N_124unique_dim_cuda_templateIfEESt5tupleIJNSF_6TensorESK_SK_EERKSK_lbbbEUlllE0_EEPmJS9_EEE10hipError_tPvRmT3_T4_T5_T6_T7_T9_mT8_P12ihipStream_tbDpT10_ENKUlT_T0_E_clISt17integral_constantIbLb1EES19_IbLb0EEEEDaS15_S16_EUlS15_E_NS1_11comp_targetILNS1_3genE3ELNS1_11target_archE908ELNS1_3gpuE7ELNS1_3repE0EEENS1_30default_config_static_selectorELNS0_4arch9wavefront6targetE1EEEvT1_.num_vgpr, 0
	.set _ZN7rocprim17ROCPRIM_400000_NS6detail17trampoline_kernelINS0_14default_configENS1_25partition_config_selectorILNS1_17partition_subalgoE9EllbEEZZNS1_14partition_implILS5_9ELb0ES3_jPlS8_PNS0_10empty_typeENS0_5tupleIJS8_S9_EEENSB_IJS8_SA_EEENS0_18inequality_wrapperIZN2at6native12_GLOBAL__N_124unique_dim_cuda_templateIfEESt5tupleIJNSF_6TensorESK_SK_EERKSK_lbbbEUlllE0_EEPmJS9_EEE10hipError_tPvRmT3_T4_T5_T6_T7_T9_mT8_P12ihipStream_tbDpT10_ENKUlT_T0_E_clISt17integral_constantIbLb1EES19_IbLb0EEEEDaS15_S16_EUlS15_E_NS1_11comp_targetILNS1_3genE3ELNS1_11target_archE908ELNS1_3gpuE7ELNS1_3repE0EEENS1_30default_config_static_selectorELNS0_4arch9wavefront6targetE1EEEvT1_.num_agpr, 0
	.set _ZN7rocprim17ROCPRIM_400000_NS6detail17trampoline_kernelINS0_14default_configENS1_25partition_config_selectorILNS1_17partition_subalgoE9EllbEEZZNS1_14partition_implILS5_9ELb0ES3_jPlS8_PNS0_10empty_typeENS0_5tupleIJS8_S9_EEENSB_IJS8_SA_EEENS0_18inequality_wrapperIZN2at6native12_GLOBAL__N_124unique_dim_cuda_templateIfEESt5tupleIJNSF_6TensorESK_SK_EERKSK_lbbbEUlllE0_EEPmJS9_EEE10hipError_tPvRmT3_T4_T5_T6_T7_T9_mT8_P12ihipStream_tbDpT10_ENKUlT_T0_E_clISt17integral_constantIbLb1EES19_IbLb0EEEEDaS15_S16_EUlS15_E_NS1_11comp_targetILNS1_3genE3ELNS1_11target_archE908ELNS1_3gpuE7ELNS1_3repE0EEENS1_30default_config_static_selectorELNS0_4arch9wavefront6targetE1EEEvT1_.numbered_sgpr, 0
	.set _ZN7rocprim17ROCPRIM_400000_NS6detail17trampoline_kernelINS0_14default_configENS1_25partition_config_selectorILNS1_17partition_subalgoE9EllbEEZZNS1_14partition_implILS5_9ELb0ES3_jPlS8_PNS0_10empty_typeENS0_5tupleIJS8_S9_EEENSB_IJS8_SA_EEENS0_18inequality_wrapperIZN2at6native12_GLOBAL__N_124unique_dim_cuda_templateIfEESt5tupleIJNSF_6TensorESK_SK_EERKSK_lbbbEUlllE0_EEPmJS9_EEE10hipError_tPvRmT3_T4_T5_T6_T7_T9_mT8_P12ihipStream_tbDpT10_ENKUlT_T0_E_clISt17integral_constantIbLb1EES19_IbLb0EEEEDaS15_S16_EUlS15_E_NS1_11comp_targetILNS1_3genE3ELNS1_11target_archE908ELNS1_3gpuE7ELNS1_3repE0EEENS1_30default_config_static_selectorELNS0_4arch9wavefront6targetE1EEEvT1_.num_named_barrier, 0
	.set _ZN7rocprim17ROCPRIM_400000_NS6detail17trampoline_kernelINS0_14default_configENS1_25partition_config_selectorILNS1_17partition_subalgoE9EllbEEZZNS1_14partition_implILS5_9ELb0ES3_jPlS8_PNS0_10empty_typeENS0_5tupleIJS8_S9_EEENSB_IJS8_SA_EEENS0_18inequality_wrapperIZN2at6native12_GLOBAL__N_124unique_dim_cuda_templateIfEESt5tupleIJNSF_6TensorESK_SK_EERKSK_lbbbEUlllE0_EEPmJS9_EEE10hipError_tPvRmT3_T4_T5_T6_T7_T9_mT8_P12ihipStream_tbDpT10_ENKUlT_T0_E_clISt17integral_constantIbLb1EES19_IbLb0EEEEDaS15_S16_EUlS15_E_NS1_11comp_targetILNS1_3genE3ELNS1_11target_archE908ELNS1_3gpuE7ELNS1_3repE0EEENS1_30default_config_static_selectorELNS0_4arch9wavefront6targetE1EEEvT1_.private_seg_size, 0
	.set _ZN7rocprim17ROCPRIM_400000_NS6detail17trampoline_kernelINS0_14default_configENS1_25partition_config_selectorILNS1_17partition_subalgoE9EllbEEZZNS1_14partition_implILS5_9ELb0ES3_jPlS8_PNS0_10empty_typeENS0_5tupleIJS8_S9_EEENSB_IJS8_SA_EEENS0_18inequality_wrapperIZN2at6native12_GLOBAL__N_124unique_dim_cuda_templateIfEESt5tupleIJNSF_6TensorESK_SK_EERKSK_lbbbEUlllE0_EEPmJS9_EEE10hipError_tPvRmT3_T4_T5_T6_T7_T9_mT8_P12ihipStream_tbDpT10_ENKUlT_T0_E_clISt17integral_constantIbLb1EES19_IbLb0EEEEDaS15_S16_EUlS15_E_NS1_11comp_targetILNS1_3genE3ELNS1_11target_archE908ELNS1_3gpuE7ELNS1_3repE0EEENS1_30default_config_static_selectorELNS0_4arch9wavefront6targetE1EEEvT1_.uses_vcc, 0
	.set _ZN7rocprim17ROCPRIM_400000_NS6detail17trampoline_kernelINS0_14default_configENS1_25partition_config_selectorILNS1_17partition_subalgoE9EllbEEZZNS1_14partition_implILS5_9ELb0ES3_jPlS8_PNS0_10empty_typeENS0_5tupleIJS8_S9_EEENSB_IJS8_SA_EEENS0_18inequality_wrapperIZN2at6native12_GLOBAL__N_124unique_dim_cuda_templateIfEESt5tupleIJNSF_6TensorESK_SK_EERKSK_lbbbEUlllE0_EEPmJS9_EEE10hipError_tPvRmT3_T4_T5_T6_T7_T9_mT8_P12ihipStream_tbDpT10_ENKUlT_T0_E_clISt17integral_constantIbLb1EES19_IbLb0EEEEDaS15_S16_EUlS15_E_NS1_11comp_targetILNS1_3genE3ELNS1_11target_archE908ELNS1_3gpuE7ELNS1_3repE0EEENS1_30default_config_static_selectorELNS0_4arch9wavefront6targetE1EEEvT1_.uses_flat_scratch, 0
	.set _ZN7rocprim17ROCPRIM_400000_NS6detail17trampoline_kernelINS0_14default_configENS1_25partition_config_selectorILNS1_17partition_subalgoE9EllbEEZZNS1_14partition_implILS5_9ELb0ES3_jPlS8_PNS0_10empty_typeENS0_5tupleIJS8_S9_EEENSB_IJS8_SA_EEENS0_18inequality_wrapperIZN2at6native12_GLOBAL__N_124unique_dim_cuda_templateIfEESt5tupleIJNSF_6TensorESK_SK_EERKSK_lbbbEUlllE0_EEPmJS9_EEE10hipError_tPvRmT3_T4_T5_T6_T7_T9_mT8_P12ihipStream_tbDpT10_ENKUlT_T0_E_clISt17integral_constantIbLb1EES19_IbLb0EEEEDaS15_S16_EUlS15_E_NS1_11comp_targetILNS1_3genE3ELNS1_11target_archE908ELNS1_3gpuE7ELNS1_3repE0EEENS1_30default_config_static_selectorELNS0_4arch9wavefront6targetE1EEEvT1_.has_dyn_sized_stack, 0
	.set _ZN7rocprim17ROCPRIM_400000_NS6detail17trampoline_kernelINS0_14default_configENS1_25partition_config_selectorILNS1_17partition_subalgoE9EllbEEZZNS1_14partition_implILS5_9ELb0ES3_jPlS8_PNS0_10empty_typeENS0_5tupleIJS8_S9_EEENSB_IJS8_SA_EEENS0_18inequality_wrapperIZN2at6native12_GLOBAL__N_124unique_dim_cuda_templateIfEESt5tupleIJNSF_6TensorESK_SK_EERKSK_lbbbEUlllE0_EEPmJS9_EEE10hipError_tPvRmT3_T4_T5_T6_T7_T9_mT8_P12ihipStream_tbDpT10_ENKUlT_T0_E_clISt17integral_constantIbLb1EES19_IbLb0EEEEDaS15_S16_EUlS15_E_NS1_11comp_targetILNS1_3genE3ELNS1_11target_archE908ELNS1_3gpuE7ELNS1_3repE0EEENS1_30default_config_static_selectorELNS0_4arch9wavefront6targetE1EEEvT1_.has_recursion, 0
	.set _ZN7rocprim17ROCPRIM_400000_NS6detail17trampoline_kernelINS0_14default_configENS1_25partition_config_selectorILNS1_17partition_subalgoE9EllbEEZZNS1_14partition_implILS5_9ELb0ES3_jPlS8_PNS0_10empty_typeENS0_5tupleIJS8_S9_EEENSB_IJS8_SA_EEENS0_18inequality_wrapperIZN2at6native12_GLOBAL__N_124unique_dim_cuda_templateIfEESt5tupleIJNSF_6TensorESK_SK_EERKSK_lbbbEUlllE0_EEPmJS9_EEE10hipError_tPvRmT3_T4_T5_T6_T7_T9_mT8_P12ihipStream_tbDpT10_ENKUlT_T0_E_clISt17integral_constantIbLb1EES19_IbLb0EEEEDaS15_S16_EUlS15_E_NS1_11comp_targetILNS1_3genE3ELNS1_11target_archE908ELNS1_3gpuE7ELNS1_3repE0EEENS1_30default_config_static_selectorELNS0_4arch9wavefront6targetE1EEEvT1_.has_indirect_call, 0
	.section	.AMDGPU.csdata,"",@progbits
; Kernel info:
; codeLenInByte = 0
; TotalNumSgprs: 6
; NumVgprs: 0
; NumAgprs: 0
; TotalNumVgprs: 0
; ScratchSize: 0
; MemoryBound: 0
; FloatMode: 240
; IeeeMode: 1
; LDSByteSize: 0 bytes/workgroup (compile time only)
; SGPRBlocks: 0
; VGPRBlocks: 0
; NumSGPRsForWavesPerEU: 6
; NumVGPRsForWavesPerEU: 1
; AccumOffset: 4
; Occupancy: 8
; WaveLimiterHint : 0
; COMPUTE_PGM_RSRC2:SCRATCH_EN: 0
; COMPUTE_PGM_RSRC2:USER_SGPR: 2
; COMPUTE_PGM_RSRC2:TRAP_HANDLER: 0
; COMPUTE_PGM_RSRC2:TGID_X_EN: 1
; COMPUTE_PGM_RSRC2:TGID_Y_EN: 0
; COMPUTE_PGM_RSRC2:TGID_Z_EN: 0
; COMPUTE_PGM_RSRC2:TIDIG_COMP_CNT: 0
; COMPUTE_PGM_RSRC3_GFX90A:ACCUM_OFFSET: 0
; COMPUTE_PGM_RSRC3_GFX90A:TG_SPLIT: 0
	.section	.text._ZN7rocprim17ROCPRIM_400000_NS6detail17trampoline_kernelINS0_14default_configENS1_25partition_config_selectorILNS1_17partition_subalgoE9EllbEEZZNS1_14partition_implILS5_9ELb0ES3_jPlS8_PNS0_10empty_typeENS0_5tupleIJS8_S9_EEENSB_IJS8_SA_EEENS0_18inequality_wrapperIZN2at6native12_GLOBAL__N_124unique_dim_cuda_templateIfEESt5tupleIJNSF_6TensorESK_SK_EERKSK_lbbbEUlllE0_EEPmJS9_EEE10hipError_tPvRmT3_T4_T5_T6_T7_T9_mT8_P12ihipStream_tbDpT10_ENKUlT_T0_E_clISt17integral_constantIbLb1EES19_IbLb0EEEEDaS15_S16_EUlS15_E_NS1_11comp_targetILNS1_3genE2ELNS1_11target_archE906ELNS1_3gpuE6ELNS1_3repE0EEENS1_30default_config_static_selectorELNS0_4arch9wavefront6targetE1EEEvT1_,"axG",@progbits,_ZN7rocprim17ROCPRIM_400000_NS6detail17trampoline_kernelINS0_14default_configENS1_25partition_config_selectorILNS1_17partition_subalgoE9EllbEEZZNS1_14partition_implILS5_9ELb0ES3_jPlS8_PNS0_10empty_typeENS0_5tupleIJS8_S9_EEENSB_IJS8_SA_EEENS0_18inequality_wrapperIZN2at6native12_GLOBAL__N_124unique_dim_cuda_templateIfEESt5tupleIJNSF_6TensorESK_SK_EERKSK_lbbbEUlllE0_EEPmJS9_EEE10hipError_tPvRmT3_T4_T5_T6_T7_T9_mT8_P12ihipStream_tbDpT10_ENKUlT_T0_E_clISt17integral_constantIbLb1EES19_IbLb0EEEEDaS15_S16_EUlS15_E_NS1_11comp_targetILNS1_3genE2ELNS1_11target_archE906ELNS1_3gpuE6ELNS1_3repE0EEENS1_30default_config_static_selectorELNS0_4arch9wavefront6targetE1EEEvT1_,comdat
	.globl	_ZN7rocprim17ROCPRIM_400000_NS6detail17trampoline_kernelINS0_14default_configENS1_25partition_config_selectorILNS1_17partition_subalgoE9EllbEEZZNS1_14partition_implILS5_9ELb0ES3_jPlS8_PNS0_10empty_typeENS0_5tupleIJS8_S9_EEENSB_IJS8_SA_EEENS0_18inequality_wrapperIZN2at6native12_GLOBAL__N_124unique_dim_cuda_templateIfEESt5tupleIJNSF_6TensorESK_SK_EERKSK_lbbbEUlllE0_EEPmJS9_EEE10hipError_tPvRmT3_T4_T5_T6_T7_T9_mT8_P12ihipStream_tbDpT10_ENKUlT_T0_E_clISt17integral_constantIbLb1EES19_IbLb0EEEEDaS15_S16_EUlS15_E_NS1_11comp_targetILNS1_3genE2ELNS1_11target_archE906ELNS1_3gpuE6ELNS1_3repE0EEENS1_30default_config_static_selectorELNS0_4arch9wavefront6targetE1EEEvT1_ ; -- Begin function _ZN7rocprim17ROCPRIM_400000_NS6detail17trampoline_kernelINS0_14default_configENS1_25partition_config_selectorILNS1_17partition_subalgoE9EllbEEZZNS1_14partition_implILS5_9ELb0ES3_jPlS8_PNS0_10empty_typeENS0_5tupleIJS8_S9_EEENSB_IJS8_SA_EEENS0_18inequality_wrapperIZN2at6native12_GLOBAL__N_124unique_dim_cuda_templateIfEESt5tupleIJNSF_6TensorESK_SK_EERKSK_lbbbEUlllE0_EEPmJS9_EEE10hipError_tPvRmT3_T4_T5_T6_T7_T9_mT8_P12ihipStream_tbDpT10_ENKUlT_T0_E_clISt17integral_constantIbLb1EES19_IbLb0EEEEDaS15_S16_EUlS15_E_NS1_11comp_targetILNS1_3genE2ELNS1_11target_archE906ELNS1_3gpuE6ELNS1_3repE0EEENS1_30default_config_static_selectorELNS0_4arch9wavefront6targetE1EEEvT1_
	.p2align	8
	.type	_ZN7rocprim17ROCPRIM_400000_NS6detail17trampoline_kernelINS0_14default_configENS1_25partition_config_selectorILNS1_17partition_subalgoE9EllbEEZZNS1_14partition_implILS5_9ELb0ES3_jPlS8_PNS0_10empty_typeENS0_5tupleIJS8_S9_EEENSB_IJS8_SA_EEENS0_18inequality_wrapperIZN2at6native12_GLOBAL__N_124unique_dim_cuda_templateIfEESt5tupleIJNSF_6TensorESK_SK_EERKSK_lbbbEUlllE0_EEPmJS9_EEE10hipError_tPvRmT3_T4_T5_T6_T7_T9_mT8_P12ihipStream_tbDpT10_ENKUlT_T0_E_clISt17integral_constantIbLb1EES19_IbLb0EEEEDaS15_S16_EUlS15_E_NS1_11comp_targetILNS1_3genE2ELNS1_11target_archE906ELNS1_3gpuE6ELNS1_3repE0EEENS1_30default_config_static_selectorELNS0_4arch9wavefront6targetE1EEEvT1_,@function
_ZN7rocprim17ROCPRIM_400000_NS6detail17trampoline_kernelINS0_14default_configENS1_25partition_config_selectorILNS1_17partition_subalgoE9EllbEEZZNS1_14partition_implILS5_9ELb0ES3_jPlS8_PNS0_10empty_typeENS0_5tupleIJS8_S9_EEENSB_IJS8_SA_EEENS0_18inequality_wrapperIZN2at6native12_GLOBAL__N_124unique_dim_cuda_templateIfEESt5tupleIJNSF_6TensorESK_SK_EERKSK_lbbbEUlllE0_EEPmJS9_EEE10hipError_tPvRmT3_T4_T5_T6_T7_T9_mT8_P12ihipStream_tbDpT10_ENKUlT_T0_E_clISt17integral_constantIbLb1EES19_IbLb0EEEEDaS15_S16_EUlS15_E_NS1_11comp_targetILNS1_3genE2ELNS1_11target_archE906ELNS1_3gpuE6ELNS1_3repE0EEENS1_30default_config_static_selectorELNS0_4arch9wavefront6targetE1EEEvT1_: ; @_ZN7rocprim17ROCPRIM_400000_NS6detail17trampoline_kernelINS0_14default_configENS1_25partition_config_selectorILNS1_17partition_subalgoE9EllbEEZZNS1_14partition_implILS5_9ELb0ES3_jPlS8_PNS0_10empty_typeENS0_5tupleIJS8_S9_EEENSB_IJS8_SA_EEENS0_18inequality_wrapperIZN2at6native12_GLOBAL__N_124unique_dim_cuda_templateIfEESt5tupleIJNSF_6TensorESK_SK_EERKSK_lbbbEUlllE0_EEPmJS9_EEE10hipError_tPvRmT3_T4_T5_T6_T7_T9_mT8_P12ihipStream_tbDpT10_ENKUlT_T0_E_clISt17integral_constantIbLb1EES19_IbLb0EEEEDaS15_S16_EUlS15_E_NS1_11comp_targetILNS1_3genE2ELNS1_11target_archE906ELNS1_3gpuE6ELNS1_3repE0EEENS1_30default_config_static_selectorELNS0_4arch9wavefront6targetE1EEEvT1_
; %bb.0:
	.section	.rodata,"a",@progbits
	.p2align	6, 0x0
	.amdhsa_kernel _ZN7rocprim17ROCPRIM_400000_NS6detail17trampoline_kernelINS0_14default_configENS1_25partition_config_selectorILNS1_17partition_subalgoE9EllbEEZZNS1_14partition_implILS5_9ELb0ES3_jPlS8_PNS0_10empty_typeENS0_5tupleIJS8_S9_EEENSB_IJS8_SA_EEENS0_18inequality_wrapperIZN2at6native12_GLOBAL__N_124unique_dim_cuda_templateIfEESt5tupleIJNSF_6TensorESK_SK_EERKSK_lbbbEUlllE0_EEPmJS9_EEE10hipError_tPvRmT3_T4_T5_T6_T7_T9_mT8_P12ihipStream_tbDpT10_ENKUlT_T0_E_clISt17integral_constantIbLb1EES19_IbLb0EEEEDaS15_S16_EUlS15_E_NS1_11comp_targetILNS1_3genE2ELNS1_11target_archE906ELNS1_3gpuE6ELNS1_3repE0EEENS1_30default_config_static_selectorELNS0_4arch9wavefront6targetE1EEEvT1_
		.amdhsa_group_segment_fixed_size 0
		.amdhsa_private_segment_fixed_size 0
		.amdhsa_kernarg_size 120
		.amdhsa_user_sgpr_count 2
		.amdhsa_user_sgpr_dispatch_ptr 0
		.amdhsa_user_sgpr_queue_ptr 0
		.amdhsa_user_sgpr_kernarg_segment_ptr 1
		.amdhsa_user_sgpr_dispatch_id 0
		.amdhsa_user_sgpr_kernarg_preload_length 0
		.amdhsa_user_sgpr_kernarg_preload_offset 0
		.amdhsa_user_sgpr_private_segment_size 0
		.amdhsa_uses_dynamic_stack 0
		.amdhsa_enable_private_segment 0
		.amdhsa_system_sgpr_workgroup_id_x 1
		.amdhsa_system_sgpr_workgroup_id_y 0
		.amdhsa_system_sgpr_workgroup_id_z 0
		.amdhsa_system_sgpr_workgroup_info 0
		.amdhsa_system_vgpr_workitem_id 0
		.amdhsa_next_free_vgpr 1
		.amdhsa_next_free_sgpr 0
		.amdhsa_accum_offset 4
		.amdhsa_reserve_vcc 0
		.amdhsa_float_round_mode_32 0
		.amdhsa_float_round_mode_16_64 0
		.amdhsa_float_denorm_mode_32 3
		.amdhsa_float_denorm_mode_16_64 3
		.amdhsa_dx10_clamp 1
		.amdhsa_ieee_mode 1
		.amdhsa_fp16_overflow 0
		.amdhsa_tg_split 0
		.amdhsa_exception_fp_ieee_invalid_op 0
		.amdhsa_exception_fp_denorm_src 0
		.amdhsa_exception_fp_ieee_div_zero 0
		.amdhsa_exception_fp_ieee_overflow 0
		.amdhsa_exception_fp_ieee_underflow 0
		.amdhsa_exception_fp_ieee_inexact 0
		.amdhsa_exception_int_div_zero 0
	.end_amdhsa_kernel
	.section	.text._ZN7rocprim17ROCPRIM_400000_NS6detail17trampoline_kernelINS0_14default_configENS1_25partition_config_selectorILNS1_17partition_subalgoE9EllbEEZZNS1_14partition_implILS5_9ELb0ES3_jPlS8_PNS0_10empty_typeENS0_5tupleIJS8_S9_EEENSB_IJS8_SA_EEENS0_18inequality_wrapperIZN2at6native12_GLOBAL__N_124unique_dim_cuda_templateIfEESt5tupleIJNSF_6TensorESK_SK_EERKSK_lbbbEUlllE0_EEPmJS9_EEE10hipError_tPvRmT3_T4_T5_T6_T7_T9_mT8_P12ihipStream_tbDpT10_ENKUlT_T0_E_clISt17integral_constantIbLb1EES19_IbLb0EEEEDaS15_S16_EUlS15_E_NS1_11comp_targetILNS1_3genE2ELNS1_11target_archE906ELNS1_3gpuE6ELNS1_3repE0EEENS1_30default_config_static_selectorELNS0_4arch9wavefront6targetE1EEEvT1_,"axG",@progbits,_ZN7rocprim17ROCPRIM_400000_NS6detail17trampoline_kernelINS0_14default_configENS1_25partition_config_selectorILNS1_17partition_subalgoE9EllbEEZZNS1_14partition_implILS5_9ELb0ES3_jPlS8_PNS0_10empty_typeENS0_5tupleIJS8_S9_EEENSB_IJS8_SA_EEENS0_18inequality_wrapperIZN2at6native12_GLOBAL__N_124unique_dim_cuda_templateIfEESt5tupleIJNSF_6TensorESK_SK_EERKSK_lbbbEUlllE0_EEPmJS9_EEE10hipError_tPvRmT3_T4_T5_T6_T7_T9_mT8_P12ihipStream_tbDpT10_ENKUlT_T0_E_clISt17integral_constantIbLb1EES19_IbLb0EEEEDaS15_S16_EUlS15_E_NS1_11comp_targetILNS1_3genE2ELNS1_11target_archE906ELNS1_3gpuE6ELNS1_3repE0EEENS1_30default_config_static_selectorELNS0_4arch9wavefront6targetE1EEEvT1_,comdat
.Lfunc_end981:
	.size	_ZN7rocprim17ROCPRIM_400000_NS6detail17trampoline_kernelINS0_14default_configENS1_25partition_config_selectorILNS1_17partition_subalgoE9EllbEEZZNS1_14partition_implILS5_9ELb0ES3_jPlS8_PNS0_10empty_typeENS0_5tupleIJS8_S9_EEENSB_IJS8_SA_EEENS0_18inequality_wrapperIZN2at6native12_GLOBAL__N_124unique_dim_cuda_templateIfEESt5tupleIJNSF_6TensorESK_SK_EERKSK_lbbbEUlllE0_EEPmJS9_EEE10hipError_tPvRmT3_T4_T5_T6_T7_T9_mT8_P12ihipStream_tbDpT10_ENKUlT_T0_E_clISt17integral_constantIbLb1EES19_IbLb0EEEEDaS15_S16_EUlS15_E_NS1_11comp_targetILNS1_3genE2ELNS1_11target_archE906ELNS1_3gpuE6ELNS1_3repE0EEENS1_30default_config_static_selectorELNS0_4arch9wavefront6targetE1EEEvT1_, .Lfunc_end981-_ZN7rocprim17ROCPRIM_400000_NS6detail17trampoline_kernelINS0_14default_configENS1_25partition_config_selectorILNS1_17partition_subalgoE9EllbEEZZNS1_14partition_implILS5_9ELb0ES3_jPlS8_PNS0_10empty_typeENS0_5tupleIJS8_S9_EEENSB_IJS8_SA_EEENS0_18inequality_wrapperIZN2at6native12_GLOBAL__N_124unique_dim_cuda_templateIfEESt5tupleIJNSF_6TensorESK_SK_EERKSK_lbbbEUlllE0_EEPmJS9_EEE10hipError_tPvRmT3_T4_T5_T6_T7_T9_mT8_P12ihipStream_tbDpT10_ENKUlT_T0_E_clISt17integral_constantIbLb1EES19_IbLb0EEEEDaS15_S16_EUlS15_E_NS1_11comp_targetILNS1_3genE2ELNS1_11target_archE906ELNS1_3gpuE6ELNS1_3repE0EEENS1_30default_config_static_selectorELNS0_4arch9wavefront6targetE1EEEvT1_
                                        ; -- End function
	.set _ZN7rocprim17ROCPRIM_400000_NS6detail17trampoline_kernelINS0_14default_configENS1_25partition_config_selectorILNS1_17partition_subalgoE9EllbEEZZNS1_14partition_implILS5_9ELb0ES3_jPlS8_PNS0_10empty_typeENS0_5tupleIJS8_S9_EEENSB_IJS8_SA_EEENS0_18inequality_wrapperIZN2at6native12_GLOBAL__N_124unique_dim_cuda_templateIfEESt5tupleIJNSF_6TensorESK_SK_EERKSK_lbbbEUlllE0_EEPmJS9_EEE10hipError_tPvRmT3_T4_T5_T6_T7_T9_mT8_P12ihipStream_tbDpT10_ENKUlT_T0_E_clISt17integral_constantIbLb1EES19_IbLb0EEEEDaS15_S16_EUlS15_E_NS1_11comp_targetILNS1_3genE2ELNS1_11target_archE906ELNS1_3gpuE6ELNS1_3repE0EEENS1_30default_config_static_selectorELNS0_4arch9wavefront6targetE1EEEvT1_.num_vgpr, 0
	.set _ZN7rocprim17ROCPRIM_400000_NS6detail17trampoline_kernelINS0_14default_configENS1_25partition_config_selectorILNS1_17partition_subalgoE9EllbEEZZNS1_14partition_implILS5_9ELb0ES3_jPlS8_PNS0_10empty_typeENS0_5tupleIJS8_S9_EEENSB_IJS8_SA_EEENS0_18inequality_wrapperIZN2at6native12_GLOBAL__N_124unique_dim_cuda_templateIfEESt5tupleIJNSF_6TensorESK_SK_EERKSK_lbbbEUlllE0_EEPmJS9_EEE10hipError_tPvRmT3_T4_T5_T6_T7_T9_mT8_P12ihipStream_tbDpT10_ENKUlT_T0_E_clISt17integral_constantIbLb1EES19_IbLb0EEEEDaS15_S16_EUlS15_E_NS1_11comp_targetILNS1_3genE2ELNS1_11target_archE906ELNS1_3gpuE6ELNS1_3repE0EEENS1_30default_config_static_selectorELNS0_4arch9wavefront6targetE1EEEvT1_.num_agpr, 0
	.set _ZN7rocprim17ROCPRIM_400000_NS6detail17trampoline_kernelINS0_14default_configENS1_25partition_config_selectorILNS1_17partition_subalgoE9EllbEEZZNS1_14partition_implILS5_9ELb0ES3_jPlS8_PNS0_10empty_typeENS0_5tupleIJS8_S9_EEENSB_IJS8_SA_EEENS0_18inequality_wrapperIZN2at6native12_GLOBAL__N_124unique_dim_cuda_templateIfEESt5tupleIJNSF_6TensorESK_SK_EERKSK_lbbbEUlllE0_EEPmJS9_EEE10hipError_tPvRmT3_T4_T5_T6_T7_T9_mT8_P12ihipStream_tbDpT10_ENKUlT_T0_E_clISt17integral_constantIbLb1EES19_IbLb0EEEEDaS15_S16_EUlS15_E_NS1_11comp_targetILNS1_3genE2ELNS1_11target_archE906ELNS1_3gpuE6ELNS1_3repE0EEENS1_30default_config_static_selectorELNS0_4arch9wavefront6targetE1EEEvT1_.numbered_sgpr, 0
	.set _ZN7rocprim17ROCPRIM_400000_NS6detail17trampoline_kernelINS0_14default_configENS1_25partition_config_selectorILNS1_17partition_subalgoE9EllbEEZZNS1_14partition_implILS5_9ELb0ES3_jPlS8_PNS0_10empty_typeENS0_5tupleIJS8_S9_EEENSB_IJS8_SA_EEENS0_18inequality_wrapperIZN2at6native12_GLOBAL__N_124unique_dim_cuda_templateIfEESt5tupleIJNSF_6TensorESK_SK_EERKSK_lbbbEUlllE0_EEPmJS9_EEE10hipError_tPvRmT3_T4_T5_T6_T7_T9_mT8_P12ihipStream_tbDpT10_ENKUlT_T0_E_clISt17integral_constantIbLb1EES19_IbLb0EEEEDaS15_S16_EUlS15_E_NS1_11comp_targetILNS1_3genE2ELNS1_11target_archE906ELNS1_3gpuE6ELNS1_3repE0EEENS1_30default_config_static_selectorELNS0_4arch9wavefront6targetE1EEEvT1_.num_named_barrier, 0
	.set _ZN7rocprim17ROCPRIM_400000_NS6detail17trampoline_kernelINS0_14default_configENS1_25partition_config_selectorILNS1_17partition_subalgoE9EllbEEZZNS1_14partition_implILS5_9ELb0ES3_jPlS8_PNS0_10empty_typeENS0_5tupleIJS8_S9_EEENSB_IJS8_SA_EEENS0_18inequality_wrapperIZN2at6native12_GLOBAL__N_124unique_dim_cuda_templateIfEESt5tupleIJNSF_6TensorESK_SK_EERKSK_lbbbEUlllE0_EEPmJS9_EEE10hipError_tPvRmT3_T4_T5_T6_T7_T9_mT8_P12ihipStream_tbDpT10_ENKUlT_T0_E_clISt17integral_constantIbLb1EES19_IbLb0EEEEDaS15_S16_EUlS15_E_NS1_11comp_targetILNS1_3genE2ELNS1_11target_archE906ELNS1_3gpuE6ELNS1_3repE0EEENS1_30default_config_static_selectorELNS0_4arch9wavefront6targetE1EEEvT1_.private_seg_size, 0
	.set _ZN7rocprim17ROCPRIM_400000_NS6detail17trampoline_kernelINS0_14default_configENS1_25partition_config_selectorILNS1_17partition_subalgoE9EllbEEZZNS1_14partition_implILS5_9ELb0ES3_jPlS8_PNS0_10empty_typeENS0_5tupleIJS8_S9_EEENSB_IJS8_SA_EEENS0_18inequality_wrapperIZN2at6native12_GLOBAL__N_124unique_dim_cuda_templateIfEESt5tupleIJNSF_6TensorESK_SK_EERKSK_lbbbEUlllE0_EEPmJS9_EEE10hipError_tPvRmT3_T4_T5_T6_T7_T9_mT8_P12ihipStream_tbDpT10_ENKUlT_T0_E_clISt17integral_constantIbLb1EES19_IbLb0EEEEDaS15_S16_EUlS15_E_NS1_11comp_targetILNS1_3genE2ELNS1_11target_archE906ELNS1_3gpuE6ELNS1_3repE0EEENS1_30default_config_static_selectorELNS0_4arch9wavefront6targetE1EEEvT1_.uses_vcc, 0
	.set _ZN7rocprim17ROCPRIM_400000_NS6detail17trampoline_kernelINS0_14default_configENS1_25partition_config_selectorILNS1_17partition_subalgoE9EllbEEZZNS1_14partition_implILS5_9ELb0ES3_jPlS8_PNS0_10empty_typeENS0_5tupleIJS8_S9_EEENSB_IJS8_SA_EEENS0_18inequality_wrapperIZN2at6native12_GLOBAL__N_124unique_dim_cuda_templateIfEESt5tupleIJNSF_6TensorESK_SK_EERKSK_lbbbEUlllE0_EEPmJS9_EEE10hipError_tPvRmT3_T4_T5_T6_T7_T9_mT8_P12ihipStream_tbDpT10_ENKUlT_T0_E_clISt17integral_constantIbLb1EES19_IbLb0EEEEDaS15_S16_EUlS15_E_NS1_11comp_targetILNS1_3genE2ELNS1_11target_archE906ELNS1_3gpuE6ELNS1_3repE0EEENS1_30default_config_static_selectorELNS0_4arch9wavefront6targetE1EEEvT1_.uses_flat_scratch, 0
	.set _ZN7rocprim17ROCPRIM_400000_NS6detail17trampoline_kernelINS0_14default_configENS1_25partition_config_selectorILNS1_17partition_subalgoE9EllbEEZZNS1_14partition_implILS5_9ELb0ES3_jPlS8_PNS0_10empty_typeENS0_5tupleIJS8_S9_EEENSB_IJS8_SA_EEENS0_18inequality_wrapperIZN2at6native12_GLOBAL__N_124unique_dim_cuda_templateIfEESt5tupleIJNSF_6TensorESK_SK_EERKSK_lbbbEUlllE0_EEPmJS9_EEE10hipError_tPvRmT3_T4_T5_T6_T7_T9_mT8_P12ihipStream_tbDpT10_ENKUlT_T0_E_clISt17integral_constantIbLb1EES19_IbLb0EEEEDaS15_S16_EUlS15_E_NS1_11comp_targetILNS1_3genE2ELNS1_11target_archE906ELNS1_3gpuE6ELNS1_3repE0EEENS1_30default_config_static_selectorELNS0_4arch9wavefront6targetE1EEEvT1_.has_dyn_sized_stack, 0
	.set _ZN7rocprim17ROCPRIM_400000_NS6detail17trampoline_kernelINS0_14default_configENS1_25partition_config_selectorILNS1_17partition_subalgoE9EllbEEZZNS1_14partition_implILS5_9ELb0ES3_jPlS8_PNS0_10empty_typeENS0_5tupleIJS8_S9_EEENSB_IJS8_SA_EEENS0_18inequality_wrapperIZN2at6native12_GLOBAL__N_124unique_dim_cuda_templateIfEESt5tupleIJNSF_6TensorESK_SK_EERKSK_lbbbEUlllE0_EEPmJS9_EEE10hipError_tPvRmT3_T4_T5_T6_T7_T9_mT8_P12ihipStream_tbDpT10_ENKUlT_T0_E_clISt17integral_constantIbLb1EES19_IbLb0EEEEDaS15_S16_EUlS15_E_NS1_11comp_targetILNS1_3genE2ELNS1_11target_archE906ELNS1_3gpuE6ELNS1_3repE0EEENS1_30default_config_static_selectorELNS0_4arch9wavefront6targetE1EEEvT1_.has_recursion, 0
	.set _ZN7rocprim17ROCPRIM_400000_NS6detail17trampoline_kernelINS0_14default_configENS1_25partition_config_selectorILNS1_17partition_subalgoE9EllbEEZZNS1_14partition_implILS5_9ELb0ES3_jPlS8_PNS0_10empty_typeENS0_5tupleIJS8_S9_EEENSB_IJS8_SA_EEENS0_18inequality_wrapperIZN2at6native12_GLOBAL__N_124unique_dim_cuda_templateIfEESt5tupleIJNSF_6TensorESK_SK_EERKSK_lbbbEUlllE0_EEPmJS9_EEE10hipError_tPvRmT3_T4_T5_T6_T7_T9_mT8_P12ihipStream_tbDpT10_ENKUlT_T0_E_clISt17integral_constantIbLb1EES19_IbLb0EEEEDaS15_S16_EUlS15_E_NS1_11comp_targetILNS1_3genE2ELNS1_11target_archE906ELNS1_3gpuE6ELNS1_3repE0EEENS1_30default_config_static_selectorELNS0_4arch9wavefront6targetE1EEEvT1_.has_indirect_call, 0
	.section	.AMDGPU.csdata,"",@progbits
; Kernel info:
; codeLenInByte = 0
; TotalNumSgprs: 6
; NumVgprs: 0
; NumAgprs: 0
; TotalNumVgprs: 0
; ScratchSize: 0
; MemoryBound: 0
; FloatMode: 240
; IeeeMode: 1
; LDSByteSize: 0 bytes/workgroup (compile time only)
; SGPRBlocks: 0
; VGPRBlocks: 0
; NumSGPRsForWavesPerEU: 6
; NumVGPRsForWavesPerEU: 1
; AccumOffset: 4
; Occupancy: 8
; WaveLimiterHint : 0
; COMPUTE_PGM_RSRC2:SCRATCH_EN: 0
; COMPUTE_PGM_RSRC2:USER_SGPR: 2
; COMPUTE_PGM_RSRC2:TRAP_HANDLER: 0
; COMPUTE_PGM_RSRC2:TGID_X_EN: 1
; COMPUTE_PGM_RSRC2:TGID_Y_EN: 0
; COMPUTE_PGM_RSRC2:TGID_Z_EN: 0
; COMPUTE_PGM_RSRC2:TIDIG_COMP_CNT: 0
; COMPUTE_PGM_RSRC3_GFX90A:ACCUM_OFFSET: 0
; COMPUTE_PGM_RSRC3_GFX90A:TG_SPLIT: 0
	.section	.text._ZN7rocprim17ROCPRIM_400000_NS6detail17trampoline_kernelINS0_14default_configENS1_25partition_config_selectorILNS1_17partition_subalgoE9EllbEEZZNS1_14partition_implILS5_9ELb0ES3_jPlS8_PNS0_10empty_typeENS0_5tupleIJS8_S9_EEENSB_IJS8_SA_EEENS0_18inequality_wrapperIZN2at6native12_GLOBAL__N_124unique_dim_cuda_templateIfEESt5tupleIJNSF_6TensorESK_SK_EERKSK_lbbbEUlllE0_EEPmJS9_EEE10hipError_tPvRmT3_T4_T5_T6_T7_T9_mT8_P12ihipStream_tbDpT10_ENKUlT_T0_E_clISt17integral_constantIbLb1EES19_IbLb0EEEEDaS15_S16_EUlS15_E_NS1_11comp_targetILNS1_3genE10ELNS1_11target_archE1200ELNS1_3gpuE4ELNS1_3repE0EEENS1_30default_config_static_selectorELNS0_4arch9wavefront6targetE1EEEvT1_,"axG",@progbits,_ZN7rocprim17ROCPRIM_400000_NS6detail17trampoline_kernelINS0_14default_configENS1_25partition_config_selectorILNS1_17partition_subalgoE9EllbEEZZNS1_14partition_implILS5_9ELb0ES3_jPlS8_PNS0_10empty_typeENS0_5tupleIJS8_S9_EEENSB_IJS8_SA_EEENS0_18inequality_wrapperIZN2at6native12_GLOBAL__N_124unique_dim_cuda_templateIfEESt5tupleIJNSF_6TensorESK_SK_EERKSK_lbbbEUlllE0_EEPmJS9_EEE10hipError_tPvRmT3_T4_T5_T6_T7_T9_mT8_P12ihipStream_tbDpT10_ENKUlT_T0_E_clISt17integral_constantIbLb1EES19_IbLb0EEEEDaS15_S16_EUlS15_E_NS1_11comp_targetILNS1_3genE10ELNS1_11target_archE1200ELNS1_3gpuE4ELNS1_3repE0EEENS1_30default_config_static_selectorELNS0_4arch9wavefront6targetE1EEEvT1_,comdat
	.globl	_ZN7rocprim17ROCPRIM_400000_NS6detail17trampoline_kernelINS0_14default_configENS1_25partition_config_selectorILNS1_17partition_subalgoE9EllbEEZZNS1_14partition_implILS5_9ELb0ES3_jPlS8_PNS0_10empty_typeENS0_5tupleIJS8_S9_EEENSB_IJS8_SA_EEENS0_18inequality_wrapperIZN2at6native12_GLOBAL__N_124unique_dim_cuda_templateIfEESt5tupleIJNSF_6TensorESK_SK_EERKSK_lbbbEUlllE0_EEPmJS9_EEE10hipError_tPvRmT3_T4_T5_T6_T7_T9_mT8_P12ihipStream_tbDpT10_ENKUlT_T0_E_clISt17integral_constantIbLb1EES19_IbLb0EEEEDaS15_S16_EUlS15_E_NS1_11comp_targetILNS1_3genE10ELNS1_11target_archE1200ELNS1_3gpuE4ELNS1_3repE0EEENS1_30default_config_static_selectorELNS0_4arch9wavefront6targetE1EEEvT1_ ; -- Begin function _ZN7rocprim17ROCPRIM_400000_NS6detail17trampoline_kernelINS0_14default_configENS1_25partition_config_selectorILNS1_17partition_subalgoE9EllbEEZZNS1_14partition_implILS5_9ELb0ES3_jPlS8_PNS0_10empty_typeENS0_5tupleIJS8_S9_EEENSB_IJS8_SA_EEENS0_18inequality_wrapperIZN2at6native12_GLOBAL__N_124unique_dim_cuda_templateIfEESt5tupleIJNSF_6TensorESK_SK_EERKSK_lbbbEUlllE0_EEPmJS9_EEE10hipError_tPvRmT3_T4_T5_T6_T7_T9_mT8_P12ihipStream_tbDpT10_ENKUlT_T0_E_clISt17integral_constantIbLb1EES19_IbLb0EEEEDaS15_S16_EUlS15_E_NS1_11comp_targetILNS1_3genE10ELNS1_11target_archE1200ELNS1_3gpuE4ELNS1_3repE0EEENS1_30default_config_static_selectorELNS0_4arch9wavefront6targetE1EEEvT1_
	.p2align	8
	.type	_ZN7rocprim17ROCPRIM_400000_NS6detail17trampoline_kernelINS0_14default_configENS1_25partition_config_selectorILNS1_17partition_subalgoE9EllbEEZZNS1_14partition_implILS5_9ELb0ES3_jPlS8_PNS0_10empty_typeENS0_5tupleIJS8_S9_EEENSB_IJS8_SA_EEENS0_18inequality_wrapperIZN2at6native12_GLOBAL__N_124unique_dim_cuda_templateIfEESt5tupleIJNSF_6TensorESK_SK_EERKSK_lbbbEUlllE0_EEPmJS9_EEE10hipError_tPvRmT3_T4_T5_T6_T7_T9_mT8_P12ihipStream_tbDpT10_ENKUlT_T0_E_clISt17integral_constantIbLb1EES19_IbLb0EEEEDaS15_S16_EUlS15_E_NS1_11comp_targetILNS1_3genE10ELNS1_11target_archE1200ELNS1_3gpuE4ELNS1_3repE0EEENS1_30default_config_static_selectorELNS0_4arch9wavefront6targetE1EEEvT1_,@function
_ZN7rocprim17ROCPRIM_400000_NS6detail17trampoline_kernelINS0_14default_configENS1_25partition_config_selectorILNS1_17partition_subalgoE9EllbEEZZNS1_14partition_implILS5_9ELb0ES3_jPlS8_PNS0_10empty_typeENS0_5tupleIJS8_S9_EEENSB_IJS8_SA_EEENS0_18inequality_wrapperIZN2at6native12_GLOBAL__N_124unique_dim_cuda_templateIfEESt5tupleIJNSF_6TensorESK_SK_EERKSK_lbbbEUlllE0_EEPmJS9_EEE10hipError_tPvRmT3_T4_T5_T6_T7_T9_mT8_P12ihipStream_tbDpT10_ENKUlT_T0_E_clISt17integral_constantIbLb1EES19_IbLb0EEEEDaS15_S16_EUlS15_E_NS1_11comp_targetILNS1_3genE10ELNS1_11target_archE1200ELNS1_3gpuE4ELNS1_3repE0EEENS1_30default_config_static_selectorELNS0_4arch9wavefront6targetE1EEEvT1_: ; @_ZN7rocprim17ROCPRIM_400000_NS6detail17trampoline_kernelINS0_14default_configENS1_25partition_config_selectorILNS1_17partition_subalgoE9EllbEEZZNS1_14partition_implILS5_9ELb0ES3_jPlS8_PNS0_10empty_typeENS0_5tupleIJS8_S9_EEENSB_IJS8_SA_EEENS0_18inequality_wrapperIZN2at6native12_GLOBAL__N_124unique_dim_cuda_templateIfEESt5tupleIJNSF_6TensorESK_SK_EERKSK_lbbbEUlllE0_EEPmJS9_EEE10hipError_tPvRmT3_T4_T5_T6_T7_T9_mT8_P12ihipStream_tbDpT10_ENKUlT_T0_E_clISt17integral_constantIbLb1EES19_IbLb0EEEEDaS15_S16_EUlS15_E_NS1_11comp_targetILNS1_3genE10ELNS1_11target_archE1200ELNS1_3gpuE4ELNS1_3repE0EEENS1_30default_config_static_selectorELNS0_4arch9wavefront6targetE1EEEvT1_
; %bb.0:
	.section	.rodata,"a",@progbits
	.p2align	6, 0x0
	.amdhsa_kernel _ZN7rocprim17ROCPRIM_400000_NS6detail17trampoline_kernelINS0_14default_configENS1_25partition_config_selectorILNS1_17partition_subalgoE9EllbEEZZNS1_14partition_implILS5_9ELb0ES3_jPlS8_PNS0_10empty_typeENS0_5tupleIJS8_S9_EEENSB_IJS8_SA_EEENS0_18inequality_wrapperIZN2at6native12_GLOBAL__N_124unique_dim_cuda_templateIfEESt5tupleIJNSF_6TensorESK_SK_EERKSK_lbbbEUlllE0_EEPmJS9_EEE10hipError_tPvRmT3_T4_T5_T6_T7_T9_mT8_P12ihipStream_tbDpT10_ENKUlT_T0_E_clISt17integral_constantIbLb1EES19_IbLb0EEEEDaS15_S16_EUlS15_E_NS1_11comp_targetILNS1_3genE10ELNS1_11target_archE1200ELNS1_3gpuE4ELNS1_3repE0EEENS1_30default_config_static_selectorELNS0_4arch9wavefront6targetE1EEEvT1_
		.amdhsa_group_segment_fixed_size 0
		.amdhsa_private_segment_fixed_size 0
		.amdhsa_kernarg_size 120
		.amdhsa_user_sgpr_count 2
		.amdhsa_user_sgpr_dispatch_ptr 0
		.amdhsa_user_sgpr_queue_ptr 0
		.amdhsa_user_sgpr_kernarg_segment_ptr 1
		.amdhsa_user_sgpr_dispatch_id 0
		.amdhsa_user_sgpr_kernarg_preload_length 0
		.amdhsa_user_sgpr_kernarg_preload_offset 0
		.amdhsa_user_sgpr_private_segment_size 0
		.amdhsa_uses_dynamic_stack 0
		.amdhsa_enable_private_segment 0
		.amdhsa_system_sgpr_workgroup_id_x 1
		.amdhsa_system_sgpr_workgroup_id_y 0
		.amdhsa_system_sgpr_workgroup_id_z 0
		.amdhsa_system_sgpr_workgroup_info 0
		.amdhsa_system_vgpr_workitem_id 0
		.amdhsa_next_free_vgpr 1
		.amdhsa_next_free_sgpr 0
		.amdhsa_accum_offset 4
		.amdhsa_reserve_vcc 0
		.amdhsa_float_round_mode_32 0
		.amdhsa_float_round_mode_16_64 0
		.amdhsa_float_denorm_mode_32 3
		.amdhsa_float_denorm_mode_16_64 3
		.amdhsa_dx10_clamp 1
		.amdhsa_ieee_mode 1
		.amdhsa_fp16_overflow 0
		.amdhsa_tg_split 0
		.amdhsa_exception_fp_ieee_invalid_op 0
		.amdhsa_exception_fp_denorm_src 0
		.amdhsa_exception_fp_ieee_div_zero 0
		.amdhsa_exception_fp_ieee_overflow 0
		.amdhsa_exception_fp_ieee_underflow 0
		.amdhsa_exception_fp_ieee_inexact 0
		.amdhsa_exception_int_div_zero 0
	.end_amdhsa_kernel
	.section	.text._ZN7rocprim17ROCPRIM_400000_NS6detail17trampoline_kernelINS0_14default_configENS1_25partition_config_selectorILNS1_17partition_subalgoE9EllbEEZZNS1_14partition_implILS5_9ELb0ES3_jPlS8_PNS0_10empty_typeENS0_5tupleIJS8_S9_EEENSB_IJS8_SA_EEENS0_18inequality_wrapperIZN2at6native12_GLOBAL__N_124unique_dim_cuda_templateIfEESt5tupleIJNSF_6TensorESK_SK_EERKSK_lbbbEUlllE0_EEPmJS9_EEE10hipError_tPvRmT3_T4_T5_T6_T7_T9_mT8_P12ihipStream_tbDpT10_ENKUlT_T0_E_clISt17integral_constantIbLb1EES19_IbLb0EEEEDaS15_S16_EUlS15_E_NS1_11comp_targetILNS1_3genE10ELNS1_11target_archE1200ELNS1_3gpuE4ELNS1_3repE0EEENS1_30default_config_static_selectorELNS0_4arch9wavefront6targetE1EEEvT1_,"axG",@progbits,_ZN7rocprim17ROCPRIM_400000_NS6detail17trampoline_kernelINS0_14default_configENS1_25partition_config_selectorILNS1_17partition_subalgoE9EllbEEZZNS1_14partition_implILS5_9ELb0ES3_jPlS8_PNS0_10empty_typeENS0_5tupleIJS8_S9_EEENSB_IJS8_SA_EEENS0_18inequality_wrapperIZN2at6native12_GLOBAL__N_124unique_dim_cuda_templateIfEESt5tupleIJNSF_6TensorESK_SK_EERKSK_lbbbEUlllE0_EEPmJS9_EEE10hipError_tPvRmT3_T4_T5_T6_T7_T9_mT8_P12ihipStream_tbDpT10_ENKUlT_T0_E_clISt17integral_constantIbLb1EES19_IbLb0EEEEDaS15_S16_EUlS15_E_NS1_11comp_targetILNS1_3genE10ELNS1_11target_archE1200ELNS1_3gpuE4ELNS1_3repE0EEENS1_30default_config_static_selectorELNS0_4arch9wavefront6targetE1EEEvT1_,comdat
.Lfunc_end982:
	.size	_ZN7rocprim17ROCPRIM_400000_NS6detail17trampoline_kernelINS0_14default_configENS1_25partition_config_selectorILNS1_17partition_subalgoE9EllbEEZZNS1_14partition_implILS5_9ELb0ES3_jPlS8_PNS0_10empty_typeENS0_5tupleIJS8_S9_EEENSB_IJS8_SA_EEENS0_18inequality_wrapperIZN2at6native12_GLOBAL__N_124unique_dim_cuda_templateIfEESt5tupleIJNSF_6TensorESK_SK_EERKSK_lbbbEUlllE0_EEPmJS9_EEE10hipError_tPvRmT3_T4_T5_T6_T7_T9_mT8_P12ihipStream_tbDpT10_ENKUlT_T0_E_clISt17integral_constantIbLb1EES19_IbLb0EEEEDaS15_S16_EUlS15_E_NS1_11comp_targetILNS1_3genE10ELNS1_11target_archE1200ELNS1_3gpuE4ELNS1_3repE0EEENS1_30default_config_static_selectorELNS0_4arch9wavefront6targetE1EEEvT1_, .Lfunc_end982-_ZN7rocprim17ROCPRIM_400000_NS6detail17trampoline_kernelINS0_14default_configENS1_25partition_config_selectorILNS1_17partition_subalgoE9EllbEEZZNS1_14partition_implILS5_9ELb0ES3_jPlS8_PNS0_10empty_typeENS0_5tupleIJS8_S9_EEENSB_IJS8_SA_EEENS0_18inequality_wrapperIZN2at6native12_GLOBAL__N_124unique_dim_cuda_templateIfEESt5tupleIJNSF_6TensorESK_SK_EERKSK_lbbbEUlllE0_EEPmJS9_EEE10hipError_tPvRmT3_T4_T5_T6_T7_T9_mT8_P12ihipStream_tbDpT10_ENKUlT_T0_E_clISt17integral_constantIbLb1EES19_IbLb0EEEEDaS15_S16_EUlS15_E_NS1_11comp_targetILNS1_3genE10ELNS1_11target_archE1200ELNS1_3gpuE4ELNS1_3repE0EEENS1_30default_config_static_selectorELNS0_4arch9wavefront6targetE1EEEvT1_
                                        ; -- End function
	.set _ZN7rocprim17ROCPRIM_400000_NS6detail17trampoline_kernelINS0_14default_configENS1_25partition_config_selectorILNS1_17partition_subalgoE9EllbEEZZNS1_14partition_implILS5_9ELb0ES3_jPlS8_PNS0_10empty_typeENS0_5tupleIJS8_S9_EEENSB_IJS8_SA_EEENS0_18inequality_wrapperIZN2at6native12_GLOBAL__N_124unique_dim_cuda_templateIfEESt5tupleIJNSF_6TensorESK_SK_EERKSK_lbbbEUlllE0_EEPmJS9_EEE10hipError_tPvRmT3_T4_T5_T6_T7_T9_mT8_P12ihipStream_tbDpT10_ENKUlT_T0_E_clISt17integral_constantIbLb1EES19_IbLb0EEEEDaS15_S16_EUlS15_E_NS1_11comp_targetILNS1_3genE10ELNS1_11target_archE1200ELNS1_3gpuE4ELNS1_3repE0EEENS1_30default_config_static_selectorELNS0_4arch9wavefront6targetE1EEEvT1_.num_vgpr, 0
	.set _ZN7rocprim17ROCPRIM_400000_NS6detail17trampoline_kernelINS0_14default_configENS1_25partition_config_selectorILNS1_17partition_subalgoE9EllbEEZZNS1_14partition_implILS5_9ELb0ES3_jPlS8_PNS0_10empty_typeENS0_5tupleIJS8_S9_EEENSB_IJS8_SA_EEENS0_18inequality_wrapperIZN2at6native12_GLOBAL__N_124unique_dim_cuda_templateIfEESt5tupleIJNSF_6TensorESK_SK_EERKSK_lbbbEUlllE0_EEPmJS9_EEE10hipError_tPvRmT3_T4_T5_T6_T7_T9_mT8_P12ihipStream_tbDpT10_ENKUlT_T0_E_clISt17integral_constantIbLb1EES19_IbLb0EEEEDaS15_S16_EUlS15_E_NS1_11comp_targetILNS1_3genE10ELNS1_11target_archE1200ELNS1_3gpuE4ELNS1_3repE0EEENS1_30default_config_static_selectorELNS0_4arch9wavefront6targetE1EEEvT1_.num_agpr, 0
	.set _ZN7rocprim17ROCPRIM_400000_NS6detail17trampoline_kernelINS0_14default_configENS1_25partition_config_selectorILNS1_17partition_subalgoE9EllbEEZZNS1_14partition_implILS5_9ELb0ES3_jPlS8_PNS0_10empty_typeENS0_5tupleIJS8_S9_EEENSB_IJS8_SA_EEENS0_18inequality_wrapperIZN2at6native12_GLOBAL__N_124unique_dim_cuda_templateIfEESt5tupleIJNSF_6TensorESK_SK_EERKSK_lbbbEUlllE0_EEPmJS9_EEE10hipError_tPvRmT3_T4_T5_T6_T7_T9_mT8_P12ihipStream_tbDpT10_ENKUlT_T0_E_clISt17integral_constantIbLb1EES19_IbLb0EEEEDaS15_S16_EUlS15_E_NS1_11comp_targetILNS1_3genE10ELNS1_11target_archE1200ELNS1_3gpuE4ELNS1_3repE0EEENS1_30default_config_static_selectorELNS0_4arch9wavefront6targetE1EEEvT1_.numbered_sgpr, 0
	.set _ZN7rocprim17ROCPRIM_400000_NS6detail17trampoline_kernelINS0_14default_configENS1_25partition_config_selectorILNS1_17partition_subalgoE9EllbEEZZNS1_14partition_implILS5_9ELb0ES3_jPlS8_PNS0_10empty_typeENS0_5tupleIJS8_S9_EEENSB_IJS8_SA_EEENS0_18inequality_wrapperIZN2at6native12_GLOBAL__N_124unique_dim_cuda_templateIfEESt5tupleIJNSF_6TensorESK_SK_EERKSK_lbbbEUlllE0_EEPmJS9_EEE10hipError_tPvRmT3_T4_T5_T6_T7_T9_mT8_P12ihipStream_tbDpT10_ENKUlT_T0_E_clISt17integral_constantIbLb1EES19_IbLb0EEEEDaS15_S16_EUlS15_E_NS1_11comp_targetILNS1_3genE10ELNS1_11target_archE1200ELNS1_3gpuE4ELNS1_3repE0EEENS1_30default_config_static_selectorELNS0_4arch9wavefront6targetE1EEEvT1_.num_named_barrier, 0
	.set _ZN7rocprim17ROCPRIM_400000_NS6detail17trampoline_kernelINS0_14default_configENS1_25partition_config_selectorILNS1_17partition_subalgoE9EllbEEZZNS1_14partition_implILS5_9ELb0ES3_jPlS8_PNS0_10empty_typeENS0_5tupleIJS8_S9_EEENSB_IJS8_SA_EEENS0_18inequality_wrapperIZN2at6native12_GLOBAL__N_124unique_dim_cuda_templateIfEESt5tupleIJNSF_6TensorESK_SK_EERKSK_lbbbEUlllE0_EEPmJS9_EEE10hipError_tPvRmT3_T4_T5_T6_T7_T9_mT8_P12ihipStream_tbDpT10_ENKUlT_T0_E_clISt17integral_constantIbLb1EES19_IbLb0EEEEDaS15_S16_EUlS15_E_NS1_11comp_targetILNS1_3genE10ELNS1_11target_archE1200ELNS1_3gpuE4ELNS1_3repE0EEENS1_30default_config_static_selectorELNS0_4arch9wavefront6targetE1EEEvT1_.private_seg_size, 0
	.set _ZN7rocprim17ROCPRIM_400000_NS6detail17trampoline_kernelINS0_14default_configENS1_25partition_config_selectorILNS1_17partition_subalgoE9EllbEEZZNS1_14partition_implILS5_9ELb0ES3_jPlS8_PNS0_10empty_typeENS0_5tupleIJS8_S9_EEENSB_IJS8_SA_EEENS0_18inequality_wrapperIZN2at6native12_GLOBAL__N_124unique_dim_cuda_templateIfEESt5tupleIJNSF_6TensorESK_SK_EERKSK_lbbbEUlllE0_EEPmJS9_EEE10hipError_tPvRmT3_T4_T5_T6_T7_T9_mT8_P12ihipStream_tbDpT10_ENKUlT_T0_E_clISt17integral_constantIbLb1EES19_IbLb0EEEEDaS15_S16_EUlS15_E_NS1_11comp_targetILNS1_3genE10ELNS1_11target_archE1200ELNS1_3gpuE4ELNS1_3repE0EEENS1_30default_config_static_selectorELNS0_4arch9wavefront6targetE1EEEvT1_.uses_vcc, 0
	.set _ZN7rocprim17ROCPRIM_400000_NS6detail17trampoline_kernelINS0_14default_configENS1_25partition_config_selectorILNS1_17partition_subalgoE9EllbEEZZNS1_14partition_implILS5_9ELb0ES3_jPlS8_PNS0_10empty_typeENS0_5tupleIJS8_S9_EEENSB_IJS8_SA_EEENS0_18inequality_wrapperIZN2at6native12_GLOBAL__N_124unique_dim_cuda_templateIfEESt5tupleIJNSF_6TensorESK_SK_EERKSK_lbbbEUlllE0_EEPmJS9_EEE10hipError_tPvRmT3_T4_T5_T6_T7_T9_mT8_P12ihipStream_tbDpT10_ENKUlT_T0_E_clISt17integral_constantIbLb1EES19_IbLb0EEEEDaS15_S16_EUlS15_E_NS1_11comp_targetILNS1_3genE10ELNS1_11target_archE1200ELNS1_3gpuE4ELNS1_3repE0EEENS1_30default_config_static_selectorELNS0_4arch9wavefront6targetE1EEEvT1_.uses_flat_scratch, 0
	.set _ZN7rocprim17ROCPRIM_400000_NS6detail17trampoline_kernelINS0_14default_configENS1_25partition_config_selectorILNS1_17partition_subalgoE9EllbEEZZNS1_14partition_implILS5_9ELb0ES3_jPlS8_PNS0_10empty_typeENS0_5tupleIJS8_S9_EEENSB_IJS8_SA_EEENS0_18inequality_wrapperIZN2at6native12_GLOBAL__N_124unique_dim_cuda_templateIfEESt5tupleIJNSF_6TensorESK_SK_EERKSK_lbbbEUlllE0_EEPmJS9_EEE10hipError_tPvRmT3_T4_T5_T6_T7_T9_mT8_P12ihipStream_tbDpT10_ENKUlT_T0_E_clISt17integral_constantIbLb1EES19_IbLb0EEEEDaS15_S16_EUlS15_E_NS1_11comp_targetILNS1_3genE10ELNS1_11target_archE1200ELNS1_3gpuE4ELNS1_3repE0EEENS1_30default_config_static_selectorELNS0_4arch9wavefront6targetE1EEEvT1_.has_dyn_sized_stack, 0
	.set _ZN7rocprim17ROCPRIM_400000_NS6detail17trampoline_kernelINS0_14default_configENS1_25partition_config_selectorILNS1_17partition_subalgoE9EllbEEZZNS1_14partition_implILS5_9ELb0ES3_jPlS8_PNS0_10empty_typeENS0_5tupleIJS8_S9_EEENSB_IJS8_SA_EEENS0_18inequality_wrapperIZN2at6native12_GLOBAL__N_124unique_dim_cuda_templateIfEESt5tupleIJNSF_6TensorESK_SK_EERKSK_lbbbEUlllE0_EEPmJS9_EEE10hipError_tPvRmT3_T4_T5_T6_T7_T9_mT8_P12ihipStream_tbDpT10_ENKUlT_T0_E_clISt17integral_constantIbLb1EES19_IbLb0EEEEDaS15_S16_EUlS15_E_NS1_11comp_targetILNS1_3genE10ELNS1_11target_archE1200ELNS1_3gpuE4ELNS1_3repE0EEENS1_30default_config_static_selectorELNS0_4arch9wavefront6targetE1EEEvT1_.has_recursion, 0
	.set _ZN7rocprim17ROCPRIM_400000_NS6detail17trampoline_kernelINS0_14default_configENS1_25partition_config_selectorILNS1_17partition_subalgoE9EllbEEZZNS1_14partition_implILS5_9ELb0ES3_jPlS8_PNS0_10empty_typeENS0_5tupleIJS8_S9_EEENSB_IJS8_SA_EEENS0_18inequality_wrapperIZN2at6native12_GLOBAL__N_124unique_dim_cuda_templateIfEESt5tupleIJNSF_6TensorESK_SK_EERKSK_lbbbEUlllE0_EEPmJS9_EEE10hipError_tPvRmT3_T4_T5_T6_T7_T9_mT8_P12ihipStream_tbDpT10_ENKUlT_T0_E_clISt17integral_constantIbLb1EES19_IbLb0EEEEDaS15_S16_EUlS15_E_NS1_11comp_targetILNS1_3genE10ELNS1_11target_archE1200ELNS1_3gpuE4ELNS1_3repE0EEENS1_30default_config_static_selectorELNS0_4arch9wavefront6targetE1EEEvT1_.has_indirect_call, 0
	.section	.AMDGPU.csdata,"",@progbits
; Kernel info:
; codeLenInByte = 0
; TotalNumSgprs: 6
; NumVgprs: 0
; NumAgprs: 0
; TotalNumVgprs: 0
; ScratchSize: 0
; MemoryBound: 0
; FloatMode: 240
; IeeeMode: 1
; LDSByteSize: 0 bytes/workgroup (compile time only)
; SGPRBlocks: 0
; VGPRBlocks: 0
; NumSGPRsForWavesPerEU: 6
; NumVGPRsForWavesPerEU: 1
; AccumOffset: 4
; Occupancy: 8
; WaveLimiterHint : 0
; COMPUTE_PGM_RSRC2:SCRATCH_EN: 0
; COMPUTE_PGM_RSRC2:USER_SGPR: 2
; COMPUTE_PGM_RSRC2:TRAP_HANDLER: 0
; COMPUTE_PGM_RSRC2:TGID_X_EN: 1
; COMPUTE_PGM_RSRC2:TGID_Y_EN: 0
; COMPUTE_PGM_RSRC2:TGID_Z_EN: 0
; COMPUTE_PGM_RSRC2:TIDIG_COMP_CNT: 0
; COMPUTE_PGM_RSRC3_GFX90A:ACCUM_OFFSET: 0
; COMPUTE_PGM_RSRC3_GFX90A:TG_SPLIT: 0
	.section	.text._ZN7rocprim17ROCPRIM_400000_NS6detail17trampoline_kernelINS0_14default_configENS1_25partition_config_selectorILNS1_17partition_subalgoE9EllbEEZZNS1_14partition_implILS5_9ELb0ES3_jPlS8_PNS0_10empty_typeENS0_5tupleIJS8_S9_EEENSB_IJS8_SA_EEENS0_18inequality_wrapperIZN2at6native12_GLOBAL__N_124unique_dim_cuda_templateIfEESt5tupleIJNSF_6TensorESK_SK_EERKSK_lbbbEUlllE0_EEPmJS9_EEE10hipError_tPvRmT3_T4_T5_T6_T7_T9_mT8_P12ihipStream_tbDpT10_ENKUlT_T0_E_clISt17integral_constantIbLb1EES19_IbLb0EEEEDaS15_S16_EUlS15_E_NS1_11comp_targetILNS1_3genE9ELNS1_11target_archE1100ELNS1_3gpuE3ELNS1_3repE0EEENS1_30default_config_static_selectorELNS0_4arch9wavefront6targetE1EEEvT1_,"axG",@progbits,_ZN7rocprim17ROCPRIM_400000_NS6detail17trampoline_kernelINS0_14default_configENS1_25partition_config_selectorILNS1_17partition_subalgoE9EllbEEZZNS1_14partition_implILS5_9ELb0ES3_jPlS8_PNS0_10empty_typeENS0_5tupleIJS8_S9_EEENSB_IJS8_SA_EEENS0_18inequality_wrapperIZN2at6native12_GLOBAL__N_124unique_dim_cuda_templateIfEESt5tupleIJNSF_6TensorESK_SK_EERKSK_lbbbEUlllE0_EEPmJS9_EEE10hipError_tPvRmT3_T4_T5_T6_T7_T9_mT8_P12ihipStream_tbDpT10_ENKUlT_T0_E_clISt17integral_constantIbLb1EES19_IbLb0EEEEDaS15_S16_EUlS15_E_NS1_11comp_targetILNS1_3genE9ELNS1_11target_archE1100ELNS1_3gpuE3ELNS1_3repE0EEENS1_30default_config_static_selectorELNS0_4arch9wavefront6targetE1EEEvT1_,comdat
	.globl	_ZN7rocprim17ROCPRIM_400000_NS6detail17trampoline_kernelINS0_14default_configENS1_25partition_config_selectorILNS1_17partition_subalgoE9EllbEEZZNS1_14partition_implILS5_9ELb0ES3_jPlS8_PNS0_10empty_typeENS0_5tupleIJS8_S9_EEENSB_IJS8_SA_EEENS0_18inequality_wrapperIZN2at6native12_GLOBAL__N_124unique_dim_cuda_templateIfEESt5tupleIJNSF_6TensorESK_SK_EERKSK_lbbbEUlllE0_EEPmJS9_EEE10hipError_tPvRmT3_T4_T5_T6_T7_T9_mT8_P12ihipStream_tbDpT10_ENKUlT_T0_E_clISt17integral_constantIbLb1EES19_IbLb0EEEEDaS15_S16_EUlS15_E_NS1_11comp_targetILNS1_3genE9ELNS1_11target_archE1100ELNS1_3gpuE3ELNS1_3repE0EEENS1_30default_config_static_selectorELNS0_4arch9wavefront6targetE1EEEvT1_ ; -- Begin function _ZN7rocprim17ROCPRIM_400000_NS6detail17trampoline_kernelINS0_14default_configENS1_25partition_config_selectorILNS1_17partition_subalgoE9EllbEEZZNS1_14partition_implILS5_9ELb0ES3_jPlS8_PNS0_10empty_typeENS0_5tupleIJS8_S9_EEENSB_IJS8_SA_EEENS0_18inequality_wrapperIZN2at6native12_GLOBAL__N_124unique_dim_cuda_templateIfEESt5tupleIJNSF_6TensorESK_SK_EERKSK_lbbbEUlllE0_EEPmJS9_EEE10hipError_tPvRmT3_T4_T5_T6_T7_T9_mT8_P12ihipStream_tbDpT10_ENKUlT_T0_E_clISt17integral_constantIbLb1EES19_IbLb0EEEEDaS15_S16_EUlS15_E_NS1_11comp_targetILNS1_3genE9ELNS1_11target_archE1100ELNS1_3gpuE3ELNS1_3repE0EEENS1_30default_config_static_selectorELNS0_4arch9wavefront6targetE1EEEvT1_
	.p2align	8
	.type	_ZN7rocprim17ROCPRIM_400000_NS6detail17trampoline_kernelINS0_14default_configENS1_25partition_config_selectorILNS1_17partition_subalgoE9EllbEEZZNS1_14partition_implILS5_9ELb0ES3_jPlS8_PNS0_10empty_typeENS0_5tupleIJS8_S9_EEENSB_IJS8_SA_EEENS0_18inequality_wrapperIZN2at6native12_GLOBAL__N_124unique_dim_cuda_templateIfEESt5tupleIJNSF_6TensorESK_SK_EERKSK_lbbbEUlllE0_EEPmJS9_EEE10hipError_tPvRmT3_T4_T5_T6_T7_T9_mT8_P12ihipStream_tbDpT10_ENKUlT_T0_E_clISt17integral_constantIbLb1EES19_IbLb0EEEEDaS15_S16_EUlS15_E_NS1_11comp_targetILNS1_3genE9ELNS1_11target_archE1100ELNS1_3gpuE3ELNS1_3repE0EEENS1_30default_config_static_selectorELNS0_4arch9wavefront6targetE1EEEvT1_,@function
_ZN7rocprim17ROCPRIM_400000_NS6detail17trampoline_kernelINS0_14default_configENS1_25partition_config_selectorILNS1_17partition_subalgoE9EllbEEZZNS1_14partition_implILS5_9ELb0ES3_jPlS8_PNS0_10empty_typeENS0_5tupleIJS8_S9_EEENSB_IJS8_SA_EEENS0_18inequality_wrapperIZN2at6native12_GLOBAL__N_124unique_dim_cuda_templateIfEESt5tupleIJNSF_6TensorESK_SK_EERKSK_lbbbEUlllE0_EEPmJS9_EEE10hipError_tPvRmT3_T4_T5_T6_T7_T9_mT8_P12ihipStream_tbDpT10_ENKUlT_T0_E_clISt17integral_constantIbLb1EES19_IbLb0EEEEDaS15_S16_EUlS15_E_NS1_11comp_targetILNS1_3genE9ELNS1_11target_archE1100ELNS1_3gpuE3ELNS1_3repE0EEENS1_30default_config_static_selectorELNS0_4arch9wavefront6targetE1EEEvT1_: ; @_ZN7rocprim17ROCPRIM_400000_NS6detail17trampoline_kernelINS0_14default_configENS1_25partition_config_selectorILNS1_17partition_subalgoE9EllbEEZZNS1_14partition_implILS5_9ELb0ES3_jPlS8_PNS0_10empty_typeENS0_5tupleIJS8_S9_EEENSB_IJS8_SA_EEENS0_18inequality_wrapperIZN2at6native12_GLOBAL__N_124unique_dim_cuda_templateIfEESt5tupleIJNSF_6TensorESK_SK_EERKSK_lbbbEUlllE0_EEPmJS9_EEE10hipError_tPvRmT3_T4_T5_T6_T7_T9_mT8_P12ihipStream_tbDpT10_ENKUlT_T0_E_clISt17integral_constantIbLb1EES19_IbLb0EEEEDaS15_S16_EUlS15_E_NS1_11comp_targetILNS1_3genE9ELNS1_11target_archE1100ELNS1_3gpuE3ELNS1_3repE0EEENS1_30default_config_static_selectorELNS0_4arch9wavefront6targetE1EEEvT1_
; %bb.0:
	.section	.rodata,"a",@progbits
	.p2align	6, 0x0
	.amdhsa_kernel _ZN7rocprim17ROCPRIM_400000_NS6detail17trampoline_kernelINS0_14default_configENS1_25partition_config_selectorILNS1_17partition_subalgoE9EllbEEZZNS1_14partition_implILS5_9ELb0ES3_jPlS8_PNS0_10empty_typeENS0_5tupleIJS8_S9_EEENSB_IJS8_SA_EEENS0_18inequality_wrapperIZN2at6native12_GLOBAL__N_124unique_dim_cuda_templateIfEESt5tupleIJNSF_6TensorESK_SK_EERKSK_lbbbEUlllE0_EEPmJS9_EEE10hipError_tPvRmT3_T4_T5_T6_T7_T9_mT8_P12ihipStream_tbDpT10_ENKUlT_T0_E_clISt17integral_constantIbLb1EES19_IbLb0EEEEDaS15_S16_EUlS15_E_NS1_11comp_targetILNS1_3genE9ELNS1_11target_archE1100ELNS1_3gpuE3ELNS1_3repE0EEENS1_30default_config_static_selectorELNS0_4arch9wavefront6targetE1EEEvT1_
		.amdhsa_group_segment_fixed_size 0
		.amdhsa_private_segment_fixed_size 0
		.amdhsa_kernarg_size 120
		.amdhsa_user_sgpr_count 2
		.amdhsa_user_sgpr_dispatch_ptr 0
		.amdhsa_user_sgpr_queue_ptr 0
		.amdhsa_user_sgpr_kernarg_segment_ptr 1
		.amdhsa_user_sgpr_dispatch_id 0
		.amdhsa_user_sgpr_kernarg_preload_length 0
		.amdhsa_user_sgpr_kernarg_preload_offset 0
		.amdhsa_user_sgpr_private_segment_size 0
		.amdhsa_uses_dynamic_stack 0
		.amdhsa_enable_private_segment 0
		.amdhsa_system_sgpr_workgroup_id_x 1
		.amdhsa_system_sgpr_workgroup_id_y 0
		.amdhsa_system_sgpr_workgroup_id_z 0
		.amdhsa_system_sgpr_workgroup_info 0
		.amdhsa_system_vgpr_workitem_id 0
		.amdhsa_next_free_vgpr 1
		.amdhsa_next_free_sgpr 0
		.amdhsa_accum_offset 4
		.amdhsa_reserve_vcc 0
		.amdhsa_float_round_mode_32 0
		.amdhsa_float_round_mode_16_64 0
		.amdhsa_float_denorm_mode_32 3
		.amdhsa_float_denorm_mode_16_64 3
		.amdhsa_dx10_clamp 1
		.amdhsa_ieee_mode 1
		.amdhsa_fp16_overflow 0
		.amdhsa_tg_split 0
		.amdhsa_exception_fp_ieee_invalid_op 0
		.amdhsa_exception_fp_denorm_src 0
		.amdhsa_exception_fp_ieee_div_zero 0
		.amdhsa_exception_fp_ieee_overflow 0
		.amdhsa_exception_fp_ieee_underflow 0
		.amdhsa_exception_fp_ieee_inexact 0
		.amdhsa_exception_int_div_zero 0
	.end_amdhsa_kernel
	.section	.text._ZN7rocprim17ROCPRIM_400000_NS6detail17trampoline_kernelINS0_14default_configENS1_25partition_config_selectorILNS1_17partition_subalgoE9EllbEEZZNS1_14partition_implILS5_9ELb0ES3_jPlS8_PNS0_10empty_typeENS0_5tupleIJS8_S9_EEENSB_IJS8_SA_EEENS0_18inequality_wrapperIZN2at6native12_GLOBAL__N_124unique_dim_cuda_templateIfEESt5tupleIJNSF_6TensorESK_SK_EERKSK_lbbbEUlllE0_EEPmJS9_EEE10hipError_tPvRmT3_T4_T5_T6_T7_T9_mT8_P12ihipStream_tbDpT10_ENKUlT_T0_E_clISt17integral_constantIbLb1EES19_IbLb0EEEEDaS15_S16_EUlS15_E_NS1_11comp_targetILNS1_3genE9ELNS1_11target_archE1100ELNS1_3gpuE3ELNS1_3repE0EEENS1_30default_config_static_selectorELNS0_4arch9wavefront6targetE1EEEvT1_,"axG",@progbits,_ZN7rocprim17ROCPRIM_400000_NS6detail17trampoline_kernelINS0_14default_configENS1_25partition_config_selectorILNS1_17partition_subalgoE9EllbEEZZNS1_14partition_implILS5_9ELb0ES3_jPlS8_PNS0_10empty_typeENS0_5tupleIJS8_S9_EEENSB_IJS8_SA_EEENS0_18inequality_wrapperIZN2at6native12_GLOBAL__N_124unique_dim_cuda_templateIfEESt5tupleIJNSF_6TensorESK_SK_EERKSK_lbbbEUlllE0_EEPmJS9_EEE10hipError_tPvRmT3_T4_T5_T6_T7_T9_mT8_P12ihipStream_tbDpT10_ENKUlT_T0_E_clISt17integral_constantIbLb1EES19_IbLb0EEEEDaS15_S16_EUlS15_E_NS1_11comp_targetILNS1_3genE9ELNS1_11target_archE1100ELNS1_3gpuE3ELNS1_3repE0EEENS1_30default_config_static_selectorELNS0_4arch9wavefront6targetE1EEEvT1_,comdat
.Lfunc_end983:
	.size	_ZN7rocprim17ROCPRIM_400000_NS6detail17trampoline_kernelINS0_14default_configENS1_25partition_config_selectorILNS1_17partition_subalgoE9EllbEEZZNS1_14partition_implILS5_9ELb0ES3_jPlS8_PNS0_10empty_typeENS0_5tupleIJS8_S9_EEENSB_IJS8_SA_EEENS0_18inequality_wrapperIZN2at6native12_GLOBAL__N_124unique_dim_cuda_templateIfEESt5tupleIJNSF_6TensorESK_SK_EERKSK_lbbbEUlllE0_EEPmJS9_EEE10hipError_tPvRmT3_T4_T5_T6_T7_T9_mT8_P12ihipStream_tbDpT10_ENKUlT_T0_E_clISt17integral_constantIbLb1EES19_IbLb0EEEEDaS15_S16_EUlS15_E_NS1_11comp_targetILNS1_3genE9ELNS1_11target_archE1100ELNS1_3gpuE3ELNS1_3repE0EEENS1_30default_config_static_selectorELNS0_4arch9wavefront6targetE1EEEvT1_, .Lfunc_end983-_ZN7rocprim17ROCPRIM_400000_NS6detail17trampoline_kernelINS0_14default_configENS1_25partition_config_selectorILNS1_17partition_subalgoE9EllbEEZZNS1_14partition_implILS5_9ELb0ES3_jPlS8_PNS0_10empty_typeENS0_5tupleIJS8_S9_EEENSB_IJS8_SA_EEENS0_18inequality_wrapperIZN2at6native12_GLOBAL__N_124unique_dim_cuda_templateIfEESt5tupleIJNSF_6TensorESK_SK_EERKSK_lbbbEUlllE0_EEPmJS9_EEE10hipError_tPvRmT3_T4_T5_T6_T7_T9_mT8_P12ihipStream_tbDpT10_ENKUlT_T0_E_clISt17integral_constantIbLb1EES19_IbLb0EEEEDaS15_S16_EUlS15_E_NS1_11comp_targetILNS1_3genE9ELNS1_11target_archE1100ELNS1_3gpuE3ELNS1_3repE0EEENS1_30default_config_static_selectorELNS0_4arch9wavefront6targetE1EEEvT1_
                                        ; -- End function
	.set _ZN7rocprim17ROCPRIM_400000_NS6detail17trampoline_kernelINS0_14default_configENS1_25partition_config_selectorILNS1_17partition_subalgoE9EllbEEZZNS1_14partition_implILS5_9ELb0ES3_jPlS8_PNS0_10empty_typeENS0_5tupleIJS8_S9_EEENSB_IJS8_SA_EEENS0_18inequality_wrapperIZN2at6native12_GLOBAL__N_124unique_dim_cuda_templateIfEESt5tupleIJNSF_6TensorESK_SK_EERKSK_lbbbEUlllE0_EEPmJS9_EEE10hipError_tPvRmT3_T4_T5_T6_T7_T9_mT8_P12ihipStream_tbDpT10_ENKUlT_T0_E_clISt17integral_constantIbLb1EES19_IbLb0EEEEDaS15_S16_EUlS15_E_NS1_11comp_targetILNS1_3genE9ELNS1_11target_archE1100ELNS1_3gpuE3ELNS1_3repE0EEENS1_30default_config_static_selectorELNS0_4arch9wavefront6targetE1EEEvT1_.num_vgpr, 0
	.set _ZN7rocprim17ROCPRIM_400000_NS6detail17trampoline_kernelINS0_14default_configENS1_25partition_config_selectorILNS1_17partition_subalgoE9EllbEEZZNS1_14partition_implILS5_9ELb0ES3_jPlS8_PNS0_10empty_typeENS0_5tupleIJS8_S9_EEENSB_IJS8_SA_EEENS0_18inequality_wrapperIZN2at6native12_GLOBAL__N_124unique_dim_cuda_templateIfEESt5tupleIJNSF_6TensorESK_SK_EERKSK_lbbbEUlllE0_EEPmJS9_EEE10hipError_tPvRmT3_T4_T5_T6_T7_T9_mT8_P12ihipStream_tbDpT10_ENKUlT_T0_E_clISt17integral_constantIbLb1EES19_IbLb0EEEEDaS15_S16_EUlS15_E_NS1_11comp_targetILNS1_3genE9ELNS1_11target_archE1100ELNS1_3gpuE3ELNS1_3repE0EEENS1_30default_config_static_selectorELNS0_4arch9wavefront6targetE1EEEvT1_.num_agpr, 0
	.set _ZN7rocprim17ROCPRIM_400000_NS6detail17trampoline_kernelINS0_14default_configENS1_25partition_config_selectorILNS1_17partition_subalgoE9EllbEEZZNS1_14partition_implILS5_9ELb0ES3_jPlS8_PNS0_10empty_typeENS0_5tupleIJS8_S9_EEENSB_IJS8_SA_EEENS0_18inequality_wrapperIZN2at6native12_GLOBAL__N_124unique_dim_cuda_templateIfEESt5tupleIJNSF_6TensorESK_SK_EERKSK_lbbbEUlllE0_EEPmJS9_EEE10hipError_tPvRmT3_T4_T5_T6_T7_T9_mT8_P12ihipStream_tbDpT10_ENKUlT_T0_E_clISt17integral_constantIbLb1EES19_IbLb0EEEEDaS15_S16_EUlS15_E_NS1_11comp_targetILNS1_3genE9ELNS1_11target_archE1100ELNS1_3gpuE3ELNS1_3repE0EEENS1_30default_config_static_selectorELNS0_4arch9wavefront6targetE1EEEvT1_.numbered_sgpr, 0
	.set _ZN7rocprim17ROCPRIM_400000_NS6detail17trampoline_kernelINS0_14default_configENS1_25partition_config_selectorILNS1_17partition_subalgoE9EllbEEZZNS1_14partition_implILS5_9ELb0ES3_jPlS8_PNS0_10empty_typeENS0_5tupleIJS8_S9_EEENSB_IJS8_SA_EEENS0_18inequality_wrapperIZN2at6native12_GLOBAL__N_124unique_dim_cuda_templateIfEESt5tupleIJNSF_6TensorESK_SK_EERKSK_lbbbEUlllE0_EEPmJS9_EEE10hipError_tPvRmT3_T4_T5_T6_T7_T9_mT8_P12ihipStream_tbDpT10_ENKUlT_T0_E_clISt17integral_constantIbLb1EES19_IbLb0EEEEDaS15_S16_EUlS15_E_NS1_11comp_targetILNS1_3genE9ELNS1_11target_archE1100ELNS1_3gpuE3ELNS1_3repE0EEENS1_30default_config_static_selectorELNS0_4arch9wavefront6targetE1EEEvT1_.num_named_barrier, 0
	.set _ZN7rocprim17ROCPRIM_400000_NS6detail17trampoline_kernelINS0_14default_configENS1_25partition_config_selectorILNS1_17partition_subalgoE9EllbEEZZNS1_14partition_implILS5_9ELb0ES3_jPlS8_PNS0_10empty_typeENS0_5tupleIJS8_S9_EEENSB_IJS8_SA_EEENS0_18inequality_wrapperIZN2at6native12_GLOBAL__N_124unique_dim_cuda_templateIfEESt5tupleIJNSF_6TensorESK_SK_EERKSK_lbbbEUlllE0_EEPmJS9_EEE10hipError_tPvRmT3_T4_T5_T6_T7_T9_mT8_P12ihipStream_tbDpT10_ENKUlT_T0_E_clISt17integral_constantIbLb1EES19_IbLb0EEEEDaS15_S16_EUlS15_E_NS1_11comp_targetILNS1_3genE9ELNS1_11target_archE1100ELNS1_3gpuE3ELNS1_3repE0EEENS1_30default_config_static_selectorELNS0_4arch9wavefront6targetE1EEEvT1_.private_seg_size, 0
	.set _ZN7rocprim17ROCPRIM_400000_NS6detail17trampoline_kernelINS0_14default_configENS1_25partition_config_selectorILNS1_17partition_subalgoE9EllbEEZZNS1_14partition_implILS5_9ELb0ES3_jPlS8_PNS0_10empty_typeENS0_5tupleIJS8_S9_EEENSB_IJS8_SA_EEENS0_18inequality_wrapperIZN2at6native12_GLOBAL__N_124unique_dim_cuda_templateIfEESt5tupleIJNSF_6TensorESK_SK_EERKSK_lbbbEUlllE0_EEPmJS9_EEE10hipError_tPvRmT3_T4_T5_T6_T7_T9_mT8_P12ihipStream_tbDpT10_ENKUlT_T0_E_clISt17integral_constantIbLb1EES19_IbLb0EEEEDaS15_S16_EUlS15_E_NS1_11comp_targetILNS1_3genE9ELNS1_11target_archE1100ELNS1_3gpuE3ELNS1_3repE0EEENS1_30default_config_static_selectorELNS0_4arch9wavefront6targetE1EEEvT1_.uses_vcc, 0
	.set _ZN7rocprim17ROCPRIM_400000_NS6detail17trampoline_kernelINS0_14default_configENS1_25partition_config_selectorILNS1_17partition_subalgoE9EllbEEZZNS1_14partition_implILS5_9ELb0ES3_jPlS8_PNS0_10empty_typeENS0_5tupleIJS8_S9_EEENSB_IJS8_SA_EEENS0_18inequality_wrapperIZN2at6native12_GLOBAL__N_124unique_dim_cuda_templateIfEESt5tupleIJNSF_6TensorESK_SK_EERKSK_lbbbEUlllE0_EEPmJS9_EEE10hipError_tPvRmT3_T4_T5_T6_T7_T9_mT8_P12ihipStream_tbDpT10_ENKUlT_T0_E_clISt17integral_constantIbLb1EES19_IbLb0EEEEDaS15_S16_EUlS15_E_NS1_11comp_targetILNS1_3genE9ELNS1_11target_archE1100ELNS1_3gpuE3ELNS1_3repE0EEENS1_30default_config_static_selectorELNS0_4arch9wavefront6targetE1EEEvT1_.uses_flat_scratch, 0
	.set _ZN7rocprim17ROCPRIM_400000_NS6detail17trampoline_kernelINS0_14default_configENS1_25partition_config_selectorILNS1_17partition_subalgoE9EllbEEZZNS1_14partition_implILS5_9ELb0ES3_jPlS8_PNS0_10empty_typeENS0_5tupleIJS8_S9_EEENSB_IJS8_SA_EEENS0_18inequality_wrapperIZN2at6native12_GLOBAL__N_124unique_dim_cuda_templateIfEESt5tupleIJNSF_6TensorESK_SK_EERKSK_lbbbEUlllE0_EEPmJS9_EEE10hipError_tPvRmT3_T4_T5_T6_T7_T9_mT8_P12ihipStream_tbDpT10_ENKUlT_T0_E_clISt17integral_constantIbLb1EES19_IbLb0EEEEDaS15_S16_EUlS15_E_NS1_11comp_targetILNS1_3genE9ELNS1_11target_archE1100ELNS1_3gpuE3ELNS1_3repE0EEENS1_30default_config_static_selectorELNS0_4arch9wavefront6targetE1EEEvT1_.has_dyn_sized_stack, 0
	.set _ZN7rocprim17ROCPRIM_400000_NS6detail17trampoline_kernelINS0_14default_configENS1_25partition_config_selectorILNS1_17partition_subalgoE9EllbEEZZNS1_14partition_implILS5_9ELb0ES3_jPlS8_PNS0_10empty_typeENS0_5tupleIJS8_S9_EEENSB_IJS8_SA_EEENS0_18inequality_wrapperIZN2at6native12_GLOBAL__N_124unique_dim_cuda_templateIfEESt5tupleIJNSF_6TensorESK_SK_EERKSK_lbbbEUlllE0_EEPmJS9_EEE10hipError_tPvRmT3_T4_T5_T6_T7_T9_mT8_P12ihipStream_tbDpT10_ENKUlT_T0_E_clISt17integral_constantIbLb1EES19_IbLb0EEEEDaS15_S16_EUlS15_E_NS1_11comp_targetILNS1_3genE9ELNS1_11target_archE1100ELNS1_3gpuE3ELNS1_3repE0EEENS1_30default_config_static_selectorELNS0_4arch9wavefront6targetE1EEEvT1_.has_recursion, 0
	.set _ZN7rocprim17ROCPRIM_400000_NS6detail17trampoline_kernelINS0_14default_configENS1_25partition_config_selectorILNS1_17partition_subalgoE9EllbEEZZNS1_14partition_implILS5_9ELb0ES3_jPlS8_PNS0_10empty_typeENS0_5tupleIJS8_S9_EEENSB_IJS8_SA_EEENS0_18inequality_wrapperIZN2at6native12_GLOBAL__N_124unique_dim_cuda_templateIfEESt5tupleIJNSF_6TensorESK_SK_EERKSK_lbbbEUlllE0_EEPmJS9_EEE10hipError_tPvRmT3_T4_T5_T6_T7_T9_mT8_P12ihipStream_tbDpT10_ENKUlT_T0_E_clISt17integral_constantIbLb1EES19_IbLb0EEEEDaS15_S16_EUlS15_E_NS1_11comp_targetILNS1_3genE9ELNS1_11target_archE1100ELNS1_3gpuE3ELNS1_3repE0EEENS1_30default_config_static_selectorELNS0_4arch9wavefront6targetE1EEEvT1_.has_indirect_call, 0
	.section	.AMDGPU.csdata,"",@progbits
; Kernel info:
; codeLenInByte = 0
; TotalNumSgprs: 6
; NumVgprs: 0
; NumAgprs: 0
; TotalNumVgprs: 0
; ScratchSize: 0
; MemoryBound: 0
; FloatMode: 240
; IeeeMode: 1
; LDSByteSize: 0 bytes/workgroup (compile time only)
; SGPRBlocks: 0
; VGPRBlocks: 0
; NumSGPRsForWavesPerEU: 6
; NumVGPRsForWavesPerEU: 1
; AccumOffset: 4
; Occupancy: 8
; WaveLimiterHint : 0
; COMPUTE_PGM_RSRC2:SCRATCH_EN: 0
; COMPUTE_PGM_RSRC2:USER_SGPR: 2
; COMPUTE_PGM_RSRC2:TRAP_HANDLER: 0
; COMPUTE_PGM_RSRC2:TGID_X_EN: 1
; COMPUTE_PGM_RSRC2:TGID_Y_EN: 0
; COMPUTE_PGM_RSRC2:TGID_Z_EN: 0
; COMPUTE_PGM_RSRC2:TIDIG_COMP_CNT: 0
; COMPUTE_PGM_RSRC3_GFX90A:ACCUM_OFFSET: 0
; COMPUTE_PGM_RSRC3_GFX90A:TG_SPLIT: 0
	.section	.text._ZN7rocprim17ROCPRIM_400000_NS6detail17trampoline_kernelINS0_14default_configENS1_25partition_config_selectorILNS1_17partition_subalgoE9EllbEEZZNS1_14partition_implILS5_9ELb0ES3_jPlS8_PNS0_10empty_typeENS0_5tupleIJS8_S9_EEENSB_IJS8_SA_EEENS0_18inequality_wrapperIZN2at6native12_GLOBAL__N_124unique_dim_cuda_templateIfEESt5tupleIJNSF_6TensorESK_SK_EERKSK_lbbbEUlllE0_EEPmJS9_EEE10hipError_tPvRmT3_T4_T5_T6_T7_T9_mT8_P12ihipStream_tbDpT10_ENKUlT_T0_E_clISt17integral_constantIbLb1EES19_IbLb0EEEEDaS15_S16_EUlS15_E_NS1_11comp_targetILNS1_3genE8ELNS1_11target_archE1030ELNS1_3gpuE2ELNS1_3repE0EEENS1_30default_config_static_selectorELNS0_4arch9wavefront6targetE1EEEvT1_,"axG",@progbits,_ZN7rocprim17ROCPRIM_400000_NS6detail17trampoline_kernelINS0_14default_configENS1_25partition_config_selectorILNS1_17partition_subalgoE9EllbEEZZNS1_14partition_implILS5_9ELb0ES3_jPlS8_PNS0_10empty_typeENS0_5tupleIJS8_S9_EEENSB_IJS8_SA_EEENS0_18inequality_wrapperIZN2at6native12_GLOBAL__N_124unique_dim_cuda_templateIfEESt5tupleIJNSF_6TensorESK_SK_EERKSK_lbbbEUlllE0_EEPmJS9_EEE10hipError_tPvRmT3_T4_T5_T6_T7_T9_mT8_P12ihipStream_tbDpT10_ENKUlT_T0_E_clISt17integral_constantIbLb1EES19_IbLb0EEEEDaS15_S16_EUlS15_E_NS1_11comp_targetILNS1_3genE8ELNS1_11target_archE1030ELNS1_3gpuE2ELNS1_3repE0EEENS1_30default_config_static_selectorELNS0_4arch9wavefront6targetE1EEEvT1_,comdat
	.globl	_ZN7rocprim17ROCPRIM_400000_NS6detail17trampoline_kernelINS0_14default_configENS1_25partition_config_selectorILNS1_17partition_subalgoE9EllbEEZZNS1_14partition_implILS5_9ELb0ES3_jPlS8_PNS0_10empty_typeENS0_5tupleIJS8_S9_EEENSB_IJS8_SA_EEENS0_18inequality_wrapperIZN2at6native12_GLOBAL__N_124unique_dim_cuda_templateIfEESt5tupleIJNSF_6TensorESK_SK_EERKSK_lbbbEUlllE0_EEPmJS9_EEE10hipError_tPvRmT3_T4_T5_T6_T7_T9_mT8_P12ihipStream_tbDpT10_ENKUlT_T0_E_clISt17integral_constantIbLb1EES19_IbLb0EEEEDaS15_S16_EUlS15_E_NS1_11comp_targetILNS1_3genE8ELNS1_11target_archE1030ELNS1_3gpuE2ELNS1_3repE0EEENS1_30default_config_static_selectorELNS0_4arch9wavefront6targetE1EEEvT1_ ; -- Begin function _ZN7rocprim17ROCPRIM_400000_NS6detail17trampoline_kernelINS0_14default_configENS1_25partition_config_selectorILNS1_17partition_subalgoE9EllbEEZZNS1_14partition_implILS5_9ELb0ES3_jPlS8_PNS0_10empty_typeENS0_5tupleIJS8_S9_EEENSB_IJS8_SA_EEENS0_18inequality_wrapperIZN2at6native12_GLOBAL__N_124unique_dim_cuda_templateIfEESt5tupleIJNSF_6TensorESK_SK_EERKSK_lbbbEUlllE0_EEPmJS9_EEE10hipError_tPvRmT3_T4_T5_T6_T7_T9_mT8_P12ihipStream_tbDpT10_ENKUlT_T0_E_clISt17integral_constantIbLb1EES19_IbLb0EEEEDaS15_S16_EUlS15_E_NS1_11comp_targetILNS1_3genE8ELNS1_11target_archE1030ELNS1_3gpuE2ELNS1_3repE0EEENS1_30default_config_static_selectorELNS0_4arch9wavefront6targetE1EEEvT1_
	.p2align	8
	.type	_ZN7rocprim17ROCPRIM_400000_NS6detail17trampoline_kernelINS0_14default_configENS1_25partition_config_selectorILNS1_17partition_subalgoE9EllbEEZZNS1_14partition_implILS5_9ELb0ES3_jPlS8_PNS0_10empty_typeENS0_5tupleIJS8_S9_EEENSB_IJS8_SA_EEENS0_18inequality_wrapperIZN2at6native12_GLOBAL__N_124unique_dim_cuda_templateIfEESt5tupleIJNSF_6TensorESK_SK_EERKSK_lbbbEUlllE0_EEPmJS9_EEE10hipError_tPvRmT3_T4_T5_T6_T7_T9_mT8_P12ihipStream_tbDpT10_ENKUlT_T0_E_clISt17integral_constantIbLb1EES19_IbLb0EEEEDaS15_S16_EUlS15_E_NS1_11comp_targetILNS1_3genE8ELNS1_11target_archE1030ELNS1_3gpuE2ELNS1_3repE0EEENS1_30default_config_static_selectorELNS0_4arch9wavefront6targetE1EEEvT1_,@function
_ZN7rocprim17ROCPRIM_400000_NS6detail17trampoline_kernelINS0_14default_configENS1_25partition_config_selectorILNS1_17partition_subalgoE9EllbEEZZNS1_14partition_implILS5_9ELb0ES3_jPlS8_PNS0_10empty_typeENS0_5tupleIJS8_S9_EEENSB_IJS8_SA_EEENS0_18inequality_wrapperIZN2at6native12_GLOBAL__N_124unique_dim_cuda_templateIfEESt5tupleIJNSF_6TensorESK_SK_EERKSK_lbbbEUlllE0_EEPmJS9_EEE10hipError_tPvRmT3_T4_T5_T6_T7_T9_mT8_P12ihipStream_tbDpT10_ENKUlT_T0_E_clISt17integral_constantIbLb1EES19_IbLb0EEEEDaS15_S16_EUlS15_E_NS1_11comp_targetILNS1_3genE8ELNS1_11target_archE1030ELNS1_3gpuE2ELNS1_3repE0EEENS1_30default_config_static_selectorELNS0_4arch9wavefront6targetE1EEEvT1_: ; @_ZN7rocprim17ROCPRIM_400000_NS6detail17trampoline_kernelINS0_14default_configENS1_25partition_config_selectorILNS1_17partition_subalgoE9EllbEEZZNS1_14partition_implILS5_9ELb0ES3_jPlS8_PNS0_10empty_typeENS0_5tupleIJS8_S9_EEENSB_IJS8_SA_EEENS0_18inequality_wrapperIZN2at6native12_GLOBAL__N_124unique_dim_cuda_templateIfEESt5tupleIJNSF_6TensorESK_SK_EERKSK_lbbbEUlllE0_EEPmJS9_EEE10hipError_tPvRmT3_T4_T5_T6_T7_T9_mT8_P12ihipStream_tbDpT10_ENKUlT_T0_E_clISt17integral_constantIbLb1EES19_IbLb0EEEEDaS15_S16_EUlS15_E_NS1_11comp_targetILNS1_3genE8ELNS1_11target_archE1030ELNS1_3gpuE2ELNS1_3repE0EEENS1_30default_config_static_selectorELNS0_4arch9wavefront6targetE1EEEvT1_
; %bb.0:
	.section	.rodata,"a",@progbits
	.p2align	6, 0x0
	.amdhsa_kernel _ZN7rocprim17ROCPRIM_400000_NS6detail17trampoline_kernelINS0_14default_configENS1_25partition_config_selectorILNS1_17partition_subalgoE9EllbEEZZNS1_14partition_implILS5_9ELb0ES3_jPlS8_PNS0_10empty_typeENS0_5tupleIJS8_S9_EEENSB_IJS8_SA_EEENS0_18inequality_wrapperIZN2at6native12_GLOBAL__N_124unique_dim_cuda_templateIfEESt5tupleIJNSF_6TensorESK_SK_EERKSK_lbbbEUlllE0_EEPmJS9_EEE10hipError_tPvRmT3_T4_T5_T6_T7_T9_mT8_P12ihipStream_tbDpT10_ENKUlT_T0_E_clISt17integral_constantIbLb1EES19_IbLb0EEEEDaS15_S16_EUlS15_E_NS1_11comp_targetILNS1_3genE8ELNS1_11target_archE1030ELNS1_3gpuE2ELNS1_3repE0EEENS1_30default_config_static_selectorELNS0_4arch9wavefront6targetE1EEEvT1_
		.amdhsa_group_segment_fixed_size 0
		.amdhsa_private_segment_fixed_size 0
		.amdhsa_kernarg_size 120
		.amdhsa_user_sgpr_count 2
		.amdhsa_user_sgpr_dispatch_ptr 0
		.amdhsa_user_sgpr_queue_ptr 0
		.amdhsa_user_sgpr_kernarg_segment_ptr 1
		.amdhsa_user_sgpr_dispatch_id 0
		.amdhsa_user_sgpr_kernarg_preload_length 0
		.amdhsa_user_sgpr_kernarg_preload_offset 0
		.amdhsa_user_sgpr_private_segment_size 0
		.amdhsa_uses_dynamic_stack 0
		.amdhsa_enable_private_segment 0
		.amdhsa_system_sgpr_workgroup_id_x 1
		.amdhsa_system_sgpr_workgroup_id_y 0
		.amdhsa_system_sgpr_workgroup_id_z 0
		.amdhsa_system_sgpr_workgroup_info 0
		.amdhsa_system_vgpr_workitem_id 0
		.amdhsa_next_free_vgpr 1
		.amdhsa_next_free_sgpr 0
		.amdhsa_accum_offset 4
		.amdhsa_reserve_vcc 0
		.amdhsa_float_round_mode_32 0
		.amdhsa_float_round_mode_16_64 0
		.amdhsa_float_denorm_mode_32 3
		.amdhsa_float_denorm_mode_16_64 3
		.amdhsa_dx10_clamp 1
		.amdhsa_ieee_mode 1
		.amdhsa_fp16_overflow 0
		.amdhsa_tg_split 0
		.amdhsa_exception_fp_ieee_invalid_op 0
		.amdhsa_exception_fp_denorm_src 0
		.amdhsa_exception_fp_ieee_div_zero 0
		.amdhsa_exception_fp_ieee_overflow 0
		.amdhsa_exception_fp_ieee_underflow 0
		.amdhsa_exception_fp_ieee_inexact 0
		.amdhsa_exception_int_div_zero 0
	.end_amdhsa_kernel
	.section	.text._ZN7rocprim17ROCPRIM_400000_NS6detail17trampoline_kernelINS0_14default_configENS1_25partition_config_selectorILNS1_17partition_subalgoE9EllbEEZZNS1_14partition_implILS5_9ELb0ES3_jPlS8_PNS0_10empty_typeENS0_5tupleIJS8_S9_EEENSB_IJS8_SA_EEENS0_18inequality_wrapperIZN2at6native12_GLOBAL__N_124unique_dim_cuda_templateIfEESt5tupleIJNSF_6TensorESK_SK_EERKSK_lbbbEUlllE0_EEPmJS9_EEE10hipError_tPvRmT3_T4_T5_T6_T7_T9_mT8_P12ihipStream_tbDpT10_ENKUlT_T0_E_clISt17integral_constantIbLb1EES19_IbLb0EEEEDaS15_S16_EUlS15_E_NS1_11comp_targetILNS1_3genE8ELNS1_11target_archE1030ELNS1_3gpuE2ELNS1_3repE0EEENS1_30default_config_static_selectorELNS0_4arch9wavefront6targetE1EEEvT1_,"axG",@progbits,_ZN7rocprim17ROCPRIM_400000_NS6detail17trampoline_kernelINS0_14default_configENS1_25partition_config_selectorILNS1_17partition_subalgoE9EllbEEZZNS1_14partition_implILS5_9ELb0ES3_jPlS8_PNS0_10empty_typeENS0_5tupleIJS8_S9_EEENSB_IJS8_SA_EEENS0_18inequality_wrapperIZN2at6native12_GLOBAL__N_124unique_dim_cuda_templateIfEESt5tupleIJNSF_6TensorESK_SK_EERKSK_lbbbEUlllE0_EEPmJS9_EEE10hipError_tPvRmT3_T4_T5_T6_T7_T9_mT8_P12ihipStream_tbDpT10_ENKUlT_T0_E_clISt17integral_constantIbLb1EES19_IbLb0EEEEDaS15_S16_EUlS15_E_NS1_11comp_targetILNS1_3genE8ELNS1_11target_archE1030ELNS1_3gpuE2ELNS1_3repE0EEENS1_30default_config_static_selectorELNS0_4arch9wavefront6targetE1EEEvT1_,comdat
.Lfunc_end984:
	.size	_ZN7rocprim17ROCPRIM_400000_NS6detail17trampoline_kernelINS0_14default_configENS1_25partition_config_selectorILNS1_17partition_subalgoE9EllbEEZZNS1_14partition_implILS5_9ELb0ES3_jPlS8_PNS0_10empty_typeENS0_5tupleIJS8_S9_EEENSB_IJS8_SA_EEENS0_18inequality_wrapperIZN2at6native12_GLOBAL__N_124unique_dim_cuda_templateIfEESt5tupleIJNSF_6TensorESK_SK_EERKSK_lbbbEUlllE0_EEPmJS9_EEE10hipError_tPvRmT3_T4_T5_T6_T7_T9_mT8_P12ihipStream_tbDpT10_ENKUlT_T0_E_clISt17integral_constantIbLb1EES19_IbLb0EEEEDaS15_S16_EUlS15_E_NS1_11comp_targetILNS1_3genE8ELNS1_11target_archE1030ELNS1_3gpuE2ELNS1_3repE0EEENS1_30default_config_static_selectorELNS0_4arch9wavefront6targetE1EEEvT1_, .Lfunc_end984-_ZN7rocprim17ROCPRIM_400000_NS6detail17trampoline_kernelINS0_14default_configENS1_25partition_config_selectorILNS1_17partition_subalgoE9EllbEEZZNS1_14partition_implILS5_9ELb0ES3_jPlS8_PNS0_10empty_typeENS0_5tupleIJS8_S9_EEENSB_IJS8_SA_EEENS0_18inequality_wrapperIZN2at6native12_GLOBAL__N_124unique_dim_cuda_templateIfEESt5tupleIJNSF_6TensorESK_SK_EERKSK_lbbbEUlllE0_EEPmJS9_EEE10hipError_tPvRmT3_T4_T5_T6_T7_T9_mT8_P12ihipStream_tbDpT10_ENKUlT_T0_E_clISt17integral_constantIbLb1EES19_IbLb0EEEEDaS15_S16_EUlS15_E_NS1_11comp_targetILNS1_3genE8ELNS1_11target_archE1030ELNS1_3gpuE2ELNS1_3repE0EEENS1_30default_config_static_selectorELNS0_4arch9wavefront6targetE1EEEvT1_
                                        ; -- End function
	.set _ZN7rocprim17ROCPRIM_400000_NS6detail17trampoline_kernelINS0_14default_configENS1_25partition_config_selectorILNS1_17partition_subalgoE9EllbEEZZNS1_14partition_implILS5_9ELb0ES3_jPlS8_PNS0_10empty_typeENS0_5tupleIJS8_S9_EEENSB_IJS8_SA_EEENS0_18inequality_wrapperIZN2at6native12_GLOBAL__N_124unique_dim_cuda_templateIfEESt5tupleIJNSF_6TensorESK_SK_EERKSK_lbbbEUlllE0_EEPmJS9_EEE10hipError_tPvRmT3_T4_T5_T6_T7_T9_mT8_P12ihipStream_tbDpT10_ENKUlT_T0_E_clISt17integral_constantIbLb1EES19_IbLb0EEEEDaS15_S16_EUlS15_E_NS1_11comp_targetILNS1_3genE8ELNS1_11target_archE1030ELNS1_3gpuE2ELNS1_3repE0EEENS1_30default_config_static_selectorELNS0_4arch9wavefront6targetE1EEEvT1_.num_vgpr, 0
	.set _ZN7rocprim17ROCPRIM_400000_NS6detail17trampoline_kernelINS0_14default_configENS1_25partition_config_selectorILNS1_17partition_subalgoE9EllbEEZZNS1_14partition_implILS5_9ELb0ES3_jPlS8_PNS0_10empty_typeENS0_5tupleIJS8_S9_EEENSB_IJS8_SA_EEENS0_18inequality_wrapperIZN2at6native12_GLOBAL__N_124unique_dim_cuda_templateIfEESt5tupleIJNSF_6TensorESK_SK_EERKSK_lbbbEUlllE0_EEPmJS9_EEE10hipError_tPvRmT3_T4_T5_T6_T7_T9_mT8_P12ihipStream_tbDpT10_ENKUlT_T0_E_clISt17integral_constantIbLb1EES19_IbLb0EEEEDaS15_S16_EUlS15_E_NS1_11comp_targetILNS1_3genE8ELNS1_11target_archE1030ELNS1_3gpuE2ELNS1_3repE0EEENS1_30default_config_static_selectorELNS0_4arch9wavefront6targetE1EEEvT1_.num_agpr, 0
	.set _ZN7rocprim17ROCPRIM_400000_NS6detail17trampoline_kernelINS0_14default_configENS1_25partition_config_selectorILNS1_17partition_subalgoE9EllbEEZZNS1_14partition_implILS5_9ELb0ES3_jPlS8_PNS0_10empty_typeENS0_5tupleIJS8_S9_EEENSB_IJS8_SA_EEENS0_18inequality_wrapperIZN2at6native12_GLOBAL__N_124unique_dim_cuda_templateIfEESt5tupleIJNSF_6TensorESK_SK_EERKSK_lbbbEUlllE0_EEPmJS9_EEE10hipError_tPvRmT3_T4_T5_T6_T7_T9_mT8_P12ihipStream_tbDpT10_ENKUlT_T0_E_clISt17integral_constantIbLb1EES19_IbLb0EEEEDaS15_S16_EUlS15_E_NS1_11comp_targetILNS1_3genE8ELNS1_11target_archE1030ELNS1_3gpuE2ELNS1_3repE0EEENS1_30default_config_static_selectorELNS0_4arch9wavefront6targetE1EEEvT1_.numbered_sgpr, 0
	.set _ZN7rocprim17ROCPRIM_400000_NS6detail17trampoline_kernelINS0_14default_configENS1_25partition_config_selectorILNS1_17partition_subalgoE9EllbEEZZNS1_14partition_implILS5_9ELb0ES3_jPlS8_PNS0_10empty_typeENS0_5tupleIJS8_S9_EEENSB_IJS8_SA_EEENS0_18inequality_wrapperIZN2at6native12_GLOBAL__N_124unique_dim_cuda_templateIfEESt5tupleIJNSF_6TensorESK_SK_EERKSK_lbbbEUlllE0_EEPmJS9_EEE10hipError_tPvRmT3_T4_T5_T6_T7_T9_mT8_P12ihipStream_tbDpT10_ENKUlT_T0_E_clISt17integral_constantIbLb1EES19_IbLb0EEEEDaS15_S16_EUlS15_E_NS1_11comp_targetILNS1_3genE8ELNS1_11target_archE1030ELNS1_3gpuE2ELNS1_3repE0EEENS1_30default_config_static_selectorELNS0_4arch9wavefront6targetE1EEEvT1_.num_named_barrier, 0
	.set _ZN7rocprim17ROCPRIM_400000_NS6detail17trampoline_kernelINS0_14default_configENS1_25partition_config_selectorILNS1_17partition_subalgoE9EllbEEZZNS1_14partition_implILS5_9ELb0ES3_jPlS8_PNS0_10empty_typeENS0_5tupleIJS8_S9_EEENSB_IJS8_SA_EEENS0_18inequality_wrapperIZN2at6native12_GLOBAL__N_124unique_dim_cuda_templateIfEESt5tupleIJNSF_6TensorESK_SK_EERKSK_lbbbEUlllE0_EEPmJS9_EEE10hipError_tPvRmT3_T4_T5_T6_T7_T9_mT8_P12ihipStream_tbDpT10_ENKUlT_T0_E_clISt17integral_constantIbLb1EES19_IbLb0EEEEDaS15_S16_EUlS15_E_NS1_11comp_targetILNS1_3genE8ELNS1_11target_archE1030ELNS1_3gpuE2ELNS1_3repE0EEENS1_30default_config_static_selectorELNS0_4arch9wavefront6targetE1EEEvT1_.private_seg_size, 0
	.set _ZN7rocprim17ROCPRIM_400000_NS6detail17trampoline_kernelINS0_14default_configENS1_25partition_config_selectorILNS1_17partition_subalgoE9EllbEEZZNS1_14partition_implILS5_9ELb0ES3_jPlS8_PNS0_10empty_typeENS0_5tupleIJS8_S9_EEENSB_IJS8_SA_EEENS0_18inequality_wrapperIZN2at6native12_GLOBAL__N_124unique_dim_cuda_templateIfEESt5tupleIJNSF_6TensorESK_SK_EERKSK_lbbbEUlllE0_EEPmJS9_EEE10hipError_tPvRmT3_T4_T5_T6_T7_T9_mT8_P12ihipStream_tbDpT10_ENKUlT_T0_E_clISt17integral_constantIbLb1EES19_IbLb0EEEEDaS15_S16_EUlS15_E_NS1_11comp_targetILNS1_3genE8ELNS1_11target_archE1030ELNS1_3gpuE2ELNS1_3repE0EEENS1_30default_config_static_selectorELNS0_4arch9wavefront6targetE1EEEvT1_.uses_vcc, 0
	.set _ZN7rocprim17ROCPRIM_400000_NS6detail17trampoline_kernelINS0_14default_configENS1_25partition_config_selectorILNS1_17partition_subalgoE9EllbEEZZNS1_14partition_implILS5_9ELb0ES3_jPlS8_PNS0_10empty_typeENS0_5tupleIJS8_S9_EEENSB_IJS8_SA_EEENS0_18inequality_wrapperIZN2at6native12_GLOBAL__N_124unique_dim_cuda_templateIfEESt5tupleIJNSF_6TensorESK_SK_EERKSK_lbbbEUlllE0_EEPmJS9_EEE10hipError_tPvRmT3_T4_T5_T6_T7_T9_mT8_P12ihipStream_tbDpT10_ENKUlT_T0_E_clISt17integral_constantIbLb1EES19_IbLb0EEEEDaS15_S16_EUlS15_E_NS1_11comp_targetILNS1_3genE8ELNS1_11target_archE1030ELNS1_3gpuE2ELNS1_3repE0EEENS1_30default_config_static_selectorELNS0_4arch9wavefront6targetE1EEEvT1_.uses_flat_scratch, 0
	.set _ZN7rocprim17ROCPRIM_400000_NS6detail17trampoline_kernelINS0_14default_configENS1_25partition_config_selectorILNS1_17partition_subalgoE9EllbEEZZNS1_14partition_implILS5_9ELb0ES3_jPlS8_PNS0_10empty_typeENS0_5tupleIJS8_S9_EEENSB_IJS8_SA_EEENS0_18inequality_wrapperIZN2at6native12_GLOBAL__N_124unique_dim_cuda_templateIfEESt5tupleIJNSF_6TensorESK_SK_EERKSK_lbbbEUlllE0_EEPmJS9_EEE10hipError_tPvRmT3_T4_T5_T6_T7_T9_mT8_P12ihipStream_tbDpT10_ENKUlT_T0_E_clISt17integral_constantIbLb1EES19_IbLb0EEEEDaS15_S16_EUlS15_E_NS1_11comp_targetILNS1_3genE8ELNS1_11target_archE1030ELNS1_3gpuE2ELNS1_3repE0EEENS1_30default_config_static_selectorELNS0_4arch9wavefront6targetE1EEEvT1_.has_dyn_sized_stack, 0
	.set _ZN7rocprim17ROCPRIM_400000_NS6detail17trampoline_kernelINS0_14default_configENS1_25partition_config_selectorILNS1_17partition_subalgoE9EllbEEZZNS1_14partition_implILS5_9ELb0ES3_jPlS8_PNS0_10empty_typeENS0_5tupleIJS8_S9_EEENSB_IJS8_SA_EEENS0_18inequality_wrapperIZN2at6native12_GLOBAL__N_124unique_dim_cuda_templateIfEESt5tupleIJNSF_6TensorESK_SK_EERKSK_lbbbEUlllE0_EEPmJS9_EEE10hipError_tPvRmT3_T4_T5_T6_T7_T9_mT8_P12ihipStream_tbDpT10_ENKUlT_T0_E_clISt17integral_constantIbLb1EES19_IbLb0EEEEDaS15_S16_EUlS15_E_NS1_11comp_targetILNS1_3genE8ELNS1_11target_archE1030ELNS1_3gpuE2ELNS1_3repE0EEENS1_30default_config_static_selectorELNS0_4arch9wavefront6targetE1EEEvT1_.has_recursion, 0
	.set _ZN7rocprim17ROCPRIM_400000_NS6detail17trampoline_kernelINS0_14default_configENS1_25partition_config_selectorILNS1_17partition_subalgoE9EllbEEZZNS1_14partition_implILS5_9ELb0ES3_jPlS8_PNS0_10empty_typeENS0_5tupleIJS8_S9_EEENSB_IJS8_SA_EEENS0_18inequality_wrapperIZN2at6native12_GLOBAL__N_124unique_dim_cuda_templateIfEESt5tupleIJNSF_6TensorESK_SK_EERKSK_lbbbEUlllE0_EEPmJS9_EEE10hipError_tPvRmT3_T4_T5_T6_T7_T9_mT8_P12ihipStream_tbDpT10_ENKUlT_T0_E_clISt17integral_constantIbLb1EES19_IbLb0EEEEDaS15_S16_EUlS15_E_NS1_11comp_targetILNS1_3genE8ELNS1_11target_archE1030ELNS1_3gpuE2ELNS1_3repE0EEENS1_30default_config_static_selectorELNS0_4arch9wavefront6targetE1EEEvT1_.has_indirect_call, 0
	.section	.AMDGPU.csdata,"",@progbits
; Kernel info:
; codeLenInByte = 0
; TotalNumSgprs: 6
; NumVgprs: 0
; NumAgprs: 0
; TotalNumVgprs: 0
; ScratchSize: 0
; MemoryBound: 0
; FloatMode: 240
; IeeeMode: 1
; LDSByteSize: 0 bytes/workgroup (compile time only)
; SGPRBlocks: 0
; VGPRBlocks: 0
; NumSGPRsForWavesPerEU: 6
; NumVGPRsForWavesPerEU: 1
; AccumOffset: 4
; Occupancy: 8
; WaveLimiterHint : 0
; COMPUTE_PGM_RSRC2:SCRATCH_EN: 0
; COMPUTE_PGM_RSRC2:USER_SGPR: 2
; COMPUTE_PGM_RSRC2:TRAP_HANDLER: 0
; COMPUTE_PGM_RSRC2:TGID_X_EN: 1
; COMPUTE_PGM_RSRC2:TGID_Y_EN: 0
; COMPUTE_PGM_RSRC2:TGID_Z_EN: 0
; COMPUTE_PGM_RSRC2:TIDIG_COMP_CNT: 0
; COMPUTE_PGM_RSRC3_GFX90A:ACCUM_OFFSET: 0
; COMPUTE_PGM_RSRC3_GFX90A:TG_SPLIT: 0
	.section	.text._ZN7rocprim17ROCPRIM_400000_NS6detail17trampoline_kernelINS0_14default_configENS1_25partition_config_selectorILNS1_17partition_subalgoE9EllbEEZZNS1_14partition_implILS5_9ELb0ES3_jPlS8_PNS0_10empty_typeENS0_5tupleIJS8_S9_EEENSB_IJS8_SA_EEENS0_18inequality_wrapperIZN2at6native12_GLOBAL__N_124unique_dim_cuda_templateIfEESt5tupleIJNSF_6TensorESK_SK_EERKSK_lbbbEUlllE0_EEPmJS9_EEE10hipError_tPvRmT3_T4_T5_T6_T7_T9_mT8_P12ihipStream_tbDpT10_ENKUlT_T0_E_clISt17integral_constantIbLb0EES19_IbLb1EEEEDaS15_S16_EUlS15_E_NS1_11comp_targetILNS1_3genE0ELNS1_11target_archE4294967295ELNS1_3gpuE0ELNS1_3repE0EEENS1_30default_config_static_selectorELNS0_4arch9wavefront6targetE1EEEvT1_,"axG",@progbits,_ZN7rocprim17ROCPRIM_400000_NS6detail17trampoline_kernelINS0_14default_configENS1_25partition_config_selectorILNS1_17partition_subalgoE9EllbEEZZNS1_14partition_implILS5_9ELb0ES3_jPlS8_PNS0_10empty_typeENS0_5tupleIJS8_S9_EEENSB_IJS8_SA_EEENS0_18inequality_wrapperIZN2at6native12_GLOBAL__N_124unique_dim_cuda_templateIfEESt5tupleIJNSF_6TensorESK_SK_EERKSK_lbbbEUlllE0_EEPmJS9_EEE10hipError_tPvRmT3_T4_T5_T6_T7_T9_mT8_P12ihipStream_tbDpT10_ENKUlT_T0_E_clISt17integral_constantIbLb0EES19_IbLb1EEEEDaS15_S16_EUlS15_E_NS1_11comp_targetILNS1_3genE0ELNS1_11target_archE4294967295ELNS1_3gpuE0ELNS1_3repE0EEENS1_30default_config_static_selectorELNS0_4arch9wavefront6targetE1EEEvT1_,comdat
	.globl	_ZN7rocprim17ROCPRIM_400000_NS6detail17trampoline_kernelINS0_14default_configENS1_25partition_config_selectorILNS1_17partition_subalgoE9EllbEEZZNS1_14partition_implILS5_9ELb0ES3_jPlS8_PNS0_10empty_typeENS0_5tupleIJS8_S9_EEENSB_IJS8_SA_EEENS0_18inequality_wrapperIZN2at6native12_GLOBAL__N_124unique_dim_cuda_templateIfEESt5tupleIJNSF_6TensorESK_SK_EERKSK_lbbbEUlllE0_EEPmJS9_EEE10hipError_tPvRmT3_T4_T5_T6_T7_T9_mT8_P12ihipStream_tbDpT10_ENKUlT_T0_E_clISt17integral_constantIbLb0EES19_IbLb1EEEEDaS15_S16_EUlS15_E_NS1_11comp_targetILNS1_3genE0ELNS1_11target_archE4294967295ELNS1_3gpuE0ELNS1_3repE0EEENS1_30default_config_static_selectorELNS0_4arch9wavefront6targetE1EEEvT1_ ; -- Begin function _ZN7rocprim17ROCPRIM_400000_NS6detail17trampoline_kernelINS0_14default_configENS1_25partition_config_selectorILNS1_17partition_subalgoE9EllbEEZZNS1_14partition_implILS5_9ELb0ES3_jPlS8_PNS0_10empty_typeENS0_5tupleIJS8_S9_EEENSB_IJS8_SA_EEENS0_18inequality_wrapperIZN2at6native12_GLOBAL__N_124unique_dim_cuda_templateIfEESt5tupleIJNSF_6TensorESK_SK_EERKSK_lbbbEUlllE0_EEPmJS9_EEE10hipError_tPvRmT3_T4_T5_T6_T7_T9_mT8_P12ihipStream_tbDpT10_ENKUlT_T0_E_clISt17integral_constantIbLb0EES19_IbLb1EEEEDaS15_S16_EUlS15_E_NS1_11comp_targetILNS1_3genE0ELNS1_11target_archE4294967295ELNS1_3gpuE0ELNS1_3repE0EEENS1_30default_config_static_selectorELNS0_4arch9wavefront6targetE1EEEvT1_
	.p2align	8
	.type	_ZN7rocprim17ROCPRIM_400000_NS6detail17trampoline_kernelINS0_14default_configENS1_25partition_config_selectorILNS1_17partition_subalgoE9EllbEEZZNS1_14partition_implILS5_9ELb0ES3_jPlS8_PNS0_10empty_typeENS0_5tupleIJS8_S9_EEENSB_IJS8_SA_EEENS0_18inequality_wrapperIZN2at6native12_GLOBAL__N_124unique_dim_cuda_templateIfEESt5tupleIJNSF_6TensorESK_SK_EERKSK_lbbbEUlllE0_EEPmJS9_EEE10hipError_tPvRmT3_T4_T5_T6_T7_T9_mT8_P12ihipStream_tbDpT10_ENKUlT_T0_E_clISt17integral_constantIbLb0EES19_IbLb1EEEEDaS15_S16_EUlS15_E_NS1_11comp_targetILNS1_3genE0ELNS1_11target_archE4294967295ELNS1_3gpuE0ELNS1_3repE0EEENS1_30default_config_static_selectorELNS0_4arch9wavefront6targetE1EEEvT1_,@function
_ZN7rocprim17ROCPRIM_400000_NS6detail17trampoline_kernelINS0_14default_configENS1_25partition_config_selectorILNS1_17partition_subalgoE9EllbEEZZNS1_14partition_implILS5_9ELb0ES3_jPlS8_PNS0_10empty_typeENS0_5tupleIJS8_S9_EEENSB_IJS8_SA_EEENS0_18inequality_wrapperIZN2at6native12_GLOBAL__N_124unique_dim_cuda_templateIfEESt5tupleIJNSF_6TensorESK_SK_EERKSK_lbbbEUlllE0_EEPmJS9_EEE10hipError_tPvRmT3_T4_T5_T6_T7_T9_mT8_P12ihipStream_tbDpT10_ENKUlT_T0_E_clISt17integral_constantIbLb0EES19_IbLb1EEEEDaS15_S16_EUlS15_E_NS1_11comp_targetILNS1_3genE0ELNS1_11target_archE4294967295ELNS1_3gpuE0ELNS1_3repE0EEENS1_30default_config_static_selectorELNS0_4arch9wavefront6targetE1EEEvT1_: ; @_ZN7rocprim17ROCPRIM_400000_NS6detail17trampoline_kernelINS0_14default_configENS1_25partition_config_selectorILNS1_17partition_subalgoE9EllbEEZZNS1_14partition_implILS5_9ELb0ES3_jPlS8_PNS0_10empty_typeENS0_5tupleIJS8_S9_EEENSB_IJS8_SA_EEENS0_18inequality_wrapperIZN2at6native12_GLOBAL__N_124unique_dim_cuda_templateIfEESt5tupleIJNSF_6TensorESK_SK_EERKSK_lbbbEUlllE0_EEPmJS9_EEE10hipError_tPvRmT3_T4_T5_T6_T7_T9_mT8_P12ihipStream_tbDpT10_ENKUlT_T0_E_clISt17integral_constantIbLb0EES19_IbLb1EEEEDaS15_S16_EUlS15_E_NS1_11comp_targetILNS1_3genE0ELNS1_11target_archE4294967295ELNS1_3gpuE0ELNS1_3repE0EEENS1_30default_config_static_selectorELNS0_4arch9wavefront6targetE1EEEvT1_
; %bb.0:
	s_load_dwordx4 s[4:7], s[0:1], 0x8
	s_load_dwordx2 s[10:11], s[0:1], 0x18
	s_load_dwordx8 s[20:27], s[0:1], 0x40
	s_load_dwordx4 s[36:39], s[0:1], 0x60
	v_cmp_ne_u32_e64 s[2:3], 0, v0
	v_cmp_eq_u32_e64 s[18:19], 0, v0
	s_and_saveexec_b64 s[8:9], s[18:19]
	s_cbranch_execz .LBB985_4
; %bb.1:
	s_mov_b64 s[14:15], exec
	v_mbcnt_lo_u32_b32 v1, s14, 0
	v_mbcnt_hi_u32_b32 v1, s15, v1
	v_cmp_eq_u32_e32 vcc, 0, v1
                                        ; implicit-def: $vgpr2
	s_and_saveexec_b64 s[12:13], vcc
	s_cbranch_execz .LBB985_3
; %bb.2:
	s_load_dwordx2 s[16:17], s[0:1], 0x78
	s_bcnt1_i32_b64 s14, s[14:15]
	v_mov_b32_e32 v2, 0
	v_mov_b32_e32 v3, s14
	s_waitcnt lgkmcnt(0)
	global_atomic_add v2, v2, v3, s[16:17] sc0
.LBB985_3:
	s_or_b64 exec, exec, s[12:13]
	s_waitcnt vmcnt(0)
	v_readfirstlane_b32 s12, v2
	v_mov_b32_e32 v2, 0
	s_nop 0
	v_add_u32_e32 v1, s12, v1
	ds_write_b32 v2, v1
.LBB985_4:
	s_or_b64 exec, exec, s[8:9]
	v_mov_b32_e32 v3, 0
	s_load_dwordx4 s[28:31], s[0:1], 0x28
	s_load_dword s8, s[0:1], 0x70
	s_waitcnt lgkmcnt(0)
	s_barrier
	ds_read_b32 v1, v3
	s_waitcnt lgkmcnt(0)
	s_barrier
	global_load_dwordx2 v[4:5], v3, s[22:23]
	s_lshl_b64 s[12:13], s[6:7], 3
	s_mul_i32 s14, s8, 0x280
	s_add_u32 s16, s4, s12
	s_addc_u32 s17, s5, s13
	s_add_i32 s4, s14, s6
	s_sub_i32 s48, s24, s4
	s_add_i32 s15, s8, -1
	s_addk_i32 s48, 0x280
	s_add_u32 s4, s6, s14
	v_readfirstlane_b32 s33, v1
	s_addc_u32 s5, s7, 0
	v_mov_b64_e32 v[6:7], s[4:5]
	s_cmp_eq_u32 s33, s15
	s_mov_b32 s9, 0
	s_mul_i32 s8, s33, 0x280
	v_cmp_le_u64_e32 vcc, s[24:25], v[6:7]
	s_cselect_b64 s[24:25], -1, 0
	s_lshl_b64 s[14:15], s[8:9], 3
	s_and_b64 s[8:9], vcc, s[24:25]
	s_xor_b64 s[34:35], s[8:9], -1
	s_add_u32 s4, s16, s14
	s_mov_b64 s[0:1], -1
	v_lshlrev_b32_e32 v32, 3, v0
	s_addc_u32 s5, s17, s15
	s_and_b64 vcc, exec, s[34:35]
	s_waitcnt vmcnt(0)
	v_readfirstlane_b32 s22, v4
	v_readfirstlane_b32 s23, v5
	s_cbranch_vccz .LBB985_6
; %bb.5:
	v_lshlrev_b32_e32 v2, 3, v0
	v_lshl_add_u64 v[4:5], s[4:5], 0, v[2:3]
	v_add_co_u32_e32 v4, vcc, 0x1000, v4
	global_load_dwordx2 v[6:7], v2, s[4:5] offset:3072
	s_nop 0
	v_addc_co_u32_e32 v5, vcc, 0, v5, vcc
	global_load_dwordx2 v[8:9], v2, s[4:5]
	global_load_dwordx2 v[10:11], v2, s[4:5] offset:1024
	global_load_dwordx2 v[12:13], v2, s[4:5] offset:2048
	global_load_dwordx2 v[14:15], v[4:5], off
	s_mov_b64 s[0:1], 0
	s_waitcnt vmcnt(2)
	ds_write2st64_b64 v2, v[8:9], v[10:11] offset1:2
	s_waitcnt vmcnt(1)
	ds_write2st64_b64 v2, v[12:13], v[6:7] offset0:4 offset1:6
	s_waitcnt vmcnt(0)
	ds_write_b64 v2, v[14:15] offset:4096
	s_waitcnt lgkmcnt(0)
	s_barrier
.LBB985_6:
	s_andn2_b64 vcc, exec, s[0:1]
	v_cmp_gt_u32_e64 s[0:1], s48, v0
	s_cbranch_vccnz .LBB985_18
; %bb.7:
	v_mov_b32_e32 v2, 0
	v_mov_b32_e32 v3, v2
	;; [unrolled: 1-line block ×10, first 2 shown]
	s_and_saveexec_b64 s[16:17], s[0:1]
	s_cbranch_execz .LBB985_9
; %bb.8:
	v_lshlrev_b32_e32 v1, 3, v0
	global_load_dwordx2 v[4:5], v1, s[4:5]
	v_mov_b32_e32 v6, v2
	v_mov_b32_e32 v7, v2
	;; [unrolled: 1-line block ×8, first 2 shown]
	s_waitcnt vmcnt(0)
	v_mov_b64_e32 v[2:3], v[4:5]
	v_mov_b64_e32 v[4:5], v[6:7]
	;; [unrolled: 1-line block ×8, first 2 shown]
.LBB985_9:
	s_or_b64 exec, exec, s[16:17]
	v_or_b32_e32 v1, 0x80, v0
	v_cmp_gt_u32_e32 vcc, s48, v1
	s_and_saveexec_b64 s[0:1], vcc
	s_cbranch_execz .LBB985_11
; %bb.10:
	v_lshlrev_b32_e32 v1, 3, v0
	global_load_dwordx2 v[4:5], v1, s[4:5] offset:1024
.LBB985_11:
	s_or_b64 exec, exec, s[0:1]
	v_or_b32_e32 v1, 0x100, v0
	v_cmp_gt_u32_e32 vcc, s48, v1
	s_and_saveexec_b64 s[0:1], vcc
	s_cbranch_execz .LBB985_13
; %bb.12:
	v_lshlrev_b32_e32 v1, 3, v0
	global_load_dwordx2 v[6:7], v1, s[4:5] offset:2048
.LBB985_13:
	;; [unrolled: 9-line block ×3, first 2 shown]
	s_or_b64 exec, exec, s[0:1]
	v_or_b32_e32 v1, 0x200, v0
	v_cmp_gt_u32_e32 vcc, s48, v1
	s_and_saveexec_b64 s[0:1], vcc
	s_cbranch_execz .LBB985_17
; %bb.16:
	v_lshlrev_b32_e32 v1, 3, v1
	global_load_dwordx2 v[10:11], v1, s[4:5]
.LBB985_17:
	s_or_b64 exec, exec, s[0:1]
	v_lshlrev_b32_e32 v1, 3, v0
	s_waitcnt vmcnt(0)
	ds_write2st64_b64 v1, v[2:3], v[4:5] offset1:2
	ds_write2st64_b64 v1, v[6:7], v[8:9] offset0:4 offset1:6
	ds_write_b64 v1, v[10:11] offset:4096
	s_waitcnt lgkmcnt(0)
	s_barrier
.LBB985_18:
	v_mul_u32_u24_e32 v1, 5, v0
	v_lshlrev_b32_e32 v22, 3, v1
	ds_read2_b64 v[6:9], v22 offset1:1
	ds_read2_b64 v[2:5], v22 offset0:2 offset1:3
	ds_read_b64 v[12:13], v22 offset:32
	s_add_u32 s0, s10, s12
	s_addc_u32 s1, s11, s13
	s_add_u32 s0, s0, s14
	s_addc_u32 s1, s1, s15
	s_mov_b64 s[10:11], -1
	s_and_b64 vcc, exec, s[34:35]
	s_waitcnt lgkmcnt(0)
	s_barrier
	s_cbranch_vccz .LBB985_20
; %bb.19:
	v_lshlrev_b32_e32 v10, 3, v0
	v_mov_b32_e32 v11, 0
	v_lshl_add_u64 v[14:15], s[0:1], 0, v[10:11]
	v_add_co_u32_e32 v14, vcc, 0x1000, v14
	global_load_dwordx2 v[16:17], v10, s[0:1] offset:3072
	s_nop 0
	v_addc_co_u32_e32 v15, vcc, 0, v15, vcc
	global_load_dwordx2 v[18:19], v10, s[0:1]
	global_load_dwordx2 v[20:21], v10, s[0:1] offset:1024
	global_load_dwordx2 v[24:25], v10, s[0:1] offset:2048
	global_load_dwordx2 v[26:27], v[14:15], off
	s_mov_b64 s[10:11], 0
	s_waitcnt vmcnt(2)
	ds_write2st64_b64 v10, v[18:19], v[20:21] offset1:2
	s_waitcnt vmcnt(1)
	ds_write2st64_b64 v10, v[24:25], v[16:17] offset0:4 offset1:6
	s_waitcnt vmcnt(0)
	ds_write_b64 v10, v[26:27] offset:4096
	s_waitcnt lgkmcnt(0)
	s_barrier
.LBB985_20:
	s_andn2_b64 vcc, exec, s[10:11]
	s_cbranch_vccnz .LBB985_32
; %bb.21:
	v_cmp_gt_u32_e32 vcc, s48, v0
                                        ; implicit-def: $vgpr10_vgpr11
	s_and_saveexec_b64 s[10:11], vcc
	s_cbranch_execz .LBB985_23
; %bb.22:
	v_lshlrev_b32_e32 v10, 3, v0
	global_load_dwordx2 v[10:11], v10, s[0:1]
.LBB985_23:
	s_or_b64 exec, exec, s[10:11]
	v_or_b32_e32 v14, 0x80, v0
	v_cmp_gt_u32_e32 vcc, s48, v14
                                        ; implicit-def: $vgpr14_vgpr15
	s_and_saveexec_b64 s[10:11], vcc
	s_cbranch_execz .LBB985_25
; %bb.24:
	v_lshlrev_b32_e32 v14, 3, v0
	global_load_dwordx2 v[14:15], v14, s[0:1] offset:1024
.LBB985_25:
	s_or_b64 exec, exec, s[10:11]
	v_or_b32_e32 v16, 0x100, v0
	v_cmp_gt_u32_e32 vcc, s48, v16
                                        ; implicit-def: $vgpr16_vgpr17
	s_and_saveexec_b64 s[10:11], vcc
	s_cbranch_execz .LBB985_27
; %bb.26:
	v_lshlrev_b32_e32 v16, 3, v0
	global_load_dwordx2 v[16:17], v16, s[0:1] offset:2048
.LBB985_27:
	s_or_b64 exec, exec, s[10:11]
	v_or_b32_e32 v18, 0x180, v0
	v_cmp_gt_u32_e32 vcc, s48, v18
                                        ; implicit-def: $vgpr18_vgpr19
	s_and_saveexec_b64 s[10:11], vcc
	s_cbranch_execz .LBB985_29
; %bb.28:
	v_lshlrev_b32_e32 v18, 3, v0
	global_load_dwordx2 v[18:19], v18, s[0:1] offset:3072
.LBB985_29:
	s_or_b64 exec, exec, s[10:11]
	v_or_b32_e32 v20, 0x200, v0
	v_cmp_gt_u32_e32 vcc, s48, v20
                                        ; implicit-def: $vgpr24_vgpr25
	s_and_saveexec_b64 s[10:11], vcc
	s_cbranch_execz .LBB985_31
; %bb.30:
	v_lshlrev_b32_e32 v20, 3, v20
	global_load_dwordx2 v[24:25], v20, s[0:1]
.LBB985_31:
	s_or_b64 exec, exec, s[10:11]
	v_lshlrev_b32_e32 v20, 5, v0
	v_sub_u32_e32 v20, v22, v20
	s_waitcnt vmcnt(0)
	ds_write2st64_b64 v20, v[10:11], v[14:15] offset1:2
	ds_write2st64_b64 v20, v[16:17], v[18:19] offset0:4 offset1:6
	ds_write_b64 v20, v[24:25] offset:4096
	s_waitcnt lgkmcnt(0)
	s_barrier
.LBB985_32:
	ds_read_b64 v[10:11], v22 offset:32
	ds_read2_b64 v[52:55], v22 offset0:2 offset1:3
	ds_read2_b64 v[56:59], v22 offset1:1
	s_cmp_lg_u32 s33, 0
	s_cselect_b64 s[16:17], -1, 0
	s_cmp_lg_u64 s[6:7], 0
	s_cselect_b64 s[0:1], -1, 0
	s_or_b64 s[0:1], s[0:1], s[16:17]
	s_mov_b64 s[10:11], 0
	s_and_b64 vcc, exec, s[0:1]
	v_cmp_gt_i64_e64 s[6:7], s[26:27], 0
	s_waitcnt lgkmcnt(0)
	s_barrier
	s_cbranch_vccz .LBB985_51
; %bb.33:
	v_mov_b32_e32 v18, 0
	global_load_dwordx2 v[14:15], v18, s[4:5] offset:-8
	v_cndmask_b32_e64 v16, 0, 1, s[6:7]
	v_lshlrev_b32_e32 v23, 3, v0
	s_mov_b64 s[0:1], 0
	s_and_b64 vcc, exec, s[34:35]
	v_cmp_ne_u32_e64 s[4:5], 1, v16
	ds_write_b64 v23, v[12:13]
	s_cbranch_vccz .LBB985_53
; %bb.34:
	s_and_b64 vcc, exec, s[4:5]
	v_mov_b32_e32 v33, 0
	s_cbranch_vccnz .LBB985_44
; %bb.35:
	v_mul_lo_u32 v18, v5, s26
	v_mul_lo_u32 v19, v4, s27
	v_mad_u64_u32 v[16:17], s[0:1], v4, s26, 0
	v_add3_u32 v17, v17, v19, v18
	v_mul_lo_u32 v20, v13, s26
	v_mul_lo_u32 v21, v12, s27
	v_mad_u64_u32 v[18:19], s[0:1], v12, s26, 0
	s_add_u32 s10, s26, -1
	v_lshl_add_u64 v[16:17], v[16:17], 2, s[36:37]
	v_add3_u32 v19, v19, v21, v20
	s_addc_u32 s11, s27, -1
	v_lshl_add_u64 v[18:19], v[18:19], 2, s[36:37]
	s_mov_b64 s[12:13], 0
	s_mov_b64 s[14:15], s[10:11]
	v_mov_b64_e32 v[20:21], v[16:17]
                                        ; implicit-def: $sgpr6_sgpr7
.LBB985_36:                             ; =>This Inner Loop Header: Depth=1
	global_load_dword v24, v[20:21], off
	global_load_dword v25, v[18:19], off
	s_add_u32 s0, s14, -1
	s_addc_u32 s1, s15, -1
	s_cmp_eq_u64 s[14:15], 0
	s_mov_b64 s[14:15], s[0:1]
	s_cselect_b64 s[40:41], -1, 0
	v_lshl_add_u64 v[20:21], v[20:21], 0, 4
	v_lshl_add_u64 v[18:19], v[18:19], 0, 4
	s_waitcnt vmcnt(0)
	v_cmp_neq_f32_e64 s[0:1], v24, v25
	s_or_b64 s[0:1], s[0:1], s[40:41]
	s_and_b64 s[0:1], exec, s[0:1]
	v_cmp_eq_f32_e32 vcc, v24, v25
	s_or_b64 s[12:13], s[0:1], s[12:13]
	s_andn2_b64 s[0:1], s[6:7], exec
	s_and_b64 s[6:7], vcc, exec
	s_or_b64 s[6:7], s[0:1], s[6:7]
	s_andn2_b64 exec, exec, s[12:13]
	s_cbranch_execnz .LBB985_36
; %bb.37:
	s_or_b64 exec, exec, s[12:13]
	v_mul_lo_u32 v20, v3, s26
	v_mul_lo_u32 v21, v2, s27
	v_mad_u64_u32 v[18:19], s[0:1], v2, s26, 0
	v_add3_u32 v19, v19, v21, v20
	v_lshl_add_u64 v[18:19], v[18:19], 2, s[36:37]
	s_mov_b64 s[14:15], 0
	s_mov_b64 s[40:41], s[10:11]
	v_mov_b64_e32 v[20:21], v[18:19]
                                        ; implicit-def: $sgpr12_sgpr13
.LBB985_38:                             ; =>This Inner Loop Header: Depth=1
	global_load_dword v24, v[20:21], off
	global_load_dword v25, v[16:17], off
	s_add_u32 s0, s40, -1
	s_addc_u32 s1, s41, -1
	s_cmp_eq_u64 s[40:41], 0
	s_mov_b64 s[40:41], s[0:1]
	s_cselect_b64 s[42:43], -1, 0
	v_lshl_add_u64 v[20:21], v[20:21], 0, 4
	v_lshl_add_u64 v[16:17], v[16:17], 0, 4
	s_waitcnt vmcnt(0)
	v_cmp_neq_f32_e64 s[0:1], v24, v25
	s_or_b64 s[0:1], s[0:1], s[42:43]
	s_and_b64 s[0:1], exec, s[0:1]
	v_cmp_eq_f32_e32 vcc, v24, v25
	s_or_b64 s[14:15], s[0:1], s[14:15]
	s_andn2_b64 s[0:1], s[12:13], exec
	s_and_b64 s[12:13], vcc, exec
	s_or_b64 s[12:13], s[0:1], s[12:13]
	s_andn2_b64 exec, exec, s[14:15]
	s_cbranch_execnz .LBB985_38
; %bb.39:
	s_or_b64 exec, exec, s[14:15]
	v_mul_lo_u32 v20, v9, s26
	v_mul_lo_u32 v21, v8, s27
	v_mad_u64_u32 v[16:17], s[0:1], v8, s26, 0
	v_add3_u32 v17, v17, v21, v20
	v_lshl_add_u64 v[16:17], v[16:17], 2, s[36:37]
	s_mov_b64 s[40:41], 0
	s_mov_b64 s[42:43], s[10:11]
	v_mov_b64_e32 v[20:21], v[16:17]
                                        ; implicit-def: $sgpr14_sgpr15
.LBB985_40:                             ; =>This Inner Loop Header: Depth=1
	global_load_dword v24, v[20:21], off
	global_load_dword v25, v[18:19], off
	s_add_u32 s0, s42, -1
	s_addc_u32 s1, s43, -1
	s_cmp_eq_u64 s[42:43], 0
	s_mov_b64 s[42:43], s[0:1]
	s_cselect_b64 s[44:45], -1, 0
	v_lshl_add_u64 v[20:21], v[20:21], 0, 4
	v_lshl_add_u64 v[18:19], v[18:19], 0, 4
	s_waitcnt vmcnt(0)
	v_cmp_neq_f32_e64 s[0:1], v24, v25
	s_or_b64 s[0:1], s[0:1], s[44:45]
	s_and_b64 s[0:1], exec, s[0:1]
	v_cmp_eq_f32_e32 vcc, v24, v25
	s_or_b64 s[40:41], s[0:1], s[40:41]
	s_andn2_b64 s[0:1], s[14:15], exec
	s_and_b64 s[14:15], vcc, exec
	s_or_b64 s[14:15], s[0:1], s[14:15]
	s_andn2_b64 exec, exec, s[40:41]
	s_cbranch_execnz .LBB985_40
; %bb.41:
	s_or_b64 exec, exec, s[40:41]
	v_mul_lo_u32 v20, v7, s26
	v_mul_lo_u32 v21, v6, s27
	v_mad_u64_u32 v[18:19], s[0:1], v6, s26, 0
	v_add3_u32 v19, v19, v21, v20
	v_lshl_add_u64 v[18:19], v[18:19], 2, s[36:37]
	s_mov_b64 s[42:43], 0
                                        ; implicit-def: $sgpr40_sgpr41
.LBB985_42:                             ; =>This Inner Loop Header: Depth=1
	global_load_dword v20, v[18:19], off
	global_load_dword v21, v[16:17], off
	s_add_u32 s0, s10, -1
	s_addc_u32 s1, s11, -1
	s_cmp_eq_u64 s[10:11], 0
	s_mov_b64 s[10:11], s[0:1]
	s_cselect_b64 s[44:45], -1, 0
	v_lshl_add_u64 v[18:19], v[18:19], 0, 4
	v_lshl_add_u64 v[16:17], v[16:17], 0, 4
	s_waitcnt vmcnt(0)
	v_cmp_neq_f32_e64 s[0:1], v20, v21
	s_or_b64 s[0:1], s[0:1], s[44:45]
	s_and_b64 s[0:1], exec, s[0:1]
	v_cmp_eq_f32_e32 vcc, v20, v21
	s_or_b64 s[42:43], s[0:1], s[42:43]
	s_andn2_b64 s[0:1], s[40:41], exec
	s_and_b64 s[40:41], vcc, exec
	s_or_b64 s[40:41], s[0:1], s[40:41]
	s_andn2_b64 exec, exec, s[42:43]
	s_cbranch_execnz .LBB985_42
; %bb.43:
	s_or_b64 exec, exec, s[42:43]
	s_xor_b64 s[0:1], s[6:7], -1
	v_cndmask_b32_e64 v33, 0, 1, s[0:1]
	s_xor_b64 s[0:1], s[12:13], -1
	v_cndmask_b32_e64 v16, 0, 1, s[0:1]
	v_lshlrev_b16_e32 v16, 8, v16
	v_mov_b32_e32 v17, 8
	s_xor_b64 s[6:7], s[14:15], -1
	v_lshrrev_b32_sdwa v16, v17, v16 dst_sel:BYTE_1 dst_unused:UNUSED_PAD src0_sel:DWORD src1_sel:DWORD
	v_cndmask_b32_e64 v17, 0, 1, s[6:7]
	s_xor_b64 s[0:1], s[40:41], -1
	v_or_b32_sdwa v18, v17, v16 dst_sel:WORD_1 dst_unused:UNUSED_PAD src0_sel:DWORD src1_sel:DWORD
.LBB985_44:
	s_waitcnt vmcnt(0)
	v_mov_b64_e32 v[16:17], v[14:15]
	s_waitcnt lgkmcnt(0)
	s_barrier
	s_and_saveexec_b64 s[6:7], s[2:3]
; %bb.45:
	v_add_u32_e32 v16, -8, v23
	ds_read_b64 v[16:17], v16
; %bb.46:
	s_or_b64 exec, exec, s[6:7]
	v_cndmask_b32_e64 v19, 0, 1, s[0:1]
	v_lshrrev_b32_e32 v20, 16, v18
	s_mov_b32 s0, 0xc0c0304
	v_perm_b32 v20, v20, v18, s0
	v_lshlrev_b16_e32 v19, 8, v19
	s_movk_i32 s0, 0xff
	v_bitop3_b16 v18, v18, v19, s0 bitop3:0xec
	v_and_b32_e32 v21, 0xffff, v18
	s_mov_b64 s[6:7], 0
	s_and_b64 vcc, exec, s[4:5]
	s_mov_b64 s[0:1], 0
	s_cbranch_vccnz .LBB985_50
; %bb.47:
	s_waitcnt lgkmcnt(0)
	v_mul_lo_u32 v18, v17, s26
	v_mul_lo_u32 v19, v16, s27
	v_mad_u64_u32 v[16:17], s[0:1], v16, s26, 0
	v_add3_u32 v17, v17, v19, v18
	v_mul_lo_u32 v24, v7, s26
	v_mul_lo_u32 v25, v6, s27
	v_mad_u64_u32 v[18:19], s[0:1], v6, s26, 0
	v_add3_u32 v19, v19, v25, v24
	s_add_u32 s14, s26, -1
	v_lshl_add_u64 v[16:17], v[16:17], 2, s[36:37]
	v_lshl_add_u64 v[18:19], v[18:19], 2, s[36:37]
	s_addc_u32 s15, s27, -1
	s_mov_b64 s[10:11], 0
                                        ; implicit-def: $sgpr12_sgpr13
.LBB985_48:                             ; =>This Inner Loop Header: Depth=1
	global_load_dword v24, v[16:17], off
	global_load_dword v25, v[18:19], off
	s_add_u32 s0, s14, -1
	s_addc_u32 s1, s15, -1
	s_cmp_eq_u64 s[14:15], 0
	s_mov_b64 s[14:15], s[0:1]
	s_cselect_b64 s[40:41], -1, 0
	v_lshl_add_u64 v[16:17], v[16:17], 0, 4
	v_lshl_add_u64 v[18:19], v[18:19], 0, 4
	s_waitcnt vmcnt(0)
	v_cmp_neq_f32_e64 s[0:1], v24, v25
	s_or_b64 s[0:1], s[0:1], s[40:41]
	s_and_b64 s[0:1], exec, s[0:1]
	v_cmp_eq_f32_e32 vcc, v24, v25
	s_or_b64 s[10:11], s[0:1], s[10:11]
	s_andn2_b64 s[0:1], s[12:13], exec
	s_and_b64 s[12:13], vcc, exec
	s_or_b64 s[12:13], s[0:1], s[12:13]
	s_andn2_b64 exec, exec, s[10:11]
	s_cbranch_execnz .LBB985_48
; %bb.49:
	s_or_b64 exec, exec, s[10:11]
	s_xor_b64 s[0:1], s[12:13], -1
.LBB985_50:
	s_waitcnt lgkmcnt(0)
	v_lshl_or_b32 v17, v20, 16, v21
	s_and_b64 vcc, exec, s[6:7]
	s_cbranch_vccnz .LBB985_54
	s_branch .LBB985_87
.LBB985_51:
                                        ; implicit-def: $sgpr0_sgpr1
                                        ; implicit-def: $vgpr33
                                        ; implicit-def: $vgpr17
	s_branch .LBB985_88
.LBB985_52:
                                        ; implicit-def: $vgpr16
                                        ; implicit-def: $vgpr35
                                        ; implicit-def: $vgpr34
                                        ; implicit-def: $vgpr14
	s_branch .LBB985_141
.LBB985_53:
                                        ; implicit-def: $sgpr0_sgpr1
                                        ; implicit-def: $vgpr33
                                        ; implicit-def: $vgpr17
	s_cbranch_execz .LBB985_87
.LBB985_54:
	v_add_u32_e32 v16, 4, v1
	v_cmp_gt_u32_e32 vcc, s48, v16
	s_mov_b64 s[10:11], 0
	s_mov_b64 s[6:7], 0
	s_and_saveexec_b64 s[12:13], vcc
	s_cbranch_execz .LBB985_60
; %bb.55:
	s_and_b64 vcc, exec, s[4:5]
	s_mov_b64 s[0:1], 0
	s_cbranch_vccnz .LBB985_59
; %bb.56:
	v_mul_lo_u32 v18, v5, s26
	v_mul_lo_u32 v19, v4, s27
	v_mad_u64_u32 v[16:17], s[0:1], v4, s26, 0
	v_add3_u32 v17, v17, v19, v18
	v_mul_lo_u32 v20, v13, s26
	v_mul_lo_u32 v21, v12, s27
	v_mad_u64_u32 v[18:19], s[0:1], v12, s26, 0
	v_add3_u32 v19, v19, v21, v20
	s_add_u32 s40, s26, -1
	v_lshl_add_u64 v[16:17], v[16:17], 2, s[36:37]
	v_lshl_add_u64 v[18:19], v[18:19], 2, s[36:37]
	s_addc_u32 s41, s27, -1
                                        ; implicit-def: $sgpr14_sgpr15
.LBB985_57:                             ; =>This Inner Loop Header: Depth=1
	global_load_dword v20, v[16:17], off
	global_load_dword v21, v[18:19], off
	s_add_u32 s0, s40, -1
	s_addc_u32 s1, s41, -1
	s_cmp_eq_u64 s[40:41], 0
	s_mov_b64 s[40:41], s[0:1]
	s_cselect_b64 s[42:43], -1, 0
	v_lshl_add_u64 v[16:17], v[16:17], 0, 4
	v_lshl_add_u64 v[18:19], v[18:19], 0, 4
	s_waitcnt vmcnt(0)
	v_cmp_neq_f32_e64 s[0:1], v20, v21
	s_or_b64 s[0:1], s[0:1], s[42:43]
	s_and_b64 s[0:1], exec, s[0:1]
	v_cmp_eq_f32_e32 vcc, v20, v21
	s_or_b64 s[6:7], s[0:1], s[6:7]
	s_andn2_b64 s[0:1], s[14:15], exec
	s_and_b64 s[14:15], vcc, exec
	s_or_b64 s[14:15], s[0:1], s[14:15]
	s_andn2_b64 exec, exec, s[6:7]
	s_cbranch_execnz .LBB985_57
; %bb.58:
	s_or_b64 exec, exec, s[6:7]
	s_xor_b64 s[0:1], s[14:15], -1
.LBB985_59:
	s_and_b64 s[6:7], s[0:1], exec
.LBB985_60:
	s_or_b64 exec, exec, s[12:13]
	v_add_u32_e32 v16, 3, v1
	v_cmp_gt_u32_e32 vcc, s48, v16
	s_and_saveexec_b64 s[12:13], vcc
	s_cbranch_execz .LBB985_66
; %bb.61:
	s_and_b64 vcc, exec, s[4:5]
	s_mov_b64 s[0:1], 0
	s_cbranch_vccnz .LBB985_65
; %bb.62:
	v_mul_lo_u32 v18, v3, s26
	v_mul_lo_u32 v19, v2, s27
	v_mad_u64_u32 v[16:17], s[0:1], v2, s26, 0
	v_add3_u32 v17, v17, v19, v18
	v_mul_lo_u32 v20, v5, s26
	v_mul_lo_u32 v21, v4, s27
	v_mad_u64_u32 v[18:19], s[0:1], v4, s26, 0
	v_add3_u32 v19, v19, v21, v20
	s_add_u32 s40, s26, -1
	v_lshl_add_u64 v[16:17], v[16:17], 2, s[36:37]
	v_lshl_add_u64 v[18:19], v[18:19], 2, s[36:37]
	s_addc_u32 s41, s27, -1
	s_mov_b64 s[10:11], 0
                                        ; implicit-def: $sgpr14_sgpr15
.LBB985_63:                             ; =>This Inner Loop Header: Depth=1
	global_load_dword v20, v[16:17], off
	global_load_dword v21, v[18:19], off
	s_add_u32 s0, s40, -1
	s_addc_u32 s1, s41, -1
	s_cmp_eq_u64 s[40:41], 0
	s_mov_b64 s[40:41], s[0:1]
	s_cselect_b64 s[42:43], -1, 0
	v_lshl_add_u64 v[16:17], v[16:17], 0, 4
	v_lshl_add_u64 v[18:19], v[18:19], 0, 4
	s_waitcnt vmcnt(0)
	v_cmp_neq_f32_e64 s[0:1], v20, v21
	s_or_b64 s[0:1], s[0:1], s[42:43]
	s_and_b64 s[0:1], exec, s[0:1]
	v_cmp_eq_f32_e32 vcc, v20, v21
	s_or_b64 s[10:11], s[0:1], s[10:11]
	s_andn2_b64 s[0:1], s[14:15], exec
	s_and_b64 s[14:15], vcc, exec
	s_or_b64 s[14:15], s[0:1], s[14:15]
	s_andn2_b64 exec, exec, s[10:11]
	s_cbranch_execnz .LBB985_63
; %bb.64:
	s_or_b64 exec, exec, s[10:11]
	s_xor_b64 s[0:1], s[14:15], -1
.LBB985_65:
	s_and_b64 s[10:11], s[0:1], exec
.LBB985_66:
	s_or_b64 exec, exec, s[12:13]
	v_add_u32_e32 v16, 2, v1
	v_cmp_gt_u32_e32 vcc, s48, v16
	s_mov_b64 s[12:13], 0
	s_mov_b64 s[14:15], 0
	s_and_saveexec_b64 s[40:41], vcc
	s_cbranch_execz .LBB985_72
; %bb.67:
	s_and_b64 vcc, exec, s[4:5]
	s_mov_b64 s[0:1], 0
	s_cbranch_vccnz .LBB985_71
; %bb.68:
	v_mul_lo_u32 v18, v9, s26
	v_mul_lo_u32 v19, v8, s27
	v_mad_u64_u32 v[16:17], s[0:1], v8, s26, 0
	v_add3_u32 v17, v17, v19, v18
	v_mul_lo_u32 v20, v3, s26
	v_mul_lo_u32 v21, v2, s27
	v_mad_u64_u32 v[18:19], s[0:1], v2, s26, 0
	v_add3_u32 v19, v19, v21, v20
	s_add_u32 s44, s26, -1
	v_lshl_add_u64 v[16:17], v[16:17], 2, s[36:37]
	v_lshl_add_u64 v[18:19], v[18:19], 2, s[36:37]
	s_addc_u32 s45, s27, -1
                                        ; implicit-def: $sgpr42_sgpr43
.LBB985_69:                             ; =>This Inner Loop Header: Depth=1
	global_load_dword v20, v[16:17], off
	global_load_dword v21, v[18:19], off
	s_add_u32 s0, s44, -1
	s_addc_u32 s1, s45, -1
	s_cmp_eq_u64 s[44:45], 0
	s_mov_b64 s[44:45], s[0:1]
	s_cselect_b64 s[46:47], -1, 0
	v_lshl_add_u64 v[16:17], v[16:17], 0, 4
	v_lshl_add_u64 v[18:19], v[18:19], 0, 4
	s_waitcnt vmcnt(0)
	v_cmp_neq_f32_e64 s[0:1], v20, v21
	s_or_b64 s[0:1], s[0:1], s[46:47]
	s_and_b64 s[0:1], exec, s[0:1]
	v_cmp_eq_f32_e32 vcc, v20, v21
	s_or_b64 s[14:15], s[0:1], s[14:15]
	s_andn2_b64 s[0:1], s[42:43], exec
	s_and_b64 s[42:43], vcc, exec
	s_or_b64 s[42:43], s[0:1], s[42:43]
	s_andn2_b64 exec, exec, s[14:15]
	s_cbranch_execnz .LBB985_69
; %bb.70:
	s_or_b64 exec, exec, s[14:15]
	s_xor_b64 s[0:1], s[42:43], -1
.LBB985_71:
	s_and_b64 s[14:15], s[0:1], exec
.LBB985_72:
	s_or_b64 exec, exec, s[40:41]
	v_add_u32_e32 v16, 1, v1
	v_cmp_gt_u32_e32 vcc, s48, v16
	s_and_saveexec_b64 s[40:41], vcc
	s_cbranch_execz .LBB985_78
; %bb.73:
	s_and_b64 vcc, exec, s[4:5]
	s_mov_b64 s[0:1], 0
	s_cbranch_vccnz .LBB985_77
; %bb.74:
	v_mul_lo_u32 v18, v7, s26
	v_mul_lo_u32 v19, v6, s27
	v_mad_u64_u32 v[16:17], s[0:1], v6, s26, 0
	v_add3_u32 v17, v17, v19, v18
	v_mul_lo_u32 v20, v9, s26
	v_mul_lo_u32 v21, v8, s27
	v_mad_u64_u32 v[18:19], s[0:1], v8, s26, 0
	v_add3_u32 v19, v19, v21, v20
	s_add_u32 s44, s26, -1
	v_lshl_add_u64 v[16:17], v[16:17], 2, s[36:37]
	v_lshl_add_u64 v[18:19], v[18:19], 2, s[36:37]
	s_addc_u32 s45, s27, -1
	s_mov_b64 s[12:13], 0
                                        ; implicit-def: $sgpr42_sgpr43
.LBB985_75:                             ; =>This Inner Loop Header: Depth=1
	global_load_dword v20, v[16:17], off
	global_load_dword v21, v[18:19], off
	s_add_u32 s0, s44, -1
	s_addc_u32 s1, s45, -1
	s_cmp_eq_u64 s[44:45], 0
	s_mov_b64 s[44:45], s[0:1]
	s_cselect_b64 s[46:47], -1, 0
	v_lshl_add_u64 v[16:17], v[16:17], 0, 4
	v_lshl_add_u64 v[18:19], v[18:19], 0, 4
	s_waitcnt vmcnt(0)
	v_cmp_neq_f32_e64 s[0:1], v20, v21
	s_or_b64 s[0:1], s[0:1], s[46:47]
	s_and_b64 s[0:1], exec, s[0:1]
	v_cmp_eq_f32_e32 vcc, v20, v21
	s_or_b64 s[12:13], s[0:1], s[12:13]
	s_andn2_b64 s[0:1], s[42:43], exec
	s_and_b64 s[42:43], vcc, exec
	s_or_b64 s[42:43], s[0:1], s[42:43]
	s_andn2_b64 exec, exec, s[12:13]
	s_cbranch_execnz .LBB985_75
; %bb.76:
	s_or_b64 exec, exec, s[12:13]
	s_xor_b64 s[0:1], s[42:43], -1
.LBB985_77:
	s_and_b64 s[12:13], s[0:1], exec
.LBB985_78:
	s_or_b64 exec, exec, s[40:41]
	s_waitcnt lgkmcnt(0)
	s_barrier
	s_and_saveexec_b64 s[0:1], s[2:3]
	s_cbranch_execz .LBB985_80
; %bb.79:
	s_waitcnt vmcnt(0)
	v_add_u32_e32 v14, -8, v23
	ds_read_b64 v[14:15], v14
.LBB985_80:
	s_or_b64 exec, exec, s[0:1]
	v_cndmask_b32_e64 v17, 0, 1, s[10:11]
	v_cndmask_b32_e64 v16, 0, 1, s[14:15]
	;; [unrolled: 1-line block ×3, first 2 shown]
	v_lshlrev_b16_e32 v17, 8, v17
	v_cmp_gt_u32_e32 vcc, s48, v1
	v_lshlrev_b16_e32 v18, 8, v18
	v_or_b32_sdwa v19, v16, v17 dst_sel:WORD_1 dst_unused:UNUSED_PAD src0_sel:DWORD src1_sel:DWORD
	s_mov_b64 s[0:1], 0
	s_and_saveexec_b64 s[10:11], vcc
	s_cbranch_execz .LBB985_86
; %bb.81:
	s_and_b64 vcc, exec, s[4:5]
	s_cbranch_vccnz .LBB985_85
; %bb.82:
	s_waitcnt vmcnt(0) lgkmcnt(0)
	v_mul_lo_u32 v16, v15, s26
	v_mul_lo_u32 v17, v14, s27
	v_mad_u64_u32 v[14:15], s[0:1], v14, s26, 0
	v_add3_u32 v15, v15, v17, v16
	v_mul_lo_u32 v20, v7, s26
	v_mul_lo_u32 v21, v6, s27
	v_mad_u64_u32 v[16:17], s[0:1], v6, s26, 0
	v_add3_u32 v17, v17, v21, v20
	s_add_u32 s14, s26, -1
	v_lshl_add_u64 v[14:15], v[14:15], 2, s[36:37]
	v_lshl_add_u64 v[16:17], v[16:17], 2, s[36:37]
	s_addc_u32 s15, s27, -1
	s_mov_b64 s[4:5], 0
                                        ; implicit-def: $sgpr12_sgpr13
.LBB985_83:                             ; =>This Inner Loop Header: Depth=1
	global_load_dword v20, v[14:15], off
	global_load_dword v21, v[16:17], off
	s_add_u32 s0, s14, -1
	s_addc_u32 s1, s15, -1
	s_cmp_eq_u64 s[14:15], 0
	s_mov_b64 s[14:15], s[0:1]
	s_cselect_b64 s[40:41], -1, 0
	v_lshl_add_u64 v[14:15], v[14:15], 0, 4
	v_lshl_add_u64 v[16:17], v[16:17], 0, 4
	s_waitcnt vmcnt(0)
	v_cmp_neq_f32_e64 s[0:1], v20, v21
	s_or_b64 s[0:1], s[0:1], s[40:41]
	s_and_b64 s[0:1], exec, s[0:1]
	v_cmp_eq_f32_e32 vcc, v20, v21
	s_or_b64 s[4:5], s[0:1], s[4:5]
	s_andn2_b64 s[0:1], s[12:13], exec
	s_and_b64 s[12:13], vcc, exec
	s_or_b64 s[12:13], s[0:1], s[12:13]
	s_andn2_b64 exec, exec, s[4:5]
	s_cbranch_execnz .LBB985_83
; %bb.84:
	s_or_b64 exec, exec, s[4:5]
	s_xor_b64 s[0:1], s[12:13], -1
.LBB985_85:
	s_and_b64 s[0:1], s[0:1], exec
.LBB985_86:
	s_or_b64 exec, exec, s[10:11]
	v_cndmask_b32_e64 v33, 0, 1, s[6:7]
	v_or_b32_e32 v17, v18, v19
.LBB985_87:
	s_mov_b64 s[10:11], -1
	s_cbranch_execnz .LBB985_52
.LBB985_88:
	s_waitcnt vmcnt(0) lgkmcnt(0)
	v_lshlrev_b32_e32 v14, 5, v0
	v_sub_u32_e32 v22, v22, v14
	s_mov_b64 s[0:1], 0
	v_cmp_gt_i64_e64 s[6:7], s[26:27], 0
	s_and_b64 vcc, exec, s[34:35]
	ds_write_b64 v22, v[12:13]
	s_cbranch_vccz .LBB985_99
; %bb.89:
	v_cndmask_b32_e64 v14, 0, 1, s[6:7]
	v_cmp_ne_u32_e64 s[4:5], 1, v14
	s_andn2_b64 vcc, exec, s[6:7]
	s_cbranch_vccnz .LBB985_100
; %bb.90:
	v_mul_lo_u32 v16, v5, s26
	v_mul_lo_u32 v17, v4, s27
	v_mad_u64_u32 v[14:15], s[0:1], v4, s26, 0
	v_add3_u32 v15, v15, v17, v16
	v_mul_lo_u32 v18, v13, s26
	v_mul_lo_u32 v19, v12, s27
	v_mad_u64_u32 v[16:17], s[0:1], v12, s26, 0
	s_add_u32 s14, s26, -1
	v_lshl_add_u64 v[14:15], v[14:15], 2, s[36:37]
	v_add3_u32 v17, v17, v19, v18
	s_addc_u32 s15, s27, -1
	v_lshl_add_u64 v[16:17], v[16:17], 2, s[36:37]
	s_mov_b64 s[40:41], 0
	s_mov_b64 s[42:43], s[14:15]
	v_mov_b64_e32 v[18:19], v[14:15]
                                        ; implicit-def: $sgpr12_sgpr13
.LBB985_91:                             ; =>This Inner Loop Header: Depth=1
	global_load_dword v20, v[18:19], off
	global_load_dword v21, v[16:17], off
	s_add_u32 s0, s42, -1
	s_addc_u32 s1, s43, -1
	s_cmp_eq_u64 s[42:43], 0
	s_mov_b64 s[42:43], s[0:1]
	s_cselect_b64 s[44:45], -1, 0
	v_lshl_add_u64 v[18:19], v[18:19], 0, 4
	v_lshl_add_u64 v[16:17], v[16:17], 0, 4
	s_waitcnt vmcnt(0)
	v_cmp_neq_f32_e64 s[0:1], v20, v21
	s_or_b64 s[0:1], s[0:1], s[44:45]
	s_and_b64 s[0:1], exec, s[0:1]
	v_cmp_eq_f32_e32 vcc, v20, v21
	s_or_b64 s[40:41], s[0:1], s[40:41]
	s_andn2_b64 s[0:1], s[12:13], exec
	s_and_b64 s[12:13], vcc, exec
	s_or_b64 s[12:13], s[0:1], s[12:13]
	s_andn2_b64 exec, exec, s[40:41]
	s_cbranch_execnz .LBB985_91
; %bb.92:
	s_or_b64 exec, exec, s[40:41]
	v_mul_lo_u32 v18, v3, s26
	v_mul_lo_u32 v19, v2, s27
	v_mad_u64_u32 v[16:17], s[0:1], v2, s26, 0
	v_add3_u32 v17, v17, v19, v18
	v_lshl_add_u64 v[16:17], v[16:17], 2, s[36:37]
	s_mov_b64 s[42:43], 0
	s_mov_b64 s[44:45], s[14:15]
	v_mov_b64_e32 v[18:19], v[16:17]
                                        ; implicit-def: $sgpr40_sgpr41
.LBB985_93:                             ; =>This Inner Loop Header: Depth=1
	global_load_dword v20, v[18:19], off
	global_load_dword v21, v[14:15], off
	s_add_u32 s0, s44, -1
	s_addc_u32 s1, s45, -1
	s_cmp_eq_u64 s[44:45], 0
	s_mov_b64 s[44:45], s[0:1]
	s_cselect_b64 s[46:47], -1, 0
	v_lshl_add_u64 v[18:19], v[18:19], 0, 4
	v_lshl_add_u64 v[14:15], v[14:15], 0, 4
	s_waitcnt vmcnt(0)
	v_cmp_neq_f32_e64 s[0:1], v20, v21
	s_or_b64 s[0:1], s[0:1], s[46:47]
	s_and_b64 s[0:1], exec, s[0:1]
	v_cmp_eq_f32_e32 vcc, v20, v21
	s_or_b64 s[42:43], s[0:1], s[42:43]
	s_andn2_b64 s[0:1], s[40:41], exec
	s_and_b64 s[40:41], vcc, exec
	s_or_b64 s[40:41], s[0:1], s[40:41]
	s_andn2_b64 exec, exec, s[42:43]
	s_cbranch_execnz .LBB985_93
; %bb.94:
	s_or_b64 exec, exec, s[42:43]
	v_mul_lo_u32 v18, v9, s26
	v_mul_lo_u32 v19, v8, s27
	v_mad_u64_u32 v[14:15], s[0:1], v8, s26, 0
	v_add3_u32 v15, v15, v19, v18
	v_lshl_add_u64 v[14:15], v[14:15], 2, s[36:37]
	s_mov_b64 s[44:45], 0
	s_mov_b64 s[46:47], s[14:15]
	v_mov_b64_e32 v[18:19], v[14:15]
                                        ; implicit-def: $sgpr42_sgpr43
.LBB985_95:                             ; =>This Inner Loop Header: Depth=1
	global_load_dword v20, v[18:19], off
	global_load_dword v21, v[16:17], off
	s_add_u32 s0, s46, -1
	s_addc_u32 s1, s47, -1
	s_cmp_eq_u64 s[46:47], 0
	s_mov_b64 s[46:47], s[0:1]
	s_cselect_b64 s[50:51], -1, 0
	v_lshl_add_u64 v[18:19], v[18:19], 0, 4
	v_lshl_add_u64 v[16:17], v[16:17], 0, 4
	s_waitcnt vmcnt(0)
	v_cmp_neq_f32_e64 s[0:1], v20, v21
	s_or_b64 s[0:1], s[0:1], s[50:51]
	s_and_b64 s[0:1], exec, s[0:1]
	v_cmp_eq_f32_e32 vcc, v20, v21
	s_or_b64 s[44:45], s[0:1], s[44:45]
	s_andn2_b64 s[0:1], s[42:43], exec
	s_and_b64 s[42:43], vcc, exec
	s_or_b64 s[42:43], s[0:1], s[42:43]
	s_andn2_b64 exec, exec, s[44:45]
	s_cbranch_execnz .LBB985_95
; %bb.96:
	s_or_b64 exec, exec, s[44:45]
	v_mul_lo_u32 v18, v7, s26
	v_mul_lo_u32 v19, v6, s27
	v_mad_u64_u32 v[16:17], s[0:1], v6, s26, 0
	v_add3_u32 v17, v17, v19, v18
	v_lshl_add_u64 v[16:17], v[16:17], 2, s[36:37]
	s_mov_b64 s[46:47], 0
                                        ; implicit-def: $sgpr44_sgpr45
.LBB985_97:                             ; =>This Inner Loop Header: Depth=1
	global_load_dword v18, v[16:17], off
	global_load_dword v19, v[14:15], off
	s_add_u32 s0, s14, -1
	s_addc_u32 s1, s15, -1
	s_cmp_eq_u64 s[14:15], 0
	s_mov_b64 s[14:15], s[0:1]
	s_cselect_b64 s[50:51], -1, 0
	v_lshl_add_u64 v[16:17], v[16:17], 0, 4
	v_lshl_add_u64 v[14:15], v[14:15], 0, 4
	s_waitcnt vmcnt(0)
	v_cmp_neq_f32_e64 s[0:1], v18, v19
	s_or_b64 s[0:1], s[0:1], s[50:51]
	s_and_b64 s[0:1], exec, s[0:1]
	v_cmp_eq_f32_e32 vcc, v18, v19
	s_or_b64 s[46:47], s[0:1], s[46:47]
	s_andn2_b64 s[0:1], s[44:45], exec
	s_and_b64 s[44:45], vcc, exec
	s_or_b64 s[44:45], s[0:1], s[44:45]
	s_andn2_b64 exec, exec, s[46:47]
	s_cbranch_execnz .LBB985_97
; %bb.98:
	s_or_b64 exec, exec, s[46:47]
	s_xor_b64 s[0:1], s[12:13], -1
	v_cndmask_b32_e64 v33, 0, 1, s[0:1]
	s_xor_b64 s[0:1], s[40:41], -1
	v_cndmask_b32_e64 v14, 0, 1, s[0:1]
	v_lshlrev_b16_e32 v14, 8, v14
	v_mov_b32_e32 v15, 8
	s_xor_b64 s[12:13], s[42:43], -1
	v_lshrrev_b32_sdwa v14, v15, v14 dst_sel:BYTE_1 dst_unused:UNUSED_PAD src0_sel:DWORD src1_sel:DWORD
	v_cndmask_b32_e64 v15, 0, 1, s[12:13]
	s_xor_b64 s[0:1], s[44:45], -1
	v_or_b32_sdwa v14, v15, v14 dst_sel:WORD_1 dst_unused:UNUSED_PAD src0_sel:DWORD src1_sel:DWORD
	s_branch .LBB985_101
.LBB985_99:
                                        ; implicit-def: $sgpr0_sgpr1
                                        ; implicit-def: $vgpr33
                                        ; implicit-def: $vgpr17
                                        ; implicit-def: $vgpr16
                                        ; implicit-def: $vgpr35
                                        ; implicit-def: $vgpr34
                                        ; implicit-def: $vgpr14
	s_cbranch_execnz .LBB985_108
	s_branch .LBB985_141
.LBB985_100:
	v_mov_b32_e32 v14, 0
	v_mov_b32_e32 v33, 0
.LBB985_101:
	v_lshrrev_b32_e32 v34, 16, v14
	v_lshrrev_b32_e32 v14, 24, v14
	v_cndmask_b32_e64 v35, 0, 1, s[0:1]
	v_mov_b32_e32 v16, 1
	s_waitcnt lgkmcnt(0)
	s_barrier
                                        ; implicit-def: $sgpr0_sgpr1
                                        ; implicit-def: $vgpr17
	s_and_saveexec_b64 s[12:13], s[2:3]
	s_xor_b64 s[12:13], exec, s[12:13]
	s_cbranch_execz .LBB985_107
; %bb.102:
	v_lshlrev_b16_e32 v15, 8, v14
	s_movk_i32 s0, 0xff
	v_bitop3_b16 v15, v34, v15, s0 bitop3:0xec
	v_lshlrev_b16_e32 v17, 8, v35
	v_lshlrev_b32_e32 v15, 16, v15
	v_or_b32_e32 v17, 1, v17
	v_or_b32_sdwa v15, v17, v15 dst_sel:DWORD dst_unused:UNUSED_PAD src0_sel:WORD_0 src1_sel:DWORD
	s_mov_b32 s42, 0x3020104
	s_and_b64 vcc, exec, s[4:5]
	s_mov_b64 s[0:1], 0
	s_cbranch_vccnz .LBB985_106
; %bb.103:
	v_add_u32_e32 v17, -8, v22
	ds_read_b64 v[18:19], v17
	v_mul_lo_u32 v17, v7, s26
	v_mul_lo_u32 v23, v6, s27
	s_add_u32 s40, s26, -1
	s_addc_u32 s41, s27, -1
	s_waitcnt lgkmcnt(0)
	v_mul_lo_u32 v20, v19, s26
	v_mul_lo_u32 v21, v18, s27
	v_mad_u64_u32 v[18:19], s[0:1], v18, s26, 0
	v_add3_u32 v19, v19, v21, v20
	v_mad_u64_u32 v[20:21], s[0:1], v6, s26, 0
	v_add3_u32 v21, v21, v23, v17
	v_lshl_add_u64 v[18:19], v[18:19], 2, s[36:37]
	v_lshl_add_u64 v[20:21], v[20:21], 2, s[36:37]
	s_mov_b64 s[4:5], 0
                                        ; implicit-def: $sgpr14_sgpr15
.LBB985_104:                            ; =>This Inner Loop Header: Depth=1
	global_load_dword v17, v[18:19], off
	global_load_dword v23, v[20:21], off
	s_add_u32 s0, s40, -1
	s_addc_u32 s1, s41, -1
	s_cmp_eq_u64 s[40:41], 0
	s_mov_b64 s[40:41], s[0:1]
	s_cselect_b64 s[44:45], -1, 0
	v_lshl_add_u64 v[18:19], v[18:19], 0, 4
	v_lshl_add_u64 v[20:21], v[20:21], 0, 4
	s_waitcnt vmcnt(0)
	v_cmp_neq_f32_e64 s[0:1], v17, v23
	s_or_b64 s[0:1], s[0:1], s[44:45]
	s_and_b64 s[0:1], exec, s[0:1]
	v_cmp_eq_f32_e32 vcc, v17, v23
	s_or_b64 s[4:5], s[0:1], s[4:5]
	s_andn2_b64 s[0:1], s[14:15], exec
	s_and_b64 s[14:15], vcc, exec
	s_or_b64 s[14:15], s[0:1], s[14:15]
	s_andn2_b64 exec, exec, s[4:5]
	s_cbranch_execnz .LBB985_104
; %bb.105:
	s_or_b64 exec, exec, s[4:5]
	s_xor_b64 s[0:1], s[14:15], -1
.LBB985_106:
	v_perm_b32 v17, v15, v15, s42
	s_or_b64 s[10:11], s[10:11], exec
.LBB985_107:
	s_or_b64 exec, exec, s[12:13]
	s_branch .LBB985_141
.LBB985_108:
	v_add_u32_e32 v14, 4, v1
	v_cmp_gt_u32_e32 vcc, s48, v14
	s_mov_b64 s[4:5], 0
	s_mov_b64 s[12:13], 0
	s_and_saveexec_b64 s[14:15], vcc
	s_cbranch_execz .LBB985_114
; %bb.109:
	s_andn2_b64 vcc, exec, s[6:7]
	s_mov_b64 s[0:1], 0
	s_cbranch_vccnz .LBB985_113
; %bb.110:
	v_mul_lo_u32 v16, v5, s26
	v_mul_lo_u32 v17, v4, s27
	v_mad_u64_u32 v[14:15], s[0:1], v4, s26, 0
	v_add3_u32 v15, v15, v17, v16
	v_mul_lo_u32 v18, v13, s26
	v_mul_lo_u32 v19, v12, s27
	v_mad_u64_u32 v[16:17], s[0:1], v12, s26, 0
	v_add3_u32 v17, v17, v19, v18
	s_add_u32 s42, s26, -1
	v_lshl_add_u64 v[14:15], v[14:15], 2, s[36:37]
	v_lshl_add_u64 v[16:17], v[16:17], 2, s[36:37]
	s_addc_u32 s43, s27, -1
                                        ; implicit-def: $sgpr40_sgpr41
.LBB985_111:                            ; =>This Inner Loop Header: Depth=1
	global_load_dword v18, v[14:15], off
	global_load_dword v19, v[16:17], off
	s_add_u32 s0, s42, -1
	s_addc_u32 s1, s43, -1
	s_cmp_eq_u64 s[42:43], 0
	s_mov_b64 s[42:43], s[0:1]
	s_cselect_b64 s[44:45], -1, 0
	v_lshl_add_u64 v[14:15], v[14:15], 0, 4
	v_lshl_add_u64 v[16:17], v[16:17], 0, 4
	s_waitcnt vmcnt(0)
	v_cmp_neq_f32_e64 s[0:1], v18, v19
	s_or_b64 s[0:1], s[0:1], s[44:45]
	s_and_b64 s[0:1], exec, s[0:1]
	v_cmp_eq_f32_e32 vcc, v18, v19
	s_or_b64 s[12:13], s[0:1], s[12:13]
	s_andn2_b64 s[0:1], s[40:41], exec
	s_and_b64 s[40:41], vcc, exec
	s_or_b64 s[40:41], s[0:1], s[40:41]
	s_andn2_b64 exec, exec, s[12:13]
	s_cbranch_execnz .LBB985_111
; %bb.112:
	s_or_b64 exec, exec, s[12:13]
	s_xor_b64 s[0:1], s[40:41], -1
.LBB985_113:
	s_and_b64 s[12:13], s[0:1], exec
.LBB985_114:
	s_or_b64 exec, exec, s[14:15]
	v_add_u32_e32 v14, 3, v1
	v_cmp_gt_u32_e32 vcc, s48, v14
	s_and_saveexec_b64 s[14:15], vcc
	s_cbranch_execz .LBB985_120
; %bb.115:
	s_andn2_b64 vcc, exec, s[6:7]
	s_mov_b64 s[0:1], 0
	s_cbranch_vccnz .LBB985_119
; %bb.116:
	v_mul_lo_u32 v16, v3, s26
	v_mul_lo_u32 v17, v2, s27
	v_mad_u64_u32 v[14:15], s[0:1], v2, s26, 0
	v_add3_u32 v15, v15, v17, v16
	v_mul_lo_u32 v18, v5, s26
	v_mul_lo_u32 v19, v4, s27
	v_mad_u64_u32 v[16:17], s[0:1], v4, s26, 0
	v_add3_u32 v17, v17, v19, v18
	s_add_u32 s42, s26, -1
	v_lshl_add_u64 v[14:15], v[14:15], 2, s[36:37]
	v_lshl_add_u64 v[16:17], v[16:17], 2, s[36:37]
	s_addc_u32 s43, s27, -1
	s_mov_b64 s[4:5], 0
                                        ; implicit-def: $sgpr40_sgpr41
.LBB985_117:                            ; =>This Inner Loop Header: Depth=1
	global_load_dword v18, v[14:15], off
	global_load_dword v19, v[16:17], off
	s_add_u32 s0, s42, -1
	s_addc_u32 s1, s43, -1
	s_cmp_eq_u64 s[42:43], 0
	s_mov_b64 s[42:43], s[0:1]
	s_cselect_b64 s[44:45], -1, 0
	v_lshl_add_u64 v[14:15], v[14:15], 0, 4
	v_lshl_add_u64 v[16:17], v[16:17], 0, 4
	s_waitcnt vmcnt(0)
	v_cmp_neq_f32_e64 s[0:1], v18, v19
	s_or_b64 s[0:1], s[0:1], s[44:45]
	s_and_b64 s[0:1], exec, s[0:1]
	v_cmp_eq_f32_e32 vcc, v18, v19
	s_or_b64 s[4:5], s[0:1], s[4:5]
	s_andn2_b64 s[0:1], s[40:41], exec
	s_and_b64 s[40:41], vcc, exec
	s_or_b64 s[40:41], s[0:1], s[40:41]
	s_andn2_b64 exec, exec, s[4:5]
	s_cbranch_execnz .LBB985_117
; %bb.118:
	s_or_b64 exec, exec, s[4:5]
	s_xor_b64 s[0:1], s[40:41], -1
.LBB985_119:
	s_and_b64 s[4:5], s[0:1], exec
.LBB985_120:
	s_or_b64 exec, exec, s[14:15]
	v_add_u32_e32 v14, 2, v1
	v_cmp_gt_u32_e32 vcc, s48, v14
	s_mov_b64 s[14:15], 0
	s_mov_b64 s[40:41], 0
	s_and_saveexec_b64 s[42:43], vcc
	s_cbranch_execz .LBB985_126
; %bb.121:
	s_andn2_b64 vcc, exec, s[6:7]
	s_mov_b64 s[0:1], 0
	s_cbranch_vccnz .LBB985_125
; %bb.122:
	v_mul_lo_u32 v16, v9, s26
	v_mul_lo_u32 v17, v8, s27
	v_mad_u64_u32 v[14:15], s[0:1], v8, s26, 0
	v_add3_u32 v15, v15, v17, v16
	v_mul_lo_u32 v18, v3, s26
	v_mul_lo_u32 v19, v2, s27
	v_mad_u64_u32 v[16:17], s[0:1], v2, s26, 0
	v_add3_u32 v17, v17, v19, v18
	s_add_u32 s46, s26, -1
	v_lshl_add_u64 v[14:15], v[14:15], 2, s[36:37]
	v_lshl_add_u64 v[16:17], v[16:17], 2, s[36:37]
	s_addc_u32 s47, s27, -1
                                        ; implicit-def: $sgpr44_sgpr45
.LBB985_123:                            ; =>This Inner Loop Header: Depth=1
	global_load_dword v18, v[14:15], off
	global_load_dword v19, v[16:17], off
	s_add_u32 s0, s46, -1
	s_addc_u32 s1, s47, -1
	s_cmp_eq_u64 s[46:47], 0
	s_mov_b64 s[46:47], s[0:1]
	s_cselect_b64 s[50:51], -1, 0
	v_lshl_add_u64 v[14:15], v[14:15], 0, 4
	v_lshl_add_u64 v[16:17], v[16:17], 0, 4
	s_waitcnt vmcnt(0)
	v_cmp_neq_f32_e64 s[0:1], v18, v19
	s_or_b64 s[0:1], s[0:1], s[50:51]
	s_and_b64 s[0:1], exec, s[0:1]
	v_cmp_eq_f32_e32 vcc, v18, v19
	s_or_b64 s[40:41], s[0:1], s[40:41]
	s_andn2_b64 s[0:1], s[44:45], exec
	s_and_b64 s[44:45], vcc, exec
	s_or_b64 s[44:45], s[0:1], s[44:45]
	s_andn2_b64 exec, exec, s[40:41]
	s_cbranch_execnz .LBB985_123
; %bb.124:
	s_or_b64 exec, exec, s[40:41]
	s_xor_b64 s[0:1], s[44:45], -1
.LBB985_125:
	s_and_b64 s[40:41], s[0:1], exec
.LBB985_126:
	s_or_b64 exec, exec, s[42:43]
	v_add_u32_e32 v14, 1, v1
	v_cmp_gt_u32_e32 vcc, s48, v14
	s_and_saveexec_b64 s[42:43], vcc
	s_cbranch_execz .LBB985_132
; %bb.127:
	s_andn2_b64 vcc, exec, s[6:7]
	s_mov_b64 s[0:1], 0
	s_cbranch_vccnz .LBB985_131
; %bb.128:
	v_mul_lo_u32 v16, v7, s26
	v_mul_lo_u32 v17, v6, s27
	v_mad_u64_u32 v[14:15], s[0:1], v6, s26, 0
	v_add3_u32 v15, v15, v17, v16
	v_mul_lo_u32 v18, v9, s26
	v_mul_lo_u32 v19, v8, s27
	v_mad_u64_u32 v[16:17], s[0:1], v8, s26, 0
	v_add3_u32 v17, v17, v19, v18
	s_add_u32 s46, s26, -1
	v_lshl_add_u64 v[14:15], v[14:15], 2, s[36:37]
	v_lshl_add_u64 v[16:17], v[16:17], 2, s[36:37]
	s_addc_u32 s47, s27, -1
	s_mov_b64 s[14:15], 0
                                        ; implicit-def: $sgpr44_sgpr45
.LBB985_129:                            ; =>This Inner Loop Header: Depth=1
	global_load_dword v18, v[14:15], off
	global_load_dword v19, v[16:17], off
	s_add_u32 s0, s46, -1
	s_addc_u32 s1, s47, -1
	s_cmp_eq_u64 s[46:47], 0
	s_mov_b64 s[46:47], s[0:1]
	s_cselect_b64 s[50:51], -1, 0
	v_lshl_add_u64 v[14:15], v[14:15], 0, 4
	v_lshl_add_u64 v[16:17], v[16:17], 0, 4
	s_waitcnt vmcnt(0)
	v_cmp_neq_f32_e64 s[0:1], v18, v19
	s_or_b64 s[0:1], s[0:1], s[50:51]
	s_and_b64 s[0:1], exec, s[0:1]
	v_cmp_eq_f32_e32 vcc, v18, v19
	s_or_b64 s[14:15], s[0:1], s[14:15]
	s_andn2_b64 s[0:1], s[44:45], exec
	s_and_b64 s[44:45], vcc, exec
	s_or_b64 s[44:45], s[0:1], s[44:45]
	s_andn2_b64 exec, exec, s[14:15]
	s_cbranch_execnz .LBB985_129
; %bb.130:
	s_or_b64 exec, exec, s[14:15]
	s_xor_b64 s[0:1], s[44:45], -1
.LBB985_131:
	s_and_b64 s[14:15], s[0:1], exec
.LBB985_132:
	s_or_b64 exec, exec, s[42:43]
	v_cndmask_b32_e64 v33, 0, 1, s[12:13]
	v_cndmask_b32_e64 v34, 0, 1, s[40:41]
	;; [unrolled: 1-line block ×4, first 2 shown]
	v_mov_b32_e32 v16, 1
	s_waitcnt lgkmcnt(0)
	s_barrier
                                        ; implicit-def: $sgpr0_sgpr1
                                        ; implicit-def: $vgpr17
	s_and_saveexec_b64 s[4:5], s[2:3]
	s_cbranch_execz .LBB985_140
; %bb.133:
	v_lshlrev_b16_e32 v15, 8, v35
	v_lshlrev_b16_e32 v17, 8, v14
	v_or_b32_e32 v15, 1, v15
	v_or_b32_sdwa v17, v34, v17 dst_sel:WORD_1 dst_unused:UNUSED_PAD src0_sel:DWORD src1_sel:DWORD
	v_cmp_gt_u32_e32 vcc, s48, v1
	v_or_b32_sdwa v15, v15, v17 dst_sel:DWORD dst_unused:UNUSED_PAD src0_sel:WORD_0 src1_sel:DWORD
	s_mov_b32 s40, 0x3020104
	s_mov_b64 s[0:1], 0
	s_and_saveexec_b64 s[2:3], vcc
	s_cbranch_execz .LBB985_139
; %bb.134:
	s_andn2_b64 vcc, exec, s[6:7]
	s_cbranch_vccnz .LBB985_138
; %bb.135:
	v_add_u32_e32 v17, -8, v22
	ds_read_b64 v[18:19], v17
	v_mul_lo_u32 v17, v7, s26
	v_mul_lo_u32 v22, v6, s27
	s_add_u32 s14, s26, -1
	s_addc_u32 s15, s27, -1
	s_waitcnt lgkmcnt(0)
	v_mul_lo_u32 v20, v19, s26
	v_mul_lo_u32 v21, v18, s27
	v_mad_u64_u32 v[18:19], s[0:1], v18, s26, 0
	v_add3_u32 v19, v19, v21, v20
	v_mad_u64_u32 v[20:21], s[0:1], v6, s26, 0
	v_add3_u32 v21, v21, v22, v17
	v_lshl_add_u64 v[18:19], v[18:19], 2, s[36:37]
	v_lshl_add_u64 v[20:21], v[20:21], 2, s[36:37]
	s_mov_b64 s[6:7], 0
                                        ; implicit-def: $sgpr12_sgpr13
.LBB985_136:                            ; =>This Inner Loop Header: Depth=1
	global_load_dword v17, v[18:19], off
	global_load_dword v22, v[20:21], off
	s_add_u32 s0, s14, -1
	s_addc_u32 s1, s15, -1
	s_cmp_eq_u64 s[14:15], 0
	s_mov_b64 s[14:15], s[0:1]
	s_cselect_b64 s[26:27], -1, 0
	v_lshl_add_u64 v[18:19], v[18:19], 0, 4
	v_lshl_add_u64 v[20:21], v[20:21], 0, 4
	s_waitcnt vmcnt(0)
	v_cmp_neq_f32_e64 s[0:1], v17, v22
	s_or_b64 s[0:1], s[0:1], s[26:27]
	s_and_b64 s[0:1], exec, s[0:1]
	v_cmp_eq_f32_e32 vcc, v17, v22
	s_or_b64 s[6:7], s[0:1], s[6:7]
	s_andn2_b64 s[0:1], s[12:13], exec
	s_and_b64 s[12:13], vcc, exec
	s_or_b64 s[12:13], s[0:1], s[12:13]
	s_andn2_b64 exec, exec, s[6:7]
	s_cbranch_execnz .LBB985_136
; %bb.137:
	s_or_b64 exec, exec, s[6:7]
	s_xor_b64 s[0:1], s[12:13], -1
.LBB985_138:
	s_and_b64 s[0:1], s[0:1], exec
.LBB985_139:
	s_or_b64 exec, exec, s[2:3]
	v_perm_b32 v17, v15, v15, s40
	s_or_b64 s[10:11], s[10:11], exec
.LBB985_140:
	s_or_b64 exec, exec, s[4:5]
.LBB985_141:
	s_and_saveexec_b64 s[2:3], s[10:11]
	s_cbranch_execz .LBB985_143
; %bb.142:
	s_waitcnt vmcnt(0) lgkmcnt(0)
	v_lshrrev_b32_e32 v14, 24, v17
	v_lshrrev_b32_e32 v34, 16, v17
	;; [unrolled: 1-line block ×3, first 2 shown]
	v_cndmask_b32_e64 v16, 0, 1, s[0:1]
.LBB985_143:
	s_or_b64 exec, exec, s[2:3]
	s_andn2_b64 vcc, exec, s[8:9]
	s_cbranch_vccnz .LBB985_147
; %bb.144:
	s_mov_b32 s0, 0xc0c0004
	s_waitcnt vmcnt(0) lgkmcnt(0)
	v_perm_b32 v14, v34, v14, s0
	v_perm_b32 v15, v16, v35, s0
	v_lshlrev_b32_e32 v14, 16, v14
	v_or_b32_e32 v15, v15, v14
	v_cmp_gt_u32_e32 vcc, s48, v1
	v_add_u32_e32 v16, 1, v1
	s_mov_b32 s0, 0x40c0100
	v_cndmask_b32_e32 v14, v14, v15, vcc
	v_and_b32_e32 v14, 0xffff00ff, v14
	v_cmp_gt_u32_e32 vcc, s48, v16
	v_add_u32_e32 v16, 2, v1
	v_and_b32_e32 v33, 0xff, v33
	v_cndmask_b32_e32 v14, v14, v15, vcc
	v_lshrrev_b32_e32 v18, 24, v14
	v_perm_b32 v14, v18, v14, s0
	v_cmp_gt_u32_e32 vcc, s48, v16
	v_add_u32_e32 v16, 3, v1
	v_and_b32_e32 v17, 0xffff, v33
	v_cndmask_b32_e32 v14, v14, v15, vcc
	v_and_b32_e32 v14, 0xffffff, v14
	v_cmp_gt_u32_e32 vcc, s48, v16
	v_add_u32_e32 v1, 4, v1
	s_nop 0
	v_cndmask_b32_e32 v16, v14, v15, vcc
	v_lshrrev_b32_e32 v34, 16, v16
	v_lshrrev_b32_e32 v35, 8, v16
	v_lshrrev_b64 v[14:15], 24, v[16:17]
	v_cmp_le_u32_e32 vcc, s48, v1
	s_and_saveexec_b64 s[0:1], vcc
; %bb.145:
	v_mov_b32_e32 v33, 0
; %bb.146:
	s_or_b64 exec, exec, s[0:1]
.LBB985_147:
	v_and_b32_e32 v1, 0xff, v16
	s_waitcnt vmcnt(0) lgkmcnt(0)
	v_and_b32_e32 v15, 0xff, v35
	v_and_b32_e32 v17, 0xff, v34
	;; [unrolled: 1-line block ×4, first 2 shown]
	v_add3_u32 v19, v15, v1, v17
	v_add3_u32 v37, v19, v29, v18
	v_mbcnt_lo_u32_b32 v18, -1, 0
	v_mbcnt_hi_u32_b32 v31, -1, v18
	v_and_b32_e32 v18, 15, v31
	v_cmp_eq_u32_e64 s[14:15], 0, v18
	v_cmp_lt_u32_e64 s[12:13], 1, v18
	v_cmp_lt_u32_e64 s[10:11], 3, v18
	;; [unrolled: 1-line block ×3, first 2 shown]
	v_and_b32_e32 v18, 16, v31
	v_cmp_eq_u32_e64 s[6:7], 0, v18
	v_or_b32_e32 v18, 63, v0
	v_cmp_lt_u32_e64 s[2:3], 31, v31
	v_lshrrev_b32_e32 v36, 6, v0
	v_cmp_eq_u32_e64 s[4:5], v0, v18
	s_and_b64 vcc, exec, s[16:17]
	s_barrier
	s_cbranch_vccz .LBB985_169
; %bb.148:
	v_mov_b32_dpp v18, v37 row_shr:1 row_mask:0xf bank_mask:0xf
	v_cndmask_b32_e64 v18, v18, 0, s[14:15]
	v_add_u32_e32 v18, v18, v37
	s_nop 1
	v_mov_b32_dpp v19, v18 row_shr:2 row_mask:0xf bank_mask:0xf
	v_cndmask_b32_e64 v19, 0, v19, s[12:13]
	v_add_u32_e32 v18, v18, v19
	s_nop 1
	;; [unrolled: 4-line block ×4, first 2 shown]
	v_mov_b32_dpp v19, v18 row_bcast:15 row_mask:0xf bank_mask:0xf
	v_cndmask_b32_e64 v19, v19, 0, s[6:7]
	v_add_u32_e32 v18, v18, v19
	s_nop 1
	v_mov_b32_dpp v19, v18 row_bcast:31 row_mask:0xf bank_mask:0xf
	v_cndmask_b32_e64 v19, 0, v19, s[2:3]
	v_add_u32_e32 v18, v18, v19
	s_and_saveexec_b64 s[0:1], s[4:5]
; %bb.149:
	v_lshlrev_b32_e32 v19, 2, v36
	ds_write_b32 v19, v18
; %bb.150:
	s_or_b64 exec, exec, s[0:1]
	v_cmp_gt_u32_e32 vcc, 2, v0
	s_waitcnt lgkmcnt(0)
	s_barrier
	s_and_saveexec_b64 s[0:1], vcc
	s_cbranch_execz .LBB985_152
; %bb.151:
	v_lshlrev_b32_e32 v19, 2, v0
	ds_read_b32 v20, v19
	v_bfe_i32 v21, v31, 0, 1
	s_waitcnt lgkmcnt(0)
	v_mov_b32_dpp v22, v20 row_shr:1 row_mask:0xf bank_mask:0xf
	v_and_b32_e32 v21, v21, v22
	v_add_u32_e32 v20, v21, v20
	ds_write_b32 v19, v20
.LBB985_152:
	s_or_b64 exec, exec, s[0:1]
	v_cmp_gt_u32_e32 vcc, 64, v0
	v_cmp_lt_u32_e64 s[0:1], 63, v0
	s_waitcnt lgkmcnt(0)
	s_barrier
                                        ; implicit-def: $vgpr28
	s_and_saveexec_b64 s[16:17], s[0:1]
	s_cbranch_execz .LBB985_154
; %bb.153:
	v_lshl_add_u32 v19, v36, 2, -4
	ds_read_b32 v28, v19
	s_waitcnt lgkmcnt(0)
	v_add_u32_e32 v18, v28, v18
.LBB985_154:
	s_or_b64 exec, exec, s[16:17]
	v_subrev_co_u32_e64 v19, s[16:17], 1, v31
	v_and_b32_e32 v20, 64, v31
	v_cmp_lt_i32_e64 s[0:1], v19, v20
	s_nop 1
	v_cndmask_b32_e64 v19, v19, v31, s[0:1]
	v_lshlrev_b32_e32 v19, 2, v19
	ds_bpermute_b32 v30, v19, v18
	s_and_saveexec_b64 s[0:1], vcc
	s_cbranch_execz .LBB985_174
; %bb.155:
	v_mov_b32_e32 v25, 0
	ds_read_b32 v18, v25 offset:4
	s_and_saveexec_b64 s[26:27], s[16:17]
	s_cbranch_execz .LBB985_157
; %bb.156:
	s_add_i32 s36, s33, 64
	s_mov_b32 s37, 0
	s_lshl_b64 s[36:37], s[36:37], 3
	s_add_u32 s36, s38, s36
	v_mov_b32_e32 v19, 1
	s_addc_u32 s37, s39, s37
	s_waitcnt lgkmcnt(0)
	global_store_dwordx2 v25, v[18:19], s[36:37] sc1
.LBB985_157:
	s_or_b64 exec, exec, s[26:27]
	v_xad_u32 v20, v31, -1, s33
	v_add_u32_e32 v24, 64, v20
	v_lshl_add_u64 v[26:27], v[24:25], 3, s[38:39]
	global_load_dwordx2 v[22:23], v[26:27], off sc1
	s_waitcnt vmcnt(0)
	v_cmp_eq_u16_sdwa s[36:37], v23, v25 src0_sel:BYTE_0 src1_sel:DWORD
	s_and_saveexec_b64 s[26:27], s[36:37]
	s_cbranch_execz .LBB985_161
; %bb.158:
	s_mov_b64 s[36:37], 0
	v_mov_b32_e32 v19, 0
.LBB985_159:                            ; =>This Inner Loop Header: Depth=1
	global_load_dwordx2 v[22:23], v[26:27], off sc1
	s_waitcnt vmcnt(0)
	v_cmp_ne_u16_sdwa s[40:41], v23, v19 src0_sel:BYTE_0 src1_sel:DWORD
	s_or_b64 s[36:37], s[40:41], s[36:37]
	s_andn2_b64 exec, exec, s[36:37]
	s_cbranch_execnz .LBB985_159
; %bb.160:
	s_or_b64 exec, exec, s[36:37]
.LBB985_161:
	s_or_b64 exec, exec, s[26:27]
	v_and_b32_e32 v39, 63, v31
	v_mov_b32_e32 v38, 2
	v_cmp_ne_u32_e32 vcc, 63, v39
	v_cmp_eq_u16_sdwa s[26:27], v23, v38 src0_sel:BYTE_0 src1_sel:DWORD
	v_lshlrev_b64 v[24:25], v31, -1
	v_addc_co_u32_e32 v26, vcc, 0, v31, vcc
	v_and_b32_e32 v19, s27, v25
	v_lshlrev_b32_e32 v40, 2, v26
	v_or_b32_e32 v19, 0x80000000, v19
	ds_bpermute_b32 v26, v40, v22
	v_and_b32_e32 v21, s26, v24
	v_ffbl_b32_e32 v19, v19
	v_add_u32_e32 v19, 32, v19
	v_ffbl_b32_e32 v21, v21
	v_min_u32_e32 v19, v21, v19
	v_cmp_lt_u32_e32 vcc, v39, v19
	v_add_u32_e32 v42, 2, v39
	v_add_u32_e32 v44, 4, v39
	s_waitcnt lgkmcnt(0)
	v_cndmask_b32_e32 v21, 0, v26, vcc
	v_cmp_gt_u32_e32 vcc, 62, v39
	v_add_u32_e32 v21, v21, v22
	v_add_u32_e32 v46, 8, v39
	v_cndmask_b32_e64 v22, 0, 2, vcc
	v_add_lshl_u32 v41, v22, v31, 2
	ds_bpermute_b32 v22, v41, v21
	v_cmp_le_u32_e32 vcc, v42, v19
	v_add_u32_e32 v48, 16, v39
	v_add_u32_e32 v50, 32, v39
	s_waitcnt lgkmcnt(0)
	v_cndmask_b32_e32 v22, 0, v22, vcc
	v_cmp_gt_u32_e32 vcc, 60, v39
	v_add_u32_e32 v21, v21, v22
	s_nop 0
	v_cndmask_b32_e64 v22, 0, 4, vcc
	v_add_lshl_u32 v43, v22, v31, 2
	ds_bpermute_b32 v22, v43, v21
	v_cmp_le_u32_e32 vcc, v44, v19
	s_waitcnt lgkmcnt(0)
	s_nop 0
	v_cndmask_b32_e32 v22, 0, v22, vcc
	v_cmp_gt_u32_e32 vcc, 56, v39
	v_add_u32_e32 v21, v21, v22
	s_nop 0
	v_cndmask_b32_e64 v22, 0, 8, vcc
	v_add_lshl_u32 v45, v22, v31, 2
	ds_bpermute_b32 v22, v45, v21
	v_cmp_le_u32_e32 vcc, v46, v19
	s_waitcnt lgkmcnt(0)
	s_nop 0
	;; [unrolled: 10-line block ×3, first 2 shown]
	v_cndmask_b32_e32 v22, 0, v22, vcc
	v_add_u32_e32 v21, v21, v22
	v_mov_b32_e32 v22, 0x80
	v_lshl_or_b32 v49, v31, 2, v22
	ds_bpermute_b32 v22, v49, v21
	v_cmp_le_u32_e32 vcc, v50, v19
	s_waitcnt lgkmcnt(0)
	s_nop 0
	v_cndmask_b32_e32 v19, 0, v22, vcc
	v_add_u32_e32 v22, v21, v19
	v_mov_b32_e32 v21, 0
	s_branch .LBB985_164
.LBB985_162:                            ;   in Loop: Header=BB985_164 Depth=1
	s_or_b64 exec, exec, s[26:27]
	v_cmp_eq_u16_sdwa s[26:27], v23, v38 src0_sel:BYTE_0 src1_sel:DWORD
	ds_bpermute_b32 v51, v40, v22
	v_subrev_u32_e32 v20, 64, v20
	v_and_b32_e32 v26, s27, v25
	v_or_b32_e32 v26, 0x80000000, v26
	v_and_b32_e32 v27, s26, v24
	v_ffbl_b32_e32 v26, v26
	v_add_u32_e32 v26, 32, v26
	v_ffbl_b32_e32 v27, v27
	v_min_u32_e32 v26, v27, v26
	v_cmp_lt_u32_e32 vcc, v39, v26
	s_mov_b64 s[26:27], 0
	s_waitcnt lgkmcnt(0)
	v_cndmask_b32_e32 v27, 0, v51, vcc
	v_add_u32_e32 v22, v27, v22
	ds_bpermute_b32 v27, v41, v22
	v_cmp_le_u32_e32 vcc, v42, v26
	s_waitcnt lgkmcnt(0)
	s_nop 0
	v_cndmask_b32_e32 v27, 0, v27, vcc
	v_add_u32_e32 v22, v22, v27
	ds_bpermute_b32 v27, v43, v22
	v_cmp_le_u32_e32 vcc, v44, v26
	s_waitcnt lgkmcnt(0)
	s_nop 0
	;; [unrolled: 6-line block ×5, first 2 shown]
	v_cndmask_b32_e32 v26, 0, v27, vcc
	v_add3_u32 v22, v26, v19, v22
.LBB985_163:                            ;   in Loop: Header=BB985_164 Depth=1
	s_and_b64 vcc, exec, s[26:27]
	s_cbranch_vccnz .LBB985_170
.LBB985_164:                            ; =>This Loop Header: Depth=1
                                        ;     Child Loop BB985_167 Depth 2
	v_cmp_ne_u16_sdwa s[26:27], v23, v38 src0_sel:BYTE_0 src1_sel:DWORD
	v_mov_b32_e32 v19, v22
	s_cmp_lg_u64 s[26:27], exec
	s_mov_b64 s[26:27], -1
                                        ; implicit-def: $vgpr22
                                        ; implicit-def: $vgpr23
	s_cbranch_scc1 .LBB985_163
; %bb.165:                              ;   in Loop: Header=BB985_164 Depth=1
	v_lshl_add_u64 v[26:27], v[20:21], 3, s[38:39]
	global_load_dwordx2 v[22:23], v[26:27], off sc1
	s_waitcnt vmcnt(0)
	v_cmp_eq_u16_sdwa s[36:37], v23, v21 src0_sel:BYTE_0 src1_sel:DWORD
	s_and_saveexec_b64 s[26:27], s[36:37]
	s_cbranch_execz .LBB985_162
; %bb.166:                              ;   in Loop: Header=BB985_164 Depth=1
	s_mov_b64 s[36:37], 0
.LBB985_167:                            ;   Parent Loop BB985_164 Depth=1
                                        ; =>  This Inner Loop Header: Depth=2
	global_load_dwordx2 v[22:23], v[26:27], off sc1
	s_waitcnt vmcnt(0)
	v_cmp_ne_u16_sdwa s[40:41], v23, v21 src0_sel:BYTE_0 src1_sel:DWORD
	s_or_b64 s[36:37], s[40:41], s[36:37]
	s_andn2_b64 exec, exec, s[36:37]
	s_cbranch_execnz .LBB985_167
; %bb.168:                              ;   in Loop: Header=BB985_164 Depth=1
	s_or_b64 exec, exec, s[36:37]
	s_branch .LBB985_162
.LBB985_169:
                                        ; implicit-def: $vgpr22
                                        ; implicit-def: $vgpr24
                                        ; implicit-def: $vgpr26
                                        ; implicit-def: $vgpr28
                                        ; implicit-def: $vgpr30
                                        ; implicit-def: $vgpr20
                                        ; implicit-def: $vgpr18
	s_cbranch_execnz .LBB985_175
	s_branch .LBB985_184
.LBB985_170:
	s_and_saveexec_b64 s[26:27], s[16:17]
	s_cbranch_execz .LBB985_172
; %bb.171:
	s_add_i32 s36, s33, 64
	s_mov_b32 s37, 0
	s_lshl_b64 s[36:37], s[36:37], 3
	s_add_u32 s36, s38, s36
	v_add_u32_e32 v20, v19, v18
	v_mov_b32_e32 v21, 2
	s_addc_u32 s37, s39, s37
	v_mov_b32_e32 v22, 0
	global_store_dwordx2 v22, v[20:21], s[36:37] sc1
	ds_write_b64 v22, v[18:19] offset:5120
.LBB985_172:
	s_or_b64 exec, exec, s[26:27]
	s_and_b64 exec, exec, s[18:19]
; %bb.173:
	v_mov_b32_e32 v18, 0
	ds_write_b32 v18, v19 offset:4
.LBB985_174:
	s_or_b64 exec, exec, s[0:1]
	v_mov_b32_e32 v18, 0
	s_waitcnt lgkmcnt(0)
	s_barrier
	ds_read_b32 v19, v18 offset:4
	v_cndmask_b32_e64 v20, v30, v28, s[16:17]
	v_cndmask_b32_e64 v20, v20, 0, s[18:19]
	s_waitcnt lgkmcnt(0)
	s_barrier
	v_add_u32_e32 v30, v19, v20
	ds_read_b64 v[18:19], v18 offset:5120
	v_add_u32_e32 v28, v30, v1
	v_add_u32_e32 v26, v28, v15
	;; [unrolled: 1-line block ×4, first 2 shown]
	s_waitcnt lgkmcnt(0)
	v_mov_b32_e32 v20, v19
	s_branch .LBB985_184
.LBB985_175:
	v_mov_b32_dpp v18, v37 row_shr:1 row_mask:0xf bank_mask:0xf
	v_cndmask_b32_e64 v18, v18, 0, s[14:15]
	v_add_u32_e32 v18, v18, v37
	s_nop 1
	v_mov_b32_dpp v19, v18 row_shr:2 row_mask:0xf bank_mask:0xf
	v_cndmask_b32_e64 v19, 0, v19, s[12:13]
	v_add_u32_e32 v18, v18, v19
	s_nop 1
	;; [unrolled: 4-line block ×4, first 2 shown]
	v_mov_b32_dpp v19, v18 row_bcast:15 row_mask:0xf bank_mask:0xf
	v_cndmask_b32_e64 v19, v19, 0, s[6:7]
	v_add_u32_e32 v18, v18, v19
	s_nop 1
	v_mov_b32_dpp v19, v18 row_bcast:31 row_mask:0xf bank_mask:0xf
	v_cndmask_b32_e64 v19, 0, v19, s[2:3]
	v_add_u32_e32 v18, v18, v19
	s_and_saveexec_b64 s[0:1], s[4:5]
; %bb.176:
	v_lshlrev_b32_e32 v19, 2, v36
	ds_write_b32 v19, v18
; %bb.177:
	s_or_b64 exec, exec, s[0:1]
	v_cmp_gt_u32_e32 vcc, 2, v0
	s_waitcnt lgkmcnt(0)
	s_barrier
	s_and_saveexec_b64 s[0:1], vcc
	s_cbranch_execz .LBB985_179
; %bb.178:
	v_lshlrev_b32_e32 v19, 2, v0
	ds_read_b32 v20, v19
	v_bfe_i32 v21, v31, 0, 1
	s_waitcnt lgkmcnt(0)
	v_mov_b32_dpp v22, v20 row_shr:1 row_mask:0xf bank_mask:0xf
	v_and_b32_e32 v21, v21, v22
	v_add_u32_e32 v20, v21, v20
	ds_write_b32 v19, v20
.LBB985_179:
	s_or_b64 exec, exec, s[0:1]
	v_cmp_lt_u32_e32 vcc, 63, v0
	v_mov_b32_e32 v19, 0
	v_mov_b32_e32 v20, 0
	s_waitcnt lgkmcnt(0)
	s_barrier
	s_and_saveexec_b64 s[0:1], vcc
; %bb.180:
	v_lshl_add_u32 v20, v36, 2, -4
	ds_read_b32 v20, v20
; %bb.181:
	s_or_b64 exec, exec, s[0:1]
	v_subrev_co_u32_e32 v21, vcc, 1, v31
	v_and_b32_e32 v22, 64, v31
	v_cmp_lt_i32_e64 s[0:1], v21, v22
	s_waitcnt lgkmcnt(0)
	v_add_u32_e32 v18, v20, v18
	v_cndmask_b32_e64 v21, v21, v31, s[0:1]
	v_lshlrev_b32_e32 v21, 2, v21
	ds_bpermute_b32 v21, v21, v18
	ds_read_b32 v18, v19 offset:4
	s_and_saveexec_b64 s[0:1], s[18:19]
	s_cbranch_execz .LBB985_183
; %bb.182:
	v_mov_b32_e32 v22, 0
	v_mov_b32_e32 v19, 2
	s_waitcnt lgkmcnt(0)
	global_store_dwordx2 v22, v[18:19], s[38:39] offset:512 sc1
.LBB985_183:
	s_or_b64 exec, exec, s[0:1]
	s_waitcnt lgkmcnt(1)
	v_cndmask_b32_e32 v19, v21, v20, vcc
	v_cndmask_b32_e64 v30, v19, 0, s[18:19]
	v_add_u32_e32 v28, v30, v1
	v_add_u32_e32 v26, v28, v15
	;; [unrolled: 1-line block ×4, first 2 shown]
	s_waitcnt lgkmcnt(0)
	s_barrier
	v_mov_b32_e32 v20, 0
.LBB985_184:
	s_movk_i32 s0, 0x81
	v_cmp_gt_u32_e64 s[2:3], s0, v18
	v_add_u32_e32 v15, v20, v18
	v_and_b32_e32 v1, 1, v16
	s_mov_b64 s[6:7], -1
	s_and_b64 vcc, exec, s[2:3]
	v_cmp_lt_u32_e64 s[0:1], v30, v15
	v_cmp_eq_u32_e64 s[4:5], 1, v1
	s_cbranch_vccz .LBB985_196
; %bb.185:
	s_or_b64 s[0:1], s[34:35], s[0:1]
	s_and_b64 s[4:5], s[0:1], s[4:5]
	s_and_saveexec_b64 s[0:1], s[4:5]
	s_cbranch_execz .LBB985_187
; %bb.186:
	s_lshl_b64 s[4:5], s[22:23], 3
	s_add_u32 s4, s28, s4
	s_addc_u32 s5, s29, s5
	v_mov_b32_e32 v31, 0
	v_lshl_add_u64 v[16:17], v[30:31], 3, s[4:5]
	global_store_dwordx2 v[16:17], v[6:7], off
.LBB985_187:
	s_or_b64 exec, exec, s[0:1]
	v_cmp_lt_u32_e32 vcc, v28, v15
	v_and_b32_e32 v16, 1, v35
	s_or_b64 s[0:1], s[34:35], vcc
	v_cmp_eq_u32_e32 vcc, 1, v16
	s_and_b64 s[4:5], s[0:1], vcc
	s_and_saveexec_b64 s[0:1], s[4:5]
	s_cbranch_execz .LBB985_189
; %bb.188:
	s_lshl_b64 s[4:5], s[22:23], 3
	s_add_u32 s4, s28, s4
	s_addc_u32 s5, s29, s5
	v_mov_b32_e32 v29, 0
	v_lshl_add_u64 v[16:17], v[28:29], 3, s[4:5]
	global_store_dwordx2 v[16:17], v[8:9], off
.LBB985_189:
	s_or_b64 exec, exec, s[0:1]
	v_cmp_lt_u32_e32 vcc, v26, v15
	v_and_b32_e32 v16, 1, v34
	s_or_b64 s[0:1], s[34:35], vcc
	v_cmp_eq_u32_e32 vcc, 1, v16
	s_and_b64 s[4:5], s[0:1], vcc
	;; [unrolled: 16-line block ×4, first 2 shown]
	s_and_saveexec_b64 s[0:1], s[4:5]
	s_cbranch_execz .LBB985_195
; %bb.194:
	s_lshl_b64 s[4:5], s[22:23], 3
	s_add_u32 s4, s28, s4
	s_addc_u32 s5, s29, s5
	v_mov_b32_e32 v23, 0
	v_lshl_add_u64 v[16:17], v[22:23], 3, s[4:5]
	global_store_dwordx2 v[16:17], v[12:13], off
.LBB985_195:
	s_or_b64 exec, exec, s[0:1]
	s_mov_b64 s[6:7], 0
.LBB985_196:
	s_and_b64 vcc, exec, s[6:7]
	s_cbranch_vccz .LBB985_210
; %bb.197:
	v_cmp_eq_u32_e32 vcc, 1, v1
	s_and_saveexec_b64 s[0:1], vcc
; %bb.198:
	v_sub_u32_e32 v16, v30, v20
	v_lshlrev_b32_e32 v16, 3, v16
	ds_write_b64 v16, v[6:7]
; %bb.199:
	s_or_b64 exec, exec, s[0:1]
	v_and_b32_e32 v6, 1, v35
	v_cmp_eq_u32_e32 vcc, 1, v6
	s_and_saveexec_b64 s[0:1], vcc
; %bb.200:
	v_sub_u32_e32 v6, v28, v20
	v_lshlrev_b32_e32 v6, 3, v6
	ds_write_b64 v6, v[8:9]
; %bb.201:
	s_or_b64 exec, exec, s[0:1]
	v_and_b32_e32 v6, 1, v34
	v_cmp_eq_u32_e32 vcc, 1, v6
	s_and_saveexec_b64 s[0:1], vcc
; %bb.202:
	v_sub_u32_e32 v6, v26, v20
	v_lshlrev_b32_e32 v6, 3, v6
	ds_write_b64 v6, v[2:3]
; %bb.203:
	s_or_b64 exec, exec, s[0:1]
	v_and_b32_e32 v2, 1, v14
	v_cmp_eq_u32_e32 vcc, 1, v2
	s_and_saveexec_b64 s[0:1], vcc
; %bb.204:
	v_sub_u32_e32 v2, v24, v20
	v_lshlrev_b32_e32 v2, 3, v2
	ds_write_b64 v2, v[4:5]
; %bb.205:
	s_or_b64 exec, exec, s[0:1]
	v_and_b32_e32 v2, 1, v33
	v_cmp_eq_u32_e32 vcc, 1, v2
	s_and_saveexec_b64 s[0:1], vcc
; %bb.206:
	v_sub_u32_e32 v2, v22, v20
	v_lshlrev_b32_e32 v2, 3, v2
	ds_write_b64 v2, v[12:13]
; %bb.207:
	s_or_b64 exec, exec, s[0:1]
	v_mov_b32_e32 v3, 0
	v_mov_b32_e32 v21, v3
	v_lshlrev_b64 v[4:5], 3, v[20:21]
	v_lshl_add_u64 v[4:5], s[28:29], 0, v[4:5]
	s_lshl_b64 s[0:1], s[22:23], 3
	v_lshl_add_u64 v[4:5], v[4:5], 0, s[0:1]
	v_lshlrev_b32_e32 v6, 3, v0
	s_mov_b64 s[0:1], 0
	v_mov_b32_e32 v2, v0
	s_waitcnt lgkmcnt(0)
	s_barrier
.LBB985_208:                            ; =>This Inner Loop Header: Depth=1
	ds_read_b64 v[8:9], v6
	v_lshl_add_u64 v[12:13], v[2:3], 3, v[4:5]
	v_add_u32_e32 v2, 0x80, v2
	v_cmp_ge_u32_e32 vcc, v2, v18
	v_add_u32_e32 v6, 0x400, v6
	s_or_b64 s[0:1], vcc, s[0:1]
	s_waitcnt lgkmcnt(0)
	global_store_dwordx2 v[12:13], v[8:9], off
	s_andn2_b64 exec, exec, s[0:1]
	s_cbranch_execnz .LBB985_208
; %bb.209:
	s_or_b64 exec, exec, s[0:1]
.LBB985_210:
	s_mov_b64 s[0:1], -1
	s_and_b64 vcc, exec, s[2:3]
	s_barrier
	s_cbranch_vccnz .LBB985_214
; %bb.211:
	s_and_b64 vcc, exec, s[0:1]
	s_cbranch_vccnz .LBB985_225
.LBB985_212:
	s_and_b64 s[0:1], s[18:19], s[24:25]
	s_and_saveexec_b64 s[2:3], s[0:1]
	s_cbranch_execnz .LBB985_238
.LBB985_213:
	s_endpgm
.LBB985_214:
	v_cmp_lt_u32_e32 vcc, v30, v15
	s_or_b64 s[0:1], s[34:35], vcc
	v_cmp_eq_u32_e32 vcc, 1, v1
	s_and_b64 s[2:3], s[0:1], vcc
	s_and_saveexec_b64 s[0:1], s[2:3]
	s_cbranch_execz .LBB985_216
; %bb.215:
	s_lshl_b64 s[2:3], s[22:23], 3
	s_add_u32 s2, s30, s2
	s_addc_u32 s3, s31, s3
	v_mov_b32_e32 v31, 0
	v_lshl_add_u64 v[2:3], v[30:31], 3, s[2:3]
	global_store_dwordx2 v[2:3], v[56:57], off
.LBB985_216:
	s_or_b64 exec, exec, s[0:1]
	v_cmp_lt_u32_e32 vcc, v28, v15
	v_and_b32_e32 v2, 1, v35
	s_or_b64 s[0:1], s[34:35], vcc
	v_cmp_eq_u32_e32 vcc, 1, v2
	s_and_b64 s[2:3], s[0:1], vcc
	s_and_saveexec_b64 s[0:1], s[2:3]
	s_cbranch_execz .LBB985_218
; %bb.217:
	s_lshl_b64 s[2:3], s[22:23], 3
	s_add_u32 s2, s30, s2
	s_addc_u32 s3, s31, s3
	v_mov_b32_e32 v29, 0
	v_lshl_add_u64 v[2:3], v[28:29], 3, s[2:3]
	global_store_dwordx2 v[2:3], v[58:59], off
.LBB985_218:
	s_or_b64 exec, exec, s[0:1]
	v_cmp_lt_u32_e32 vcc, v26, v15
	v_and_b32_e32 v2, 1, v34
	;; [unrolled: 16-line block ×4, first 2 shown]
	s_or_b64 s[0:1], s[34:35], vcc
	v_cmp_eq_u32_e32 vcc, 1, v2
	s_and_b64 s[2:3], s[0:1], vcc
	s_and_saveexec_b64 s[0:1], s[2:3]
	s_cbranch_execz .LBB985_224
; %bb.223:
	s_lshl_b64 s[2:3], s[22:23], 3
	s_add_u32 s2, s30, s2
	s_addc_u32 s3, s31, s3
	v_mov_b32_e32 v23, 0
	v_lshl_add_u64 v[2:3], v[22:23], 3, s[2:3]
	global_store_dwordx2 v[2:3], v[10:11], off
.LBB985_224:
	s_or_b64 exec, exec, s[0:1]
	s_branch .LBB985_212
.LBB985_225:
	v_cmp_eq_u32_e32 vcc, 1, v1
	s_and_saveexec_b64 s[0:1], vcc
; %bb.226:
	v_sub_u32_e32 v1, v30, v20
	v_lshlrev_b32_e32 v1, 3, v1
	ds_write_b64 v1, v[56:57]
; %bb.227:
	s_or_b64 exec, exec, s[0:1]
	v_and_b32_e32 v1, 1, v35
	v_cmp_eq_u32_e32 vcc, 1, v1
	s_and_saveexec_b64 s[0:1], vcc
; %bb.228:
	v_sub_u32_e32 v1, v28, v20
	v_lshlrev_b32_e32 v1, 3, v1
	ds_write_b64 v1, v[58:59]
; %bb.229:
	s_or_b64 exec, exec, s[0:1]
	v_and_b32_e32 v1, 1, v34
	;; [unrolled: 9-line block ×4, first 2 shown]
	v_cmp_eq_u32_e32 vcc, 1, v1
	s_and_saveexec_b64 s[0:1], vcc
; %bb.234:
	v_sub_u32_e32 v1, v22, v20
	v_lshlrev_b32_e32 v1, 3, v1
	ds_write_b64 v1, v[10:11]
; %bb.235:
	s_or_b64 exec, exec, s[0:1]
	v_mov_b32_e32 v1, 0
	v_mov_b32_e32 v21, v1
	v_lshlrev_b64 v[2:3], 3, v[20:21]
	v_lshl_add_u64 v[2:3], s[30:31], 0, v[2:3]
	s_lshl_b64 s[0:1], s[22:23], 3
	v_lshl_add_u64 v[2:3], v[2:3], 0, s[0:1]
	s_mov_b64 s[0:1], 0
	s_waitcnt lgkmcnt(0)
	s_barrier
.LBB985_236:                            ; =>This Inner Loop Header: Depth=1
	ds_read_b64 v[4:5], v32
	v_lshl_add_u64 v[6:7], v[0:1], 3, v[2:3]
	v_add_u32_e32 v0, 0x80, v0
	v_cmp_ge_u32_e32 vcc, v0, v18
	v_add_u32_e32 v32, 0x400, v32
	s_or_b64 s[0:1], vcc, s[0:1]
	s_waitcnt lgkmcnt(0)
	global_store_dwordx2 v[6:7], v[4:5], off
	s_andn2_b64 exec, exec, s[0:1]
	s_cbranch_execnz .LBB985_236
; %bb.237:
	s_or_b64 exec, exec, s[0:1]
	s_and_b64 s[0:1], s[18:19], s[24:25]
	s_and_saveexec_b64 s[2:3], s[0:1]
	s_cbranch_execz .LBB985_213
.LBB985_238:
	v_mov_b32_e32 v19, 0
	v_lshl_add_u64 v[0:1], s[22:23], 0, v[18:19]
	v_mov_b32_e32 v21, v19
	v_lshl_add_u64 v[0:1], v[0:1], 0, v[20:21]
	global_store_dwordx2 v19, v[0:1], s[20:21]
	s_endpgm
	.section	.rodata,"a",@progbits
	.p2align	6, 0x0
	.amdhsa_kernel _ZN7rocprim17ROCPRIM_400000_NS6detail17trampoline_kernelINS0_14default_configENS1_25partition_config_selectorILNS1_17partition_subalgoE9EllbEEZZNS1_14partition_implILS5_9ELb0ES3_jPlS8_PNS0_10empty_typeENS0_5tupleIJS8_S9_EEENSB_IJS8_SA_EEENS0_18inequality_wrapperIZN2at6native12_GLOBAL__N_124unique_dim_cuda_templateIfEESt5tupleIJNSF_6TensorESK_SK_EERKSK_lbbbEUlllE0_EEPmJS9_EEE10hipError_tPvRmT3_T4_T5_T6_T7_T9_mT8_P12ihipStream_tbDpT10_ENKUlT_T0_E_clISt17integral_constantIbLb0EES19_IbLb1EEEEDaS15_S16_EUlS15_E_NS1_11comp_targetILNS1_3genE0ELNS1_11target_archE4294967295ELNS1_3gpuE0ELNS1_3repE0EEENS1_30default_config_static_selectorELNS0_4arch9wavefront6targetE1EEEvT1_
		.amdhsa_group_segment_fixed_size 5128
		.amdhsa_private_segment_fixed_size 0
		.amdhsa_kernarg_size 136
		.amdhsa_user_sgpr_count 2
		.amdhsa_user_sgpr_dispatch_ptr 0
		.amdhsa_user_sgpr_queue_ptr 0
		.amdhsa_user_sgpr_kernarg_segment_ptr 1
		.amdhsa_user_sgpr_dispatch_id 0
		.amdhsa_user_sgpr_kernarg_preload_length 0
		.amdhsa_user_sgpr_kernarg_preload_offset 0
		.amdhsa_user_sgpr_private_segment_size 0
		.amdhsa_uses_dynamic_stack 0
		.amdhsa_enable_private_segment 0
		.amdhsa_system_sgpr_workgroup_id_x 1
		.amdhsa_system_sgpr_workgroup_id_y 0
		.amdhsa_system_sgpr_workgroup_id_z 0
		.amdhsa_system_sgpr_workgroup_info 0
		.amdhsa_system_vgpr_workitem_id 0
		.amdhsa_next_free_vgpr 60
		.amdhsa_next_free_sgpr 52
		.amdhsa_accum_offset 60
		.amdhsa_reserve_vcc 1
		.amdhsa_float_round_mode_32 0
		.amdhsa_float_round_mode_16_64 0
		.amdhsa_float_denorm_mode_32 3
		.amdhsa_float_denorm_mode_16_64 3
		.amdhsa_dx10_clamp 1
		.amdhsa_ieee_mode 1
		.amdhsa_fp16_overflow 0
		.amdhsa_tg_split 0
		.amdhsa_exception_fp_ieee_invalid_op 0
		.amdhsa_exception_fp_denorm_src 0
		.amdhsa_exception_fp_ieee_div_zero 0
		.amdhsa_exception_fp_ieee_overflow 0
		.amdhsa_exception_fp_ieee_underflow 0
		.amdhsa_exception_fp_ieee_inexact 0
		.amdhsa_exception_int_div_zero 0
	.end_amdhsa_kernel
	.section	.text._ZN7rocprim17ROCPRIM_400000_NS6detail17trampoline_kernelINS0_14default_configENS1_25partition_config_selectorILNS1_17partition_subalgoE9EllbEEZZNS1_14partition_implILS5_9ELb0ES3_jPlS8_PNS0_10empty_typeENS0_5tupleIJS8_S9_EEENSB_IJS8_SA_EEENS0_18inequality_wrapperIZN2at6native12_GLOBAL__N_124unique_dim_cuda_templateIfEESt5tupleIJNSF_6TensorESK_SK_EERKSK_lbbbEUlllE0_EEPmJS9_EEE10hipError_tPvRmT3_T4_T5_T6_T7_T9_mT8_P12ihipStream_tbDpT10_ENKUlT_T0_E_clISt17integral_constantIbLb0EES19_IbLb1EEEEDaS15_S16_EUlS15_E_NS1_11comp_targetILNS1_3genE0ELNS1_11target_archE4294967295ELNS1_3gpuE0ELNS1_3repE0EEENS1_30default_config_static_selectorELNS0_4arch9wavefront6targetE1EEEvT1_,"axG",@progbits,_ZN7rocprim17ROCPRIM_400000_NS6detail17trampoline_kernelINS0_14default_configENS1_25partition_config_selectorILNS1_17partition_subalgoE9EllbEEZZNS1_14partition_implILS5_9ELb0ES3_jPlS8_PNS0_10empty_typeENS0_5tupleIJS8_S9_EEENSB_IJS8_SA_EEENS0_18inequality_wrapperIZN2at6native12_GLOBAL__N_124unique_dim_cuda_templateIfEESt5tupleIJNSF_6TensorESK_SK_EERKSK_lbbbEUlllE0_EEPmJS9_EEE10hipError_tPvRmT3_T4_T5_T6_T7_T9_mT8_P12ihipStream_tbDpT10_ENKUlT_T0_E_clISt17integral_constantIbLb0EES19_IbLb1EEEEDaS15_S16_EUlS15_E_NS1_11comp_targetILNS1_3genE0ELNS1_11target_archE4294967295ELNS1_3gpuE0ELNS1_3repE0EEENS1_30default_config_static_selectorELNS0_4arch9wavefront6targetE1EEEvT1_,comdat
.Lfunc_end985:
	.size	_ZN7rocprim17ROCPRIM_400000_NS6detail17trampoline_kernelINS0_14default_configENS1_25partition_config_selectorILNS1_17partition_subalgoE9EllbEEZZNS1_14partition_implILS5_9ELb0ES3_jPlS8_PNS0_10empty_typeENS0_5tupleIJS8_S9_EEENSB_IJS8_SA_EEENS0_18inequality_wrapperIZN2at6native12_GLOBAL__N_124unique_dim_cuda_templateIfEESt5tupleIJNSF_6TensorESK_SK_EERKSK_lbbbEUlllE0_EEPmJS9_EEE10hipError_tPvRmT3_T4_T5_T6_T7_T9_mT8_P12ihipStream_tbDpT10_ENKUlT_T0_E_clISt17integral_constantIbLb0EES19_IbLb1EEEEDaS15_S16_EUlS15_E_NS1_11comp_targetILNS1_3genE0ELNS1_11target_archE4294967295ELNS1_3gpuE0ELNS1_3repE0EEENS1_30default_config_static_selectorELNS0_4arch9wavefront6targetE1EEEvT1_, .Lfunc_end985-_ZN7rocprim17ROCPRIM_400000_NS6detail17trampoline_kernelINS0_14default_configENS1_25partition_config_selectorILNS1_17partition_subalgoE9EllbEEZZNS1_14partition_implILS5_9ELb0ES3_jPlS8_PNS0_10empty_typeENS0_5tupleIJS8_S9_EEENSB_IJS8_SA_EEENS0_18inequality_wrapperIZN2at6native12_GLOBAL__N_124unique_dim_cuda_templateIfEESt5tupleIJNSF_6TensorESK_SK_EERKSK_lbbbEUlllE0_EEPmJS9_EEE10hipError_tPvRmT3_T4_T5_T6_T7_T9_mT8_P12ihipStream_tbDpT10_ENKUlT_T0_E_clISt17integral_constantIbLb0EES19_IbLb1EEEEDaS15_S16_EUlS15_E_NS1_11comp_targetILNS1_3genE0ELNS1_11target_archE4294967295ELNS1_3gpuE0ELNS1_3repE0EEENS1_30default_config_static_selectorELNS0_4arch9wavefront6targetE1EEEvT1_
                                        ; -- End function
	.set _ZN7rocprim17ROCPRIM_400000_NS6detail17trampoline_kernelINS0_14default_configENS1_25partition_config_selectorILNS1_17partition_subalgoE9EllbEEZZNS1_14partition_implILS5_9ELb0ES3_jPlS8_PNS0_10empty_typeENS0_5tupleIJS8_S9_EEENSB_IJS8_SA_EEENS0_18inequality_wrapperIZN2at6native12_GLOBAL__N_124unique_dim_cuda_templateIfEESt5tupleIJNSF_6TensorESK_SK_EERKSK_lbbbEUlllE0_EEPmJS9_EEE10hipError_tPvRmT3_T4_T5_T6_T7_T9_mT8_P12ihipStream_tbDpT10_ENKUlT_T0_E_clISt17integral_constantIbLb0EES19_IbLb1EEEEDaS15_S16_EUlS15_E_NS1_11comp_targetILNS1_3genE0ELNS1_11target_archE4294967295ELNS1_3gpuE0ELNS1_3repE0EEENS1_30default_config_static_selectorELNS0_4arch9wavefront6targetE1EEEvT1_.num_vgpr, 60
	.set _ZN7rocprim17ROCPRIM_400000_NS6detail17trampoline_kernelINS0_14default_configENS1_25partition_config_selectorILNS1_17partition_subalgoE9EllbEEZZNS1_14partition_implILS5_9ELb0ES3_jPlS8_PNS0_10empty_typeENS0_5tupleIJS8_S9_EEENSB_IJS8_SA_EEENS0_18inequality_wrapperIZN2at6native12_GLOBAL__N_124unique_dim_cuda_templateIfEESt5tupleIJNSF_6TensorESK_SK_EERKSK_lbbbEUlllE0_EEPmJS9_EEE10hipError_tPvRmT3_T4_T5_T6_T7_T9_mT8_P12ihipStream_tbDpT10_ENKUlT_T0_E_clISt17integral_constantIbLb0EES19_IbLb1EEEEDaS15_S16_EUlS15_E_NS1_11comp_targetILNS1_3genE0ELNS1_11target_archE4294967295ELNS1_3gpuE0ELNS1_3repE0EEENS1_30default_config_static_selectorELNS0_4arch9wavefront6targetE1EEEvT1_.num_agpr, 0
	.set _ZN7rocprim17ROCPRIM_400000_NS6detail17trampoline_kernelINS0_14default_configENS1_25partition_config_selectorILNS1_17partition_subalgoE9EllbEEZZNS1_14partition_implILS5_9ELb0ES3_jPlS8_PNS0_10empty_typeENS0_5tupleIJS8_S9_EEENSB_IJS8_SA_EEENS0_18inequality_wrapperIZN2at6native12_GLOBAL__N_124unique_dim_cuda_templateIfEESt5tupleIJNSF_6TensorESK_SK_EERKSK_lbbbEUlllE0_EEPmJS9_EEE10hipError_tPvRmT3_T4_T5_T6_T7_T9_mT8_P12ihipStream_tbDpT10_ENKUlT_T0_E_clISt17integral_constantIbLb0EES19_IbLb1EEEEDaS15_S16_EUlS15_E_NS1_11comp_targetILNS1_3genE0ELNS1_11target_archE4294967295ELNS1_3gpuE0ELNS1_3repE0EEENS1_30default_config_static_selectorELNS0_4arch9wavefront6targetE1EEEvT1_.numbered_sgpr, 52
	.set _ZN7rocprim17ROCPRIM_400000_NS6detail17trampoline_kernelINS0_14default_configENS1_25partition_config_selectorILNS1_17partition_subalgoE9EllbEEZZNS1_14partition_implILS5_9ELb0ES3_jPlS8_PNS0_10empty_typeENS0_5tupleIJS8_S9_EEENSB_IJS8_SA_EEENS0_18inequality_wrapperIZN2at6native12_GLOBAL__N_124unique_dim_cuda_templateIfEESt5tupleIJNSF_6TensorESK_SK_EERKSK_lbbbEUlllE0_EEPmJS9_EEE10hipError_tPvRmT3_T4_T5_T6_T7_T9_mT8_P12ihipStream_tbDpT10_ENKUlT_T0_E_clISt17integral_constantIbLb0EES19_IbLb1EEEEDaS15_S16_EUlS15_E_NS1_11comp_targetILNS1_3genE0ELNS1_11target_archE4294967295ELNS1_3gpuE0ELNS1_3repE0EEENS1_30default_config_static_selectorELNS0_4arch9wavefront6targetE1EEEvT1_.num_named_barrier, 0
	.set _ZN7rocprim17ROCPRIM_400000_NS6detail17trampoline_kernelINS0_14default_configENS1_25partition_config_selectorILNS1_17partition_subalgoE9EllbEEZZNS1_14partition_implILS5_9ELb0ES3_jPlS8_PNS0_10empty_typeENS0_5tupleIJS8_S9_EEENSB_IJS8_SA_EEENS0_18inequality_wrapperIZN2at6native12_GLOBAL__N_124unique_dim_cuda_templateIfEESt5tupleIJNSF_6TensorESK_SK_EERKSK_lbbbEUlllE0_EEPmJS9_EEE10hipError_tPvRmT3_T4_T5_T6_T7_T9_mT8_P12ihipStream_tbDpT10_ENKUlT_T0_E_clISt17integral_constantIbLb0EES19_IbLb1EEEEDaS15_S16_EUlS15_E_NS1_11comp_targetILNS1_3genE0ELNS1_11target_archE4294967295ELNS1_3gpuE0ELNS1_3repE0EEENS1_30default_config_static_selectorELNS0_4arch9wavefront6targetE1EEEvT1_.private_seg_size, 0
	.set _ZN7rocprim17ROCPRIM_400000_NS6detail17trampoline_kernelINS0_14default_configENS1_25partition_config_selectorILNS1_17partition_subalgoE9EllbEEZZNS1_14partition_implILS5_9ELb0ES3_jPlS8_PNS0_10empty_typeENS0_5tupleIJS8_S9_EEENSB_IJS8_SA_EEENS0_18inequality_wrapperIZN2at6native12_GLOBAL__N_124unique_dim_cuda_templateIfEESt5tupleIJNSF_6TensorESK_SK_EERKSK_lbbbEUlllE0_EEPmJS9_EEE10hipError_tPvRmT3_T4_T5_T6_T7_T9_mT8_P12ihipStream_tbDpT10_ENKUlT_T0_E_clISt17integral_constantIbLb0EES19_IbLb1EEEEDaS15_S16_EUlS15_E_NS1_11comp_targetILNS1_3genE0ELNS1_11target_archE4294967295ELNS1_3gpuE0ELNS1_3repE0EEENS1_30default_config_static_selectorELNS0_4arch9wavefront6targetE1EEEvT1_.uses_vcc, 1
	.set _ZN7rocprim17ROCPRIM_400000_NS6detail17trampoline_kernelINS0_14default_configENS1_25partition_config_selectorILNS1_17partition_subalgoE9EllbEEZZNS1_14partition_implILS5_9ELb0ES3_jPlS8_PNS0_10empty_typeENS0_5tupleIJS8_S9_EEENSB_IJS8_SA_EEENS0_18inequality_wrapperIZN2at6native12_GLOBAL__N_124unique_dim_cuda_templateIfEESt5tupleIJNSF_6TensorESK_SK_EERKSK_lbbbEUlllE0_EEPmJS9_EEE10hipError_tPvRmT3_T4_T5_T6_T7_T9_mT8_P12ihipStream_tbDpT10_ENKUlT_T0_E_clISt17integral_constantIbLb0EES19_IbLb1EEEEDaS15_S16_EUlS15_E_NS1_11comp_targetILNS1_3genE0ELNS1_11target_archE4294967295ELNS1_3gpuE0ELNS1_3repE0EEENS1_30default_config_static_selectorELNS0_4arch9wavefront6targetE1EEEvT1_.uses_flat_scratch, 0
	.set _ZN7rocprim17ROCPRIM_400000_NS6detail17trampoline_kernelINS0_14default_configENS1_25partition_config_selectorILNS1_17partition_subalgoE9EllbEEZZNS1_14partition_implILS5_9ELb0ES3_jPlS8_PNS0_10empty_typeENS0_5tupleIJS8_S9_EEENSB_IJS8_SA_EEENS0_18inequality_wrapperIZN2at6native12_GLOBAL__N_124unique_dim_cuda_templateIfEESt5tupleIJNSF_6TensorESK_SK_EERKSK_lbbbEUlllE0_EEPmJS9_EEE10hipError_tPvRmT3_T4_T5_T6_T7_T9_mT8_P12ihipStream_tbDpT10_ENKUlT_T0_E_clISt17integral_constantIbLb0EES19_IbLb1EEEEDaS15_S16_EUlS15_E_NS1_11comp_targetILNS1_3genE0ELNS1_11target_archE4294967295ELNS1_3gpuE0ELNS1_3repE0EEENS1_30default_config_static_selectorELNS0_4arch9wavefront6targetE1EEEvT1_.has_dyn_sized_stack, 0
	.set _ZN7rocprim17ROCPRIM_400000_NS6detail17trampoline_kernelINS0_14default_configENS1_25partition_config_selectorILNS1_17partition_subalgoE9EllbEEZZNS1_14partition_implILS5_9ELb0ES3_jPlS8_PNS0_10empty_typeENS0_5tupleIJS8_S9_EEENSB_IJS8_SA_EEENS0_18inequality_wrapperIZN2at6native12_GLOBAL__N_124unique_dim_cuda_templateIfEESt5tupleIJNSF_6TensorESK_SK_EERKSK_lbbbEUlllE0_EEPmJS9_EEE10hipError_tPvRmT3_T4_T5_T6_T7_T9_mT8_P12ihipStream_tbDpT10_ENKUlT_T0_E_clISt17integral_constantIbLb0EES19_IbLb1EEEEDaS15_S16_EUlS15_E_NS1_11comp_targetILNS1_3genE0ELNS1_11target_archE4294967295ELNS1_3gpuE0ELNS1_3repE0EEENS1_30default_config_static_selectorELNS0_4arch9wavefront6targetE1EEEvT1_.has_recursion, 0
	.set _ZN7rocprim17ROCPRIM_400000_NS6detail17trampoline_kernelINS0_14default_configENS1_25partition_config_selectorILNS1_17partition_subalgoE9EllbEEZZNS1_14partition_implILS5_9ELb0ES3_jPlS8_PNS0_10empty_typeENS0_5tupleIJS8_S9_EEENSB_IJS8_SA_EEENS0_18inequality_wrapperIZN2at6native12_GLOBAL__N_124unique_dim_cuda_templateIfEESt5tupleIJNSF_6TensorESK_SK_EERKSK_lbbbEUlllE0_EEPmJS9_EEE10hipError_tPvRmT3_T4_T5_T6_T7_T9_mT8_P12ihipStream_tbDpT10_ENKUlT_T0_E_clISt17integral_constantIbLb0EES19_IbLb1EEEEDaS15_S16_EUlS15_E_NS1_11comp_targetILNS1_3genE0ELNS1_11target_archE4294967295ELNS1_3gpuE0ELNS1_3repE0EEENS1_30default_config_static_selectorELNS0_4arch9wavefront6targetE1EEEvT1_.has_indirect_call, 0
	.section	.AMDGPU.csdata,"",@progbits
; Kernel info:
; codeLenInByte = 9596
; TotalNumSgprs: 58
; NumVgprs: 60
; NumAgprs: 0
; TotalNumVgprs: 60
; ScratchSize: 0
; MemoryBound: 0
; FloatMode: 240
; IeeeMode: 1
; LDSByteSize: 5128 bytes/workgroup (compile time only)
; SGPRBlocks: 7
; VGPRBlocks: 7
; NumSGPRsForWavesPerEU: 58
; NumVGPRsForWavesPerEU: 60
; AccumOffset: 60
; Occupancy: 8
; WaveLimiterHint : 1
; COMPUTE_PGM_RSRC2:SCRATCH_EN: 0
; COMPUTE_PGM_RSRC2:USER_SGPR: 2
; COMPUTE_PGM_RSRC2:TRAP_HANDLER: 0
; COMPUTE_PGM_RSRC2:TGID_X_EN: 1
; COMPUTE_PGM_RSRC2:TGID_Y_EN: 0
; COMPUTE_PGM_RSRC2:TGID_Z_EN: 0
; COMPUTE_PGM_RSRC2:TIDIG_COMP_CNT: 0
; COMPUTE_PGM_RSRC3_GFX90A:ACCUM_OFFSET: 14
; COMPUTE_PGM_RSRC3_GFX90A:TG_SPLIT: 0
	.section	.text._ZN7rocprim17ROCPRIM_400000_NS6detail17trampoline_kernelINS0_14default_configENS1_25partition_config_selectorILNS1_17partition_subalgoE9EllbEEZZNS1_14partition_implILS5_9ELb0ES3_jPlS8_PNS0_10empty_typeENS0_5tupleIJS8_S9_EEENSB_IJS8_SA_EEENS0_18inequality_wrapperIZN2at6native12_GLOBAL__N_124unique_dim_cuda_templateIfEESt5tupleIJNSF_6TensorESK_SK_EERKSK_lbbbEUlllE0_EEPmJS9_EEE10hipError_tPvRmT3_T4_T5_T6_T7_T9_mT8_P12ihipStream_tbDpT10_ENKUlT_T0_E_clISt17integral_constantIbLb0EES19_IbLb1EEEEDaS15_S16_EUlS15_E_NS1_11comp_targetILNS1_3genE5ELNS1_11target_archE942ELNS1_3gpuE9ELNS1_3repE0EEENS1_30default_config_static_selectorELNS0_4arch9wavefront6targetE1EEEvT1_,"axG",@progbits,_ZN7rocprim17ROCPRIM_400000_NS6detail17trampoline_kernelINS0_14default_configENS1_25partition_config_selectorILNS1_17partition_subalgoE9EllbEEZZNS1_14partition_implILS5_9ELb0ES3_jPlS8_PNS0_10empty_typeENS0_5tupleIJS8_S9_EEENSB_IJS8_SA_EEENS0_18inequality_wrapperIZN2at6native12_GLOBAL__N_124unique_dim_cuda_templateIfEESt5tupleIJNSF_6TensorESK_SK_EERKSK_lbbbEUlllE0_EEPmJS9_EEE10hipError_tPvRmT3_T4_T5_T6_T7_T9_mT8_P12ihipStream_tbDpT10_ENKUlT_T0_E_clISt17integral_constantIbLb0EES19_IbLb1EEEEDaS15_S16_EUlS15_E_NS1_11comp_targetILNS1_3genE5ELNS1_11target_archE942ELNS1_3gpuE9ELNS1_3repE0EEENS1_30default_config_static_selectorELNS0_4arch9wavefront6targetE1EEEvT1_,comdat
	.globl	_ZN7rocprim17ROCPRIM_400000_NS6detail17trampoline_kernelINS0_14default_configENS1_25partition_config_selectorILNS1_17partition_subalgoE9EllbEEZZNS1_14partition_implILS5_9ELb0ES3_jPlS8_PNS0_10empty_typeENS0_5tupleIJS8_S9_EEENSB_IJS8_SA_EEENS0_18inequality_wrapperIZN2at6native12_GLOBAL__N_124unique_dim_cuda_templateIfEESt5tupleIJNSF_6TensorESK_SK_EERKSK_lbbbEUlllE0_EEPmJS9_EEE10hipError_tPvRmT3_T4_T5_T6_T7_T9_mT8_P12ihipStream_tbDpT10_ENKUlT_T0_E_clISt17integral_constantIbLb0EES19_IbLb1EEEEDaS15_S16_EUlS15_E_NS1_11comp_targetILNS1_3genE5ELNS1_11target_archE942ELNS1_3gpuE9ELNS1_3repE0EEENS1_30default_config_static_selectorELNS0_4arch9wavefront6targetE1EEEvT1_ ; -- Begin function _ZN7rocprim17ROCPRIM_400000_NS6detail17trampoline_kernelINS0_14default_configENS1_25partition_config_selectorILNS1_17partition_subalgoE9EllbEEZZNS1_14partition_implILS5_9ELb0ES3_jPlS8_PNS0_10empty_typeENS0_5tupleIJS8_S9_EEENSB_IJS8_SA_EEENS0_18inequality_wrapperIZN2at6native12_GLOBAL__N_124unique_dim_cuda_templateIfEESt5tupleIJNSF_6TensorESK_SK_EERKSK_lbbbEUlllE0_EEPmJS9_EEE10hipError_tPvRmT3_T4_T5_T6_T7_T9_mT8_P12ihipStream_tbDpT10_ENKUlT_T0_E_clISt17integral_constantIbLb0EES19_IbLb1EEEEDaS15_S16_EUlS15_E_NS1_11comp_targetILNS1_3genE5ELNS1_11target_archE942ELNS1_3gpuE9ELNS1_3repE0EEENS1_30default_config_static_selectorELNS0_4arch9wavefront6targetE1EEEvT1_
	.p2align	8
	.type	_ZN7rocprim17ROCPRIM_400000_NS6detail17trampoline_kernelINS0_14default_configENS1_25partition_config_selectorILNS1_17partition_subalgoE9EllbEEZZNS1_14partition_implILS5_9ELb0ES3_jPlS8_PNS0_10empty_typeENS0_5tupleIJS8_S9_EEENSB_IJS8_SA_EEENS0_18inequality_wrapperIZN2at6native12_GLOBAL__N_124unique_dim_cuda_templateIfEESt5tupleIJNSF_6TensorESK_SK_EERKSK_lbbbEUlllE0_EEPmJS9_EEE10hipError_tPvRmT3_T4_T5_T6_T7_T9_mT8_P12ihipStream_tbDpT10_ENKUlT_T0_E_clISt17integral_constantIbLb0EES19_IbLb1EEEEDaS15_S16_EUlS15_E_NS1_11comp_targetILNS1_3genE5ELNS1_11target_archE942ELNS1_3gpuE9ELNS1_3repE0EEENS1_30default_config_static_selectorELNS0_4arch9wavefront6targetE1EEEvT1_,@function
_ZN7rocprim17ROCPRIM_400000_NS6detail17trampoline_kernelINS0_14default_configENS1_25partition_config_selectorILNS1_17partition_subalgoE9EllbEEZZNS1_14partition_implILS5_9ELb0ES3_jPlS8_PNS0_10empty_typeENS0_5tupleIJS8_S9_EEENSB_IJS8_SA_EEENS0_18inequality_wrapperIZN2at6native12_GLOBAL__N_124unique_dim_cuda_templateIfEESt5tupleIJNSF_6TensorESK_SK_EERKSK_lbbbEUlllE0_EEPmJS9_EEE10hipError_tPvRmT3_T4_T5_T6_T7_T9_mT8_P12ihipStream_tbDpT10_ENKUlT_T0_E_clISt17integral_constantIbLb0EES19_IbLb1EEEEDaS15_S16_EUlS15_E_NS1_11comp_targetILNS1_3genE5ELNS1_11target_archE942ELNS1_3gpuE9ELNS1_3repE0EEENS1_30default_config_static_selectorELNS0_4arch9wavefront6targetE1EEEvT1_: ; @_ZN7rocprim17ROCPRIM_400000_NS6detail17trampoline_kernelINS0_14default_configENS1_25partition_config_selectorILNS1_17partition_subalgoE9EllbEEZZNS1_14partition_implILS5_9ELb0ES3_jPlS8_PNS0_10empty_typeENS0_5tupleIJS8_S9_EEENSB_IJS8_SA_EEENS0_18inequality_wrapperIZN2at6native12_GLOBAL__N_124unique_dim_cuda_templateIfEESt5tupleIJNSF_6TensorESK_SK_EERKSK_lbbbEUlllE0_EEPmJS9_EEE10hipError_tPvRmT3_T4_T5_T6_T7_T9_mT8_P12ihipStream_tbDpT10_ENKUlT_T0_E_clISt17integral_constantIbLb0EES19_IbLb1EEEEDaS15_S16_EUlS15_E_NS1_11comp_targetILNS1_3genE5ELNS1_11target_archE942ELNS1_3gpuE9ELNS1_3repE0EEENS1_30default_config_static_selectorELNS0_4arch9wavefront6targetE1EEEvT1_
; %bb.0:
	.section	.rodata,"a",@progbits
	.p2align	6, 0x0
	.amdhsa_kernel _ZN7rocprim17ROCPRIM_400000_NS6detail17trampoline_kernelINS0_14default_configENS1_25partition_config_selectorILNS1_17partition_subalgoE9EllbEEZZNS1_14partition_implILS5_9ELb0ES3_jPlS8_PNS0_10empty_typeENS0_5tupleIJS8_S9_EEENSB_IJS8_SA_EEENS0_18inequality_wrapperIZN2at6native12_GLOBAL__N_124unique_dim_cuda_templateIfEESt5tupleIJNSF_6TensorESK_SK_EERKSK_lbbbEUlllE0_EEPmJS9_EEE10hipError_tPvRmT3_T4_T5_T6_T7_T9_mT8_P12ihipStream_tbDpT10_ENKUlT_T0_E_clISt17integral_constantIbLb0EES19_IbLb1EEEEDaS15_S16_EUlS15_E_NS1_11comp_targetILNS1_3genE5ELNS1_11target_archE942ELNS1_3gpuE9ELNS1_3repE0EEENS1_30default_config_static_selectorELNS0_4arch9wavefront6targetE1EEEvT1_
		.amdhsa_group_segment_fixed_size 0
		.amdhsa_private_segment_fixed_size 0
		.amdhsa_kernarg_size 136
		.amdhsa_user_sgpr_count 2
		.amdhsa_user_sgpr_dispatch_ptr 0
		.amdhsa_user_sgpr_queue_ptr 0
		.amdhsa_user_sgpr_kernarg_segment_ptr 1
		.amdhsa_user_sgpr_dispatch_id 0
		.amdhsa_user_sgpr_kernarg_preload_length 0
		.amdhsa_user_sgpr_kernarg_preload_offset 0
		.amdhsa_user_sgpr_private_segment_size 0
		.amdhsa_uses_dynamic_stack 0
		.amdhsa_enable_private_segment 0
		.amdhsa_system_sgpr_workgroup_id_x 1
		.amdhsa_system_sgpr_workgroup_id_y 0
		.amdhsa_system_sgpr_workgroup_id_z 0
		.amdhsa_system_sgpr_workgroup_info 0
		.amdhsa_system_vgpr_workitem_id 0
		.amdhsa_next_free_vgpr 1
		.amdhsa_next_free_sgpr 0
		.amdhsa_accum_offset 4
		.amdhsa_reserve_vcc 0
		.amdhsa_float_round_mode_32 0
		.amdhsa_float_round_mode_16_64 0
		.amdhsa_float_denorm_mode_32 3
		.amdhsa_float_denorm_mode_16_64 3
		.amdhsa_dx10_clamp 1
		.amdhsa_ieee_mode 1
		.amdhsa_fp16_overflow 0
		.amdhsa_tg_split 0
		.amdhsa_exception_fp_ieee_invalid_op 0
		.amdhsa_exception_fp_denorm_src 0
		.amdhsa_exception_fp_ieee_div_zero 0
		.amdhsa_exception_fp_ieee_overflow 0
		.amdhsa_exception_fp_ieee_underflow 0
		.amdhsa_exception_fp_ieee_inexact 0
		.amdhsa_exception_int_div_zero 0
	.end_amdhsa_kernel
	.section	.text._ZN7rocprim17ROCPRIM_400000_NS6detail17trampoline_kernelINS0_14default_configENS1_25partition_config_selectorILNS1_17partition_subalgoE9EllbEEZZNS1_14partition_implILS5_9ELb0ES3_jPlS8_PNS0_10empty_typeENS0_5tupleIJS8_S9_EEENSB_IJS8_SA_EEENS0_18inequality_wrapperIZN2at6native12_GLOBAL__N_124unique_dim_cuda_templateIfEESt5tupleIJNSF_6TensorESK_SK_EERKSK_lbbbEUlllE0_EEPmJS9_EEE10hipError_tPvRmT3_T4_T5_T6_T7_T9_mT8_P12ihipStream_tbDpT10_ENKUlT_T0_E_clISt17integral_constantIbLb0EES19_IbLb1EEEEDaS15_S16_EUlS15_E_NS1_11comp_targetILNS1_3genE5ELNS1_11target_archE942ELNS1_3gpuE9ELNS1_3repE0EEENS1_30default_config_static_selectorELNS0_4arch9wavefront6targetE1EEEvT1_,"axG",@progbits,_ZN7rocprim17ROCPRIM_400000_NS6detail17trampoline_kernelINS0_14default_configENS1_25partition_config_selectorILNS1_17partition_subalgoE9EllbEEZZNS1_14partition_implILS5_9ELb0ES3_jPlS8_PNS0_10empty_typeENS0_5tupleIJS8_S9_EEENSB_IJS8_SA_EEENS0_18inequality_wrapperIZN2at6native12_GLOBAL__N_124unique_dim_cuda_templateIfEESt5tupleIJNSF_6TensorESK_SK_EERKSK_lbbbEUlllE0_EEPmJS9_EEE10hipError_tPvRmT3_T4_T5_T6_T7_T9_mT8_P12ihipStream_tbDpT10_ENKUlT_T0_E_clISt17integral_constantIbLb0EES19_IbLb1EEEEDaS15_S16_EUlS15_E_NS1_11comp_targetILNS1_3genE5ELNS1_11target_archE942ELNS1_3gpuE9ELNS1_3repE0EEENS1_30default_config_static_selectorELNS0_4arch9wavefront6targetE1EEEvT1_,comdat
.Lfunc_end986:
	.size	_ZN7rocprim17ROCPRIM_400000_NS6detail17trampoline_kernelINS0_14default_configENS1_25partition_config_selectorILNS1_17partition_subalgoE9EllbEEZZNS1_14partition_implILS5_9ELb0ES3_jPlS8_PNS0_10empty_typeENS0_5tupleIJS8_S9_EEENSB_IJS8_SA_EEENS0_18inequality_wrapperIZN2at6native12_GLOBAL__N_124unique_dim_cuda_templateIfEESt5tupleIJNSF_6TensorESK_SK_EERKSK_lbbbEUlllE0_EEPmJS9_EEE10hipError_tPvRmT3_T4_T5_T6_T7_T9_mT8_P12ihipStream_tbDpT10_ENKUlT_T0_E_clISt17integral_constantIbLb0EES19_IbLb1EEEEDaS15_S16_EUlS15_E_NS1_11comp_targetILNS1_3genE5ELNS1_11target_archE942ELNS1_3gpuE9ELNS1_3repE0EEENS1_30default_config_static_selectorELNS0_4arch9wavefront6targetE1EEEvT1_, .Lfunc_end986-_ZN7rocprim17ROCPRIM_400000_NS6detail17trampoline_kernelINS0_14default_configENS1_25partition_config_selectorILNS1_17partition_subalgoE9EllbEEZZNS1_14partition_implILS5_9ELb0ES3_jPlS8_PNS0_10empty_typeENS0_5tupleIJS8_S9_EEENSB_IJS8_SA_EEENS0_18inequality_wrapperIZN2at6native12_GLOBAL__N_124unique_dim_cuda_templateIfEESt5tupleIJNSF_6TensorESK_SK_EERKSK_lbbbEUlllE0_EEPmJS9_EEE10hipError_tPvRmT3_T4_T5_T6_T7_T9_mT8_P12ihipStream_tbDpT10_ENKUlT_T0_E_clISt17integral_constantIbLb0EES19_IbLb1EEEEDaS15_S16_EUlS15_E_NS1_11comp_targetILNS1_3genE5ELNS1_11target_archE942ELNS1_3gpuE9ELNS1_3repE0EEENS1_30default_config_static_selectorELNS0_4arch9wavefront6targetE1EEEvT1_
                                        ; -- End function
	.set _ZN7rocprim17ROCPRIM_400000_NS6detail17trampoline_kernelINS0_14default_configENS1_25partition_config_selectorILNS1_17partition_subalgoE9EllbEEZZNS1_14partition_implILS5_9ELb0ES3_jPlS8_PNS0_10empty_typeENS0_5tupleIJS8_S9_EEENSB_IJS8_SA_EEENS0_18inequality_wrapperIZN2at6native12_GLOBAL__N_124unique_dim_cuda_templateIfEESt5tupleIJNSF_6TensorESK_SK_EERKSK_lbbbEUlllE0_EEPmJS9_EEE10hipError_tPvRmT3_T4_T5_T6_T7_T9_mT8_P12ihipStream_tbDpT10_ENKUlT_T0_E_clISt17integral_constantIbLb0EES19_IbLb1EEEEDaS15_S16_EUlS15_E_NS1_11comp_targetILNS1_3genE5ELNS1_11target_archE942ELNS1_3gpuE9ELNS1_3repE0EEENS1_30default_config_static_selectorELNS0_4arch9wavefront6targetE1EEEvT1_.num_vgpr, 0
	.set _ZN7rocprim17ROCPRIM_400000_NS6detail17trampoline_kernelINS0_14default_configENS1_25partition_config_selectorILNS1_17partition_subalgoE9EllbEEZZNS1_14partition_implILS5_9ELb0ES3_jPlS8_PNS0_10empty_typeENS0_5tupleIJS8_S9_EEENSB_IJS8_SA_EEENS0_18inequality_wrapperIZN2at6native12_GLOBAL__N_124unique_dim_cuda_templateIfEESt5tupleIJNSF_6TensorESK_SK_EERKSK_lbbbEUlllE0_EEPmJS9_EEE10hipError_tPvRmT3_T4_T5_T6_T7_T9_mT8_P12ihipStream_tbDpT10_ENKUlT_T0_E_clISt17integral_constantIbLb0EES19_IbLb1EEEEDaS15_S16_EUlS15_E_NS1_11comp_targetILNS1_3genE5ELNS1_11target_archE942ELNS1_3gpuE9ELNS1_3repE0EEENS1_30default_config_static_selectorELNS0_4arch9wavefront6targetE1EEEvT1_.num_agpr, 0
	.set _ZN7rocprim17ROCPRIM_400000_NS6detail17trampoline_kernelINS0_14default_configENS1_25partition_config_selectorILNS1_17partition_subalgoE9EllbEEZZNS1_14partition_implILS5_9ELb0ES3_jPlS8_PNS0_10empty_typeENS0_5tupleIJS8_S9_EEENSB_IJS8_SA_EEENS0_18inequality_wrapperIZN2at6native12_GLOBAL__N_124unique_dim_cuda_templateIfEESt5tupleIJNSF_6TensorESK_SK_EERKSK_lbbbEUlllE0_EEPmJS9_EEE10hipError_tPvRmT3_T4_T5_T6_T7_T9_mT8_P12ihipStream_tbDpT10_ENKUlT_T0_E_clISt17integral_constantIbLb0EES19_IbLb1EEEEDaS15_S16_EUlS15_E_NS1_11comp_targetILNS1_3genE5ELNS1_11target_archE942ELNS1_3gpuE9ELNS1_3repE0EEENS1_30default_config_static_selectorELNS0_4arch9wavefront6targetE1EEEvT1_.numbered_sgpr, 0
	.set _ZN7rocprim17ROCPRIM_400000_NS6detail17trampoline_kernelINS0_14default_configENS1_25partition_config_selectorILNS1_17partition_subalgoE9EllbEEZZNS1_14partition_implILS5_9ELb0ES3_jPlS8_PNS0_10empty_typeENS0_5tupleIJS8_S9_EEENSB_IJS8_SA_EEENS0_18inequality_wrapperIZN2at6native12_GLOBAL__N_124unique_dim_cuda_templateIfEESt5tupleIJNSF_6TensorESK_SK_EERKSK_lbbbEUlllE0_EEPmJS9_EEE10hipError_tPvRmT3_T4_T5_T6_T7_T9_mT8_P12ihipStream_tbDpT10_ENKUlT_T0_E_clISt17integral_constantIbLb0EES19_IbLb1EEEEDaS15_S16_EUlS15_E_NS1_11comp_targetILNS1_3genE5ELNS1_11target_archE942ELNS1_3gpuE9ELNS1_3repE0EEENS1_30default_config_static_selectorELNS0_4arch9wavefront6targetE1EEEvT1_.num_named_barrier, 0
	.set _ZN7rocprim17ROCPRIM_400000_NS6detail17trampoline_kernelINS0_14default_configENS1_25partition_config_selectorILNS1_17partition_subalgoE9EllbEEZZNS1_14partition_implILS5_9ELb0ES3_jPlS8_PNS0_10empty_typeENS0_5tupleIJS8_S9_EEENSB_IJS8_SA_EEENS0_18inequality_wrapperIZN2at6native12_GLOBAL__N_124unique_dim_cuda_templateIfEESt5tupleIJNSF_6TensorESK_SK_EERKSK_lbbbEUlllE0_EEPmJS9_EEE10hipError_tPvRmT3_T4_T5_T6_T7_T9_mT8_P12ihipStream_tbDpT10_ENKUlT_T0_E_clISt17integral_constantIbLb0EES19_IbLb1EEEEDaS15_S16_EUlS15_E_NS1_11comp_targetILNS1_3genE5ELNS1_11target_archE942ELNS1_3gpuE9ELNS1_3repE0EEENS1_30default_config_static_selectorELNS0_4arch9wavefront6targetE1EEEvT1_.private_seg_size, 0
	.set _ZN7rocprim17ROCPRIM_400000_NS6detail17trampoline_kernelINS0_14default_configENS1_25partition_config_selectorILNS1_17partition_subalgoE9EllbEEZZNS1_14partition_implILS5_9ELb0ES3_jPlS8_PNS0_10empty_typeENS0_5tupleIJS8_S9_EEENSB_IJS8_SA_EEENS0_18inequality_wrapperIZN2at6native12_GLOBAL__N_124unique_dim_cuda_templateIfEESt5tupleIJNSF_6TensorESK_SK_EERKSK_lbbbEUlllE0_EEPmJS9_EEE10hipError_tPvRmT3_T4_T5_T6_T7_T9_mT8_P12ihipStream_tbDpT10_ENKUlT_T0_E_clISt17integral_constantIbLb0EES19_IbLb1EEEEDaS15_S16_EUlS15_E_NS1_11comp_targetILNS1_3genE5ELNS1_11target_archE942ELNS1_3gpuE9ELNS1_3repE0EEENS1_30default_config_static_selectorELNS0_4arch9wavefront6targetE1EEEvT1_.uses_vcc, 0
	.set _ZN7rocprim17ROCPRIM_400000_NS6detail17trampoline_kernelINS0_14default_configENS1_25partition_config_selectorILNS1_17partition_subalgoE9EllbEEZZNS1_14partition_implILS5_9ELb0ES3_jPlS8_PNS0_10empty_typeENS0_5tupleIJS8_S9_EEENSB_IJS8_SA_EEENS0_18inequality_wrapperIZN2at6native12_GLOBAL__N_124unique_dim_cuda_templateIfEESt5tupleIJNSF_6TensorESK_SK_EERKSK_lbbbEUlllE0_EEPmJS9_EEE10hipError_tPvRmT3_T4_T5_T6_T7_T9_mT8_P12ihipStream_tbDpT10_ENKUlT_T0_E_clISt17integral_constantIbLb0EES19_IbLb1EEEEDaS15_S16_EUlS15_E_NS1_11comp_targetILNS1_3genE5ELNS1_11target_archE942ELNS1_3gpuE9ELNS1_3repE0EEENS1_30default_config_static_selectorELNS0_4arch9wavefront6targetE1EEEvT1_.uses_flat_scratch, 0
	.set _ZN7rocprim17ROCPRIM_400000_NS6detail17trampoline_kernelINS0_14default_configENS1_25partition_config_selectorILNS1_17partition_subalgoE9EllbEEZZNS1_14partition_implILS5_9ELb0ES3_jPlS8_PNS0_10empty_typeENS0_5tupleIJS8_S9_EEENSB_IJS8_SA_EEENS0_18inequality_wrapperIZN2at6native12_GLOBAL__N_124unique_dim_cuda_templateIfEESt5tupleIJNSF_6TensorESK_SK_EERKSK_lbbbEUlllE0_EEPmJS9_EEE10hipError_tPvRmT3_T4_T5_T6_T7_T9_mT8_P12ihipStream_tbDpT10_ENKUlT_T0_E_clISt17integral_constantIbLb0EES19_IbLb1EEEEDaS15_S16_EUlS15_E_NS1_11comp_targetILNS1_3genE5ELNS1_11target_archE942ELNS1_3gpuE9ELNS1_3repE0EEENS1_30default_config_static_selectorELNS0_4arch9wavefront6targetE1EEEvT1_.has_dyn_sized_stack, 0
	.set _ZN7rocprim17ROCPRIM_400000_NS6detail17trampoline_kernelINS0_14default_configENS1_25partition_config_selectorILNS1_17partition_subalgoE9EllbEEZZNS1_14partition_implILS5_9ELb0ES3_jPlS8_PNS0_10empty_typeENS0_5tupleIJS8_S9_EEENSB_IJS8_SA_EEENS0_18inequality_wrapperIZN2at6native12_GLOBAL__N_124unique_dim_cuda_templateIfEESt5tupleIJNSF_6TensorESK_SK_EERKSK_lbbbEUlllE0_EEPmJS9_EEE10hipError_tPvRmT3_T4_T5_T6_T7_T9_mT8_P12ihipStream_tbDpT10_ENKUlT_T0_E_clISt17integral_constantIbLb0EES19_IbLb1EEEEDaS15_S16_EUlS15_E_NS1_11comp_targetILNS1_3genE5ELNS1_11target_archE942ELNS1_3gpuE9ELNS1_3repE0EEENS1_30default_config_static_selectorELNS0_4arch9wavefront6targetE1EEEvT1_.has_recursion, 0
	.set _ZN7rocprim17ROCPRIM_400000_NS6detail17trampoline_kernelINS0_14default_configENS1_25partition_config_selectorILNS1_17partition_subalgoE9EllbEEZZNS1_14partition_implILS5_9ELb0ES3_jPlS8_PNS0_10empty_typeENS0_5tupleIJS8_S9_EEENSB_IJS8_SA_EEENS0_18inequality_wrapperIZN2at6native12_GLOBAL__N_124unique_dim_cuda_templateIfEESt5tupleIJNSF_6TensorESK_SK_EERKSK_lbbbEUlllE0_EEPmJS9_EEE10hipError_tPvRmT3_T4_T5_T6_T7_T9_mT8_P12ihipStream_tbDpT10_ENKUlT_T0_E_clISt17integral_constantIbLb0EES19_IbLb1EEEEDaS15_S16_EUlS15_E_NS1_11comp_targetILNS1_3genE5ELNS1_11target_archE942ELNS1_3gpuE9ELNS1_3repE0EEENS1_30default_config_static_selectorELNS0_4arch9wavefront6targetE1EEEvT1_.has_indirect_call, 0
	.section	.AMDGPU.csdata,"",@progbits
; Kernel info:
; codeLenInByte = 0
; TotalNumSgprs: 6
; NumVgprs: 0
; NumAgprs: 0
; TotalNumVgprs: 0
; ScratchSize: 0
; MemoryBound: 0
; FloatMode: 240
; IeeeMode: 1
; LDSByteSize: 0 bytes/workgroup (compile time only)
; SGPRBlocks: 0
; VGPRBlocks: 0
; NumSGPRsForWavesPerEU: 6
; NumVGPRsForWavesPerEU: 1
; AccumOffset: 4
; Occupancy: 8
; WaveLimiterHint : 0
; COMPUTE_PGM_RSRC2:SCRATCH_EN: 0
; COMPUTE_PGM_RSRC2:USER_SGPR: 2
; COMPUTE_PGM_RSRC2:TRAP_HANDLER: 0
; COMPUTE_PGM_RSRC2:TGID_X_EN: 1
; COMPUTE_PGM_RSRC2:TGID_Y_EN: 0
; COMPUTE_PGM_RSRC2:TGID_Z_EN: 0
; COMPUTE_PGM_RSRC2:TIDIG_COMP_CNT: 0
; COMPUTE_PGM_RSRC3_GFX90A:ACCUM_OFFSET: 0
; COMPUTE_PGM_RSRC3_GFX90A:TG_SPLIT: 0
	.section	.text._ZN7rocprim17ROCPRIM_400000_NS6detail17trampoline_kernelINS0_14default_configENS1_25partition_config_selectorILNS1_17partition_subalgoE9EllbEEZZNS1_14partition_implILS5_9ELb0ES3_jPlS8_PNS0_10empty_typeENS0_5tupleIJS8_S9_EEENSB_IJS8_SA_EEENS0_18inequality_wrapperIZN2at6native12_GLOBAL__N_124unique_dim_cuda_templateIfEESt5tupleIJNSF_6TensorESK_SK_EERKSK_lbbbEUlllE0_EEPmJS9_EEE10hipError_tPvRmT3_T4_T5_T6_T7_T9_mT8_P12ihipStream_tbDpT10_ENKUlT_T0_E_clISt17integral_constantIbLb0EES19_IbLb1EEEEDaS15_S16_EUlS15_E_NS1_11comp_targetILNS1_3genE4ELNS1_11target_archE910ELNS1_3gpuE8ELNS1_3repE0EEENS1_30default_config_static_selectorELNS0_4arch9wavefront6targetE1EEEvT1_,"axG",@progbits,_ZN7rocprim17ROCPRIM_400000_NS6detail17trampoline_kernelINS0_14default_configENS1_25partition_config_selectorILNS1_17partition_subalgoE9EllbEEZZNS1_14partition_implILS5_9ELb0ES3_jPlS8_PNS0_10empty_typeENS0_5tupleIJS8_S9_EEENSB_IJS8_SA_EEENS0_18inequality_wrapperIZN2at6native12_GLOBAL__N_124unique_dim_cuda_templateIfEESt5tupleIJNSF_6TensorESK_SK_EERKSK_lbbbEUlllE0_EEPmJS9_EEE10hipError_tPvRmT3_T4_T5_T6_T7_T9_mT8_P12ihipStream_tbDpT10_ENKUlT_T0_E_clISt17integral_constantIbLb0EES19_IbLb1EEEEDaS15_S16_EUlS15_E_NS1_11comp_targetILNS1_3genE4ELNS1_11target_archE910ELNS1_3gpuE8ELNS1_3repE0EEENS1_30default_config_static_selectorELNS0_4arch9wavefront6targetE1EEEvT1_,comdat
	.globl	_ZN7rocprim17ROCPRIM_400000_NS6detail17trampoline_kernelINS0_14default_configENS1_25partition_config_selectorILNS1_17partition_subalgoE9EllbEEZZNS1_14partition_implILS5_9ELb0ES3_jPlS8_PNS0_10empty_typeENS0_5tupleIJS8_S9_EEENSB_IJS8_SA_EEENS0_18inequality_wrapperIZN2at6native12_GLOBAL__N_124unique_dim_cuda_templateIfEESt5tupleIJNSF_6TensorESK_SK_EERKSK_lbbbEUlllE0_EEPmJS9_EEE10hipError_tPvRmT3_T4_T5_T6_T7_T9_mT8_P12ihipStream_tbDpT10_ENKUlT_T0_E_clISt17integral_constantIbLb0EES19_IbLb1EEEEDaS15_S16_EUlS15_E_NS1_11comp_targetILNS1_3genE4ELNS1_11target_archE910ELNS1_3gpuE8ELNS1_3repE0EEENS1_30default_config_static_selectorELNS0_4arch9wavefront6targetE1EEEvT1_ ; -- Begin function _ZN7rocprim17ROCPRIM_400000_NS6detail17trampoline_kernelINS0_14default_configENS1_25partition_config_selectorILNS1_17partition_subalgoE9EllbEEZZNS1_14partition_implILS5_9ELb0ES3_jPlS8_PNS0_10empty_typeENS0_5tupleIJS8_S9_EEENSB_IJS8_SA_EEENS0_18inequality_wrapperIZN2at6native12_GLOBAL__N_124unique_dim_cuda_templateIfEESt5tupleIJNSF_6TensorESK_SK_EERKSK_lbbbEUlllE0_EEPmJS9_EEE10hipError_tPvRmT3_T4_T5_T6_T7_T9_mT8_P12ihipStream_tbDpT10_ENKUlT_T0_E_clISt17integral_constantIbLb0EES19_IbLb1EEEEDaS15_S16_EUlS15_E_NS1_11comp_targetILNS1_3genE4ELNS1_11target_archE910ELNS1_3gpuE8ELNS1_3repE0EEENS1_30default_config_static_selectorELNS0_4arch9wavefront6targetE1EEEvT1_
	.p2align	8
	.type	_ZN7rocprim17ROCPRIM_400000_NS6detail17trampoline_kernelINS0_14default_configENS1_25partition_config_selectorILNS1_17partition_subalgoE9EllbEEZZNS1_14partition_implILS5_9ELb0ES3_jPlS8_PNS0_10empty_typeENS0_5tupleIJS8_S9_EEENSB_IJS8_SA_EEENS0_18inequality_wrapperIZN2at6native12_GLOBAL__N_124unique_dim_cuda_templateIfEESt5tupleIJNSF_6TensorESK_SK_EERKSK_lbbbEUlllE0_EEPmJS9_EEE10hipError_tPvRmT3_T4_T5_T6_T7_T9_mT8_P12ihipStream_tbDpT10_ENKUlT_T0_E_clISt17integral_constantIbLb0EES19_IbLb1EEEEDaS15_S16_EUlS15_E_NS1_11comp_targetILNS1_3genE4ELNS1_11target_archE910ELNS1_3gpuE8ELNS1_3repE0EEENS1_30default_config_static_selectorELNS0_4arch9wavefront6targetE1EEEvT1_,@function
_ZN7rocprim17ROCPRIM_400000_NS6detail17trampoline_kernelINS0_14default_configENS1_25partition_config_selectorILNS1_17partition_subalgoE9EllbEEZZNS1_14partition_implILS5_9ELb0ES3_jPlS8_PNS0_10empty_typeENS0_5tupleIJS8_S9_EEENSB_IJS8_SA_EEENS0_18inequality_wrapperIZN2at6native12_GLOBAL__N_124unique_dim_cuda_templateIfEESt5tupleIJNSF_6TensorESK_SK_EERKSK_lbbbEUlllE0_EEPmJS9_EEE10hipError_tPvRmT3_T4_T5_T6_T7_T9_mT8_P12ihipStream_tbDpT10_ENKUlT_T0_E_clISt17integral_constantIbLb0EES19_IbLb1EEEEDaS15_S16_EUlS15_E_NS1_11comp_targetILNS1_3genE4ELNS1_11target_archE910ELNS1_3gpuE8ELNS1_3repE0EEENS1_30default_config_static_selectorELNS0_4arch9wavefront6targetE1EEEvT1_: ; @_ZN7rocprim17ROCPRIM_400000_NS6detail17trampoline_kernelINS0_14default_configENS1_25partition_config_selectorILNS1_17partition_subalgoE9EllbEEZZNS1_14partition_implILS5_9ELb0ES3_jPlS8_PNS0_10empty_typeENS0_5tupleIJS8_S9_EEENSB_IJS8_SA_EEENS0_18inequality_wrapperIZN2at6native12_GLOBAL__N_124unique_dim_cuda_templateIfEESt5tupleIJNSF_6TensorESK_SK_EERKSK_lbbbEUlllE0_EEPmJS9_EEE10hipError_tPvRmT3_T4_T5_T6_T7_T9_mT8_P12ihipStream_tbDpT10_ENKUlT_T0_E_clISt17integral_constantIbLb0EES19_IbLb1EEEEDaS15_S16_EUlS15_E_NS1_11comp_targetILNS1_3genE4ELNS1_11target_archE910ELNS1_3gpuE8ELNS1_3repE0EEENS1_30default_config_static_selectorELNS0_4arch9wavefront6targetE1EEEvT1_
; %bb.0:
	.section	.rodata,"a",@progbits
	.p2align	6, 0x0
	.amdhsa_kernel _ZN7rocprim17ROCPRIM_400000_NS6detail17trampoline_kernelINS0_14default_configENS1_25partition_config_selectorILNS1_17partition_subalgoE9EllbEEZZNS1_14partition_implILS5_9ELb0ES3_jPlS8_PNS0_10empty_typeENS0_5tupleIJS8_S9_EEENSB_IJS8_SA_EEENS0_18inequality_wrapperIZN2at6native12_GLOBAL__N_124unique_dim_cuda_templateIfEESt5tupleIJNSF_6TensorESK_SK_EERKSK_lbbbEUlllE0_EEPmJS9_EEE10hipError_tPvRmT3_T4_T5_T6_T7_T9_mT8_P12ihipStream_tbDpT10_ENKUlT_T0_E_clISt17integral_constantIbLb0EES19_IbLb1EEEEDaS15_S16_EUlS15_E_NS1_11comp_targetILNS1_3genE4ELNS1_11target_archE910ELNS1_3gpuE8ELNS1_3repE0EEENS1_30default_config_static_selectorELNS0_4arch9wavefront6targetE1EEEvT1_
		.amdhsa_group_segment_fixed_size 0
		.amdhsa_private_segment_fixed_size 0
		.amdhsa_kernarg_size 136
		.amdhsa_user_sgpr_count 2
		.amdhsa_user_sgpr_dispatch_ptr 0
		.amdhsa_user_sgpr_queue_ptr 0
		.amdhsa_user_sgpr_kernarg_segment_ptr 1
		.amdhsa_user_sgpr_dispatch_id 0
		.amdhsa_user_sgpr_kernarg_preload_length 0
		.amdhsa_user_sgpr_kernarg_preload_offset 0
		.amdhsa_user_sgpr_private_segment_size 0
		.amdhsa_uses_dynamic_stack 0
		.amdhsa_enable_private_segment 0
		.amdhsa_system_sgpr_workgroup_id_x 1
		.amdhsa_system_sgpr_workgroup_id_y 0
		.amdhsa_system_sgpr_workgroup_id_z 0
		.amdhsa_system_sgpr_workgroup_info 0
		.amdhsa_system_vgpr_workitem_id 0
		.amdhsa_next_free_vgpr 1
		.amdhsa_next_free_sgpr 0
		.amdhsa_accum_offset 4
		.amdhsa_reserve_vcc 0
		.amdhsa_float_round_mode_32 0
		.amdhsa_float_round_mode_16_64 0
		.amdhsa_float_denorm_mode_32 3
		.amdhsa_float_denorm_mode_16_64 3
		.amdhsa_dx10_clamp 1
		.amdhsa_ieee_mode 1
		.amdhsa_fp16_overflow 0
		.amdhsa_tg_split 0
		.amdhsa_exception_fp_ieee_invalid_op 0
		.amdhsa_exception_fp_denorm_src 0
		.amdhsa_exception_fp_ieee_div_zero 0
		.amdhsa_exception_fp_ieee_overflow 0
		.amdhsa_exception_fp_ieee_underflow 0
		.amdhsa_exception_fp_ieee_inexact 0
		.amdhsa_exception_int_div_zero 0
	.end_amdhsa_kernel
	.section	.text._ZN7rocprim17ROCPRIM_400000_NS6detail17trampoline_kernelINS0_14default_configENS1_25partition_config_selectorILNS1_17partition_subalgoE9EllbEEZZNS1_14partition_implILS5_9ELb0ES3_jPlS8_PNS0_10empty_typeENS0_5tupleIJS8_S9_EEENSB_IJS8_SA_EEENS0_18inequality_wrapperIZN2at6native12_GLOBAL__N_124unique_dim_cuda_templateIfEESt5tupleIJNSF_6TensorESK_SK_EERKSK_lbbbEUlllE0_EEPmJS9_EEE10hipError_tPvRmT3_T4_T5_T6_T7_T9_mT8_P12ihipStream_tbDpT10_ENKUlT_T0_E_clISt17integral_constantIbLb0EES19_IbLb1EEEEDaS15_S16_EUlS15_E_NS1_11comp_targetILNS1_3genE4ELNS1_11target_archE910ELNS1_3gpuE8ELNS1_3repE0EEENS1_30default_config_static_selectorELNS0_4arch9wavefront6targetE1EEEvT1_,"axG",@progbits,_ZN7rocprim17ROCPRIM_400000_NS6detail17trampoline_kernelINS0_14default_configENS1_25partition_config_selectorILNS1_17partition_subalgoE9EllbEEZZNS1_14partition_implILS5_9ELb0ES3_jPlS8_PNS0_10empty_typeENS0_5tupleIJS8_S9_EEENSB_IJS8_SA_EEENS0_18inequality_wrapperIZN2at6native12_GLOBAL__N_124unique_dim_cuda_templateIfEESt5tupleIJNSF_6TensorESK_SK_EERKSK_lbbbEUlllE0_EEPmJS9_EEE10hipError_tPvRmT3_T4_T5_T6_T7_T9_mT8_P12ihipStream_tbDpT10_ENKUlT_T0_E_clISt17integral_constantIbLb0EES19_IbLb1EEEEDaS15_S16_EUlS15_E_NS1_11comp_targetILNS1_3genE4ELNS1_11target_archE910ELNS1_3gpuE8ELNS1_3repE0EEENS1_30default_config_static_selectorELNS0_4arch9wavefront6targetE1EEEvT1_,comdat
.Lfunc_end987:
	.size	_ZN7rocprim17ROCPRIM_400000_NS6detail17trampoline_kernelINS0_14default_configENS1_25partition_config_selectorILNS1_17partition_subalgoE9EllbEEZZNS1_14partition_implILS5_9ELb0ES3_jPlS8_PNS0_10empty_typeENS0_5tupleIJS8_S9_EEENSB_IJS8_SA_EEENS0_18inequality_wrapperIZN2at6native12_GLOBAL__N_124unique_dim_cuda_templateIfEESt5tupleIJNSF_6TensorESK_SK_EERKSK_lbbbEUlllE0_EEPmJS9_EEE10hipError_tPvRmT3_T4_T5_T6_T7_T9_mT8_P12ihipStream_tbDpT10_ENKUlT_T0_E_clISt17integral_constantIbLb0EES19_IbLb1EEEEDaS15_S16_EUlS15_E_NS1_11comp_targetILNS1_3genE4ELNS1_11target_archE910ELNS1_3gpuE8ELNS1_3repE0EEENS1_30default_config_static_selectorELNS0_4arch9wavefront6targetE1EEEvT1_, .Lfunc_end987-_ZN7rocprim17ROCPRIM_400000_NS6detail17trampoline_kernelINS0_14default_configENS1_25partition_config_selectorILNS1_17partition_subalgoE9EllbEEZZNS1_14partition_implILS5_9ELb0ES3_jPlS8_PNS0_10empty_typeENS0_5tupleIJS8_S9_EEENSB_IJS8_SA_EEENS0_18inequality_wrapperIZN2at6native12_GLOBAL__N_124unique_dim_cuda_templateIfEESt5tupleIJNSF_6TensorESK_SK_EERKSK_lbbbEUlllE0_EEPmJS9_EEE10hipError_tPvRmT3_T4_T5_T6_T7_T9_mT8_P12ihipStream_tbDpT10_ENKUlT_T0_E_clISt17integral_constantIbLb0EES19_IbLb1EEEEDaS15_S16_EUlS15_E_NS1_11comp_targetILNS1_3genE4ELNS1_11target_archE910ELNS1_3gpuE8ELNS1_3repE0EEENS1_30default_config_static_selectorELNS0_4arch9wavefront6targetE1EEEvT1_
                                        ; -- End function
	.set _ZN7rocprim17ROCPRIM_400000_NS6detail17trampoline_kernelINS0_14default_configENS1_25partition_config_selectorILNS1_17partition_subalgoE9EllbEEZZNS1_14partition_implILS5_9ELb0ES3_jPlS8_PNS0_10empty_typeENS0_5tupleIJS8_S9_EEENSB_IJS8_SA_EEENS0_18inequality_wrapperIZN2at6native12_GLOBAL__N_124unique_dim_cuda_templateIfEESt5tupleIJNSF_6TensorESK_SK_EERKSK_lbbbEUlllE0_EEPmJS9_EEE10hipError_tPvRmT3_T4_T5_T6_T7_T9_mT8_P12ihipStream_tbDpT10_ENKUlT_T0_E_clISt17integral_constantIbLb0EES19_IbLb1EEEEDaS15_S16_EUlS15_E_NS1_11comp_targetILNS1_3genE4ELNS1_11target_archE910ELNS1_3gpuE8ELNS1_3repE0EEENS1_30default_config_static_selectorELNS0_4arch9wavefront6targetE1EEEvT1_.num_vgpr, 0
	.set _ZN7rocprim17ROCPRIM_400000_NS6detail17trampoline_kernelINS0_14default_configENS1_25partition_config_selectorILNS1_17partition_subalgoE9EllbEEZZNS1_14partition_implILS5_9ELb0ES3_jPlS8_PNS0_10empty_typeENS0_5tupleIJS8_S9_EEENSB_IJS8_SA_EEENS0_18inequality_wrapperIZN2at6native12_GLOBAL__N_124unique_dim_cuda_templateIfEESt5tupleIJNSF_6TensorESK_SK_EERKSK_lbbbEUlllE0_EEPmJS9_EEE10hipError_tPvRmT3_T4_T5_T6_T7_T9_mT8_P12ihipStream_tbDpT10_ENKUlT_T0_E_clISt17integral_constantIbLb0EES19_IbLb1EEEEDaS15_S16_EUlS15_E_NS1_11comp_targetILNS1_3genE4ELNS1_11target_archE910ELNS1_3gpuE8ELNS1_3repE0EEENS1_30default_config_static_selectorELNS0_4arch9wavefront6targetE1EEEvT1_.num_agpr, 0
	.set _ZN7rocprim17ROCPRIM_400000_NS6detail17trampoline_kernelINS0_14default_configENS1_25partition_config_selectorILNS1_17partition_subalgoE9EllbEEZZNS1_14partition_implILS5_9ELb0ES3_jPlS8_PNS0_10empty_typeENS0_5tupleIJS8_S9_EEENSB_IJS8_SA_EEENS0_18inequality_wrapperIZN2at6native12_GLOBAL__N_124unique_dim_cuda_templateIfEESt5tupleIJNSF_6TensorESK_SK_EERKSK_lbbbEUlllE0_EEPmJS9_EEE10hipError_tPvRmT3_T4_T5_T6_T7_T9_mT8_P12ihipStream_tbDpT10_ENKUlT_T0_E_clISt17integral_constantIbLb0EES19_IbLb1EEEEDaS15_S16_EUlS15_E_NS1_11comp_targetILNS1_3genE4ELNS1_11target_archE910ELNS1_3gpuE8ELNS1_3repE0EEENS1_30default_config_static_selectorELNS0_4arch9wavefront6targetE1EEEvT1_.numbered_sgpr, 0
	.set _ZN7rocprim17ROCPRIM_400000_NS6detail17trampoline_kernelINS0_14default_configENS1_25partition_config_selectorILNS1_17partition_subalgoE9EllbEEZZNS1_14partition_implILS5_9ELb0ES3_jPlS8_PNS0_10empty_typeENS0_5tupleIJS8_S9_EEENSB_IJS8_SA_EEENS0_18inequality_wrapperIZN2at6native12_GLOBAL__N_124unique_dim_cuda_templateIfEESt5tupleIJNSF_6TensorESK_SK_EERKSK_lbbbEUlllE0_EEPmJS9_EEE10hipError_tPvRmT3_T4_T5_T6_T7_T9_mT8_P12ihipStream_tbDpT10_ENKUlT_T0_E_clISt17integral_constantIbLb0EES19_IbLb1EEEEDaS15_S16_EUlS15_E_NS1_11comp_targetILNS1_3genE4ELNS1_11target_archE910ELNS1_3gpuE8ELNS1_3repE0EEENS1_30default_config_static_selectorELNS0_4arch9wavefront6targetE1EEEvT1_.num_named_barrier, 0
	.set _ZN7rocprim17ROCPRIM_400000_NS6detail17trampoline_kernelINS0_14default_configENS1_25partition_config_selectorILNS1_17partition_subalgoE9EllbEEZZNS1_14partition_implILS5_9ELb0ES3_jPlS8_PNS0_10empty_typeENS0_5tupleIJS8_S9_EEENSB_IJS8_SA_EEENS0_18inequality_wrapperIZN2at6native12_GLOBAL__N_124unique_dim_cuda_templateIfEESt5tupleIJNSF_6TensorESK_SK_EERKSK_lbbbEUlllE0_EEPmJS9_EEE10hipError_tPvRmT3_T4_T5_T6_T7_T9_mT8_P12ihipStream_tbDpT10_ENKUlT_T0_E_clISt17integral_constantIbLb0EES19_IbLb1EEEEDaS15_S16_EUlS15_E_NS1_11comp_targetILNS1_3genE4ELNS1_11target_archE910ELNS1_3gpuE8ELNS1_3repE0EEENS1_30default_config_static_selectorELNS0_4arch9wavefront6targetE1EEEvT1_.private_seg_size, 0
	.set _ZN7rocprim17ROCPRIM_400000_NS6detail17trampoline_kernelINS0_14default_configENS1_25partition_config_selectorILNS1_17partition_subalgoE9EllbEEZZNS1_14partition_implILS5_9ELb0ES3_jPlS8_PNS0_10empty_typeENS0_5tupleIJS8_S9_EEENSB_IJS8_SA_EEENS0_18inequality_wrapperIZN2at6native12_GLOBAL__N_124unique_dim_cuda_templateIfEESt5tupleIJNSF_6TensorESK_SK_EERKSK_lbbbEUlllE0_EEPmJS9_EEE10hipError_tPvRmT3_T4_T5_T6_T7_T9_mT8_P12ihipStream_tbDpT10_ENKUlT_T0_E_clISt17integral_constantIbLb0EES19_IbLb1EEEEDaS15_S16_EUlS15_E_NS1_11comp_targetILNS1_3genE4ELNS1_11target_archE910ELNS1_3gpuE8ELNS1_3repE0EEENS1_30default_config_static_selectorELNS0_4arch9wavefront6targetE1EEEvT1_.uses_vcc, 0
	.set _ZN7rocprim17ROCPRIM_400000_NS6detail17trampoline_kernelINS0_14default_configENS1_25partition_config_selectorILNS1_17partition_subalgoE9EllbEEZZNS1_14partition_implILS5_9ELb0ES3_jPlS8_PNS0_10empty_typeENS0_5tupleIJS8_S9_EEENSB_IJS8_SA_EEENS0_18inequality_wrapperIZN2at6native12_GLOBAL__N_124unique_dim_cuda_templateIfEESt5tupleIJNSF_6TensorESK_SK_EERKSK_lbbbEUlllE0_EEPmJS9_EEE10hipError_tPvRmT3_T4_T5_T6_T7_T9_mT8_P12ihipStream_tbDpT10_ENKUlT_T0_E_clISt17integral_constantIbLb0EES19_IbLb1EEEEDaS15_S16_EUlS15_E_NS1_11comp_targetILNS1_3genE4ELNS1_11target_archE910ELNS1_3gpuE8ELNS1_3repE0EEENS1_30default_config_static_selectorELNS0_4arch9wavefront6targetE1EEEvT1_.uses_flat_scratch, 0
	.set _ZN7rocprim17ROCPRIM_400000_NS6detail17trampoline_kernelINS0_14default_configENS1_25partition_config_selectorILNS1_17partition_subalgoE9EllbEEZZNS1_14partition_implILS5_9ELb0ES3_jPlS8_PNS0_10empty_typeENS0_5tupleIJS8_S9_EEENSB_IJS8_SA_EEENS0_18inequality_wrapperIZN2at6native12_GLOBAL__N_124unique_dim_cuda_templateIfEESt5tupleIJNSF_6TensorESK_SK_EERKSK_lbbbEUlllE0_EEPmJS9_EEE10hipError_tPvRmT3_T4_T5_T6_T7_T9_mT8_P12ihipStream_tbDpT10_ENKUlT_T0_E_clISt17integral_constantIbLb0EES19_IbLb1EEEEDaS15_S16_EUlS15_E_NS1_11comp_targetILNS1_3genE4ELNS1_11target_archE910ELNS1_3gpuE8ELNS1_3repE0EEENS1_30default_config_static_selectorELNS0_4arch9wavefront6targetE1EEEvT1_.has_dyn_sized_stack, 0
	.set _ZN7rocprim17ROCPRIM_400000_NS6detail17trampoline_kernelINS0_14default_configENS1_25partition_config_selectorILNS1_17partition_subalgoE9EllbEEZZNS1_14partition_implILS5_9ELb0ES3_jPlS8_PNS0_10empty_typeENS0_5tupleIJS8_S9_EEENSB_IJS8_SA_EEENS0_18inequality_wrapperIZN2at6native12_GLOBAL__N_124unique_dim_cuda_templateIfEESt5tupleIJNSF_6TensorESK_SK_EERKSK_lbbbEUlllE0_EEPmJS9_EEE10hipError_tPvRmT3_T4_T5_T6_T7_T9_mT8_P12ihipStream_tbDpT10_ENKUlT_T0_E_clISt17integral_constantIbLb0EES19_IbLb1EEEEDaS15_S16_EUlS15_E_NS1_11comp_targetILNS1_3genE4ELNS1_11target_archE910ELNS1_3gpuE8ELNS1_3repE0EEENS1_30default_config_static_selectorELNS0_4arch9wavefront6targetE1EEEvT1_.has_recursion, 0
	.set _ZN7rocprim17ROCPRIM_400000_NS6detail17trampoline_kernelINS0_14default_configENS1_25partition_config_selectorILNS1_17partition_subalgoE9EllbEEZZNS1_14partition_implILS5_9ELb0ES3_jPlS8_PNS0_10empty_typeENS0_5tupleIJS8_S9_EEENSB_IJS8_SA_EEENS0_18inequality_wrapperIZN2at6native12_GLOBAL__N_124unique_dim_cuda_templateIfEESt5tupleIJNSF_6TensorESK_SK_EERKSK_lbbbEUlllE0_EEPmJS9_EEE10hipError_tPvRmT3_T4_T5_T6_T7_T9_mT8_P12ihipStream_tbDpT10_ENKUlT_T0_E_clISt17integral_constantIbLb0EES19_IbLb1EEEEDaS15_S16_EUlS15_E_NS1_11comp_targetILNS1_3genE4ELNS1_11target_archE910ELNS1_3gpuE8ELNS1_3repE0EEENS1_30default_config_static_selectorELNS0_4arch9wavefront6targetE1EEEvT1_.has_indirect_call, 0
	.section	.AMDGPU.csdata,"",@progbits
; Kernel info:
; codeLenInByte = 0
; TotalNumSgprs: 6
; NumVgprs: 0
; NumAgprs: 0
; TotalNumVgprs: 0
; ScratchSize: 0
; MemoryBound: 0
; FloatMode: 240
; IeeeMode: 1
; LDSByteSize: 0 bytes/workgroup (compile time only)
; SGPRBlocks: 0
; VGPRBlocks: 0
; NumSGPRsForWavesPerEU: 6
; NumVGPRsForWavesPerEU: 1
; AccumOffset: 4
; Occupancy: 8
; WaveLimiterHint : 0
; COMPUTE_PGM_RSRC2:SCRATCH_EN: 0
; COMPUTE_PGM_RSRC2:USER_SGPR: 2
; COMPUTE_PGM_RSRC2:TRAP_HANDLER: 0
; COMPUTE_PGM_RSRC2:TGID_X_EN: 1
; COMPUTE_PGM_RSRC2:TGID_Y_EN: 0
; COMPUTE_PGM_RSRC2:TGID_Z_EN: 0
; COMPUTE_PGM_RSRC2:TIDIG_COMP_CNT: 0
; COMPUTE_PGM_RSRC3_GFX90A:ACCUM_OFFSET: 0
; COMPUTE_PGM_RSRC3_GFX90A:TG_SPLIT: 0
	.section	.text._ZN7rocprim17ROCPRIM_400000_NS6detail17trampoline_kernelINS0_14default_configENS1_25partition_config_selectorILNS1_17partition_subalgoE9EllbEEZZNS1_14partition_implILS5_9ELb0ES3_jPlS8_PNS0_10empty_typeENS0_5tupleIJS8_S9_EEENSB_IJS8_SA_EEENS0_18inequality_wrapperIZN2at6native12_GLOBAL__N_124unique_dim_cuda_templateIfEESt5tupleIJNSF_6TensorESK_SK_EERKSK_lbbbEUlllE0_EEPmJS9_EEE10hipError_tPvRmT3_T4_T5_T6_T7_T9_mT8_P12ihipStream_tbDpT10_ENKUlT_T0_E_clISt17integral_constantIbLb0EES19_IbLb1EEEEDaS15_S16_EUlS15_E_NS1_11comp_targetILNS1_3genE3ELNS1_11target_archE908ELNS1_3gpuE7ELNS1_3repE0EEENS1_30default_config_static_selectorELNS0_4arch9wavefront6targetE1EEEvT1_,"axG",@progbits,_ZN7rocprim17ROCPRIM_400000_NS6detail17trampoline_kernelINS0_14default_configENS1_25partition_config_selectorILNS1_17partition_subalgoE9EllbEEZZNS1_14partition_implILS5_9ELb0ES3_jPlS8_PNS0_10empty_typeENS0_5tupleIJS8_S9_EEENSB_IJS8_SA_EEENS0_18inequality_wrapperIZN2at6native12_GLOBAL__N_124unique_dim_cuda_templateIfEESt5tupleIJNSF_6TensorESK_SK_EERKSK_lbbbEUlllE0_EEPmJS9_EEE10hipError_tPvRmT3_T4_T5_T6_T7_T9_mT8_P12ihipStream_tbDpT10_ENKUlT_T0_E_clISt17integral_constantIbLb0EES19_IbLb1EEEEDaS15_S16_EUlS15_E_NS1_11comp_targetILNS1_3genE3ELNS1_11target_archE908ELNS1_3gpuE7ELNS1_3repE0EEENS1_30default_config_static_selectorELNS0_4arch9wavefront6targetE1EEEvT1_,comdat
	.globl	_ZN7rocprim17ROCPRIM_400000_NS6detail17trampoline_kernelINS0_14default_configENS1_25partition_config_selectorILNS1_17partition_subalgoE9EllbEEZZNS1_14partition_implILS5_9ELb0ES3_jPlS8_PNS0_10empty_typeENS0_5tupleIJS8_S9_EEENSB_IJS8_SA_EEENS0_18inequality_wrapperIZN2at6native12_GLOBAL__N_124unique_dim_cuda_templateIfEESt5tupleIJNSF_6TensorESK_SK_EERKSK_lbbbEUlllE0_EEPmJS9_EEE10hipError_tPvRmT3_T4_T5_T6_T7_T9_mT8_P12ihipStream_tbDpT10_ENKUlT_T0_E_clISt17integral_constantIbLb0EES19_IbLb1EEEEDaS15_S16_EUlS15_E_NS1_11comp_targetILNS1_3genE3ELNS1_11target_archE908ELNS1_3gpuE7ELNS1_3repE0EEENS1_30default_config_static_selectorELNS0_4arch9wavefront6targetE1EEEvT1_ ; -- Begin function _ZN7rocprim17ROCPRIM_400000_NS6detail17trampoline_kernelINS0_14default_configENS1_25partition_config_selectorILNS1_17partition_subalgoE9EllbEEZZNS1_14partition_implILS5_9ELb0ES3_jPlS8_PNS0_10empty_typeENS0_5tupleIJS8_S9_EEENSB_IJS8_SA_EEENS0_18inequality_wrapperIZN2at6native12_GLOBAL__N_124unique_dim_cuda_templateIfEESt5tupleIJNSF_6TensorESK_SK_EERKSK_lbbbEUlllE0_EEPmJS9_EEE10hipError_tPvRmT3_T4_T5_T6_T7_T9_mT8_P12ihipStream_tbDpT10_ENKUlT_T0_E_clISt17integral_constantIbLb0EES19_IbLb1EEEEDaS15_S16_EUlS15_E_NS1_11comp_targetILNS1_3genE3ELNS1_11target_archE908ELNS1_3gpuE7ELNS1_3repE0EEENS1_30default_config_static_selectorELNS0_4arch9wavefront6targetE1EEEvT1_
	.p2align	8
	.type	_ZN7rocprim17ROCPRIM_400000_NS6detail17trampoline_kernelINS0_14default_configENS1_25partition_config_selectorILNS1_17partition_subalgoE9EllbEEZZNS1_14partition_implILS5_9ELb0ES3_jPlS8_PNS0_10empty_typeENS0_5tupleIJS8_S9_EEENSB_IJS8_SA_EEENS0_18inequality_wrapperIZN2at6native12_GLOBAL__N_124unique_dim_cuda_templateIfEESt5tupleIJNSF_6TensorESK_SK_EERKSK_lbbbEUlllE0_EEPmJS9_EEE10hipError_tPvRmT3_T4_T5_T6_T7_T9_mT8_P12ihipStream_tbDpT10_ENKUlT_T0_E_clISt17integral_constantIbLb0EES19_IbLb1EEEEDaS15_S16_EUlS15_E_NS1_11comp_targetILNS1_3genE3ELNS1_11target_archE908ELNS1_3gpuE7ELNS1_3repE0EEENS1_30default_config_static_selectorELNS0_4arch9wavefront6targetE1EEEvT1_,@function
_ZN7rocprim17ROCPRIM_400000_NS6detail17trampoline_kernelINS0_14default_configENS1_25partition_config_selectorILNS1_17partition_subalgoE9EllbEEZZNS1_14partition_implILS5_9ELb0ES3_jPlS8_PNS0_10empty_typeENS0_5tupleIJS8_S9_EEENSB_IJS8_SA_EEENS0_18inequality_wrapperIZN2at6native12_GLOBAL__N_124unique_dim_cuda_templateIfEESt5tupleIJNSF_6TensorESK_SK_EERKSK_lbbbEUlllE0_EEPmJS9_EEE10hipError_tPvRmT3_T4_T5_T6_T7_T9_mT8_P12ihipStream_tbDpT10_ENKUlT_T0_E_clISt17integral_constantIbLb0EES19_IbLb1EEEEDaS15_S16_EUlS15_E_NS1_11comp_targetILNS1_3genE3ELNS1_11target_archE908ELNS1_3gpuE7ELNS1_3repE0EEENS1_30default_config_static_selectorELNS0_4arch9wavefront6targetE1EEEvT1_: ; @_ZN7rocprim17ROCPRIM_400000_NS6detail17trampoline_kernelINS0_14default_configENS1_25partition_config_selectorILNS1_17partition_subalgoE9EllbEEZZNS1_14partition_implILS5_9ELb0ES3_jPlS8_PNS0_10empty_typeENS0_5tupleIJS8_S9_EEENSB_IJS8_SA_EEENS0_18inequality_wrapperIZN2at6native12_GLOBAL__N_124unique_dim_cuda_templateIfEESt5tupleIJNSF_6TensorESK_SK_EERKSK_lbbbEUlllE0_EEPmJS9_EEE10hipError_tPvRmT3_T4_T5_T6_T7_T9_mT8_P12ihipStream_tbDpT10_ENKUlT_T0_E_clISt17integral_constantIbLb0EES19_IbLb1EEEEDaS15_S16_EUlS15_E_NS1_11comp_targetILNS1_3genE3ELNS1_11target_archE908ELNS1_3gpuE7ELNS1_3repE0EEENS1_30default_config_static_selectorELNS0_4arch9wavefront6targetE1EEEvT1_
; %bb.0:
	.section	.rodata,"a",@progbits
	.p2align	6, 0x0
	.amdhsa_kernel _ZN7rocprim17ROCPRIM_400000_NS6detail17trampoline_kernelINS0_14default_configENS1_25partition_config_selectorILNS1_17partition_subalgoE9EllbEEZZNS1_14partition_implILS5_9ELb0ES3_jPlS8_PNS0_10empty_typeENS0_5tupleIJS8_S9_EEENSB_IJS8_SA_EEENS0_18inequality_wrapperIZN2at6native12_GLOBAL__N_124unique_dim_cuda_templateIfEESt5tupleIJNSF_6TensorESK_SK_EERKSK_lbbbEUlllE0_EEPmJS9_EEE10hipError_tPvRmT3_T4_T5_T6_T7_T9_mT8_P12ihipStream_tbDpT10_ENKUlT_T0_E_clISt17integral_constantIbLb0EES19_IbLb1EEEEDaS15_S16_EUlS15_E_NS1_11comp_targetILNS1_3genE3ELNS1_11target_archE908ELNS1_3gpuE7ELNS1_3repE0EEENS1_30default_config_static_selectorELNS0_4arch9wavefront6targetE1EEEvT1_
		.amdhsa_group_segment_fixed_size 0
		.amdhsa_private_segment_fixed_size 0
		.amdhsa_kernarg_size 136
		.amdhsa_user_sgpr_count 2
		.amdhsa_user_sgpr_dispatch_ptr 0
		.amdhsa_user_sgpr_queue_ptr 0
		.amdhsa_user_sgpr_kernarg_segment_ptr 1
		.amdhsa_user_sgpr_dispatch_id 0
		.amdhsa_user_sgpr_kernarg_preload_length 0
		.amdhsa_user_sgpr_kernarg_preload_offset 0
		.amdhsa_user_sgpr_private_segment_size 0
		.amdhsa_uses_dynamic_stack 0
		.amdhsa_enable_private_segment 0
		.amdhsa_system_sgpr_workgroup_id_x 1
		.amdhsa_system_sgpr_workgroup_id_y 0
		.amdhsa_system_sgpr_workgroup_id_z 0
		.amdhsa_system_sgpr_workgroup_info 0
		.amdhsa_system_vgpr_workitem_id 0
		.amdhsa_next_free_vgpr 1
		.amdhsa_next_free_sgpr 0
		.amdhsa_accum_offset 4
		.amdhsa_reserve_vcc 0
		.amdhsa_float_round_mode_32 0
		.amdhsa_float_round_mode_16_64 0
		.amdhsa_float_denorm_mode_32 3
		.amdhsa_float_denorm_mode_16_64 3
		.amdhsa_dx10_clamp 1
		.amdhsa_ieee_mode 1
		.amdhsa_fp16_overflow 0
		.amdhsa_tg_split 0
		.amdhsa_exception_fp_ieee_invalid_op 0
		.amdhsa_exception_fp_denorm_src 0
		.amdhsa_exception_fp_ieee_div_zero 0
		.amdhsa_exception_fp_ieee_overflow 0
		.amdhsa_exception_fp_ieee_underflow 0
		.amdhsa_exception_fp_ieee_inexact 0
		.amdhsa_exception_int_div_zero 0
	.end_amdhsa_kernel
	.section	.text._ZN7rocprim17ROCPRIM_400000_NS6detail17trampoline_kernelINS0_14default_configENS1_25partition_config_selectorILNS1_17partition_subalgoE9EllbEEZZNS1_14partition_implILS5_9ELb0ES3_jPlS8_PNS0_10empty_typeENS0_5tupleIJS8_S9_EEENSB_IJS8_SA_EEENS0_18inequality_wrapperIZN2at6native12_GLOBAL__N_124unique_dim_cuda_templateIfEESt5tupleIJNSF_6TensorESK_SK_EERKSK_lbbbEUlllE0_EEPmJS9_EEE10hipError_tPvRmT3_T4_T5_T6_T7_T9_mT8_P12ihipStream_tbDpT10_ENKUlT_T0_E_clISt17integral_constantIbLb0EES19_IbLb1EEEEDaS15_S16_EUlS15_E_NS1_11comp_targetILNS1_3genE3ELNS1_11target_archE908ELNS1_3gpuE7ELNS1_3repE0EEENS1_30default_config_static_selectorELNS0_4arch9wavefront6targetE1EEEvT1_,"axG",@progbits,_ZN7rocprim17ROCPRIM_400000_NS6detail17trampoline_kernelINS0_14default_configENS1_25partition_config_selectorILNS1_17partition_subalgoE9EllbEEZZNS1_14partition_implILS5_9ELb0ES3_jPlS8_PNS0_10empty_typeENS0_5tupleIJS8_S9_EEENSB_IJS8_SA_EEENS0_18inequality_wrapperIZN2at6native12_GLOBAL__N_124unique_dim_cuda_templateIfEESt5tupleIJNSF_6TensorESK_SK_EERKSK_lbbbEUlllE0_EEPmJS9_EEE10hipError_tPvRmT3_T4_T5_T6_T7_T9_mT8_P12ihipStream_tbDpT10_ENKUlT_T0_E_clISt17integral_constantIbLb0EES19_IbLb1EEEEDaS15_S16_EUlS15_E_NS1_11comp_targetILNS1_3genE3ELNS1_11target_archE908ELNS1_3gpuE7ELNS1_3repE0EEENS1_30default_config_static_selectorELNS0_4arch9wavefront6targetE1EEEvT1_,comdat
.Lfunc_end988:
	.size	_ZN7rocprim17ROCPRIM_400000_NS6detail17trampoline_kernelINS0_14default_configENS1_25partition_config_selectorILNS1_17partition_subalgoE9EllbEEZZNS1_14partition_implILS5_9ELb0ES3_jPlS8_PNS0_10empty_typeENS0_5tupleIJS8_S9_EEENSB_IJS8_SA_EEENS0_18inequality_wrapperIZN2at6native12_GLOBAL__N_124unique_dim_cuda_templateIfEESt5tupleIJNSF_6TensorESK_SK_EERKSK_lbbbEUlllE0_EEPmJS9_EEE10hipError_tPvRmT3_T4_T5_T6_T7_T9_mT8_P12ihipStream_tbDpT10_ENKUlT_T0_E_clISt17integral_constantIbLb0EES19_IbLb1EEEEDaS15_S16_EUlS15_E_NS1_11comp_targetILNS1_3genE3ELNS1_11target_archE908ELNS1_3gpuE7ELNS1_3repE0EEENS1_30default_config_static_selectorELNS0_4arch9wavefront6targetE1EEEvT1_, .Lfunc_end988-_ZN7rocprim17ROCPRIM_400000_NS6detail17trampoline_kernelINS0_14default_configENS1_25partition_config_selectorILNS1_17partition_subalgoE9EllbEEZZNS1_14partition_implILS5_9ELb0ES3_jPlS8_PNS0_10empty_typeENS0_5tupleIJS8_S9_EEENSB_IJS8_SA_EEENS0_18inequality_wrapperIZN2at6native12_GLOBAL__N_124unique_dim_cuda_templateIfEESt5tupleIJNSF_6TensorESK_SK_EERKSK_lbbbEUlllE0_EEPmJS9_EEE10hipError_tPvRmT3_T4_T5_T6_T7_T9_mT8_P12ihipStream_tbDpT10_ENKUlT_T0_E_clISt17integral_constantIbLb0EES19_IbLb1EEEEDaS15_S16_EUlS15_E_NS1_11comp_targetILNS1_3genE3ELNS1_11target_archE908ELNS1_3gpuE7ELNS1_3repE0EEENS1_30default_config_static_selectorELNS0_4arch9wavefront6targetE1EEEvT1_
                                        ; -- End function
	.set _ZN7rocprim17ROCPRIM_400000_NS6detail17trampoline_kernelINS0_14default_configENS1_25partition_config_selectorILNS1_17partition_subalgoE9EllbEEZZNS1_14partition_implILS5_9ELb0ES3_jPlS8_PNS0_10empty_typeENS0_5tupleIJS8_S9_EEENSB_IJS8_SA_EEENS0_18inequality_wrapperIZN2at6native12_GLOBAL__N_124unique_dim_cuda_templateIfEESt5tupleIJNSF_6TensorESK_SK_EERKSK_lbbbEUlllE0_EEPmJS9_EEE10hipError_tPvRmT3_T4_T5_T6_T7_T9_mT8_P12ihipStream_tbDpT10_ENKUlT_T0_E_clISt17integral_constantIbLb0EES19_IbLb1EEEEDaS15_S16_EUlS15_E_NS1_11comp_targetILNS1_3genE3ELNS1_11target_archE908ELNS1_3gpuE7ELNS1_3repE0EEENS1_30default_config_static_selectorELNS0_4arch9wavefront6targetE1EEEvT1_.num_vgpr, 0
	.set _ZN7rocprim17ROCPRIM_400000_NS6detail17trampoline_kernelINS0_14default_configENS1_25partition_config_selectorILNS1_17partition_subalgoE9EllbEEZZNS1_14partition_implILS5_9ELb0ES3_jPlS8_PNS0_10empty_typeENS0_5tupleIJS8_S9_EEENSB_IJS8_SA_EEENS0_18inequality_wrapperIZN2at6native12_GLOBAL__N_124unique_dim_cuda_templateIfEESt5tupleIJNSF_6TensorESK_SK_EERKSK_lbbbEUlllE0_EEPmJS9_EEE10hipError_tPvRmT3_T4_T5_T6_T7_T9_mT8_P12ihipStream_tbDpT10_ENKUlT_T0_E_clISt17integral_constantIbLb0EES19_IbLb1EEEEDaS15_S16_EUlS15_E_NS1_11comp_targetILNS1_3genE3ELNS1_11target_archE908ELNS1_3gpuE7ELNS1_3repE0EEENS1_30default_config_static_selectorELNS0_4arch9wavefront6targetE1EEEvT1_.num_agpr, 0
	.set _ZN7rocprim17ROCPRIM_400000_NS6detail17trampoline_kernelINS0_14default_configENS1_25partition_config_selectorILNS1_17partition_subalgoE9EllbEEZZNS1_14partition_implILS5_9ELb0ES3_jPlS8_PNS0_10empty_typeENS0_5tupleIJS8_S9_EEENSB_IJS8_SA_EEENS0_18inequality_wrapperIZN2at6native12_GLOBAL__N_124unique_dim_cuda_templateIfEESt5tupleIJNSF_6TensorESK_SK_EERKSK_lbbbEUlllE0_EEPmJS9_EEE10hipError_tPvRmT3_T4_T5_T6_T7_T9_mT8_P12ihipStream_tbDpT10_ENKUlT_T0_E_clISt17integral_constantIbLb0EES19_IbLb1EEEEDaS15_S16_EUlS15_E_NS1_11comp_targetILNS1_3genE3ELNS1_11target_archE908ELNS1_3gpuE7ELNS1_3repE0EEENS1_30default_config_static_selectorELNS0_4arch9wavefront6targetE1EEEvT1_.numbered_sgpr, 0
	.set _ZN7rocprim17ROCPRIM_400000_NS6detail17trampoline_kernelINS0_14default_configENS1_25partition_config_selectorILNS1_17partition_subalgoE9EllbEEZZNS1_14partition_implILS5_9ELb0ES3_jPlS8_PNS0_10empty_typeENS0_5tupleIJS8_S9_EEENSB_IJS8_SA_EEENS0_18inequality_wrapperIZN2at6native12_GLOBAL__N_124unique_dim_cuda_templateIfEESt5tupleIJNSF_6TensorESK_SK_EERKSK_lbbbEUlllE0_EEPmJS9_EEE10hipError_tPvRmT3_T4_T5_T6_T7_T9_mT8_P12ihipStream_tbDpT10_ENKUlT_T0_E_clISt17integral_constantIbLb0EES19_IbLb1EEEEDaS15_S16_EUlS15_E_NS1_11comp_targetILNS1_3genE3ELNS1_11target_archE908ELNS1_3gpuE7ELNS1_3repE0EEENS1_30default_config_static_selectorELNS0_4arch9wavefront6targetE1EEEvT1_.num_named_barrier, 0
	.set _ZN7rocprim17ROCPRIM_400000_NS6detail17trampoline_kernelINS0_14default_configENS1_25partition_config_selectorILNS1_17partition_subalgoE9EllbEEZZNS1_14partition_implILS5_9ELb0ES3_jPlS8_PNS0_10empty_typeENS0_5tupleIJS8_S9_EEENSB_IJS8_SA_EEENS0_18inequality_wrapperIZN2at6native12_GLOBAL__N_124unique_dim_cuda_templateIfEESt5tupleIJNSF_6TensorESK_SK_EERKSK_lbbbEUlllE0_EEPmJS9_EEE10hipError_tPvRmT3_T4_T5_T6_T7_T9_mT8_P12ihipStream_tbDpT10_ENKUlT_T0_E_clISt17integral_constantIbLb0EES19_IbLb1EEEEDaS15_S16_EUlS15_E_NS1_11comp_targetILNS1_3genE3ELNS1_11target_archE908ELNS1_3gpuE7ELNS1_3repE0EEENS1_30default_config_static_selectorELNS0_4arch9wavefront6targetE1EEEvT1_.private_seg_size, 0
	.set _ZN7rocprim17ROCPRIM_400000_NS6detail17trampoline_kernelINS0_14default_configENS1_25partition_config_selectorILNS1_17partition_subalgoE9EllbEEZZNS1_14partition_implILS5_9ELb0ES3_jPlS8_PNS0_10empty_typeENS0_5tupleIJS8_S9_EEENSB_IJS8_SA_EEENS0_18inequality_wrapperIZN2at6native12_GLOBAL__N_124unique_dim_cuda_templateIfEESt5tupleIJNSF_6TensorESK_SK_EERKSK_lbbbEUlllE0_EEPmJS9_EEE10hipError_tPvRmT3_T4_T5_T6_T7_T9_mT8_P12ihipStream_tbDpT10_ENKUlT_T0_E_clISt17integral_constantIbLb0EES19_IbLb1EEEEDaS15_S16_EUlS15_E_NS1_11comp_targetILNS1_3genE3ELNS1_11target_archE908ELNS1_3gpuE7ELNS1_3repE0EEENS1_30default_config_static_selectorELNS0_4arch9wavefront6targetE1EEEvT1_.uses_vcc, 0
	.set _ZN7rocprim17ROCPRIM_400000_NS6detail17trampoline_kernelINS0_14default_configENS1_25partition_config_selectorILNS1_17partition_subalgoE9EllbEEZZNS1_14partition_implILS5_9ELb0ES3_jPlS8_PNS0_10empty_typeENS0_5tupleIJS8_S9_EEENSB_IJS8_SA_EEENS0_18inequality_wrapperIZN2at6native12_GLOBAL__N_124unique_dim_cuda_templateIfEESt5tupleIJNSF_6TensorESK_SK_EERKSK_lbbbEUlllE0_EEPmJS9_EEE10hipError_tPvRmT3_T4_T5_T6_T7_T9_mT8_P12ihipStream_tbDpT10_ENKUlT_T0_E_clISt17integral_constantIbLb0EES19_IbLb1EEEEDaS15_S16_EUlS15_E_NS1_11comp_targetILNS1_3genE3ELNS1_11target_archE908ELNS1_3gpuE7ELNS1_3repE0EEENS1_30default_config_static_selectorELNS0_4arch9wavefront6targetE1EEEvT1_.uses_flat_scratch, 0
	.set _ZN7rocprim17ROCPRIM_400000_NS6detail17trampoline_kernelINS0_14default_configENS1_25partition_config_selectorILNS1_17partition_subalgoE9EllbEEZZNS1_14partition_implILS5_9ELb0ES3_jPlS8_PNS0_10empty_typeENS0_5tupleIJS8_S9_EEENSB_IJS8_SA_EEENS0_18inequality_wrapperIZN2at6native12_GLOBAL__N_124unique_dim_cuda_templateIfEESt5tupleIJNSF_6TensorESK_SK_EERKSK_lbbbEUlllE0_EEPmJS9_EEE10hipError_tPvRmT3_T4_T5_T6_T7_T9_mT8_P12ihipStream_tbDpT10_ENKUlT_T0_E_clISt17integral_constantIbLb0EES19_IbLb1EEEEDaS15_S16_EUlS15_E_NS1_11comp_targetILNS1_3genE3ELNS1_11target_archE908ELNS1_3gpuE7ELNS1_3repE0EEENS1_30default_config_static_selectorELNS0_4arch9wavefront6targetE1EEEvT1_.has_dyn_sized_stack, 0
	.set _ZN7rocprim17ROCPRIM_400000_NS6detail17trampoline_kernelINS0_14default_configENS1_25partition_config_selectorILNS1_17partition_subalgoE9EllbEEZZNS1_14partition_implILS5_9ELb0ES3_jPlS8_PNS0_10empty_typeENS0_5tupleIJS8_S9_EEENSB_IJS8_SA_EEENS0_18inequality_wrapperIZN2at6native12_GLOBAL__N_124unique_dim_cuda_templateIfEESt5tupleIJNSF_6TensorESK_SK_EERKSK_lbbbEUlllE0_EEPmJS9_EEE10hipError_tPvRmT3_T4_T5_T6_T7_T9_mT8_P12ihipStream_tbDpT10_ENKUlT_T0_E_clISt17integral_constantIbLb0EES19_IbLb1EEEEDaS15_S16_EUlS15_E_NS1_11comp_targetILNS1_3genE3ELNS1_11target_archE908ELNS1_3gpuE7ELNS1_3repE0EEENS1_30default_config_static_selectorELNS0_4arch9wavefront6targetE1EEEvT1_.has_recursion, 0
	.set _ZN7rocprim17ROCPRIM_400000_NS6detail17trampoline_kernelINS0_14default_configENS1_25partition_config_selectorILNS1_17partition_subalgoE9EllbEEZZNS1_14partition_implILS5_9ELb0ES3_jPlS8_PNS0_10empty_typeENS0_5tupleIJS8_S9_EEENSB_IJS8_SA_EEENS0_18inequality_wrapperIZN2at6native12_GLOBAL__N_124unique_dim_cuda_templateIfEESt5tupleIJNSF_6TensorESK_SK_EERKSK_lbbbEUlllE0_EEPmJS9_EEE10hipError_tPvRmT3_T4_T5_T6_T7_T9_mT8_P12ihipStream_tbDpT10_ENKUlT_T0_E_clISt17integral_constantIbLb0EES19_IbLb1EEEEDaS15_S16_EUlS15_E_NS1_11comp_targetILNS1_3genE3ELNS1_11target_archE908ELNS1_3gpuE7ELNS1_3repE0EEENS1_30default_config_static_selectorELNS0_4arch9wavefront6targetE1EEEvT1_.has_indirect_call, 0
	.section	.AMDGPU.csdata,"",@progbits
; Kernel info:
; codeLenInByte = 0
; TotalNumSgprs: 6
; NumVgprs: 0
; NumAgprs: 0
; TotalNumVgprs: 0
; ScratchSize: 0
; MemoryBound: 0
; FloatMode: 240
; IeeeMode: 1
; LDSByteSize: 0 bytes/workgroup (compile time only)
; SGPRBlocks: 0
; VGPRBlocks: 0
; NumSGPRsForWavesPerEU: 6
; NumVGPRsForWavesPerEU: 1
; AccumOffset: 4
; Occupancy: 8
; WaveLimiterHint : 0
; COMPUTE_PGM_RSRC2:SCRATCH_EN: 0
; COMPUTE_PGM_RSRC2:USER_SGPR: 2
; COMPUTE_PGM_RSRC2:TRAP_HANDLER: 0
; COMPUTE_PGM_RSRC2:TGID_X_EN: 1
; COMPUTE_PGM_RSRC2:TGID_Y_EN: 0
; COMPUTE_PGM_RSRC2:TGID_Z_EN: 0
; COMPUTE_PGM_RSRC2:TIDIG_COMP_CNT: 0
; COMPUTE_PGM_RSRC3_GFX90A:ACCUM_OFFSET: 0
; COMPUTE_PGM_RSRC3_GFX90A:TG_SPLIT: 0
	.section	.text._ZN7rocprim17ROCPRIM_400000_NS6detail17trampoline_kernelINS0_14default_configENS1_25partition_config_selectorILNS1_17partition_subalgoE9EllbEEZZNS1_14partition_implILS5_9ELb0ES3_jPlS8_PNS0_10empty_typeENS0_5tupleIJS8_S9_EEENSB_IJS8_SA_EEENS0_18inequality_wrapperIZN2at6native12_GLOBAL__N_124unique_dim_cuda_templateIfEESt5tupleIJNSF_6TensorESK_SK_EERKSK_lbbbEUlllE0_EEPmJS9_EEE10hipError_tPvRmT3_T4_T5_T6_T7_T9_mT8_P12ihipStream_tbDpT10_ENKUlT_T0_E_clISt17integral_constantIbLb0EES19_IbLb1EEEEDaS15_S16_EUlS15_E_NS1_11comp_targetILNS1_3genE2ELNS1_11target_archE906ELNS1_3gpuE6ELNS1_3repE0EEENS1_30default_config_static_selectorELNS0_4arch9wavefront6targetE1EEEvT1_,"axG",@progbits,_ZN7rocprim17ROCPRIM_400000_NS6detail17trampoline_kernelINS0_14default_configENS1_25partition_config_selectorILNS1_17partition_subalgoE9EllbEEZZNS1_14partition_implILS5_9ELb0ES3_jPlS8_PNS0_10empty_typeENS0_5tupleIJS8_S9_EEENSB_IJS8_SA_EEENS0_18inequality_wrapperIZN2at6native12_GLOBAL__N_124unique_dim_cuda_templateIfEESt5tupleIJNSF_6TensorESK_SK_EERKSK_lbbbEUlllE0_EEPmJS9_EEE10hipError_tPvRmT3_T4_T5_T6_T7_T9_mT8_P12ihipStream_tbDpT10_ENKUlT_T0_E_clISt17integral_constantIbLb0EES19_IbLb1EEEEDaS15_S16_EUlS15_E_NS1_11comp_targetILNS1_3genE2ELNS1_11target_archE906ELNS1_3gpuE6ELNS1_3repE0EEENS1_30default_config_static_selectorELNS0_4arch9wavefront6targetE1EEEvT1_,comdat
	.globl	_ZN7rocprim17ROCPRIM_400000_NS6detail17trampoline_kernelINS0_14default_configENS1_25partition_config_selectorILNS1_17partition_subalgoE9EllbEEZZNS1_14partition_implILS5_9ELb0ES3_jPlS8_PNS0_10empty_typeENS0_5tupleIJS8_S9_EEENSB_IJS8_SA_EEENS0_18inequality_wrapperIZN2at6native12_GLOBAL__N_124unique_dim_cuda_templateIfEESt5tupleIJNSF_6TensorESK_SK_EERKSK_lbbbEUlllE0_EEPmJS9_EEE10hipError_tPvRmT3_T4_T5_T6_T7_T9_mT8_P12ihipStream_tbDpT10_ENKUlT_T0_E_clISt17integral_constantIbLb0EES19_IbLb1EEEEDaS15_S16_EUlS15_E_NS1_11comp_targetILNS1_3genE2ELNS1_11target_archE906ELNS1_3gpuE6ELNS1_3repE0EEENS1_30default_config_static_selectorELNS0_4arch9wavefront6targetE1EEEvT1_ ; -- Begin function _ZN7rocprim17ROCPRIM_400000_NS6detail17trampoline_kernelINS0_14default_configENS1_25partition_config_selectorILNS1_17partition_subalgoE9EllbEEZZNS1_14partition_implILS5_9ELb0ES3_jPlS8_PNS0_10empty_typeENS0_5tupleIJS8_S9_EEENSB_IJS8_SA_EEENS0_18inequality_wrapperIZN2at6native12_GLOBAL__N_124unique_dim_cuda_templateIfEESt5tupleIJNSF_6TensorESK_SK_EERKSK_lbbbEUlllE0_EEPmJS9_EEE10hipError_tPvRmT3_T4_T5_T6_T7_T9_mT8_P12ihipStream_tbDpT10_ENKUlT_T0_E_clISt17integral_constantIbLb0EES19_IbLb1EEEEDaS15_S16_EUlS15_E_NS1_11comp_targetILNS1_3genE2ELNS1_11target_archE906ELNS1_3gpuE6ELNS1_3repE0EEENS1_30default_config_static_selectorELNS0_4arch9wavefront6targetE1EEEvT1_
	.p2align	8
	.type	_ZN7rocprim17ROCPRIM_400000_NS6detail17trampoline_kernelINS0_14default_configENS1_25partition_config_selectorILNS1_17partition_subalgoE9EllbEEZZNS1_14partition_implILS5_9ELb0ES3_jPlS8_PNS0_10empty_typeENS0_5tupleIJS8_S9_EEENSB_IJS8_SA_EEENS0_18inequality_wrapperIZN2at6native12_GLOBAL__N_124unique_dim_cuda_templateIfEESt5tupleIJNSF_6TensorESK_SK_EERKSK_lbbbEUlllE0_EEPmJS9_EEE10hipError_tPvRmT3_T4_T5_T6_T7_T9_mT8_P12ihipStream_tbDpT10_ENKUlT_T0_E_clISt17integral_constantIbLb0EES19_IbLb1EEEEDaS15_S16_EUlS15_E_NS1_11comp_targetILNS1_3genE2ELNS1_11target_archE906ELNS1_3gpuE6ELNS1_3repE0EEENS1_30default_config_static_selectorELNS0_4arch9wavefront6targetE1EEEvT1_,@function
_ZN7rocprim17ROCPRIM_400000_NS6detail17trampoline_kernelINS0_14default_configENS1_25partition_config_selectorILNS1_17partition_subalgoE9EllbEEZZNS1_14partition_implILS5_9ELb0ES3_jPlS8_PNS0_10empty_typeENS0_5tupleIJS8_S9_EEENSB_IJS8_SA_EEENS0_18inequality_wrapperIZN2at6native12_GLOBAL__N_124unique_dim_cuda_templateIfEESt5tupleIJNSF_6TensorESK_SK_EERKSK_lbbbEUlllE0_EEPmJS9_EEE10hipError_tPvRmT3_T4_T5_T6_T7_T9_mT8_P12ihipStream_tbDpT10_ENKUlT_T0_E_clISt17integral_constantIbLb0EES19_IbLb1EEEEDaS15_S16_EUlS15_E_NS1_11comp_targetILNS1_3genE2ELNS1_11target_archE906ELNS1_3gpuE6ELNS1_3repE0EEENS1_30default_config_static_selectorELNS0_4arch9wavefront6targetE1EEEvT1_: ; @_ZN7rocprim17ROCPRIM_400000_NS6detail17trampoline_kernelINS0_14default_configENS1_25partition_config_selectorILNS1_17partition_subalgoE9EllbEEZZNS1_14partition_implILS5_9ELb0ES3_jPlS8_PNS0_10empty_typeENS0_5tupleIJS8_S9_EEENSB_IJS8_SA_EEENS0_18inequality_wrapperIZN2at6native12_GLOBAL__N_124unique_dim_cuda_templateIfEESt5tupleIJNSF_6TensorESK_SK_EERKSK_lbbbEUlllE0_EEPmJS9_EEE10hipError_tPvRmT3_T4_T5_T6_T7_T9_mT8_P12ihipStream_tbDpT10_ENKUlT_T0_E_clISt17integral_constantIbLb0EES19_IbLb1EEEEDaS15_S16_EUlS15_E_NS1_11comp_targetILNS1_3genE2ELNS1_11target_archE906ELNS1_3gpuE6ELNS1_3repE0EEENS1_30default_config_static_selectorELNS0_4arch9wavefront6targetE1EEEvT1_
; %bb.0:
	.section	.rodata,"a",@progbits
	.p2align	6, 0x0
	.amdhsa_kernel _ZN7rocprim17ROCPRIM_400000_NS6detail17trampoline_kernelINS0_14default_configENS1_25partition_config_selectorILNS1_17partition_subalgoE9EllbEEZZNS1_14partition_implILS5_9ELb0ES3_jPlS8_PNS0_10empty_typeENS0_5tupleIJS8_S9_EEENSB_IJS8_SA_EEENS0_18inequality_wrapperIZN2at6native12_GLOBAL__N_124unique_dim_cuda_templateIfEESt5tupleIJNSF_6TensorESK_SK_EERKSK_lbbbEUlllE0_EEPmJS9_EEE10hipError_tPvRmT3_T4_T5_T6_T7_T9_mT8_P12ihipStream_tbDpT10_ENKUlT_T0_E_clISt17integral_constantIbLb0EES19_IbLb1EEEEDaS15_S16_EUlS15_E_NS1_11comp_targetILNS1_3genE2ELNS1_11target_archE906ELNS1_3gpuE6ELNS1_3repE0EEENS1_30default_config_static_selectorELNS0_4arch9wavefront6targetE1EEEvT1_
		.amdhsa_group_segment_fixed_size 0
		.amdhsa_private_segment_fixed_size 0
		.amdhsa_kernarg_size 136
		.amdhsa_user_sgpr_count 2
		.amdhsa_user_sgpr_dispatch_ptr 0
		.amdhsa_user_sgpr_queue_ptr 0
		.amdhsa_user_sgpr_kernarg_segment_ptr 1
		.amdhsa_user_sgpr_dispatch_id 0
		.amdhsa_user_sgpr_kernarg_preload_length 0
		.amdhsa_user_sgpr_kernarg_preload_offset 0
		.amdhsa_user_sgpr_private_segment_size 0
		.amdhsa_uses_dynamic_stack 0
		.amdhsa_enable_private_segment 0
		.amdhsa_system_sgpr_workgroup_id_x 1
		.amdhsa_system_sgpr_workgroup_id_y 0
		.amdhsa_system_sgpr_workgroup_id_z 0
		.amdhsa_system_sgpr_workgroup_info 0
		.amdhsa_system_vgpr_workitem_id 0
		.amdhsa_next_free_vgpr 1
		.amdhsa_next_free_sgpr 0
		.amdhsa_accum_offset 4
		.amdhsa_reserve_vcc 0
		.amdhsa_float_round_mode_32 0
		.amdhsa_float_round_mode_16_64 0
		.amdhsa_float_denorm_mode_32 3
		.amdhsa_float_denorm_mode_16_64 3
		.amdhsa_dx10_clamp 1
		.amdhsa_ieee_mode 1
		.amdhsa_fp16_overflow 0
		.amdhsa_tg_split 0
		.amdhsa_exception_fp_ieee_invalid_op 0
		.amdhsa_exception_fp_denorm_src 0
		.amdhsa_exception_fp_ieee_div_zero 0
		.amdhsa_exception_fp_ieee_overflow 0
		.amdhsa_exception_fp_ieee_underflow 0
		.amdhsa_exception_fp_ieee_inexact 0
		.amdhsa_exception_int_div_zero 0
	.end_amdhsa_kernel
	.section	.text._ZN7rocprim17ROCPRIM_400000_NS6detail17trampoline_kernelINS0_14default_configENS1_25partition_config_selectorILNS1_17partition_subalgoE9EllbEEZZNS1_14partition_implILS5_9ELb0ES3_jPlS8_PNS0_10empty_typeENS0_5tupleIJS8_S9_EEENSB_IJS8_SA_EEENS0_18inequality_wrapperIZN2at6native12_GLOBAL__N_124unique_dim_cuda_templateIfEESt5tupleIJNSF_6TensorESK_SK_EERKSK_lbbbEUlllE0_EEPmJS9_EEE10hipError_tPvRmT3_T4_T5_T6_T7_T9_mT8_P12ihipStream_tbDpT10_ENKUlT_T0_E_clISt17integral_constantIbLb0EES19_IbLb1EEEEDaS15_S16_EUlS15_E_NS1_11comp_targetILNS1_3genE2ELNS1_11target_archE906ELNS1_3gpuE6ELNS1_3repE0EEENS1_30default_config_static_selectorELNS0_4arch9wavefront6targetE1EEEvT1_,"axG",@progbits,_ZN7rocprim17ROCPRIM_400000_NS6detail17trampoline_kernelINS0_14default_configENS1_25partition_config_selectorILNS1_17partition_subalgoE9EllbEEZZNS1_14partition_implILS5_9ELb0ES3_jPlS8_PNS0_10empty_typeENS0_5tupleIJS8_S9_EEENSB_IJS8_SA_EEENS0_18inequality_wrapperIZN2at6native12_GLOBAL__N_124unique_dim_cuda_templateIfEESt5tupleIJNSF_6TensorESK_SK_EERKSK_lbbbEUlllE0_EEPmJS9_EEE10hipError_tPvRmT3_T4_T5_T6_T7_T9_mT8_P12ihipStream_tbDpT10_ENKUlT_T0_E_clISt17integral_constantIbLb0EES19_IbLb1EEEEDaS15_S16_EUlS15_E_NS1_11comp_targetILNS1_3genE2ELNS1_11target_archE906ELNS1_3gpuE6ELNS1_3repE0EEENS1_30default_config_static_selectorELNS0_4arch9wavefront6targetE1EEEvT1_,comdat
.Lfunc_end989:
	.size	_ZN7rocprim17ROCPRIM_400000_NS6detail17trampoline_kernelINS0_14default_configENS1_25partition_config_selectorILNS1_17partition_subalgoE9EllbEEZZNS1_14partition_implILS5_9ELb0ES3_jPlS8_PNS0_10empty_typeENS0_5tupleIJS8_S9_EEENSB_IJS8_SA_EEENS0_18inequality_wrapperIZN2at6native12_GLOBAL__N_124unique_dim_cuda_templateIfEESt5tupleIJNSF_6TensorESK_SK_EERKSK_lbbbEUlllE0_EEPmJS9_EEE10hipError_tPvRmT3_T4_T5_T6_T7_T9_mT8_P12ihipStream_tbDpT10_ENKUlT_T0_E_clISt17integral_constantIbLb0EES19_IbLb1EEEEDaS15_S16_EUlS15_E_NS1_11comp_targetILNS1_3genE2ELNS1_11target_archE906ELNS1_3gpuE6ELNS1_3repE0EEENS1_30default_config_static_selectorELNS0_4arch9wavefront6targetE1EEEvT1_, .Lfunc_end989-_ZN7rocprim17ROCPRIM_400000_NS6detail17trampoline_kernelINS0_14default_configENS1_25partition_config_selectorILNS1_17partition_subalgoE9EllbEEZZNS1_14partition_implILS5_9ELb0ES3_jPlS8_PNS0_10empty_typeENS0_5tupleIJS8_S9_EEENSB_IJS8_SA_EEENS0_18inequality_wrapperIZN2at6native12_GLOBAL__N_124unique_dim_cuda_templateIfEESt5tupleIJNSF_6TensorESK_SK_EERKSK_lbbbEUlllE0_EEPmJS9_EEE10hipError_tPvRmT3_T4_T5_T6_T7_T9_mT8_P12ihipStream_tbDpT10_ENKUlT_T0_E_clISt17integral_constantIbLb0EES19_IbLb1EEEEDaS15_S16_EUlS15_E_NS1_11comp_targetILNS1_3genE2ELNS1_11target_archE906ELNS1_3gpuE6ELNS1_3repE0EEENS1_30default_config_static_selectorELNS0_4arch9wavefront6targetE1EEEvT1_
                                        ; -- End function
	.set _ZN7rocprim17ROCPRIM_400000_NS6detail17trampoline_kernelINS0_14default_configENS1_25partition_config_selectorILNS1_17partition_subalgoE9EllbEEZZNS1_14partition_implILS5_9ELb0ES3_jPlS8_PNS0_10empty_typeENS0_5tupleIJS8_S9_EEENSB_IJS8_SA_EEENS0_18inequality_wrapperIZN2at6native12_GLOBAL__N_124unique_dim_cuda_templateIfEESt5tupleIJNSF_6TensorESK_SK_EERKSK_lbbbEUlllE0_EEPmJS9_EEE10hipError_tPvRmT3_T4_T5_T6_T7_T9_mT8_P12ihipStream_tbDpT10_ENKUlT_T0_E_clISt17integral_constantIbLb0EES19_IbLb1EEEEDaS15_S16_EUlS15_E_NS1_11comp_targetILNS1_3genE2ELNS1_11target_archE906ELNS1_3gpuE6ELNS1_3repE0EEENS1_30default_config_static_selectorELNS0_4arch9wavefront6targetE1EEEvT1_.num_vgpr, 0
	.set _ZN7rocprim17ROCPRIM_400000_NS6detail17trampoline_kernelINS0_14default_configENS1_25partition_config_selectorILNS1_17partition_subalgoE9EllbEEZZNS1_14partition_implILS5_9ELb0ES3_jPlS8_PNS0_10empty_typeENS0_5tupleIJS8_S9_EEENSB_IJS8_SA_EEENS0_18inequality_wrapperIZN2at6native12_GLOBAL__N_124unique_dim_cuda_templateIfEESt5tupleIJNSF_6TensorESK_SK_EERKSK_lbbbEUlllE0_EEPmJS9_EEE10hipError_tPvRmT3_T4_T5_T6_T7_T9_mT8_P12ihipStream_tbDpT10_ENKUlT_T0_E_clISt17integral_constantIbLb0EES19_IbLb1EEEEDaS15_S16_EUlS15_E_NS1_11comp_targetILNS1_3genE2ELNS1_11target_archE906ELNS1_3gpuE6ELNS1_3repE0EEENS1_30default_config_static_selectorELNS0_4arch9wavefront6targetE1EEEvT1_.num_agpr, 0
	.set _ZN7rocprim17ROCPRIM_400000_NS6detail17trampoline_kernelINS0_14default_configENS1_25partition_config_selectorILNS1_17partition_subalgoE9EllbEEZZNS1_14partition_implILS5_9ELb0ES3_jPlS8_PNS0_10empty_typeENS0_5tupleIJS8_S9_EEENSB_IJS8_SA_EEENS0_18inequality_wrapperIZN2at6native12_GLOBAL__N_124unique_dim_cuda_templateIfEESt5tupleIJNSF_6TensorESK_SK_EERKSK_lbbbEUlllE0_EEPmJS9_EEE10hipError_tPvRmT3_T4_T5_T6_T7_T9_mT8_P12ihipStream_tbDpT10_ENKUlT_T0_E_clISt17integral_constantIbLb0EES19_IbLb1EEEEDaS15_S16_EUlS15_E_NS1_11comp_targetILNS1_3genE2ELNS1_11target_archE906ELNS1_3gpuE6ELNS1_3repE0EEENS1_30default_config_static_selectorELNS0_4arch9wavefront6targetE1EEEvT1_.numbered_sgpr, 0
	.set _ZN7rocprim17ROCPRIM_400000_NS6detail17trampoline_kernelINS0_14default_configENS1_25partition_config_selectorILNS1_17partition_subalgoE9EllbEEZZNS1_14partition_implILS5_9ELb0ES3_jPlS8_PNS0_10empty_typeENS0_5tupleIJS8_S9_EEENSB_IJS8_SA_EEENS0_18inequality_wrapperIZN2at6native12_GLOBAL__N_124unique_dim_cuda_templateIfEESt5tupleIJNSF_6TensorESK_SK_EERKSK_lbbbEUlllE0_EEPmJS9_EEE10hipError_tPvRmT3_T4_T5_T6_T7_T9_mT8_P12ihipStream_tbDpT10_ENKUlT_T0_E_clISt17integral_constantIbLb0EES19_IbLb1EEEEDaS15_S16_EUlS15_E_NS1_11comp_targetILNS1_3genE2ELNS1_11target_archE906ELNS1_3gpuE6ELNS1_3repE0EEENS1_30default_config_static_selectorELNS0_4arch9wavefront6targetE1EEEvT1_.num_named_barrier, 0
	.set _ZN7rocprim17ROCPRIM_400000_NS6detail17trampoline_kernelINS0_14default_configENS1_25partition_config_selectorILNS1_17partition_subalgoE9EllbEEZZNS1_14partition_implILS5_9ELb0ES3_jPlS8_PNS0_10empty_typeENS0_5tupleIJS8_S9_EEENSB_IJS8_SA_EEENS0_18inequality_wrapperIZN2at6native12_GLOBAL__N_124unique_dim_cuda_templateIfEESt5tupleIJNSF_6TensorESK_SK_EERKSK_lbbbEUlllE0_EEPmJS9_EEE10hipError_tPvRmT3_T4_T5_T6_T7_T9_mT8_P12ihipStream_tbDpT10_ENKUlT_T0_E_clISt17integral_constantIbLb0EES19_IbLb1EEEEDaS15_S16_EUlS15_E_NS1_11comp_targetILNS1_3genE2ELNS1_11target_archE906ELNS1_3gpuE6ELNS1_3repE0EEENS1_30default_config_static_selectorELNS0_4arch9wavefront6targetE1EEEvT1_.private_seg_size, 0
	.set _ZN7rocprim17ROCPRIM_400000_NS6detail17trampoline_kernelINS0_14default_configENS1_25partition_config_selectorILNS1_17partition_subalgoE9EllbEEZZNS1_14partition_implILS5_9ELb0ES3_jPlS8_PNS0_10empty_typeENS0_5tupleIJS8_S9_EEENSB_IJS8_SA_EEENS0_18inequality_wrapperIZN2at6native12_GLOBAL__N_124unique_dim_cuda_templateIfEESt5tupleIJNSF_6TensorESK_SK_EERKSK_lbbbEUlllE0_EEPmJS9_EEE10hipError_tPvRmT3_T4_T5_T6_T7_T9_mT8_P12ihipStream_tbDpT10_ENKUlT_T0_E_clISt17integral_constantIbLb0EES19_IbLb1EEEEDaS15_S16_EUlS15_E_NS1_11comp_targetILNS1_3genE2ELNS1_11target_archE906ELNS1_3gpuE6ELNS1_3repE0EEENS1_30default_config_static_selectorELNS0_4arch9wavefront6targetE1EEEvT1_.uses_vcc, 0
	.set _ZN7rocprim17ROCPRIM_400000_NS6detail17trampoline_kernelINS0_14default_configENS1_25partition_config_selectorILNS1_17partition_subalgoE9EllbEEZZNS1_14partition_implILS5_9ELb0ES3_jPlS8_PNS0_10empty_typeENS0_5tupleIJS8_S9_EEENSB_IJS8_SA_EEENS0_18inequality_wrapperIZN2at6native12_GLOBAL__N_124unique_dim_cuda_templateIfEESt5tupleIJNSF_6TensorESK_SK_EERKSK_lbbbEUlllE0_EEPmJS9_EEE10hipError_tPvRmT3_T4_T5_T6_T7_T9_mT8_P12ihipStream_tbDpT10_ENKUlT_T0_E_clISt17integral_constantIbLb0EES19_IbLb1EEEEDaS15_S16_EUlS15_E_NS1_11comp_targetILNS1_3genE2ELNS1_11target_archE906ELNS1_3gpuE6ELNS1_3repE0EEENS1_30default_config_static_selectorELNS0_4arch9wavefront6targetE1EEEvT1_.uses_flat_scratch, 0
	.set _ZN7rocprim17ROCPRIM_400000_NS6detail17trampoline_kernelINS0_14default_configENS1_25partition_config_selectorILNS1_17partition_subalgoE9EllbEEZZNS1_14partition_implILS5_9ELb0ES3_jPlS8_PNS0_10empty_typeENS0_5tupleIJS8_S9_EEENSB_IJS8_SA_EEENS0_18inequality_wrapperIZN2at6native12_GLOBAL__N_124unique_dim_cuda_templateIfEESt5tupleIJNSF_6TensorESK_SK_EERKSK_lbbbEUlllE0_EEPmJS9_EEE10hipError_tPvRmT3_T4_T5_T6_T7_T9_mT8_P12ihipStream_tbDpT10_ENKUlT_T0_E_clISt17integral_constantIbLb0EES19_IbLb1EEEEDaS15_S16_EUlS15_E_NS1_11comp_targetILNS1_3genE2ELNS1_11target_archE906ELNS1_3gpuE6ELNS1_3repE0EEENS1_30default_config_static_selectorELNS0_4arch9wavefront6targetE1EEEvT1_.has_dyn_sized_stack, 0
	.set _ZN7rocprim17ROCPRIM_400000_NS6detail17trampoline_kernelINS0_14default_configENS1_25partition_config_selectorILNS1_17partition_subalgoE9EllbEEZZNS1_14partition_implILS5_9ELb0ES3_jPlS8_PNS0_10empty_typeENS0_5tupleIJS8_S9_EEENSB_IJS8_SA_EEENS0_18inequality_wrapperIZN2at6native12_GLOBAL__N_124unique_dim_cuda_templateIfEESt5tupleIJNSF_6TensorESK_SK_EERKSK_lbbbEUlllE0_EEPmJS9_EEE10hipError_tPvRmT3_T4_T5_T6_T7_T9_mT8_P12ihipStream_tbDpT10_ENKUlT_T0_E_clISt17integral_constantIbLb0EES19_IbLb1EEEEDaS15_S16_EUlS15_E_NS1_11comp_targetILNS1_3genE2ELNS1_11target_archE906ELNS1_3gpuE6ELNS1_3repE0EEENS1_30default_config_static_selectorELNS0_4arch9wavefront6targetE1EEEvT1_.has_recursion, 0
	.set _ZN7rocprim17ROCPRIM_400000_NS6detail17trampoline_kernelINS0_14default_configENS1_25partition_config_selectorILNS1_17partition_subalgoE9EllbEEZZNS1_14partition_implILS5_9ELb0ES3_jPlS8_PNS0_10empty_typeENS0_5tupleIJS8_S9_EEENSB_IJS8_SA_EEENS0_18inequality_wrapperIZN2at6native12_GLOBAL__N_124unique_dim_cuda_templateIfEESt5tupleIJNSF_6TensorESK_SK_EERKSK_lbbbEUlllE0_EEPmJS9_EEE10hipError_tPvRmT3_T4_T5_T6_T7_T9_mT8_P12ihipStream_tbDpT10_ENKUlT_T0_E_clISt17integral_constantIbLb0EES19_IbLb1EEEEDaS15_S16_EUlS15_E_NS1_11comp_targetILNS1_3genE2ELNS1_11target_archE906ELNS1_3gpuE6ELNS1_3repE0EEENS1_30default_config_static_selectorELNS0_4arch9wavefront6targetE1EEEvT1_.has_indirect_call, 0
	.section	.AMDGPU.csdata,"",@progbits
; Kernel info:
; codeLenInByte = 0
; TotalNumSgprs: 6
; NumVgprs: 0
; NumAgprs: 0
; TotalNumVgprs: 0
; ScratchSize: 0
; MemoryBound: 0
; FloatMode: 240
; IeeeMode: 1
; LDSByteSize: 0 bytes/workgroup (compile time only)
; SGPRBlocks: 0
; VGPRBlocks: 0
; NumSGPRsForWavesPerEU: 6
; NumVGPRsForWavesPerEU: 1
; AccumOffset: 4
; Occupancy: 8
; WaveLimiterHint : 0
; COMPUTE_PGM_RSRC2:SCRATCH_EN: 0
; COMPUTE_PGM_RSRC2:USER_SGPR: 2
; COMPUTE_PGM_RSRC2:TRAP_HANDLER: 0
; COMPUTE_PGM_RSRC2:TGID_X_EN: 1
; COMPUTE_PGM_RSRC2:TGID_Y_EN: 0
; COMPUTE_PGM_RSRC2:TGID_Z_EN: 0
; COMPUTE_PGM_RSRC2:TIDIG_COMP_CNT: 0
; COMPUTE_PGM_RSRC3_GFX90A:ACCUM_OFFSET: 0
; COMPUTE_PGM_RSRC3_GFX90A:TG_SPLIT: 0
	.section	.text._ZN7rocprim17ROCPRIM_400000_NS6detail17trampoline_kernelINS0_14default_configENS1_25partition_config_selectorILNS1_17partition_subalgoE9EllbEEZZNS1_14partition_implILS5_9ELb0ES3_jPlS8_PNS0_10empty_typeENS0_5tupleIJS8_S9_EEENSB_IJS8_SA_EEENS0_18inequality_wrapperIZN2at6native12_GLOBAL__N_124unique_dim_cuda_templateIfEESt5tupleIJNSF_6TensorESK_SK_EERKSK_lbbbEUlllE0_EEPmJS9_EEE10hipError_tPvRmT3_T4_T5_T6_T7_T9_mT8_P12ihipStream_tbDpT10_ENKUlT_T0_E_clISt17integral_constantIbLb0EES19_IbLb1EEEEDaS15_S16_EUlS15_E_NS1_11comp_targetILNS1_3genE10ELNS1_11target_archE1200ELNS1_3gpuE4ELNS1_3repE0EEENS1_30default_config_static_selectorELNS0_4arch9wavefront6targetE1EEEvT1_,"axG",@progbits,_ZN7rocprim17ROCPRIM_400000_NS6detail17trampoline_kernelINS0_14default_configENS1_25partition_config_selectorILNS1_17partition_subalgoE9EllbEEZZNS1_14partition_implILS5_9ELb0ES3_jPlS8_PNS0_10empty_typeENS0_5tupleIJS8_S9_EEENSB_IJS8_SA_EEENS0_18inequality_wrapperIZN2at6native12_GLOBAL__N_124unique_dim_cuda_templateIfEESt5tupleIJNSF_6TensorESK_SK_EERKSK_lbbbEUlllE0_EEPmJS9_EEE10hipError_tPvRmT3_T4_T5_T6_T7_T9_mT8_P12ihipStream_tbDpT10_ENKUlT_T0_E_clISt17integral_constantIbLb0EES19_IbLb1EEEEDaS15_S16_EUlS15_E_NS1_11comp_targetILNS1_3genE10ELNS1_11target_archE1200ELNS1_3gpuE4ELNS1_3repE0EEENS1_30default_config_static_selectorELNS0_4arch9wavefront6targetE1EEEvT1_,comdat
	.globl	_ZN7rocprim17ROCPRIM_400000_NS6detail17trampoline_kernelINS0_14default_configENS1_25partition_config_selectorILNS1_17partition_subalgoE9EllbEEZZNS1_14partition_implILS5_9ELb0ES3_jPlS8_PNS0_10empty_typeENS0_5tupleIJS8_S9_EEENSB_IJS8_SA_EEENS0_18inequality_wrapperIZN2at6native12_GLOBAL__N_124unique_dim_cuda_templateIfEESt5tupleIJNSF_6TensorESK_SK_EERKSK_lbbbEUlllE0_EEPmJS9_EEE10hipError_tPvRmT3_T4_T5_T6_T7_T9_mT8_P12ihipStream_tbDpT10_ENKUlT_T0_E_clISt17integral_constantIbLb0EES19_IbLb1EEEEDaS15_S16_EUlS15_E_NS1_11comp_targetILNS1_3genE10ELNS1_11target_archE1200ELNS1_3gpuE4ELNS1_3repE0EEENS1_30default_config_static_selectorELNS0_4arch9wavefront6targetE1EEEvT1_ ; -- Begin function _ZN7rocprim17ROCPRIM_400000_NS6detail17trampoline_kernelINS0_14default_configENS1_25partition_config_selectorILNS1_17partition_subalgoE9EllbEEZZNS1_14partition_implILS5_9ELb0ES3_jPlS8_PNS0_10empty_typeENS0_5tupleIJS8_S9_EEENSB_IJS8_SA_EEENS0_18inequality_wrapperIZN2at6native12_GLOBAL__N_124unique_dim_cuda_templateIfEESt5tupleIJNSF_6TensorESK_SK_EERKSK_lbbbEUlllE0_EEPmJS9_EEE10hipError_tPvRmT3_T4_T5_T6_T7_T9_mT8_P12ihipStream_tbDpT10_ENKUlT_T0_E_clISt17integral_constantIbLb0EES19_IbLb1EEEEDaS15_S16_EUlS15_E_NS1_11comp_targetILNS1_3genE10ELNS1_11target_archE1200ELNS1_3gpuE4ELNS1_3repE0EEENS1_30default_config_static_selectorELNS0_4arch9wavefront6targetE1EEEvT1_
	.p2align	8
	.type	_ZN7rocprim17ROCPRIM_400000_NS6detail17trampoline_kernelINS0_14default_configENS1_25partition_config_selectorILNS1_17partition_subalgoE9EllbEEZZNS1_14partition_implILS5_9ELb0ES3_jPlS8_PNS0_10empty_typeENS0_5tupleIJS8_S9_EEENSB_IJS8_SA_EEENS0_18inequality_wrapperIZN2at6native12_GLOBAL__N_124unique_dim_cuda_templateIfEESt5tupleIJNSF_6TensorESK_SK_EERKSK_lbbbEUlllE0_EEPmJS9_EEE10hipError_tPvRmT3_T4_T5_T6_T7_T9_mT8_P12ihipStream_tbDpT10_ENKUlT_T0_E_clISt17integral_constantIbLb0EES19_IbLb1EEEEDaS15_S16_EUlS15_E_NS1_11comp_targetILNS1_3genE10ELNS1_11target_archE1200ELNS1_3gpuE4ELNS1_3repE0EEENS1_30default_config_static_selectorELNS0_4arch9wavefront6targetE1EEEvT1_,@function
_ZN7rocprim17ROCPRIM_400000_NS6detail17trampoline_kernelINS0_14default_configENS1_25partition_config_selectorILNS1_17partition_subalgoE9EllbEEZZNS1_14partition_implILS5_9ELb0ES3_jPlS8_PNS0_10empty_typeENS0_5tupleIJS8_S9_EEENSB_IJS8_SA_EEENS0_18inequality_wrapperIZN2at6native12_GLOBAL__N_124unique_dim_cuda_templateIfEESt5tupleIJNSF_6TensorESK_SK_EERKSK_lbbbEUlllE0_EEPmJS9_EEE10hipError_tPvRmT3_T4_T5_T6_T7_T9_mT8_P12ihipStream_tbDpT10_ENKUlT_T0_E_clISt17integral_constantIbLb0EES19_IbLb1EEEEDaS15_S16_EUlS15_E_NS1_11comp_targetILNS1_3genE10ELNS1_11target_archE1200ELNS1_3gpuE4ELNS1_3repE0EEENS1_30default_config_static_selectorELNS0_4arch9wavefront6targetE1EEEvT1_: ; @_ZN7rocprim17ROCPRIM_400000_NS6detail17trampoline_kernelINS0_14default_configENS1_25partition_config_selectorILNS1_17partition_subalgoE9EllbEEZZNS1_14partition_implILS5_9ELb0ES3_jPlS8_PNS0_10empty_typeENS0_5tupleIJS8_S9_EEENSB_IJS8_SA_EEENS0_18inequality_wrapperIZN2at6native12_GLOBAL__N_124unique_dim_cuda_templateIfEESt5tupleIJNSF_6TensorESK_SK_EERKSK_lbbbEUlllE0_EEPmJS9_EEE10hipError_tPvRmT3_T4_T5_T6_T7_T9_mT8_P12ihipStream_tbDpT10_ENKUlT_T0_E_clISt17integral_constantIbLb0EES19_IbLb1EEEEDaS15_S16_EUlS15_E_NS1_11comp_targetILNS1_3genE10ELNS1_11target_archE1200ELNS1_3gpuE4ELNS1_3repE0EEENS1_30default_config_static_selectorELNS0_4arch9wavefront6targetE1EEEvT1_
; %bb.0:
	.section	.rodata,"a",@progbits
	.p2align	6, 0x0
	.amdhsa_kernel _ZN7rocprim17ROCPRIM_400000_NS6detail17trampoline_kernelINS0_14default_configENS1_25partition_config_selectorILNS1_17partition_subalgoE9EllbEEZZNS1_14partition_implILS5_9ELb0ES3_jPlS8_PNS0_10empty_typeENS0_5tupleIJS8_S9_EEENSB_IJS8_SA_EEENS0_18inequality_wrapperIZN2at6native12_GLOBAL__N_124unique_dim_cuda_templateIfEESt5tupleIJNSF_6TensorESK_SK_EERKSK_lbbbEUlllE0_EEPmJS9_EEE10hipError_tPvRmT3_T4_T5_T6_T7_T9_mT8_P12ihipStream_tbDpT10_ENKUlT_T0_E_clISt17integral_constantIbLb0EES19_IbLb1EEEEDaS15_S16_EUlS15_E_NS1_11comp_targetILNS1_3genE10ELNS1_11target_archE1200ELNS1_3gpuE4ELNS1_3repE0EEENS1_30default_config_static_selectorELNS0_4arch9wavefront6targetE1EEEvT1_
		.amdhsa_group_segment_fixed_size 0
		.amdhsa_private_segment_fixed_size 0
		.amdhsa_kernarg_size 136
		.amdhsa_user_sgpr_count 2
		.amdhsa_user_sgpr_dispatch_ptr 0
		.amdhsa_user_sgpr_queue_ptr 0
		.amdhsa_user_sgpr_kernarg_segment_ptr 1
		.amdhsa_user_sgpr_dispatch_id 0
		.amdhsa_user_sgpr_kernarg_preload_length 0
		.amdhsa_user_sgpr_kernarg_preload_offset 0
		.amdhsa_user_sgpr_private_segment_size 0
		.amdhsa_uses_dynamic_stack 0
		.amdhsa_enable_private_segment 0
		.amdhsa_system_sgpr_workgroup_id_x 1
		.amdhsa_system_sgpr_workgroup_id_y 0
		.amdhsa_system_sgpr_workgroup_id_z 0
		.amdhsa_system_sgpr_workgroup_info 0
		.amdhsa_system_vgpr_workitem_id 0
		.amdhsa_next_free_vgpr 1
		.amdhsa_next_free_sgpr 0
		.amdhsa_accum_offset 4
		.amdhsa_reserve_vcc 0
		.amdhsa_float_round_mode_32 0
		.amdhsa_float_round_mode_16_64 0
		.amdhsa_float_denorm_mode_32 3
		.amdhsa_float_denorm_mode_16_64 3
		.amdhsa_dx10_clamp 1
		.amdhsa_ieee_mode 1
		.amdhsa_fp16_overflow 0
		.amdhsa_tg_split 0
		.amdhsa_exception_fp_ieee_invalid_op 0
		.amdhsa_exception_fp_denorm_src 0
		.amdhsa_exception_fp_ieee_div_zero 0
		.amdhsa_exception_fp_ieee_overflow 0
		.amdhsa_exception_fp_ieee_underflow 0
		.amdhsa_exception_fp_ieee_inexact 0
		.amdhsa_exception_int_div_zero 0
	.end_amdhsa_kernel
	.section	.text._ZN7rocprim17ROCPRIM_400000_NS6detail17trampoline_kernelINS0_14default_configENS1_25partition_config_selectorILNS1_17partition_subalgoE9EllbEEZZNS1_14partition_implILS5_9ELb0ES3_jPlS8_PNS0_10empty_typeENS0_5tupleIJS8_S9_EEENSB_IJS8_SA_EEENS0_18inequality_wrapperIZN2at6native12_GLOBAL__N_124unique_dim_cuda_templateIfEESt5tupleIJNSF_6TensorESK_SK_EERKSK_lbbbEUlllE0_EEPmJS9_EEE10hipError_tPvRmT3_T4_T5_T6_T7_T9_mT8_P12ihipStream_tbDpT10_ENKUlT_T0_E_clISt17integral_constantIbLb0EES19_IbLb1EEEEDaS15_S16_EUlS15_E_NS1_11comp_targetILNS1_3genE10ELNS1_11target_archE1200ELNS1_3gpuE4ELNS1_3repE0EEENS1_30default_config_static_selectorELNS0_4arch9wavefront6targetE1EEEvT1_,"axG",@progbits,_ZN7rocprim17ROCPRIM_400000_NS6detail17trampoline_kernelINS0_14default_configENS1_25partition_config_selectorILNS1_17partition_subalgoE9EllbEEZZNS1_14partition_implILS5_9ELb0ES3_jPlS8_PNS0_10empty_typeENS0_5tupleIJS8_S9_EEENSB_IJS8_SA_EEENS0_18inequality_wrapperIZN2at6native12_GLOBAL__N_124unique_dim_cuda_templateIfEESt5tupleIJNSF_6TensorESK_SK_EERKSK_lbbbEUlllE0_EEPmJS9_EEE10hipError_tPvRmT3_T4_T5_T6_T7_T9_mT8_P12ihipStream_tbDpT10_ENKUlT_T0_E_clISt17integral_constantIbLb0EES19_IbLb1EEEEDaS15_S16_EUlS15_E_NS1_11comp_targetILNS1_3genE10ELNS1_11target_archE1200ELNS1_3gpuE4ELNS1_3repE0EEENS1_30default_config_static_selectorELNS0_4arch9wavefront6targetE1EEEvT1_,comdat
.Lfunc_end990:
	.size	_ZN7rocprim17ROCPRIM_400000_NS6detail17trampoline_kernelINS0_14default_configENS1_25partition_config_selectorILNS1_17partition_subalgoE9EllbEEZZNS1_14partition_implILS5_9ELb0ES3_jPlS8_PNS0_10empty_typeENS0_5tupleIJS8_S9_EEENSB_IJS8_SA_EEENS0_18inequality_wrapperIZN2at6native12_GLOBAL__N_124unique_dim_cuda_templateIfEESt5tupleIJNSF_6TensorESK_SK_EERKSK_lbbbEUlllE0_EEPmJS9_EEE10hipError_tPvRmT3_T4_T5_T6_T7_T9_mT8_P12ihipStream_tbDpT10_ENKUlT_T0_E_clISt17integral_constantIbLb0EES19_IbLb1EEEEDaS15_S16_EUlS15_E_NS1_11comp_targetILNS1_3genE10ELNS1_11target_archE1200ELNS1_3gpuE4ELNS1_3repE0EEENS1_30default_config_static_selectorELNS0_4arch9wavefront6targetE1EEEvT1_, .Lfunc_end990-_ZN7rocprim17ROCPRIM_400000_NS6detail17trampoline_kernelINS0_14default_configENS1_25partition_config_selectorILNS1_17partition_subalgoE9EllbEEZZNS1_14partition_implILS5_9ELb0ES3_jPlS8_PNS0_10empty_typeENS0_5tupleIJS8_S9_EEENSB_IJS8_SA_EEENS0_18inequality_wrapperIZN2at6native12_GLOBAL__N_124unique_dim_cuda_templateIfEESt5tupleIJNSF_6TensorESK_SK_EERKSK_lbbbEUlllE0_EEPmJS9_EEE10hipError_tPvRmT3_T4_T5_T6_T7_T9_mT8_P12ihipStream_tbDpT10_ENKUlT_T0_E_clISt17integral_constantIbLb0EES19_IbLb1EEEEDaS15_S16_EUlS15_E_NS1_11comp_targetILNS1_3genE10ELNS1_11target_archE1200ELNS1_3gpuE4ELNS1_3repE0EEENS1_30default_config_static_selectorELNS0_4arch9wavefront6targetE1EEEvT1_
                                        ; -- End function
	.set _ZN7rocprim17ROCPRIM_400000_NS6detail17trampoline_kernelINS0_14default_configENS1_25partition_config_selectorILNS1_17partition_subalgoE9EllbEEZZNS1_14partition_implILS5_9ELb0ES3_jPlS8_PNS0_10empty_typeENS0_5tupleIJS8_S9_EEENSB_IJS8_SA_EEENS0_18inequality_wrapperIZN2at6native12_GLOBAL__N_124unique_dim_cuda_templateIfEESt5tupleIJNSF_6TensorESK_SK_EERKSK_lbbbEUlllE0_EEPmJS9_EEE10hipError_tPvRmT3_T4_T5_T6_T7_T9_mT8_P12ihipStream_tbDpT10_ENKUlT_T0_E_clISt17integral_constantIbLb0EES19_IbLb1EEEEDaS15_S16_EUlS15_E_NS1_11comp_targetILNS1_3genE10ELNS1_11target_archE1200ELNS1_3gpuE4ELNS1_3repE0EEENS1_30default_config_static_selectorELNS0_4arch9wavefront6targetE1EEEvT1_.num_vgpr, 0
	.set _ZN7rocprim17ROCPRIM_400000_NS6detail17trampoline_kernelINS0_14default_configENS1_25partition_config_selectorILNS1_17partition_subalgoE9EllbEEZZNS1_14partition_implILS5_9ELb0ES3_jPlS8_PNS0_10empty_typeENS0_5tupleIJS8_S9_EEENSB_IJS8_SA_EEENS0_18inequality_wrapperIZN2at6native12_GLOBAL__N_124unique_dim_cuda_templateIfEESt5tupleIJNSF_6TensorESK_SK_EERKSK_lbbbEUlllE0_EEPmJS9_EEE10hipError_tPvRmT3_T4_T5_T6_T7_T9_mT8_P12ihipStream_tbDpT10_ENKUlT_T0_E_clISt17integral_constantIbLb0EES19_IbLb1EEEEDaS15_S16_EUlS15_E_NS1_11comp_targetILNS1_3genE10ELNS1_11target_archE1200ELNS1_3gpuE4ELNS1_3repE0EEENS1_30default_config_static_selectorELNS0_4arch9wavefront6targetE1EEEvT1_.num_agpr, 0
	.set _ZN7rocprim17ROCPRIM_400000_NS6detail17trampoline_kernelINS0_14default_configENS1_25partition_config_selectorILNS1_17partition_subalgoE9EllbEEZZNS1_14partition_implILS5_9ELb0ES3_jPlS8_PNS0_10empty_typeENS0_5tupleIJS8_S9_EEENSB_IJS8_SA_EEENS0_18inequality_wrapperIZN2at6native12_GLOBAL__N_124unique_dim_cuda_templateIfEESt5tupleIJNSF_6TensorESK_SK_EERKSK_lbbbEUlllE0_EEPmJS9_EEE10hipError_tPvRmT3_T4_T5_T6_T7_T9_mT8_P12ihipStream_tbDpT10_ENKUlT_T0_E_clISt17integral_constantIbLb0EES19_IbLb1EEEEDaS15_S16_EUlS15_E_NS1_11comp_targetILNS1_3genE10ELNS1_11target_archE1200ELNS1_3gpuE4ELNS1_3repE0EEENS1_30default_config_static_selectorELNS0_4arch9wavefront6targetE1EEEvT1_.numbered_sgpr, 0
	.set _ZN7rocprim17ROCPRIM_400000_NS6detail17trampoline_kernelINS0_14default_configENS1_25partition_config_selectorILNS1_17partition_subalgoE9EllbEEZZNS1_14partition_implILS5_9ELb0ES3_jPlS8_PNS0_10empty_typeENS0_5tupleIJS8_S9_EEENSB_IJS8_SA_EEENS0_18inequality_wrapperIZN2at6native12_GLOBAL__N_124unique_dim_cuda_templateIfEESt5tupleIJNSF_6TensorESK_SK_EERKSK_lbbbEUlllE0_EEPmJS9_EEE10hipError_tPvRmT3_T4_T5_T6_T7_T9_mT8_P12ihipStream_tbDpT10_ENKUlT_T0_E_clISt17integral_constantIbLb0EES19_IbLb1EEEEDaS15_S16_EUlS15_E_NS1_11comp_targetILNS1_3genE10ELNS1_11target_archE1200ELNS1_3gpuE4ELNS1_3repE0EEENS1_30default_config_static_selectorELNS0_4arch9wavefront6targetE1EEEvT1_.num_named_barrier, 0
	.set _ZN7rocprim17ROCPRIM_400000_NS6detail17trampoline_kernelINS0_14default_configENS1_25partition_config_selectorILNS1_17partition_subalgoE9EllbEEZZNS1_14partition_implILS5_9ELb0ES3_jPlS8_PNS0_10empty_typeENS0_5tupleIJS8_S9_EEENSB_IJS8_SA_EEENS0_18inequality_wrapperIZN2at6native12_GLOBAL__N_124unique_dim_cuda_templateIfEESt5tupleIJNSF_6TensorESK_SK_EERKSK_lbbbEUlllE0_EEPmJS9_EEE10hipError_tPvRmT3_T4_T5_T6_T7_T9_mT8_P12ihipStream_tbDpT10_ENKUlT_T0_E_clISt17integral_constantIbLb0EES19_IbLb1EEEEDaS15_S16_EUlS15_E_NS1_11comp_targetILNS1_3genE10ELNS1_11target_archE1200ELNS1_3gpuE4ELNS1_3repE0EEENS1_30default_config_static_selectorELNS0_4arch9wavefront6targetE1EEEvT1_.private_seg_size, 0
	.set _ZN7rocprim17ROCPRIM_400000_NS6detail17trampoline_kernelINS0_14default_configENS1_25partition_config_selectorILNS1_17partition_subalgoE9EllbEEZZNS1_14partition_implILS5_9ELb0ES3_jPlS8_PNS0_10empty_typeENS0_5tupleIJS8_S9_EEENSB_IJS8_SA_EEENS0_18inequality_wrapperIZN2at6native12_GLOBAL__N_124unique_dim_cuda_templateIfEESt5tupleIJNSF_6TensorESK_SK_EERKSK_lbbbEUlllE0_EEPmJS9_EEE10hipError_tPvRmT3_T4_T5_T6_T7_T9_mT8_P12ihipStream_tbDpT10_ENKUlT_T0_E_clISt17integral_constantIbLb0EES19_IbLb1EEEEDaS15_S16_EUlS15_E_NS1_11comp_targetILNS1_3genE10ELNS1_11target_archE1200ELNS1_3gpuE4ELNS1_3repE0EEENS1_30default_config_static_selectorELNS0_4arch9wavefront6targetE1EEEvT1_.uses_vcc, 0
	.set _ZN7rocprim17ROCPRIM_400000_NS6detail17trampoline_kernelINS0_14default_configENS1_25partition_config_selectorILNS1_17partition_subalgoE9EllbEEZZNS1_14partition_implILS5_9ELb0ES3_jPlS8_PNS0_10empty_typeENS0_5tupleIJS8_S9_EEENSB_IJS8_SA_EEENS0_18inequality_wrapperIZN2at6native12_GLOBAL__N_124unique_dim_cuda_templateIfEESt5tupleIJNSF_6TensorESK_SK_EERKSK_lbbbEUlllE0_EEPmJS9_EEE10hipError_tPvRmT3_T4_T5_T6_T7_T9_mT8_P12ihipStream_tbDpT10_ENKUlT_T0_E_clISt17integral_constantIbLb0EES19_IbLb1EEEEDaS15_S16_EUlS15_E_NS1_11comp_targetILNS1_3genE10ELNS1_11target_archE1200ELNS1_3gpuE4ELNS1_3repE0EEENS1_30default_config_static_selectorELNS0_4arch9wavefront6targetE1EEEvT1_.uses_flat_scratch, 0
	.set _ZN7rocprim17ROCPRIM_400000_NS6detail17trampoline_kernelINS0_14default_configENS1_25partition_config_selectorILNS1_17partition_subalgoE9EllbEEZZNS1_14partition_implILS5_9ELb0ES3_jPlS8_PNS0_10empty_typeENS0_5tupleIJS8_S9_EEENSB_IJS8_SA_EEENS0_18inequality_wrapperIZN2at6native12_GLOBAL__N_124unique_dim_cuda_templateIfEESt5tupleIJNSF_6TensorESK_SK_EERKSK_lbbbEUlllE0_EEPmJS9_EEE10hipError_tPvRmT3_T4_T5_T6_T7_T9_mT8_P12ihipStream_tbDpT10_ENKUlT_T0_E_clISt17integral_constantIbLb0EES19_IbLb1EEEEDaS15_S16_EUlS15_E_NS1_11comp_targetILNS1_3genE10ELNS1_11target_archE1200ELNS1_3gpuE4ELNS1_3repE0EEENS1_30default_config_static_selectorELNS0_4arch9wavefront6targetE1EEEvT1_.has_dyn_sized_stack, 0
	.set _ZN7rocprim17ROCPRIM_400000_NS6detail17trampoline_kernelINS0_14default_configENS1_25partition_config_selectorILNS1_17partition_subalgoE9EllbEEZZNS1_14partition_implILS5_9ELb0ES3_jPlS8_PNS0_10empty_typeENS0_5tupleIJS8_S9_EEENSB_IJS8_SA_EEENS0_18inequality_wrapperIZN2at6native12_GLOBAL__N_124unique_dim_cuda_templateIfEESt5tupleIJNSF_6TensorESK_SK_EERKSK_lbbbEUlllE0_EEPmJS9_EEE10hipError_tPvRmT3_T4_T5_T6_T7_T9_mT8_P12ihipStream_tbDpT10_ENKUlT_T0_E_clISt17integral_constantIbLb0EES19_IbLb1EEEEDaS15_S16_EUlS15_E_NS1_11comp_targetILNS1_3genE10ELNS1_11target_archE1200ELNS1_3gpuE4ELNS1_3repE0EEENS1_30default_config_static_selectorELNS0_4arch9wavefront6targetE1EEEvT1_.has_recursion, 0
	.set _ZN7rocprim17ROCPRIM_400000_NS6detail17trampoline_kernelINS0_14default_configENS1_25partition_config_selectorILNS1_17partition_subalgoE9EllbEEZZNS1_14partition_implILS5_9ELb0ES3_jPlS8_PNS0_10empty_typeENS0_5tupleIJS8_S9_EEENSB_IJS8_SA_EEENS0_18inequality_wrapperIZN2at6native12_GLOBAL__N_124unique_dim_cuda_templateIfEESt5tupleIJNSF_6TensorESK_SK_EERKSK_lbbbEUlllE0_EEPmJS9_EEE10hipError_tPvRmT3_T4_T5_T6_T7_T9_mT8_P12ihipStream_tbDpT10_ENKUlT_T0_E_clISt17integral_constantIbLb0EES19_IbLb1EEEEDaS15_S16_EUlS15_E_NS1_11comp_targetILNS1_3genE10ELNS1_11target_archE1200ELNS1_3gpuE4ELNS1_3repE0EEENS1_30default_config_static_selectorELNS0_4arch9wavefront6targetE1EEEvT1_.has_indirect_call, 0
	.section	.AMDGPU.csdata,"",@progbits
; Kernel info:
; codeLenInByte = 0
; TotalNumSgprs: 6
; NumVgprs: 0
; NumAgprs: 0
; TotalNumVgprs: 0
; ScratchSize: 0
; MemoryBound: 0
; FloatMode: 240
; IeeeMode: 1
; LDSByteSize: 0 bytes/workgroup (compile time only)
; SGPRBlocks: 0
; VGPRBlocks: 0
; NumSGPRsForWavesPerEU: 6
; NumVGPRsForWavesPerEU: 1
; AccumOffset: 4
; Occupancy: 8
; WaveLimiterHint : 0
; COMPUTE_PGM_RSRC2:SCRATCH_EN: 0
; COMPUTE_PGM_RSRC2:USER_SGPR: 2
; COMPUTE_PGM_RSRC2:TRAP_HANDLER: 0
; COMPUTE_PGM_RSRC2:TGID_X_EN: 1
; COMPUTE_PGM_RSRC2:TGID_Y_EN: 0
; COMPUTE_PGM_RSRC2:TGID_Z_EN: 0
; COMPUTE_PGM_RSRC2:TIDIG_COMP_CNT: 0
; COMPUTE_PGM_RSRC3_GFX90A:ACCUM_OFFSET: 0
; COMPUTE_PGM_RSRC3_GFX90A:TG_SPLIT: 0
	.section	.text._ZN7rocprim17ROCPRIM_400000_NS6detail17trampoline_kernelINS0_14default_configENS1_25partition_config_selectorILNS1_17partition_subalgoE9EllbEEZZNS1_14partition_implILS5_9ELb0ES3_jPlS8_PNS0_10empty_typeENS0_5tupleIJS8_S9_EEENSB_IJS8_SA_EEENS0_18inequality_wrapperIZN2at6native12_GLOBAL__N_124unique_dim_cuda_templateIfEESt5tupleIJNSF_6TensorESK_SK_EERKSK_lbbbEUlllE0_EEPmJS9_EEE10hipError_tPvRmT3_T4_T5_T6_T7_T9_mT8_P12ihipStream_tbDpT10_ENKUlT_T0_E_clISt17integral_constantIbLb0EES19_IbLb1EEEEDaS15_S16_EUlS15_E_NS1_11comp_targetILNS1_3genE9ELNS1_11target_archE1100ELNS1_3gpuE3ELNS1_3repE0EEENS1_30default_config_static_selectorELNS0_4arch9wavefront6targetE1EEEvT1_,"axG",@progbits,_ZN7rocprim17ROCPRIM_400000_NS6detail17trampoline_kernelINS0_14default_configENS1_25partition_config_selectorILNS1_17partition_subalgoE9EllbEEZZNS1_14partition_implILS5_9ELb0ES3_jPlS8_PNS0_10empty_typeENS0_5tupleIJS8_S9_EEENSB_IJS8_SA_EEENS0_18inequality_wrapperIZN2at6native12_GLOBAL__N_124unique_dim_cuda_templateIfEESt5tupleIJNSF_6TensorESK_SK_EERKSK_lbbbEUlllE0_EEPmJS9_EEE10hipError_tPvRmT3_T4_T5_T6_T7_T9_mT8_P12ihipStream_tbDpT10_ENKUlT_T0_E_clISt17integral_constantIbLb0EES19_IbLb1EEEEDaS15_S16_EUlS15_E_NS1_11comp_targetILNS1_3genE9ELNS1_11target_archE1100ELNS1_3gpuE3ELNS1_3repE0EEENS1_30default_config_static_selectorELNS0_4arch9wavefront6targetE1EEEvT1_,comdat
	.globl	_ZN7rocprim17ROCPRIM_400000_NS6detail17trampoline_kernelINS0_14default_configENS1_25partition_config_selectorILNS1_17partition_subalgoE9EllbEEZZNS1_14partition_implILS5_9ELb0ES3_jPlS8_PNS0_10empty_typeENS0_5tupleIJS8_S9_EEENSB_IJS8_SA_EEENS0_18inequality_wrapperIZN2at6native12_GLOBAL__N_124unique_dim_cuda_templateIfEESt5tupleIJNSF_6TensorESK_SK_EERKSK_lbbbEUlllE0_EEPmJS9_EEE10hipError_tPvRmT3_T4_T5_T6_T7_T9_mT8_P12ihipStream_tbDpT10_ENKUlT_T0_E_clISt17integral_constantIbLb0EES19_IbLb1EEEEDaS15_S16_EUlS15_E_NS1_11comp_targetILNS1_3genE9ELNS1_11target_archE1100ELNS1_3gpuE3ELNS1_3repE0EEENS1_30default_config_static_selectorELNS0_4arch9wavefront6targetE1EEEvT1_ ; -- Begin function _ZN7rocprim17ROCPRIM_400000_NS6detail17trampoline_kernelINS0_14default_configENS1_25partition_config_selectorILNS1_17partition_subalgoE9EllbEEZZNS1_14partition_implILS5_9ELb0ES3_jPlS8_PNS0_10empty_typeENS0_5tupleIJS8_S9_EEENSB_IJS8_SA_EEENS0_18inequality_wrapperIZN2at6native12_GLOBAL__N_124unique_dim_cuda_templateIfEESt5tupleIJNSF_6TensorESK_SK_EERKSK_lbbbEUlllE0_EEPmJS9_EEE10hipError_tPvRmT3_T4_T5_T6_T7_T9_mT8_P12ihipStream_tbDpT10_ENKUlT_T0_E_clISt17integral_constantIbLb0EES19_IbLb1EEEEDaS15_S16_EUlS15_E_NS1_11comp_targetILNS1_3genE9ELNS1_11target_archE1100ELNS1_3gpuE3ELNS1_3repE0EEENS1_30default_config_static_selectorELNS0_4arch9wavefront6targetE1EEEvT1_
	.p2align	8
	.type	_ZN7rocprim17ROCPRIM_400000_NS6detail17trampoline_kernelINS0_14default_configENS1_25partition_config_selectorILNS1_17partition_subalgoE9EllbEEZZNS1_14partition_implILS5_9ELb0ES3_jPlS8_PNS0_10empty_typeENS0_5tupleIJS8_S9_EEENSB_IJS8_SA_EEENS0_18inequality_wrapperIZN2at6native12_GLOBAL__N_124unique_dim_cuda_templateIfEESt5tupleIJNSF_6TensorESK_SK_EERKSK_lbbbEUlllE0_EEPmJS9_EEE10hipError_tPvRmT3_T4_T5_T6_T7_T9_mT8_P12ihipStream_tbDpT10_ENKUlT_T0_E_clISt17integral_constantIbLb0EES19_IbLb1EEEEDaS15_S16_EUlS15_E_NS1_11comp_targetILNS1_3genE9ELNS1_11target_archE1100ELNS1_3gpuE3ELNS1_3repE0EEENS1_30default_config_static_selectorELNS0_4arch9wavefront6targetE1EEEvT1_,@function
_ZN7rocprim17ROCPRIM_400000_NS6detail17trampoline_kernelINS0_14default_configENS1_25partition_config_selectorILNS1_17partition_subalgoE9EllbEEZZNS1_14partition_implILS5_9ELb0ES3_jPlS8_PNS0_10empty_typeENS0_5tupleIJS8_S9_EEENSB_IJS8_SA_EEENS0_18inequality_wrapperIZN2at6native12_GLOBAL__N_124unique_dim_cuda_templateIfEESt5tupleIJNSF_6TensorESK_SK_EERKSK_lbbbEUlllE0_EEPmJS9_EEE10hipError_tPvRmT3_T4_T5_T6_T7_T9_mT8_P12ihipStream_tbDpT10_ENKUlT_T0_E_clISt17integral_constantIbLb0EES19_IbLb1EEEEDaS15_S16_EUlS15_E_NS1_11comp_targetILNS1_3genE9ELNS1_11target_archE1100ELNS1_3gpuE3ELNS1_3repE0EEENS1_30default_config_static_selectorELNS0_4arch9wavefront6targetE1EEEvT1_: ; @_ZN7rocprim17ROCPRIM_400000_NS6detail17trampoline_kernelINS0_14default_configENS1_25partition_config_selectorILNS1_17partition_subalgoE9EllbEEZZNS1_14partition_implILS5_9ELb0ES3_jPlS8_PNS0_10empty_typeENS0_5tupleIJS8_S9_EEENSB_IJS8_SA_EEENS0_18inequality_wrapperIZN2at6native12_GLOBAL__N_124unique_dim_cuda_templateIfEESt5tupleIJNSF_6TensorESK_SK_EERKSK_lbbbEUlllE0_EEPmJS9_EEE10hipError_tPvRmT3_T4_T5_T6_T7_T9_mT8_P12ihipStream_tbDpT10_ENKUlT_T0_E_clISt17integral_constantIbLb0EES19_IbLb1EEEEDaS15_S16_EUlS15_E_NS1_11comp_targetILNS1_3genE9ELNS1_11target_archE1100ELNS1_3gpuE3ELNS1_3repE0EEENS1_30default_config_static_selectorELNS0_4arch9wavefront6targetE1EEEvT1_
; %bb.0:
	.section	.rodata,"a",@progbits
	.p2align	6, 0x0
	.amdhsa_kernel _ZN7rocprim17ROCPRIM_400000_NS6detail17trampoline_kernelINS0_14default_configENS1_25partition_config_selectorILNS1_17partition_subalgoE9EllbEEZZNS1_14partition_implILS5_9ELb0ES3_jPlS8_PNS0_10empty_typeENS0_5tupleIJS8_S9_EEENSB_IJS8_SA_EEENS0_18inequality_wrapperIZN2at6native12_GLOBAL__N_124unique_dim_cuda_templateIfEESt5tupleIJNSF_6TensorESK_SK_EERKSK_lbbbEUlllE0_EEPmJS9_EEE10hipError_tPvRmT3_T4_T5_T6_T7_T9_mT8_P12ihipStream_tbDpT10_ENKUlT_T0_E_clISt17integral_constantIbLb0EES19_IbLb1EEEEDaS15_S16_EUlS15_E_NS1_11comp_targetILNS1_3genE9ELNS1_11target_archE1100ELNS1_3gpuE3ELNS1_3repE0EEENS1_30default_config_static_selectorELNS0_4arch9wavefront6targetE1EEEvT1_
		.amdhsa_group_segment_fixed_size 0
		.amdhsa_private_segment_fixed_size 0
		.amdhsa_kernarg_size 136
		.amdhsa_user_sgpr_count 2
		.amdhsa_user_sgpr_dispatch_ptr 0
		.amdhsa_user_sgpr_queue_ptr 0
		.amdhsa_user_sgpr_kernarg_segment_ptr 1
		.amdhsa_user_sgpr_dispatch_id 0
		.amdhsa_user_sgpr_kernarg_preload_length 0
		.amdhsa_user_sgpr_kernarg_preload_offset 0
		.amdhsa_user_sgpr_private_segment_size 0
		.amdhsa_uses_dynamic_stack 0
		.amdhsa_enable_private_segment 0
		.amdhsa_system_sgpr_workgroup_id_x 1
		.amdhsa_system_sgpr_workgroup_id_y 0
		.amdhsa_system_sgpr_workgroup_id_z 0
		.amdhsa_system_sgpr_workgroup_info 0
		.amdhsa_system_vgpr_workitem_id 0
		.amdhsa_next_free_vgpr 1
		.amdhsa_next_free_sgpr 0
		.amdhsa_accum_offset 4
		.amdhsa_reserve_vcc 0
		.amdhsa_float_round_mode_32 0
		.amdhsa_float_round_mode_16_64 0
		.amdhsa_float_denorm_mode_32 3
		.amdhsa_float_denorm_mode_16_64 3
		.amdhsa_dx10_clamp 1
		.amdhsa_ieee_mode 1
		.amdhsa_fp16_overflow 0
		.amdhsa_tg_split 0
		.amdhsa_exception_fp_ieee_invalid_op 0
		.amdhsa_exception_fp_denorm_src 0
		.amdhsa_exception_fp_ieee_div_zero 0
		.amdhsa_exception_fp_ieee_overflow 0
		.amdhsa_exception_fp_ieee_underflow 0
		.amdhsa_exception_fp_ieee_inexact 0
		.amdhsa_exception_int_div_zero 0
	.end_amdhsa_kernel
	.section	.text._ZN7rocprim17ROCPRIM_400000_NS6detail17trampoline_kernelINS0_14default_configENS1_25partition_config_selectorILNS1_17partition_subalgoE9EllbEEZZNS1_14partition_implILS5_9ELb0ES3_jPlS8_PNS0_10empty_typeENS0_5tupleIJS8_S9_EEENSB_IJS8_SA_EEENS0_18inequality_wrapperIZN2at6native12_GLOBAL__N_124unique_dim_cuda_templateIfEESt5tupleIJNSF_6TensorESK_SK_EERKSK_lbbbEUlllE0_EEPmJS9_EEE10hipError_tPvRmT3_T4_T5_T6_T7_T9_mT8_P12ihipStream_tbDpT10_ENKUlT_T0_E_clISt17integral_constantIbLb0EES19_IbLb1EEEEDaS15_S16_EUlS15_E_NS1_11comp_targetILNS1_3genE9ELNS1_11target_archE1100ELNS1_3gpuE3ELNS1_3repE0EEENS1_30default_config_static_selectorELNS0_4arch9wavefront6targetE1EEEvT1_,"axG",@progbits,_ZN7rocprim17ROCPRIM_400000_NS6detail17trampoline_kernelINS0_14default_configENS1_25partition_config_selectorILNS1_17partition_subalgoE9EllbEEZZNS1_14partition_implILS5_9ELb0ES3_jPlS8_PNS0_10empty_typeENS0_5tupleIJS8_S9_EEENSB_IJS8_SA_EEENS0_18inequality_wrapperIZN2at6native12_GLOBAL__N_124unique_dim_cuda_templateIfEESt5tupleIJNSF_6TensorESK_SK_EERKSK_lbbbEUlllE0_EEPmJS9_EEE10hipError_tPvRmT3_T4_T5_T6_T7_T9_mT8_P12ihipStream_tbDpT10_ENKUlT_T0_E_clISt17integral_constantIbLb0EES19_IbLb1EEEEDaS15_S16_EUlS15_E_NS1_11comp_targetILNS1_3genE9ELNS1_11target_archE1100ELNS1_3gpuE3ELNS1_3repE0EEENS1_30default_config_static_selectorELNS0_4arch9wavefront6targetE1EEEvT1_,comdat
.Lfunc_end991:
	.size	_ZN7rocprim17ROCPRIM_400000_NS6detail17trampoline_kernelINS0_14default_configENS1_25partition_config_selectorILNS1_17partition_subalgoE9EllbEEZZNS1_14partition_implILS5_9ELb0ES3_jPlS8_PNS0_10empty_typeENS0_5tupleIJS8_S9_EEENSB_IJS8_SA_EEENS0_18inequality_wrapperIZN2at6native12_GLOBAL__N_124unique_dim_cuda_templateIfEESt5tupleIJNSF_6TensorESK_SK_EERKSK_lbbbEUlllE0_EEPmJS9_EEE10hipError_tPvRmT3_T4_T5_T6_T7_T9_mT8_P12ihipStream_tbDpT10_ENKUlT_T0_E_clISt17integral_constantIbLb0EES19_IbLb1EEEEDaS15_S16_EUlS15_E_NS1_11comp_targetILNS1_3genE9ELNS1_11target_archE1100ELNS1_3gpuE3ELNS1_3repE0EEENS1_30default_config_static_selectorELNS0_4arch9wavefront6targetE1EEEvT1_, .Lfunc_end991-_ZN7rocprim17ROCPRIM_400000_NS6detail17trampoline_kernelINS0_14default_configENS1_25partition_config_selectorILNS1_17partition_subalgoE9EllbEEZZNS1_14partition_implILS5_9ELb0ES3_jPlS8_PNS0_10empty_typeENS0_5tupleIJS8_S9_EEENSB_IJS8_SA_EEENS0_18inequality_wrapperIZN2at6native12_GLOBAL__N_124unique_dim_cuda_templateIfEESt5tupleIJNSF_6TensorESK_SK_EERKSK_lbbbEUlllE0_EEPmJS9_EEE10hipError_tPvRmT3_T4_T5_T6_T7_T9_mT8_P12ihipStream_tbDpT10_ENKUlT_T0_E_clISt17integral_constantIbLb0EES19_IbLb1EEEEDaS15_S16_EUlS15_E_NS1_11comp_targetILNS1_3genE9ELNS1_11target_archE1100ELNS1_3gpuE3ELNS1_3repE0EEENS1_30default_config_static_selectorELNS0_4arch9wavefront6targetE1EEEvT1_
                                        ; -- End function
	.set _ZN7rocprim17ROCPRIM_400000_NS6detail17trampoline_kernelINS0_14default_configENS1_25partition_config_selectorILNS1_17partition_subalgoE9EllbEEZZNS1_14partition_implILS5_9ELb0ES3_jPlS8_PNS0_10empty_typeENS0_5tupleIJS8_S9_EEENSB_IJS8_SA_EEENS0_18inequality_wrapperIZN2at6native12_GLOBAL__N_124unique_dim_cuda_templateIfEESt5tupleIJNSF_6TensorESK_SK_EERKSK_lbbbEUlllE0_EEPmJS9_EEE10hipError_tPvRmT3_T4_T5_T6_T7_T9_mT8_P12ihipStream_tbDpT10_ENKUlT_T0_E_clISt17integral_constantIbLb0EES19_IbLb1EEEEDaS15_S16_EUlS15_E_NS1_11comp_targetILNS1_3genE9ELNS1_11target_archE1100ELNS1_3gpuE3ELNS1_3repE0EEENS1_30default_config_static_selectorELNS0_4arch9wavefront6targetE1EEEvT1_.num_vgpr, 0
	.set _ZN7rocprim17ROCPRIM_400000_NS6detail17trampoline_kernelINS0_14default_configENS1_25partition_config_selectorILNS1_17partition_subalgoE9EllbEEZZNS1_14partition_implILS5_9ELb0ES3_jPlS8_PNS0_10empty_typeENS0_5tupleIJS8_S9_EEENSB_IJS8_SA_EEENS0_18inequality_wrapperIZN2at6native12_GLOBAL__N_124unique_dim_cuda_templateIfEESt5tupleIJNSF_6TensorESK_SK_EERKSK_lbbbEUlllE0_EEPmJS9_EEE10hipError_tPvRmT3_T4_T5_T6_T7_T9_mT8_P12ihipStream_tbDpT10_ENKUlT_T0_E_clISt17integral_constantIbLb0EES19_IbLb1EEEEDaS15_S16_EUlS15_E_NS1_11comp_targetILNS1_3genE9ELNS1_11target_archE1100ELNS1_3gpuE3ELNS1_3repE0EEENS1_30default_config_static_selectorELNS0_4arch9wavefront6targetE1EEEvT1_.num_agpr, 0
	.set _ZN7rocprim17ROCPRIM_400000_NS6detail17trampoline_kernelINS0_14default_configENS1_25partition_config_selectorILNS1_17partition_subalgoE9EllbEEZZNS1_14partition_implILS5_9ELb0ES3_jPlS8_PNS0_10empty_typeENS0_5tupleIJS8_S9_EEENSB_IJS8_SA_EEENS0_18inequality_wrapperIZN2at6native12_GLOBAL__N_124unique_dim_cuda_templateIfEESt5tupleIJNSF_6TensorESK_SK_EERKSK_lbbbEUlllE0_EEPmJS9_EEE10hipError_tPvRmT3_T4_T5_T6_T7_T9_mT8_P12ihipStream_tbDpT10_ENKUlT_T0_E_clISt17integral_constantIbLb0EES19_IbLb1EEEEDaS15_S16_EUlS15_E_NS1_11comp_targetILNS1_3genE9ELNS1_11target_archE1100ELNS1_3gpuE3ELNS1_3repE0EEENS1_30default_config_static_selectorELNS0_4arch9wavefront6targetE1EEEvT1_.numbered_sgpr, 0
	.set _ZN7rocprim17ROCPRIM_400000_NS6detail17trampoline_kernelINS0_14default_configENS1_25partition_config_selectorILNS1_17partition_subalgoE9EllbEEZZNS1_14partition_implILS5_9ELb0ES3_jPlS8_PNS0_10empty_typeENS0_5tupleIJS8_S9_EEENSB_IJS8_SA_EEENS0_18inequality_wrapperIZN2at6native12_GLOBAL__N_124unique_dim_cuda_templateIfEESt5tupleIJNSF_6TensorESK_SK_EERKSK_lbbbEUlllE0_EEPmJS9_EEE10hipError_tPvRmT3_T4_T5_T6_T7_T9_mT8_P12ihipStream_tbDpT10_ENKUlT_T0_E_clISt17integral_constantIbLb0EES19_IbLb1EEEEDaS15_S16_EUlS15_E_NS1_11comp_targetILNS1_3genE9ELNS1_11target_archE1100ELNS1_3gpuE3ELNS1_3repE0EEENS1_30default_config_static_selectorELNS0_4arch9wavefront6targetE1EEEvT1_.num_named_barrier, 0
	.set _ZN7rocprim17ROCPRIM_400000_NS6detail17trampoline_kernelINS0_14default_configENS1_25partition_config_selectorILNS1_17partition_subalgoE9EllbEEZZNS1_14partition_implILS5_9ELb0ES3_jPlS8_PNS0_10empty_typeENS0_5tupleIJS8_S9_EEENSB_IJS8_SA_EEENS0_18inequality_wrapperIZN2at6native12_GLOBAL__N_124unique_dim_cuda_templateIfEESt5tupleIJNSF_6TensorESK_SK_EERKSK_lbbbEUlllE0_EEPmJS9_EEE10hipError_tPvRmT3_T4_T5_T6_T7_T9_mT8_P12ihipStream_tbDpT10_ENKUlT_T0_E_clISt17integral_constantIbLb0EES19_IbLb1EEEEDaS15_S16_EUlS15_E_NS1_11comp_targetILNS1_3genE9ELNS1_11target_archE1100ELNS1_3gpuE3ELNS1_3repE0EEENS1_30default_config_static_selectorELNS0_4arch9wavefront6targetE1EEEvT1_.private_seg_size, 0
	.set _ZN7rocprim17ROCPRIM_400000_NS6detail17trampoline_kernelINS0_14default_configENS1_25partition_config_selectorILNS1_17partition_subalgoE9EllbEEZZNS1_14partition_implILS5_9ELb0ES3_jPlS8_PNS0_10empty_typeENS0_5tupleIJS8_S9_EEENSB_IJS8_SA_EEENS0_18inequality_wrapperIZN2at6native12_GLOBAL__N_124unique_dim_cuda_templateIfEESt5tupleIJNSF_6TensorESK_SK_EERKSK_lbbbEUlllE0_EEPmJS9_EEE10hipError_tPvRmT3_T4_T5_T6_T7_T9_mT8_P12ihipStream_tbDpT10_ENKUlT_T0_E_clISt17integral_constantIbLb0EES19_IbLb1EEEEDaS15_S16_EUlS15_E_NS1_11comp_targetILNS1_3genE9ELNS1_11target_archE1100ELNS1_3gpuE3ELNS1_3repE0EEENS1_30default_config_static_selectorELNS0_4arch9wavefront6targetE1EEEvT1_.uses_vcc, 0
	.set _ZN7rocprim17ROCPRIM_400000_NS6detail17trampoline_kernelINS0_14default_configENS1_25partition_config_selectorILNS1_17partition_subalgoE9EllbEEZZNS1_14partition_implILS5_9ELb0ES3_jPlS8_PNS0_10empty_typeENS0_5tupleIJS8_S9_EEENSB_IJS8_SA_EEENS0_18inequality_wrapperIZN2at6native12_GLOBAL__N_124unique_dim_cuda_templateIfEESt5tupleIJNSF_6TensorESK_SK_EERKSK_lbbbEUlllE0_EEPmJS9_EEE10hipError_tPvRmT3_T4_T5_T6_T7_T9_mT8_P12ihipStream_tbDpT10_ENKUlT_T0_E_clISt17integral_constantIbLb0EES19_IbLb1EEEEDaS15_S16_EUlS15_E_NS1_11comp_targetILNS1_3genE9ELNS1_11target_archE1100ELNS1_3gpuE3ELNS1_3repE0EEENS1_30default_config_static_selectorELNS0_4arch9wavefront6targetE1EEEvT1_.uses_flat_scratch, 0
	.set _ZN7rocprim17ROCPRIM_400000_NS6detail17trampoline_kernelINS0_14default_configENS1_25partition_config_selectorILNS1_17partition_subalgoE9EllbEEZZNS1_14partition_implILS5_9ELb0ES3_jPlS8_PNS0_10empty_typeENS0_5tupleIJS8_S9_EEENSB_IJS8_SA_EEENS0_18inequality_wrapperIZN2at6native12_GLOBAL__N_124unique_dim_cuda_templateIfEESt5tupleIJNSF_6TensorESK_SK_EERKSK_lbbbEUlllE0_EEPmJS9_EEE10hipError_tPvRmT3_T4_T5_T6_T7_T9_mT8_P12ihipStream_tbDpT10_ENKUlT_T0_E_clISt17integral_constantIbLb0EES19_IbLb1EEEEDaS15_S16_EUlS15_E_NS1_11comp_targetILNS1_3genE9ELNS1_11target_archE1100ELNS1_3gpuE3ELNS1_3repE0EEENS1_30default_config_static_selectorELNS0_4arch9wavefront6targetE1EEEvT1_.has_dyn_sized_stack, 0
	.set _ZN7rocprim17ROCPRIM_400000_NS6detail17trampoline_kernelINS0_14default_configENS1_25partition_config_selectorILNS1_17partition_subalgoE9EllbEEZZNS1_14partition_implILS5_9ELb0ES3_jPlS8_PNS0_10empty_typeENS0_5tupleIJS8_S9_EEENSB_IJS8_SA_EEENS0_18inequality_wrapperIZN2at6native12_GLOBAL__N_124unique_dim_cuda_templateIfEESt5tupleIJNSF_6TensorESK_SK_EERKSK_lbbbEUlllE0_EEPmJS9_EEE10hipError_tPvRmT3_T4_T5_T6_T7_T9_mT8_P12ihipStream_tbDpT10_ENKUlT_T0_E_clISt17integral_constantIbLb0EES19_IbLb1EEEEDaS15_S16_EUlS15_E_NS1_11comp_targetILNS1_3genE9ELNS1_11target_archE1100ELNS1_3gpuE3ELNS1_3repE0EEENS1_30default_config_static_selectorELNS0_4arch9wavefront6targetE1EEEvT1_.has_recursion, 0
	.set _ZN7rocprim17ROCPRIM_400000_NS6detail17trampoline_kernelINS0_14default_configENS1_25partition_config_selectorILNS1_17partition_subalgoE9EllbEEZZNS1_14partition_implILS5_9ELb0ES3_jPlS8_PNS0_10empty_typeENS0_5tupleIJS8_S9_EEENSB_IJS8_SA_EEENS0_18inequality_wrapperIZN2at6native12_GLOBAL__N_124unique_dim_cuda_templateIfEESt5tupleIJNSF_6TensorESK_SK_EERKSK_lbbbEUlllE0_EEPmJS9_EEE10hipError_tPvRmT3_T4_T5_T6_T7_T9_mT8_P12ihipStream_tbDpT10_ENKUlT_T0_E_clISt17integral_constantIbLb0EES19_IbLb1EEEEDaS15_S16_EUlS15_E_NS1_11comp_targetILNS1_3genE9ELNS1_11target_archE1100ELNS1_3gpuE3ELNS1_3repE0EEENS1_30default_config_static_selectorELNS0_4arch9wavefront6targetE1EEEvT1_.has_indirect_call, 0
	.section	.AMDGPU.csdata,"",@progbits
; Kernel info:
; codeLenInByte = 0
; TotalNumSgprs: 6
; NumVgprs: 0
; NumAgprs: 0
; TotalNumVgprs: 0
; ScratchSize: 0
; MemoryBound: 0
; FloatMode: 240
; IeeeMode: 1
; LDSByteSize: 0 bytes/workgroup (compile time only)
; SGPRBlocks: 0
; VGPRBlocks: 0
; NumSGPRsForWavesPerEU: 6
; NumVGPRsForWavesPerEU: 1
; AccumOffset: 4
; Occupancy: 8
; WaveLimiterHint : 0
; COMPUTE_PGM_RSRC2:SCRATCH_EN: 0
; COMPUTE_PGM_RSRC2:USER_SGPR: 2
; COMPUTE_PGM_RSRC2:TRAP_HANDLER: 0
; COMPUTE_PGM_RSRC2:TGID_X_EN: 1
; COMPUTE_PGM_RSRC2:TGID_Y_EN: 0
; COMPUTE_PGM_RSRC2:TGID_Z_EN: 0
; COMPUTE_PGM_RSRC2:TIDIG_COMP_CNT: 0
; COMPUTE_PGM_RSRC3_GFX90A:ACCUM_OFFSET: 0
; COMPUTE_PGM_RSRC3_GFX90A:TG_SPLIT: 0
	.section	.text._ZN7rocprim17ROCPRIM_400000_NS6detail17trampoline_kernelINS0_14default_configENS1_25partition_config_selectorILNS1_17partition_subalgoE9EllbEEZZNS1_14partition_implILS5_9ELb0ES3_jPlS8_PNS0_10empty_typeENS0_5tupleIJS8_S9_EEENSB_IJS8_SA_EEENS0_18inequality_wrapperIZN2at6native12_GLOBAL__N_124unique_dim_cuda_templateIfEESt5tupleIJNSF_6TensorESK_SK_EERKSK_lbbbEUlllE0_EEPmJS9_EEE10hipError_tPvRmT3_T4_T5_T6_T7_T9_mT8_P12ihipStream_tbDpT10_ENKUlT_T0_E_clISt17integral_constantIbLb0EES19_IbLb1EEEEDaS15_S16_EUlS15_E_NS1_11comp_targetILNS1_3genE8ELNS1_11target_archE1030ELNS1_3gpuE2ELNS1_3repE0EEENS1_30default_config_static_selectorELNS0_4arch9wavefront6targetE1EEEvT1_,"axG",@progbits,_ZN7rocprim17ROCPRIM_400000_NS6detail17trampoline_kernelINS0_14default_configENS1_25partition_config_selectorILNS1_17partition_subalgoE9EllbEEZZNS1_14partition_implILS5_9ELb0ES3_jPlS8_PNS0_10empty_typeENS0_5tupleIJS8_S9_EEENSB_IJS8_SA_EEENS0_18inequality_wrapperIZN2at6native12_GLOBAL__N_124unique_dim_cuda_templateIfEESt5tupleIJNSF_6TensorESK_SK_EERKSK_lbbbEUlllE0_EEPmJS9_EEE10hipError_tPvRmT3_T4_T5_T6_T7_T9_mT8_P12ihipStream_tbDpT10_ENKUlT_T0_E_clISt17integral_constantIbLb0EES19_IbLb1EEEEDaS15_S16_EUlS15_E_NS1_11comp_targetILNS1_3genE8ELNS1_11target_archE1030ELNS1_3gpuE2ELNS1_3repE0EEENS1_30default_config_static_selectorELNS0_4arch9wavefront6targetE1EEEvT1_,comdat
	.globl	_ZN7rocprim17ROCPRIM_400000_NS6detail17trampoline_kernelINS0_14default_configENS1_25partition_config_selectorILNS1_17partition_subalgoE9EllbEEZZNS1_14partition_implILS5_9ELb0ES3_jPlS8_PNS0_10empty_typeENS0_5tupleIJS8_S9_EEENSB_IJS8_SA_EEENS0_18inequality_wrapperIZN2at6native12_GLOBAL__N_124unique_dim_cuda_templateIfEESt5tupleIJNSF_6TensorESK_SK_EERKSK_lbbbEUlllE0_EEPmJS9_EEE10hipError_tPvRmT3_T4_T5_T6_T7_T9_mT8_P12ihipStream_tbDpT10_ENKUlT_T0_E_clISt17integral_constantIbLb0EES19_IbLb1EEEEDaS15_S16_EUlS15_E_NS1_11comp_targetILNS1_3genE8ELNS1_11target_archE1030ELNS1_3gpuE2ELNS1_3repE0EEENS1_30default_config_static_selectorELNS0_4arch9wavefront6targetE1EEEvT1_ ; -- Begin function _ZN7rocprim17ROCPRIM_400000_NS6detail17trampoline_kernelINS0_14default_configENS1_25partition_config_selectorILNS1_17partition_subalgoE9EllbEEZZNS1_14partition_implILS5_9ELb0ES3_jPlS8_PNS0_10empty_typeENS0_5tupleIJS8_S9_EEENSB_IJS8_SA_EEENS0_18inequality_wrapperIZN2at6native12_GLOBAL__N_124unique_dim_cuda_templateIfEESt5tupleIJNSF_6TensorESK_SK_EERKSK_lbbbEUlllE0_EEPmJS9_EEE10hipError_tPvRmT3_T4_T5_T6_T7_T9_mT8_P12ihipStream_tbDpT10_ENKUlT_T0_E_clISt17integral_constantIbLb0EES19_IbLb1EEEEDaS15_S16_EUlS15_E_NS1_11comp_targetILNS1_3genE8ELNS1_11target_archE1030ELNS1_3gpuE2ELNS1_3repE0EEENS1_30default_config_static_selectorELNS0_4arch9wavefront6targetE1EEEvT1_
	.p2align	8
	.type	_ZN7rocprim17ROCPRIM_400000_NS6detail17trampoline_kernelINS0_14default_configENS1_25partition_config_selectorILNS1_17partition_subalgoE9EllbEEZZNS1_14partition_implILS5_9ELb0ES3_jPlS8_PNS0_10empty_typeENS0_5tupleIJS8_S9_EEENSB_IJS8_SA_EEENS0_18inequality_wrapperIZN2at6native12_GLOBAL__N_124unique_dim_cuda_templateIfEESt5tupleIJNSF_6TensorESK_SK_EERKSK_lbbbEUlllE0_EEPmJS9_EEE10hipError_tPvRmT3_T4_T5_T6_T7_T9_mT8_P12ihipStream_tbDpT10_ENKUlT_T0_E_clISt17integral_constantIbLb0EES19_IbLb1EEEEDaS15_S16_EUlS15_E_NS1_11comp_targetILNS1_3genE8ELNS1_11target_archE1030ELNS1_3gpuE2ELNS1_3repE0EEENS1_30default_config_static_selectorELNS0_4arch9wavefront6targetE1EEEvT1_,@function
_ZN7rocprim17ROCPRIM_400000_NS6detail17trampoline_kernelINS0_14default_configENS1_25partition_config_selectorILNS1_17partition_subalgoE9EllbEEZZNS1_14partition_implILS5_9ELb0ES3_jPlS8_PNS0_10empty_typeENS0_5tupleIJS8_S9_EEENSB_IJS8_SA_EEENS0_18inequality_wrapperIZN2at6native12_GLOBAL__N_124unique_dim_cuda_templateIfEESt5tupleIJNSF_6TensorESK_SK_EERKSK_lbbbEUlllE0_EEPmJS9_EEE10hipError_tPvRmT3_T4_T5_T6_T7_T9_mT8_P12ihipStream_tbDpT10_ENKUlT_T0_E_clISt17integral_constantIbLb0EES19_IbLb1EEEEDaS15_S16_EUlS15_E_NS1_11comp_targetILNS1_3genE8ELNS1_11target_archE1030ELNS1_3gpuE2ELNS1_3repE0EEENS1_30default_config_static_selectorELNS0_4arch9wavefront6targetE1EEEvT1_: ; @_ZN7rocprim17ROCPRIM_400000_NS6detail17trampoline_kernelINS0_14default_configENS1_25partition_config_selectorILNS1_17partition_subalgoE9EllbEEZZNS1_14partition_implILS5_9ELb0ES3_jPlS8_PNS0_10empty_typeENS0_5tupleIJS8_S9_EEENSB_IJS8_SA_EEENS0_18inequality_wrapperIZN2at6native12_GLOBAL__N_124unique_dim_cuda_templateIfEESt5tupleIJNSF_6TensorESK_SK_EERKSK_lbbbEUlllE0_EEPmJS9_EEE10hipError_tPvRmT3_T4_T5_T6_T7_T9_mT8_P12ihipStream_tbDpT10_ENKUlT_T0_E_clISt17integral_constantIbLb0EES19_IbLb1EEEEDaS15_S16_EUlS15_E_NS1_11comp_targetILNS1_3genE8ELNS1_11target_archE1030ELNS1_3gpuE2ELNS1_3repE0EEENS1_30default_config_static_selectorELNS0_4arch9wavefront6targetE1EEEvT1_
; %bb.0:
	.section	.rodata,"a",@progbits
	.p2align	6, 0x0
	.amdhsa_kernel _ZN7rocprim17ROCPRIM_400000_NS6detail17trampoline_kernelINS0_14default_configENS1_25partition_config_selectorILNS1_17partition_subalgoE9EllbEEZZNS1_14partition_implILS5_9ELb0ES3_jPlS8_PNS0_10empty_typeENS0_5tupleIJS8_S9_EEENSB_IJS8_SA_EEENS0_18inequality_wrapperIZN2at6native12_GLOBAL__N_124unique_dim_cuda_templateIfEESt5tupleIJNSF_6TensorESK_SK_EERKSK_lbbbEUlllE0_EEPmJS9_EEE10hipError_tPvRmT3_T4_T5_T6_T7_T9_mT8_P12ihipStream_tbDpT10_ENKUlT_T0_E_clISt17integral_constantIbLb0EES19_IbLb1EEEEDaS15_S16_EUlS15_E_NS1_11comp_targetILNS1_3genE8ELNS1_11target_archE1030ELNS1_3gpuE2ELNS1_3repE0EEENS1_30default_config_static_selectorELNS0_4arch9wavefront6targetE1EEEvT1_
		.amdhsa_group_segment_fixed_size 0
		.amdhsa_private_segment_fixed_size 0
		.amdhsa_kernarg_size 136
		.amdhsa_user_sgpr_count 2
		.amdhsa_user_sgpr_dispatch_ptr 0
		.amdhsa_user_sgpr_queue_ptr 0
		.amdhsa_user_sgpr_kernarg_segment_ptr 1
		.amdhsa_user_sgpr_dispatch_id 0
		.amdhsa_user_sgpr_kernarg_preload_length 0
		.amdhsa_user_sgpr_kernarg_preload_offset 0
		.amdhsa_user_sgpr_private_segment_size 0
		.amdhsa_uses_dynamic_stack 0
		.amdhsa_enable_private_segment 0
		.amdhsa_system_sgpr_workgroup_id_x 1
		.amdhsa_system_sgpr_workgroup_id_y 0
		.amdhsa_system_sgpr_workgroup_id_z 0
		.amdhsa_system_sgpr_workgroup_info 0
		.amdhsa_system_vgpr_workitem_id 0
		.amdhsa_next_free_vgpr 1
		.amdhsa_next_free_sgpr 0
		.amdhsa_accum_offset 4
		.amdhsa_reserve_vcc 0
		.amdhsa_float_round_mode_32 0
		.amdhsa_float_round_mode_16_64 0
		.amdhsa_float_denorm_mode_32 3
		.amdhsa_float_denorm_mode_16_64 3
		.amdhsa_dx10_clamp 1
		.amdhsa_ieee_mode 1
		.amdhsa_fp16_overflow 0
		.amdhsa_tg_split 0
		.amdhsa_exception_fp_ieee_invalid_op 0
		.amdhsa_exception_fp_denorm_src 0
		.amdhsa_exception_fp_ieee_div_zero 0
		.amdhsa_exception_fp_ieee_overflow 0
		.amdhsa_exception_fp_ieee_underflow 0
		.amdhsa_exception_fp_ieee_inexact 0
		.amdhsa_exception_int_div_zero 0
	.end_amdhsa_kernel
	.section	.text._ZN7rocprim17ROCPRIM_400000_NS6detail17trampoline_kernelINS0_14default_configENS1_25partition_config_selectorILNS1_17partition_subalgoE9EllbEEZZNS1_14partition_implILS5_9ELb0ES3_jPlS8_PNS0_10empty_typeENS0_5tupleIJS8_S9_EEENSB_IJS8_SA_EEENS0_18inequality_wrapperIZN2at6native12_GLOBAL__N_124unique_dim_cuda_templateIfEESt5tupleIJNSF_6TensorESK_SK_EERKSK_lbbbEUlllE0_EEPmJS9_EEE10hipError_tPvRmT3_T4_T5_T6_T7_T9_mT8_P12ihipStream_tbDpT10_ENKUlT_T0_E_clISt17integral_constantIbLb0EES19_IbLb1EEEEDaS15_S16_EUlS15_E_NS1_11comp_targetILNS1_3genE8ELNS1_11target_archE1030ELNS1_3gpuE2ELNS1_3repE0EEENS1_30default_config_static_selectorELNS0_4arch9wavefront6targetE1EEEvT1_,"axG",@progbits,_ZN7rocprim17ROCPRIM_400000_NS6detail17trampoline_kernelINS0_14default_configENS1_25partition_config_selectorILNS1_17partition_subalgoE9EllbEEZZNS1_14partition_implILS5_9ELb0ES3_jPlS8_PNS0_10empty_typeENS0_5tupleIJS8_S9_EEENSB_IJS8_SA_EEENS0_18inequality_wrapperIZN2at6native12_GLOBAL__N_124unique_dim_cuda_templateIfEESt5tupleIJNSF_6TensorESK_SK_EERKSK_lbbbEUlllE0_EEPmJS9_EEE10hipError_tPvRmT3_T4_T5_T6_T7_T9_mT8_P12ihipStream_tbDpT10_ENKUlT_T0_E_clISt17integral_constantIbLb0EES19_IbLb1EEEEDaS15_S16_EUlS15_E_NS1_11comp_targetILNS1_3genE8ELNS1_11target_archE1030ELNS1_3gpuE2ELNS1_3repE0EEENS1_30default_config_static_selectorELNS0_4arch9wavefront6targetE1EEEvT1_,comdat
.Lfunc_end992:
	.size	_ZN7rocprim17ROCPRIM_400000_NS6detail17trampoline_kernelINS0_14default_configENS1_25partition_config_selectorILNS1_17partition_subalgoE9EllbEEZZNS1_14partition_implILS5_9ELb0ES3_jPlS8_PNS0_10empty_typeENS0_5tupleIJS8_S9_EEENSB_IJS8_SA_EEENS0_18inequality_wrapperIZN2at6native12_GLOBAL__N_124unique_dim_cuda_templateIfEESt5tupleIJNSF_6TensorESK_SK_EERKSK_lbbbEUlllE0_EEPmJS9_EEE10hipError_tPvRmT3_T4_T5_T6_T7_T9_mT8_P12ihipStream_tbDpT10_ENKUlT_T0_E_clISt17integral_constantIbLb0EES19_IbLb1EEEEDaS15_S16_EUlS15_E_NS1_11comp_targetILNS1_3genE8ELNS1_11target_archE1030ELNS1_3gpuE2ELNS1_3repE0EEENS1_30default_config_static_selectorELNS0_4arch9wavefront6targetE1EEEvT1_, .Lfunc_end992-_ZN7rocprim17ROCPRIM_400000_NS6detail17trampoline_kernelINS0_14default_configENS1_25partition_config_selectorILNS1_17partition_subalgoE9EllbEEZZNS1_14partition_implILS5_9ELb0ES3_jPlS8_PNS0_10empty_typeENS0_5tupleIJS8_S9_EEENSB_IJS8_SA_EEENS0_18inequality_wrapperIZN2at6native12_GLOBAL__N_124unique_dim_cuda_templateIfEESt5tupleIJNSF_6TensorESK_SK_EERKSK_lbbbEUlllE0_EEPmJS9_EEE10hipError_tPvRmT3_T4_T5_T6_T7_T9_mT8_P12ihipStream_tbDpT10_ENKUlT_T0_E_clISt17integral_constantIbLb0EES19_IbLb1EEEEDaS15_S16_EUlS15_E_NS1_11comp_targetILNS1_3genE8ELNS1_11target_archE1030ELNS1_3gpuE2ELNS1_3repE0EEENS1_30default_config_static_selectorELNS0_4arch9wavefront6targetE1EEEvT1_
                                        ; -- End function
	.set _ZN7rocprim17ROCPRIM_400000_NS6detail17trampoline_kernelINS0_14default_configENS1_25partition_config_selectorILNS1_17partition_subalgoE9EllbEEZZNS1_14partition_implILS5_9ELb0ES3_jPlS8_PNS0_10empty_typeENS0_5tupleIJS8_S9_EEENSB_IJS8_SA_EEENS0_18inequality_wrapperIZN2at6native12_GLOBAL__N_124unique_dim_cuda_templateIfEESt5tupleIJNSF_6TensorESK_SK_EERKSK_lbbbEUlllE0_EEPmJS9_EEE10hipError_tPvRmT3_T4_T5_T6_T7_T9_mT8_P12ihipStream_tbDpT10_ENKUlT_T0_E_clISt17integral_constantIbLb0EES19_IbLb1EEEEDaS15_S16_EUlS15_E_NS1_11comp_targetILNS1_3genE8ELNS1_11target_archE1030ELNS1_3gpuE2ELNS1_3repE0EEENS1_30default_config_static_selectorELNS0_4arch9wavefront6targetE1EEEvT1_.num_vgpr, 0
	.set _ZN7rocprim17ROCPRIM_400000_NS6detail17trampoline_kernelINS0_14default_configENS1_25partition_config_selectorILNS1_17partition_subalgoE9EllbEEZZNS1_14partition_implILS5_9ELb0ES3_jPlS8_PNS0_10empty_typeENS0_5tupleIJS8_S9_EEENSB_IJS8_SA_EEENS0_18inequality_wrapperIZN2at6native12_GLOBAL__N_124unique_dim_cuda_templateIfEESt5tupleIJNSF_6TensorESK_SK_EERKSK_lbbbEUlllE0_EEPmJS9_EEE10hipError_tPvRmT3_T4_T5_T6_T7_T9_mT8_P12ihipStream_tbDpT10_ENKUlT_T0_E_clISt17integral_constantIbLb0EES19_IbLb1EEEEDaS15_S16_EUlS15_E_NS1_11comp_targetILNS1_3genE8ELNS1_11target_archE1030ELNS1_3gpuE2ELNS1_3repE0EEENS1_30default_config_static_selectorELNS0_4arch9wavefront6targetE1EEEvT1_.num_agpr, 0
	.set _ZN7rocprim17ROCPRIM_400000_NS6detail17trampoline_kernelINS0_14default_configENS1_25partition_config_selectorILNS1_17partition_subalgoE9EllbEEZZNS1_14partition_implILS5_9ELb0ES3_jPlS8_PNS0_10empty_typeENS0_5tupleIJS8_S9_EEENSB_IJS8_SA_EEENS0_18inequality_wrapperIZN2at6native12_GLOBAL__N_124unique_dim_cuda_templateIfEESt5tupleIJNSF_6TensorESK_SK_EERKSK_lbbbEUlllE0_EEPmJS9_EEE10hipError_tPvRmT3_T4_T5_T6_T7_T9_mT8_P12ihipStream_tbDpT10_ENKUlT_T0_E_clISt17integral_constantIbLb0EES19_IbLb1EEEEDaS15_S16_EUlS15_E_NS1_11comp_targetILNS1_3genE8ELNS1_11target_archE1030ELNS1_3gpuE2ELNS1_3repE0EEENS1_30default_config_static_selectorELNS0_4arch9wavefront6targetE1EEEvT1_.numbered_sgpr, 0
	.set _ZN7rocprim17ROCPRIM_400000_NS6detail17trampoline_kernelINS0_14default_configENS1_25partition_config_selectorILNS1_17partition_subalgoE9EllbEEZZNS1_14partition_implILS5_9ELb0ES3_jPlS8_PNS0_10empty_typeENS0_5tupleIJS8_S9_EEENSB_IJS8_SA_EEENS0_18inequality_wrapperIZN2at6native12_GLOBAL__N_124unique_dim_cuda_templateIfEESt5tupleIJNSF_6TensorESK_SK_EERKSK_lbbbEUlllE0_EEPmJS9_EEE10hipError_tPvRmT3_T4_T5_T6_T7_T9_mT8_P12ihipStream_tbDpT10_ENKUlT_T0_E_clISt17integral_constantIbLb0EES19_IbLb1EEEEDaS15_S16_EUlS15_E_NS1_11comp_targetILNS1_3genE8ELNS1_11target_archE1030ELNS1_3gpuE2ELNS1_3repE0EEENS1_30default_config_static_selectorELNS0_4arch9wavefront6targetE1EEEvT1_.num_named_barrier, 0
	.set _ZN7rocprim17ROCPRIM_400000_NS6detail17trampoline_kernelINS0_14default_configENS1_25partition_config_selectorILNS1_17partition_subalgoE9EllbEEZZNS1_14partition_implILS5_9ELb0ES3_jPlS8_PNS0_10empty_typeENS0_5tupleIJS8_S9_EEENSB_IJS8_SA_EEENS0_18inequality_wrapperIZN2at6native12_GLOBAL__N_124unique_dim_cuda_templateIfEESt5tupleIJNSF_6TensorESK_SK_EERKSK_lbbbEUlllE0_EEPmJS9_EEE10hipError_tPvRmT3_T4_T5_T6_T7_T9_mT8_P12ihipStream_tbDpT10_ENKUlT_T0_E_clISt17integral_constantIbLb0EES19_IbLb1EEEEDaS15_S16_EUlS15_E_NS1_11comp_targetILNS1_3genE8ELNS1_11target_archE1030ELNS1_3gpuE2ELNS1_3repE0EEENS1_30default_config_static_selectorELNS0_4arch9wavefront6targetE1EEEvT1_.private_seg_size, 0
	.set _ZN7rocprim17ROCPRIM_400000_NS6detail17trampoline_kernelINS0_14default_configENS1_25partition_config_selectorILNS1_17partition_subalgoE9EllbEEZZNS1_14partition_implILS5_9ELb0ES3_jPlS8_PNS0_10empty_typeENS0_5tupleIJS8_S9_EEENSB_IJS8_SA_EEENS0_18inequality_wrapperIZN2at6native12_GLOBAL__N_124unique_dim_cuda_templateIfEESt5tupleIJNSF_6TensorESK_SK_EERKSK_lbbbEUlllE0_EEPmJS9_EEE10hipError_tPvRmT3_T4_T5_T6_T7_T9_mT8_P12ihipStream_tbDpT10_ENKUlT_T0_E_clISt17integral_constantIbLb0EES19_IbLb1EEEEDaS15_S16_EUlS15_E_NS1_11comp_targetILNS1_3genE8ELNS1_11target_archE1030ELNS1_3gpuE2ELNS1_3repE0EEENS1_30default_config_static_selectorELNS0_4arch9wavefront6targetE1EEEvT1_.uses_vcc, 0
	.set _ZN7rocprim17ROCPRIM_400000_NS6detail17trampoline_kernelINS0_14default_configENS1_25partition_config_selectorILNS1_17partition_subalgoE9EllbEEZZNS1_14partition_implILS5_9ELb0ES3_jPlS8_PNS0_10empty_typeENS0_5tupleIJS8_S9_EEENSB_IJS8_SA_EEENS0_18inequality_wrapperIZN2at6native12_GLOBAL__N_124unique_dim_cuda_templateIfEESt5tupleIJNSF_6TensorESK_SK_EERKSK_lbbbEUlllE0_EEPmJS9_EEE10hipError_tPvRmT3_T4_T5_T6_T7_T9_mT8_P12ihipStream_tbDpT10_ENKUlT_T0_E_clISt17integral_constantIbLb0EES19_IbLb1EEEEDaS15_S16_EUlS15_E_NS1_11comp_targetILNS1_3genE8ELNS1_11target_archE1030ELNS1_3gpuE2ELNS1_3repE0EEENS1_30default_config_static_selectorELNS0_4arch9wavefront6targetE1EEEvT1_.uses_flat_scratch, 0
	.set _ZN7rocprim17ROCPRIM_400000_NS6detail17trampoline_kernelINS0_14default_configENS1_25partition_config_selectorILNS1_17partition_subalgoE9EllbEEZZNS1_14partition_implILS5_9ELb0ES3_jPlS8_PNS0_10empty_typeENS0_5tupleIJS8_S9_EEENSB_IJS8_SA_EEENS0_18inequality_wrapperIZN2at6native12_GLOBAL__N_124unique_dim_cuda_templateIfEESt5tupleIJNSF_6TensorESK_SK_EERKSK_lbbbEUlllE0_EEPmJS9_EEE10hipError_tPvRmT3_T4_T5_T6_T7_T9_mT8_P12ihipStream_tbDpT10_ENKUlT_T0_E_clISt17integral_constantIbLb0EES19_IbLb1EEEEDaS15_S16_EUlS15_E_NS1_11comp_targetILNS1_3genE8ELNS1_11target_archE1030ELNS1_3gpuE2ELNS1_3repE0EEENS1_30default_config_static_selectorELNS0_4arch9wavefront6targetE1EEEvT1_.has_dyn_sized_stack, 0
	.set _ZN7rocprim17ROCPRIM_400000_NS6detail17trampoline_kernelINS0_14default_configENS1_25partition_config_selectorILNS1_17partition_subalgoE9EllbEEZZNS1_14partition_implILS5_9ELb0ES3_jPlS8_PNS0_10empty_typeENS0_5tupleIJS8_S9_EEENSB_IJS8_SA_EEENS0_18inequality_wrapperIZN2at6native12_GLOBAL__N_124unique_dim_cuda_templateIfEESt5tupleIJNSF_6TensorESK_SK_EERKSK_lbbbEUlllE0_EEPmJS9_EEE10hipError_tPvRmT3_T4_T5_T6_T7_T9_mT8_P12ihipStream_tbDpT10_ENKUlT_T0_E_clISt17integral_constantIbLb0EES19_IbLb1EEEEDaS15_S16_EUlS15_E_NS1_11comp_targetILNS1_3genE8ELNS1_11target_archE1030ELNS1_3gpuE2ELNS1_3repE0EEENS1_30default_config_static_selectorELNS0_4arch9wavefront6targetE1EEEvT1_.has_recursion, 0
	.set _ZN7rocprim17ROCPRIM_400000_NS6detail17trampoline_kernelINS0_14default_configENS1_25partition_config_selectorILNS1_17partition_subalgoE9EllbEEZZNS1_14partition_implILS5_9ELb0ES3_jPlS8_PNS0_10empty_typeENS0_5tupleIJS8_S9_EEENSB_IJS8_SA_EEENS0_18inequality_wrapperIZN2at6native12_GLOBAL__N_124unique_dim_cuda_templateIfEESt5tupleIJNSF_6TensorESK_SK_EERKSK_lbbbEUlllE0_EEPmJS9_EEE10hipError_tPvRmT3_T4_T5_T6_T7_T9_mT8_P12ihipStream_tbDpT10_ENKUlT_T0_E_clISt17integral_constantIbLb0EES19_IbLb1EEEEDaS15_S16_EUlS15_E_NS1_11comp_targetILNS1_3genE8ELNS1_11target_archE1030ELNS1_3gpuE2ELNS1_3repE0EEENS1_30default_config_static_selectorELNS0_4arch9wavefront6targetE1EEEvT1_.has_indirect_call, 0
	.section	.AMDGPU.csdata,"",@progbits
; Kernel info:
; codeLenInByte = 0
; TotalNumSgprs: 6
; NumVgprs: 0
; NumAgprs: 0
; TotalNumVgprs: 0
; ScratchSize: 0
; MemoryBound: 0
; FloatMode: 240
; IeeeMode: 1
; LDSByteSize: 0 bytes/workgroup (compile time only)
; SGPRBlocks: 0
; VGPRBlocks: 0
; NumSGPRsForWavesPerEU: 6
; NumVGPRsForWavesPerEU: 1
; AccumOffset: 4
; Occupancy: 8
; WaveLimiterHint : 0
; COMPUTE_PGM_RSRC2:SCRATCH_EN: 0
; COMPUTE_PGM_RSRC2:USER_SGPR: 2
; COMPUTE_PGM_RSRC2:TRAP_HANDLER: 0
; COMPUTE_PGM_RSRC2:TGID_X_EN: 1
; COMPUTE_PGM_RSRC2:TGID_Y_EN: 0
; COMPUTE_PGM_RSRC2:TGID_Z_EN: 0
; COMPUTE_PGM_RSRC2:TIDIG_COMP_CNT: 0
; COMPUTE_PGM_RSRC3_GFX90A:ACCUM_OFFSET: 0
; COMPUTE_PGM_RSRC3_GFX90A:TG_SPLIT: 0
	.section	.text._ZN7rocprim17ROCPRIM_400000_NS6detail17trampoline_kernelINS0_14default_configENS1_37merge_sort_block_sort_config_selectorIlNS0_10empty_typeEEEZNS1_21merge_sort_block_sortIS3_PlS8_PS5_S9_ZN2at6native12_GLOBAL__N_124unique_dim_cuda_templateIbEESt5tupleIJNSA_6TensorESF_SF_EERKSF_lbbbEUlllE_EE10hipError_tT0_T1_T2_T3_mRjT4_P12ihipStream_tbNS1_7vsmem_tEEUlT_E_NS1_11comp_targetILNS1_3genE0ELNS1_11target_archE4294967295ELNS1_3gpuE0ELNS1_3repE0EEENS1_30default_config_static_selectorELNS0_4arch9wavefront6targetE1EEEvSM_,"axG",@progbits,_ZN7rocprim17ROCPRIM_400000_NS6detail17trampoline_kernelINS0_14default_configENS1_37merge_sort_block_sort_config_selectorIlNS0_10empty_typeEEEZNS1_21merge_sort_block_sortIS3_PlS8_PS5_S9_ZN2at6native12_GLOBAL__N_124unique_dim_cuda_templateIbEESt5tupleIJNSA_6TensorESF_SF_EERKSF_lbbbEUlllE_EE10hipError_tT0_T1_T2_T3_mRjT4_P12ihipStream_tbNS1_7vsmem_tEEUlT_E_NS1_11comp_targetILNS1_3genE0ELNS1_11target_archE4294967295ELNS1_3gpuE0ELNS1_3repE0EEENS1_30default_config_static_selectorELNS0_4arch9wavefront6targetE1EEEvSM_,comdat
	.globl	_ZN7rocprim17ROCPRIM_400000_NS6detail17trampoline_kernelINS0_14default_configENS1_37merge_sort_block_sort_config_selectorIlNS0_10empty_typeEEEZNS1_21merge_sort_block_sortIS3_PlS8_PS5_S9_ZN2at6native12_GLOBAL__N_124unique_dim_cuda_templateIbEESt5tupleIJNSA_6TensorESF_SF_EERKSF_lbbbEUlllE_EE10hipError_tT0_T1_T2_T3_mRjT4_P12ihipStream_tbNS1_7vsmem_tEEUlT_E_NS1_11comp_targetILNS1_3genE0ELNS1_11target_archE4294967295ELNS1_3gpuE0ELNS1_3repE0EEENS1_30default_config_static_selectorELNS0_4arch9wavefront6targetE1EEEvSM_ ; -- Begin function _ZN7rocprim17ROCPRIM_400000_NS6detail17trampoline_kernelINS0_14default_configENS1_37merge_sort_block_sort_config_selectorIlNS0_10empty_typeEEEZNS1_21merge_sort_block_sortIS3_PlS8_PS5_S9_ZN2at6native12_GLOBAL__N_124unique_dim_cuda_templateIbEESt5tupleIJNSA_6TensorESF_SF_EERKSF_lbbbEUlllE_EE10hipError_tT0_T1_T2_T3_mRjT4_P12ihipStream_tbNS1_7vsmem_tEEUlT_E_NS1_11comp_targetILNS1_3genE0ELNS1_11target_archE4294967295ELNS1_3gpuE0ELNS1_3repE0EEENS1_30default_config_static_selectorELNS0_4arch9wavefront6targetE1EEEvSM_
	.p2align	8
	.type	_ZN7rocprim17ROCPRIM_400000_NS6detail17trampoline_kernelINS0_14default_configENS1_37merge_sort_block_sort_config_selectorIlNS0_10empty_typeEEEZNS1_21merge_sort_block_sortIS3_PlS8_PS5_S9_ZN2at6native12_GLOBAL__N_124unique_dim_cuda_templateIbEESt5tupleIJNSA_6TensorESF_SF_EERKSF_lbbbEUlllE_EE10hipError_tT0_T1_T2_T3_mRjT4_P12ihipStream_tbNS1_7vsmem_tEEUlT_E_NS1_11comp_targetILNS1_3genE0ELNS1_11target_archE4294967295ELNS1_3gpuE0ELNS1_3repE0EEENS1_30default_config_static_selectorELNS0_4arch9wavefront6targetE1EEEvSM_,@function
_ZN7rocprim17ROCPRIM_400000_NS6detail17trampoline_kernelINS0_14default_configENS1_37merge_sort_block_sort_config_selectorIlNS0_10empty_typeEEEZNS1_21merge_sort_block_sortIS3_PlS8_PS5_S9_ZN2at6native12_GLOBAL__N_124unique_dim_cuda_templateIbEESt5tupleIJNSA_6TensorESF_SF_EERKSF_lbbbEUlllE_EE10hipError_tT0_T1_T2_T3_mRjT4_P12ihipStream_tbNS1_7vsmem_tEEUlT_E_NS1_11comp_targetILNS1_3genE0ELNS1_11target_archE4294967295ELNS1_3gpuE0ELNS1_3repE0EEENS1_30default_config_static_selectorELNS0_4arch9wavefront6targetE1EEEvSM_: ; @_ZN7rocprim17ROCPRIM_400000_NS6detail17trampoline_kernelINS0_14default_configENS1_37merge_sort_block_sort_config_selectorIlNS0_10empty_typeEEEZNS1_21merge_sort_block_sortIS3_PlS8_PS5_S9_ZN2at6native12_GLOBAL__N_124unique_dim_cuda_templateIbEESt5tupleIJNSA_6TensorESF_SF_EERKSF_lbbbEUlllE_EE10hipError_tT0_T1_T2_T3_mRjT4_P12ihipStream_tbNS1_7vsmem_tEEUlT_E_NS1_11comp_targetILNS1_3genE0ELNS1_11target_archE4294967295ELNS1_3gpuE0ELNS1_3repE0EEENS1_30default_config_static_selectorELNS0_4arch9wavefront6targetE1EEEvSM_
; %bb.0:
	s_mov_b32 s14, s2
	s_load_dwordx2 s[18:19], s[0:1], 0x48
	s_load_dword s2, s[0:1], 0x0
	s_add_u32 s16, s0, 0x48
	s_addc_u32 s17, s1, 0
	s_waitcnt lgkmcnt(0)
	s_mul_i32 s4, s19, s4
	s_add_i32 s3, s4, s3
	s_mul_i32 s3, s3, s18
	s_add_i32 s6, s3, s14
	s_cmp_ge_u32 s6, s2
	s_cbranch_scc1 .LBB993_1228
; %bb.1:
	s_load_dwordx2 s[8:9], s[0:1], 0x8
	s_load_dwordx4 s[24:27], s[0:1], 0x18
	s_load_dwordx4 s[20:23], s[0:1], 0x38
	s_mov_b32 s7, 0
	s_lshl_b64 s[2:3], s[6:7], 14
	s_waitcnt lgkmcnt(0)
	s_lshr_b64 s[0:1], s[8:9], 11
	s_add_u32 s28, s24, s2
	s_addc_u32 s29, s25, s3
	s_add_u32 s24, s26, s2
	s_addc_u32 s25, s27, s3
	s_cmp_lg_u64 s[0:1], s[6:7]
	v_and_b32_e32 v18, 0x3ff, v0
	s_cbranch_scc0 .LBB993_8
; %bb.2:
	v_mov_b32_e32 v19, 0
	v_lshlrev_b32_e32 v20, 3, v18
	v_mov_b32_e32 v21, v19
	v_lshl_add_u64 v[2:3], s[28:29], 0, v[20:21]
	v_add_co_u32_e32 v8, vcc, 0x1000, v2
	global_load_dwordx2 v[4:5], v20, s[28:29]
	global_load_dwordx2 v[6:7], v20, s[28:29] offset:2048
	v_addc_co_u32_e32 v9, vcc, 0, v3, vcc
	v_add_co_u32_e32 v10, vcc, 0x2000, v2
	v_lshrrev_b32_e32 v1, 2, v18
	s_nop 0
	v_addc_co_u32_e32 v11, vcc, 0, v3, vcc
	v_add_co_u32_e32 v2, vcc, 0x3000, v2
	global_load_dwordx2 v[12:13], v[8:9], off
	global_load_dwordx2 v[14:15], v[8:9], off offset:2048
	global_load_dwordx2 v[16:17], v[10:11], off
	global_load_dwordx2 v[22:23], v[10:11], off offset:2048
	v_addc_co_u32_e32 v3, vcc, 0, v3, vcc
	global_load_dwordx2 v[8:9], v[2:3], off
	global_load_dwordx2 v[10:11], v[2:3], off offset:2048
	v_add_u32_e32 v2, 0x100, v18
	v_add_u32_e32 v3, 0x200, v18
	v_add_u32_e32 v21, 0x300, v18
	v_or_b32_e32 v24, 0x400, v18
	v_add_u32_e32 v25, 0x500, v18
	v_add_u32_e32 v26, 0x600, v18
	v_add_u32_e32 v27, 0x700, v18
	v_lshlrev_b32_e32 v28, 1, v18
	v_and_b32_e32 v1, 0xf8, v1
	v_lshrrev_b32_e32 v2, 2, v2
	v_lshrrev_b32_e32 v3, 2, v3
	;; [unrolled: 1-line block ×7, first 2 shown]
	v_and_b32_e32 v28, 0x7f8, v28
	v_add_u32_e32 v1, v1, v20
	v_and_b32_e32 v2, 0x1f8, v2
	v_and_b32_e32 v3, 0x1f8, v3
	v_and_b32_e32 v29, 0x1f8, v21
	v_and_b32_e32 v24, 0x1f8, v24
	v_and_b32_e32 v25, 0x3f8, v25
	v_and_b32_e32 v30, 0x3f8, v26
	v_and_b32_e32 v31, 0x3f8, v27
	v_lshl_add_u32 v32, v18, 6, v28
	v_add_u32_e32 v21, v2, v20
	v_add_u32_e32 v26, v3, v20
	;; [unrolled: 1-line block ×7, first 2 shown]
	v_bfe_u32 v24, v0, 20, 10
	v_cmp_gt_i64_e64 s[10:11], s[20:21], 0
	s_waitcnt vmcnt(7)
	ds_write_b64 v1, v[4:5]
	s_waitcnt vmcnt(6)
	ds_write_b64 v21, v[6:7] offset:2048
	s_waitcnt vmcnt(5)
	ds_write_b64 v26, v[12:13] offset:4096
	;; [unrolled: 2-line block ×7, first 2 shown]
	s_waitcnt lgkmcnt(0)
	s_barrier
	ds_read2_b64 v[14:17], v32 offset1:1
	ds_read2_b64 v[10:13], v32 offset0:2 offset1:3
	ds_read2_b64 v[6:9], v32 offset0:4 offset1:5
	;; [unrolled: 1-line block ×3, first 2 shown]
	s_waitcnt lgkmcnt(0)
	s_barrier
	s_load_dword s0, s[16:17], 0xc
	v_bfe_u32 v23, v0, 10, 10
	v_cndmask_b32_e64 v25, 0, 1, s[10:11]
	s_waitcnt lgkmcnt(0)
	s_lshr_b32 s2, s0, 16
	s_cmp_lt_u32 s14, s18
	s_cselect_b32 s0, 12, 18
	s_add_u32 s0, s16, s0
	s_addc_u32 s1, s17, 0
	global_load_ushort v22, v19, s[0:1]
	v_mad_u32_u24 v23, v24, s2, v23
	s_movk_i32 s0, 0x800
	s_waitcnt vmcnt(0)
	v_mul_lo_u32 v22, v23, v22
	v_add_lshl_u32 v33, v22, v18, 3
	v_cmp_gt_u32_e32 vcc, s0, v33
	v_cmp_ne_u32_e64 s[0:1], 1, v25
	s_and_saveexec_b64 s[4:5], vcc
	s_cbranch_execz .LBB993_190
; %bb.3:
	s_and_b64 vcc, exec, s[0:1]
	s_cbranch_vccnz .LBB993_18
; %bb.4:
	v_mov_b64_e32 v[24:25], s[22:23]
	v_mad_u64_u32 v[22:23], s[2:3], v16, s20, v[24:25]
	v_mul_lo_u32 v34, v16, s21
	v_mul_lo_u32 v35, v17, s20
	v_add3_u32 v23, v35, v23, v34
	v_mad_u64_u32 v[24:25], s[2:3], v14, s20, v[24:25]
	v_mul_lo_u32 v34, v14, s21
	v_mul_lo_u32 v35, v15, s20
	v_add3_u32 v25, v35, v25, v34
	s_mov_b64 s[26:27], 0
	s_mov_b64 s[40:41], s[20:21]
                                        ; implicit-def: $sgpr12_sgpr13
                                        ; implicit-def: $sgpr30_sgpr31
                                        ; implicit-def: $sgpr36_sgpr37
                                        ; implicit-def: $sgpr34_sgpr35
                                        ; implicit-def: $sgpr38_sgpr39
	s_branch .LBB993_6
.LBB993_5:                              ;   in Loop: Header=BB993_6 Depth=1
	s_or_b64 exec, exec, s[42:43]
	s_and_b64 s[42:43], vcc, s[2:3]
	s_or_b64 s[2:3], vcc, s[2:3]
	s_and_b64 s[2:3], s[2:3], s[38:39]
	s_or_b64 s[2:3], s[42:43], s[2:3]
	s_and_b64 s[42:43], exec, s[36:37]
	s_or_b64 s[26:27], s[42:43], s[26:27]
	s_andn2_b64 s[38:39], s[38:39], exec
	s_and_b64 s[2:3], s[2:3], exec
	s_andn2_b64 s[30:31], s[30:31], exec
	s_and_b64 s[42:43], s[34:35], exec
	s_andn2_b64 s[12:13], s[12:13], exec
	s_or_b64 s[38:39], s[38:39], s[2:3]
	s_or_b64 s[30:31], s[30:31], s[42:43]
	;; [unrolled: 1-line block ×3, first 2 shown]
	s_andn2_b64 exec, exec, s[26:27]
	s_cbranch_execz .LBB993_9
.LBB993_6:                              ; =>This Inner Loop Header: Depth=1
	global_load_ubyte v34, v[22:23], off
	global_load_ubyte v35, v[24:25], off
	s_or_b64 s[34:35], s[34:35], exec
	s_or_b64 s[36:37], s[36:37], exec
	s_waitcnt vmcnt(1)
	v_cmp_eq_u16_e32 vcc, 0, v34
	s_waitcnt vmcnt(0)
	v_cmp_ne_u16_e64 s[2:3], 0, v35
	s_xor_b64 s[44:45], vcc, s[2:3]
	s_and_saveexec_b64 s[42:43], s[44:45]
	s_cbranch_execz .LBB993_5
; %bb.7:                                ;   in Loop: Header=BB993_6 Depth=1
	s_add_u32 s40, s40, -1
	s_addc_u32 s41, s41, -1
	s_cmp_eq_u64 s[40:41], 0
	s_cselect_b64 s[44:45], -1, 0
	s_andn2_b64 s[36:37], s[36:37], exec
	s_and_b64 s[44:45], s[44:45], exec
	v_lshl_add_u64 v[22:23], v[22:23], 0, 1
	v_lshl_add_u64 v[24:25], v[24:25], 0, 1
	s_andn2_b64 s[34:35], s[34:35], exec
	s_or_b64 s[36:37], s[36:37], s[44:45]
	s_branch .LBB993_5
.LBB993_8:
	s_mov_b64 s[26:27], 0
                                        ; implicit-def: $vgpr14_vgpr15
	s_cbranch_execnz .LBB993_584
	s_branch .LBB993_1226
.LBB993_9:
	s_or_b64 exec, exec, s[26:27]
	s_and_saveexec_b64 s[2:3], s[30:31]
	s_xor_b64 s[2:3], exec, s[2:3]
; %bb.10:
	v_cndmask_b32_e64 v23, v17, v15, s[12:13]
	v_cndmask_b32_e64 v22, v16, v14, s[12:13]
	;; [unrolled: 1-line block ×4, first 2 shown]
	v_mov_b64_e32 v[16:17], v[22:23]
; %bb.11:
	s_or_b64 exec, exec, s[2:3]
	v_mov_b64_e32 v[24:25], s[22:23]
	v_mad_u64_u32 v[22:23], s[2:3], v12, s20, v[24:25]
	v_mul_lo_u32 v34, v12, s21
	v_mul_lo_u32 v35, v13, s20
	v_add3_u32 v23, v35, v23, v34
	v_mad_u64_u32 v[24:25], s[2:3], v10, s20, v[24:25]
	v_mul_lo_u32 v34, v10, s21
	v_mul_lo_u32 v35, v11, s20
	v_add3_u32 v25, v35, v25, v34
	s_mov_b64 s[30:31], 0
	s_mov_b64 s[40:41], s[20:21]
                                        ; implicit-def: $sgpr12_sgpr13
                                        ; implicit-def: $sgpr26_sgpr27
                                        ; implicit-def: $sgpr36_sgpr37
                                        ; implicit-def: $sgpr34_sgpr35
                                        ; implicit-def: $sgpr38_sgpr39
	s_branch .LBB993_13
.LBB993_12:                             ;   in Loop: Header=BB993_13 Depth=1
	s_or_b64 exec, exec, s[42:43]
	s_and_b64 s[42:43], vcc, s[2:3]
	s_or_b64 s[2:3], vcc, s[2:3]
	s_and_b64 s[2:3], s[2:3], s[38:39]
	s_or_b64 s[2:3], s[42:43], s[2:3]
	s_and_b64 s[42:43], exec, s[36:37]
	s_or_b64 s[30:31], s[42:43], s[30:31]
	s_andn2_b64 s[38:39], s[38:39], exec
	s_and_b64 s[2:3], s[2:3], exec
	s_andn2_b64 s[26:27], s[26:27], exec
	s_and_b64 s[42:43], s[34:35], exec
	s_andn2_b64 s[12:13], s[12:13], exec
	s_or_b64 s[38:39], s[38:39], s[2:3]
	s_or_b64 s[26:27], s[26:27], s[42:43]
	;; [unrolled: 1-line block ×3, first 2 shown]
	s_andn2_b64 exec, exec, s[30:31]
	s_cbranch_execz .LBB993_15
.LBB993_13:                             ; =>This Inner Loop Header: Depth=1
	global_load_ubyte v34, v[22:23], off
	global_load_ubyte v35, v[24:25], off
	s_or_b64 s[34:35], s[34:35], exec
	s_or_b64 s[36:37], s[36:37], exec
	s_waitcnt vmcnt(1)
	v_cmp_eq_u16_e32 vcc, 0, v34
	s_waitcnt vmcnt(0)
	v_cmp_ne_u16_e64 s[2:3], 0, v35
	s_xor_b64 s[44:45], vcc, s[2:3]
	s_and_saveexec_b64 s[42:43], s[44:45]
	s_cbranch_execz .LBB993_12
; %bb.14:                               ;   in Loop: Header=BB993_13 Depth=1
	s_add_u32 s40, s40, -1
	s_addc_u32 s41, s41, -1
	s_cmp_eq_u64 s[40:41], 0
	s_cselect_b64 s[44:45], -1, 0
	s_andn2_b64 s[36:37], s[36:37], exec
	s_and_b64 s[44:45], s[44:45], exec
	v_lshl_add_u64 v[22:23], v[22:23], 0, 1
	v_lshl_add_u64 v[24:25], v[24:25], 0, 1
	s_andn2_b64 s[34:35], s[34:35], exec
	s_or_b64 s[36:37], s[36:37], s[44:45]
	s_branch .LBB993_12
.LBB993_15:
	s_or_b64 exec, exec, s[30:31]
	s_and_saveexec_b64 s[2:3], s[26:27]
	s_xor_b64 s[2:3], exec, s[2:3]
; %bb.16:
	v_cndmask_b32_e64 v23, v11, v13, s[12:13]
	v_cndmask_b32_e64 v22, v10, v12, s[12:13]
	;; [unrolled: 1-line block ×4, first 2 shown]
	v_mov_b64_e32 v[10:11], v[22:23]
; %bb.17:
	s_or_b64 exec, exec, s[2:3]
.LBB993_18:
	s_and_b64 vcc, exec, s[0:1]
	s_cbranch_vccnz .LBB993_32
; %bb.19:
	v_mov_b64_e32 v[24:25], s[22:23]
	v_mad_u64_u32 v[22:23], s[2:3], v8, s20, v[24:25]
	v_mul_lo_u32 v34, v8, s21
	v_mul_lo_u32 v35, v9, s20
	v_add3_u32 v23, v35, v23, v34
	v_mad_u64_u32 v[24:25], s[2:3], v6, s20, v[24:25]
	v_mul_lo_u32 v34, v6, s21
	v_mul_lo_u32 v35, v7, s20
	v_add3_u32 v25, v35, v25, v34
	s_mov_b64 s[26:27], 0
	s_mov_b64 s[40:41], s[20:21]
                                        ; implicit-def: $sgpr12_sgpr13
                                        ; implicit-def: $sgpr30_sgpr31
                                        ; implicit-def: $sgpr36_sgpr37
                                        ; implicit-def: $sgpr34_sgpr35
                                        ; implicit-def: $sgpr38_sgpr39
	s_branch .LBB993_21
.LBB993_20:                             ;   in Loop: Header=BB993_21 Depth=1
	s_or_b64 exec, exec, s[42:43]
	s_and_b64 s[42:43], vcc, s[2:3]
	s_or_b64 s[2:3], vcc, s[2:3]
	s_and_b64 s[2:3], s[2:3], s[38:39]
	s_or_b64 s[2:3], s[42:43], s[2:3]
	s_and_b64 s[42:43], exec, s[36:37]
	s_or_b64 s[26:27], s[42:43], s[26:27]
	s_andn2_b64 s[38:39], s[38:39], exec
	s_and_b64 s[2:3], s[2:3], exec
	s_andn2_b64 s[30:31], s[30:31], exec
	s_and_b64 s[42:43], s[34:35], exec
	s_andn2_b64 s[12:13], s[12:13], exec
	s_or_b64 s[38:39], s[38:39], s[2:3]
	s_or_b64 s[30:31], s[30:31], s[42:43]
	;; [unrolled: 1-line block ×3, first 2 shown]
	s_andn2_b64 exec, exec, s[26:27]
	s_cbranch_execz .LBB993_23
.LBB993_21:                             ; =>This Inner Loop Header: Depth=1
	global_load_ubyte v34, v[22:23], off
	global_load_ubyte v35, v[24:25], off
	s_or_b64 s[34:35], s[34:35], exec
	s_or_b64 s[36:37], s[36:37], exec
	s_waitcnt vmcnt(1)
	v_cmp_eq_u16_e32 vcc, 0, v34
	s_waitcnt vmcnt(0)
	v_cmp_ne_u16_e64 s[2:3], 0, v35
	s_xor_b64 s[44:45], vcc, s[2:3]
	s_and_saveexec_b64 s[42:43], s[44:45]
	s_cbranch_execz .LBB993_20
; %bb.22:                               ;   in Loop: Header=BB993_21 Depth=1
	s_add_u32 s40, s40, -1
	s_addc_u32 s41, s41, -1
	s_cmp_eq_u64 s[40:41], 0
	s_cselect_b64 s[44:45], -1, 0
	s_andn2_b64 s[36:37], s[36:37], exec
	s_and_b64 s[44:45], s[44:45], exec
	v_lshl_add_u64 v[22:23], v[22:23], 0, 1
	v_lshl_add_u64 v[24:25], v[24:25], 0, 1
	s_andn2_b64 s[34:35], s[34:35], exec
	s_or_b64 s[36:37], s[36:37], s[44:45]
	s_branch .LBB993_20
.LBB993_23:
	s_or_b64 exec, exec, s[26:27]
	s_and_saveexec_b64 s[2:3], s[30:31]
	s_xor_b64 s[2:3], exec, s[2:3]
; %bb.24:
	v_cndmask_b32_e64 v23, v7, v9, s[12:13]
	v_cndmask_b32_e64 v22, v6, v8, s[12:13]
	v_cndmask_b32_e64 v9, v9, v7, s[12:13]
	v_cndmask_b32_e64 v8, v8, v6, s[12:13]
	v_mov_b64_e32 v[6:7], v[22:23]
; %bb.25:
	s_or_b64 exec, exec, s[2:3]
	v_mov_b64_e32 v[24:25], s[22:23]
	v_mad_u64_u32 v[22:23], s[2:3], v4, s20, v[24:25]
	v_mul_lo_u32 v34, v4, s21
	v_mul_lo_u32 v35, v5, s20
	v_add3_u32 v23, v35, v23, v34
	v_mad_u64_u32 v[24:25], s[2:3], v2, s20, v[24:25]
	v_mul_lo_u32 v34, v2, s21
	v_mul_lo_u32 v35, v3, s20
	v_add3_u32 v25, v35, v25, v34
	s_mov_b64 s[30:31], 0
	s_mov_b64 s[40:41], s[20:21]
                                        ; implicit-def: $sgpr12_sgpr13
                                        ; implicit-def: $sgpr26_sgpr27
                                        ; implicit-def: $sgpr36_sgpr37
                                        ; implicit-def: $sgpr34_sgpr35
                                        ; implicit-def: $sgpr38_sgpr39
	s_branch .LBB993_27
.LBB993_26:                             ;   in Loop: Header=BB993_27 Depth=1
	s_or_b64 exec, exec, s[42:43]
	s_and_b64 s[42:43], vcc, s[2:3]
	s_or_b64 s[2:3], vcc, s[2:3]
	s_and_b64 s[2:3], s[2:3], s[38:39]
	s_or_b64 s[2:3], s[42:43], s[2:3]
	s_and_b64 s[42:43], exec, s[36:37]
	s_or_b64 s[30:31], s[42:43], s[30:31]
	s_andn2_b64 s[38:39], s[38:39], exec
	s_and_b64 s[2:3], s[2:3], exec
	s_andn2_b64 s[26:27], s[26:27], exec
	s_and_b64 s[42:43], s[34:35], exec
	s_andn2_b64 s[12:13], s[12:13], exec
	s_or_b64 s[38:39], s[38:39], s[2:3]
	s_or_b64 s[26:27], s[26:27], s[42:43]
	;; [unrolled: 1-line block ×3, first 2 shown]
	s_andn2_b64 exec, exec, s[30:31]
	s_cbranch_execz .LBB993_29
.LBB993_27:                             ; =>This Inner Loop Header: Depth=1
	global_load_ubyte v34, v[22:23], off
	global_load_ubyte v35, v[24:25], off
	s_or_b64 s[34:35], s[34:35], exec
	s_or_b64 s[36:37], s[36:37], exec
	s_waitcnt vmcnt(1)
	v_cmp_eq_u16_e32 vcc, 0, v34
	s_waitcnt vmcnt(0)
	v_cmp_ne_u16_e64 s[2:3], 0, v35
	s_xor_b64 s[44:45], vcc, s[2:3]
	s_and_saveexec_b64 s[42:43], s[44:45]
	s_cbranch_execz .LBB993_26
; %bb.28:                               ;   in Loop: Header=BB993_27 Depth=1
	s_add_u32 s40, s40, -1
	s_addc_u32 s41, s41, -1
	s_cmp_eq_u64 s[40:41], 0
	s_cselect_b64 s[44:45], -1, 0
	s_andn2_b64 s[36:37], s[36:37], exec
	s_and_b64 s[44:45], s[44:45], exec
	v_lshl_add_u64 v[22:23], v[22:23], 0, 1
	v_lshl_add_u64 v[24:25], v[24:25], 0, 1
	s_andn2_b64 s[34:35], s[34:35], exec
	s_or_b64 s[36:37], s[36:37], s[44:45]
	s_branch .LBB993_26
.LBB993_29:
	s_or_b64 exec, exec, s[30:31]
	s_and_saveexec_b64 s[2:3], s[26:27]
	s_xor_b64 s[2:3], exec, s[2:3]
; %bb.30:
	v_cndmask_b32_e64 v23, v3, v5, s[12:13]
	v_cndmask_b32_e64 v22, v2, v4, s[12:13]
	;; [unrolled: 1-line block ×4, first 2 shown]
	v_mov_b64_e32 v[2:3], v[22:23]
; %bb.31:
	s_or_b64 exec, exec, s[2:3]
.LBB993_32:
	s_and_b64 vcc, exec, s[10:11]
	s_cbranch_vccz .LBB993_46
; %bb.33:
	v_mov_b64_e32 v[24:25], s[22:23]
	v_mad_u64_u32 v[22:23], s[2:3], v10, s20, v[24:25]
	v_mul_lo_u32 v34, v10, s21
	v_mul_lo_u32 v35, v11, s20
	v_add3_u32 v23, v35, v23, v34
	v_mad_u64_u32 v[24:25], s[2:3], v16, s20, v[24:25]
	v_mul_lo_u32 v34, v16, s21
	v_mul_lo_u32 v35, v17, s20
	v_add3_u32 v25, v35, v25, v34
	s_mov_b64 s[12:13], 0
	s_mov_b64 s[38:39], s[20:21]
                                        ; implicit-def: $sgpr10_sgpr11
                                        ; implicit-def: $sgpr26_sgpr27
                                        ; implicit-def: $sgpr34_sgpr35
                                        ; implicit-def: $sgpr30_sgpr31
                                        ; implicit-def: $sgpr36_sgpr37
	s_branch .LBB993_35
.LBB993_34:                             ;   in Loop: Header=BB993_35 Depth=1
	s_or_b64 exec, exec, s[40:41]
	s_and_b64 s[40:41], vcc, s[2:3]
	s_or_b64 s[2:3], vcc, s[2:3]
	s_and_b64 s[2:3], s[2:3], s[36:37]
	s_or_b64 s[2:3], s[40:41], s[2:3]
	s_and_b64 s[40:41], exec, s[34:35]
	s_or_b64 s[12:13], s[40:41], s[12:13]
	s_andn2_b64 s[36:37], s[36:37], exec
	s_and_b64 s[2:3], s[2:3], exec
	s_andn2_b64 s[26:27], s[26:27], exec
	s_and_b64 s[40:41], s[30:31], exec
	s_andn2_b64 s[10:11], s[10:11], exec
	s_or_b64 s[36:37], s[36:37], s[2:3]
	s_or_b64 s[26:27], s[26:27], s[40:41]
	;; [unrolled: 1-line block ×3, first 2 shown]
	s_andn2_b64 exec, exec, s[12:13]
	s_cbranch_execz .LBB993_37
.LBB993_35:                             ; =>This Inner Loop Header: Depth=1
	global_load_ubyte v34, v[22:23], off
	global_load_ubyte v35, v[24:25], off
	s_or_b64 s[30:31], s[30:31], exec
	s_or_b64 s[34:35], s[34:35], exec
	s_waitcnt vmcnt(1)
	v_cmp_eq_u16_e32 vcc, 0, v34
	s_waitcnt vmcnt(0)
	v_cmp_ne_u16_e64 s[2:3], 0, v35
	s_xor_b64 s[42:43], vcc, s[2:3]
	s_and_saveexec_b64 s[40:41], s[42:43]
	s_cbranch_execz .LBB993_34
; %bb.36:                               ;   in Loop: Header=BB993_35 Depth=1
	s_add_u32 s38, s38, -1
	s_addc_u32 s39, s39, -1
	s_cmp_eq_u64 s[38:39], 0
	s_cselect_b64 s[42:43], -1, 0
	s_andn2_b64 s[34:35], s[34:35], exec
	s_and_b64 s[42:43], s[42:43], exec
	v_lshl_add_u64 v[22:23], v[22:23], 0, 1
	v_lshl_add_u64 v[24:25], v[24:25], 0, 1
	s_andn2_b64 s[30:31], s[30:31], exec
	s_or_b64 s[34:35], s[34:35], s[42:43]
	s_branch .LBB993_34
.LBB993_37:
	s_or_b64 exec, exec, s[12:13]
	s_and_saveexec_b64 s[2:3], s[26:27]
	s_xor_b64 s[2:3], exec, s[2:3]
; %bb.38:
	v_cndmask_b32_e64 v23, v17, v11, s[10:11]
	v_cndmask_b32_e64 v22, v16, v10, s[10:11]
	;; [unrolled: 1-line block ×4, first 2 shown]
	v_mov_b64_e32 v[16:17], v[22:23]
; %bb.39:
	s_or_b64 exec, exec, s[2:3]
	v_mov_b64_e32 v[24:25], s[22:23]
	v_mad_u64_u32 v[22:23], s[2:3], v6, s20, v[24:25]
	v_mul_lo_u32 v34, v6, s21
	v_mul_lo_u32 v35, v7, s20
	v_add3_u32 v23, v35, v23, v34
	v_mad_u64_u32 v[24:25], s[2:3], v12, s20, v[24:25]
	v_mul_lo_u32 v34, v12, s21
	v_mul_lo_u32 v35, v13, s20
	v_add3_u32 v25, v35, v25, v34
	s_mov_b64 s[26:27], 0
	s_mov_b64 s[38:39], s[20:21]
                                        ; implicit-def: $sgpr10_sgpr11
                                        ; implicit-def: $sgpr12_sgpr13
                                        ; implicit-def: $sgpr34_sgpr35
                                        ; implicit-def: $sgpr30_sgpr31
                                        ; implicit-def: $sgpr36_sgpr37
	s_branch .LBB993_41
.LBB993_40:                             ;   in Loop: Header=BB993_41 Depth=1
	s_or_b64 exec, exec, s[40:41]
	s_and_b64 s[40:41], vcc, s[2:3]
	s_or_b64 s[2:3], vcc, s[2:3]
	s_and_b64 s[2:3], s[2:3], s[36:37]
	s_or_b64 s[2:3], s[40:41], s[2:3]
	s_and_b64 s[40:41], exec, s[34:35]
	s_or_b64 s[26:27], s[40:41], s[26:27]
	s_andn2_b64 s[36:37], s[36:37], exec
	s_and_b64 s[2:3], s[2:3], exec
	s_andn2_b64 s[12:13], s[12:13], exec
	s_and_b64 s[40:41], s[30:31], exec
	s_andn2_b64 s[10:11], s[10:11], exec
	s_or_b64 s[36:37], s[36:37], s[2:3]
	s_or_b64 s[12:13], s[12:13], s[40:41]
	s_or_b64 s[10:11], s[10:11], s[2:3]
	s_andn2_b64 exec, exec, s[26:27]
	s_cbranch_execz .LBB993_43
.LBB993_41:                             ; =>This Inner Loop Header: Depth=1
	global_load_ubyte v34, v[22:23], off
	global_load_ubyte v35, v[24:25], off
	s_or_b64 s[30:31], s[30:31], exec
	s_or_b64 s[34:35], s[34:35], exec
	s_waitcnt vmcnt(1)
	v_cmp_eq_u16_e32 vcc, 0, v34
	s_waitcnt vmcnt(0)
	v_cmp_ne_u16_e64 s[2:3], 0, v35
	s_xor_b64 s[42:43], vcc, s[2:3]
	s_and_saveexec_b64 s[40:41], s[42:43]
	s_cbranch_execz .LBB993_40
; %bb.42:                               ;   in Loop: Header=BB993_41 Depth=1
	s_add_u32 s38, s38, -1
	s_addc_u32 s39, s39, -1
	s_cmp_eq_u64 s[38:39], 0
	s_cselect_b64 s[42:43], -1, 0
	s_andn2_b64 s[34:35], s[34:35], exec
	s_and_b64 s[42:43], s[42:43], exec
	v_lshl_add_u64 v[22:23], v[22:23], 0, 1
	v_lshl_add_u64 v[24:25], v[24:25], 0, 1
	s_andn2_b64 s[30:31], s[30:31], exec
	s_or_b64 s[34:35], s[34:35], s[42:43]
	s_branch .LBB993_40
.LBB993_43:
	s_or_b64 exec, exec, s[26:27]
	s_and_saveexec_b64 s[2:3], s[12:13]
	s_xor_b64 s[2:3], exec, s[2:3]
; %bb.44:
	v_cndmask_b32_e64 v23, v13, v7, s[10:11]
	v_cndmask_b32_e64 v22, v12, v6, s[10:11]
	v_cndmask_b32_e64 v7, v7, v13, s[10:11]
	v_cndmask_b32_e64 v6, v6, v12, s[10:11]
	v_mov_b64_e32 v[12:13], v[22:23]
; %bb.45:
	s_or_b64 exec, exec, s[2:3]
.LBB993_46:
	s_and_b64 vcc, exec, s[0:1]
	s_cbranch_vccnz .LBB993_60
; %bb.47:
	v_mov_b64_e32 v[24:25], s[22:23]
	v_mad_u64_u32 v[22:23], s[2:3], v2, s20, v[24:25]
	v_mul_lo_u32 v34, v2, s21
	v_mul_lo_u32 v35, v3, s20
	v_add3_u32 v23, v35, v23, v34
	v_mad_u64_u32 v[24:25], s[2:3], v8, s20, v[24:25]
	v_mul_lo_u32 v34, v8, s21
	v_mul_lo_u32 v35, v9, s20
	v_add3_u32 v25, v35, v25, v34
	s_mov_b64 s[12:13], 0
	s_mov_b64 s[38:39], s[20:21]
                                        ; implicit-def: $sgpr10_sgpr11
                                        ; implicit-def: $sgpr26_sgpr27
                                        ; implicit-def: $sgpr34_sgpr35
                                        ; implicit-def: $sgpr30_sgpr31
                                        ; implicit-def: $sgpr36_sgpr37
	s_branch .LBB993_49
.LBB993_48:                             ;   in Loop: Header=BB993_49 Depth=1
	s_or_b64 exec, exec, s[40:41]
	s_and_b64 s[40:41], vcc, s[2:3]
	s_or_b64 s[2:3], vcc, s[2:3]
	s_and_b64 s[2:3], s[2:3], s[36:37]
	s_or_b64 s[2:3], s[40:41], s[2:3]
	s_and_b64 s[40:41], exec, s[34:35]
	s_or_b64 s[12:13], s[40:41], s[12:13]
	s_andn2_b64 s[36:37], s[36:37], exec
	s_and_b64 s[2:3], s[2:3], exec
	s_andn2_b64 s[26:27], s[26:27], exec
	s_and_b64 s[40:41], s[30:31], exec
	s_andn2_b64 s[10:11], s[10:11], exec
	s_or_b64 s[36:37], s[36:37], s[2:3]
	s_or_b64 s[26:27], s[26:27], s[40:41]
	;; [unrolled: 1-line block ×3, first 2 shown]
	s_andn2_b64 exec, exec, s[12:13]
	s_cbranch_execz .LBB993_51
.LBB993_49:                             ; =>This Inner Loop Header: Depth=1
	global_load_ubyte v34, v[22:23], off
	global_load_ubyte v35, v[24:25], off
	s_or_b64 s[30:31], s[30:31], exec
	s_or_b64 s[34:35], s[34:35], exec
	s_waitcnt vmcnt(1)
	v_cmp_eq_u16_e32 vcc, 0, v34
	s_waitcnt vmcnt(0)
	v_cmp_ne_u16_e64 s[2:3], 0, v35
	s_xor_b64 s[42:43], vcc, s[2:3]
	s_and_saveexec_b64 s[40:41], s[42:43]
	s_cbranch_execz .LBB993_48
; %bb.50:                               ;   in Loop: Header=BB993_49 Depth=1
	s_add_u32 s38, s38, -1
	s_addc_u32 s39, s39, -1
	s_cmp_eq_u64 s[38:39], 0
	s_cselect_b64 s[42:43], -1, 0
	s_andn2_b64 s[34:35], s[34:35], exec
	s_and_b64 s[42:43], s[42:43], exec
	v_lshl_add_u64 v[22:23], v[22:23], 0, 1
	v_lshl_add_u64 v[24:25], v[24:25], 0, 1
	s_andn2_b64 s[30:31], s[30:31], exec
	s_or_b64 s[34:35], s[34:35], s[42:43]
	s_branch .LBB993_48
.LBB993_51:
	s_or_b64 exec, exec, s[12:13]
	s_and_saveexec_b64 s[2:3], s[26:27]
	s_xor_b64 s[2:3], exec, s[2:3]
; %bb.52:
	v_cndmask_b32_e64 v23, v9, v3, s[10:11]
	v_cndmask_b32_e64 v22, v8, v2, s[10:11]
	;; [unrolled: 1-line block ×4, first 2 shown]
	v_mov_b64_e32 v[8:9], v[22:23]
; %bb.53:
	s_or_b64 exec, exec, s[2:3]
	v_mov_b64_e32 v[24:25], s[22:23]
	v_mad_u64_u32 v[22:23], s[2:3], v16, s20, v[24:25]
	v_mul_lo_u32 v34, v16, s21
	v_mul_lo_u32 v35, v17, s20
	v_add3_u32 v23, v35, v23, v34
	v_mad_u64_u32 v[24:25], s[2:3], v14, s20, v[24:25]
	v_mul_lo_u32 v34, v14, s21
	v_mul_lo_u32 v35, v15, s20
	v_add3_u32 v25, v35, v25, v34
	s_mov_b64 s[26:27], 0
	s_mov_b64 s[38:39], s[20:21]
                                        ; implicit-def: $sgpr10_sgpr11
                                        ; implicit-def: $sgpr12_sgpr13
                                        ; implicit-def: $sgpr34_sgpr35
                                        ; implicit-def: $sgpr30_sgpr31
                                        ; implicit-def: $sgpr36_sgpr37
	s_branch .LBB993_55
.LBB993_54:                             ;   in Loop: Header=BB993_55 Depth=1
	s_or_b64 exec, exec, s[40:41]
	s_and_b64 s[40:41], vcc, s[2:3]
	s_or_b64 s[2:3], vcc, s[2:3]
	s_and_b64 s[2:3], s[2:3], s[36:37]
	s_or_b64 s[2:3], s[40:41], s[2:3]
	s_and_b64 s[40:41], exec, s[34:35]
	s_or_b64 s[26:27], s[40:41], s[26:27]
	s_andn2_b64 s[36:37], s[36:37], exec
	s_and_b64 s[2:3], s[2:3], exec
	s_andn2_b64 s[12:13], s[12:13], exec
	s_and_b64 s[40:41], s[30:31], exec
	s_andn2_b64 s[10:11], s[10:11], exec
	s_or_b64 s[36:37], s[36:37], s[2:3]
	s_or_b64 s[12:13], s[12:13], s[40:41]
	;; [unrolled: 1-line block ×3, first 2 shown]
	s_andn2_b64 exec, exec, s[26:27]
	s_cbranch_execz .LBB993_57
.LBB993_55:                             ; =>This Inner Loop Header: Depth=1
	global_load_ubyte v34, v[22:23], off
	global_load_ubyte v35, v[24:25], off
	s_or_b64 s[30:31], s[30:31], exec
	s_or_b64 s[34:35], s[34:35], exec
	s_waitcnt vmcnt(1)
	v_cmp_eq_u16_e32 vcc, 0, v34
	s_waitcnt vmcnt(0)
	v_cmp_ne_u16_e64 s[2:3], 0, v35
	s_xor_b64 s[42:43], vcc, s[2:3]
	s_and_saveexec_b64 s[40:41], s[42:43]
	s_cbranch_execz .LBB993_54
; %bb.56:                               ;   in Loop: Header=BB993_55 Depth=1
	s_add_u32 s38, s38, -1
	s_addc_u32 s39, s39, -1
	s_cmp_eq_u64 s[38:39], 0
	s_cselect_b64 s[42:43], -1, 0
	s_andn2_b64 s[34:35], s[34:35], exec
	s_and_b64 s[42:43], s[42:43], exec
	v_lshl_add_u64 v[22:23], v[22:23], 0, 1
	v_lshl_add_u64 v[24:25], v[24:25], 0, 1
	s_andn2_b64 s[30:31], s[30:31], exec
	s_or_b64 s[34:35], s[34:35], s[42:43]
	s_branch .LBB993_54
.LBB993_57:
	s_or_b64 exec, exec, s[26:27]
	s_and_saveexec_b64 s[2:3], s[12:13]
	s_xor_b64 s[2:3], exec, s[2:3]
; %bb.58:
	v_cndmask_b32_e64 v23, v17, v15, s[10:11]
	v_cndmask_b32_e64 v22, v16, v14, s[10:11]
	;; [unrolled: 1-line block ×4, first 2 shown]
	v_mov_b64_e32 v[16:17], v[22:23]
; %bb.59:
	s_or_b64 exec, exec, s[2:3]
.LBB993_60:
	s_and_b64 vcc, exec, s[0:1]
	s_cbranch_vccnz .LBB993_74
; %bb.61:
	v_mov_b64_e32 v[24:25], s[22:23]
	v_mad_u64_u32 v[22:23], s[2:3], v12, s20, v[24:25]
	v_mul_lo_u32 v34, v12, s21
	v_mul_lo_u32 v35, v13, s20
	v_add3_u32 v23, v35, v23, v34
	v_mad_u64_u32 v[24:25], s[2:3], v10, s20, v[24:25]
	v_mul_lo_u32 v34, v10, s21
	v_mul_lo_u32 v35, v11, s20
	v_add3_u32 v25, v35, v25, v34
	s_mov_b64 s[12:13], 0
	s_mov_b64 s[38:39], s[20:21]
                                        ; implicit-def: $sgpr10_sgpr11
                                        ; implicit-def: $sgpr26_sgpr27
                                        ; implicit-def: $sgpr34_sgpr35
                                        ; implicit-def: $sgpr30_sgpr31
                                        ; implicit-def: $sgpr36_sgpr37
	s_branch .LBB993_63
.LBB993_62:                             ;   in Loop: Header=BB993_63 Depth=1
	s_or_b64 exec, exec, s[40:41]
	s_and_b64 s[40:41], vcc, s[2:3]
	s_or_b64 s[2:3], vcc, s[2:3]
	s_and_b64 s[2:3], s[2:3], s[36:37]
	s_or_b64 s[2:3], s[40:41], s[2:3]
	s_and_b64 s[40:41], exec, s[34:35]
	s_or_b64 s[12:13], s[40:41], s[12:13]
	s_andn2_b64 s[36:37], s[36:37], exec
	s_and_b64 s[2:3], s[2:3], exec
	s_andn2_b64 s[26:27], s[26:27], exec
	s_and_b64 s[40:41], s[30:31], exec
	s_andn2_b64 s[10:11], s[10:11], exec
	s_or_b64 s[36:37], s[36:37], s[2:3]
	s_or_b64 s[26:27], s[26:27], s[40:41]
	;; [unrolled: 1-line block ×3, first 2 shown]
	s_andn2_b64 exec, exec, s[12:13]
	s_cbranch_execz .LBB993_65
.LBB993_63:                             ; =>This Inner Loop Header: Depth=1
	global_load_ubyte v34, v[22:23], off
	global_load_ubyte v35, v[24:25], off
	s_or_b64 s[30:31], s[30:31], exec
	s_or_b64 s[34:35], s[34:35], exec
	s_waitcnt vmcnt(1)
	v_cmp_eq_u16_e32 vcc, 0, v34
	s_waitcnt vmcnt(0)
	v_cmp_ne_u16_e64 s[2:3], 0, v35
	s_xor_b64 s[42:43], vcc, s[2:3]
	s_and_saveexec_b64 s[40:41], s[42:43]
	s_cbranch_execz .LBB993_62
; %bb.64:                               ;   in Loop: Header=BB993_63 Depth=1
	s_add_u32 s38, s38, -1
	s_addc_u32 s39, s39, -1
	s_cmp_eq_u64 s[38:39], 0
	s_cselect_b64 s[42:43], -1, 0
	s_andn2_b64 s[34:35], s[34:35], exec
	s_and_b64 s[42:43], s[42:43], exec
	v_lshl_add_u64 v[22:23], v[22:23], 0, 1
	v_lshl_add_u64 v[24:25], v[24:25], 0, 1
	s_andn2_b64 s[30:31], s[30:31], exec
	s_or_b64 s[34:35], s[34:35], s[42:43]
	s_branch .LBB993_62
.LBB993_65:
	s_or_b64 exec, exec, s[12:13]
	s_and_saveexec_b64 s[2:3], s[26:27]
	s_xor_b64 s[2:3], exec, s[2:3]
; %bb.66:
	v_cndmask_b32_e64 v23, v11, v13, s[10:11]
	v_cndmask_b32_e64 v22, v10, v12, s[10:11]
	;; [unrolled: 1-line block ×4, first 2 shown]
	v_mov_b64_e32 v[10:11], v[22:23]
; %bb.67:
	s_or_b64 exec, exec, s[2:3]
	v_mov_b64_e32 v[24:25], s[22:23]
	v_mad_u64_u32 v[22:23], s[2:3], v8, s20, v[24:25]
	v_mul_lo_u32 v34, v8, s21
	v_mul_lo_u32 v35, v9, s20
	v_add3_u32 v23, v35, v23, v34
	v_mad_u64_u32 v[24:25], s[2:3], v6, s20, v[24:25]
	v_mul_lo_u32 v34, v6, s21
	v_mul_lo_u32 v35, v7, s20
	v_add3_u32 v25, v35, v25, v34
	s_mov_b64 s[26:27], 0
	s_mov_b64 s[38:39], s[20:21]
                                        ; implicit-def: $sgpr10_sgpr11
                                        ; implicit-def: $sgpr12_sgpr13
                                        ; implicit-def: $sgpr34_sgpr35
                                        ; implicit-def: $sgpr30_sgpr31
                                        ; implicit-def: $sgpr36_sgpr37
	s_branch .LBB993_69
.LBB993_68:                             ;   in Loop: Header=BB993_69 Depth=1
	s_or_b64 exec, exec, s[40:41]
	s_and_b64 s[40:41], vcc, s[2:3]
	s_or_b64 s[2:3], vcc, s[2:3]
	s_and_b64 s[2:3], s[2:3], s[36:37]
	s_or_b64 s[2:3], s[40:41], s[2:3]
	s_and_b64 s[40:41], exec, s[34:35]
	s_or_b64 s[26:27], s[40:41], s[26:27]
	s_andn2_b64 s[36:37], s[36:37], exec
	s_and_b64 s[2:3], s[2:3], exec
	s_andn2_b64 s[12:13], s[12:13], exec
	s_and_b64 s[40:41], s[30:31], exec
	s_andn2_b64 s[10:11], s[10:11], exec
	s_or_b64 s[36:37], s[36:37], s[2:3]
	s_or_b64 s[12:13], s[12:13], s[40:41]
	;; [unrolled: 1-line block ×3, first 2 shown]
	s_andn2_b64 exec, exec, s[26:27]
	s_cbranch_execz .LBB993_71
.LBB993_69:                             ; =>This Inner Loop Header: Depth=1
	global_load_ubyte v34, v[22:23], off
	global_load_ubyte v35, v[24:25], off
	s_or_b64 s[30:31], s[30:31], exec
	s_or_b64 s[34:35], s[34:35], exec
	s_waitcnt vmcnt(1)
	v_cmp_eq_u16_e32 vcc, 0, v34
	s_waitcnt vmcnt(0)
	v_cmp_ne_u16_e64 s[2:3], 0, v35
	s_xor_b64 s[42:43], vcc, s[2:3]
	s_and_saveexec_b64 s[40:41], s[42:43]
	s_cbranch_execz .LBB993_68
; %bb.70:                               ;   in Loop: Header=BB993_69 Depth=1
	s_add_u32 s38, s38, -1
	s_addc_u32 s39, s39, -1
	s_cmp_eq_u64 s[38:39], 0
	s_cselect_b64 s[42:43], -1, 0
	s_andn2_b64 s[34:35], s[34:35], exec
	s_and_b64 s[42:43], s[42:43], exec
	v_lshl_add_u64 v[22:23], v[22:23], 0, 1
	v_lshl_add_u64 v[24:25], v[24:25], 0, 1
	s_andn2_b64 s[30:31], s[30:31], exec
	s_or_b64 s[34:35], s[34:35], s[42:43]
	s_branch .LBB993_68
.LBB993_71:
	s_or_b64 exec, exec, s[26:27]
	s_and_saveexec_b64 s[2:3], s[12:13]
	s_xor_b64 s[2:3], exec, s[2:3]
; %bb.72:
	v_cndmask_b32_e64 v23, v7, v9, s[10:11]
	v_cndmask_b32_e64 v22, v6, v8, s[10:11]
	v_cndmask_b32_e64 v9, v9, v7, s[10:11]
	v_cndmask_b32_e64 v8, v8, v6, s[10:11]
	v_mov_b64_e32 v[6:7], v[22:23]
; %bb.73:
	s_or_b64 exec, exec, s[2:3]
.LBB993_74:
	s_and_b64 vcc, exec, s[0:1]
	s_cbranch_vccnz .LBB993_88
; %bb.75:
	v_mov_b64_e32 v[24:25], s[22:23]
	v_mad_u64_u32 v[22:23], s[2:3], v4, s20, v[24:25]
	v_mul_lo_u32 v34, v4, s21
	v_mul_lo_u32 v35, v5, s20
	v_add3_u32 v23, v35, v23, v34
	v_mad_u64_u32 v[24:25], s[2:3], v2, s20, v[24:25]
	v_mul_lo_u32 v34, v2, s21
	v_mul_lo_u32 v35, v3, s20
	v_add3_u32 v25, v35, v25, v34
	s_mov_b64 s[12:13], 0
	s_mov_b64 s[38:39], s[20:21]
                                        ; implicit-def: $sgpr10_sgpr11
                                        ; implicit-def: $sgpr26_sgpr27
                                        ; implicit-def: $sgpr34_sgpr35
                                        ; implicit-def: $sgpr30_sgpr31
                                        ; implicit-def: $sgpr36_sgpr37
	s_branch .LBB993_77
.LBB993_76:                             ;   in Loop: Header=BB993_77 Depth=1
	s_or_b64 exec, exec, s[40:41]
	s_and_b64 s[40:41], vcc, s[2:3]
	s_or_b64 s[2:3], vcc, s[2:3]
	s_and_b64 s[2:3], s[2:3], s[36:37]
	s_or_b64 s[2:3], s[40:41], s[2:3]
	s_and_b64 s[40:41], exec, s[34:35]
	s_or_b64 s[12:13], s[40:41], s[12:13]
	s_andn2_b64 s[36:37], s[36:37], exec
	s_and_b64 s[2:3], s[2:3], exec
	s_andn2_b64 s[26:27], s[26:27], exec
	s_and_b64 s[40:41], s[30:31], exec
	s_andn2_b64 s[10:11], s[10:11], exec
	s_or_b64 s[36:37], s[36:37], s[2:3]
	s_or_b64 s[26:27], s[26:27], s[40:41]
	;; [unrolled: 1-line block ×3, first 2 shown]
	s_andn2_b64 exec, exec, s[12:13]
	s_cbranch_execz .LBB993_79
.LBB993_77:                             ; =>This Inner Loop Header: Depth=1
	global_load_ubyte v34, v[22:23], off
	global_load_ubyte v35, v[24:25], off
	s_or_b64 s[30:31], s[30:31], exec
	s_or_b64 s[34:35], s[34:35], exec
	s_waitcnt vmcnt(1)
	v_cmp_eq_u16_e32 vcc, 0, v34
	s_waitcnt vmcnt(0)
	v_cmp_ne_u16_e64 s[2:3], 0, v35
	s_xor_b64 s[42:43], vcc, s[2:3]
	s_and_saveexec_b64 s[40:41], s[42:43]
	s_cbranch_execz .LBB993_76
; %bb.78:                               ;   in Loop: Header=BB993_77 Depth=1
	s_add_u32 s38, s38, -1
	s_addc_u32 s39, s39, -1
	s_cmp_eq_u64 s[38:39], 0
	s_cselect_b64 s[42:43], -1, 0
	s_andn2_b64 s[34:35], s[34:35], exec
	s_and_b64 s[42:43], s[42:43], exec
	v_lshl_add_u64 v[22:23], v[22:23], 0, 1
	v_lshl_add_u64 v[24:25], v[24:25], 0, 1
	s_andn2_b64 s[30:31], s[30:31], exec
	s_or_b64 s[34:35], s[34:35], s[42:43]
	s_branch .LBB993_76
.LBB993_79:
	s_or_b64 exec, exec, s[12:13]
	s_and_saveexec_b64 s[2:3], s[26:27]
	s_xor_b64 s[2:3], exec, s[2:3]
; %bb.80:
	v_cndmask_b32_e64 v23, v3, v5, s[10:11]
	v_cndmask_b32_e64 v22, v2, v4, s[10:11]
	;; [unrolled: 1-line block ×4, first 2 shown]
	v_mov_b64_e32 v[2:3], v[22:23]
; %bb.81:
	s_or_b64 exec, exec, s[2:3]
	v_mov_b64_e32 v[24:25], s[22:23]
	v_mad_u64_u32 v[22:23], s[2:3], v10, s20, v[24:25]
	v_mul_lo_u32 v34, v10, s21
	v_mul_lo_u32 v35, v11, s20
	v_add3_u32 v23, v35, v23, v34
	v_mad_u64_u32 v[24:25], s[2:3], v16, s20, v[24:25]
	v_mul_lo_u32 v34, v16, s21
	v_mul_lo_u32 v35, v17, s20
	v_add3_u32 v25, v35, v25, v34
	s_mov_b64 s[26:27], 0
	s_mov_b64 s[38:39], s[20:21]
                                        ; implicit-def: $sgpr10_sgpr11
                                        ; implicit-def: $sgpr12_sgpr13
                                        ; implicit-def: $sgpr34_sgpr35
                                        ; implicit-def: $sgpr30_sgpr31
                                        ; implicit-def: $sgpr36_sgpr37
	s_branch .LBB993_83
.LBB993_82:                             ;   in Loop: Header=BB993_83 Depth=1
	s_or_b64 exec, exec, s[40:41]
	s_and_b64 s[40:41], vcc, s[2:3]
	s_or_b64 s[2:3], vcc, s[2:3]
	s_and_b64 s[2:3], s[2:3], s[36:37]
	s_or_b64 s[2:3], s[40:41], s[2:3]
	s_and_b64 s[40:41], exec, s[34:35]
	s_or_b64 s[26:27], s[40:41], s[26:27]
	s_andn2_b64 s[36:37], s[36:37], exec
	s_and_b64 s[2:3], s[2:3], exec
	s_andn2_b64 s[12:13], s[12:13], exec
	s_and_b64 s[40:41], s[30:31], exec
	s_andn2_b64 s[10:11], s[10:11], exec
	s_or_b64 s[36:37], s[36:37], s[2:3]
	s_or_b64 s[12:13], s[12:13], s[40:41]
	;; [unrolled: 1-line block ×3, first 2 shown]
	s_andn2_b64 exec, exec, s[26:27]
	s_cbranch_execz .LBB993_85
.LBB993_83:                             ; =>This Inner Loop Header: Depth=1
	global_load_ubyte v34, v[22:23], off
	global_load_ubyte v35, v[24:25], off
	s_or_b64 s[30:31], s[30:31], exec
	s_or_b64 s[34:35], s[34:35], exec
	s_waitcnt vmcnt(1)
	v_cmp_eq_u16_e32 vcc, 0, v34
	s_waitcnt vmcnt(0)
	v_cmp_ne_u16_e64 s[2:3], 0, v35
	s_xor_b64 s[42:43], vcc, s[2:3]
	s_and_saveexec_b64 s[40:41], s[42:43]
	s_cbranch_execz .LBB993_82
; %bb.84:                               ;   in Loop: Header=BB993_83 Depth=1
	s_add_u32 s38, s38, -1
	s_addc_u32 s39, s39, -1
	s_cmp_eq_u64 s[38:39], 0
	s_cselect_b64 s[42:43], -1, 0
	s_andn2_b64 s[34:35], s[34:35], exec
	s_and_b64 s[42:43], s[42:43], exec
	v_lshl_add_u64 v[22:23], v[22:23], 0, 1
	v_lshl_add_u64 v[24:25], v[24:25], 0, 1
	s_andn2_b64 s[30:31], s[30:31], exec
	s_or_b64 s[34:35], s[34:35], s[42:43]
	s_branch .LBB993_82
.LBB993_85:
	s_or_b64 exec, exec, s[26:27]
	s_and_saveexec_b64 s[2:3], s[12:13]
	s_xor_b64 s[2:3], exec, s[2:3]
; %bb.86:
	v_cndmask_b32_e64 v23, v17, v11, s[10:11]
	v_cndmask_b32_e64 v22, v16, v10, s[10:11]
	;; [unrolled: 1-line block ×4, first 2 shown]
	v_mov_b64_e32 v[16:17], v[22:23]
; %bb.87:
	s_or_b64 exec, exec, s[2:3]
.LBB993_88:
	s_and_b64 vcc, exec, s[0:1]
	s_cbranch_vccnz .LBB993_102
; %bb.89:
	v_mov_b64_e32 v[24:25], s[22:23]
	v_mad_u64_u32 v[22:23], s[2:3], v6, s20, v[24:25]
	v_mul_lo_u32 v34, v6, s21
	v_mul_lo_u32 v35, v7, s20
	v_add3_u32 v23, v35, v23, v34
	v_mad_u64_u32 v[24:25], s[2:3], v12, s20, v[24:25]
	v_mul_lo_u32 v34, v12, s21
	v_mul_lo_u32 v35, v13, s20
	v_add3_u32 v25, v35, v25, v34
	s_mov_b64 s[12:13], 0
	s_mov_b64 s[38:39], s[20:21]
                                        ; implicit-def: $sgpr10_sgpr11
                                        ; implicit-def: $sgpr26_sgpr27
                                        ; implicit-def: $sgpr34_sgpr35
                                        ; implicit-def: $sgpr30_sgpr31
                                        ; implicit-def: $sgpr36_sgpr37
	s_branch .LBB993_91
.LBB993_90:                             ;   in Loop: Header=BB993_91 Depth=1
	s_or_b64 exec, exec, s[40:41]
	s_and_b64 s[40:41], vcc, s[2:3]
	s_or_b64 s[2:3], vcc, s[2:3]
	s_and_b64 s[2:3], s[2:3], s[36:37]
	s_or_b64 s[2:3], s[40:41], s[2:3]
	s_and_b64 s[40:41], exec, s[34:35]
	s_or_b64 s[12:13], s[40:41], s[12:13]
	s_andn2_b64 s[36:37], s[36:37], exec
	s_and_b64 s[2:3], s[2:3], exec
	s_andn2_b64 s[26:27], s[26:27], exec
	s_and_b64 s[40:41], s[30:31], exec
	s_andn2_b64 s[10:11], s[10:11], exec
	s_or_b64 s[36:37], s[36:37], s[2:3]
	s_or_b64 s[26:27], s[26:27], s[40:41]
	;; [unrolled: 1-line block ×3, first 2 shown]
	s_andn2_b64 exec, exec, s[12:13]
	s_cbranch_execz .LBB993_93
.LBB993_91:                             ; =>This Inner Loop Header: Depth=1
	global_load_ubyte v34, v[22:23], off
	global_load_ubyte v35, v[24:25], off
	s_or_b64 s[30:31], s[30:31], exec
	s_or_b64 s[34:35], s[34:35], exec
	s_waitcnt vmcnt(1)
	v_cmp_eq_u16_e32 vcc, 0, v34
	s_waitcnt vmcnt(0)
	v_cmp_ne_u16_e64 s[2:3], 0, v35
	s_xor_b64 s[42:43], vcc, s[2:3]
	s_and_saveexec_b64 s[40:41], s[42:43]
	s_cbranch_execz .LBB993_90
; %bb.92:                               ;   in Loop: Header=BB993_91 Depth=1
	s_add_u32 s38, s38, -1
	s_addc_u32 s39, s39, -1
	s_cmp_eq_u64 s[38:39], 0
	s_cselect_b64 s[42:43], -1, 0
	s_andn2_b64 s[34:35], s[34:35], exec
	s_and_b64 s[42:43], s[42:43], exec
	v_lshl_add_u64 v[22:23], v[22:23], 0, 1
	v_lshl_add_u64 v[24:25], v[24:25], 0, 1
	s_andn2_b64 s[30:31], s[30:31], exec
	s_or_b64 s[34:35], s[34:35], s[42:43]
	s_branch .LBB993_90
.LBB993_93:
	s_or_b64 exec, exec, s[12:13]
	s_and_saveexec_b64 s[2:3], s[26:27]
	s_xor_b64 s[2:3], exec, s[2:3]
; %bb.94:
	v_cndmask_b32_e64 v23, v13, v7, s[10:11]
	v_cndmask_b32_e64 v22, v12, v6, s[10:11]
	v_cndmask_b32_e64 v7, v7, v13, s[10:11]
	v_cndmask_b32_e64 v6, v6, v12, s[10:11]
	v_mov_b64_e32 v[12:13], v[22:23]
; %bb.95:
	s_or_b64 exec, exec, s[2:3]
	v_mov_b64_e32 v[24:25], s[22:23]
	v_mad_u64_u32 v[22:23], s[2:3], v2, s20, v[24:25]
	v_mul_lo_u32 v34, v2, s21
	v_mul_lo_u32 v35, v3, s20
	v_add3_u32 v23, v35, v23, v34
	v_mad_u64_u32 v[24:25], s[2:3], v8, s20, v[24:25]
	v_mul_lo_u32 v34, v8, s21
	v_mul_lo_u32 v35, v9, s20
	v_add3_u32 v25, v35, v25, v34
	s_mov_b64 s[26:27], 0
	s_mov_b64 s[38:39], s[20:21]
                                        ; implicit-def: $sgpr10_sgpr11
                                        ; implicit-def: $sgpr12_sgpr13
                                        ; implicit-def: $sgpr34_sgpr35
                                        ; implicit-def: $sgpr30_sgpr31
                                        ; implicit-def: $sgpr36_sgpr37
	s_branch .LBB993_97
.LBB993_96:                             ;   in Loop: Header=BB993_97 Depth=1
	s_or_b64 exec, exec, s[40:41]
	s_and_b64 s[40:41], vcc, s[2:3]
	s_or_b64 s[2:3], vcc, s[2:3]
	s_and_b64 s[2:3], s[2:3], s[36:37]
	s_or_b64 s[2:3], s[40:41], s[2:3]
	s_and_b64 s[40:41], exec, s[34:35]
	s_or_b64 s[26:27], s[40:41], s[26:27]
	s_andn2_b64 s[36:37], s[36:37], exec
	s_and_b64 s[2:3], s[2:3], exec
	s_andn2_b64 s[12:13], s[12:13], exec
	s_and_b64 s[40:41], s[30:31], exec
	s_andn2_b64 s[10:11], s[10:11], exec
	s_or_b64 s[36:37], s[36:37], s[2:3]
	s_or_b64 s[12:13], s[12:13], s[40:41]
	;; [unrolled: 1-line block ×3, first 2 shown]
	s_andn2_b64 exec, exec, s[26:27]
	s_cbranch_execz .LBB993_99
.LBB993_97:                             ; =>This Inner Loop Header: Depth=1
	global_load_ubyte v34, v[22:23], off
	global_load_ubyte v35, v[24:25], off
	s_or_b64 s[30:31], s[30:31], exec
	s_or_b64 s[34:35], s[34:35], exec
	s_waitcnt vmcnt(1)
	v_cmp_eq_u16_e32 vcc, 0, v34
	s_waitcnt vmcnt(0)
	v_cmp_ne_u16_e64 s[2:3], 0, v35
	s_xor_b64 s[42:43], vcc, s[2:3]
	s_and_saveexec_b64 s[40:41], s[42:43]
	s_cbranch_execz .LBB993_96
; %bb.98:                               ;   in Loop: Header=BB993_97 Depth=1
	s_add_u32 s38, s38, -1
	s_addc_u32 s39, s39, -1
	s_cmp_eq_u64 s[38:39], 0
	s_cselect_b64 s[42:43], -1, 0
	s_andn2_b64 s[34:35], s[34:35], exec
	s_and_b64 s[42:43], s[42:43], exec
	v_lshl_add_u64 v[22:23], v[22:23], 0, 1
	v_lshl_add_u64 v[24:25], v[24:25], 0, 1
	s_andn2_b64 s[30:31], s[30:31], exec
	s_or_b64 s[34:35], s[34:35], s[42:43]
	s_branch .LBB993_96
.LBB993_99:
	s_or_b64 exec, exec, s[26:27]
	s_and_saveexec_b64 s[2:3], s[12:13]
	s_xor_b64 s[2:3], exec, s[2:3]
; %bb.100:
	v_cndmask_b32_e64 v23, v9, v3, s[10:11]
	v_cndmask_b32_e64 v22, v8, v2, s[10:11]
	v_cndmask_b32_e64 v3, v3, v9, s[10:11]
	v_cndmask_b32_e64 v2, v2, v8, s[10:11]
	v_mov_b64_e32 v[8:9], v[22:23]
; %bb.101:
	s_or_b64 exec, exec, s[2:3]
.LBB993_102:
	s_and_b64 vcc, exec, s[0:1]
	s_cbranch_vccnz .LBB993_116
; %bb.103:
	v_mov_b64_e32 v[24:25], s[22:23]
	v_mad_u64_u32 v[22:23], s[2:3], v16, s20, v[24:25]
	v_mul_lo_u32 v34, v16, s21
	v_mul_lo_u32 v35, v17, s20
	v_add3_u32 v23, v35, v23, v34
	v_mad_u64_u32 v[24:25], s[2:3], v14, s20, v[24:25]
	v_mul_lo_u32 v34, v14, s21
	v_mul_lo_u32 v35, v15, s20
	v_add3_u32 v25, v35, v25, v34
	s_mov_b64 s[12:13], 0
	s_mov_b64 s[38:39], s[20:21]
                                        ; implicit-def: $sgpr10_sgpr11
                                        ; implicit-def: $sgpr26_sgpr27
                                        ; implicit-def: $sgpr34_sgpr35
                                        ; implicit-def: $sgpr30_sgpr31
                                        ; implicit-def: $sgpr36_sgpr37
	s_branch .LBB993_105
.LBB993_104:                            ;   in Loop: Header=BB993_105 Depth=1
	s_or_b64 exec, exec, s[40:41]
	s_and_b64 s[40:41], vcc, s[2:3]
	s_or_b64 s[2:3], vcc, s[2:3]
	s_and_b64 s[2:3], s[2:3], s[36:37]
	s_or_b64 s[2:3], s[40:41], s[2:3]
	s_and_b64 s[40:41], exec, s[34:35]
	s_or_b64 s[12:13], s[40:41], s[12:13]
	s_andn2_b64 s[36:37], s[36:37], exec
	s_and_b64 s[2:3], s[2:3], exec
	s_andn2_b64 s[26:27], s[26:27], exec
	s_and_b64 s[40:41], s[30:31], exec
	s_andn2_b64 s[10:11], s[10:11], exec
	s_or_b64 s[36:37], s[36:37], s[2:3]
	s_or_b64 s[26:27], s[26:27], s[40:41]
	s_or_b64 s[10:11], s[10:11], s[2:3]
	s_andn2_b64 exec, exec, s[12:13]
	s_cbranch_execz .LBB993_107
.LBB993_105:                            ; =>This Inner Loop Header: Depth=1
	global_load_ubyte v34, v[22:23], off
	global_load_ubyte v35, v[24:25], off
	s_or_b64 s[30:31], s[30:31], exec
	s_or_b64 s[34:35], s[34:35], exec
	s_waitcnt vmcnt(1)
	v_cmp_eq_u16_e32 vcc, 0, v34
	s_waitcnt vmcnt(0)
	v_cmp_ne_u16_e64 s[2:3], 0, v35
	s_xor_b64 s[42:43], vcc, s[2:3]
	s_and_saveexec_b64 s[40:41], s[42:43]
	s_cbranch_execz .LBB993_104
; %bb.106:                              ;   in Loop: Header=BB993_105 Depth=1
	s_add_u32 s38, s38, -1
	s_addc_u32 s39, s39, -1
	s_cmp_eq_u64 s[38:39], 0
	s_cselect_b64 s[42:43], -1, 0
	s_andn2_b64 s[34:35], s[34:35], exec
	s_and_b64 s[42:43], s[42:43], exec
	v_lshl_add_u64 v[22:23], v[22:23], 0, 1
	v_lshl_add_u64 v[24:25], v[24:25], 0, 1
	s_andn2_b64 s[30:31], s[30:31], exec
	s_or_b64 s[34:35], s[34:35], s[42:43]
	s_branch .LBB993_104
.LBB993_107:
	s_or_b64 exec, exec, s[12:13]
	s_and_saveexec_b64 s[2:3], s[26:27]
	s_xor_b64 s[2:3], exec, s[2:3]
; %bb.108:
	v_cndmask_b32_e64 v23, v17, v15, s[10:11]
	v_cndmask_b32_e64 v22, v16, v14, s[10:11]
	;; [unrolled: 1-line block ×4, first 2 shown]
	v_mov_b64_e32 v[16:17], v[22:23]
; %bb.109:
	s_or_b64 exec, exec, s[2:3]
	v_mov_b64_e32 v[24:25], s[22:23]
	v_mad_u64_u32 v[22:23], s[2:3], v12, s20, v[24:25]
	v_mul_lo_u32 v34, v12, s21
	v_mul_lo_u32 v35, v13, s20
	v_add3_u32 v23, v35, v23, v34
	v_mad_u64_u32 v[24:25], s[2:3], v10, s20, v[24:25]
	v_mul_lo_u32 v34, v10, s21
	v_mul_lo_u32 v35, v11, s20
	v_add3_u32 v25, v35, v25, v34
	s_mov_b64 s[26:27], 0
	s_mov_b64 s[38:39], s[20:21]
                                        ; implicit-def: $sgpr10_sgpr11
                                        ; implicit-def: $sgpr12_sgpr13
                                        ; implicit-def: $sgpr34_sgpr35
                                        ; implicit-def: $sgpr30_sgpr31
                                        ; implicit-def: $sgpr36_sgpr37
	s_branch .LBB993_111
.LBB993_110:                            ;   in Loop: Header=BB993_111 Depth=1
	s_or_b64 exec, exec, s[40:41]
	s_and_b64 s[40:41], vcc, s[2:3]
	s_or_b64 s[2:3], vcc, s[2:3]
	s_and_b64 s[2:3], s[2:3], s[36:37]
	s_or_b64 s[2:3], s[40:41], s[2:3]
	s_and_b64 s[40:41], exec, s[34:35]
	s_or_b64 s[26:27], s[40:41], s[26:27]
	s_andn2_b64 s[36:37], s[36:37], exec
	s_and_b64 s[2:3], s[2:3], exec
	s_andn2_b64 s[12:13], s[12:13], exec
	s_and_b64 s[40:41], s[30:31], exec
	s_andn2_b64 s[10:11], s[10:11], exec
	s_or_b64 s[36:37], s[36:37], s[2:3]
	s_or_b64 s[12:13], s[12:13], s[40:41]
	;; [unrolled: 1-line block ×3, first 2 shown]
	s_andn2_b64 exec, exec, s[26:27]
	s_cbranch_execz .LBB993_113
.LBB993_111:                            ; =>This Inner Loop Header: Depth=1
	global_load_ubyte v34, v[22:23], off
	global_load_ubyte v35, v[24:25], off
	s_or_b64 s[30:31], s[30:31], exec
	s_or_b64 s[34:35], s[34:35], exec
	s_waitcnt vmcnt(1)
	v_cmp_eq_u16_e32 vcc, 0, v34
	s_waitcnt vmcnt(0)
	v_cmp_ne_u16_e64 s[2:3], 0, v35
	s_xor_b64 s[42:43], vcc, s[2:3]
	s_and_saveexec_b64 s[40:41], s[42:43]
	s_cbranch_execz .LBB993_110
; %bb.112:                              ;   in Loop: Header=BB993_111 Depth=1
	s_add_u32 s38, s38, -1
	s_addc_u32 s39, s39, -1
	s_cmp_eq_u64 s[38:39], 0
	s_cselect_b64 s[42:43], -1, 0
	s_andn2_b64 s[34:35], s[34:35], exec
	s_and_b64 s[42:43], s[42:43], exec
	v_lshl_add_u64 v[22:23], v[22:23], 0, 1
	v_lshl_add_u64 v[24:25], v[24:25], 0, 1
	s_andn2_b64 s[30:31], s[30:31], exec
	s_or_b64 s[34:35], s[34:35], s[42:43]
	s_branch .LBB993_110
.LBB993_113:
	s_or_b64 exec, exec, s[26:27]
	s_and_saveexec_b64 s[2:3], s[12:13]
	s_xor_b64 s[2:3], exec, s[2:3]
; %bb.114:
	v_cndmask_b32_e64 v23, v11, v13, s[10:11]
	v_cndmask_b32_e64 v22, v10, v12, s[10:11]
	;; [unrolled: 1-line block ×4, first 2 shown]
	v_mov_b64_e32 v[10:11], v[22:23]
; %bb.115:
	s_or_b64 exec, exec, s[2:3]
.LBB993_116:
	s_and_b64 vcc, exec, s[0:1]
	s_cbranch_vccnz .LBB993_190
; %bb.117:
	v_mov_b64_e32 v[24:25], s[22:23]
	v_mad_u64_u32 v[22:23], s[2:3], v8, s20, v[24:25]
	v_mul_lo_u32 v34, v8, s21
	v_mul_lo_u32 v35, v9, s20
	v_add3_u32 v23, v35, v23, v34
	v_mad_u64_u32 v[24:25], s[2:3], v6, s20, v[24:25]
	v_mul_lo_u32 v34, v6, s21
	v_mul_lo_u32 v35, v7, s20
	v_add3_u32 v25, v35, v25, v34
	s_mov_b64 s[12:13], 0
	s_mov_b64 s[38:39], s[20:21]
                                        ; implicit-def: $sgpr10_sgpr11
                                        ; implicit-def: $sgpr26_sgpr27
                                        ; implicit-def: $sgpr34_sgpr35
                                        ; implicit-def: $sgpr30_sgpr31
                                        ; implicit-def: $sgpr36_sgpr37
	s_branch .LBB993_119
.LBB993_118:                            ;   in Loop: Header=BB993_119 Depth=1
	s_or_b64 exec, exec, s[40:41]
	s_and_b64 s[40:41], vcc, s[2:3]
	s_or_b64 s[2:3], vcc, s[2:3]
	s_and_b64 s[2:3], s[2:3], s[36:37]
	s_or_b64 s[2:3], s[40:41], s[2:3]
	s_and_b64 s[40:41], exec, s[34:35]
	s_or_b64 s[12:13], s[40:41], s[12:13]
	s_andn2_b64 s[36:37], s[36:37], exec
	s_and_b64 s[2:3], s[2:3], exec
	s_andn2_b64 s[26:27], s[26:27], exec
	s_and_b64 s[40:41], s[30:31], exec
	s_andn2_b64 s[10:11], s[10:11], exec
	s_or_b64 s[36:37], s[36:37], s[2:3]
	s_or_b64 s[26:27], s[26:27], s[40:41]
	;; [unrolled: 1-line block ×3, first 2 shown]
	s_andn2_b64 exec, exec, s[12:13]
	s_cbranch_execz .LBB993_121
.LBB993_119:                            ; =>This Inner Loop Header: Depth=1
	global_load_ubyte v34, v[22:23], off
	global_load_ubyte v35, v[24:25], off
	s_or_b64 s[30:31], s[30:31], exec
	s_or_b64 s[34:35], s[34:35], exec
	s_waitcnt vmcnt(1)
	v_cmp_eq_u16_e32 vcc, 0, v34
	s_waitcnt vmcnt(0)
	v_cmp_ne_u16_e64 s[2:3], 0, v35
	s_xor_b64 s[42:43], vcc, s[2:3]
	s_and_saveexec_b64 s[40:41], s[42:43]
	s_cbranch_execz .LBB993_118
; %bb.120:                              ;   in Loop: Header=BB993_119 Depth=1
	s_add_u32 s38, s38, -1
	s_addc_u32 s39, s39, -1
	s_cmp_eq_u64 s[38:39], 0
	s_cselect_b64 s[42:43], -1, 0
	s_andn2_b64 s[34:35], s[34:35], exec
	s_and_b64 s[42:43], s[42:43], exec
	v_lshl_add_u64 v[22:23], v[22:23], 0, 1
	v_lshl_add_u64 v[24:25], v[24:25], 0, 1
	s_andn2_b64 s[30:31], s[30:31], exec
	s_or_b64 s[34:35], s[34:35], s[42:43]
	s_branch .LBB993_118
.LBB993_121:
	s_or_b64 exec, exec, s[12:13]
	s_and_saveexec_b64 s[2:3], s[26:27]
	s_xor_b64 s[2:3], exec, s[2:3]
; %bb.122:
	v_cndmask_b32_e64 v23, v7, v9, s[10:11]
	v_cndmask_b32_e64 v22, v6, v8, s[10:11]
	v_cndmask_b32_e64 v9, v9, v7, s[10:11]
	v_cndmask_b32_e64 v8, v8, v6, s[10:11]
	v_mov_b64_e32 v[6:7], v[22:23]
; %bb.123:
	s_or_b64 exec, exec, s[2:3]
	v_mov_b64_e32 v[24:25], s[22:23]
	v_mad_u64_u32 v[22:23], s[2:3], v4, s20, v[24:25]
	v_mul_lo_u32 v34, v4, s21
	v_mul_lo_u32 v35, v5, s20
	v_add3_u32 v23, v35, v23, v34
	v_mad_u64_u32 v[24:25], s[2:3], v2, s20, v[24:25]
	v_mul_lo_u32 v34, v2, s21
	v_mul_lo_u32 v35, v3, s20
	v_add3_u32 v25, v35, v25, v34
	s_mov_b64 s[12:13], 0
	s_mov_b64 s[38:39], s[20:21]
                                        ; implicit-def: $sgpr10_sgpr11
                                        ; implicit-def: $sgpr26_sgpr27
                                        ; implicit-def: $sgpr34_sgpr35
                                        ; implicit-def: $sgpr30_sgpr31
                                        ; implicit-def: $sgpr36_sgpr37
	s_branch .LBB993_125
.LBB993_124:                            ;   in Loop: Header=BB993_125 Depth=1
	s_or_b64 exec, exec, s[40:41]
	s_and_b64 s[40:41], vcc, s[2:3]
	s_or_b64 s[2:3], vcc, s[2:3]
	s_and_b64 s[2:3], s[2:3], s[36:37]
	s_or_b64 s[2:3], s[40:41], s[2:3]
	s_and_b64 s[40:41], exec, s[34:35]
	s_or_b64 s[12:13], s[40:41], s[12:13]
	s_andn2_b64 s[36:37], s[36:37], exec
	s_and_b64 s[2:3], s[2:3], exec
	s_andn2_b64 s[26:27], s[26:27], exec
	s_and_b64 s[40:41], s[30:31], exec
	s_andn2_b64 s[10:11], s[10:11], exec
	s_or_b64 s[36:37], s[36:37], s[2:3]
	s_or_b64 s[26:27], s[26:27], s[40:41]
	;; [unrolled: 1-line block ×3, first 2 shown]
	s_andn2_b64 exec, exec, s[12:13]
	s_cbranch_execz .LBB993_127
.LBB993_125:                            ; =>This Inner Loop Header: Depth=1
	global_load_ubyte v34, v[22:23], off
	global_load_ubyte v35, v[24:25], off
	s_or_b64 s[30:31], s[30:31], exec
	s_or_b64 s[34:35], s[34:35], exec
	s_waitcnt vmcnt(1)
	v_cmp_eq_u16_e32 vcc, 0, v34
	s_waitcnt vmcnt(0)
	v_cmp_ne_u16_e64 s[2:3], 0, v35
	s_xor_b64 s[42:43], vcc, s[2:3]
	s_and_saveexec_b64 s[40:41], s[42:43]
	s_cbranch_execz .LBB993_124
; %bb.126:                              ;   in Loop: Header=BB993_125 Depth=1
	s_add_u32 s38, s38, -1
	s_addc_u32 s39, s39, -1
	s_cmp_eq_u64 s[38:39], 0
	s_cselect_b64 s[42:43], -1, 0
	s_andn2_b64 s[34:35], s[34:35], exec
	s_and_b64 s[42:43], s[42:43], exec
	v_lshl_add_u64 v[22:23], v[22:23], 0, 1
	v_lshl_add_u64 v[24:25], v[24:25], 0, 1
	s_andn2_b64 s[30:31], s[30:31], exec
	s_or_b64 s[34:35], s[34:35], s[42:43]
	s_branch .LBB993_124
.LBB993_127:
	s_or_b64 exec, exec, s[12:13]
	s_and_saveexec_b64 s[2:3], s[26:27]
	s_xor_b64 s[2:3], exec, s[2:3]
; %bb.128:
	v_cndmask_b32_e64 v23, v3, v5, s[10:11]
	v_cndmask_b32_e64 v22, v2, v4, s[10:11]
	;; [unrolled: 1-line block ×4, first 2 shown]
	v_mov_b64_e32 v[2:3], v[22:23]
; %bb.129:
	s_or_b64 exec, exec, s[2:3]
	v_mov_b64_e32 v[24:25], s[22:23]
	v_mad_u64_u32 v[22:23], s[2:3], v10, s20, v[24:25]
	v_mul_lo_u32 v34, v10, s21
	v_mul_lo_u32 v35, v11, s20
	v_add3_u32 v23, v35, v23, v34
	v_mad_u64_u32 v[24:25], s[2:3], v16, s20, v[24:25]
	v_mul_lo_u32 v34, v16, s21
	v_mul_lo_u32 v35, v17, s20
	v_add3_u32 v25, v35, v25, v34
	s_mov_b64 s[12:13], 0
	s_mov_b64 s[38:39], s[20:21]
                                        ; implicit-def: $sgpr10_sgpr11
                                        ; implicit-def: $sgpr26_sgpr27
                                        ; implicit-def: $sgpr34_sgpr35
                                        ; implicit-def: $sgpr30_sgpr31
                                        ; implicit-def: $sgpr36_sgpr37
	s_branch .LBB993_131
.LBB993_130:                            ;   in Loop: Header=BB993_131 Depth=1
	s_or_b64 exec, exec, s[40:41]
	s_and_b64 s[40:41], vcc, s[2:3]
	s_or_b64 s[2:3], vcc, s[2:3]
	s_and_b64 s[2:3], s[2:3], s[36:37]
	s_or_b64 s[2:3], s[40:41], s[2:3]
	s_and_b64 s[40:41], exec, s[34:35]
	s_or_b64 s[12:13], s[40:41], s[12:13]
	s_andn2_b64 s[36:37], s[36:37], exec
	s_and_b64 s[2:3], s[2:3], exec
	s_andn2_b64 s[26:27], s[26:27], exec
	s_and_b64 s[40:41], s[30:31], exec
	s_andn2_b64 s[10:11], s[10:11], exec
	s_or_b64 s[36:37], s[36:37], s[2:3]
	s_or_b64 s[26:27], s[26:27], s[40:41]
	;; [unrolled: 1-line block ×3, first 2 shown]
	s_andn2_b64 exec, exec, s[12:13]
	s_cbranch_execz .LBB993_133
.LBB993_131:                            ; =>This Inner Loop Header: Depth=1
	global_load_ubyte v34, v[22:23], off
	global_load_ubyte v35, v[24:25], off
	s_or_b64 s[30:31], s[30:31], exec
	s_or_b64 s[34:35], s[34:35], exec
	s_waitcnt vmcnt(1)
	v_cmp_eq_u16_e32 vcc, 0, v34
	s_waitcnt vmcnt(0)
	v_cmp_ne_u16_e64 s[2:3], 0, v35
	s_xor_b64 s[42:43], vcc, s[2:3]
	s_and_saveexec_b64 s[40:41], s[42:43]
	s_cbranch_execz .LBB993_130
; %bb.132:                              ;   in Loop: Header=BB993_131 Depth=1
	s_add_u32 s38, s38, -1
	s_addc_u32 s39, s39, -1
	s_cmp_eq_u64 s[38:39], 0
	s_cselect_b64 s[42:43], -1, 0
	s_andn2_b64 s[34:35], s[34:35], exec
	s_and_b64 s[42:43], s[42:43], exec
	v_lshl_add_u64 v[22:23], v[22:23], 0, 1
	v_lshl_add_u64 v[24:25], v[24:25], 0, 1
	s_andn2_b64 s[30:31], s[30:31], exec
	s_or_b64 s[34:35], s[34:35], s[42:43]
	s_branch .LBB993_130
.LBB993_133:
	s_or_b64 exec, exec, s[12:13]
	s_and_saveexec_b64 s[2:3], s[26:27]
	s_xor_b64 s[2:3], exec, s[2:3]
; %bb.134:
	v_cndmask_b32_e64 v23, v17, v11, s[10:11]
	v_cndmask_b32_e64 v22, v16, v10, s[10:11]
	;; [unrolled: 1-line block ×4, first 2 shown]
	v_mov_b64_e32 v[16:17], v[22:23]
; %bb.135:
	s_or_b64 exec, exec, s[2:3]
	v_mov_b64_e32 v[24:25], s[22:23]
	v_mad_u64_u32 v[22:23], s[2:3], v6, s20, v[24:25]
	v_mul_lo_u32 v34, v6, s21
	v_mul_lo_u32 v35, v7, s20
	v_add3_u32 v23, v35, v23, v34
	v_mad_u64_u32 v[24:25], s[2:3], v12, s20, v[24:25]
	v_mul_lo_u32 v34, v12, s21
	v_mul_lo_u32 v35, v13, s20
	v_add3_u32 v25, v35, v25, v34
	s_mov_b64 s[12:13], 0
	s_mov_b64 s[38:39], s[20:21]
                                        ; implicit-def: $sgpr10_sgpr11
                                        ; implicit-def: $sgpr26_sgpr27
                                        ; implicit-def: $sgpr34_sgpr35
                                        ; implicit-def: $sgpr30_sgpr31
                                        ; implicit-def: $sgpr36_sgpr37
	s_branch .LBB993_137
.LBB993_136:                            ;   in Loop: Header=BB993_137 Depth=1
	s_or_b64 exec, exec, s[40:41]
	s_and_b64 s[40:41], vcc, s[2:3]
	s_or_b64 s[2:3], vcc, s[2:3]
	s_and_b64 s[2:3], s[2:3], s[36:37]
	s_or_b64 s[2:3], s[40:41], s[2:3]
	s_and_b64 s[40:41], exec, s[34:35]
	s_or_b64 s[12:13], s[40:41], s[12:13]
	s_andn2_b64 s[36:37], s[36:37], exec
	s_and_b64 s[2:3], s[2:3], exec
	s_andn2_b64 s[26:27], s[26:27], exec
	s_and_b64 s[40:41], s[30:31], exec
	s_andn2_b64 s[10:11], s[10:11], exec
	s_or_b64 s[36:37], s[36:37], s[2:3]
	s_or_b64 s[26:27], s[26:27], s[40:41]
	;; [unrolled: 1-line block ×3, first 2 shown]
	s_andn2_b64 exec, exec, s[12:13]
	s_cbranch_execz .LBB993_139
.LBB993_137:                            ; =>This Inner Loop Header: Depth=1
	global_load_ubyte v34, v[22:23], off
	global_load_ubyte v35, v[24:25], off
	s_or_b64 s[30:31], s[30:31], exec
	s_or_b64 s[34:35], s[34:35], exec
	s_waitcnt vmcnt(1)
	v_cmp_eq_u16_e32 vcc, 0, v34
	s_waitcnt vmcnt(0)
	v_cmp_ne_u16_e64 s[2:3], 0, v35
	s_xor_b64 s[42:43], vcc, s[2:3]
	s_and_saveexec_b64 s[40:41], s[42:43]
	s_cbranch_execz .LBB993_136
; %bb.138:                              ;   in Loop: Header=BB993_137 Depth=1
	s_add_u32 s38, s38, -1
	s_addc_u32 s39, s39, -1
	s_cmp_eq_u64 s[38:39], 0
	s_cselect_b64 s[42:43], -1, 0
	s_andn2_b64 s[34:35], s[34:35], exec
	s_and_b64 s[42:43], s[42:43], exec
	v_lshl_add_u64 v[22:23], v[22:23], 0, 1
	v_lshl_add_u64 v[24:25], v[24:25], 0, 1
	s_andn2_b64 s[30:31], s[30:31], exec
	s_or_b64 s[34:35], s[34:35], s[42:43]
	s_branch .LBB993_136
.LBB993_139:
	s_or_b64 exec, exec, s[12:13]
	s_and_saveexec_b64 s[2:3], s[26:27]
	s_xor_b64 s[2:3], exec, s[2:3]
; %bb.140:
	v_cndmask_b32_e64 v23, v13, v7, s[10:11]
	v_cndmask_b32_e64 v22, v12, v6, s[10:11]
	;; [unrolled: 1-line block ×4, first 2 shown]
	v_mov_b64_e32 v[12:13], v[22:23]
; %bb.141:
	s_or_b64 exec, exec, s[2:3]
	v_mov_b64_e32 v[24:25], s[22:23]
	v_mad_u64_u32 v[22:23], s[2:3], v2, s20, v[24:25]
	v_mul_lo_u32 v34, v2, s21
	v_mul_lo_u32 v35, v3, s20
	v_add3_u32 v23, v35, v23, v34
	v_mad_u64_u32 v[24:25], s[2:3], v8, s20, v[24:25]
	v_mul_lo_u32 v34, v8, s21
	v_mul_lo_u32 v35, v9, s20
	v_add3_u32 v25, v35, v25, v34
	s_mov_b64 s[12:13], 0
	s_mov_b64 s[38:39], s[20:21]
                                        ; implicit-def: $sgpr10_sgpr11
                                        ; implicit-def: $sgpr26_sgpr27
                                        ; implicit-def: $sgpr34_sgpr35
                                        ; implicit-def: $sgpr30_sgpr31
                                        ; implicit-def: $sgpr36_sgpr37
	s_branch .LBB993_143
.LBB993_142:                            ;   in Loop: Header=BB993_143 Depth=1
	s_or_b64 exec, exec, s[40:41]
	s_and_b64 s[40:41], vcc, s[2:3]
	s_or_b64 s[2:3], vcc, s[2:3]
	s_and_b64 s[2:3], s[2:3], s[36:37]
	s_or_b64 s[2:3], s[40:41], s[2:3]
	s_and_b64 s[40:41], exec, s[34:35]
	s_or_b64 s[12:13], s[40:41], s[12:13]
	s_andn2_b64 s[36:37], s[36:37], exec
	s_and_b64 s[2:3], s[2:3], exec
	s_andn2_b64 s[26:27], s[26:27], exec
	s_and_b64 s[40:41], s[30:31], exec
	s_andn2_b64 s[10:11], s[10:11], exec
	s_or_b64 s[36:37], s[36:37], s[2:3]
	s_or_b64 s[26:27], s[26:27], s[40:41]
	;; [unrolled: 1-line block ×3, first 2 shown]
	s_andn2_b64 exec, exec, s[12:13]
	s_cbranch_execz .LBB993_145
.LBB993_143:                            ; =>This Inner Loop Header: Depth=1
	global_load_ubyte v34, v[22:23], off
	global_load_ubyte v35, v[24:25], off
	s_or_b64 s[30:31], s[30:31], exec
	s_or_b64 s[34:35], s[34:35], exec
	s_waitcnt vmcnt(1)
	v_cmp_eq_u16_e32 vcc, 0, v34
	s_waitcnt vmcnt(0)
	v_cmp_ne_u16_e64 s[2:3], 0, v35
	s_xor_b64 s[42:43], vcc, s[2:3]
	s_and_saveexec_b64 s[40:41], s[42:43]
	s_cbranch_execz .LBB993_142
; %bb.144:                              ;   in Loop: Header=BB993_143 Depth=1
	s_add_u32 s38, s38, -1
	s_addc_u32 s39, s39, -1
	s_cmp_eq_u64 s[38:39], 0
	s_cselect_b64 s[42:43], -1, 0
	s_andn2_b64 s[34:35], s[34:35], exec
	s_and_b64 s[42:43], s[42:43], exec
	v_lshl_add_u64 v[22:23], v[22:23], 0, 1
	v_lshl_add_u64 v[24:25], v[24:25], 0, 1
	s_andn2_b64 s[30:31], s[30:31], exec
	s_or_b64 s[34:35], s[34:35], s[42:43]
	s_branch .LBB993_142
.LBB993_145:
	s_or_b64 exec, exec, s[12:13]
	s_and_saveexec_b64 s[2:3], s[26:27]
	s_xor_b64 s[2:3], exec, s[2:3]
; %bb.146:
	v_cndmask_b32_e64 v23, v9, v3, s[10:11]
	v_cndmask_b32_e64 v22, v8, v2, s[10:11]
	v_cndmask_b32_e64 v3, v3, v9, s[10:11]
	v_cndmask_b32_e64 v2, v2, v8, s[10:11]
	v_mov_b64_e32 v[8:9], v[22:23]
; %bb.147:
	s_or_b64 exec, exec, s[2:3]
	v_mov_b64_e32 v[24:25], s[22:23]
	v_mad_u64_u32 v[22:23], s[2:3], v16, s20, v[24:25]
	v_mul_lo_u32 v34, v16, s21
	v_mul_lo_u32 v35, v17, s20
	v_add3_u32 v23, v35, v23, v34
	v_mad_u64_u32 v[24:25], s[2:3], v14, s20, v[24:25]
	v_mul_lo_u32 v34, v14, s21
	v_mul_lo_u32 v35, v15, s20
	v_add3_u32 v25, v35, v25, v34
	s_mov_b64 s[12:13], 0
	s_mov_b64 s[38:39], s[20:21]
                                        ; implicit-def: $sgpr10_sgpr11
                                        ; implicit-def: $sgpr26_sgpr27
                                        ; implicit-def: $sgpr34_sgpr35
                                        ; implicit-def: $sgpr30_sgpr31
                                        ; implicit-def: $sgpr36_sgpr37
	s_branch .LBB993_149
.LBB993_148:                            ;   in Loop: Header=BB993_149 Depth=1
	s_or_b64 exec, exec, s[40:41]
	s_and_b64 s[40:41], vcc, s[2:3]
	s_or_b64 s[2:3], vcc, s[2:3]
	s_and_b64 s[2:3], s[2:3], s[36:37]
	s_or_b64 s[2:3], s[40:41], s[2:3]
	s_and_b64 s[40:41], exec, s[34:35]
	s_or_b64 s[12:13], s[40:41], s[12:13]
	s_andn2_b64 s[36:37], s[36:37], exec
	s_and_b64 s[2:3], s[2:3], exec
	s_andn2_b64 s[26:27], s[26:27], exec
	s_and_b64 s[40:41], s[30:31], exec
	s_andn2_b64 s[10:11], s[10:11], exec
	s_or_b64 s[36:37], s[36:37], s[2:3]
	s_or_b64 s[26:27], s[26:27], s[40:41]
	;; [unrolled: 1-line block ×3, first 2 shown]
	s_andn2_b64 exec, exec, s[12:13]
	s_cbranch_execz .LBB993_151
.LBB993_149:                            ; =>This Inner Loop Header: Depth=1
	global_load_ubyte v34, v[22:23], off
	global_load_ubyte v35, v[24:25], off
	s_or_b64 s[30:31], s[30:31], exec
	s_or_b64 s[34:35], s[34:35], exec
	s_waitcnt vmcnt(1)
	v_cmp_eq_u16_e32 vcc, 0, v34
	s_waitcnt vmcnt(0)
	v_cmp_ne_u16_e64 s[2:3], 0, v35
	s_xor_b64 s[42:43], vcc, s[2:3]
	s_and_saveexec_b64 s[40:41], s[42:43]
	s_cbranch_execz .LBB993_148
; %bb.150:                              ;   in Loop: Header=BB993_149 Depth=1
	s_add_u32 s38, s38, -1
	s_addc_u32 s39, s39, -1
	s_cmp_eq_u64 s[38:39], 0
	s_cselect_b64 s[42:43], -1, 0
	s_andn2_b64 s[34:35], s[34:35], exec
	s_and_b64 s[42:43], s[42:43], exec
	v_lshl_add_u64 v[22:23], v[22:23], 0, 1
	v_lshl_add_u64 v[24:25], v[24:25], 0, 1
	s_andn2_b64 s[30:31], s[30:31], exec
	s_or_b64 s[34:35], s[34:35], s[42:43]
	s_branch .LBB993_148
.LBB993_151:
	s_or_b64 exec, exec, s[12:13]
	s_and_saveexec_b64 s[2:3], s[26:27]
	s_xor_b64 s[2:3], exec, s[2:3]
; %bb.152:
	v_cndmask_b32_e64 v23, v17, v15, s[10:11]
	v_cndmask_b32_e64 v22, v16, v14, s[10:11]
	;; [unrolled: 1-line block ×4, first 2 shown]
	v_mov_b64_e32 v[16:17], v[22:23]
; %bb.153:
	s_or_b64 exec, exec, s[2:3]
	v_mov_b64_e32 v[24:25], s[22:23]
	v_mad_u64_u32 v[22:23], s[2:3], v12, s20, v[24:25]
	v_mul_lo_u32 v34, v12, s21
	v_mul_lo_u32 v35, v13, s20
	v_add3_u32 v23, v35, v23, v34
	v_mad_u64_u32 v[24:25], s[2:3], v10, s20, v[24:25]
	v_mul_lo_u32 v34, v10, s21
	v_mul_lo_u32 v35, v11, s20
	v_add3_u32 v25, v35, v25, v34
	s_mov_b64 s[12:13], 0
	s_mov_b64 s[38:39], s[20:21]
                                        ; implicit-def: $sgpr10_sgpr11
                                        ; implicit-def: $sgpr26_sgpr27
                                        ; implicit-def: $sgpr34_sgpr35
                                        ; implicit-def: $sgpr30_sgpr31
                                        ; implicit-def: $sgpr36_sgpr37
	s_branch .LBB993_155
.LBB993_154:                            ;   in Loop: Header=BB993_155 Depth=1
	s_or_b64 exec, exec, s[40:41]
	s_and_b64 s[40:41], vcc, s[2:3]
	s_or_b64 s[2:3], vcc, s[2:3]
	s_and_b64 s[2:3], s[2:3], s[36:37]
	s_or_b64 s[2:3], s[40:41], s[2:3]
	s_and_b64 s[40:41], exec, s[34:35]
	s_or_b64 s[12:13], s[40:41], s[12:13]
	s_andn2_b64 s[36:37], s[36:37], exec
	s_and_b64 s[2:3], s[2:3], exec
	s_andn2_b64 s[26:27], s[26:27], exec
	s_and_b64 s[40:41], s[30:31], exec
	s_andn2_b64 s[10:11], s[10:11], exec
	s_or_b64 s[36:37], s[36:37], s[2:3]
	s_or_b64 s[26:27], s[26:27], s[40:41]
	;; [unrolled: 1-line block ×3, first 2 shown]
	s_andn2_b64 exec, exec, s[12:13]
	s_cbranch_execz .LBB993_157
.LBB993_155:                            ; =>This Inner Loop Header: Depth=1
	global_load_ubyte v34, v[22:23], off
	global_load_ubyte v35, v[24:25], off
	s_or_b64 s[30:31], s[30:31], exec
	s_or_b64 s[34:35], s[34:35], exec
	s_waitcnt vmcnt(1)
	v_cmp_eq_u16_e32 vcc, 0, v34
	s_waitcnt vmcnt(0)
	v_cmp_ne_u16_e64 s[2:3], 0, v35
	s_xor_b64 s[42:43], vcc, s[2:3]
	s_and_saveexec_b64 s[40:41], s[42:43]
	s_cbranch_execz .LBB993_154
; %bb.156:                              ;   in Loop: Header=BB993_155 Depth=1
	s_add_u32 s38, s38, -1
	s_addc_u32 s39, s39, -1
	s_cmp_eq_u64 s[38:39], 0
	s_cselect_b64 s[42:43], -1, 0
	s_andn2_b64 s[34:35], s[34:35], exec
	s_and_b64 s[42:43], s[42:43], exec
	v_lshl_add_u64 v[22:23], v[22:23], 0, 1
	v_lshl_add_u64 v[24:25], v[24:25], 0, 1
	s_andn2_b64 s[30:31], s[30:31], exec
	s_or_b64 s[34:35], s[34:35], s[42:43]
	s_branch .LBB993_154
.LBB993_157:
	s_or_b64 exec, exec, s[12:13]
	s_and_saveexec_b64 s[2:3], s[26:27]
	s_xor_b64 s[2:3], exec, s[2:3]
; %bb.158:
	v_cndmask_b32_e64 v23, v11, v13, s[10:11]
	v_cndmask_b32_e64 v22, v10, v12, s[10:11]
	;; [unrolled: 1-line block ×4, first 2 shown]
	v_mov_b64_e32 v[10:11], v[22:23]
; %bb.159:
	s_or_b64 exec, exec, s[2:3]
	v_mov_b64_e32 v[24:25], s[22:23]
	v_mad_u64_u32 v[22:23], s[2:3], v8, s20, v[24:25]
	v_mul_lo_u32 v34, v8, s21
	v_mul_lo_u32 v35, v9, s20
	v_add3_u32 v23, v35, v23, v34
	v_mad_u64_u32 v[24:25], s[2:3], v6, s20, v[24:25]
	v_mul_lo_u32 v34, v6, s21
	v_mul_lo_u32 v35, v7, s20
	v_add3_u32 v25, v35, v25, v34
	s_mov_b64 s[12:13], 0
	s_mov_b64 s[38:39], s[20:21]
                                        ; implicit-def: $sgpr10_sgpr11
                                        ; implicit-def: $sgpr26_sgpr27
                                        ; implicit-def: $sgpr34_sgpr35
                                        ; implicit-def: $sgpr30_sgpr31
                                        ; implicit-def: $sgpr36_sgpr37
	s_branch .LBB993_161
.LBB993_160:                            ;   in Loop: Header=BB993_161 Depth=1
	s_or_b64 exec, exec, s[40:41]
	s_and_b64 s[40:41], vcc, s[2:3]
	s_or_b64 s[2:3], vcc, s[2:3]
	s_and_b64 s[2:3], s[2:3], s[36:37]
	s_or_b64 s[2:3], s[40:41], s[2:3]
	s_and_b64 s[40:41], exec, s[34:35]
	s_or_b64 s[12:13], s[40:41], s[12:13]
	s_andn2_b64 s[36:37], s[36:37], exec
	s_and_b64 s[2:3], s[2:3], exec
	s_andn2_b64 s[26:27], s[26:27], exec
	s_and_b64 s[40:41], s[30:31], exec
	s_andn2_b64 s[10:11], s[10:11], exec
	s_or_b64 s[36:37], s[36:37], s[2:3]
	s_or_b64 s[26:27], s[26:27], s[40:41]
	;; [unrolled: 1-line block ×3, first 2 shown]
	s_andn2_b64 exec, exec, s[12:13]
	s_cbranch_execz .LBB993_163
.LBB993_161:                            ; =>This Inner Loop Header: Depth=1
	global_load_ubyte v34, v[22:23], off
	global_load_ubyte v35, v[24:25], off
	s_or_b64 s[30:31], s[30:31], exec
	s_or_b64 s[34:35], s[34:35], exec
	s_waitcnt vmcnt(1)
	v_cmp_eq_u16_e32 vcc, 0, v34
	s_waitcnt vmcnt(0)
	v_cmp_ne_u16_e64 s[2:3], 0, v35
	s_xor_b64 s[42:43], vcc, s[2:3]
	s_and_saveexec_b64 s[40:41], s[42:43]
	s_cbranch_execz .LBB993_160
; %bb.162:                              ;   in Loop: Header=BB993_161 Depth=1
	s_add_u32 s38, s38, -1
	s_addc_u32 s39, s39, -1
	s_cmp_eq_u64 s[38:39], 0
	s_cselect_b64 s[42:43], -1, 0
	s_andn2_b64 s[34:35], s[34:35], exec
	s_and_b64 s[42:43], s[42:43], exec
	v_lshl_add_u64 v[22:23], v[22:23], 0, 1
	v_lshl_add_u64 v[24:25], v[24:25], 0, 1
	s_andn2_b64 s[30:31], s[30:31], exec
	s_or_b64 s[34:35], s[34:35], s[42:43]
	s_branch .LBB993_160
.LBB993_163:
	s_or_b64 exec, exec, s[12:13]
	s_and_saveexec_b64 s[2:3], s[26:27]
	s_xor_b64 s[2:3], exec, s[2:3]
; %bb.164:
	v_cndmask_b32_e64 v23, v7, v9, s[10:11]
	v_cndmask_b32_e64 v22, v6, v8, s[10:11]
	;; [unrolled: 1-line block ×4, first 2 shown]
	v_mov_b64_e32 v[6:7], v[22:23]
; %bb.165:
	s_or_b64 exec, exec, s[2:3]
	v_mov_b64_e32 v[24:25], s[22:23]
	v_mad_u64_u32 v[22:23], s[2:3], v4, s20, v[24:25]
	v_mul_lo_u32 v34, v4, s21
	v_mul_lo_u32 v35, v5, s20
	v_add3_u32 v23, v35, v23, v34
	v_mad_u64_u32 v[24:25], s[2:3], v2, s20, v[24:25]
	v_mul_lo_u32 v34, v2, s21
	v_mul_lo_u32 v35, v3, s20
	v_add3_u32 v25, v35, v25, v34
	s_mov_b64 s[12:13], 0
	s_mov_b64 s[38:39], s[20:21]
                                        ; implicit-def: $sgpr10_sgpr11
                                        ; implicit-def: $sgpr26_sgpr27
                                        ; implicit-def: $sgpr34_sgpr35
                                        ; implicit-def: $sgpr30_sgpr31
                                        ; implicit-def: $sgpr36_sgpr37
	s_branch .LBB993_167
.LBB993_166:                            ;   in Loop: Header=BB993_167 Depth=1
	s_or_b64 exec, exec, s[40:41]
	s_and_b64 s[40:41], vcc, s[2:3]
	s_or_b64 s[2:3], vcc, s[2:3]
	s_and_b64 s[2:3], s[2:3], s[36:37]
	s_or_b64 s[2:3], s[40:41], s[2:3]
	s_and_b64 s[40:41], exec, s[34:35]
	s_or_b64 s[12:13], s[40:41], s[12:13]
	s_andn2_b64 s[36:37], s[36:37], exec
	s_and_b64 s[2:3], s[2:3], exec
	s_andn2_b64 s[26:27], s[26:27], exec
	s_and_b64 s[40:41], s[30:31], exec
	s_andn2_b64 s[10:11], s[10:11], exec
	s_or_b64 s[36:37], s[36:37], s[2:3]
	s_or_b64 s[26:27], s[26:27], s[40:41]
	;; [unrolled: 1-line block ×3, first 2 shown]
	s_andn2_b64 exec, exec, s[12:13]
	s_cbranch_execz .LBB993_169
.LBB993_167:                            ; =>This Inner Loop Header: Depth=1
	global_load_ubyte v34, v[22:23], off
	global_load_ubyte v35, v[24:25], off
	s_or_b64 s[30:31], s[30:31], exec
	s_or_b64 s[34:35], s[34:35], exec
	s_waitcnt vmcnt(1)
	v_cmp_eq_u16_e32 vcc, 0, v34
	s_waitcnt vmcnt(0)
	v_cmp_ne_u16_e64 s[2:3], 0, v35
	s_xor_b64 s[42:43], vcc, s[2:3]
	s_and_saveexec_b64 s[40:41], s[42:43]
	s_cbranch_execz .LBB993_166
; %bb.168:                              ;   in Loop: Header=BB993_167 Depth=1
	s_add_u32 s38, s38, -1
	s_addc_u32 s39, s39, -1
	s_cmp_eq_u64 s[38:39], 0
	s_cselect_b64 s[42:43], -1, 0
	s_andn2_b64 s[34:35], s[34:35], exec
	s_and_b64 s[42:43], s[42:43], exec
	v_lshl_add_u64 v[22:23], v[22:23], 0, 1
	v_lshl_add_u64 v[24:25], v[24:25], 0, 1
	s_andn2_b64 s[30:31], s[30:31], exec
	s_or_b64 s[34:35], s[34:35], s[42:43]
	s_branch .LBB993_166
.LBB993_169:
	s_or_b64 exec, exec, s[12:13]
	s_and_saveexec_b64 s[2:3], s[26:27]
	s_xor_b64 s[2:3], exec, s[2:3]
; %bb.170:
	v_cndmask_b32_e64 v23, v3, v5, s[10:11]
	v_cndmask_b32_e64 v22, v2, v4, s[10:11]
	;; [unrolled: 1-line block ×4, first 2 shown]
	v_mov_b64_e32 v[2:3], v[22:23]
; %bb.171:
	s_or_b64 exec, exec, s[2:3]
	v_mov_b64_e32 v[24:25], s[22:23]
	v_mad_u64_u32 v[22:23], s[2:3], v10, s20, v[24:25]
	v_mul_lo_u32 v34, v10, s21
	v_mul_lo_u32 v35, v11, s20
	v_add3_u32 v23, v35, v23, v34
	v_mad_u64_u32 v[24:25], s[2:3], v16, s20, v[24:25]
	v_mul_lo_u32 v34, v16, s21
	v_mul_lo_u32 v35, v17, s20
	v_add3_u32 v25, v35, v25, v34
	s_mov_b64 s[12:13], 0
	s_mov_b64 s[38:39], s[20:21]
                                        ; implicit-def: $sgpr10_sgpr11
                                        ; implicit-def: $sgpr26_sgpr27
                                        ; implicit-def: $sgpr34_sgpr35
                                        ; implicit-def: $sgpr30_sgpr31
                                        ; implicit-def: $sgpr36_sgpr37
	s_branch .LBB993_173
.LBB993_172:                            ;   in Loop: Header=BB993_173 Depth=1
	s_or_b64 exec, exec, s[40:41]
	s_and_b64 s[40:41], vcc, s[2:3]
	s_or_b64 s[2:3], vcc, s[2:3]
	s_and_b64 s[2:3], s[2:3], s[36:37]
	s_or_b64 s[2:3], s[40:41], s[2:3]
	s_and_b64 s[40:41], exec, s[34:35]
	s_or_b64 s[12:13], s[40:41], s[12:13]
	s_andn2_b64 s[36:37], s[36:37], exec
	s_and_b64 s[2:3], s[2:3], exec
	s_andn2_b64 s[26:27], s[26:27], exec
	s_and_b64 s[40:41], s[30:31], exec
	s_andn2_b64 s[10:11], s[10:11], exec
	s_or_b64 s[36:37], s[36:37], s[2:3]
	s_or_b64 s[26:27], s[26:27], s[40:41]
	;; [unrolled: 1-line block ×3, first 2 shown]
	s_andn2_b64 exec, exec, s[12:13]
	s_cbranch_execz .LBB993_175
.LBB993_173:                            ; =>This Inner Loop Header: Depth=1
	global_load_ubyte v34, v[22:23], off
	global_load_ubyte v35, v[24:25], off
	s_or_b64 s[30:31], s[30:31], exec
	s_or_b64 s[34:35], s[34:35], exec
	s_waitcnt vmcnt(1)
	v_cmp_eq_u16_e32 vcc, 0, v34
	s_waitcnt vmcnt(0)
	v_cmp_ne_u16_e64 s[2:3], 0, v35
	s_xor_b64 s[42:43], vcc, s[2:3]
	s_and_saveexec_b64 s[40:41], s[42:43]
	s_cbranch_execz .LBB993_172
; %bb.174:                              ;   in Loop: Header=BB993_173 Depth=1
	s_add_u32 s38, s38, -1
	s_addc_u32 s39, s39, -1
	s_cmp_eq_u64 s[38:39], 0
	s_cselect_b64 s[42:43], -1, 0
	s_andn2_b64 s[34:35], s[34:35], exec
	s_and_b64 s[42:43], s[42:43], exec
	v_lshl_add_u64 v[22:23], v[22:23], 0, 1
	v_lshl_add_u64 v[24:25], v[24:25], 0, 1
	s_andn2_b64 s[30:31], s[30:31], exec
	s_or_b64 s[34:35], s[34:35], s[42:43]
	s_branch .LBB993_172
.LBB993_175:
	s_or_b64 exec, exec, s[12:13]
	s_and_saveexec_b64 s[2:3], s[26:27]
	s_xor_b64 s[2:3], exec, s[2:3]
; %bb.176:
	v_cndmask_b32_e64 v23, v17, v11, s[10:11]
	v_cndmask_b32_e64 v22, v16, v10, s[10:11]
	;; [unrolled: 1-line block ×4, first 2 shown]
	v_mov_b64_e32 v[16:17], v[22:23]
; %bb.177:
	s_or_b64 exec, exec, s[2:3]
	v_mov_b64_e32 v[24:25], s[22:23]
	v_mad_u64_u32 v[22:23], s[2:3], v6, s20, v[24:25]
	v_mul_lo_u32 v34, v6, s21
	v_mul_lo_u32 v35, v7, s20
	v_add3_u32 v23, v35, v23, v34
	v_mad_u64_u32 v[24:25], s[2:3], v12, s20, v[24:25]
	v_mul_lo_u32 v34, v12, s21
	v_mul_lo_u32 v35, v13, s20
	v_add3_u32 v25, v35, v25, v34
	s_mov_b64 s[12:13], 0
	s_mov_b64 s[38:39], s[20:21]
                                        ; implicit-def: $sgpr10_sgpr11
                                        ; implicit-def: $sgpr26_sgpr27
                                        ; implicit-def: $sgpr34_sgpr35
                                        ; implicit-def: $sgpr30_sgpr31
                                        ; implicit-def: $sgpr36_sgpr37
	s_branch .LBB993_179
.LBB993_178:                            ;   in Loop: Header=BB993_179 Depth=1
	s_or_b64 exec, exec, s[40:41]
	s_and_b64 s[40:41], vcc, s[2:3]
	s_or_b64 s[2:3], vcc, s[2:3]
	s_and_b64 s[2:3], s[2:3], s[36:37]
	s_or_b64 s[2:3], s[40:41], s[2:3]
	s_and_b64 s[40:41], exec, s[34:35]
	s_or_b64 s[12:13], s[40:41], s[12:13]
	s_andn2_b64 s[36:37], s[36:37], exec
	s_and_b64 s[2:3], s[2:3], exec
	s_andn2_b64 s[26:27], s[26:27], exec
	s_and_b64 s[40:41], s[30:31], exec
	s_andn2_b64 s[10:11], s[10:11], exec
	s_or_b64 s[36:37], s[36:37], s[2:3]
	s_or_b64 s[26:27], s[26:27], s[40:41]
	;; [unrolled: 1-line block ×3, first 2 shown]
	s_andn2_b64 exec, exec, s[12:13]
	s_cbranch_execz .LBB993_181
.LBB993_179:                            ; =>This Inner Loop Header: Depth=1
	global_load_ubyte v34, v[22:23], off
	global_load_ubyte v35, v[24:25], off
	s_or_b64 s[30:31], s[30:31], exec
	s_or_b64 s[34:35], s[34:35], exec
	s_waitcnt vmcnt(1)
	v_cmp_eq_u16_e32 vcc, 0, v34
	s_waitcnt vmcnt(0)
	v_cmp_ne_u16_e64 s[2:3], 0, v35
	s_xor_b64 s[42:43], vcc, s[2:3]
	s_and_saveexec_b64 s[40:41], s[42:43]
	s_cbranch_execz .LBB993_178
; %bb.180:                              ;   in Loop: Header=BB993_179 Depth=1
	s_add_u32 s38, s38, -1
	s_addc_u32 s39, s39, -1
	s_cmp_eq_u64 s[38:39], 0
	s_cselect_b64 s[42:43], -1, 0
	s_andn2_b64 s[34:35], s[34:35], exec
	s_and_b64 s[42:43], s[42:43], exec
	v_lshl_add_u64 v[22:23], v[22:23], 0, 1
	v_lshl_add_u64 v[24:25], v[24:25], 0, 1
	s_andn2_b64 s[30:31], s[30:31], exec
	s_or_b64 s[34:35], s[34:35], s[42:43]
	s_branch .LBB993_178
.LBB993_181:
	s_or_b64 exec, exec, s[12:13]
	s_and_saveexec_b64 s[2:3], s[26:27]
	s_xor_b64 s[2:3], exec, s[2:3]
; %bb.182:
	v_cndmask_b32_e64 v23, v13, v7, s[10:11]
	v_cndmask_b32_e64 v22, v12, v6, s[10:11]
	;; [unrolled: 1-line block ×4, first 2 shown]
	v_mov_b64_e32 v[12:13], v[22:23]
; %bb.183:
	s_or_b64 exec, exec, s[2:3]
	v_mov_b64_e32 v[24:25], s[22:23]
	v_mad_u64_u32 v[22:23], s[2:3], v2, s20, v[24:25]
	v_mul_lo_u32 v34, v2, s21
	v_mul_lo_u32 v35, v3, s20
	v_add3_u32 v23, v35, v23, v34
	v_mad_u64_u32 v[24:25], s[2:3], v8, s20, v[24:25]
	v_mul_lo_u32 v34, v8, s21
	v_mul_lo_u32 v35, v9, s20
	v_add3_u32 v25, v35, v25, v34
	s_mov_b64 s[26:27], 0
	s_mov_b64 s[38:39], s[20:21]
                                        ; implicit-def: $sgpr10_sgpr11
                                        ; implicit-def: $sgpr12_sgpr13
                                        ; implicit-def: $sgpr34_sgpr35
                                        ; implicit-def: $sgpr30_sgpr31
                                        ; implicit-def: $sgpr36_sgpr37
	s_branch .LBB993_185
.LBB993_184:                            ;   in Loop: Header=BB993_185 Depth=1
	s_or_b64 exec, exec, s[40:41]
	s_and_b64 s[40:41], vcc, s[2:3]
	s_or_b64 s[2:3], vcc, s[2:3]
	s_and_b64 s[2:3], s[2:3], s[36:37]
	s_or_b64 s[2:3], s[40:41], s[2:3]
	s_and_b64 s[40:41], exec, s[34:35]
	s_or_b64 s[26:27], s[40:41], s[26:27]
	s_andn2_b64 s[36:37], s[36:37], exec
	s_and_b64 s[2:3], s[2:3], exec
	s_andn2_b64 s[12:13], s[12:13], exec
	s_and_b64 s[40:41], s[30:31], exec
	s_andn2_b64 s[10:11], s[10:11], exec
	s_or_b64 s[36:37], s[36:37], s[2:3]
	s_or_b64 s[12:13], s[12:13], s[40:41]
	;; [unrolled: 1-line block ×3, first 2 shown]
	s_andn2_b64 exec, exec, s[26:27]
	s_cbranch_execz .LBB993_187
.LBB993_185:                            ; =>This Inner Loop Header: Depth=1
	global_load_ubyte v34, v[22:23], off
	global_load_ubyte v35, v[24:25], off
	s_or_b64 s[30:31], s[30:31], exec
	s_or_b64 s[34:35], s[34:35], exec
	s_waitcnt vmcnt(1)
	v_cmp_eq_u16_e32 vcc, 0, v34
	s_waitcnt vmcnt(0)
	v_cmp_ne_u16_e64 s[2:3], 0, v35
	s_xor_b64 s[42:43], vcc, s[2:3]
	s_and_saveexec_b64 s[40:41], s[42:43]
	s_cbranch_execz .LBB993_184
; %bb.186:                              ;   in Loop: Header=BB993_185 Depth=1
	s_add_u32 s38, s38, -1
	s_addc_u32 s39, s39, -1
	s_cmp_eq_u64 s[38:39], 0
	s_cselect_b64 s[42:43], -1, 0
	s_andn2_b64 s[34:35], s[34:35], exec
	s_and_b64 s[42:43], s[42:43], exec
	v_lshl_add_u64 v[22:23], v[22:23], 0, 1
	v_lshl_add_u64 v[24:25], v[24:25], 0, 1
	s_andn2_b64 s[30:31], s[30:31], exec
	s_or_b64 s[34:35], s[34:35], s[42:43]
	s_branch .LBB993_184
.LBB993_187:
	s_or_b64 exec, exec, s[26:27]
	s_and_saveexec_b64 s[2:3], s[12:13]
	s_xor_b64 s[2:3], exec, s[2:3]
; %bb.188:
	v_cndmask_b32_e64 v23, v9, v3, s[10:11]
	v_cndmask_b32_e64 v22, v8, v2, s[10:11]
	;; [unrolled: 1-line block ×4, first 2 shown]
	v_mov_b64_e32 v[8:9], v[22:23]
; %bb.189:
	s_or_b64 exec, exec, s[2:3]
.LBB993_190:
	s_or_b64 exec, exec, s[4:5]
	v_mbcnt_lo_u32_b32 v22, -1, 0
	v_mbcnt_hi_u32_b32 v22, -1, v22
	v_and_b32_e32 v23, 0xfffffe00, v33
	s_movk_i32 s2, 0x800
	v_lshlrev_b32_e32 v33, 3, v23
	v_lshlrev_b32_e32 v35, 3, v22
	v_sub_u32_e64 v34, s2, v23 clamp
	v_lshl_add_u32 v36, v22, 6, v33
	v_or_b32_e32 v22, 8, v35
	v_min_u32_e32 v37, v34, v22
	v_add_u32_e32 v22, 8, v37
	v_and_b32_e32 v41, 0x3f0, v35
	v_min_u32_e32 v38, v34, v22
	v_and_b32_e32 v22, 8, v35
	v_min_u32_e32 v42, v34, v22
	v_sub_u32_e32 v22, v37, v41
	v_sub_u32_e32 v23, v38, v37
	v_sub_u32_e64 v40, v42, v23 clamp
	v_min_u32_e32 v43, v42, v22
	v_lshl_add_u32 v39, v41, 3, v33
	v_cmp_lt_u32_e32 vcc, v40, v43
	ds_write_b128 v36, v[14:17]
	ds_write_b128 v36, v[10:13] offset:16
	ds_write_b128 v36, v[6:9] offset:32
	;; [unrolled: 1-line block ×3, first 2 shown]
	; wave barrier
	s_and_saveexec_b64 s[4:5], vcc
	s_cbranch_execz .LBB993_200
; %bb.191:
	v_lshlrev_b32_e32 v22, 3, v37
	v_lshlrev_b32_e32 v23, 3, v42
	v_add3_u32 v44, v33, v22, v23
	s_mov_b64 s[10:11], 0
	s_branch .LBB993_194
.LBB993_192:                            ;   in Loop: Header=BB993_194 Depth=1
	s_or_b64 exec, exec, s[26:27]
.LBB993_193:                            ;   in Loop: Header=BB993_194 Depth=1
	v_add_u32_e32 v22, 1, v45
	v_cndmask_b32_e64 v43, v43, v45, s[12:13]
	v_cndmask_b32_e64 v40, v22, v40, s[12:13]
	v_cmp_ge_u32_e32 vcc, v40, v43
	s_or_b64 s[10:11], vcc, s[10:11]
	s_andn2_b64 exec, exec, s[10:11]
	s_cbranch_execz .LBB993_199
.LBB993_194:                            ; =>This Loop Header: Depth=1
                                        ;     Child Loop BB993_197 Depth 2
	v_add_u32_e32 v22, v43, v40
	v_lshrrev_b32_e32 v45, 1, v22
	s_and_b64 vcc, exec, s[0:1]
	s_mov_b64 s[12:13], 0
	s_cbranch_vccnz .LBB993_193
; %bb.195:                              ;   in Loop: Header=BB993_194 Depth=1
	v_not_b32_e32 v22, v45
	v_lshl_add_u32 v22, v22, 3, v44
	ds_read_b64 v[22:23], v22
	v_lshl_add_u32 v46, v45, 3, v39
	ds_read_b64 v[46:47], v46
	v_mov_b64_e32 v[24:25], s[22:23]
	s_mov_b64 s[26:27], 0
	s_waitcnt lgkmcnt(1)
	v_mul_lo_u32 v48, v22, s21
	v_mul_lo_u32 v49, v23, s20
	v_mad_u64_u32 v[22:23], s[2:3], v22, s20, v[24:25]
	v_add3_u32 v23, v49, v23, v48
	s_waitcnt lgkmcnt(0)
	v_mul_lo_u32 v48, v46, s21
	v_mul_lo_u32 v47, v47, s20
	v_mad_u64_u32 v[24:25], s[2:3], v46, s20, v[24:25]
	v_add3_u32 v25, v47, v25, v48
	s_mov_b64 s[34:35], s[20:21]
                                        ; implicit-def: $sgpr12_sgpr13
                                        ; implicit-def: $sgpr30_sgpr31
                                        ; implicit-def: $sgpr2_sgpr3
                                        ; implicit-def: $sgpr36_sgpr37
	s_branch .LBB993_197
.LBB993_196:                            ;   in Loop: Header=BB993_197 Depth=2
	s_or_b64 exec, exec, s[40:41]
	s_and_b64 s[40:41], exec, s[30:31]
	s_or_b64 s[26:27], s[40:41], s[26:27]
	s_andn2_b64 s[36:37], s[36:37], exec
	s_and_b64 s[38:39], s[38:39], exec
	s_or_b64 s[36:37], s[36:37], s[38:39]
	s_andn2_b64 s[12:13], s[12:13], exec
	s_and_b64 s[38:39], s[2:3], exec
	s_or_b64 s[12:13], s[12:13], s[38:39]
	s_andn2_b64 exec, exec, s[26:27]
	s_cbranch_execz .LBB993_192
.LBB993_197:                            ;   Parent Loop BB993_194 Depth=1
                                        ; =>  This Inner Loop Header: Depth=2
	global_load_ubyte v46, v[22:23], off
	global_load_ubyte v47, v[24:25], off
	s_andn2_b64 s[40:41], s[2:3], exec
	s_or_b64 s[30:31], s[30:31], exec
	s_waitcnt vmcnt(1)
	v_cmp_eq_u16_e32 vcc, 0, v46
	s_waitcnt vmcnt(0)
	v_cmp_ne_u16_e64 s[2:3], 0, v47
	s_or_b64 s[42:43], vcc, s[2:3]
	s_and_b64 s[38:39], vcc, s[2:3]
	s_xor_b64 s[44:45], vcc, s[2:3]
	s_and_b64 s[2:3], s[42:43], s[36:37]
	s_or_b64 s[38:39], s[38:39], s[2:3]
	s_and_b64 s[2:3], s[38:39], exec
	s_or_b64 s[2:3], s[40:41], s[2:3]
	s_and_saveexec_b64 s[40:41], s[44:45]
	s_cbranch_execz .LBB993_196
; %bb.198:                              ;   in Loop: Header=BB993_197 Depth=2
	s_add_u32 s34, s34, -1
	s_addc_u32 s35, s35, -1
	s_cmp_eq_u64 s[34:35], 0
	s_cselect_b64 s[36:37], -1, 0
	s_andn2_b64 s[30:31], s[30:31], exec
	s_and_b64 s[36:37], s[36:37], exec
	v_lshl_add_u64 v[22:23], v[22:23], 0, 1
	v_lshl_add_u64 v[24:25], v[24:25], 0, 1
	s_andn2_b64 s[2:3], s[2:3], exec
	s_or_b64 s[30:31], s[30:31], s[36:37]
                                        ; implicit-def: $sgpr36_sgpr37
	s_branch .LBB993_196
.LBB993_199:
	s_or_b64 exec, exec, s[10:11]
.LBB993_200:
	s_or_b64 exec, exec, s[4:5]
	v_add_u32_e32 v22, v37, v42
	v_add_u32_e32 v23, v40, v41
	v_sub_u32_e32 v24, v22, v40
	v_cmp_le_u32_e32 vcc, v23, v37
	v_cmp_le_u32_e64 s[2:3], v24, v38
	v_cmp_lt_i64_e64 s[10:11], s[20:21], 1
	s_or_b64 s[2:3], vcc, s[2:3]
	s_and_saveexec_b64 s[12:13], s[2:3]
	s_cbranch_execz .LBB993_268
; %bb.201:
	v_cmp_ge_u32_e32 vcc, v23, v37
	v_cmp_lt_u32_e64 s[2:3], v23, v37
                                        ; implicit-def: $vgpr2_vgpr3
	s_and_saveexec_b64 s[4:5], s[2:3]
; %bb.202:
	v_lshl_add_u32 v2, v40, 3, v39
	ds_read_b64 v[2:3], v2
; %bb.203:
	s_or_b64 exec, exec, s[4:5]
	v_cmp_ge_u32_e64 s[2:3], v24, v38
	v_cmp_lt_u32_e64 s[4:5], v24, v38
                                        ; implicit-def: $vgpr4_vgpr5
	s_and_saveexec_b64 s[26:27], s[4:5]
; %bb.204:
	v_lshl_add_u32 v4, v24, 3, v33
	ds_read_b64 v[4:5], v4
; %bb.205:
	s_or_b64 exec, exec, s[26:27]
	s_or_b64 s[4:5], vcc, s[2:3]
	s_nor_b64 s[30:31], s[4:5], s[10:11]
	s_xor_b64 s[4:5], vcc, -1
	s_or_b64 s[4:5], s[2:3], s[4:5]
	s_and_saveexec_b64 s[26:27], s[30:31]
	s_cbranch_execz .LBB993_211
; %bb.206:
	v_mov_b64_e32 v[8:9], s[22:23]
	s_waitcnt lgkmcnt(0)
	v_mad_u64_u32 v[6:7], s[2:3], v4, s20, v[8:9]
	v_mul_lo_u32 v10, v4, s21
	v_mul_lo_u32 v11, v5, s20
	v_add3_u32 v7, v11, v7, v10
	v_mad_u64_u32 v[8:9], s[2:3], v2, s20, v[8:9]
	v_mul_lo_u32 v10, v2, s21
	v_mul_lo_u32 v11, v3, s20
	v_add3_u32 v9, v11, v9, v10
	s_mov_b64 s[30:31], 0
	s_mov_b64 s[38:39], s[20:21]
                                        ; implicit-def: $sgpr34_sgpr35
                                        ; implicit-def: $sgpr36_sgpr37
                                        ; implicit-def: $sgpr2_sgpr3
                                        ; implicit-def: $sgpr40_sgpr41
	s_branch .LBB993_208
.LBB993_207:                            ;   in Loop: Header=BB993_208 Depth=1
	s_or_b64 exec, exec, s[44:45]
	s_and_b64 s[44:45], exec, s[36:37]
	s_or_b64 s[30:31], s[44:45], s[30:31]
	s_andn2_b64 s[40:41], s[40:41], exec
	s_and_b64 s[42:43], s[42:43], exec
	s_or_b64 s[40:41], s[40:41], s[42:43]
	s_andn2_b64 s[34:35], s[34:35], exec
	s_and_b64 s[42:43], s[2:3], exec
	s_or_b64 s[34:35], s[34:35], s[42:43]
	s_andn2_b64 exec, exec, s[30:31]
	s_cbranch_execz .LBB993_210
.LBB993_208:                            ; =>This Inner Loop Header: Depth=1
	global_load_ubyte v10, v[6:7], off
	global_load_ubyte v11, v[8:9], off
	s_andn2_b64 s[44:45], s[2:3], exec
	s_or_b64 s[36:37], s[36:37], exec
	s_waitcnt vmcnt(1)
	v_cmp_eq_u16_e32 vcc, 0, v10
	s_waitcnt vmcnt(0)
	v_cmp_ne_u16_e64 s[2:3], 0, v11
	s_or_b64 s[46:47], vcc, s[2:3]
	s_and_b64 s[42:43], vcc, s[2:3]
	s_xor_b64 s[48:49], vcc, s[2:3]
	s_and_b64 s[2:3], s[46:47], s[40:41]
	s_or_b64 s[42:43], s[42:43], s[2:3]
	s_and_b64 s[2:3], s[42:43], exec
	s_or_b64 s[2:3], s[44:45], s[2:3]
	s_and_saveexec_b64 s[44:45], s[48:49]
	s_cbranch_execz .LBB993_207
; %bb.209:                              ;   in Loop: Header=BB993_208 Depth=1
	s_add_u32 s38, s38, -1
	s_addc_u32 s39, s39, -1
	s_cmp_eq_u64 s[38:39], 0
	s_cselect_b64 s[40:41], -1, 0
	s_andn2_b64 s[36:37], s[36:37], exec
	s_and_b64 s[40:41], s[40:41], exec
	v_lshl_add_u64 v[6:7], v[6:7], 0, 1
	v_lshl_add_u64 v[8:9], v[8:9], 0, 1
	s_andn2_b64 s[2:3], s[2:3], exec
	s_or_b64 s[36:37], s[36:37], s[40:41]
                                        ; implicit-def: $sgpr40_sgpr41
	s_branch .LBB993_207
.LBB993_210:
	s_or_b64 exec, exec, s[30:31]
	s_xor_b64 s[2:3], s[34:35], -1
	s_andn2_b64 s[4:5], s[4:5], exec
	s_and_b64 s[2:3], s[2:3], exec
	s_or_b64 s[4:5], s[4:5], s[2:3]
.LBB993_211:
	s_or_b64 exec, exec, s[26:27]
	v_cndmask_b32_e64 v6, v24, v23, s[4:5]
	v_cndmask_b32_e64 v7, v38, v37, s[4:5]
	v_add_u32_e32 v8, 1, v6
	v_add_u32_e32 v6, -1, v7
	v_min_u32_e32 v6, v8, v6
	v_lshl_add_u32 v6, v6, 3, v33
	ds_read_b64 v[6:7], v6
	v_cndmask_b32_e64 v12, v8, v24, s[4:5]
	v_cndmask_b32_e64 v13, v23, v8, s[4:5]
	v_cmp_lt_u32_e32 vcc, v12, v38
	s_mov_b64 s[30:31], -1
	s_waitcnt lgkmcnt(0)
	v_cndmask_b32_e64 v14, v7, v5, s[4:5]
	v_cndmask_b32_e64 v15, v6, v4, s[4:5]
	;; [unrolled: 1-line block ×4, first 2 shown]
	s_mov_b64 s[26:27], -1
	s_and_saveexec_b64 s[34:35], vcc
	s_cbranch_execz .LBB993_219
; %bb.212:
	v_cmp_lt_u32_e64 s[26:27], v13, v37
	s_xor_b64 s[2:3], s[10:11], -1
	s_and_b64 s[2:3], s[26:27], s[2:3]
	s_and_saveexec_b64 s[36:37], s[2:3]
	s_cbranch_execz .LBB993_218
; %bb.213:
	v_mov_b64_e32 v[8:9], s[22:23]
	v_mad_u64_u32 v[6:7], s[2:3], v15, s20, v[8:9]
	v_mul_lo_u32 v10, v15, s21
	v_mul_lo_u32 v11, v14, s20
	v_add3_u32 v7, v11, v7, v10
	v_mad_u64_u32 v[8:9], s[2:3], v22, s20, v[8:9]
	v_mul_lo_u32 v10, v22, s21
	v_mul_lo_u32 v11, v16, s20
	v_add3_u32 v9, v11, v9, v10
	s_mov_b64 s[38:39], 0
	s_mov_b64 s[44:45], s[20:21]
                                        ; implicit-def: $sgpr40_sgpr41
                                        ; implicit-def: $sgpr42_sgpr43
                                        ; implicit-def: $sgpr2_sgpr3
                                        ; implicit-def: $sgpr46_sgpr47
	s_branch .LBB993_215
.LBB993_214:                            ;   in Loop: Header=BB993_215 Depth=1
	s_or_b64 exec, exec, s[50:51]
	s_and_b64 s[50:51], exec, s[42:43]
	s_or_b64 s[38:39], s[50:51], s[38:39]
	s_andn2_b64 s[46:47], s[46:47], exec
	s_and_b64 s[48:49], s[48:49], exec
	s_or_b64 s[46:47], s[46:47], s[48:49]
	s_andn2_b64 s[40:41], s[40:41], exec
	s_and_b64 s[48:49], s[2:3], exec
	s_or_b64 s[40:41], s[40:41], s[48:49]
	s_andn2_b64 exec, exec, s[38:39]
	s_cbranch_execz .LBB993_217
.LBB993_215:                            ; =>This Inner Loop Header: Depth=1
	global_load_ubyte v10, v[6:7], off
	global_load_ubyte v11, v[8:9], off
	s_andn2_b64 s[50:51], s[2:3], exec
	s_or_b64 s[42:43], s[42:43], exec
	s_waitcnt vmcnt(1)
	v_cmp_eq_u16_e32 vcc, 0, v10
	s_waitcnt vmcnt(0)
	v_cmp_ne_u16_e64 s[2:3], 0, v11
	s_or_b64 s[52:53], vcc, s[2:3]
	s_and_b64 s[48:49], vcc, s[2:3]
	s_xor_b64 s[54:55], vcc, s[2:3]
	s_and_b64 s[2:3], s[52:53], s[46:47]
	s_or_b64 s[48:49], s[48:49], s[2:3]
	s_and_b64 s[2:3], s[48:49], exec
	s_or_b64 s[2:3], s[50:51], s[2:3]
	s_and_saveexec_b64 s[50:51], s[54:55]
	s_cbranch_execz .LBB993_214
; %bb.216:                              ;   in Loop: Header=BB993_215 Depth=1
	s_add_u32 s44, s44, -1
	s_addc_u32 s45, s45, -1
	s_cmp_eq_u64 s[44:45], 0
	s_cselect_b64 s[46:47], -1, 0
	s_andn2_b64 s[42:43], s[42:43], exec
	s_and_b64 s[46:47], s[46:47], exec
	v_lshl_add_u64 v[6:7], v[6:7], 0, 1
	v_lshl_add_u64 v[8:9], v[8:9], 0, 1
	s_andn2_b64 s[2:3], s[2:3], exec
	s_or_b64 s[42:43], s[42:43], s[46:47]
                                        ; implicit-def: $sgpr46_sgpr47
	s_branch .LBB993_214
.LBB993_217:
	s_or_b64 exec, exec, s[38:39]
	s_xor_b64 s[2:3], s[40:41], -1
	s_andn2_b64 s[26:27], s[26:27], exec
	s_and_b64 s[2:3], s[2:3], exec
	s_or_b64 s[26:27], s[26:27], s[2:3]
.LBB993_218:
	s_or_b64 exec, exec, s[36:37]
	s_orn2_b64 s[26:27], s[26:27], exec
.LBB993_219:
	s_or_b64 exec, exec, s[34:35]
	v_cndmask_b32_e64 v6, v12, v13, s[26:27]
	v_cndmask_b32_e64 v7, v38, v37, s[26:27]
	v_add_u32_e32 v8, 1, v6
	v_add_u32_e32 v6, -1, v7
	v_min_u32_e32 v6, v8, v6
	v_lshl_add_u32 v6, v6, 3, v33
	ds_read_b64 v[6:7], v6
	v_cndmask_b32_e64 v39, v8, v12, s[26:27]
	v_cndmask_b32_e64 v40, v13, v8, s[26:27]
	v_cmp_lt_u32_e32 vcc, v39, v38
	s_waitcnt lgkmcnt(0)
	v_cndmask_b32_e64 v10, v7, v14, s[26:27]
	v_cndmask_b32_e64 v17, v6, v15, s[26:27]
	;; [unrolled: 1-line block ×4, first 2 shown]
	s_and_saveexec_b64 s[34:35], vcc
	s_cbranch_execz .LBB993_227
; %bb.220:
	v_cmp_lt_u32_e64 s[30:31], v40, v37
	s_xor_b64 s[2:3], s[10:11], -1
	s_and_b64 s[2:3], s[30:31], s[2:3]
	s_and_saveexec_b64 s[36:37], s[2:3]
	s_cbranch_execz .LBB993_226
; %bb.221:
	v_mov_b64_e32 v[8:9], s[22:23]
	v_mad_u64_u32 v[6:7], s[2:3], v17, s20, v[8:9]
	v_mul_lo_u32 v12, v17, s21
	v_mul_lo_u32 v13, v10, s20
	v_add3_u32 v7, v13, v7, v12
	v_mad_u64_u32 v[8:9], s[2:3], v23, s20, v[8:9]
	v_mul_lo_u32 v12, v23, s21
	v_mul_lo_u32 v13, v11, s20
	v_add3_u32 v9, v13, v9, v12
	s_mov_b64 s[38:39], 0
	s_mov_b64 s[44:45], s[20:21]
                                        ; implicit-def: $sgpr40_sgpr41
                                        ; implicit-def: $sgpr42_sgpr43
                                        ; implicit-def: $sgpr2_sgpr3
                                        ; implicit-def: $sgpr46_sgpr47
	s_branch .LBB993_223
.LBB993_222:                            ;   in Loop: Header=BB993_223 Depth=1
	s_or_b64 exec, exec, s[50:51]
	s_and_b64 s[50:51], exec, s[42:43]
	s_or_b64 s[38:39], s[50:51], s[38:39]
	s_andn2_b64 s[46:47], s[46:47], exec
	s_and_b64 s[48:49], s[48:49], exec
	s_or_b64 s[46:47], s[46:47], s[48:49]
	s_andn2_b64 s[40:41], s[40:41], exec
	s_and_b64 s[48:49], s[2:3], exec
	s_or_b64 s[40:41], s[40:41], s[48:49]
	s_andn2_b64 exec, exec, s[38:39]
	s_cbranch_execz .LBB993_225
.LBB993_223:                            ; =>This Inner Loop Header: Depth=1
	global_load_ubyte v12, v[6:7], off
	global_load_ubyte v13, v[8:9], off
	s_andn2_b64 s[50:51], s[2:3], exec
	s_or_b64 s[42:43], s[42:43], exec
	s_waitcnt vmcnt(1)
	v_cmp_eq_u16_e32 vcc, 0, v12
	s_waitcnt vmcnt(0)
	v_cmp_ne_u16_e64 s[2:3], 0, v13
	s_or_b64 s[52:53], vcc, s[2:3]
	s_and_b64 s[48:49], vcc, s[2:3]
	s_xor_b64 s[54:55], vcc, s[2:3]
	s_and_b64 s[2:3], s[52:53], s[46:47]
	s_or_b64 s[48:49], s[48:49], s[2:3]
	s_and_b64 s[2:3], s[48:49], exec
	s_or_b64 s[2:3], s[50:51], s[2:3]
	s_and_saveexec_b64 s[50:51], s[54:55]
	s_cbranch_execz .LBB993_222
; %bb.224:                              ;   in Loop: Header=BB993_223 Depth=1
	s_add_u32 s44, s44, -1
	s_addc_u32 s45, s45, -1
	s_cmp_eq_u64 s[44:45], 0
	s_cselect_b64 s[46:47], -1, 0
	s_andn2_b64 s[42:43], s[42:43], exec
	s_and_b64 s[46:47], s[46:47], exec
	v_lshl_add_u64 v[6:7], v[6:7], 0, 1
	v_lshl_add_u64 v[8:9], v[8:9], 0, 1
	s_andn2_b64 s[2:3], s[2:3], exec
	s_or_b64 s[42:43], s[42:43], s[46:47]
                                        ; implicit-def: $sgpr46_sgpr47
	s_branch .LBB993_222
.LBB993_225:
	s_or_b64 exec, exec, s[38:39]
	s_xor_b64 s[2:3], s[40:41], -1
	s_andn2_b64 s[30:31], s[30:31], exec
	s_and_b64 s[2:3], s[2:3], exec
	s_or_b64 s[30:31], s[30:31], s[2:3]
.LBB993_226:
	s_or_b64 exec, exec, s[36:37]
	s_orn2_b64 s[30:31], s[30:31], exec
.LBB993_227:
	s_or_b64 exec, exec, s[34:35]
	v_cndmask_b32_e64 v6, v39, v40, s[30:31]
	v_cndmask_b32_e64 v7, v38, v37, s[30:31]
	v_add_u32_e32 v8, 1, v6
	v_add_u32_e32 v6, -1, v7
	v_min_u32_e32 v6, v8, v6
	v_lshl_add_u32 v6, v6, 3, v33
	ds_read_b64 v[6:7], v6
	v_cndmask_b32_e64 v43, v8, v39, s[30:31]
	v_cndmask_b32_e64 v44, v40, v8, s[30:31]
	v_cmp_lt_u32_e32 vcc, v43, v38
	s_mov_b64 s[36:37], -1
	s_waitcnt lgkmcnt(0)
	v_cndmask_b32_e64 v12, v7, v10, s[30:31]
	v_cndmask_b32_e64 v24, v6, v17, s[30:31]
	;; [unrolled: 1-line block ×4, first 2 shown]
	s_mov_b64 s[34:35], -1
	s_and_saveexec_b64 s[38:39], vcc
	s_cbranch_execz .LBB993_235
; %bb.228:
	v_cmp_lt_u32_e64 s[34:35], v44, v37
	s_xor_b64 s[2:3], s[10:11], -1
	s_and_b64 s[2:3], s[34:35], s[2:3]
	s_and_saveexec_b64 s[40:41], s[2:3]
	s_cbranch_execz .LBB993_234
; %bb.229:
	v_mov_b64_e32 v[8:9], s[22:23]
	v_mad_u64_u32 v[6:7], s[2:3], v24, s20, v[8:9]
	v_mul_lo_u32 v39, v24, s21
	v_mul_lo_u32 v40, v12, s20
	v_add3_u32 v7, v40, v7, v39
	v_mad_u64_u32 v[8:9], s[2:3], v25, s20, v[8:9]
	v_mul_lo_u32 v39, v25, s21
	v_mul_lo_u32 v40, v13, s20
	v_add3_u32 v9, v40, v9, v39
	s_mov_b64 s[42:43], 0
	s_mov_b64 s[48:49], s[20:21]
                                        ; implicit-def: $sgpr44_sgpr45
                                        ; implicit-def: $sgpr46_sgpr47
                                        ; implicit-def: $sgpr2_sgpr3
                                        ; implicit-def: $sgpr50_sgpr51
	s_branch .LBB993_231
.LBB993_230:                            ;   in Loop: Header=BB993_231 Depth=1
	s_or_b64 exec, exec, s[54:55]
	s_and_b64 s[54:55], exec, s[46:47]
	s_or_b64 s[42:43], s[54:55], s[42:43]
	s_andn2_b64 s[50:51], s[50:51], exec
	s_and_b64 s[52:53], s[52:53], exec
	s_or_b64 s[50:51], s[50:51], s[52:53]
	s_andn2_b64 s[44:45], s[44:45], exec
	s_and_b64 s[52:53], s[2:3], exec
	s_or_b64 s[44:45], s[44:45], s[52:53]
	s_andn2_b64 exec, exec, s[42:43]
	s_cbranch_execz .LBB993_233
.LBB993_231:                            ; =>This Inner Loop Header: Depth=1
	global_load_ubyte v39, v[6:7], off
	global_load_ubyte v40, v[8:9], off
	s_andn2_b64 s[54:55], s[2:3], exec
	s_or_b64 s[46:47], s[46:47], exec
	s_waitcnt vmcnt(1)
	v_cmp_eq_u16_e32 vcc, 0, v39
	s_waitcnt vmcnt(0)
	v_cmp_ne_u16_e64 s[2:3], 0, v40
	s_or_b64 s[56:57], vcc, s[2:3]
	s_and_b64 s[52:53], vcc, s[2:3]
	s_xor_b64 s[58:59], vcc, s[2:3]
	s_and_b64 s[2:3], s[56:57], s[50:51]
	s_or_b64 s[52:53], s[52:53], s[2:3]
	s_and_b64 s[2:3], s[52:53], exec
	s_or_b64 s[2:3], s[54:55], s[2:3]
	s_and_saveexec_b64 s[54:55], s[58:59]
	s_cbranch_execz .LBB993_230
; %bb.232:                              ;   in Loop: Header=BB993_231 Depth=1
	s_add_u32 s48, s48, -1
	s_addc_u32 s49, s49, -1
	s_cmp_eq_u64 s[48:49], 0
	s_cselect_b64 s[50:51], -1, 0
	s_andn2_b64 s[46:47], s[46:47], exec
	s_and_b64 s[50:51], s[50:51], exec
	v_lshl_add_u64 v[6:7], v[6:7], 0, 1
	v_lshl_add_u64 v[8:9], v[8:9], 0, 1
	s_andn2_b64 s[2:3], s[2:3], exec
	s_or_b64 s[46:47], s[46:47], s[50:51]
                                        ; implicit-def: $sgpr50_sgpr51
	s_branch .LBB993_230
.LBB993_233:
	s_or_b64 exec, exec, s[42:43]
	s_xor_b64 s[2:3], s[44:45], -1
	s_andn2_b64 s[34:35], s[34:35], exec
	s_and_b64 s[2:3], s[2:3], exec
	s_or_b64 s[34:35], s[34:35], s[2:3]
.LBB993_234:
	s_or_b64 exec, exec, s[40:41]
	s_orn2_b64 s[34:35], s[34:35], exec
.LBB993_235:
	s_or_b64 exec, exec, s[38:39]
	v_cndmask_b32_e64 v6, v43, v44, s[34:35]
	v_cndmask_b32_e64 v7, v38, v37, s[34:35]
	v_add_u32_e32 v8, 1, v6
	v_add_u32_e32 v6, -1, v7
	v_min_u32_e32 v6, v8, v6
	v_lshl_add_u32 v6, v6, 3, v33
	ds_read_b64 v[6:7], v6
	v_cndmask_b32_e64 v47, v8, v43, s[34:35]
	v_cndmask_b32_e64 v48, v44, v8, s[34:35]
	v_cmp_lt_u32_e32 vcc, v47, v38
	s_waitcnt lgkmcnt(0)
	v_cndmask_b32_e64 v39, v7, v12, s[34:35]
	v_cndmask_b32_e64 v40, v6, v24, s[34:35]
	;; [unrolled: 1-line block ×4, first 2 shown]
	s_and_saveexec_b64 s[38:39], vcc
	s_cbranch_execz .LBB993_243
; %bb.236:
	v_cmp_lt_u32_e64 s[36:37], v48, v37
	s_xor_b64 s[2:3], s[10:11], -1
	s_and_b64 s[2:3], s[36:37], s[2:3]
	s_and_saveexec_b64 s[40:41], s[2:3]
	s_cbranch_execz .LBB993_242
; %bb.237:
	v_mov_b64_e32 v[8:9], s[22:23]
	v_mad_u64_u32 v[6:7], s[2:3], v40, s20, v[8:9]
	v_mul_lo_u32 v43, v40, s21
	v_mul_lo_u32 v44, v39, s20
	v_add3_u32 v7, v44, v7, v43
	v_mad_u64_u32 v[8:9], s[2:3], v42, s20, v[8:9]
	v_mul_lo_u32 v43, v42, s21
	v_mul_lo_u32 v44, v41, s20
	v_add3_u32 v9, v44, v9, v43
	s_mov_b64 s[42:43], 0
	s_mov_b64 s[48:49], s[20:21]
                                        ; implicit-def: $sgpr44_sgpr45
                                        ; implicit-def: $sgpr46_sgpr47
                                        ; implicit-def: $sgpr2_sgpr3
                                        ; implicit-def: $sgpr50_sgpr51
	s_branch .LBB993_239
.LBB993_238:                            ;   in Loop: Header=BB993_239 Depth=1
	s_or_b64 exec, exec, s[54:55]
	s_and_b64 s[54:55], exec, s[46:47]
	s_or_b64 s[42:43], s[54:55], s[42:43]
	s_andn2_b64 s[50:51], s[50:51], exec
	s_and_b64 s[52:53], s[52:53], exec
	s_or_b64 s[50:51], s[50:51], s[52:53]
	s_andn2_b64 s[44:45], s[44:45], exec
	s_and_b64 s[52:53], s[2:3], exec
	s_or_b64 s[44:45], s[44:45], s[52:53]
	s_andn2_b64 exec, exec, s[42:43]
	s_cbranch_execz .LBB993_241
.LBB993_239:                            ; =>This Inner Loop Header: Depth=1
	global_load_ubyte v43, v[6:7], off
	global_load_ubyte v44, v[8:9], off
	s_andn2_b64 s[54:55], s[2:3], exec
	s_or_b64 s[46:47], s[46:47], exec
	s_waitcnt vmcnt(1)
	v_cmp_eq_u16_e32 vcc, 0, v43
	s_waitcnt vmcnt(0)
	v_cmp_ne_u16_e64 s[2:3], 0, v44
	s_or_b64 s[56:57], vcc, s[2:3]
	s_and_b64 s[52:53], vcc, s[2:3]
	s_xor_b64 s[58:59], vcc, s[2:3]
	s_and_b64 s[2:3], s[56:57], s[50:51]
	s_or_b64 s[52:53], s[52:53], s[2:3]
	s_and_b64 s[2:3], s[52:53], exec
	s_or_b64 s[2:3], s[54:55], s[2:3]
	s_and_saveexec_b64 s[54:55], s[58:59]
	s_cbranch_execz .LBB993_238
; %bb.240:                              ;   in Loop: Header=BB993_239 Depth=1
	s_add_u32 s48, s48, -1
	s_addc_u32 s49, s49, -1
	s_cmp_eq_u64 s[48:49], 0
	s_cselect_b64 s[50:51], -1, 0
	s_andn2_b64 s[46:47], s[46:47], exec
	s_and_b64 s[50:51], s[50:51], exec
	v_lshl_add_u64 v[6:7], v[6:7], 0, 1
	v_lshl_add_u64 v[8:9], v[8:9], 0, 1
	s_andn2_b64 s[2:3], s[2:3], exec
	s_or_b64 s[46:47], s[46:47], s[50:51]
                                        ; implicit-def: $sgpr50_sgpr51
	s_branch .LBB993_238
.LBB993_241:
	s_or_b64 exec, exec, s[42:43]
	s_xor_b64 s[2:3], s[44:45], -1
	s_andn2_b64 s[36:37], s[36:37], exec
	s_and_b64 s[2:3], s[2:3], exec
	s_or_b64 s[36:37], s[36:37], s[2:3]
.LBB993_242:
	s_or_b64 exec, exec, s[40:41]
	s_orn2_b64 s[36:37], s[36:37], exec
.LBB993_243:
	s_or_b64 exec, exec, s[38:39]
	v_cndmask_b32_e64 v6, v47, v48, s[36:37]
	v_cndmask_b32_e64 v7, v38, v37, s[36:37]
	v_add_u32_e32 v8, 1, v6
	v_add_u32_e32 v6, -1, v7
	v_min_u32_e32 v6, v8, v6
	v_lshl_add_u32 v6, v6, 3, v33
	ds_read_b64 v[6:7], v6
	v_cndmask_b32_e64 v49, v8, v47, s[36:37]
	v_cndmask_b32_e64 v53, v48, v8, s[36:37]
	v_cmp_lt_u32_e32 vcc, v49, v38
	s_mov_b64 s[38:39], -1
	s_waitcnt lgkmcnt(0)
	v_cndmask_b32_e64 v43, v7, v39, s[36:37]
	v_cndmask_b32_e64 v44, v6, v40, s[36:37]
	;; [unrolled: 1-line block ×4, first 2 shown]
	s_mov_b64 s[40:41], -1
	s_and_saveexec_b64 s[42:43], vcc
	s_cbranch_execz .LBB993_251
; %bb.244:
	v_cmp_lt_u32_e64 s[40:41], v53, v37
	s_xor_b64 s[2:3], s[10:11], -1
	s_and_b64 s[2:3], s[40:41], s[2:3]
	s_and_saveexec_b64 s[44:45], s[2:3]
	s_cbranch_execz .LBB993_250
; %bb.245:
	v_mov_b64_e32 v[8:9], s[22:23]
	v_mad_u64_u32 v[6:7], s[2:3], v44, s20, v[8:9]
	v_mul_lo_u32 v47, v44, s21
	v_mul_lo_u32 v48, v43, s20
	v_add3_u32 v7, v48, v7, v47
	v_mad_u64_u32 v[8:9], s[2:3], v46, s20, v[8:9]
	v_mul_lo_u32 v47, v46, s21
	v_mul_lo_u32 v48, v45, s20
	v_add3_u32 v9, v48, v9, v47
	s_mov_b64 s[46:47], 0
	s_mov_b64 s[52:53], s[20:21]
                                        ; implicit-def: $sgpr48_sgpr49
                                        ; implicit-def: $sgpr50_sgpr51
                                        ; implicit-def: $sgpr2_sgpr3
                                        ; implicit-def: $sgpr54_sgpr55
	s_branch .LBB993_247
.LBB993_246:                            ;   in Loop: Header=BB993_247 Depth=1
	s_or_b64 exec, exec, s[58:59]
	s_and_b64 s[58:59], exec, s[50:51]
	s_or_b64 s[46:47], s[58:59], s[46:47]
	s_andn2_b64 s[54:55], s[54:55], exec
	s_and_b64 s[56:57], s[56:57], exec
	s_or_b64 s[54:55], s[54:55], s[56:57]
	s_andn2_b64 s[48:49], s[48:49], exec
	s_and_b64 s[56:57], s[2:3], exec
	s_or_b64 s[48:49], s[48:49], s[56:57]
	s_andn2_b64 exec, exec, s[46:47]
	s_cbranch_execz .LBB993_249
.LBB993_247:                            ; =>This Inner Loop Header: Depth=1
	global_load_ubyte v47, v[6:7], off
	global_load_ubyte v48, v[8:9], off
	s_andn2_b64 s[58:59], s[2:3], exec
	s_or_b64 s[50:51], s[50:51], exec
	s_waitcnt vmcnt(1)
	v_cmp_eq_u16_e32 vcc, 0, v47
	s_waitcnt vmcnt(0)
	v_cmp_ne_u16_e64 s[2:3], 0, v48
	s_or_b64 s[60:61], vcc, s[2:3]
	s_and_b64 s[56:57], vcc, s[2:3]
	s_xor_b64 s[62:63], vcc, s[2:3]
	s_and_b64 s[2:3], s[60:61], s[54:55]
	s_or_b64 s[56:57], s[56:57], s[2:3]
	s_and_b64 s[2:3], s[56:57], exec
	s_or_b64 s[2:3], s[58:59], s[2:3]
	s_and_saveexec_b64 s[58:59], s[62:63]
	s_cbranch_execz .LBB993_246
; %bb.248:                              ;   in Loop: Header=BB993_247 Depth=1
	s_add_u32 s52, s52, -1
	s_addc_u32 s53, s53, -1
	s_cmp_eq_u64 s[52:53], 0
	s_cselect_b64 s[54:55], -1, 0
	s_andn2_b64 s[50:51], s[50:51], exec
	s_and_b64 s[54:55], s[54:55], exec
	v_lshl_add_u64 v[6:7], v[6:7], 0, 1
	v_lshl_add_u64 v[8:9], v[8:9], 0, 1
	s_andn2_b64 s[2:3], s[2:3], exec
	s_or_b64 s[50:51], s[50:51], s[54:55]
                                        ; implicit-def: $sgpr54_sgpr55
	s_branch .LBB993_246
.LBB993_249:
	s_or_b64 exec, exec, s[46:47]
	s_xor_b64 s[2:3], s[48:49], -1
	s_andn2_b64 s[40:41], s[40:41], exec
	s_and_b64 s[2:3], s[2:3], exec
	s_or_b64 s[40:41], s[40:41], s[2:3]
.LBB993_250:
	s_or_b64 exec, exec, s[44:45]
	s_orn2_b64 s[40:41], s[40:41], exec
.LBB993_251:
	s_or_b64 exec, exec, s[42:43]
	v_cndmask_b32_e64 v6, v49, v53, s[40:41]
	v_cndmask_b32_e64 v7, v38, v37, s[40:41]
	v_add_u32_e32 v8, 1, v6
	v_add_u32_e32 v6, -1, v7
	v_min_u32_e32 v6, v8, v6
	v_lshl_add_u32 v6, v6, 3, v33
	ds_read_b64 v[6:7], v6
	v_cndmask_b32_e64 v50, v8, v49, s[40:41]
	v_cndmask_b32_e64 v49, v53, v8, s[40:41]
	v_cmp_lt_u32_e32 vcc, v50, v38
	s_waitcnt lgkmcnt(0)
	v_cndmask_b32_e64 v47, v7, v43, s[40:41]
	v_cndmask_b32_e64 v48, v6, v44, s[40:41]
	;; [unrolled: 1-line block ×4, first 2 shown]
	s_and_saveexec_b64 s[42:43], vcc
	s_cbranch_execz .LBB993_259
; %bb.252:
	v_cmp_lt_u32_e64 s[38:39], v49, v37
	s_xor_b64 s[2:3], s[10:11], -1
	s_and_b64 s[2:3], s[38:39], s[2:3]
	s_and_saveexec_b64 s[44:45], s[2:3]
	s_cbranch_execz .LBB993_258
; %bb.253:
	v_mov_b64_e32 v[8:9], s[22:23]
	v_mad_u64_u32 v[6:7], s[2:3], v48, s20, v[8:9]
	v_mul_lo_u32 v53, v48, s21
	v_mul_lo_u32 v54, v47, s20
	v_add3_u32 v7, v54, v7, v53
	v_mad_u64_u32 v[8:9], s[2:3], v52, s20, v[8:9]
	v_mul_lo_u32 v53, v52, s21
	v_mul_lo_u32 v54, v51, s20
	v_add3_u32 v9, v54, v9, v53
	s_mov_b64 s[46:47], 0
	s_mov_b64 s[52:53], s[20:21]
                                        ; implicit-def: $sgpr48_sgpr49
                                        ; implicit-def: $sgpr50_sgpr51
                                        ; implicit-def: $sgpr2_sgpr3
                                        ; implicit-def: $sgpr54_sgpr55
	s_branch .LBB993_255
.LBB993_254:                            ;   in Loop: Header=BB993_255 Depth=1
	s_or_b64 exec, exec, s[58:59]
	s_and_b64 s[58:59], exec, s[50:51]
	s_or_b64 s[46:47], s[58:59], s[46:47]
	s_andn2_b64 s[54:55], s[54:55], exec
	s_and_b64 s[56:57], s[56:57], exec
	s_or_b64 s[54:55], s[54:55], s[56:57]
	s_andn2_b64 s[48:49], s[48:49], exec
	s_and_b64 s[56:57], s[2:3], exec
	s_or_b64 s[48:49], s[48:49], s[56:57]
	s_andn2_b64 exec, exec, s[46:47]
	s_cbranch_execz .LBB993_257
.LBB993_255:                            ; =>This Inner Loop Header: Depth=1
	global_load_ubyte v53, v[6:7], off
	global_load_ubyte v54, v[8:9], off
	s_andn2_b64 s[58:59], s[2:3], exec
	s_or_b64 s[50:51], s[50:51], exec
	s_waitcnt vmcnt(1)
	v_cmp_eq_u16_e32 vcc, 0, v53
	s_waitcnt vmcnt(0)
	v_cmp_ne_u16_e64 s[2:3], 0, v54
	s_or_b64 s[60:61], vcc, s[2:3]
	s_and_b64 s[56:57], vcc, s[2:3]
	s_xor_b64 s[62:63], vcc, s[2:3]
	s_and_b64 s[2:3], s[60:61], s[54:55]
	s_or_b64 s[56:57], s[56:57], s[2:3]
	s_and_b64 s[2:3], s[56:57], exec
	s_or_b64 s[2:3], s[58:59], s[2:3]
	s_and_saveexec_b64 s[58:59], s[62:63]
	s_cbranch_execz .LBB993_254
; %bb.256:                              ;   in Loop: Header=BB993_255 Depth=1
	s_add_u32 s52, s52, -1
	s_addc_u32 s53, s53, -1
	s_cmp_eq_u64 s[52:53], 0
	s_cselect_b64 s[54:55], -1, 0
	s_andn2_b64 s[50:51], s[50:51], exec
	s_and_b64 s[54:55], s[54:55], exec
	v_lshl_add_u64 v[6:7], v[6:7], 0, 1
	v_lshl_add_u64 v[8:9], v[8:9], 0, 1
	s_andn2_b64 s[2:3], s[2:3], exec
	s_or_b64 s[50:51], s[50:51], s[54:55]
                                        ; implicit-def: $sgpr54_sgpr55
	s_branch .LBB993_254
.LBB993_257:
	s_or_b64 exec, exec, s[46:47]
	s_xor_b64 s[2:3], s[48:49], -1
	s_andn2_b64 s[38:39], s[38:39], exec
	s_and_b64 s[2:3], s[2:3], exec
	s_or_b64 s[38:39], s[38:39], s[2:3]
.LBB993_258:
	s_or_b64 exec, exec, s[44:45]
	s_orn2_b64 s[38:39], s[38:39], exec
.LBB993_259:
	s_or_b64 exec, exec, s[42:43]
	v_cndmask_b32_e64 v11, v10, v11, s[30:31]
	v_cndmask_b32_e64 v10, v17, v23, s[30:31]
	v_cndmask_b32_e64 v17, v14, v16, s[26:27]
	v_cndmask_b32_e64 v16, v15, v22, s[26:27]
	v_cndmask_b32_e64 v14, v50, v49, s[38:39]
	v_cndmask_b32_e64 v15, v38, v37, s[38:39]
	v_cndmask_b32_e64 v13, v12, v13, s[34:35]
	v_cndmask_b32_e64 v12, v24, v25, s[34:35]
	v_add_u32_e32 v24, 1, v14
	v_add_u32_e32 v14, -1, v15
	v_min_u32_e32 v14, v24, v14
	v_lshl_add_u32 v14, v14, 3, v33
	ds_read_b64 v[22:23], v14
	v_cndmask_b32_e64 v25, v24, v50, s[38:39]
	v_cndmask_b32_e64 v9, v43, v45, s[40:41]
	;; [unrolled: 1-line block ×9, first 2 shown]
	s_waitcnt lgkmcnt(0)
	v_cndmask_b32_e64 v5, v51, v23, s[38:39]
	v_cndmask_b32_e64 v4, v52, v22, s[38:39]
	v_cmp_lt_u32_e32 vcc, v25, v38
	s_and_saveexec_b64 s[4:5], vcc
	s_cbranch_execz .LBB993_267
; %bb.260:
	v_cndmask_b32_e64 v39, v22, v48, s[38:39]
	v_cndmask_b32_e64 v22, v49, v24, s[38:39]
	;; [unrolled: 1-line block ×3, first 2 shown]
	v_cmp_ge_u32_e32 vcc, v22, v37
	s_nor_b64 s[2:3], vcc, s[10:11]
	s_nop 0
	v_cndmask_b32_e32 v23, v5, v38, vcc
	v_cndmask_b32_e32 v22, v4, v39, vcc
	s_and_saveexec_b64 s[26:27], s[2:3]
	s_cbranch_execz .LBB993_266
; %bb.261:
	v_mov_b64_e32 v[24:25], s[22:23]
	v_mad_u64_u32 v[22:23], s[2:3], v39, s20, v[24:25]
	v_mul_lo_u32 v37, v39, s21
	v_mul_lo_u32 v40, v38, s20
	v_add3_u32 v23, v40, v23, v37
	v_mad_u64_u32 v[24:25], s[2:3], v4, s20, v[24:25]
	v_mul_lo_u32 v37, v4, s21
	v_mul_lo_u32 v40, v5, s20
	v_add3_u32 v25, v40, v25, v37
	s_mov_b64 s[30:31], 0
	s_mov_b64 s[38:39], s[20:21]
                                        ; implicit-def: $sgpr34_sgpr35
                                        ; implicit-def: $sgpr36_sgpr37
                                        ; implicit-def: $sgpr2_sgpr3
                                        ; implicit-def: $sgpr40_sgpr41
	s_branch .LBB993_263
.LBB993_262:                            ;   in Loop: Header=BB993_263 Depth=1
	s_or_b64 exec, exec, s[44:45]
	s_and_b64 s[44:45], exec, s[36:37]
	s_or_b64 s[30:31], s[44:45], s[30:31]
	s_andn2_b64 s[40:41], s[40:41], exec
	s_and_b64 s[42:43], s[42:43], exec
	s_or_b64 s[40:41], s[40:41], s[42:43]
	s_andn2_b64 s[34:35], s[34:35], exec
	s_and_b64 s[42:43], s[2:3], exec
	s_or_b64 s[34:35], s[34:35], s[42:43]
	s_andn2_b64 exec, exec, s[30:31]
	s_cbranch_execz .LBB993_265
.LBB993_263:                            ; =>This Inner Loop Header: Depth=1
	global_load_ubyte v37, v[22:23], off
	global_load_ubyte v40, v[24:25], off
	s_andn2_b64 s[44:45], s[2:3], exec
	s_or_b64 s[36:37], s[36:37], exec
	s_waitcnt vmcnt(1)
	v_cmp_eq_u16_e32 vcc, 0, v37
	s_waitcnt vmcnt(0)
	v_cmp_ne_u16_e64 s[2:3], 0, v40
	s_or_b64 s[46:47], vcc, s[2:3]
	s_and_b64 s[42:43], vcc, s[2:3]
	s_xor_b64 s[48:49], vcc, s[2:3]
	s_and_b64 s[2:3], s[46:47], s[40:41]
	s_or_b64 s[42:43], s[42:43], s[2:3]
	s_and_b64 s[2:3], s[42:43], exec
	s_or_b64 s[2:3], s[44:45], s[2:3]
	s_and_saveexec_b64 s[44:45], s[48:49]
	s_cbranch_execz .LBB993_262
; %bb.264:                              ;   in Loop: Header=BB993_263 Depth=1
	s_add_u32 s38, s38, -1
	s_addc_u32 s39, s39, -1
	s_cmp_eq_u64 s[38:39], 0
	s_cselect_b64 s[40:41], -1, 0
	s_andn2_b64 s[36:37], s[36:37], exec
	s_and_b64 s[40:41], s[40:41], exec
	v_lshl_add_u64 v[22:23], v[22:23], 0, 1
	v_lshl_add_u64 v[24:25], v[24:25], 0, 1
	s_andn2_b64 s[2:3], s[2:3], exec
	s_or_b64 s[36:37], s[36:37], s[40:41]
                                        ; implicit-def: $sgpr40_sgpr41
	s_branch .LBB993_262
.LBB993_265:
	s_or_b64 exec, exec, s[30:31]
	v_cndmask_b32_e64 v23, v5, v38, s[34:35]
	v_cndmask_b32_e64 v22, v4, v39, s[34:35]
.LBB993_266:
	s_or_b64 exec, exec, s[26:27]
	v_mov_b64_e32 v[4:5], v[22:23]
.LBB993_267:
	s_or_b64 exec, exec, s[4:5]
.LBB993_268:
	s_or_b64 exec, exec, s[12:13]
	v_and_b32_e32 v41, 0x3e0, v35
	v_or_b32_e32 v22, 16, v41
	v_min_u32_e32 v37, v34, v22
	v_add_u32_e32 v22, 16, v37
	v_min_u32_e32 v38, v34, v22
	v_and_b32_e32 v22, 24, v35
	v_min_u32_e32 v42, v34, v22
	v_sub_u32_e32 v22, v37, v41
	v_sub_u32_e32 v23, v38, v37
	v_sub_u32_e64 v40, v42, v23 clamp
	v_min_u32_e32 v43, v42, v22
	v_lshl_add_u32 v39, v41, 3, v33
	v_cmp_lt_u32_e32 vcc, v40, v43
	; wave barrier
	ds_write_b128 v36, v[14:17]
	ds_write_b128 v36, v[10:13] offset:16
	ds_write_b128 v36, v[6:9] offset:32
	;; [unrolled: 1-line block ×3, first 2 shown]
	; wave barrier
	s_and_saveexec_b64 s[4:5], vcc
	s_cbranch_execz .LBB993_278
; %bb.269:
	v_lshlrev_b32_e32 v22, 3, v37
	v_lshlrev_b32_e32 v23, 3, v42
	v_add3_u32 v44, v33, v22, v23
	s_mov_b64 s[12:13], 0
	s_branch .LBB993_272
.LBB993_270:                            ;   in Loop: Header=BB993_272 Depth=1
	s_or_b64 exec, exec, s[30:31]
.LBB993_271:                            ;   in Loop: Header=BB993_272 Depth=1
	v_add_u32_e32 v22, 1, v45
	v_cndmask_b32_e64 v43, v43, v45, s[26:27]
	v_cndmask_b32_e64 v40, v22, v40, s[26:27]
	v_cmp_ge_u32_e32 vcc, v40, v43
	s_or_b64 s[12:13], vcc, s[12:13]
	s_andn2_b64 exec, exec, s[12:13]
	s_cbranch_execz .LBB993_277
.LBB993_272:                            ; =>This Loop Header: Depth=1
                                        ;     Child Loop BB993_275 Depth 2
	v_add_u32_e32 v22, v43, v40
	v_lshrrev_b32_e32 v45, 1, v22
	s_and_b64 vcc, exec, s[0:1]
	s_mov_b64 s[26:27], 0
	s_cbranch_vccnz .LBB993_271
; %bb.273:                              ;   in Loop: Header=BB993_272 Depth=1
	v_not_b32_e32 v22, v45
	v_lshl_add_u32 v22, v22, 3, v44
	ds_read_b64 v[22:23], v22
	v_lshl_add_u32 v46, v45, 3, v39
	ds_read_b64 v[46:47], v46
	v_mov_b64_e32 v[24:25], s[22:23]
	s_mov_b64 s[30:31], 0
	s_waitcnt lgkmcnt(1)
	v_mul_lo_u32 v48, v22, s21
	v_mul_lo_u32 v49, v23, s20
	v_mad_u64_u32 v[22:23], s[2:3], v22, s20, v[24:25]
	v_add3_u32 v23, v49, v23, v48
	s_waitcnt lgkmcnt(0)
	v_mul_lo_u32 v48, v46, s21
	v_mul_lo_u32 v47, v47, s20
	v_mad_u64_u32 v[24:25], s[2:3], v46, s20, v[24:25]
	v_add3_u32 v25, v47, v25, v48
	s_mov_b64 s[36:37], s[20:21]
                                        ; implicit-def: $sgpr26_sgpr27
                                        ; implicit-def: $sgpr34_sgpr35
                                        ; implicit-def: $sgpr2_sgpr3
                                        ; implicit-def: $sgpr38_sgpr39
	s_branch .LBB993_275
.LBB993_274:                            ;   in Loop: Header=BB993_275 Depth=2
	s_or_b64 exec, exec, s[42:43]
	s_and_b64 s[42:43], exec, s[34:35]
	s_or_b64 s[30:31], s[42:43], s[30:31]
	s_andn2_b64 s[38:39], s[38:39], exec
	s_and_b64 s[40:41], s[40:41], exec
	s_or_b64 s[38:39], s[38:39], s[40:41]
	s_andn2_b64 s[26:27], s[26:27], exec
	s_and_b64 s[40:41], s[2:3], exec
	s_or_b64 s[26:27], s[26:27], s[40:41]
	s_andn2_b64 exec, exec, s[30:31]
	s_cbranch_execz .LBB993_270
.LBB993_275:                            ;   Parent Loop BB993_272 Depth=1
                                        ; =>  This Inner Loop Header: Depth=2
	global_load_ubyte v46, v[22:23], off
	global_load_ubyte v47, v[24:25], off
	s_andn2_b64 s[42:43], s[2:3], exec
	s_or_b64 s[34:35], s[34:35], exec
	s_waitcnt vmcnt(1)
	v_cmp_eq_u16_e32 vcc, 0, v46
	s_waitcnt vmcnt(0)
	v_cmp_ne_u16_e64 s[2:3], 0, v47
	s_or_b64 s[44:45], vcc, s[2:3]
	s_and_b64 s[40:41], vcc, s[2:3]
	s_xor_b64 s[46:47], vcc, s[2:3]
	s_and_b64 s[2:3], s[44:45], s[38:39]
	s_or_b64 s[40:41], s[40:41], s[2:3]
	s_and_b64 s[2:3], s[40:41], exec
	s_or_b64 s[2:3], s[42:43], s[2:3]
	s_and_saveexec_b64 s[42:43], s[46:47]
	s_cbranch_execz .LBB993_274
; %bb.276:                              ;   in Loop: Header=BB993_275 Depth=2
	s_add_u32 s36, s36, -1
	s_addc_u32 s37, s37, -1
	s_cmp_eq_u64 s[36:37], 0
	s_cselect_b64 s[38:39], -1, 0
	s_andn2_b64 s[34:35], s[34:35], exec
	s_and_b64 s[38:39], s[38:39], exec
	v_lshl_add_u64 v[22:23], v[22:23], 0, 1
	v_lshl_add_u64 v[24:25], v[24:25], 0, 1
	s_andn2_b64 s[2:3], s[2:3], exec
	s_or_b64 s[34:35], s[34:35], s[38:39]
                                        ; implicit-def: $sgpr38_sgpr39
	s_branch .LBB993_274
.LBB993_277:
	s_or_b64 exec, exec, s[12:13]
.LBB993_278:
	s_or_b64 exec, exec, s[4:5]
	v_add_u32_e32 v22, v37, v42
	v_add_u32_e32 v23, v40, v41
	v_sub_u32_e32 v24, v22, v40
	v_cmp_le_u32_e32 vcc, v23, v37
	v_cmp_le_u32_e64 s[2:3], v24, v38
	s_or_b64 s[2:3], vcc, s[2:3]
	s_and_saveexec_b64 s[12:13], s[2:3]
	s_cbranch_execz .LBB993_346
; %bb.279:
	v_cmp_ge_u32_e32 vcc, v23, v37
	v_cmp_lt_u32_e64 s[2:3], v23, v37
                                        ; implicit-def: $vgpr2_vgpr3
	s_and_saveexec_b64 s[4:5], s[2:3]
; %bb.280:
	v_lshl_add_u32 v2, v40, 3, v39
	ds_read_b64 v[2:3], v2
; %bb.281:
	s_or_b64 exec, exec, s[4:5]
	v_cmp_ge_u32_e64 s[2:3], v24, v38
	v_cmp_lt_u32_e64 s[4:5], v24, v38
                                        ; implicit-def: $vgpr4_vgpr5
	s_and_saveexec_b64 s[26:27], s[4:5]
; %bb.282:
	v_lshl_add_u32 v4, v24, 3, v33
	ds_read_b64 v[4:5], v4
; %bb.283:
	s_or_b64 exec, exec, s[26:27]
	s_or_b64 s[4:5], vcc, s[2:3]
	s_nor_b64 s[30:31], s[4:5], s[10:11]
	s_xor_b64 s[4:5], vcc, -1
	s_or_b64 s[4:5], s[2:3], s[4:5]
	s_and_saveexec_b64 s[26:27], s[30:31]
	s_cbranch_execz .LBB993_289
; %bb.284:
	v_mov_b64_e32 v[8:9], s[22:23]
	s_waitcnt lgkmcnt(0)
	v_mad_u64_u32 v[6:7], s[2:3], v4, s20, v[8:9]
	v_mul_lo_u32 v10, v4, s21
	v_mul_lo_u32 v11, v5, s20
	v_add3_u32 v7, v11, v7, v10
	v_mad_u64_u32 v[8:9], s[2:3], v2, s20, v[8:9]
	v_mul_lo_u32 v10, v2, s21
	v_mul_lo_u32 v11, v3, s20
	v_add3_u32 v9, v11, v9, v10
	s_mov_b64 s[30:31], 0
	s_mov_b64 s[38:39], s[20:21]
                                        ; implicit-def: $sgpr34_sgpr35
                                        ; implicit-def: $sgpr36_sgpr37
                                        ; implicit-def: $sgpr2_sgpr3
                                        ; implicit-def: $sgpr40_sgpr41
	s_branch .LBB993_286
.LBB993_285:                            ;   in Loop: Header=BB993_286 Depth=1
	s_or_b64 exec, exec, s[44:45]
	s_and_b64 s[44:45], exec, s[36:37]
	s_or_b64 s[30:31], s[44:45], s[30:31]
	s_andn2_b64 s[40:41], s[40:41], exec
	s_and_b64 s[42:43], s[42:43], exec
	s_or_b64 s[40:41], s[40:41], s[42:43]
	s_andn2_b64 s[34:35], s[34:35], exec
	s_and_b64 s[42:43], s[2:3], exec
	s_or_b64 s[34:35], s[34:35], s[42:43]
	s_andn2_b64 exec, exec, s[30:31]
	s_cbranch_execz .LBB993_288
.LBB993_286:                            ; =>This Inner Loop Header: Depth=1
	global_load_ubyte v10, v[6:7], off
	global_load_ubyte v11, v[8:9], off
	s_andn2_b64 s[44:45], s[2:3], exec
	s_or_b64 s[36:37], s[36:37], exec
	s_waitcnt vmcnt(1)
	v_cmp_eq_u16_e32 vcc, 0, v10
	s_waitcnt vmcnt(0)
	v_cmp_ne_u16_e64 s[2:3], 0, v11
	s_or_b64 s[46:47], vcc, s[2:3]
	s_and_b64 s[42:43], vcc, s[2:3]
	s_xor_b64 s[48:49], vcc, s[2:3]
	s_and_b64 s[2:3], s[46:47], s[40:41]
	s_or_b64 s[42:43], s[42:43], s[2:3]
	s_and_b64 s[2:3], s[42:43], exec
	s_or_b64 s[2:3], s[44:45], s[2:3]
	s_and_saveexec_b64 s[44:45], s[48:49]
	s_cbranch_execz .LBB993_285
; %bb.287:                              ;   in Loop: Header=BB993_286 Depth=1
	s_add_u32 s38, s38, -1
	s_addc_u32 s39, s39, -1
	s_cmp_eq_u64 s[38:39], 0
	s_cselect_b64 s[40:41], -1, 0
	s_andn2_b64 s[36:37], s[36:37], exec
	s_and_b64 s[40:41], s[40:41], exec
	v_lshl_add_u64 v[6:7], v[6:7], 0, 1
	v_lshl_add_u64 v[8:9], v[8:9], 0, 1
	s_andn2_b64 s[2:3], s[2:3], exec
	s_or_b64 s[36:37], s[36:37], s[40:41]
                                        ; implicit-def: $sgpr40_sgpr41
	s_branch .LBB993_285
.LBB993_288:
	s_or_b64 exec, exec, s[30:31]
	s_xor_b64 s[2:3], s[34:35], -1
	s_andn2_b64 s[4:5], s[4:5], exec
	s_and_b64 s[2:3], s[2:3], exec
	s_or_b64 s[4:5], s[4:5], s[2:3]
.LBB993_289:
	s_or_b64 exec, exec, s[26:27]
	v_cndmask_b32_e64 v6, v24, v23, s[4:5]
	v_cndmask_b32_e64 v7, v38, v37, s[4:5]
	v_add_u32_e32 v8, 1, v6
	v_add_u32_e32 v6, -1, v7
	v_min_u32_e32 v6, v8, v6
	v_lshl_add_u32 v6, v6, 3, v33
	ds_read_b64 v[6:7], v6
	v_cndmask_b32_e64 v12, v8, v24, s[4:5]
	v_cndmask_b32_e64 v13, v23, v8, s[4:5]
	v_cmp_lt_u32_e32 vcc, v12, v38
	s_mov_b64 s[30:31], -1
	s_waitcnt lgkmcnt(0)
	v_cndmask_b32_e64 v14, v7, v5, s[4:5]
	v_cndmask_b32_e64 v15, v6, v4, s[4:5]
	;; [unrolled: 1-line block ×4, first 2 shown]
	s_mov_b64 s[26:27], -1
	s_and_saveexec_b64 s[34:35], vcc
	s_cbranch_execz .LBB993_297
; %bb.290:
	v_cmp_lt_u32_e64 s[26:27], v13, v37
	s_xor_b64 s[2:3], s[10:11], -1
	s_and_b64 s[2:3], s[26:27], s[2:3]
	s_and_saveexec_b64 s[36:37], s[2:3]
	s_cbranch_execz .LBB993_296
; %bb.291:
	v_mov_b64_e32 v[8:9], s[22:23]
	v_mad_u64_u32 v[6:7], s[2:3], v15, s20, v[8:9]
	v_mul_lo_u32 v10, v15, s21
	v_mul_lo_u32 v11, v14, s20
	v_add3_u32 v7, v11, v7, v10
	v_mad_u64_u32 v[8:9], s[2:3], v22, s20, v[8:9]
	v_mul_lo_u32 v10, v22, s21
	v_mul_lo_u32 v11, v16, s20
	v_add3_u32 v9, v11, v9, v10
	s_mov_b64 s[38:39], 0
	s_mov_b64 s[44:45], s[20:21]
                                        ; implicit-def: $sgpr40_sgpr41
                                        ; implicit-def: $sgpr42_sgpr43
                                        ; implicit-def: $sgpr2_sgpr3
                                        ; implicit-def: $sgpr46_sgpr47
	s_branch .LBB993_293
.LBB993_292:                            ;   in Loop: Header=BB993_293 Depth=1
	s_or_b64 exec, exec, s[50:51]
	s_and_b64 s[50:51], exec, s[42:43]
	s_or_b64 s[38:39], s[50:51], s[38:39]
	s_andn2_b64 s[46:47], s[46:47], exec
	s_and_b64 s[48:49], s[48:49], exec
	s_or_b64 s[46:47], s[46:47], s[48:49]
	s_andn2_b64 s[40:41], s[40:41], exec
	s_and_b64 s[48:49], s[2:3], exec
	s_or_b64 s[40:41], s[40:41], s[48:49]
	s_andn2_b64 exec, exec, s[38:39]
	s_cbranch_execz .LBB993_295
.LBB993_293:                            ; =>This Inner Loop Header: Depth=1
	global_load_ubyte v10, v[6:7], off
	global_load_ubyte v11, v[8:9], off
	s_andn2_b64 s[50:51], s[2:3], exec
	s_or_b64 s[42:43], s[42:43], exec
	s_waitcnt vmcnt(1)
	v_cmp_eq_u16_e32 vcc, 0, v10
	s_waitcnt vmcnt(0)
	v_cmp_ne_u16_e64 s[2:3], 0, v11
	s_or_b64 s[52:53], vcc, s[2:3]
	s_and_b64 s[48:49], vcc, s[2:3]
	s_xor_b64 s[54:55], vcc, s[2:3]
	s_and_b64 s[2:3], s[52:53], s[46:47]
	s_or_b64 s[48:49], s[48:49], s[2:3]
	s_and_b64 s[2:3], s[48:49], exec
	s_or_b64 s[2:3], s[50:51], s[2:3]
	s_and_saveexec_b64 s[50:51], s[54:55]
	s_cbranch_execz .LBB993_292
; %bb.294:                              ;   in Loop: Header=BB993_293 Depth=1
	s_add_u32 s44, s44, -1
	s_addc_u32 s45, s45, -1
	s_cmp_eq_u64 s[44:45], 0
	s_cselect_b64 s[46:47], -1, 0
	s_andn2_b64 s[42:43], s[42:43], exec
	s_and_b64 s[46:47], s[46:47], exec
	v_lshl_add_u64 v[6:7], v[6:7], 0, 1
	v_lshl_add_u64 v[8:9], v[8:9], 0, 1
	s_andn2_b64 s[2:3], s[2:3], exec
	s_or_b64 s[42:43], s[42:43], s[46:47]
                                        ; implicit-def: $sgpr46_sgpr47
	s_branch .LBB993_292
.LBB993_295:
	s_or_b64 exec, exec, s[38:39]
	s_xor_b64 s[2:3], s[40:41], -1
	s_andn2_b64 s[26:27], s[26:27], exec
	s_and_b64 s[2:3], s[2:3], exec
	s_or_b64 s[26:27], s[26:27], s[2:3]
.LBB993_296:
	s_or_b64 exec, exec, s[36:37]
	s_orn2_b64 s[26:27], s[26:27], exec
.LBB993_297:
	s_or_b64 exec, exec, s[34:35]
	v_cndmask_b32_e64 v6, v12, v13, s[26:27]
	v_cndmask_b32_e64 v7, v38, v37, s[26:27]
	v_add_u32_e32 v8, 1, v6
	v_add_u32_e32 v6, -1, v7
	v_min_u32_e32 v6, v8, v6
	v_lshl_add_u32 v6, v6, 3, v33
	ds_read_b64 v[6:7], v6
	v_cndmask_b32_e64 v39, v8, v12, s[26:27]
	v_cndmask_b32_e64 v40, v13, v8, s[26:27]
	v_cmp_lt_u32_e32 vcc, v39, v38
	s_waitcnt lgkmcnt(0)
	v_cndmask_b32_e64 v10, v7, v14, s[26:27]
	v_cndmask_b32_e64 v17, v6, v15, s[26:27]
	;; [unrolled: 1-line block ×4, first 2 shown]
	s_and_saveexec_b64 s[34:35], vcc
	s_cbranch_execz .LBB993_305
; %bb.298:
	v_cmp_lt_u32_e64 s[30:31], v40, v37
	s_xor_b64 s[2:3], s[10:11], -1
	s_and_b64 s[2:3], s[30:31], s[2:3]
	s_and_saveexec_b64 s[36:37], s[2:3]
	s_cbranch_execz .LBB993_304
; %bb.299:
	v_mov_b64_e32 v[8:9], s[22:23]
	v_mad_u64_u32 v[6:7], s[2:3], v17, s20, v[8:9]
	v_mul_lo_u32 v12, v17, s21
	v_mul_lo_u32 v13, v10, s20
	v_add3_u32 v7, v13, v7, v12
	v_mad_u64_u32 v[8:9], s[2:3], v23, s20, v[8:9]
	v_mul_lo_u32 v12, v23, s21
	v_mul_lo_u32 v13, v11, s20
	v_add3_u32 v9, v13, v9, v12
	s_mov_b64 s[38:39], 0
	s_mov_b64 s[44:45], s[20:21]
                                        ; implicit-def: $sgpr40_sgpr41
                                        ; implicit-def: $sgpr42_sgpr43
                                        ; implicit-def: $sgpr2_sgpr3
                                        ; implicit-def: $sgpr46_sgpr47
	s_branch .LBB993_301
.LBB993_300:                            ;   in Loop: Header=BB993_301 Depth=1
	s_or_b64 exec, exec, s[50:51]
	s_and_b64 s[50:51], exec, s[42:43]
	s_or_b64 s[38:39], s[50:51], s[38:39]
	s_andn2_b64 s[46:47], s[46:47], exec
	s_and_b64 s[48:49], s[48:49], exec
	s_or_b64 s[46:47], s[46:47], s[48:49]
	s_andn2_b64 s[40:41], s[40:41], exec
	s_and_b64 s[48:49], s[2:3], exec
	s_or_b64 s[40:41], s[40:41], s[48:49]
	s_andn2_b64 exec, exec, s[38:39]
	s_cbranch_execz .LBB993_303
.LBB993_301:                            ; =>This Inner Loop Header: Depth=1
	global_load_ubyte v12, v[6:7], off
	global_load_ubyte v13, v[8:9], off
	s_andn2_b64 s[50:51], s[2:3], exec
	s_or_b64 s[42:43], s[42:43], exec
	s_waitcnt vmcnt(1)
	v_cmp_eq_u16_e32 vcc, 0, v12
	s_waitcnt vmcnt(0)
	v_cmp_ne_u16_e64 s[2:3], 0, v13
	s_or_b64 s[52:53], vcc, s[2:3]
	s_and_b64 s[48:49], vcc, s[2:3]
	s_xor_b64 s[54:55], vcc, s[2:3]
	s_and_b64 s[2:3], s[52:53], s[46:47]
	s_or_b64 s[48:49], s[48:49], s[2:3]
	s_and_b64 s[2:3], s[48:49], exec
	s_or_b64 s[2:3], s[50:51], s[2:3]
	s_and_saveexec_b64 s[50:51], s[54:55]
	s_cbranch_execz .LBB993_300
; %bb.302:                              ;   in Loop: Header=BB993_301 Depth=1
	s_add_u32 s44, s44, -1
	s_addc_u32 s45, s45, -1
	s_cmp_eq_u64 s[44:45], 0
	s_cselect_b64 s[46:47], -1, 0
	s_andn2_b64 s[42:43], s[42:43], exec
	s_and_b64 s[46:47], s[46:47], exec
	v_lshl_add_u64 v[6:7], v[6:7], 0, 1
	v_lshl_add_u64 v[8:9], v[8:9], 0, 1
	s_andn2_b64 s[2:3], s[2:3], exec
	s_or_b64 s[42:43], s[42:43], s[46:47]
                                        ; implicit-def: $sgpr46_sgpr47
	s_branch .LBB993_300
.LBB993_303:
	s_or_b64 exec, exec, s[38:39]
	s_xor_b64 s[2:3], s[40:41], -1
	s_andn2_b64 s[30:31], s[30:31], exec
	s_and_b64 s[2:3], s[2:3], exec
	s_or_b64 s[30:31], s[30:31], s[2:3]
.LBB993_304:
	s_or_b64 exec, exec, s[36:37]
	s_orn2_b64 s[30:31], s[30:31], exec
.LBB993_305:
	s_or_b64 exec, exec, s[34:35]
	v_cndmask_b32_e64 v6, v39, v40, s[30:31]
	v_cndmask_b32_e64 v7, v38, v37, s[30:31]
	v_add_u32_e32 v8, 1, v6
	v_add_u32_e32 v6, -1, v7
	v_min_u32_e32 v6, v8, v6
	v_lshl_add_u32 v6, v6, 3, v33
	ds_read_b64 v[6:7], v6
	v_cndmask_b32_e64 v43, v8, v39, s[30:31]
	v_cndmask_b32_e64 v44, v40, v8, s[30:31]
	v_cmp_lt_u32_e32 vcc, v43, v38
	s_mov_b64 s[36:37], -1
	s_waitcnt lgkmcnt(0)
	v_cndmask_b32_e64 v12, v7, v10, s[30:31]
	v_cndmask_b32_e64 v24, v6, v17, s[30:31]
	;; [unrolled: 1-line block ×4, first 2 shown]
	s_mov_b64 s[34:35], -1
	s_and_saveexec_b64 s[38:39], vcc
	s_cbranch_execz .LBB993_313
; %bb.306:
	v_cmp_lt_u32_e64 s[34:35], v44, v37
	s_xor_b64 s[2:3], s[10:11], -1
	s_and_b64 s[2:3], s[34:35], s[2:3]
	s_and_saveexec_b64 s[40:41], s[2:3]
	s_cbranch_execz .LBB993_312
; %bb.307:
	v_mov_b64_e32 v[8:9], s[22:23]
	v_mad_u64_u32 v[6:7], s[2:3], v24, s20, v[8:9]
	v_mul_lo_u32 v39, v24, s21
	v_mul_lo_u32 v40, v12, s20
	v_add3_u32 v7, v40, v7, v39
	v_mad_u64_u32 v[8:9], s[2:3], v25, s20, v[8:9]
	v_mul_lo_u32 v39, v25, s21
	v_mul_lo_u32 v40, v13, s20
	v_add3_u32 v9, v40, v9, v39
	s_mov_b64 s[42:43], 0
	s_mov_b64 s[48:49], s[20:21]
                                        ; implicit-def: $sgpr44_sgpr45
                                        ; implicit-def: $sgpr46_sgpr47
                                        ; implicit-def: $sgpr2_sgpr3
                                        ; implicit-def: $sgpr50_sgpr51
	s_branch .LBB993_309
.LBB993_308:                            ;   in Loop: Header=BB993_309 Depth=1
	s_or_b64 exec, exec, s[54:55]
	s_and_b64 s[54:55], exec, s[46:47]
	s_or_b64 s[42:43], s[54:55], s[42:43]
	s_andn2_b64 s[50:51], s[50:51], exec
	s_and_b64 s[52:53], s[52:53], exec
	s_or_b64 s[50:51], s[50:51], s[52:53]
	s_andn2_b64 s[44:45], s[44:45], exec
	s_and_b64 s[52:53], s[2:3], exec
	s_or_b64 s[44:45], s[44:45], s[52:53]
	s_andn2_b64 exec, exec, s[42:43]
	s_cbranch_execz .LBB993_311
.LBB993_309:                            ; =>This Inner Loop Header: Depth=1
	global_load_ubyte v39, v[6:7], off
	global_load_ubyte v40, v[8:9], off
	s_andn2_b64 s[54:55], s[2:3], exec
	s_or_b64 s[46:47], s[46:47], exec
	s_waitcnt vmcnt(1)
	v_cmp_eq_u16_e32 vcc, 0, v39
	s_waitcnt vmcnt(0)
	v_cmp_ne_u16_e64 s[2:3], 0, v40
	s_or_b64 s[56:57], vcc, s[2:3]
	s_and_b64 s[52:53], vcc, s[2:3]
	s_xor_b64 s[58:59], vcc, s[2:3]
	s_and_b64 s[2:3], s[56:57], s[50:51]
	s_or_b64 s[52:53], s[52:53], s[2:3]
	s_and_b64 s[2:3], s[52:53], exec
	s_or_b64 s[2:3], s[54:55], s[2:3]
	s_and_saveexec_b64 s[54:55], s[58:59]
	s_cbranch_execz .LBB993_308
; %bb.310:                              ;   in Loop: Header=BB993_309 Depth=1
	s_add_u32 s48, s48, -1
	s_addc_u32 s49, s49, -1
	s_cmp_eq_u64 s[48:49], 0
	s_cselect_b64 s[50:51], -1, 0
	s_andn2_b64 s[46:47], s[46:47], exec
	s_and_b64 s[50:51], s[50:51], exec
	v_lshl_add_u64 v[6:7], v[6:7], 0, 1
	v_lshl_add_u64 v[8:9], v[8:9], 0, 1
	s_andn2_b64 s[2:3], s[2:3], exec
	s_or_b64 s[46:47], s[46:47], s[50:51]
                                        ; implicit-def: $sgpr50_sgpr51
	s_branch .LBB993_308
.LBB993_311:
	s_or_b64 exec, exec, s[42:43]
	s_xor_b64 s[2:3], s[44:45], -1
	s_andn2_b64 s[34:35], s[34:35], exec
	s_and_b64 s[2:3], s[2:3], exec
	s_or_b64 s[34:35], s[34:35], s[2:3]
.LBB993_312:
	s_or_b64 exec, exec, s[40:41]
	s_orn2_b64 s[34:35], s[34:35], exec
.LBB993_313:
	s_or_b64 exec, exec, s[38:39]
	v_cndmask_b32_e64 v6, v43, v44, s[34:35]
	v_cndmask_b32_e64 v7, v38, v37, s[34:35]
	v_add_u32_e32 v8, 1, v6
	v_add_u32_e32 v6, -1, v7
	v_min_u32_e32 v6, v8, v6
	v_lshl_add_u32 v6, v6, 3, v33
	ds_read_b64 v[6:7], v6
	v_cndmask_b32_e64 v47, v8, v43, s[34:35]
	v_cndmask_b32_e64 v48, v44, v8, s[34:35]
	v_cmp_lt_u32_e32 vcc, v47, v38
	s_waitcnt lgkmcnt(0)
	v_cndmask_b32_e64 v39, v7, v12, s[34:35]
	v_cndmask_b32_e64 v40, v6, v24, s[34:35]
	;; [unrolled: 1-line block ×4, first 2 shown]
	s_and_saveexec_b64 s[38:39], vcc
	s_cbranch_execz .LBB993_321
; %bb.314:
	v_cmp_lt_u32_e64 s[36:37], v48, v37
	s_xor_b64 s[2:3], s[10:11], -1
	s_and_b64 s[2:3], s[36:37], s[2:3]
	s_and_saveexec_b64 s[40:41], s[2:3]
	s_cbranch_execz .LBB993_320
; %bb.315:
	v_mov_b64_e32 v[8:9], s[22:23]
	v_mad_u64_u32 v[6:7], s[2:3], v40, s20, v[8:9]
	v_mul_lo_u32 v43, v40, s21
	v_mul_lo_u32 v44, v39, s20
	v_add3_u32 v7, v44, v7, v43
	v_mad_u64_u32 v[8:9], s[2:3], v42, s20, v[8:9]
	v_mul_lo_u32 v43, v42, s21
	v_mul_lo_u32 v44, v41, s20
	v_add3_u32 v9, v44, v9, v43
	s_mov_b64 s[42:43], 0
	s_mov_b64 s[48:49], s[20:21]
                                        ; implicit-def: $sgpr44_sgpr45
                                        ; implicit-def: $sgpr46_sgpr47
                                        ; implicit-def: $sgpr2_sgpr3
                                        ; implicit-def: $sgpr50_sgpr51
	s_branch .LBB993_317
.LBB993_316:                            ;   in Loop: Header=BB993_317 Depth=1
	s_or_b64 exec, exec, s[54:55]
	s_and_b64 s[54:55], exec, s[46:47]
	s_or_b64 s[42:43], s[54:55], s[42:43]
	s_andn2_b64 s[50:51], s[50:51], exec
	s_and_b64 s[52:53], s[52:53], exec
	s_or_b64 s[50:51], s[50:51], s[52:53]
	s_andn2_b64 s[44:45], s[44:45], exec
	s_and_b64 s[52:53], s[2:3], exec
	s_or_b64 s[44:45], s[44:45], s[52:53]
	s_andn2_b64 exec, exec, s[42:43]
	s_cbranch_execz .LBB993_319
.LBB993_317:                            ; =>This Inner Loop Header: Depth=1
	global_load_ubyte v43, v[6:7], off
	global_load_ubyte v44, v[8:9], off
	s_andn2_b64 s[54:55], s[2:3], exec
	s_or_b64 s[46:47], s[46:47], exec
	s_waitcnt vmcnt(1)
	v_cmp_eq_u16_e32 vcc, 0, v43
	s_waitcnt vmcnt(0)
	v_cmp_ne_u16_e64 s[2:3], 0, v44
	s_or_b64 s[56:57], vcc, s[2:3]
	s_and_b64 s[52:53], vcc, s[2:3]
	s_xor_b64 s[58:59], vcc, s[2:3]
	s_and_b64 s[2:3], s[56:57], s[50:51]
	s_or_b64 s[52:53], s[52:53], s[2:3]
	s_and_b64 s[2:3], s[52:53], exec
	s_or_b64 s[2:3], s[54:55], s[2:3]
	s_and_saveexec_b64 s[54:55], s[58:59]
	s_cbranch_execz .LBB993_316
; %bb.318:                              ;   in Loop: Header=BB993_317 Depth=1
	s_add_u32 s48, s48, -1
	s_addc_u32 s49, s49, -1
	s_cmp_eq_u64 s[48:49], 0
	s_cselect_b64 s[50:51], -1, 0
	s_andn2_b64 s[46:47], s[46:47], exec
	s_and_b64 s[50:51], s[50:51], exec
	v_lshl_add_u64 v[6:7], v[6:7], 0, 1
	v_lshl_add_u64 v[8:9], v[8:9], 0, 1
	s_andn2_b64 s[2:3], s[2:3], exec
	s_or_b64 s[46:47], s[46:47], s[50:51]
                                        ; implicit-def: $sgpr50_sgpr51
	s_branch .LBB993_316
.LBB993_319:
	s_or_b64 exec, exec, s[42:43]
	s_xor_b64 s[2:3], s[44:45], -1
	s_andn2_b64 s[36:37], s[36:37], exec
	s_and_b64 s[2:3], s[2:3], exec
	s_or_b64 s[36:37], s[36:37], s[2:3]
.LBB993_320:
	s_or_b64 exec, exec, s[40:41]
	s_orn2_b64 s[36:37], s[36:37], exec
.LBB993_321:
	s_or_b64 exec, exec, s[38:39]
	v_cndmask_b32_e64 v6, v47, v48, s[36:37]
	v_cndmask_b32_e64 v7, v38, v37, s[36:37]
	v_add_u32_e32 v8, 1, v6
	v_add_u32_e32 v6, -1, v7
	v_min_u32_e32 v6, v8, v6
	v_lshl_add_u32 v6, v6, 3, v33
	ds_read_b64 v[6:7], v6
	v_cndmask_b32_e64 v49, v8, v47, s[36:37]
	v_cndmask_b32_e64 v53, v48, v8, s[36:37]
	v_cmp_lt_u32_e32 vcc, v49, v38
	s_mov_b64 s[38:39], -1
	s_waitcnt lgkmcnt(0)
	v_cndmask_b32_e64 v43, v7, v39, s[36:37]
	v_cndmask_b32_e64 v44, v6, v40, s[36:37]
	;; [unrolled: 1-line block ×4, first 2 shown]
	s_mov_b64 s[40:41], -1
	s_and_saveexec_b64 s[42:43], vcc
	s_cbranch_execz .LBB993_329
; %bb.322:
	v_cmp_lt_u32_e64 s[40:41], v53, v37
	s_xor_b64 s[2:3], s[10:11], -1
	s_and_b64 s[2:3], s[40:41], s[2:3]
	s_and_saveexec_b64 s[44:45], s[2:3]
	s_cbranch_execz .LBB993_328
; %bb.323:
	v_mov_b64_e32 v[8:9], s[22:23]
	v_mad_u64_u32 v[6:7], s[2:3], v44, s20, v[8:9]
	v_mul_lo_u32 v47, v44, s21
	v_mul_lo_u32 v48, v43, s20
	v_add3_u32 v7, v48, v7, v47
	v_mad_u64_u32 v[8:9], s[2:3], v46, s20, v[8:9]
	v_mul_lo_u32 v47, v46, s21
	v_mul_lo_u32 v48, v45, s20
	v_add3_u32 v9, v48, v9, v47
	s_mov_b64 s[46:47], 0
	s_mov_b64 s[52:53], s[20:21]
                                        ; implicit-def: $sgpr48_sgpr49
                                        ; implicit-def: $sgpr50_sgpr51
                                        ; implicit-def: $sgpr2_sgpr3
                                        ; implicit-def: $sgpr54_sgpr55
	s_branch .LBB993_325
.LBB993_324:                            ;   in Loop: Header=BB993_325 Depth=1
	s_or_b64 exec, exec, s[58:59]
	s_and_b64 s[58:59], exec, s[50:51]
	s_or_b64 s[46:47], s[58:59], s[46:47]
	s_andn2_b64 s[54:55], s[54:55], exec
	s_and_b64 s[56:57], s[56:57], exec
	s_or_b64 s[54:55], s[54:55], s[56:57]
	s_andn2_b64 s[48:49], s[48:49], exec
	s_and_b64 s[56:57], s[2:3], exec
	s_or_b64 s[48:49], s[48:49], s[56:57]
	s_andn2_b64 exec, exec, s[46:47]
	s_cbranch_execz .LBB993_327
.LBB993_325:                            ; =>This Inner Loop Header: Depth=1
	global_load_ubyte v47, v[6:7], off
	global_load_ubyte v48, v[8:9], off
	s_andn2_b64 s[58:59], s[2:3], exec
	s_or_b64 s[50:51], s[50:51], exec
	s_waitcnt vmcnt(1)
	v_cmp_eq_u16_e32 vcc, 0, v47
	s_waitcnt vmcnt(0)
	v_cmp_ne_u16_e64 s[2:3], 0, v48
	s_or_b64 s[60:61], vcc, s[2:3]
	s_and_b64 s[56:57], vcc, s[2:3]
	s_xor_b64 s[62:63], vcc, s[2:3]
	s_and_b64 s[2:3], s[60:61], s[54:55]
	s_or_b64 s[56:57], s[56:57], s[2:3]
	s_and_b64 s[2:3], s[56:57], exec
	s_or_b64 s[2:3], s[58:59], s[2:3]
	s_and_saveexec_b64 s[58:59], s[62:63]
	s_cbranch_execz .LBB993_324
; %bb.326:                              ;   in Loop: Header=BB993_325 Depth=1
	s_add_u32 s52, s52, -1
	s_addc_u32 s53, s53, -1
	s_cmp_eq_u64 s[52:53], 0
	s_cselect_b64 s[54:55], -1, 0
	s_andn2_b64 s[50:51], s[50:51], exec
	s_and_b64 s[54:55], s[54:55], exec
	v_lshl_add_u64 v[6:7], v[6:7], 0, 1
	v_lshl_add_u64 v[8:9], v[8:9], 0, 1
	s_andn2_b64 s[2:3], s[2:3], exec
	s_or_b64 s[50:51], s[50:51], s[54:55]
                                        ; implicit-def: $sgpr54_sgpr55
	s_branch .LBB993_324
.LBB993_327:
	s_or_b64 exec, exec, s[46:47]
	s_xor_b64 s[2:3], s[48:49], -1
	s_andn2_b64 s[40:41], s[40:41], exec
	s_and_b64 s[2:3], s[2:3], exec
	s_or_b64 s[40:41], s[40:41], s[2:3]
.LBB993_328:
	s_or_b64 exec, exec, s[44:45]
	s_orn2_b64 s[40:41], s[40:41], exec
.LBB993_329:
	s_or_b64 exec, exec, s[42:43]
	v_cndmask_b32_e64 v6, v49, v53, s[40:41]
	v_cndmask_b32_e64 v7, v38, v37, s[40:41]
	v_add_u32_e32 v8, 1, v6
	v_add_u32_e32 v6, -1, v7
	v_min_u32_e32 v6, v8, v6
	v_lshl_add_u32 v6, v6, 3, v33
	ds_read_b64 v[6:7], v6
	v_cndmask_b32_e64 v50, v8, v49, s[40:41]
	v_cndmask_b32_e64 v49, v53, v8, s[40:41]
	v_cmp_lt_u32_e32 vcc, v50, v38
	s_waitcnt lgkmcnt(0)
	v_cndmask_b32_e64 v47, v7, v43, s[40:41]
	v_cndmask_b32_e64 v48, v6, v44, s[40:41]
	;; [unrolled: 1-line block ×4, first 2 shown]
	s_and_saveexec_b64 s[42:43], vcc
	s_cbranch_execz .LBB993_337
; %bb.330:
	v_cmp_lt_u32_e64 s[38:39], v49, v37
	s_xor_b64 s[2:3], s[10:11], -1
	s_and_b64 s[2:3], s[38:39], s[2:3]
	s_and_saveexec_b64 s[44:45], s[2:3]
	s_cbranch_execz .LBB993_336
; %bb.331:
	v_mov_b64_e32 v[8:9], s[22:23]
	v_mad_u64_u32 v[6:7], s[2:3], v48, s20, v[8:9]
	v_mul_lo_u32 v53, v48, s21
	v_mul_lo_u32 v54, v47, s20
	v_add3_u32 v7, v54, v7, v53
	v_mad_u64_u32 v[8:9], s[2:3], v52, s20, v[8:9]
	v_mul_lo_u32 v53, v52, s21
	v_mul_lo_u32 v54, v51, s20
	v_add3_u32 v9, v54, v9, v53
	s_mov_b64 s[46:47], 0
	s_mov_b64 s[52:53], s[20:21]
                                        ; implicit-def: $sgpr48_sgpr49
                                        ; implicit-def: $sgpr50_sgpr51
                                        ; implicit-def: $sgpr2_sgpr3
                                        ; implicit-def: $sgpr54_sgpr55
	s_branch .LBB993_333
.LBB993_332:                            ;   in Loop: Header=BB993_333 Depth=1
	s_or_b64 exec, exec, s[58:59]
	s_and_b64 s[58:59], exec, s[50:51]
	s_or_b64 s[46:47], s[58:59], s[46:47]
	s_andn2_b64 s[54:55], s[54:55], exec
	s_and_b64 s[56:57], s[56:57], exec
	s_or_b64 s[54:55], s[54:55], s[56:57]
	s_andn2_b64 s[48:49], s[48:49], exec
	s_and_b64 s[56:57], s[2:3], exec
	s_or_b64 s[48:49], s[48:49], s[56:57]
	s_andn2_b64 exec, exec, s[46:47]
	s_cbranch_execz .LBB993_335
.LBB993_333:                            ; =>This Inner Loop Header: Depth=1
	global_load_ubyte v53, v[6:7], off
	global_load_ubyte v54, v[8:9], off
	s_andn2_b64 s[58:59], s[2:3], exec
	s_or_b64 s[50:51], s[50:51], exec
	s_waitcnt vmcnt(1)
	v_cmp_eq_u16_e32 vcc, 0, v53
	s_waitcnt vmcnt(0)
	v_cmp_ne_u16_e64 s[2:3], 0, v54
	s_or_b64 s[60:61], vcc, s[2:3]
	s_and_b64 s[56:57], vcc, s[2:3]
	s_xor_b64 s[62:63], vcc, s[2:3]
	s_and_b64 s[2:3], s[60:61], s[54:55]
	s_or_b64 s[56:57], s[56:57], s[2:3]
	s_and_b64 s[2:3], s[56:57], exec
	s_or_b64 s[2:3], s[58:59], s[2:3]
	s_and_saveexec_b64 s[58:59], s[62:63]
	s_cbranch_execz .LBB993_332
; %bb.334:                              ;   in Loop: Header=BB993_333 Depth=1
	s_add_u32 s52, s52, -1
	s_addc_u32 s53, s53, -1
	s_cmp_eq_u64 s[52:53], 0
	s_cselect_b64 s[54:55], -1, 0
	s_andn2_b64 s[50:51], s[50:51], exec
	s_and_b64 s[54:55], s[54:55], exec
	v_lshl_add_u64 v[6:7], v[6:7], 0, 1
	v_lshl_add_u64 v[8:9], v[8:9], 0, 1
	s_andn2_b64 s[2:3], s[2:3], exec
	s_or_b64 s[50:51], s[50:51], s[54:55]
                                        ; implicit-def: $sgpr54_sgpr55
	s_branch .LBB993_332
.LBB993_335:
	s_or_b64 exec, exec, s[46:47]
	s_xor_b64 s[2:3], s[48:49], -1
	s_andn2_b64 s[38:39], s[38:39], exec
	s_and_b64 s[2:3], s[2:3], exec
	s_or_b64 s[38:39], s[38:39], s[2:3]
.LBB993_336:
	s_or_b64 exec, exec, s[44:45]
	s_orn2_b64 s[38:39], s[38:39], exec
.LBB993_337:
	s_or_b64 exec, exec, s[42:43]
	v_cndmask_b32_e64 v11, v10, v11, s[30:31]
	v_cndmask_b32_e64 v10, v17, v23, s[30:31]
	;; [unrolled: 1-line block ×8, first 2 shown]
	v_add_u32_e32 v24, 1, v14
	v_add_u32_e32 v14, -1, v15
	v_min_u32_e32 v14, v24, v14
	v_lshl_add_u32 v14, v14, 3, v33
	ds_read_b64 v[22:23], v14
	v_cndmask_b32_e64 v25, v24, v50, s[38:39]
	v_cndmask_b32_e64 v9, v43, v45, s[40:41]
	;; [unrolled: 1-line block ×9, first 2 shown]
	s_waitcnt lgkmcnt(0)
	v_cndmask_b32_e64 v5, v51, v23, s[38:39]
	v_cndmask_b32_e64 v4, v52, v22, s[38:39]
	v_cmp_lt_u32_e32 vcc, v25, v38
	s_and_saveexec_b64 s[4:5], vcc
	s_cbranch_execz .LBB993_345
; %bb.338:
	v_cndmask_b32_e64 v39, v22, v48, s[38:39]
	v_cndmask_b32_e64 v22, v49, v24, s[38:39]
	;; [unrolled: 1-line block ×3, first 2 shown]
	v_cmp_ge_u32_e32 vcc, v22, v37
	s_nor_b64 s[2:3], vcc, s[10:11]
	s_nop 0
	v_cndmask_b32_e32 v23, v5, v38, vcc
	v_cndmask_b32_e32 v22, v4, v39, vcc
	s_and_saveexec_b64 s[26:27], s[2:3]
	s_cbranch_execz .LBB993_344
; %bb.339:
	v_mov_b64_e32 v[24:25], s[22:23]
	v_mad_u64_u32 v[22:23], s[2:3], v39, s20, v[24:25]
	v_mul_lo_u32 v37, v39, s21
	v_mul_lo_u32 v40, v38, s20
	v_add3_u32 v23, v40, v23, v37
	v_mad_u64_u32 v[24:25], s[2:3], v4, s20, v[24:25]
	v_mul_lo_u32 v37, v4, s21
	v_mul_lo_u32 v40, v5, s20
	v_add3_u32 v25, v40, v25, v37
	s_mov_b64 s[30:31], 0
	s_mov_b64 s[38:39], s[20:21]
                                        ; implicit-def: $sgpr34_sgpr35
                                        ; implicit-def: $sgpr36_sgpr37
                                        ; implicit-def: $sgpr2_sgpr3
                                        ; implicit-def: $sgpr40_sgpr41
	s_branch .LBB993_341
.LBB993_340:                            ;   in Loop: Header=BB993_341 Depth=1
	s_or_b64 exec, exec, s[44:45]
	s_and_b64 s[44:45], exec, s[36:37]
	s_or_b64 s[30:31], s[44:45], s[30:31]
	s_andn2_b64 s[40:41], s[40:41], exec
	s_and_b64 s[42:43], s[42:43], exec
	s_or_b64 s[40:41], s[40:41], s[42:43]
	s_andn2_b64 s[34:35], s[34:35], exec
	s_and_b64 s[42:43], s[2:3], exec
	s_or_b64 s[34:35], s[34:35], s[42:43]
	s_andn2_b64 exec, exec, s[30:31]
	s_cbranch_execz .LBB993_343
.LBB993_341:                            ; =>This Inner Loop Header: Depth=1
	global_load_ubyte v37, v[22:23], off
	global_load_ubyte v40, v[24:25], off
	s_andn2_b64 s[44:45], s[2:3], exec
	s_or_b64 s[36:37], s[36:37], exec
	s_waitcnt vmcnt(1)
	v_cmp_eq_u16_e32 vcc, 0, v37
	s_waitcnt vmcnt(0)
	v_cmp_ne_u16_e64 s[2:3], 0, v40
	s_or_b64 s[46:47], vcc, s[2:3]
	s_and_b64 s[42:43], vcc, s[2:3]
	s_xor_b64 s[48:49], vcc, s[2:3]
	s_and_b64 s[2:3], s[46:47], s[40:41]
	s_or_b64 s[42:43], s[42:43], s[2:3]
	s_and_b64 s[2:3], s[42:43], exec
	s_or_b64 s[2:3], s[44:45], s[2:3]
	s_and_saveexec_b64 s[44:45], s[48:49]
	s_cbranch_execz .LBB993_340
; %bb.342:                              ;   in Loop: Header=BB993_341 Depth=1
	s_add_u32 s38, s38, -1
	s_addc_u32 s39, s39, -1
	s_cmp_eq_u64 s[38:39], 0
	s_cselect_b64 s[40:41], -1, 0
	s_andn2_b64 s[36:37], s[36:37], exec
	s_and_b64 s[40:41], s[40:41], exec
	v_lshl_add_u64 v[22:23], v[22:23], 0, 1
	v_lshl_add_u64 v[24:25], v[24:25], 0, 1
	s_andn2_b64 s[2:3], s[2:3], exec
	s_or_b64 s[36:37], s[36:37], s[40:41]
                                        ; implicit-def: $sgpr40_sgpr41
	s_branch .LBB993_340
.LBB993_343:
	s_or_b64 exec, exec, s[30:31]
	v_cndmask_b32_e64 v23, v5, v38, s[34:35]
	v_cndmask_b32_e64 v22, v4, v39, s[34:35]
.LBB993_344:
	s_or_b64 exec, exec, s[26:27]
	v_mov_b64_e32 v[4:5], v[22:23]
.LBB993_345:
	s_or_b64 exec, exec, s[4:5]
.LBB993_346:
	s_or_b64 exec, exec, s[12:13]
	v_and_b32_e32 v41, 0x3c0, v35
	v_or_b32_e32 v22, 32, v41
	v_min_u32_e32 v37, v34, v22
	v_add_u32_e32 v22, 32, v37
	v_min_u32_e32 v38, v34, v22
	v_and_b32_e32 v22, 56, v35
	v_min_u32_e32 v42, v34, v22
	v_sub_u32_e32 v22, v37, v41
	v_sub_u32_e32 v23, v38, v37
	v_sub_u32_e64 v40, v42, v23 clamp
	v_min_u32_e32 v43, v42, v22
	v_lshl_add_u32 v39, v41, 3, v33
	v_cmp_lt_u32_e32 vcc, v40, v43
	; wave barrier
	ds_write_b128 v36, v[14:17]
	ds_write_b128 v36, v[10:13] offset:16
	ds_write_b128 v36, v[6:9] offset:32
	;; [unrolled: 1-line block ×3, first 2 shown]
	; wave barrier
	s_and_saveexec_b64 s[4:5], vcc
	s_cbranch_execz .LBB993_356
; %bb.347:
	v_lshlrev_b32_e32 v22, 3, v37
	v_lshlrev_b32_e32 v23, 3, v42
	v_add3_u32 v44, v33, v22, v23
	s_mov_b64 s[12:13], 0
	s_branch .LBB993_350
.LBB993_348:                            ;   in Loop: Header=BB993_350 Depth=1
	s_or_b64 exec, exec, s[30:31]
.LBB993_349:                            ;   in Loop: Header=BB993_350 Depth=1
	v_add_u32_e32 v22, 1, v45
	v_cndmask_b32_e64 v43, v43, v45, s[26:27]
	v_cndmask_b32_e64 v40, v22, v40, s[26:27]
	v_cmp_ge_u32_e32 vcc, v40, v43
	s_or_b64 s[12:13], vcc, s[12:13]
	s_andn2_b64 exec, exec, s[12:13]
	s_cbranch_execz .LBB993_355
.LBB993_350:                            ; =>This Loop Header: Depth=1
                                        ;     Child Loop BB993_353 Depth 2
	v_add_u32_e32 v22, v43, v40
	v_lshrrev_b32_e32 v45, 1, v22
	s_and_b64 vcc, exec, s[0:1]
	s_mov_b64 s[26:27], 0
	s_cbranch_vccnz .LBB993_349
; %bb.351:                              ;   in Loop: Header=BB993_350 Depth=1
	v_not_b32_e32 v22, v45
	v_lshl_add_u32 v22, v22, 3, v44
	ds_read_b64 v[22:23], v22
	v_lshl_add_u32 v46, v45, 3, v39
	ds_read_b64 v[46:47], v46
	v_mov_b64_e32 v[24:25], s[22:23]
	s_mov_b64 s[30:31], 0
	s_waitcnt lgkmcnt(1)
	v_mul_lo_u32 v48, v22, s21
	v_mul_lo_u32 v49, v23, s20
	v_mad_u64_u32 v[22:23], s[2:3], v22, s20, v[24:25]
	v_add3_u32 v23, v49, v23, v48
	s_waitcnt lgkmcnt(0)
	v_mul_lo_u32 v48, v46, s21
	v_mul_lo_u32 v47, v47, s20
	v_mad_u64_u32 v[24:25], s[2:3], v46, s20, v[24:25]
	v_add3_u32 v25, v47, v25, v48
	s_mov_b64 s[36:37], s[20:21]
                                        ; implicit-def: $sgpr26_sgpr27
                                        ; implicit-def: $sgpr34_sgpr35
                                        ; implicit-def: $sgpr2_sgpr3
                                        ; implicit-def: $sgpr38_sgpr39
	s_branch .LBB993_353
.LBB993_352:                            ;   in Loop: Header=BB993_353 Depth=2
	s_or_b64 exec, exec, s[42:43]
	s_and_b64 s[42:43], exec, s[34:35]
	s_or_b64 s[30:31], s[42:43], s[30:31]
	s_andn2_b64 s[38:39], s[38:39], exec
	s_and_b64 s[40:41], s[40:41], exec
	s_or_b64 s[38:39], s[38:39], s[40:41]
	s_andn2_b64 s[26:27], s[26:27], exec
	s_and_b64 s[40:41], s[2:3], exec
	s_or_b64 s[26:27], s[26:27], s[40:41]
	s_andn2_b64 exec, exec, s[30:31]
	s_cbranch_execz .LBB993_348
.LBB993_353:                            ;   Parent Loop BB993_350 Depth=1
                                        ; =>  This Inner Loop Header: Depth=2
	global_load_ubyte v46, v[22:23], off
	global_load_ubyte v47, v[24:25], off
	s_andn2_b64 s[42:43], s[2:3], exec
	s_or_b64 s[34:35], s[34:35], exec
	s_waitcnt vmcnt(1)
	v_cmp_eq_u16_e32 vcc, 0, v46
	s_waitcnt vmcnt(0)
	v_cmp_ne_u16_e64 s[2:3], 0, v47
	s_or_b64 s[44:45], vcc, s[2:3]
	s_and_b64 s[40:41], vcc, s[2:3]
	s_xor_b64 s[46:47], vcc, s[2:3]
	s_and_b64 s[2:3], s[44:45], s[38:39]
	s_or_b64 s[40:41], s[40:41], s[2:3]
	s_and_b64 s[2:3], s[40:41], exec
	s_or_b64 s[2:3], s[42:43], s[2:3]
	s_and_saveexec_b64 s[42:43], s[46:47]
	s_cbranch_execz .LBB993_352
; %bb.354:                              ;   in Loop: Header=BB993_353 Depth=2
	s_add_u32 s36, s36, -1
	s_addc_u32 s37, s37, -1
	s_cmp_eq_u64 s[36:37], 0
	s_cselect_b64 s[38:39], -1, 0
	s_andn2_b64 s[34:35], s[34:35], exec
	s_and_b64 s[38:39], s[38:39], exec
	v_lshl_add_u64 v[22:23], v[22:23], 0, 1
	v_lshl_add_u64 v[24:25], v[24:25], 0, 1
	s_andn2_b64 s[2:3], s[2:3], exec
	s_or_b64 s[34:35], s[34:35], s[38:39]
                                        ; implicit-def: $sgpr38_sgpr39
	s_branch .LBB993_352
.LBB993_355:
	s_or_b64 exec, exec, s[12:13]
.LBB993_356:
	s_or_b64 exec, exec, s[4:5]
	v_add_u32_e32 v22, v37, v42
	v_add_u32_e32 v23, v40, v41
	v_sub_u32_e32 v24, v22, v40
	v_cmp_le_u32_e32 vcc, v23, v37
	v_cmp_le_u32_e64 s[2:3], v24, v38
	s_or_b64 s[2:3], vcc, s[2:3]
	s_and_saveexec_b64 s[12:13], s[2:3]
	s_cbranch_execz .LBB993_424
; %bb.357:
	v_cmp_ge_u32_e32 vcc, v23, v37
	v_cmp_lt_u32_e64 s[2:3], v23, v37
                                        ; implicit-def: $vgpr2_vgpr3
	s_and_saveexec_b64 s[4:5], s[2:3]
; %bb.358:
	v_lshl_add_u32 v2, v40, 3, v39
	ds_read_b64 v[2:3], v2
; %bb.359:
	s_or_b64 exec, exec, s[4:5]
	v_cmp_ge_u32_e64 s[2:3], v24, v38
	v_cmp_lt_u32_e64 s[4:5], v24, v38
                                        ; implicit-def: $vgpr4_vgpr5
	s_and_saveexec_b64 s[26:27], s[4:5]
; %bb.360:
	v_lshl_add_u32 v4, v24, 3, v33
	ds_read_b64 v[4:5], v4
; %bb.361:
	s_or_b64 exec, exec, s[26:27]
	s_or_b64 s[4:5], vcc, s[2:3]
	s_nor_b64 s[30:31], s[4:5], s[10:11]
	s_xor_b64 s[4:5], vcc, -1
	s_or_b64 s[4:5], s[2:3], s[4:5]
	s_and_saveexec_b64 s[26:27], s[30:31]
	s_cbranch_execz .LBB993_367
; %bb.362:
	v_mov_b64_e32 v[8:9], s[22:23]
	s_waitcnt lgkmcnt(0)
	v_mad_u64_u32 v[6:7], s[2:3], v4, s20, v[8:9]
	v_mul_lo_u32 v10, v4, s21
	v_mul_lo_u32 v11, v5, s20
	v_add3_u32 v7, v11, v7, v10
	v_mad_u64_u32 v[8:9], s[2:3], v2, s20, v[8:9]
	v_mul_lo_u32 v10, v2, s21
	v_mul_lo_u32 v11, v3, s20
	v_add3_u32 v9, v11, v9, v10
	s_mov_b64 s[30:31], 0
	s_mov_b64 s[38:39], s[20:21]
                                        ; implicit-def: $sgpr34_sgpr35
                                        ; implicit-def: $sgpr36_sgpr37
                                        ; implicit-def: $sgpr2_sgpr3
                                        ; implicit-def: $sgpr40_sgpr41
	s_branch .LBB993_364
.LBB993_363:                            ;   in Loop: Header=BB993_364 Depth=1
	s_or_b64 exec, exec, s[44:45]
	s_and_b64 s[44:45], exec, s[36:37]
	s_or_b64 s[30:31], s[44:45], s[30:31]
	s_andn2_b64 s[40:41], s[40:41], exec
	s_and_b64 s[42:43], s[42:43], exec
	s_or_b64 s[40:41], s[40:41], s[42:43]
	s_andn2_b64 s[34:35], s[34:35], exec
	s_and_b64 s[42:43], s[2:3], exec
	s_or_b64 s[34:35], s[34:35], s[42:43]
	s_andn2_b64 exec, exec, s[30:31]
	s_cbranch_execz .LBB993_366
.LBB993_364:                            ; =>This Inner Loop Header: Depth=1
	global_load_ubyte v10, v[6:7], off
	global_load_ubyte v11, v[8:9], off
	s_andn2_b64 s[44:45], s[2:3], exec
	s_or_b64 s[36:37], s[36:37], exec
	s_waitcnt vmcnt(1)
	v_cmp_eq_u16_e32 vcc, 0, v10
	s_waitcnt vmcnt(0)
	v_cmp_ne_u16_e64 s[2:3], 0, v11
	s_or_b64 s[46:47], vcc, s[2:3]
	s_and_b64 s[42:43], vcc, s[2:3]
	s_xor_b64 s[48:49], vcc, s[2:3]
	s_and_b64 s[2:3], s[46:47], s[40:41]
	s_or_b64 s[42:43], s[42:43], s[2:3]
	s_and_b64 s[2:3], s[42:43], exec
	s_or_b64 s[2:3], s[44:45], s[2:3]
	s_and_saveexec_b64 s[44:45], s[48:49]
	s_cbranch_execz .LBB993_363
; %bb.365:                              ;   in Loop: Header=BB993_364 Depth=1
	s_add_u32 s38, s38, -1
	s_addc_u32 s39, s39, -1
	s_cmp_eq_u64 s[38:39], 0
	s_cselect_b64 s[40:41], -1, 0
	s_andn2_b64 s[36:37], s[36:37], exec
	s_and_b64 s[40:41], s[40:41], exec
	v_lshl_add_u64 v[6:7], v[6:7], 0, 1
	v_lshl_add_u64 v[8:9], v[8:9], 0, 1
	s_andn2_b64 s[2:3], s[2:3], exec
	s_or_b64 s[36:37], s[36:37], s[40:41]
                                        ; implicit-def: $sgpr40_sgpr41
	s_branch .LBB993_363
.LBB993_366:
	s_or_b64 exec, exec, s[30:31]
	s_xor_b64 s[2:3], s[34:35], -1
	s_andn2_b64 s[4:5], s[4:5], exec
	s_and_b64 s[2:3], s[2:3], exec
	s_or_b64 s[4:5], s[4:5], s[2:3]
.LBB993_367:
	s_or_b64 exec, exec, s[26:27]
	v_cndmask_b32_e64 v6, v24, v23, s[4:5]
	v_cndmask_b32_e64 v7, v38, v37, s[4:5]
	v_add_u32_e32 v8, 1, v6
	v_add_u32_e32 v6, -1, v7
	v_min_u32_e32 v6, v8, v6
	v_lshl_add_u32 v6, v6, 3, v33
	ds_read_b64 v[6:7], v6
	v_cndmask_b32_e64 v12, v8, v24, s[4:5]
	v_cndmask_b32_e64 v13, v23, v8, s[4:5]
	v_cmp_lt_u32_e32 vcc, v12, v38
	s_mov_b64 s[30:31], -1
	s_waitcnt lgkmcnt(0)
	v_cndmask_b32_e64 v14, v7, v5, s[4:5]
	v_cndmask_b32_e64 v15, v6, v4, s[4:5]
	;; [unrolled: 1-line block ×4, first 2 shown]
	s_mov_b64 s[26:27], -1
	s_and_saveexec_b64 s[34:35], vcc
	s_cbranch_execz .LBB993_375
; %bb.368:
	v_cmp_lt_u32_e64 s[26:27], v13, v37
	s_xor_b64 s[2:3], s[10:11], -1
	s_and_b64 s[2:3], s[26:27], s[2:3]
	s_and_saveexec_b64 s[36:37], s[2:3]
	s_cbranch_execz .LBB993_374
; %bb.369:
	v_mov_b64_e32 v[8:9], s[22:23]
	v_mad_u64_u32 v[6:7], s[2:3], v15, s20, v[8:9]
	v_mul_lo_u32 v10, v15, s21
	v_mul_lo_u32 v11, v14, s20
	v_add3_u32 v7, v11, v7, v10
	v_mad_u64_u32 v[8:9], s[2:3], v22, s20, v[8:9]
	v_mul_lo_u32 v10, v22, s21
	v_mul_lo_u32 v11, v16, s20
	v_add3_u32 v9, v11, v9, v10
	s_mov_b64 s[38:39], 0
	s_mov_b64 s[44:45], s[20:21]
                                        ; implicit-def: $sgpr40_sgpr41
                                        ; implicit-def: $sgpr42_sgpr43
                                        ; implicit-def: $sgpr2_sgpr3
                                        ; implicit-def: $sgpr46_sgpr47
	s_branch .LBB993_371
.LBB993_370:                            ;   in Loop: Header=BB993_371 Depth=1
	s_or_b64 exec, exec, s[50:51]
	s_and_b64 s[50:51], exec, s[42:43]
	s_or_b64 s[38:39], s[50:51], s[38:39]
	s_andn2_b64 s[46:47], s[46:47], exec
	s_and_b64 s[48:49], s[48:49], exec
	s_or_b64 s[46:47], s[46:47], s[48:49]
	s_andn2_b64 s[40:41], s[40:41], exec
	s_and_b64 s[48:49], s[2:3], exec
	s_or_b64 s[40:41], s[40:41], s[48:49]
	s_andn2_b64 exec, exec, s[38:39]
	s_cbranch_execz .LBB993_373
.LBB993_371:                            ; =>This Inner Loop Header: Depth=1
	global_load_ubyte v10, v[6:7], off
	global_load_ubyte v11, v[8:9], off
	s_andn2_b64 s[50:51], s[2:3], exec
	s_or_b64 s[42:43], s[42:43], exec
	s_waitcnt vmcnt(1)
	v_cmp_eq_u16_e32 vcc, 0, v10
	s_waitcnt vmcnt(0)
	v_cmp_ne_u16_e64 s[2:3], 0, v11
	s_or_b64 s[52:53], vcc, s[2:3]
	s_and_b64 s[48:49], vcc, s[2:3]
	s_xor_b64 s[54:55], vcc, s[2:3]
	s_and_b64 s[2:3], s[52:53], s[46:47]
	s_or_b64 s[48:49], s[48:49], s[2:3]
	s_and_b64 s[2:3], s[48:49], exec
	s_or_b64 s[2:3], s[50:51], s[2:3]
	s_and_saveexec_b64 s[50:51], s[54:55]
	s_cbranch_execz .LBB993_370
; %bb.372:                              ;   in Loop: Header=BB993_371 Depth=1
	s_add_u32 s44, s44, -1
	s_addc_u32 s45, s45, -1
	s_cmp_eq_u64 s[44:45], 0
	s_cselect_b64 s[46:47], -1, 0
	s_andn2_b64 s[42:43], s[42:43], exec
	s_and_b64 s[46:47], s[46:47], exec
	v_lshl_add_u64 v[6:7], v[6:7], 0, 1
	v_lshl_add_u64 v[8:9], v[8:9], 0, 1
	s_andn2_b64 s[2:3], s[2:3], exec
	s_or_b64 s[42:43], s[42:43], s[46:47]
                                        ; implicit-def: $sgpr46_sgpr47
	s_branch .LBB993_370
.LBB993_373:
	s_or_b64 exec, exec, s[38:39]
	s_xor_b64 s[2:3], s[40:41], -1
	s_andn2_b64 s[26:27], s[26:27], exec
	s_and_b64 s[2:3], s[2:3], exec
	s_or_b64 s[26:27], s[26:27], s[2:3]
.LBB993_374:
	s_or_b64 exec, exec, s[36:37]
	s_orn2_b64 s[26:27], s[26:27], exec
.LBB993_375:
	s_or_b64 exec, exec, s[34:35]
	v_cndmask_b32_e64 v6, v12, v13, s[26:27]
	v_cndmask_b32_e64 v7, v38, v37, s[26:27]
	v_add_u32_e32 v8, 1, v6
	v_add_u32_e32 v6, -1, v7
	v_min_u32_e32 v6, v8, v6
	v_lshl_add_u32 v6, v6, 3, v33
	ds_read_b64 v[6:7], v6
	v_cndmask_b32_e64 v39, v8, v12, s[26:27]
	v_cndmask_b32_e64 v40, v13, v8, s[26:27]
	v_cmp_lt_u32_e32 vcc, v39, v38
	s_waitcnt lgkmcnt(0)
	v_cndmask_b32_e64 v10, v7, v14, s[26:27]
	v_cndmask_b32_e64 v17, v6, v15, s[26:27]
	;; [unrolled: 1-line block ×4, first 2 shown]
	s_and_saveexec_b64 s[34:35], vcc
	s_cbranch_execz .LBB993_383
; %bb.376:
	v_cmp_lt_u32_e64 s[30:31], v40, v37
	s_xor_b64 s[2:3], s[10:11], -1
	s_and_b64 s[2:3], s[30:31], s[2:3]
	s_and_saveexec_b64 s[36:37], s[2:3]
	s_cbranch_execz .LBB993_382
; %bb.377:
	v_mov_b64_e32 v[8:9], s[22:23]
	v_mad_u64_u32 v[6:7], s[2:3], v17, s20, v[8:9]
	v_mul_lo_u32 v12, v17, s21
	v_mul_lo_u32 v13, v10, s20
	v_add3_u32 v7, v13, v7, v12
	v_mad_u64_u32 v[8:9], s[2:3], v23, s20, v[8:9]
	v_mul_lo_u32 v12, v23, s21
	v_mul_lo_u32 v13, v11, s20
	v_add3_u32 v9, v13, v9, v12
	s_mov_b64 s[38:39], 0
	s_mov_b64 s[44:45], s[20:21]
                                        ; implicit-def: $sgpr40_sgpr41
                                        ; implicit-def: $sgpr42_sgpr43
                                        ; implicit-def: $sgpr2_sgpr3
                                        ; implicit-def: $sgpr46_sgpr47
	s_branch .LBB993_379
.LBB993_378:                            ;   in Loop: Header=BB993_379 Depth=1
	s_or_b64 exec, exec, s[50:51]
	s_and_b64 s[50:51], exec, s[42:43]
	s_or_b64 s[38:39], s[50:51], s[38:39]
	s_andn2_b64 s[46:47], s[46:47], exec
	s_and_b64 s[48:49], s[48:49], exec
	s_or_b64 s[46:47], s[46:47], s[48:49]
	s_andn2_b64 s[40:41], s[40:41], exec
	s_and_b64 s[48:49], s[2:3], exec
	s_or_b64 s[40:41], s[40:41], s[48:49]
	s_andn2_b64 exec, exec, s[38:39]
	s_cbranch_execz .LBB993_381
.LBB993_379:                            ; =>This Inner Loop Header: Depth=1
	global_load_ubyte v12, v[6:7], off
	global_load_ubyte v13, v[8:9], off
	s_andn2_b64 s[50:51], s[2:3], exec
	s_or_b64 s[42:43], s[42:43], exec
	s_waitcnt vmcnt(1)
	v_cmp_eq_u16_e32 vcc, 0, v12
	s_waitcnt vmcnt(0)
	v_cmp_ne_u16_e64 s[2:3], 0, v13
	s_or_b64 s[52:53], vcc, s[2:3]
	s_and_b64 s[48:49], vcc, s[2:3]
	s_xor_b64 s[54:55], vcc, s[2:3]
	s_and_b64 s[2:3], s[52:53], s[46:47]
	s_or_b64 s[48:49], s[48:49], s[2:3]
	s_and_b64 s[2:3], s[48:49], exec
	s_or_b64 s[2:3], s[50:51], s[2:3]
	s_and_saveexec_b64 s[50:51], s[54:55]
	s_cbranch_execz .LBB993_378
; %bb.380:                              ;   in Loop: Header=BB993_379 Depth=1
	s_add_u32 s44, s44, -1
	s_addc_u32 s45, s45, -1
	s_cmp_eq_u64 s[44:45], 0
	s_cselect_b64 s[46:47], -1, 0
	s_andn2_b64 s[42:43], s[42:43], exec
	s_and_b64 s[46:47], s[46:47], exec
	v_lshl_add_u64 v[6:7], v[6:7], 0, 1
	v_lshl_add_u64 v[8:9], v[8:9], 0, 1
	s_andn2_b64 s[2:3], s[2:3], exec
	s_or_b64 s[42:43], s[42:43], s[46:47]
                                        ; implicit-def: $sgpr46_sgpr47
	s_branch .LBB993_378
.LBB993_381:
	s_or_b64 exec, exec, s[38:39]
	s_xor_b64 s[2:3], s[40:41], -1
	s_andn2_b64 s[30:31], s[30:31], exec
	s_and_b64 s[2:3], s[2:3], exec
	s_or_b64 s[30:31], s[30:31], s[2:3]
.LBB993_382:
	s_or_b64 exec, exec, s[36:37]
	s_orn2_b64 s[30:31], s[30:31], exec
.LBB993_383:
	s_or_b64 exec, exec, s[34:35]
	v_cndmask_b32_e64 v6, v39, v40, s[30:31]
	v_cndmask_b32_e64 v7, v38, v37, s[30:31]
	v_add_u32_e32 v8, 1, v6
	v_add_u32_e32 v6, -1, v7
	v_min_u32_e32 v6, v8, v6
	v_lshl_add_u32 v6, v6, 3, v33
	ds_read_b64 v[6:7], v6
	v_cndmask_b32_e64 v43, v8, v39, s[30:31]
	v_cndmask_b32_e64 v44, v40, v8, s[30:31]
	v_cmp_lt_u32_e32 vcc, v43, v38
	s_mov_b64 s[36:37], -1
	s_waitcnt lgkmcnt(0)
	v_cndmask_b32_e64 v12, v7, v10, s[30:31]
	v_cndmask_b32_e64 v24, v6, v17, s[30:31]
	;; [unrolled: 1-line block ×4, first 2 shown]
	s_mov_b64 s[34:35], -1
	s_and_saveexec_b64 s[38:39], vcc
	s_cbranch_execz .LBB993_391
; %bb.384:
	v_cmp_lt_u32_e64 s[34:35], v44, v37
	s_xor_b64 s[2:3], s[10:11], -1
	s_and_b64 s[2:3], s[34:35], s[2:3]
	s_and_saveexec_b64 s[40:41], s[2:3]
	s_cbranch_execz .LBB993_390
; %bb.385:
	v_mov_b64_e32 v[8:9], s[22:23]
	v_mad_u64_u32 v[6:7], s[2:3], v24, s20, v[8:9]
	v_mul_lo_u32 v39, v24, s21
	v_mul_lo_u32 v40, v12, s20
	v_add3_u32 v7, v40, v7, v39
	v_mad_u64_u32 v[8:9], s[2:3], v25, s20, v[8:9]
	v_mul_lo_u32 v39, v25, s21
	v_mul_lo_u32 v40, v13, s20
	v_add3_u32 v9, v40, v9, v39
	s_mov_b64 s[42:43], 0
	s_mov_b64 s[48:49], s[20:21]
                                        ; implicit-def: $sgpr44_sgpr45
                                        ; implicit-def: $sgpr46_sgpr47
                                        ; implicit-def: $sgpr2_sgpr3
                                        ; implicit-def: $sgpr50_sgpr51
	s_branch .LBB993_387
.LBB993_386:                            ;   in Loop: Header=BB993_387 Depth=1
	s_or_b64 exec, exec, s[54:55]
	s_and_b64 s[54:55], exec, s[46:47]
	s_or_b64 s[42:43], s[54:55], s[42:43]
	s_andn2_b64 s[50:51], s[50:51], exec
	s_and_b64 s[52:53], s[52:53], exec
	s_or_b64 s[50:51], s[50:51], s[52:53]
	s_andn2_b64 s[44:45], s[44:45], exec
	s_and_b64 s[52:53], s[2:3], exec
	s_or_b64 s[44:45], s[44:45], s[52:53]
	s_andn2_b64 exec, exec, s[42:43]
	s_cbranch_execz .LBB993_389
.LBB993_387:                            ; =>This Inner Loop Header: Depth=1
	global_load_ubyte v39, v[6:7], off
	global_load_ubyte v40, v[8:9], off
	s_andn2_b64 s[54:55], s[2:3], exec
	s_or_b64 s[46:47], s[46:47], exec
	s_waitcnt vmcnt(1)
	v_cmp_eq_u16_e32 vcc, 0, v39
	s_waitcnt vmcnt(0)
	v_cmp_ne_u16_e64 s[2:3], 0, v40
	s_or_b64 s[56:57], vcc, s[2:3]
	s_and_b64 s[52:53], vcc, s[2:3]
	s_xor_b64 s[58:59], vcc, s[2:3]
	s_and_b64 s[2:3], s[56:57], s[50:51]
	s_or_b64 s[52:53], s[52:53], s[2:3]
	s_and_b64 s[2:3], s[52:53], exec
	s_or_b64 s[2:3], s[54:55], s[2:3]
	s_and_saveexec_b64 s[54:55], s[58:59]
	s_cbranch_execz .LBB993_386
; %bb.388:                              ;   in Loop: Header=BB993_387 Depth=1
	s_add_u32 s48, s48, -1
	s_addc_u32 s49, s49, -1
	s_cmp_eq_u64 s[48:49], 0
	s_cselect_b64 s[50:51], -1, 0
	s_andn2_b64 s[46:47], s[46:47], exec
	s_and_b64 s[50:51], s[50:51], exec
	v_lshl_add_u64 v[6:7], v[6:7], 0, 1
	v_lshl_add_u64 v[8:9], v[8:9], 0, 1
	s_andn2_b64 s[2:3], s[2:3], exec
	s_or_b64 s[46:47], s[46:47], s[50:51]
                                        ; implicit-def: $sgpr50_sgpr51
	s_branch .LBB993_386
.LBB993_389:
	s_or_b64 exec, exec, s[42:43]
	s_xor_b64 s[2:3], s[44:45], -1
	s_andn2_b64 s[34:35], s[34:35], exec
	s_and_b64 s[2:3], s[2:3], exec
	s_or_b64 s[34:35], s[34:35], s[2:3]
.LBB993_390:
	s_or_b64 exec, exec, s[40:41]
	s_orn2_b64 s[34:35], s[34:35], exec
.LBB993_391:
	s_or_b64 exec, exec, s[38:39]
	v_cndmask_b32_e64 v6, v43, v44, s[34:35]
	v_cndmask_b32_e64 v7, v38, v37, s[34:35]
	v_add_u32_e32 v8, 1, v6
	v_add_u32_e32 v6, -1, v7
	v_min_u32_e32 v6, v8, v6
	v_lshl_add_u32 v6, v6, 3, v33
	ds_read_b64 v[6:7], v6
	v_cndmask_b32_e64 v47, v8, v43, s[34:35]
	v_cndmask_b32_e64 v48, v44, v8, s[34:35]
	v_cmp_lt_u32_e32 vcc, v47, v38
	s_waitcnt lgkmcnt(0)
	v_cndmask_b32_e64 v39, v7, v12, s[34:35]
	v_cndmask_b32_e64 v40, v6, v24, s[34:35]
	;; [unrolled: 1-line block ×4, first 2 shown]
	s_and_saveexec_b64 s[38:39], vcc
	s_cbranch_execz .LBB993_399
; %bb.392:
	v_cmp_lt_u32_e64 s[36:37], v48, v37
	s_xor_b64 s[2:3], s[10:11], -1
	s_and_b64 s[2:3], s[36:37], s[2:3]
	s_and_saveexec_b64 s[40:41], s[2:3]
	s_cbranch_execz .LBB993_398
; %bb.393:
	v_mov_b64_e32 v[8:9], s[22:23]
	v_mad_u64_u32 v[6:7], s[2:3], v40, s20, v[8:9]
	v_mul_lo_u32 v43, v40, s21
	v_mul_lo_u32 v44, v39, s20
	v_add3_u32 v7, v44, v7, v43
	v_mad_u64_u32 v[8:9], s[2:3], v42, s20, v[8:9]
	v_mul_lo_u32 v43, v42, s21
	v_mul_lo_u32 v44, v41, s20
	v_add3_u32 v9, v44, v9, v43
	s_mov_b64 s[42:43], 0
	s_mov_b64 s[48:49], s[20:21]
                                        ; implicit-def: $sgpr44_sgpr45
                                        ; implicit-def: $sgpr46_sgpr47
                                        ; implicit-def: $sgpr2_sgpr3
                                        ; implicit-def: $sgpr50_sgpr51
	s_branch .LBB993_395
.LBB993_394:                            ;   in Loop: Header=BB993_395 Depth=1
	s_or_b64 exec, exec, s[54:55]
	s_and_b64 s[54:55], exec, s[46:47]
	s_or_b64 s[42:43], s[54:55], s[42:43]
	s_andn2_b64 s[50:51], s[50:51], exec
	s_and_b64 s[52:53], s[52:53], exec
	s_or_b64 s[50:51], s[50:51], s[52:53]
	s_andn2_b64 s[44:45], s[44:45], exec
	s_and_b64 s[52:53], s[2:3], exec
	s_or_b64 s[44:45], s[44:45], s[52:53]
	s_andn2_b64 exec, exec, s[42:43]
	s_cbranch_execz .LBB993_397
.LBB993_395:                            ; =>This Inner Loop Header: Depth=1
	global_load_ubyte v43, v[6:7], off
	global_load_ubyte v44, v[8:9], off
	s_andn2_b64 s[54:55], s[2:3], exec
	s_or_b64 s[46:47], s[46:47], exec
	s_waitcnt vmcnt(1)
	v_cmp_eq_u16_e32 vcc, 0, v43
	s_waitcnt vmcnt(0)
	v_cmp_ne_u16_e64 s[2:3], 0, v44
	s_or_b64 s[56:57], vcc, s[2:3]
	s_and_b64 s[52:53], vcc, s[2:3]
	s_xor_b64 s[58:59], vcc, s[2:3]
	s_and_b64 s[2:3], s[56:57], s[50:51]
	s_or_b64 s[52:53], s[52:53], s[2:3]
	s_and_b64 s[2:3], s[52:53], exec
	s_or_b64 s[2:3], s[54:55], s[2:3]
	s_and_saveexec_b64 s[54:55], s[58:59]
	s_cbranch_execz .LBB993_394
; %bb.396:                              ;   in Loop: Header=BB993_395 Depth=1
	s_add_u32 s48, s48, -1
	s_addc_u32 s49, s49, -1
	s_cmp_eq_u64 s[48:49], 0
	s_cselect_b64 s[50:51], -1, 0
	s_andn2_b64 s[46:47], s[46:47], exec
	s_and_b64 s[50:51], s[50:51], exec
	v_lshl_add_u64 v[6:7], v[6:7], 0, 1
	v_lshl_add_u64 v[8:9], v[8:9], 0, 1
	s_andn2_b64 s[2:3], s[2:3], exec
	s_or_b64 s[46:47], s[46:47], s[50:51]
                                        ; implicit-def: $sgpr50_sgpr51
	s_branch .LBB993_394
.LBB993_397:
	s_or_b64 exec, exec, s[42:43]
	s_xor_b64 s[2:3], s[44:45], -1
	s_andn2_b64 s[36:37], s[36:37], exec
	s_and_b64 s[2:3], s[2:3], exec
	s_or_b64 s[36:37], s[36:37], s[2:3]
.LBB993_398:
	s_or_b64 exec, exec, s[40:41]
	s_orn2_b64 s[36:37], s[36:37], exec
.LBB993_399:
	s_or_b64 exec, exec, s[38:39]
	v_cndmask_b32_e64 v6, v47, v48, s[36:37]
	v_cndmask_b32_e64 v7, v38, v37, s[36:37]
	v_add_u32_e32 v8, 1, v6
	v_add_u32_e32 v6, -1, v7
	v_min_u32_e32 v6, v8, v6
	v_lshl_add_u32 v6, v6, 3, v33
	ds_read_b64 v[6:7], v6
	v_cndmask_b32_e64 v49, v8, v47, s[36:37]
	v_cndmask_b32_e64 v53, v48, v8, s[36:37]
	v_cmp_lt_u32_e32 vcc, v49, v38
	s_mov_b64 s[38:39], -1
	s_waitcnt lgkmcnt(0)
	v_cndmask_b32_e64 v43, v7, v39, s[36:37]
	v_cndmask_b32_e64 v44, v6, v40, s[36:37]
	;; [unrolled: 1-line block ×4, first 2 shown]
	s_mov_b64 s[40:41], -1
	s_and_saveexec_b64 s[42:43], vcc
	s_cbranch_execz .LBB993_407
; %bb.400:
	v_cmp_lt_u32_e64 s[40:41], v53, v37
	s_xor_b64 s[2:3], s[10:11], -1
	s_and_b64 s[2:3], s[40:41], s[2:3]
	s_and_saveexec_b64 s[44:45], s[2:3]
	s_cbranch_execz .LBB993_406
; %bb.401:
	v_mov_b64_e32 v[8:9], s[22:23]
	v_mad_u64_u32 v[6:7], s[2:3], v44, s20, v[8:9]
	v_mul_lo_u32 v47, v44, s21
	v_mul_lo_u32 v48, v43, s20
	v_add3_u32 v7, v48, v7, v47
	v_mad_u64_u32 v[8:9], s[2:3], v46, s20, v[8:9]
	v_mul_lo_u32 v47, v46, s21
	v_mul_lo_u32 v48, v45, s20
	v_add3_u32 v9, v48, v9, v47
	s_mov_b64 s[46:47], 0
	s_mov_b64 s[52:53], s[20:21]
                                        ; implicit-def: $sgpr48_sgpr49
                                        ; implicit-def: $sgpr50_sgpr51
                                        ; implicit-def: $sgpr2_sgpr3
                                        ; implicit-def: $sgpr54_sgpr55
	s_branch .LBB993_403
.LBB993_402:                            ;   in Loop: Header=BB993_403 Depth=1
	s_or_b64 exec, exec, s[58:59]
	s_and_b64 s[58:59], exec, s[50:51]
	s_or_b64 s[46:47], s[58:59], s[46:47]
	s_andn2_b64 s[54:55], s[54:55], exec
	s_and_b64 s[56:57], s[56:57], exec
	s_or_b64 s[54:55], s[54:55], s[56:57]
	s_andn2_b64 s[48:49], s[48:49], exec
	s_and_b64 s[56:57], s[2:3], exec
	s_or_b64 s[48:49], s[48:49], s[56:57]
	s_andn2_b64 exec, exec, s[46:47]
	s_cbranch_execz .LBB993_405
.LBB993_403:                            ; =>This Inner Loop Header: Depth=1
	global_load_ubyte v47, v[6:7], off
	global_load_ubyte v48, v[8:9], off
	s_andn2_b64 s[58:59], s[2:3], exec
	s_or_b64 s[50:51], s[50:51], exec
	s_waitcnt vmcnt(1)
	v_cmp_eq_u16_e32 vcc, 0, v47
	s_waitcnt vmcnt(0)
	v_cmp_ne_u16_e64 s[2:3], 0, v48
	s_or_b64 s[60:61], vcc, s[2:3]
	s_and_b64 s[56:57], vcc, s[2:3]
	s_xor_b64 s[62:63], vcc, s[2:3]
	s_and_b64 s[2:3], s[60:61], s[54:55]
	s_or_b64 s[56:57], s[56:57], s[2:3]
	s_and_b64 s[2:3], s[56:57], exec
	s_or_b64 s[2:3], s[58:59], s[2:3]
	s_and_saveexec_b64 s[58:59], s[62:63]
	s_cbranch_execz .LBB993_402
; %bb.404:                              ;   in Loop: Header=BB993_403 Depth=1
	s_add_u32 s52, s52, -1
	s_addc_u32 s53, s53, -1
	s_cmp_eq_u64 s[52:53], 0
	s_cselect_b64 s[54:55], -1, 0
	s_andn2_b64 s[50:51], s[50:51], exec
	s_and_b64 s[54:55], s[54:55], exec
	v_lshl_add_u64 v[6:7], v[6:7], 0, 1
	v_lshl_add_u64 v[8:9], v[8:9], 0, 1
	s_andn2_b64 s[2:3], s[2:3], exec
	s_or_b64 s[50:51], s[50:51], s[54:55]
                                        ; implicit-def: $sgpr54_sgpr55
	s_branch .LBB993_402
.LBB993_405:
	s_or_b64 exec, exec, s[46:47]
	s_xor_b64 s[2:3], s[48:49], -1
	s_andn2_b64 s[40:41], s[40:41], exec
	s_and_b64 s[2:3], s[2:3], exec
	s_or_b64 s[40:41], s[40:41], s[2:3]
.LBB993_406:
	s_or_b64 exec, exec, s[44:45]
	s_orn2_b64 s[40:41], s[40:41], exec
.LBB993_407:
	s_or_b64 exec, exec, s[42:43]
	v_cndmask_b32_e64 v6, v49, v53, s[40:41]
	v_cndmask_b32_e64 v7, v38, v37, s[40:41]
	v_add_u32_e32 v8, 1, v6
	v_add_u32_e32 v6, -1, v7
	v_min_u32_e32 v6, v8, v6
	v_lshl_add_u32 v6, v6, 3, v33
	ds_read_b64 v[6:7], v6
	v_cndmask_b32_e64 v50, v8, v49, s[40:41]
	v_cndmask_b32_e64 v49, v53, v8, s[40:41]
	v_cmp_lt_u32_e32 vcc, v50, v38
	s_waitcnt lgkmcnt(0)
	v_cndmask_b32_e64 v47, v7, v43, s[40:41]
	v_cndmask_b32_e64 v48, v6, v44, s[40:41]
	;; [unrolled: 1-line block ×4, first 2 shown]
	s_and_saveexec_b64 s[42:43], vcc
	s_cbranch_execz .LBB993_415
; %bb.408:
	v_cmp_lt_u32_e64 s[38:39], v49, v37
	s_xor_b64 s[2:3], s[10:11], -1
	s_and_b64 s[2:3], s[38:39], s[2:3]
	s_and_saveexec_b64 s[44:45], s[2:3]
	s_cbranch_execz .LBB993_414
; %bb.409:
	v_mov_b64_e32 v[8:9], s[22:23]
	v_mad_u64_u32 v[6:7], s[2:3], v48, s20, v[8:9]
	v_mul_lo_u32 v53, v48, s21
	v_mul_lo_u32 v54, v47, s20
	v_add3_u32 v7, v54, v7, v53
	v_mad_u64_u32 v[8:9], s[2:3], v52, s20, v[8:9]
	v_mul_lo_u32 v53, v52, s21
	v_mul_lo_u32 v54, v51, s20
	v_add3_u32 v9, v54, v9, v53
	s_mov_b64 s[46:47], 0
	s_mov_b64 s[52:53], s[20:21]
                                        ; implicit-def: $sgpr48_sgpr49
                                        ; implicit-def: $sgpr50_sgpr51
                                        ; implicit-def: $sgpr2_sgpr3
                                        ; implicit-def: $sgpr54_sgpr55
	s_branch .LBB993_411
.LBB993_410:                            ;   in Loop: Header=BB993_411 Depth=1
	s_or_b64 exec, exec, s[58:59]
	s_and_b64 s[58:59], exec, s[50:51]
	s_or_b64 s[46:47], s[58:59], s[46:47]
	s_andn2_b64 s[54:55], s[54:55], exec
	s_and_b64 s[56:57], s[56:57], exec
	s_or_b64 s[54:55], s[54:55], s[56:57]
	s_andn2_b64 s[48:49], s[48:49], exec
	s_and_b64 s[56:57], s[2:3], exec
	s_or_b64 s[48:49], s[48:49], s[56:57]
	s_andn2_b64 exec, exec, s[46:47]
	s_cbranch_execz .LBB993_413
.LBB993_411:                            ; =>This Inner Loop Header: Depth=1
	global_load_ubyte v53, v[6:7], off
	global_load_ubyte v54, v[8:9], off
	s_andn2_b64 s[58:59], s[2:3], exec
	s_or_b64 s[50:51], s[50:51], exec
	s_waitcnt vmcnt(1)
	v_cmp_eq_u16_e32 vcc, 0, v53
	s_waitcnt vmcnt(0)
	v_cmp_ne_u16_e64 s[2:3], 0, v54
	s_or_b64 s[60:61], vcc, s[2:3]
	s_and_b64 s[56:57], vcc, s[2:3]
	s_xor_b64 s[62:63], vcc, s[2:3]
	s_and_b64 s[2:3], s[60:61], s[54:55]
	s_or_b64 s[56:57], s[56:57], s[2:3]
	s_and_b64 s[2:3], s[56:57], exec
	s_or_b64 s[2:3], s[58:59], s[2:3]
	s_and_saveexec_b64 s[58:59], s[62:63]
	s_cbranch_execz .LBB993_410
; %bb.412:                              ;   in Loop: Header=BB993_411 Depth=1
	s_add_u32 s52, s52, -1
	s_addc_u32 s53, s53, -1
	s_cmp_eq_u64 s[52:53], 0
	s_cselect_b64 s[54:55], -1, 0
	s_andn2_b64 s[50:51], s[50:51], exec
	s_and_b64 s[54:55], s[54:55], exec
	v_lshl_add_u64 v[6:7], v[6:7], 0, 1
	v_lshl_add_u64 v[8:9], v[8:9], 0, 1
	s_andn2_b64 s[2:3], s[2:3], exec
	s_or_b64 s[50:51], s[50:51], s[54:55]
                                        ; implicit-def: $sgpr54_sgpr55
	s_branch .LBB993_410
.LBB993_413:
	s_or_b64 exec, exec, s[46:47]
	s_xor_b64 s[2:3], s[48:49], -1
	s_andn2_b64 s[38:39], s[38:39], exec
	s_and_b64 s[2:3], s[2:3], exec
	s_or_b64 s[38:39], s[38:39], s[2:3]
.LBB993_414:
	s_or_b64 exec, exec, s[44:45]
	s_orn2_b64 s[38:39], s[38:39], exec
.LBB993_415:
	s_or_b64 exec, exec, s[42:43]
	v_cndmask_b32_e64 v11, v10, v11, s[30:31]
	v_cndmask_b32_e64 v10, v17, v23, s[30:31]
	;; [unrolled: 1-line block ×8, first 2 shown]
	v_add_u32_e32 v24, 1, v14
	v_add_u32_e32 v14, -1, v15
	v_min_u32_e32 v14, v24, v14
	v_lshl_add_u32 v14, v14, 3, v33
	ds_read_b64 v[22:23], v14
	v_cndmask_b32_e64 v25, v24, v50, s[38:39]
	v_cndmask_b32_e64 v9, v43, v45, s[40:41]
	;; [unrolled: 1-line block ×9, first 2 shown]
	s_waitcnt lgkmcnt(0)
	v_cndmask_b32_e64 v5, v51, v23, s[38:39]
	v_cndmask_b32_e64 v4, v52, v22, s[38:39]
	v_cmp_lt_u32_e32 vcc, v25, v38
	s_and_saveexec_b64 s[4:5], vcc
	s_cbranch_execz .LBB993_423
; %bb.416:
	v_cndmask_b32_e64 v39, v22, v48, s[38:39]
	v_cndmask_b32_e64 v22, v49, v24, s[38:39]
	;; [unrolled: 1-line block ×3, first 2 shown]
	v_cmp_ge_u32_e32 vcc, v22, v37
	s_nor_b64 s[2:3], vcc, s[10:11]
	s_nop 0
	v_cndmask_b32_e32 v23, v5, v38, vcc
	v_cndmask_b32_e32 v22, v4, v39, vcc
	s_and_saveexec_b64 s[26:27], s[2:3]
	s_cbranch_execz .LBB993_422
; %bb.417:
	v_mov_b64_e32 v[24:25], s[22:23]
	v_mad_u64_u32 v[22:23], s[2:3], v39, s20, v[24:25]
	v_mul_lo_u32 v37, v39, s21
	v_mul_lo_u32 v40, v38, s20
	v_add3_u32 v23, v40, v23, v37
	v_mad_u64_u32 v[24:25], s[2:3], v4, s20, v[24:25]
	v_mul_lo_u32 v37, v4, s21
	v_mul_lo_u32 v40, v5, s20
	v_add3_u32 v25, v40, v25, v37
	s_mov_b64 s[30:31], 0
	s_mov_b64 s[38:39], s[20:21]
                                        ; implicit-def: $sgpr34_sgpr35
                                        ; implicit-def: $sgpr36_sgpr37
                                        ; implicit-def: $sgpr2_sgpr3
                                        ; implicit-def: $sgpr40_sgpr41
	s_branch .LBB993_419
.LBB993_418:                            ;   in Loop: Header=BB993_419 Depth=1
	s_or_b64 exec, exec, s[44:45]
	s_and_b64 s[44:45], exec, s[36:37]
	s_or_b64 s[30:31], s[44:45], s[30:31]
	s_andn2_b64 s[40:41], s[40:41], exec
	s_and_b64 s[42:43], s[42:43], exec
	s_or_b64 s[40:41], s[40:41], s[42:43]
	s_andn2_b64 s[34:35], s[34:35], exec
	s_and_b64 s[42:43], s[2:3], exec
	s_or_b64 s[34:35], s[34:35], s[42:43]
	s_andn2_b64 exec, exec, s[30:31]
	s_cbranch_execz .LBB993_421
.LBB993_419:                            ; =>This Inner Loop Header: Depth=1
	global_load_ubyte v37, v[22:23], off
	global_load_ubyte v40, v[24:25], off
	s_andn2_b64 s[44:45], s[2:3], exec
	s_or_b64 s[36:37], s[36:37], exec
	s_waitcnt vmcnt(1)
	v_cmp_eq_u16_e32 vcc, 0, v37
	s_waitcnt vmcnt(0)
	v_cmp_ne_u16_e64 s[2:3], 0, v40
	s_or_b64 s[46:47], vcc, s[2:3]
	s_and_b64 s[42:43], vcc, s[2:3]
	s_xor_b64 s[48:49], vcc, s[2:3]
	s_and_b64 s[2:3], s[46:47], s[40:41]
	s_or_b64 s[42:43], s[42:43], s[2:3]
	s_and_b64 s[2:3], s[42:43], exec
	s_or_b64 s[2:3], s[44:45], s[2:3]
	s_and_saveexec_b64 s[44:45], s[48:49]
	s_cbranch_execz .LBB993_418
; %bb.420:                              ;   in Loop: Header=BB993_419 Depth=1
	s_add_u32 s38, s38, -1
	s_addc_u32 s39, s39, -1
	s_cmp_eq_u64 s[38:39], 0
	s_cselect_b64 s[40:41], -1, 0
	s_andn2_b64 s[36:37], s[36:37], exec
	s_and_b64 s[40:41], s[40:41], exec
	v_lshl_add_u64 v[22:23], v[22:23], 0, 1
	v_lshl_add_u64 v[24:25], v[24:25], 0, 1
	s_andn2_b64 s[2:3], s[2:3], exec
	s_or_b64 s[36:37], s[36:37], s[40:41]
                                        ; implicit-def: $sgpr40_sgpr41
	s_branch .LBB993_418
.LBB993_421:
	s_or_b64 exec, exec, s[30:31]
	v_cndmask_b32_e64 v23, v5, v38, s[34:35]
	v_cndmask_b32_e64 v22, v4, v39, s[34:35]
.LBB993_422:
	s_or_b64 exec, exec, s[26:27]
	v_mov_b64_e32 v[4:5], v[22:23]
.LBB993_423:
	s_or_b64 exec, exec, s[4:5]
.LBB993_424:
	s_or_b64 exec, exec, s[12:13]
	v_and_b32_e32 v38, 0x380, v35
	v_or_b32_e32 v22, 64, v38
	; wave barrier
	ds_write_b128 v36, v[14:17]
	ds_write_b128 v36, v[10:13] offset:16
	ds_write_b128 v36, v[6:9] offset:32
	;; [unrolled: 1-line block ×3, first 2 shown]
	v_min_u32_e32 v36, v34, v22
	v_add_u32_e32 v22, 64, v36
	v_min_u32_e32 v37, v34, v22
	v_and_b32_e32 v22, 0x78, v35
	v_min_u32_e32 v39, v34, v22
	v_sub_u32_e32 v22, v36, v38
	v_sub_u32_e32 v23, v37, v36
	v_sub_u32_e64 v35, v39, v23 clamp
	v_min_u32_e32 v40, v39, v22
	v_lshl_add_u32 v34, v38, 3, v33
	v_cmp_lt_u32_e32 vcc, v35, v40
	; wave barrier
	s_and_saveexec_b64 s[4:5], vcc
	s_cbranch_execz .LBB993_434
; %bb.425:
	v_lshlrev_b32_e32 v22, 3, v36
	v_lshlrev_b32_e32 v23, 3, v39
	v_add3_u32 v41, v33, v22, v23
	s_mov_b64 s[12:13], 0
	s_branch .LBB993_428
.LBB993_426:                            ;   in Loop: Header=BB993_428 Depth=1
	s_or_b64 exec, exec, s[30:31]
.LBB993_427:                            ;   in Loop: Header=BB993_428 Depth=1
	v_add_u32_e32 v22, 1, v42
	v_cndmask_b32_e64 v40, v40, v42, s[26:27]
	v_cndmask_b32_e64 v35, v22, v35, s[26:27]
	v_cmp_ge_u32_e32 vcc, v35, v40
	s_or_b64 s[12:13], vcc, s[12:13]
	s_andn2_b64 exec, exec, s[12:13]
	s_cbranch_execz .LBB993_433
.LBB993_428:                            ; =>This Loop Header: Depth=1
                                        ;     Child Loop BB993_431 Depth 2
	v_add_u32_e32 v22, v40, v35
	v_lshrrev_b32_e32 v42, 1, v22
	s_and_b64 vcc, exec, s[0:1]
	s_mov_b64 s[26:27], 0
	s_cbranch_vccnz .LBB993_427
; %bb.429:                              ;   in Loop: Header=BB993_428 Depth=1
	v_not_b32_e32 v22, v42
	v_lshl_add_u32 v22, v22, 3, v41
	ds_read_b64 v[22:23], v22
	v_lshl_add_u32 v43, v42, 3, v34
	ds_read_b64 v[44:45], v43
	v_mov_b64_e32 v[24:25], s[22:23]
	s_mov_b64 s[30:31], 0
	s_waitcnt lgkmcnt(1)
	v_mul_lo_u32 v43, v22, s21
	v_mul_lo_u32 v46, v23, s20
	v_mad_u64_u32 v[22:23], s[2:3], v22, s20, v[24:25]
	v_add3_u32 v23, v46, v23, v43
	s_waitcnt lgkmcnt(0)
	v_mul_lo_u32 v43, v44, s21
	v_mul_lo_u32 v45, v45, s20
	v_mad_u64_u32 v[24:25], s[2:3], v44, s20, v[24:25]
	v_add3_u32 v25, v45, v25, v43
	s_mov_b64 s[36:37], s[20:21]
                                        ; implicit-def: $sgpr26_sgpr27
                                        ; implicit-def: $sgpr34_sgpr35
                                        ; implicit-def: $sgpr2_sgpr3
                                        ; implicit-def: $sgpr38_sgpr39
	s_branch .LBB993_431
.LBB993_430:                            ;   in Loop: Header=BB993_431 Depth=2
	s_or_b64 exec, exec, s[42:43]
	s_and_b64 s[42:43], exec, s[34:35]
	s_or_b64 s[30:31], s[42:43], s[30:31]
	s_andn2_b64 s[38:39], s[38:39], exec
	s_and_b64 s[40:41], s[40:41], exec
	s_or_b64 s[38:39], s[38:39], s[40:41]
	s_andn2_b64 s[26:27], s[26:27], exec
	s_and_b64 s[40:41], s[2:3], exec
	s_or_b64 s[26:27], s[26:27], s[40:41]
	s_andn2_b64 exec, exec, s[30:31]
	s_cbranch_execz .LBB993_426
.LBB993_431:                            ;   Parent Loop BB993_428 Depth=1
                                        ; =>  This Inner Loop Header: Depth=2
	global_load_ubyte v43, v[22:23], off
	global_load_ubyte v44, v[24:25], off
	s_andn2_b64 s[42:43], s[2:3], exec
	s_or_b64 s[34:35], s[34:35], exec
	s_waitcnt vmcnt(1)
	v_cmp_eq_u16_e32 vcc, 0, v43
	s_waitcnt vmcnt(0)
	v_cmp_ne_u16_e64 s[2:3], 0, v44
	s_or_b64 s[44:45], vcc, s[2:3]
	s_and_b64 s[40:41], vcc, s[2:3]
	s_xor_b64 s[46:47], vcc, s[2:3]
	s_and_b64 s[2:3], s[44:45], s[38:39]
	s_or_b64 s[40:41], s[40:41], s[2:3]
	s_and_b64 s[2:3], s[40:41], exec
	s_or_b64 s[2:3], s[42:43], s[2:3]
	s_and_saveexec_b64 s[42:43], s[46:47]
	s_cbranch_execz .LBB993_430
; %bb.432:                              ;   in Loop: Header=BB993_431 Depth=2
	s_add_u32 s36, s36, -1
	s_addc_u32 s37, s37, -1
	s_cmp_eq_u64 s[36:37], 0
	s_cselect_b64 s[38:39], -1, 0
	s_andn2_b64 s[34:35], s[34:35], exec
	s_and_b64 s[38:39], s[38:39], exec
	v_lshl_add_u64 v[22:23], v[22:23], 0, 1
	v_lshl_add_u64 v[24:25], v[24:25], 0, 1
	s_andn2_b64 s[2:3], s[2:3], exec
	s_or_b64 s[34:35], s[34:35], s[38:39]
                                        ; implicit-def: $sgpr38_sgpr39
	s_branch .LBB993_430
.LBB993_433:
	s_or_b64 exec, exec, s[12:13]
.LBB993_434:
	s_or_b64 exec, exec, s[4:5]
	v_add_u32_e32 v22, v36, v39
	v_add_u32_e32 v23, v35, v38
	v_sub_u32_e32 v24, v22, v35
	v_cmp_le_u32_e32 vcc, v23, v36
	v_cmp_le_u32_e64 s[2:3], v24, v37
	s_or_b64 s[2:3], vcc, s[2:3]
	s_and_saveexec_b64 s[12:13], s[2:3]
	s_cbranch_execz .LBB993_502
; %bb.435:
	v_cmp_ge_u32_e32 vcc, v23, v36
	v_cmp_lt_u32_e64 s[2:3], v23, v36
                                        ; implicit-def: $vgpr2_vgpr3
	s_and_saveexec_b64 s[4:5], s[2:3]
; %bb.436:
	v_lshl_add_u32 v2, v35, 3, v34
	ds_read_b64 v[2:3], v2
; %bb.437:
	s_or_b64 exec, exec, s[4:5]
	v_cmp_ge_u32_e64 s[2:3], v24, v37
	v_cmp_lt_u32_e64 s[4:5], v24, v37
                                        ; implicit-def: $vgpr4_vgpr5
	s_and_saveexec_b64 s[26:27], s[4:5]
; %bb.438:
	v_lshl_add_u32 v4, v24, 3, v33
	ds_read_b64 v[4:5], v4
; %bb.439:
	s_or_b64 exec, exec, s[26:27]
	s_or_b64 s[4:5], vcc, s[2:3]
	s_nor_b64 s[30:31], s[4:5], s[10:11]
	s_xor_b64 s[4:5], vcc, -1
	s_or_b64 s[4:5], s[2:3], s[4:5]
	s_and_saveexec_b64 s[26:27], s[30:31]
	s_cbranch_execz .LBB993_445
; %bb.440:
	v_mov_b64_e32 v[8:9], s[22:23]
	s_waitcnt lgkmcnt(0)
	v_mad_u64_u32 v[6:7], s[2:3], v4, s20, v[8:9]
	v_mul_lo_u32 v10, v4, s21
	v_mul_lo_u32 v11, v5, s20
	v_add3_u32 v7, v11, v7, v10
	v_mad_u64_u32 v[8:9], s[2:3], v2, s20, v[8:9]
	v_mul_lo_u32 v10, v2, s21
	v_mul_lo_u32 v11, v3, s20
	v_add3_u32 v9, v11, v9, v10
	s_mov_b64 s[30:31], 0
	s_mov_b64 s[38:39], s[20:21]
                                        ; implicit-def: $sgpr34_sgpr35
                                        ; implicit-def: $sgpr36_sgpr37
                                        ; implicit-def: $sgpr2_sgpr3
                                        ; implicit-def: $sgpr40_sgpr41
	s_branch .LBB993_442
.LBB993_441:                            ;   in Loop: Header=BB993_442 Depth=1
	s_or_b64 exec, exec, s[44:45]
	s_and_b64 s[44:45], exec, s[36:37]
	s_or_b64 s[30:31], s[44:45], s[30:31]
	s_andn2_b64 s[40:41], s[40:41], exec
	s_and_b64 s[42:43], s[42:43], exec
	s_or_b64 s[40:41], s[40:41], s[42:43]
	s_andn2_b64 s[34:35], s[34:35], exec
	s_and_b64 s[42:43], s[2:3], exec
	s_or_b64 s[34:35], s[34:35], s[42:43]
	s_andn2_b64 exec, exec, s[30:31]
	s_cbranch_execz .LBB993_444
.LBB993_442:                            ; =>This Inner Loop Header: Depth=1
	global_load_ubyte v10, v[6:7], off
	global_load_ubyte v11, v[8:9], off
	s_andn2_b64 s[44:45], s[2:3], exec
	s_or_b64 s[36:37], s[36:37], exec
	s_waitcnt vmcnt(1)
	v_cmp_eq_u16_e32 vcc, 0, v10
	s_waitcnt vmcnt(0)
	v_cmp_ne_u16_e64 s[2:3], 0, v11
	s_or_b64 s[46:47], vcc, s[2:3]
	s_and_b64 s[42:43], vcc, s[2:3]
	s_xor_b64 s[48:49], vcc, s[2:3]
	s_and_b64 s[2:3], s[46:47], s[40:41]
	s_or_b64 s[42:43], s[42:43], s[2:3]
	s_and_b64 s[2:3], s[42:43], exec
	s_or_b64 s[2:3], s[44:45], s[2:3]
	s_and_saveexec_b64 s[44:45], s[48:49]
	s_cbranch_execz .LBB993_441
; %bb.443:                              ;   in Loop: Header=BB993_442 Depth=1
	s_add_u32 s38, s38, -1
	s_addc_u32 s39, s39, -1
	s_cmp_eq_u64 s[38:39], 0
	s_cselect_b64 s[40:41], -1, 0
	s_andn2_b64 s[36:37], s[36:37], exec
	s_and_b64 s[40:41], s[40:41], exec
	v_lshl_add_u64 v[6:7], v[6:7], 0, 1
	v_lshl_add_u64 v[8:9], v[8:9], 0, 1
	s_andn2_b64 s[2:3], s[2:3], exec
	s_or_b64 s[36:37], s[36:37], s[40:41]
                                        ; implicit-def: $sgpr40_sgpr41
	s_branch .LBB993_441
.LBB993_444:
	s_or_b64 exec, exec, s[30:31]
	s_xor_b64 s[2:3], s[34:35], -1
	s_andn2_b64 s[4:5], s[4:5], exec
	s_and_b64 s[2:3], s[2:3], exec
	s_or_b64 s[4:5], s[4:5], s[2:3]
.LBB993_445:
	s_or_b64 exec, exec, s[26:27]
	v_cndmask_b32_e64 v6, v24, v23, s[4:5]
	v_cndmask_b32_e64 v7, v37, v36, s[4:5]
	v_add_u32_e32 v8, 1, v6
	v_add_u32_e32 v6, -1, v7
	v_min_u32_e32 v6, v8, v6
	v_lshl_add_u32 v6, v6, 3, v33
	ds_read_b64 v[6:7], v6
	v_cndmask_b32_e64 v12, v8, v24, s[4:5]
	v_cndmask_b32_e64 v13, v23, v8, s[4:5]
	v_cmp_lt_u32_e32 vcc, v12, v37
	s_mov_b64 s[30:31], -1
	s_waitcnt lgkmcnt(0)
	v_cndmask_b32_e64 v14, v7, v5, s[4:5]
	v_cndmask_b32_e64 v15, v6, v4, s[4:5]
	;; [unrolled: 1-line block ×4, first 2 shown]
	s_mov_b64 s[26:27], -1
	s_and_saveexec_b64 s[34:35], vcc
	s_cbranch_execz .LBB993_453
; %bb.446:
	v_cmp_lt_u32_e64 s[26:27], v13, v36
	s_xor_b64 s[2:3], s[10:11], -1
	s_and_b64 s[2:3], s[26:27], s[2:3]
	s_and_saveexec_b64 s[36:37], s[2:3]
	s_cbranch_execz .LBB993_452
; %bb.447:
	v_mov_b64_e32 v[8:9], s[22:23]
	v_mad_u64_u32 v[6:7], s[2:3], v15, s20, v[8:9]
	v_mul_lo_u32 v10, v15, s21
	v_mul_lo_u32 v11, v14, s20
	v_add3_u32 v7, v11, v7, v10
	v_mad_u64_u32 v[8:9], s[2:3], v22, s20, v[8:9]
	v_mul_lo_u32 v10, v22, s21
	v_mul_lo_u32 v11, v16, s20
	v_add3_u32 v9, v11, v9, v10
	s_mov_b64 s[38:39], 0
	s_mov_b64 s[44:45], s[20:21]
                                        ; implicit-def: $sgpr40_sgpr41
                                        ; implicit-def: $sgpr42_sgpr43
                                        ; implicit-def: $sgpr2_sgpr3
                                        ; implicit-def: $sgpr46_sgpr47
	s_branch .LBB993_449
.LBB993_448:                            ;   in Loop: Header=BB993_449 Depth=1
	s_or_b64 exec, exec, s[50:51]
	s_and_b64 s[50:51], exec, s[42:43]
	s_or_b64 s[38:39], s[50:51], s[38:39]
	s_andn2_b64 s[46:47], s[46:47], exec
	s_and_b64 s[48:49], s[48:49], exec
	s_or_b64 s[46:47], s[46:47], s[48:49]
	s_andn2_b64 s[40:41], s[40:41], exec
	s_and_b64 s[48:49], s[2:3], exec
	s_or_b64 s[40:41], s[40:41], s[48:49]
	s_andn2_b64 exec, exec, s[38:39]
	s_cbranch_execz .LBB993_451
.LBB993_449:                            ; =>This Inner Loop Header: Depth=1
	global_load_ubyte v10, v[6:7], off
	global_load_ubyte v11, v[8:9], off
	s_andn2_b64 s[50:51], s[2:3], exec
	s_or_b64 s[42:43], s[42:43], exec
	s_waitcnt vmcnt(1)
	v_cmp_eq_u16_e32 vcc, 0, v10
	s_waitcnt vmcnt(0)
	v_cmp_ne_u16_e64 s[2:3], 0, v11
	s_or_b64 s[52:53], vcc, s[2:3]
	s_and_b64 s[48:49], vcc, s[2:3]
	s_xor_b64 s[54:55], vcc, s[2:3]
	s_and_b64 s[2:3], s[52:53], s[46:47]
	s_or_b64 s[48:49], s[48:49], s[2:3]
	s_and_b64 s[2:3], s[48:49], exec
	s_or_b64 s[2:3], s[50:51], s[2:3]
	s_and_saveexec_b64 s[50:51], s[54:55]
	s_cbranch_execz .LBB993_448
; %bb.450:                              ;   in Loop: Header=BB993_449 Depth=1
	s_add_u32 s44, s44, -1
	s_addc_u32 s45, s45, -1
	s_cmp_eq_u64 s[44:45], 0
	s_cselect_b64 s[46:47], -1, 0
	s_andn2_b64 s[42:43], s[42:43], exec
	s_and_b64 s[46:47], s[46:47], exec
	v_lshl_add_u64 v[6:7], v[6:7], 0, 1
	v_lshl_add_u64 v[8:9], v[8:9], 0, 1
	s_andn2_b64 s[2:3], s[2:3], exec
	s_or_b64 s[42:43], s[42:43], s[46:47]
                                        ; implicit-def: $sgpr46_sgpr47
	s_branch .LBB993_448
.LBB993_451:
	s_or_b64 exec, exec, s[38:39]
	s_xor_b64 s[2:3], s[40:41], -1
	s_andn2_b64 s[26:27], s[26:27], exec
	s_and_b64 s[2:3], s[2:3], exec
	s_or_b64 s[26:27], s[26:27], s[2:3]
.LBB993_452:
	s_or_b64 exec, exec, s[36:37]
	s_orn2_b64 s[26:27], s[26:27], exec
.LBB993_453:
	s_or_b64 exec, exec, s[34:35]
	v_cndmask_b32_e64 v6, v12, v13, s[26:27]
	v_cndmask_b32_e64 v7, v37, v36, s[26:27]
	v_add_u32_e32 v8, 1, v6
	v_add_u32_e32 v6, -1, v7
	v_min_u32_e32 v6, v8, v6
	v_lshl_add_u32 v6, v6, 3, v33
	ds_read_b64 v[6:7], v6
	v_cndmask_b32_e64 v34, v8, v12, s[26:27]
	v_cndmask_b32_e64 v35, v13, v8, s[26:27]
	v_cmp_lt_u32_e32 vcc, v34, v37
	s_waitcnt lgkmcnt(0)
	v_cndmask_b32_e64 v10, v7, v14, s[26:27]
	v_cndmask_b32_e64 v17, v6, v15, s[26:27]
	;; [unrolled: 1-line block ×4, first 2 shown]
	s_and_saveexec_b64 s[34:35], vcc
	s_cbranch_execz .LBB993_461
; %bb.454:
	v_cmp_lt_u32_e64 s[30:31], v35, v36
	s_xor_b64 s[2:3], s[10:11], -1
	s_and_b64 s[2:3], s[30:31], s[2:3]
	s_and_saveexec_b64 s[36:37], s[2:3]
	s_cbranch_execz .LBB993_460
; %bb.455:
	v_mov_b64_e32 v[8:9], s[22:23]
	v_mad_u64_u32 v[6:7], s[2:3], v17, s20, v[8:9]
	v_mul_lo_u32 v12, v17, s21
	v_mul_lo_u32 v13, v10, s20
	v_add3_u32 v7, v13, v7, v12
	v_mad_u64_u32 v[8:9], s[2:3], v23, s20, v[8:9]
	v_mul_lo_u32 v12, v23, s21
	v_mul_lo_u32 v13, v11, s20
	v_add3_u32 v9, v13, v9, v12
	s_mov_b64 s[38:39], 0
	s_mov_b64 s[44:45], s[20:21]
                                        ; implicit-def: $sgpr40_sgpr41
                                        ; implicit-def: $sgpr42_sgpr43
                                        ; implicit-def: $sgpr2_sgpr3
                                        ; implicit-def: $sgpr46_sgpr47
	s_branch .LBB993_457
.LBB993_456:                            ;   in Loop: Header=BB993_457 Depth=1
	s_or_b64 exec, exec, s[50:51]
	s_and_b64 s[50:51], exec, s[42:43]
	s_or_b64 s[38:39], s[50:51], s[38:39]
	s_andn2_b64 s[46:47], s[46:47], exec
	s_and_b64 s[48:49], s[48:49], exec
	s_or_b64 s[46:47], s[46:47], s[48:49]
	s_andn2_b64 s[40:41], s[40:41], exec
	s_and_b64 s[48:49], s[2:3], exec
	s_or_b64 s[40:41], s[40:41], s[48:49]
	s_andn2_b64 exec, exec, s[38:39]
	s_cbranch_execz .LBB993_459
.LBB993_457:                            ; =>This Inner Loop Header: Depth=1
	global_load_ubyte v12, v[6:7], off
	global_load_ubyte v13, v[8:9], off
	s_andn2_b64 s[50:51], s[2:3], exec
	s_or_b64 s[42:43], s[42:43], exec
	s_waitcnt vmcnt(1)
	v_cmp_eq_u16_e32 vcc, 0, v12
	s_waitcnt vmcnt(0)
	v_cmp_ne_u16_e64 s[2:3], 0, v13
	s_or_b64 s[52:53], vcc, s[2:3]
	s_and_b64 s[48:49], vcc, s[2:3]
	s_xor_b64 s[54:55], vcc, s[2:3]
	s_and_b64 s[2:3], s[52:53], s[46:47]
	s_or_b64 s[48:49], s[48:49], s[2:3]
	s_and_b64 s[2:3], s[48:49], exec
	s_or_b64 s[2:3], s[50:51], s[2:3]
	s_and_saveexec_b64 s[50:51], s[54:55]
	s_cbranch_execz .LBB993_456
; %bb.458:                              ;   in Loop: Header=BB993_457 Depth=1
	s_add_u32 s44, s44, -1
	s_addc_u32 s45, s45, -1
	s_cmp_eq_u64 s[44:45], 0
	s_cselect_b64 s[46:47], -1, 0
	s_andn2_b64 s[42:43], s[42:43], exec
	s_and_b64 s[46:47], s[46:47], exec
	v_lshl_add_u64 v[6:7], v[6:7], 0, 1
	v_lshl_add_u64 v[8:9], v[8:9], 0, 1
	s_andn2_b64 s[2:3], s[2:3], exec
	s_or_b64 s[42:43], s[42:43], s[46:47]
                                        ; implicit-def: $sgpr46_sgpr47
	s_branch .LBB993_456
.LBB993_459:
	s_or_b64 exec, exec, s[38:39]
	s_xor_b64 s[2:3], s[40:41], -1
	s_andn2_b64 s[30:31], s[30:31], exec
	s_and_b64 s[2:3], s[2:3], exec
	s_or_b64 s[30:31], s[30:31], s[2:3]
.LBB993_460:
	s_or_b64 exec, exec, s[36:37]
	s_orn2_b64 s[30:31], s[30:31], exec
.LBB993_461:
	s_or_b64 exec, exec, s[34:35]
	v_cndmask_b32_e64 v6, v34, v35, s[30:31]
	v_cndmask_b32_e64 v7, v37, v36, s[30:31]
	v_add_u32_e32 v8, 1, v6
	v_add_u32_e32 v6, -1, v7
	v_min_u32_e32 v6, v8, v6
	v_lshl_add_u32 v6, v6, 3, v33
	ds_read_b64 v[6:7], v6
	v_cndmask_b32_e64 v40, v8, v34, s[30:31]
	v_cndmask_b32_e64 v41, v35, v8, s[30:31]
	v_cmp_lt_u32_e32 vcc, v40, v37
	s_mov_b64 s[36:37], -1
	s_waitcnt lgkmcnt(0)
	v_cndmask_b32_e64 v12, v7, v10, s[30:31]
	v_cndmask_b32_e64 v24, v6, v17, s[30:31]
	;; [unrolled: 1-line block ×4, first 2 shown]
	s_mov_b64 s[34:35], -1
	s_and_saveexec_b64 s[38:39], vcc
	s_cbranch_execz .LBB993_469
; %bb.462:
	v_cmp_lt_u32_e64 s[34:35], v41, v36
	s_xor_b64 s[2:3], s[10:11], -1
	s_and_b64 s[2:3], s[34:35], s[2:3]
	s_and_saveexec_b64 s[40:41], s[2:3]
	s_cbranch_execz .LBB993_468
; %bb.463:
	v_mov_b64_e32 v[8:9], s[22:23]
	v_mad_u64_u32 v[6:7], s[2:3], v24, s20, v[8:9]
	v_mul_lo_u32 v34, v24, s21
	v_mul_lo_u32 v35, v12, s20
	v_add3_u32 v7, v35, v7, v34
	v_mad_u64_u32 v[8:9], s[2:3], v25, s20, v[8:9]
	v_mul_lo_u32 v34, v25, s21
	v_mul_lo_u32 v35, v13, s20
	v_add3_u32 v9, v35, v9, v34
	s_mov_b64 s[42:43], 0
	s_mov_b64 s[48:49], s[20:21]
                                        ; implicit-def: $sgpr44_sgpr45
                                        ; implicit-def: $sgpr46_sgpr47
                                        ; implicit-def: $sgpr2_sgpr3
                                        ; implicit-def: $sgpr50_sgpr51
	s_branch .LBB993_465
.LBB993_464:                            ;   in Loop: Header=BB993_465 Depth=1
	s_or_b64 exec, exec, s[54:55]
	s_and_b64 s[54:55], exec, s[46:47]
	s_or_b64 s[42:43], s[54:55], s[42:43]
	s_andn2_b64 s[50:51], s[50:51], exec
	s_and_b64 s[52:53], s[52:53], exec
	s_or_b64 s[50:51], s[50:51], s[52:53]
	s_andn2_b64 s[44:45], s[44:45], exec
	s_and_b64 s[52:53], s[2:3], exec
	s_or_b64 s[44:45], s[44:45], s[52:53]
	s_andn2_b64 exec, exec, s[42:43]
	s_cbranch_execz .LBB993_467
.LBB993_465:                            ; =>This Inner Loop Header: Depth=1
	global_load_ubyte v34, v[6:7], off
	global_load_ubyte v35, v[8:9], off
	s_andn2_b64 s[54:55], s[2:3], exec
	s_or_b64 s[46:47], s[46:47], exec
	s_waitcnt vmcnt(1)
	v_cmp_eq_u16_e32 vcc, 0, v34
	s_waitcnt vmcnt(0)
	v_cmp_ne_u16_e64 s[2:3], 0, v35
	s_or_b64 s[56:57], vcc, s[2:3]
	s_and_b64 s[52:53], vcc, s[2:3]
	s_xor_b64 s[58:59], vcc, s[2:3]
	s_and_b64 s[2:3], s[56:57], s[50:51]
	s_or_b64 s[52:53], s[52:53], s[2:3]
	s_and_b64 s[2:3], s[52:53], exec
	s_or_b64 s[2:3], s[54:55], s[2:3]
	s_and_saveexec_b64 s[54:55], s[58:59]
	s_cbranch_execz .LBB993_464
; %bb.466:                              ;   in Loop: Header=BB993_465 Depth=1
	s_add_u32 s48, s48, -1
	s_addc_u32 s49, s49, -1
	s_cmp_eq_u64 s[48:49], 0
	s_cselect_b64 s[50:51], -1, 0
	s_andn2_b64 s[46:47], s[46:47], exec
	s_and_b64 s[50:51], s[50:51], exec
	v_lshl_add_u64 v[6:7], v[6:7], 0, 1
	v_lshl_add_u64 v[8:9], v[8:9], 0, 1
	s_andn2_b64 s[2:3], s[2:3], exec
	s_or_b64 s[46:47], s[46:47], s[50:51]
                                        ; implicit-def: $sgpr50_sgpr51
	s_branch .LBB993_464
.LBB993_467:
	s_or_b64 exec, exec, s[42:43]
	s_xor_b64 s[2:3], s[44:45], -1
	s_andn2_b64 s[34:35], s[34:35], exec
	s_and_b64 s[2:3], s[2:3], exec
	s_or_b64 s[34:35], s[34:35], s[2:3]
.LBB993_468:
	s_or_b64 exec, exec, s[40:41]
	s_orn2_b64 s[34:35], s[34:35], exec
.LBB993_469:
	s_or_b64 exec, exec, s[38:39]
	v_cndmask_b32_e64 v6, v40, v41, s[34:35]
	v_cndmask_b32_e64 v7, v37, v36, s[34:35]
	v_add_u32_e32 v8, 1, v6
	v_add_u32_e32 v6, -1, v7
	v_min_u32_e32 v6, v8, v6
	v_lshl_add_u32 v6, v6, 3, v33
	ds_read_b64 v[6:7], v6
	v_cndmask_b32_e64 v44, v8, v40, s[34:35]
	v_cndmask_b32_e64 v45, v41, v8, s[34:35]
	v_cmp_lt_u32_e32 vcc, v44, v37
	s_waitcnt lgkmcnt(0)
	v_cndmask_b32_e64 v34, v7, v12, s[34:35]
	v_cndmask_b32_e64 v35, v6, v24, s[34:35]
	;; [unrolled: 1-line block ×4, first 2 shown]
	s_and_saveexec_b64 s[38:39], vcc
	s_cbranch_execz .LBB993_477
; %bb.470:
	v_cmp_lt_u32_e64 s[36:37], v45, v36
	s_xor_b64 s[2:3], s[10:11], -1
	s_and_b64 s[2:3], s[36:37], s[2:3]
	s_and_saveexec_b64 s[40:41], s[2:3]
	s_cbranch_execz .LBB993_476
; %bb.471:
	v_mov_b64_e32 v[8:9], s[22:23]
	v_mad_u64_u32 v[6:7], s[2:3], v35, s20, v[8:9]
	v_mul_lo_u32 v40, v35, s21
	v_mul_lo_u32 v41, v34, s20
	v_add3_u32 v7, v41, v7, v40
	v_mad_u64_u32 v[8:9], s[2:3], v39, s20, v[8:9]
	v_mul_lo_u32 v40, v39, s21
	v_mul_lo_u32 v41, v38, s20
	v_add3_u32 v9, v41, v9, v40
	s_mov_b64 s[42:43], 0
	s_mov_b64 s[48:49], s[20:21]
                                        ; implicit-def: $sgpr44_sgpr45
                                        ; implicit-def: $sgpr46_sgpr47
                                        ; implicit-def: $sgpr2_sgpr3
                                        ; implicit-def: $sgpr50_sgpr51
	s_branch .LBB993_473
.LBB993_472:                            ;   in Loop: Header=BB993_473 Depth=1
	s_or_b64 exec, exec, s[54:55]
	s_and_b64 s[54:55], exec, s[46:47]
	s_or_b64 s[42:43], s[54:55], s[42:43]
	s_andn2_b64 s[50:51], s[50:51], exec
	s_and_b64 s[52:53], s[52:53], exec
	s_or_b64 s[50:51], s[50:51], s[52:53]
	s_andn2_b64 s[44:45], s[44:45], exec
	s_and_b64 s[52:53], s[2:3], exec
	s_or_b64 s[44:45], s[44:45], s[52:53]
	s_andn2_b64 exec, exec, s[42:43]
	s_cbranch_execz .LBB993_475
.LBB993_473:                            ; =>This Inner Loop Header: Depth=1
	global_load_ubyte v40, v[6:7], off
	global_load_ubyte v41, v[8:9], off
	s_andn2_b64 s[54:55], s[2:3], exec
	s_or_b64 s[46:47], s[46:47], exec
	s_waitcnt vmcnt(1)
	v_cmp_eq_u16_e32 vcc, 0, v40
	s_waitcnt vmcnt(0)
	v_cmp_ne_u16_e64 s[2:3], 0, v41
	s_or_b64 s[56:57], vcc, s[2:3]
	s_and_b64 s[52:53], vcc, s[2:3]
	s_xor_b64 s[58:59], vcc, s[2:3]
	s_and_b64 s[2:3], s[56:57], s[50:51]
	s_or_b64 s[52:53], s[52:53], s[2:3]
	s_and_b64 s[2:3], s[52:53], exec
	s_or_b64 s[2:3], s[54:55], s[2:3]
	s_and_saveexec_b64 s[54:55], s[58:59]
	s_cbranch_execz .LBB993_472
; %bb.474:                              ;   in Loop: Header=BB993_473 Depth=1
	s_add_u32 s48, s48, -1
	s_addc_u32 s49, s49, -1
	s_cmp_eq_u64 s[48:49], 0
	s_cselect_b64 s[50:51], -1, 0
	s_andn2_b64 s[46:47], s[46:47], exec
	s_and_b64 s[50:51], s[50:51], exec
	v_lshl_add_u64 v[6:7], v[6:7], 0, 1
	v_lshl_add_u64 v[8:9], v[8:9], 0, 1
	s_andn2_b64 s[2:3], s[2:3], exec
	s_or_b64 s[46:47], s[46:47], s[50:51]
                                        ; implicit-def: $sgpr50_sgpr51
	s_branch .LBB993_472
.LBB993_475:
	s_or_b64 exec, exec, s[42:43]
	s_xor_b64 s[2:3], s[44:45], -1
	s_andn2_b64 s[36:37], s[36:37], exec
	s_and_b64 s[2:3], s[2:3], exec
	s_or_b64 s[36:37], s[36:37], s[2:3]
.LBB993_476:
	s_or_b64 exec, exec, s[40:41]
	s_orn2_b64 s[36:37], s[36:37], exec
.LBB993_477:
	s_or_b64 exec, exec, s[38:39]
	v_cndmask_b32_e64 v6, v44, v45, s[36:37]
	v_cndmask_b32_e64 v7, v37, v36, s[36:37]
	v_add_u32_e32 v8, 1, v6
	v_add_u32_e32 v6, -1, v7
	v_min_u32_e32 v6, v8, v6
	v_lshl_add_u32 v6, v6, 3, v33
	ds_read_b64 v[6:7], v6
	v_cndmask_b32_e64 v46, v8, v44, s[36:37]
	v_cndmask_b32_e64 v50, v45, v8, s[36:37]
	v_cmp_lt_u32_e32 vcc, v46, v37
	s_mov_b64 s[38:39], -1
	s_waitcnt lgkmcnt(0)
	v_cndmask_b32_e64 v40, v7, v34, s[36:37]
	v_cndmask_b32_e64 v41, v6, v35, s[36:37]
	;; [unrolled: 1-line block ×4, first 2 shown]
	s_mov_b64 s[40:41], -1
	s_and_saveexec_b64 s[42:43], vcc
	s_cbranch_execz .LBB993_485
; %bb.478:
	v_cmp_lt_u32_e64 s[40:41], v50, v36
	s_xor_b64 s[2:3], s[10:11], -1
	s_and_b64 s[2:3], s[40:41], s[2:3]
	s_and_saveexec_b64 s[44:45], s[2:3]
	s_cbranch_execz .LBB993_484
; %bb.479:
	v_mov_b64_e32 v[8:9], s[22:23]
	v_mad_u64_u32 v[6:7], s[2:3], v41, s20, v[8:9]
	v_mul_lo_u32 v44, v41, s21
	v_mul_lo_u32 v45, v40, s20
	v_add3_u32 v7, v45, v7, v44
	v_mad_u64_u32 v[8:9], s[2:3], v43, s20, v[8:9]
	v_mul_lo_u32 v44, v43, s21
	v_mul_lo_u32 v45, v42, s20
	v_add3_u32 v9, v45, v9, v44
	s_mov_b64 s[46:47], 0
	s_mov_b64 s[52:53], s[20:21]
                                        ; implicit-def: $sgpr48_sgpr49
                                        ; implicit-def: $sgpr50_sgpr51
                                        ; implicit-def: $sgpr2_sgpr3
                                        ; implicit-def: $sgpr54_sgpr55
	s_branch .LBB993_481
.LBB993_480:                            ;   in Loop: Header=BB993_481 Depth=1
	s_or_b64 exec, exec, s[58:59]
	s_and_b64 s[58:59], exec, s[50:51]
	s_or_b64 s[46:47], s[58:59], s[46:47]
	s_andn2_b64 s[54:55], s[54:55], exec
	s_and_b64 s[56:57], s[56:57], exec
	s_or_b64 s[54:55], s[54:55], s[56:57]
	s_andn2_b64 s[48:49], s[48:49], exec
	s_and_b64 s[56:57], s[2:3], exec
	s_or_b64 s[48:49], s[48:49], s[56:57]
	s_andn2_b64 exec, exec, s[46:47]
	s_cbranch_execz .LBB993_483
.LBB993_481:                            ; =>This Inner Loop Header: Depth=1
	global_load_ubyte v44, v[6:7], off
	global_load_ubyte v45, v[8:9], off
	s_andn2_b64 s[58:59], s[2:3], exec
	s_or_b64 s[50:51], s[50:51], exec
	s_waitcnt vmcnt(1)
	v_cmp_eq_u16_e32 vcc, 0, v44
	s_waitcnt vmcnt(0)
	v_cmp_ne_u16_e64 s[2:3], 0, v45
	s_or_b64 s[60:61], vcc, s[2:3]
	s_and_b64 s[56:57], vcc, s[2:3]
	s_xor_b64 s[62:63], vcc, s[2:3]
	s_and_b64 s[2:3], s[60:61], s[54:55]
	s_or_b64 s[56:57], s[56:57], s[2:3]
	s_and_b64 s[2:3], s[56:57], exec
	s_or_b64 s[2:3], s[58:59], s[2:3]
	s_and_saveexec_b64 s[58:59], s[62:63]
	s_cbranch_execz .LBB993_480
; %bb.482:                              ;   in Loop: Header=BB993_481 Depth=1
	s_add_u32 s52, s52, -1
	s_addc_u32 s53, s53, -1
	s_cmp_eq_u64 s[52:53], 0
	s_cselect_b64 s[54:55], -1, 0
	s_andn2_b64 s[50:51], s[50:51], exec
	s_and_b64 s[54:55], s[54:55], exec
	v_lshl_add_u64 v[6:7], v[6:7], 0, 1
	v_lshl_add_u64 v[8:9], v[8:9], 0, 1
	s_andn2_b64 s[2:3], s[2:3], exec
	s_or_b64 s[50:51], s[50:51], s[54:55]
                                        ; implicit-def: $sgpr54_sgpr55
	s_branch .LBB993_480
.LBB993_483:
	s_or_b64 exec, exec, s[46:47]
	s_xor_b64 s[2:3], s[48:49], -1
	s_andn2_b64 s[40:41], s[40:41], exec
	s_and_b64 s[2:3], s[2:3], exec
	s_or_b64 s[40:41], s[40:41], s[2:3]
.LBB993_484:
	s_or_b64 exec, exec, s[44:45]
	s_orn2_b64 s[40:41], s[40:41], exec
.LBB993_485:
	s_or_b64 exec, exec, s[42:43]
	v_cndmask_b32_e64 v6, v46, v50, s[40:41]
	v_cndmask_b32_e64 v7, v37, v36, s[40:41]
	v_add_u32_e32 v8, 1, v6
	v_add_u32_e32 v6, -1, v7
	v_min_u32_e32 v6, v8, v6
	v_lshl_add_u32 v6, v6, 3, v33
	ds_read_b64 v[6:7], v6
	v_cndmask_b32_e64 v47, v8, v46, s[40:41]
	v_cndmask_b32_e64 v46, v50, v8, s[40:41]
	v_cmp_lt_u32_e32 vcc, v47, v37
	s_waitcnt lgkmcnt(0)
	v_cndmask_b32_e64 v44, v7, v40, s[40:41]
	v_cndmask_b32_e64 v45, v6, v41, s[40:41]
	;; [unrolled: 1-line block ×4, first 2 shown]
	s_and_saveexec_b64 s[42:43], vcc
	s_cbranch_execz .LBB993_493
; %bb.486:
	v_cmp_lt_u32_e64 s[38:39], v46, v36
	s_xor_b64 s[2:3], s[10:11], -1
	s_and_b64 s[2:3], s[38:39], s[2:3]
	s_and_saveexec_b64 s[44:45], s[2:3]
	s_cbranch_execz .LBB993_492
; %bb.487:
	v_mov_b64_e32 v[8:9], s[22:23]
	v_mad_u64_u32 v[6:7], s[2:3], v45, s20, v[8:9]
	v_mul_lo_u32 v50, v45, s21
	v_mul_lo_u32 v51, v44, s20
	v_add3_u32 v7, v51, v7, v50
	v_mad_u64_u32 v[8:9], s[2:3], v49, s20, v[8:9]
	v_mul_lo_u32 v50, v49, s21
	v_mul_lo_u32 v51, v48, s20
	v_add3_u32 v9, v51, v9, v50
	s_mov_b64 s[46:47], 0
	s_mov_b64 s[52:53], s[20:21]
                                        ; implicit-def: $sgpr48_sgpr49
                                        ; implicit-def: $sgpr50_sgpr51
                                        ; implicit-def: $sgpr2_sgpr3
                                        ; implicit-def: $sgpr54_sgpr55
	s_branch .LBB993_489
.LBB993_488:                            ;   in Loop: Header=BB993_489 Depth=1
	s_or_b64 exec, exec, s[58:59]
	s_and_b64 s[58:59], exec, s[50:51]
	s_or_b64 s[46:47], s[58:59], s[46:47]
	s_andn2_b64 s[54:55], s[54:55], exec
	s_and_b64 s[56:57], s[56:57], exec
	s_or_b64 s[54:55], s[54:55], s[56:57]
	s_andn2_b64 s[48:49], s[48:49], exec
	s_and_b64 s[56:57], s[2:3], exec
	s_or_b64 s[48:49], s[48:49], s[56:57]
	s_andn2_b64 exec, exec, s[46:47]
	s_cbranch_execz .LBB993_491
.LBB993_489:                            ; =>This Inner Loop Header: Depth=1
	global_load_ubyte v50, v[6:7], off
	global_load_ubyte v51, v[8:9], off
	s_andn2_b64 s[58:59], s[2:3], exec
	s_or_b64 s[50:51], s[50:51], exec
	s_waitcnt vmcnt(1)
	v_cmp_eq_u16_e32 vcc, 0, v50
	s_waitcnt vmcnt(0)
	v_cmp_ne_u16_e64 s[2:3], 0, v51
	s_or_b64 s[60:61], vcc, s[2:3]
	s_and_b64 s[56:57], vcc, s[2:3]
	s_xor_b64 s[62:63], vcc, s[2:3]
	s_and_b64 s[2:3], s[60:61], s[54:55]
	s_or_b64 s[56:57], s[56:57], s[2:3]
	s_and_b64 s[2:3], s[56:57], exec
	s_or_b64 s[2:3], s[58:59], s[2:3]
	s_and_saveexec_b64 s[58:59], s[62:63]
	s_cbranch_execz .LBB993_488
; %bb.490:                              ;   in Loop: Header=BB993_489 Depth=1
	s_add_u32 s52, s52, -1
	s_addc_u32 s53, s53, -1
	s_cmp_eq_u64 s[52:53], 0
	s_cselect_b64 s[54:55], -1, 0
	s_andn2_b64 s[50:51], s[50:51], exec
	s_and_b64 s[54:55], s[54:55], exec
	v_lshl_add_u64 v[6:7], v[6:7], 0, 1
	v_lshl_add_u64 v[8:9], v[8:9], 0, 1
	s_andn2_b64 s[2:3], s[2:3], exec
	s_or_b64 s[50:51], s[50:51], s[54:55]
                                        ; implicit-def: $sgpr54_sgpr55
	s_branch .LBB993_488
.LBB993_491:
	s_or_b64 exec, exec, s[46:47]
	s_xor_b64 s[2:3], s[48:49], -1
	s_andn2_b64 s[38:39], s[38:39], exec
	s_and_b64 s[2:3], s[2:3], exec
	s_or_b64 s[38:39], s[38:39], s[2:3]
.LBB993_492:
	s_or_b64 exec, exec, s[44:45]
	s_orn2_b64 s[38:39], s[38:39], exec
.LBB993_493:
	s_or_b64 exec, exec, s[42:43]
	v_cndmask_b32_e64 v11, v10, v11, s[30:31]
	v_cndmask_b32_e64 v10, v17, v23, s[30:31]
	;; [unrolled: 1-line block ×8, first 2 shown]
	v_add_u32_e32 v24, 1, v14
	v_add_u32_e32 v14, -1, v15
	v_min_u32_e32 v14, v24, v14
	v_lshl_add_u32 v14, v14, 3, v33
	ds_read_b64 v[22:23], v14
	v_cndmask_b32_e64 v25, v24, v47, s[38:39]
	v_cndmask_b32_e64 v9, v40, v42, s[40:41]
	;; [unrolled: 1-line block ×9, first 2 shown]
	s_waitcnt lgkmcnt(0)
	v_cndmask_b32_e64 v5, v48, v23, s[38:39]
	v_cndmask_b32_e64 v4, v49, v22, s[38:39]
	v_cmp_lt_u32_e32 vcc, v25, v37
	s_and_saveexec_b64 s[4:5], vcc
	s_cbranch_execz .LBB993_501
; %bb.494:
	v_cndmask_b32_e64 v34, v22, v45, s[38:39]
	v_cndmask_b32_e64 v22, v46, v24, s[38:39]
	;; [unrolled: 1-line block ×3, first 2 shown]
	v_cmp_ge_u32_e32 vcc, v22, v36
	s_nor_b64 s[2:3], vcc, s[10:11]
	s_nop 0
	v_cndmask_b32_e32 v23, v5, v33, vcc
	v_cndmask_b32_e32 v22, v4, v34, vcc
	s_and_saveexec_b64 s[26:27], s[2:3]
	s_cbranch_execz .LBB993_500
; %bb.495:
	v_mov_b64_e32 v[24:25], s[22:23]
	v_mad_u64_u32 v[22:23], s[2:3], v34, s20, v[24:25]
	v_mul_lo_u32 v35, v34, s21
	v_mul_lo_u32 v36, v33, s20
	v_add3_u32 v23, v36, v23, v35
	v_mad_u64_u32 v[24:25], s[2:3], v4, s20, v[24:25]
	v_mul_lo_u32 v35, v4, s21
	v_mul_lo_u32 v36, v5, s20
	v_add3_u32 v25, v36, v25, v35
	s_mov_b64 s[30:31], 0
	s_mov_b64 s[38:39], s[20:21]
                                        ; implicit-def: $sgpr34_sgpr35
                                        ; implicit-def: $sgpr36_sgpr37
                                        ; implicit-def: $sgpr2_sgpr3
                                        ; implicit-def: $sgpr40_sgpr41
	s_branch .LBB993_497
.LBB993_496:                            ;   in Loop: Header=BB993_497 Depth=1
	s_or_b64 exec, exec, s[44:45]
	s_and_b64 s[44:45], exec, s[36:37]
	s_or_b64 s[30:31], s[44:45], s[30:31]
	s_andn2_b64 s[40:41], s[40:41], exec
	s_and_b64 s[42:43], s[42:43], exec
	s_or_b64 s[40:41], s[40:41], s[42:43]
	s_andn2_b64 s[34:35], s[34:35], exec
	s_and_b64 s[42:43], s[2:3], exec
	s_or_b64 s[34:35], s[34:35], s[42:43]
	s_andn2_b64 exec, exec, s[30:31]
	s_cbranch_execz .LBB993_499
.LBB993_497:                            ; =>This Inner Loop Header: Depth=1
	global_load_ubyte v35, v[22:23], off
	global_load_ubyte v36, v[24:25], off
	s_andn2_b64 s[44:45], s[2:3], exec
	s_or_b64 s[36:37], s[36:37], exec
	s_waitcnt vmcnt(1)
	v_cmp_eq_u16_e32 vcc, 0, v35
	s_waitcnt vmcnt(0)
	v_cmp_ne_u16_e64 s[2:3], 0, v36
	s_or_b64 s[46:47], vcc, s[2:3]
	s_and_b64 s[42:43], vcc, s[2:3]
	s_xor_b64 s[48:49], vcc, s[2:3]
	s_and_b64 s[2:3], s[46:47], s[40:41]
	s_or_b64 s[42:43], s[42:43], s[2:3]
	s_and_b64 s[2:3], s[42:43], exec
	s_or_b64 s[2:3], s[44:45], s[2:3]
	s_and_saveexec_b64 s[44:45], s[48:49]
	s_cbranch_execz .LBB993_496
; %bb.498:                              ;   in Loop: Header=BB993_497 Depth=1
	s_add_u32 s38, s38, -1
	s_addc_u32 s39, s39, -1
	s_cmp_eq_u64 s[38:39], 0
	s_cselect_b64 s[40:41], -1, 0
	s_andn2_b64 s[36:37], s[36:37], exec
	s_and_b64 s[40:41], s[40:41], exec
	v_lshl_add_u64 v[22:23], v[22:23], 0, 1
	v_lshl_add_u64 v[24:25], v[24:25], 0, 1
	s_andn2_b64 s[2:3], s[2:3], exec
	s_or_b64 s[36:37], s[36:37], s[40:41]
                                        ; implicit-def: $sgpr40_sgpr41
	s_branch .LBB993_496
.LBB993_499:
	s_or_b64 exec, exec, s[30:31]
	v_cndmask_b32_e64 v23, v5, v33, s[34:35]
	v_cndmask_b32_e64 v22, v4, v34, s[34:35]
.LBB993_500:
	s_or_b64 exec, exec, s[26:27]
	v_mov_b64_e32 v[4:5], v[22:23]
.LBB993_501:
	s_or_b64 exec, exec, s[4:5]
.LBB993_502:
	s_or_b64 exec, exec, s[12:13]
	v_lshlrev_b32_e32 v33, 3, v20
	s_movk_i32 s9, 0x80
	; wave barrier
	s_waitcnt lgkmcnt(0)
	s_barrier
.LBB993_503:                            ; =>This Loop Header: Depth=1
                                        ;     Child Loop BB993_507 Depth 2
                                        ;       Child Loop BB993_510 Depth 3
                                        ;     Child Loop BB993_521 Depth 2
                                        ;     Child Loop BB993_528 Depth 2
	;; [unrolled: 1-line block ×8, first 2 shown]
	s_lshl_b32 s15, s9, 1
	s_sub_i32 s3, 0, s15
	v_and_b32_e32 v38, s3, v20
	v_add_u32_e32 v22, s9, v38
	v_min_u32_e32 v34, 0x800, v22
	s_add_i32 s2, s15, -1
	v_add_u32_e32 v22, s9, v34
	v_min_u32_e32 v35, 0x800, v22
	v_and_b32_e32 v22, s2, v20
	v_min_u32_e32 v39, 0x800, v22
	v_sub_u32_e32 v22, v34, v38
	v_sub_u32_e32 v23, v35, v34
	v_sub_u32_e64 v37, v39, v23 clamp
	v_min_u32_e32 v40, v39, v22
	v_lshlrev_b32_e32 v36, 3, v38
	v_cmp_lt_u32_e32 vcc, v37, v40
	ds_write_b128 v33, v[14:17]
	ds_write_b128 v33, v[10:13] offset:16
	ds_write_b128 v33, v[6:9] offset:32
	;; [unrolled: 1-line block ×3, first 2 shown]
	s_waitcnt lgkmcnt(0)
	s_barrier
	s_and_saveexec_b64 s[4:5], vcc
	s_cbranch_execz .LBB993_513
; %bb.504:                              ;   in Loop: Header=BB993_503 Depth=1
	v_lshlrev_b32_e32 v22, 3, v39
	v_lshl_add_u32 v41, v34, 3, v22
	s_mov_b64 s[12:13], 0
	s_branch .LBB993_507
.LBB993_505:                            ;   in Loop: Header=BB993_507 Depth=2
	s_or_b64 exec, exec, s[30:31]
.LBB993_506:                            ;   in Loop: Header=BB993_507 Depth=2
	v_add_u32_e32 v22, 1, v42
	v_cndmask_b32_e64 v40, v40, v42, s[26:27]
	v_cndmask_b32_e64 v37, v22, v37, s[26:27]
	v_cmp_ge_u32_e32 vcc, v37, v40
	s_or_b64 s[12:13], vcc, s[12:13]
	s_andn2_b64 exec, exec, s[12:13]
	s_cbranch_execz .LBB993_512
.LBB993_507:                            ;   Parent Loop BB993_503 Depth=1
                                        ; =>  This Loop Header: Depth=2
                                        ;       Child Loop BB993_510 Depth 3
	v_add_u32_e32 v22, v40, v37
	v_lshrrev_b32_e32 v42, 1, v22
	s_and_b64 vcc, exec, s[0:1]
	s_mov_b64 s[26:27], 0
	s_cbranch_vccnz .LBB993_506
; %bb.508:                              ;   in Loop: Header=BB993_507 Depth=2
	v_not_b32_e32 v22, v42
	v_lshl_add_u32 v22, v22, 3, v41
	ds_read_b64 v[22:23], v22
	v_lshl_add_u32 v43, v42, 3, v36
	ds_read_b64 v[44:45], v43
	v_mov_b64_e32 v[24:25], s[22:23]
	s_mov_b64 s[30:31], 0
	s_waitcnt lgkmcnt(1)
	v_mul_lo_u32 v43, v22, s21
	v_mul_lo_u32 v46, v23, s20
	v_mad_u64_u32 v[22:23], s[2:3], v22, s20, v[24:25]
	v_add3_u32 v23, v46, v23, v43
	s_waitcnt lgkmcnt(0)
	v_mul_lo_u32 v43, v44, s21
	v_mul_lo_u32 v45, v45, s20
	v_mad_u64_u32 v[24:25], s[2:3], v44, s20, v[24:25]
	v_add3_u32 v25, v45, v25, v43
	s_mov_b64 s[36:37], s[20:21]
                                        ; implicit-def: $sgpr26_sgpr27
                                        ; implicit-def: $sgpr34_sgpr35
                                        ; implicit-def: $sgpr2_sgpr3
                                        ; implicit-def: $sgpr38_sgpr39
	s_branch .LBB993_510
.LBB993_509:                            ;   in Loop: Header=BB993_510 Depth=3
	s_or_b64 exec, exec, s[42:43]
	s_and_b64 s[42:43], exec, s[34:35]
	s_or_b64 s[30:31], s[42:43], s[30:31]
	s_andn2_b64 s[38:39], s[38:39], exec
	s_and_b64 s[40:41], s[40:41], exec
	s_or_b64 s[38:39], s[38:39], s[40:41]
	s_andn2_b64 s[26:27], s[26:27], exec
	s_and_b64 s[40:41], s[2:3], exec
	s_or_b64 s[26:27], s[26:27], s[40:41]
	s_andn2_b64 exec, exec, s[30:31]
	s_cbranch_execz .LBB993_505
.LBB993_510:                            ;   Parent Loop BB993_503 Depth=1
                                        ;     Parent Loop BB993_507 Depth=2
                                        ; =>    This Inner Loop Header: Depth=3
	global_load_ubyte v43, v[22:23], off
	global_load_ubyte v44, v[24:25], off
	s_andn2_b64 s[42:43], s[2:3], exec
	s_or_b64 s[34:35], s[34:35], exec
	s_waitcnt vmcnt(1)
	v_cmp_eq_u16_e32 vcc, 0, v43
	s_waitcnt vmcnt(0)
	v_cmp_ne_u16_e64 s[2:3], 0, v44
	s_or_b64 s[44:45], vcc, s[2:3]
	s_and_b64 s[40:41], vcc, s[2:3]
	s_xor_b64 s[46:47], vcc, s[2:3]
	s_and_b64 s[2:3], s[44:45], s[38:39]
	s_or_b64 s[40:41], s[40:41], s[2:3]
	s_and_b64 s[2:3], s[40:41], exec
	s_or_b64 s[2:3], s[42:43], s[2:3]
	s_and_saveexec_b64 s[42:43], s[46:47]
	s_cbranch_execz .LBB993_509
; %bb.511:                              ;   in Loop: Header=BB993_510 Depth=3
	s_add_u32 s36, s36, -1
	s_addc_u32 s37, s37, -1
	s_cmp_eq_u64 s[36:37], 0
	s_cselect_b64 s[38:39], -1, 0
	s_andn2_b64 s[34:35], s[34:35], exec
	s_and_b64 s[38:39], s[38:39], exec
	v_lshl_add_u64 v[22:23], v[22:23], 0, 1
	v_lshl_add_u64 v[24:25], v[24:25], 0, 1
	s_andn2_b64 s[2:3], s[2:3], exec
	s_or_b64 s[34:35], s[34:35], s[38:39]
                                        ; implicit-def: $sgpr38_sgpr39
	s_branch .LBB993_509
.LBB993_512:                            ;   in Loop: Header=BB993_503 Depth=1
	s_or_b64 exec, exec, s[12:13]
.LBB993_513:                            ;   in Loop: Header=BB993_503 Depth=1
	s_or_b64 exec, exec, s[4:5]
	v_sub_u32_e32 v22, v39, v37
	v_add_u32_e32 v24, v37, v38
	v_add_u32_e32 v25, v22, v34
	v_cmp_le_u32_e32 vcc, v24, v34
	v_cmp_le_u32_e64 s[2:3], v25, v35
	s_or_b64 s[2:3], vcc, s[2:3]
	s_and_saveexec_b64 s[12:13], s[2:3]
	s_cbranch_execz .LBB993_581
; %bb.514:                              ;   in Loop: Header=BB993_503 Depth=1
	v_cmp_ge_u32_e32 vcc, v24, v34
	v_cmp_lt_u32_e64 s[2:3], v24, v34
                                        ; implicit-def: $vgpr2_vgpr3
	s_and_saveexec_b64 s[4:5], s[2:3]
; %bb.515:                              ;   in Loop: Header=BB993_503 Depth=1
	v_lshl_add_u32 v2, v37, 3, v36
	ds_read_b64 v[2:3], v2
; %bb.516:                              ;   in Loop: Header=BB993_503 Depth=1
	s_or_b64 exec, exec, s[4:5]
	v_cmp_ge_u32_e64 s[2:3], v25, v35
	v_cmp_lt_u32_e64 s[4:5], v25, v35
                                        ; implicit-def: $vgpr14_vgpr15
	s_and_saveexec_b64 s[26:27], s[4:5]
; %bb.517:                              ;   in Loop: Header=BB993_503 Depth=1
	v_lshlrev_b32_e32 v4, 3, v25
	ds_read_b64 v[14:15], v4
; %bb.518:                              ;   in Loop: Header=BB993_503 Depth=1
	s_or_b64 exec, exec, s[26:27]
	s_or_b64 s[4:5], vcc, s[2:3]
	s_nor_b64 s[30:31], s[4:5], s[10:11]
	s_xor_b64 s[4:5], vcc, -1
	s_or_b64 s[4:5], s[2:3], s[4:5]
	s_and_saveexec_b64 s[26:27], s[30:31]
	s_cbranch_execz .LBB993_524
; %bb.519:                              ;   in Loop: Header=BB993_503 Depth=1
	v_mov_b64_e32 v[6:7], s[22:23]
	s_waitcnt lgkmcnt(0)
	v_mad_u64_u32 v[4:5], s[2:3], v14, s20, v[6:7]
	v_mul_lo_u32 v8, v14, s21
	v_mul_lo_u32 v9, v15, s20
	v_add3_u32 v5, v9, v5, v8
	v_mad_u64_u32 v[6:7], s[2:3], v2, s20, v[6:7]
	v_mul_lo_u32 v8, v2, s21
	v_mul_lo_u32 v9, v3, s20
	v_add3_u32 v7, v9, v7, v8
	s_mov_b64 s[30:31], 0
	s_mov_b64 s[38:39], s[20:21]
                                        ; implicit-def: $sgpr34_sgpr35
                                        ; implicit-def: $sgpr36_sgpr37
                                        ; implicit-def: $sgpr2_sgpr3
                                        ; implicit-def: $sgpr40_sgpr41
	s_branch .LBB993_521
.LBB993_520:                            ;   in Loop: Header=BB993_521 Depth=2
	s_or_b64 exec, exec, s[44:45]
	s_and_b64 s[44:45], exec, s[36:37]
	s_or_b64 s[30:31], s[44:45], s[30:31]
	s_andn2_b64 s[40:41], s[40:41], exec
	s_and_b64 s[42:43], s[42:43], exec
	s_or_b64 s[40:41], s[40:41], s[42:43]
	s_andn2_b64 s[34:35], s[34:35], exec
	s_and_b64 s[42:43], s[2:3], exec
	s_or_b64 s[34:35], s[34:35], s[42:43]
	s_andn2_b64 exec, exec, s[30:31]
	s_cbranch_execz .LBB993_523
.LBB993_521:                            ;   Parent Loop BB993_503 Depth=1
                                        ; =>  This Inner Loop Header: Depth=2
	global_load_ubyte v8, v[4:5], off
	global_load_ubyte v9, v[6:7], off
	s_andn2_b64 s[44:45], s[2:3], exec
	s_or_b64 s[36:37], s[36:37], exec
	s_waitcnt vmcnt(1)
	v_cmp_eq_u16_e32 vcc, 0, v8
	s_waitcnt vmcnt(0)
	v_cmp_ne_u16_e64 s[2:3], 0, v9
	s_or_b64 s[46:47], vcc, s[2:3]
	s_and_b64 s[42:43], vcc, s[2:3]
	s_xor_b64 s[48:49], vcc, s[2:3]
	s_and_b64 s[2:3], s[46:47], s[40:41]
	s_or_b64 s[42:43], s[42:43], s[2:3]
	s_and_b64 s[2:3], s[42:43], exec
	s_or_b64 s[2:3], s[44:45], s[2:3]
	s_and_saveexec_b64 s[44:45], s[48:49]
	s_cbranch_execz .LBB993_520
; %bb.522:                              ;   in Loop: Header=BB993_521 Depth=2
	s_add_u32 s38, s38, -1
	s_addc_u32 s39, s39, -1
	s_cmp_eq_u64 s[38:39], 0
	s_cselect_b64 s[40:41], -1, 0
	s_andn2_b64 s[36:37], s[36:37], exec
	s_and_b64 s[40:41], s[40:41], exec
	v_lshl_add_u64 v[4:5], v[4:5], 0, 1
	v_lshl_add_u64 v[6:7], v[6:7], 0, 1
	s_andn2_b64 s[2:3], s[2:3], exec
	s_or_b64 s[36:37], s[36:37], s[40:41]
                                        ; implicit-def: $sgpr40_sgpr41
	s_branch .LBB993_520
.LBB993_523:                            ;   in Loop: Header=BB993_503 Depth=1
	s_or_b64 exec, exec, s[30:31]
	s_xor_b64 s[2:3], s[34:35], -1
	s_andn2_b64 s[4:5], s[4:5], exec
	s_and_b64 s[2:3], s[2:3], exec
	s_or_b64 s[4:5], s[4:5], s[2:3]
.LBB993_524:                            ;   in Loop: Header=BB993_503 Depth=1
	s_or_b64 exec, exec, s[26:27]
	v_cndmask_b32_e64 v4, v25, v24, s[4:5]
	v_cndmask_b32_e64 v5, v35, v34, s[4:5]
	v_add_u32_e32 v6, 1, v4
	v_add_u32_e32 v4, -1, v5
	v_min_u32_e32 v4, v6, v4
	v_lshlrev_b32_e32 v4, 3, v4
	ds_read_b64 v[4:5], v4
	v_cndmask_b32_e64 v8, v6, v25, s[4:5]
	v_cndmask_b32_e64 v9, v24, v6, s[4:5]
	v_cmp_lt_u32_e32 vcc, v8, v35
	s_mov_b64 s[30:31], -1
	s_waitcnt lgkmcnt(0)
	v_cndmask_b32_e64 v16, v5, v15, s[4:5]
	v_cndmask_b32_e64 v22, v4, v14, s[4:5]
	;; [unrolled: 1-line block ×4, first 2 shown]
	s_mov_b64 s[26:27], -1
	s_and_saveexec_b64 s[34:35], vcc
	s_cbranch_execz .LBB993_532
; %bb.525:                              ;   in Loop: Header=BB993_503 Depth=1
	v_cmp_lt_u32_e64 s[26:27], v9, v34
	s_xor_b64 s[2:3], s[10:11], -1
	s_and_b64 s[2:3], s[26:27], s[2:3]
	s_and_saveexec_b64 s[36:37], s[2:3]
	s_cbranch_execz .LBB993_531
; %bb.526:                              ;   in Loop: Header=BB993_503 Depth=1
	v_mov_b64_e32 v[6:7], s[22:23]
	v_mad_u64_u32 v[4:5], s[2:3], v22, s20, v[6:7]
	v_mul_lo_u32 v10, v22, s21
	v_mul_lo_u32 v11, v16, s20
	v_add3_u32 v5, v11, v5, v10
	v_mad_u64_u32 v[6:7], s[2:3], v23, s20, v[6:7]
	v_mul_lo_u32 v10, v23, s21
	v_mul_lo_u32 v11, v17, s20
	v_add3_u32 v7, v11, v7, v10
	s_mov_b64 s[38:39], 0
	s_mov_b64 s[44:45], s[20:21]
                                        ; implicit-def: $sgpr40_sgpr41
                                        ; implicit-def: $sgpr42_sgpr43
                                        ; implicit-def: $sgpr2_sgpr3
                                        ; implicit-def: $sgpr46_sgpr47
	s_branch .LBB993_528
.LBB993_527:                            ;   in Loop: Header=BB993_528 Depth=2
	s_or_b64 exec, exec, s[50:51]
	s_and_b64 s[50:51], exec, s[42:43]
	s_or_b64 s[38:39], s[50:51], s[38:39]
	s_andn2_b64 s[46:47], s[46:47], exec
	s_and_b64 s[48:49], s[48:49], exec
	s_or_b64 s[46:47], s[46:47], s[48:49]
	s_andn2_b64 s[40:41], s[40:41], exec
	s_and_b64 s[48:49], s[2:3], exec
	s_or_b64 s[40:41], s[40:41], s[48:49]
	s_andn2_b64 exec, exec, s[38:39]
	s_cbranch_execz .LBB993_530
.LBB993_528:                            ;   Parent Loop BB993_503 Depth=1
                                        ; =>  This Inner Loop Header: Depth=2
	global_load_ubyte v10, v[4:5], off
	global_load_ubyte v11, v[6:7], off
	s_andn2_b64 s[50:51], s[2:3], exec
	s_or_b64 s[42:43], s[42:43], exec
	s_waitcnt vmcnt(1)
	v_cmp_eq_u16_e32 vcc, 0, v10
	s_waitcnt vmcnt(0)
	v_cmp_ne_u16_e64 s[2:3], 0, v11
	s_or_b64 s[52:53], vcc, s[2:3]
	s_and_b64 s[48:49], vcc, s[2:3]
	s_xor_b64 s[54:55], vcc, s[2:3]
	s_and_b64 s[2:3], s[52:53], s[46:47]
	s_or_b64 s[48:49], s[48:49], s[2:3]
	s_and_b64 s[2:3], s[48:49], exec
	s_or_b64 s[2:3], s[50:51], s[2:3]
	s_and_saveexec_b64 s[50:51], s[54:55]
	s_cbranch_execz .LBB993_527
; %bb.529:                              ;   in Loop: Header=BB993_528 Depth=2
	s_add_u32 s44, s44, -1
	s_addc_u32 s45, s45, -1
	s_cmp_eq_u64 s[44:45], 0
	s_cselect_b64 s[46:47], -1, 0
	s_andn2_b64 s[42:43], s[42:43], exec
	s_and_b64 s[46:47], s[46:47], exec
	v_lshl_add_u64 v[4:5], v[4:5], 0, 1
	v_lshl_add_u64 v[6:7], v[6:7], 0, 1
	s_andn2_b64 s[2:3], s[2:3], exec
	s_or_b64 s[42:43], s[42:43], s[46:47]
                                        ; implicit-def: $sgpr46_sgpr47
	s_branch .LBB993_527
.LBB993_530:                            ;   in Loop: Header=BB993_503 Depth=1
	s_or_b64 exec, exec, s[38:39]
	s_xor_b64 s[2:3], s[40:41], -1
	s_andn2_b64 s[26:27], s[26:27], exec
	s_and_b64 s[2:3], s[2:3], exec
	s_or_b64 s[26:27], s[26:27], s[2:3]
.LBB993_531:                            ;   in Loop: Header=BB993_503 Depth=1
	s_or_b64 exec, exec, s[36:37]
	s_orn2_b64 s[26:27], s[26:27], exec
.LBB993_532:                            ;   in Loop: Header=BB993_503 Depth=1
	s_or_b64 exec, exec, s[34:35]
	v_cndmask_b32_e64 v4, v8, v9, s[26:27]
	v_cndmask_b32_e64 v5, v35, v34, s[26:27]
	v_add_u32_e32 v6, 1, v4
	v_add_u32_e32 v4, -1, v5
	v_min_u32_e32 v4, v6, v4
	v_lshlrev_b32_e32 v4, 3, v4
	ds_read_b64 v[4:5], v4
	v_cndmask_b32_e64 v8, v6, v8, s[26:27]
	v_cndmask_b32_e64 v9, v9, v6, s[26:27]
	v_cmp_lt_u32_e32 vcc, v8, v35
	s_waitcnt lgkmcnt(0)
	v_cndmask_b32_e64 v10, v5, v16, s[26:27]
	v_cndmask_b32_e64 v24, v4, v22, s[26:27]
	;; [unrolled: 1-line block ×4, first 2 shown]
	s_and_saveexec_b64 s[34:35], vcc
	s_cbranch_execz .LBB993_540
; %bb.533:                              ;   in Loop: Header=BB993_503 Depth=1
	v_cmp_lt_u32_e64 s[30:31], v9, v34
	s_xor_b64 s[2:3], s[10:11], -1
	s_and_b64 s[2:3], s[30:31], s[2:3]
	s_and_saveexec_b64 s[36:37], s[2:3]
	s_cbranch_execz .LBB993_539
; %bb.534:                              ;   in Loop: Header=BB993_503 Depth=1
	v_mov_b64_e32 v[6:7], s[22:23]
	v_mad_u64_u32 v[4:5], s[2:3], v24, s20, v[6:7]
	v_mul_lo_u32 v12, v24, s21
	v_mul_lo_u32 v13, v10, s20
	v_add3_u32 v5, v13, v5, v12
	v_mad_u64_u32 v[6:7], s[2:3], v25, s20, v[6:7]
	v_mul_lo_u32 v12, v25, s21
	v_mul_lo_u32 v13, v11, s20
	v_add3_u32 v7, v13, v7, v12
	s_mov_b64 s[38:39], 0
	s_mov_b64 s[44:45], s[20:21]
                                        ; implicit-def: $sgpr40_sgpr41
                                        ; implicit-def: $sgpr42_sgpr43
                                        ; implicit-def: $sgpr2_sgpr3
                                        ; implicit-def: $sgpr46_sgpr47
	s_branch .LBB993_536
.LBB993_535:                            ;   in Loop: Header=BB993_536 Depth=2
	s_or_b64 exec, exec, s[50:51]
	s_and_b64 s[50:51], exec, s[42:43]
	s_or_b64 s[38:39], s[50:51], s[38:39]
	s_andn2_b64 s[46:47], s[46:47], exec
	s_and_b64 s[48:49], s[48:49], exec
	s_or_b64 s[46:47], s[46:47], s[48:49]
	s_andn2_b64 s[40:41], s[40:41], exec
	s_and_b64 s[48:49], s[2:3], exec
	s_or_b64 s[40:41], s[40:41], s[48:49]
	s_andn2_b64 exec, exec, s[38:39]
	s_cbranch_execz .LBB993_538
.LBB993_536:                            ;   Parent Loop BB993_503 Depth=1
                                        ; =>  This Inner Loop Header: Depth=2
	global_load_ubyte v12, v[4:5], off
	global_load_ubyte v13, v[6:7], off
	s_andn2_b64 s[50:51], s[2:3], exec
	s_or_b64 s[42:43], s[42:43], exec
	s_waitcnt vmcnt(1)
	v_cmp_eq_u16_e32 vcc, 0, v12
	s_waitcnt vmcnt(0)
	v_cmp_ne_u16_e64 s[2:3], 0, v13
	s_or_b64 s[52:53], vcc, s[2:3]
	s_and_b64 s[48:49], vcc, s[2:3]
	s_xor_b64 s[54:55], vcc, s[2:3]
	s_and_b64 s[2:3], s[52:53], s[46:47]
	s_or_b64 s[48:49], s[48:49], s[2:3]
	s_and_b64 s[2:3], s[48:49], exec
	s_or_b64 s[2:3], s[50:51], s[2:3]
	s_and_saveexec_b64 s[50:51], s[54:55]
	s_cbranch_execz .LBB993_535
; %bb.537:                              ;   in Loop: Header=BB993_536 Depth=2
	s_add_u32 s44, s44, -1
	s_addc_u32 s45, s45, -1
	s_cmp_eq_u64 s[44:45], 0
	s_cselect_b64 s[46:47], -1, 0
	s_andn2_b64 s[42:43], s[42:43], exec
	s_and_b64 s[46:47], s[46:47], exec
	v_lshl_add_u64 v[4:5], v[4:5], 0, 1
	v_lshl_add_u64 v[6:7], v[6:7], 0, 1
	s_andn2_b64 s[2:3], s[2:3], exec
	s_or_b64 s[42:43], s[42:43], s[46:47]
                                        ; implicit-def: $sgpr46_sgpr47
	s_branch .LBB993_535
.LBB993_538:                            ;   in Loop: Header=BB993_503 Depth=1
	s_or_b64 exec, exec, s[38:39]
	s_xor_b64 s[2:3], s[40:41], -1
	s_andn2_b64 s[30:31], s[30:31], exec
	s_and_b64 s[2:3], s[2:3], exec
	s_or_b64 s[30:31], s[30:31], s[2:3]
.LBB993_539:                            ;   in Loop: Header=BB993_503 Depth=1
	s_or_b64 exec, exec, s[36:37]
	s_orn2_b64 s[30:31], s[30:31], exec
.LBB993_540:                            ;   in Loop: Header=BB993_503 Depth=1
	s_or_b64 exec, exec, s[34:35]
	v_cndmask_b32_e64 v4, v8, v9, s[30:31]
	v_cndmask_b32_e64 v5, v35, v34, s[30:31]
	v_add_u32_e32 v6, 1, v4
	v_add_u32_e32 v4, -1, v5
	v_min_u32_e32 v4, v6, v4
	v_lshlrev_b32_e32 v4, 3, v4
	ds_read_b64 v[4:5], v4
	v_cndmask_b32_e64 v8, v6, v8, s[30:31]
	v_cndmask_b32_e64 v9, v9, v6, s[30:31]
	v_cmp_lt_u32_e32 vcc, v8, v35
	s_mov_b64 s[36:37], -1
	s_waitcnt lgkmcnt(0)
	v_cndmask_b32_e64 v12, v5, v10, s[30:31]
	v_cndmask_b32_e64 v36, v4, v24, s[30:31]
	v_cndmask_b32_e64 v13, v11, v5, s[30:31]
	v_cndmask_b32_e64 v37, v25, v4, s[30:31]
	s_mov_b64 s[34:35], -1
	s_and_saveexec_b64 s[38:39], vcc
	s_cbranch_execz .LBB993_548
; %bb.541:                              ;   in Loop: Header=BB993_503 Depth=1
	v_cmp_lt_u32_e64 s[34:35], v9, v34
	s_xor_b64 s[2:3], s[10:11], -1
	s_and_b64 s[2:3], s[34:35], s[2:3]
	s_and_saveexec_b64 s[40:41], s[2:3]
	s_cbranch_execz .LBB993_547
; %bb.542:                              ;   in Loop: Header=BB993_503 Depth=1
	v_mov_b64_e32 v[6:7], s[22:23]
	v_mad_u64_u32 v[4:5], s[2:3], v36, s20, v[6:7]
	v_mul_lo_u32 v38, v36, s21
	v_mul_lo_u32 v39, v12, s20
	v_add3_u32 v5, v39, v5, v38
	v_mad_u64_u32 v[6:7], s[2:3], v37, s20, v[6:7]
	v_mul_lo_u32 v38, v37, s21
	v_mul_lo_u32 v39, v13, s20
	v_add3_u32 v7, v39, v7, v38
	s_mov_b64 s[42:43], 0
	s_mov_b64 s[48:49], s[20:21]
                                        ; implicit-def: $sgpr44_sgpr45
                                        ; implicit-def: $sgpr46_sgpr47
                                        ; implicit-def: $sgpr2_sgpr3
                                        ; implicit-def: $sgpr50_sgpr51
	s_branch .LBB993_544
.LBB993_543:                            ;   in Loop: Header=BB993_544 Depth=2
	s_or_b64 exec, exec, s[54:55]
	s_and_b64 s[54:55], exec, s[46:47]
	s_or_b64 s[42:43], s[54:55], s[42:43]
	s_andn2_b64 s[50:51], s[50:51], exec
	s_and_b64 s[52:53], s[52:53], exec
	s_or_b64 s[50:51], s[50:51], s[52:53]
	s_andn2_b64 s[44:45], s[44:45], exec
	s_and_b64 s[52:53], s[2:3], exec
	s_or_b64 s[44:45], s[44:45], s[52:53]
	s_andn2_b64 exec, exec, s[42:43]
	s_cbranch_execz .LBB993_546
.LBB993_544:                            ;   Parent Loop BB993_503 Depth=1
                                        ; =>  This Inner Loop Header: Depth=2
	global_load_ubyte v38, v[4:5], off
	global_load_ubyte v39, v[6:7], off
	s_andn2_b64 s[54:55], s[2:3], exec
	s_or_b64 s[46:47], s[46:47], exec
	s_waitcnt vmcnt(1)
	v_cmp_eq_u16_e32 vcc, 0, v38
	s_waitcnt vmcnt(0)
	v_cmp_ne_u16_e64 s[2:3], 0, v39
	s_or_b64 s[56:57], vcc, s[2:3]
	s_and_b64 s[52:53], vcc, s[2:3]
	s_xor_b64 s[58:59], vcc, s[2:3]
	s_and_b64 s[2:3], s[56:57], s[50:51]
	s_or_b64 s[52:53], s[52:53], s[2:3]
	s_and_b64 s[2:3], s[52:53], exec
	s_or_b64 s[2:3], s[54:55], s[2:3]
	s_and_saveexec_b64 s[54:55], s[58:59]
	s_cbranch_execz .LBB993_543
; %bb.545:                              ;   in Loop: Header=BB993_544 Depth=2
	s_add_u32 s48, s48, -1
	s_addc_u32 s49, s49, -1
	s_cmp_eq_u64 s[48:49], 0
	s_cselect_b64 s[50:51], -1, 0
	s_andn2_b64 s[46:47], s[46:47], exec
	s_and_b64 s[50:51], s[50:51], exec
	v_lshl_add_u64 v[4:5], v[4:5], 0, 1
	v_lshl_add_u64 v[6:7], v[6:7], 0, 1
	s_andn2_b64 s[2:3], s[2:3], exec
	s_or_b64 s[46:47], s[46:47], s[50:51]
                                        ; implicit-def: $sgpr50_sgpr51
	s_branch .LBB993_543
.LBB993_546:                            ;   in Loop: Header=BB993_503 Depth=1
	s_or_b64 exec, exec, s[42:43]
	s_xor_b64 s[2:3], s[44:45], -1
	s_andn2_b64 s[34:35], s[34:35], exec
	s_and_b64 s[2:3], s[2:3], exec
	s_or_b64 s[34:35], s[34:35], s[2:3]
.LBB993_547:                            ;   in Loop: Header=BB993_503 Depth=1
	s_or_b64 exec, exec, s[40:41]
	s_orn2_b64 s[34:35], s[34:35], exec
.LBB993_548:                            ;   in Loop: Header=BB993_503 Depth=1
	s_or_b64 exec, exec, s[38:39]
	v_cndmask_b32_e64 v4, v8, v9, s[34:35]
	v_cndmask_b32_e64 v5, v35, v34, s[34:35]
	v_add_u32_e32 v6, 1, v4
	v_add_u32_e32 v4, -1, v5
	v_min_u32_e32 v4, v6, v4
	v_lshlrev_b32_e32 v4, 3, v4
	ds_read_b64 v[4:5], v4
	v_cndmask_b32_e64 v8, v6, v8, s[34:35]
	v_cndmask_b32_e64 v9, v9, v6, s[34:35]
	v_cmp_lt_u32_e32 vcc, v8, v35
	s_waitcnt lgkmcnt(0)
	v_cndmask_b32_e64 v38, v5, v12, s[34:35]
	v_cndmask_b32_e64 v39, v4, v36, s[34:35]
	;; [unrolled: 1-line block ×4, first 2 shown]
	s_and_saveexec_b64 s[38:39], vcc
	s_cbranch_execz .LBB993_556
; %bb.549:                              ;   in Loop: Header=BB993_503 Depth=1
	v_cmp_lt_u32_e64 s[36:37], v9, v34
	s_xor_b64 s[2:3], s[10:11], -1
	s_and_b64 s[2:3], s[36:37], s[2:3]
	s_and_saveexec_b64 s[40:41], s[2:3]
	s_cbranch_execz .LBB993_555
; %bb.550:                              ;   in Loop: Header=BB993_503 Depth=1
	v_mov_b64_e32 v[6:7], s[22:23]
	v_mad_u64_u32 v[4:5], s[2:3], v39, s20, v[6:7]
	v_mul_lo_u32 v42, v39, s21
	v_mul_lo_u32 v43, v38, s20
	v_add3_u32 v5, v43, v5, v42
	v_mad_u64_u32 v[6:7], s[2:3], v41, s20, v[6:7]
	v_mul_lo_u32 v42, v41, s21
	v_mul_lo_u32 v43, v40, s20
	v_add3_u32 v7, v43, v7, v42
	s_mov_b64 s[42:43], 0
	s_mov_b64 s[48:49], s[20:21]
                                        ; implicit-def: $sgpr44_sgpr45
                                        ; implicit-def: $sgpr46_sgpr47
                                        ; implicit-def: $sgpr2_sgpr3
                                        ; implicit-def: $sgpr50_sgpr51
	s_branch .LBB993_552
.LBB993_551:                            ;   in Loop: Header=BB993_552 Depth=2
	s_or_b64 exec, exec, s[54:55]
	s_and_b64 s[54:55], exec, s[46:47]
	s_or_b64 s[42:43], s[54:55], s[42:43]
	s_andn2_b64 s[50:51], s[50:51], exec
	s_and_b64 s[52:53], s[52:53], exec
	s_or_b64 s[50:51], s[50:51], s[52:53]
	s_andn2_b64 s[44:45], s[44:45], exec
	s_and_b64 s[52:53], s[2:3], exec
	s_or_b64 s[44:45], s[44:45], s[52:53]
	s_andn2_b64 exec, exec, s[42:43]
	s_cbranch_execz .LBB993_554
.LBB993_552:                            ;   Parent Loop BB993_503 Depth=1
                                        ; =>  This Inner Loop Header: Depth=2
	global_load_ubyte v42, v[4:5], off
	global_load_ubyte v43, v[6:7], off
	s_andn2_b64 s[54:55], s[2:3], exec
	s_or_b64 s[46:47], s[46:47], exec
	s_waitcnt vmcnt(1)
	v_cmp_eq_u16_e32 vcc, 0, v42
	s_waitcnt vmcnt(0)
	v_cmp_ne_u16_e64 s[2:3], 0, v43
	s_or_b64 s[56:57], vcc, s[2:3]
	s_and_b64 s[52:53], vcc, s[2:3]
	s_xor_b64 s[58:59], vcc, s[2:3]
	s_and_b64 s[2:3], s[56:57], s[50:51]
	s_or_b64 s[52:53], s[52:53], s[2:3]
	s_and_b64 s[2:3], s[52:53], exec
	s_or_b64 s[2:3], s[54:55], s[2:3]
	s_and_saveexec_b64 s[54:55], s[58:59]
	s_cbranch_execz .LBB993_551
; %bb.553:                              ;   in Loop: Header=BB993_552 Depth=2
	s_add_u32 s48, s48, -1
	s_addc_u32 s49, s49, -1
	s_cmp_eq_u64 s[48:49], 0
	s_cselect_b64 s[50:51], -1, 0
	s_andn2_b64 s[46:47], s[46:47], exec
	s_and_b64 s[50:51], s[50:51], exec
	v_lshl_add_u64 v[4:5], v[4:5], 0, 1
	v_lshl_add_u64 v[6:7], v[6:7], 0, 1
	s_andn2_b64 s[2:3], s[2:3], exec
	s_or_b64 s[46:47], s[46:47], s[50:51]
                                        ; implicit-def: $sgpr50_sgpr51
	s_branch .LBB993_551
.LBB993_554:                            ;   in Loop: Header=BB993_503 Depth=1
	s_or_b64 exec, exec, s[42:43]
	s_xor_b64 s[2:3], s[44:45], -1
	s_andn2_b64 s[36:37], s[36:37], exec
	s_and_b64 s[2:3], s[2:3], exec
	s_or_b64 s[36:37], s[36:37], s[2:3]
.LBB993_555:                            ;   in Loop: Header=BB993_503 Depth=1
	s_or_b64 exec, exec, s[40:41]
	s_orn2_b64 s[36:37], s[36:37], exec
.LBB993_556:                            ;   in Loop: Header=BB993_503 Depth=1
	s_or_b64 exec, exec, s[38:39]
	v_cndmask_b32_e64 v4, v8, v9, s[36:37]
	v_cndmask_b32_e64 v5, v35, v34, s[36:37]
	v_add_u32_e32 v6, 1, v4
	v_add_u32_e32 v4, -1, v5
	v_min_u32_e32 v4, v6, v4
	v_lshlrev_b32_e32 v4, 3, v4
	ds_read_b64 v[4:5], v4
	v_cndmask_b32_e64 v8, v6, v8, s[36:37]
	v_cndmask_b32_e64 v9, v9, v6, s[36:37]
	v_cmp_lt_u32_e32 vcc, v8, v35
	s_mov_b64 s[38:39], -1
	s_waitcnt lgkmcnt(0)
	v_cndmask_b32_e64 v42, v5, v38, s[36:37]
	v_cndmask_b32_e64 v43, v4, v39, s[36:37]
	;; [unrolled: 1-line block ×4, first 2 shown]
	s_mov_b64 s[40:41], -1
	s_and_saveexec_b64 s[42:43], vcc
	s_cbranch_execz .LBB993_564
; %bb.557:                              ;   in Loop: Header=BB993_503 Depth=1
	v_cmp_lt_u32_e64 s[40:41], v9, v34
	s_xor_b64 s[2:3], s[10:11], -1
	s_and_b64 s[2:3], s[40:41], s[2:3]
	s_and_saveexec_b64 s[44:45], s[2:3]
	s_cbranch_execz .LBB993_563
; %bb.558:                              ;   in Loop: Header=BB993_503 Depth=1
	v_mov_b64_e32 v[6:7], s[22:23]
	v_mad_u64_u32 v[4:5], s[2:3], v43, s20, v[6:7]
	v_mul_lo_u32 v46, v43, s21
	v_mul_lo_u32 v47, v42, s20
	v_add3_u32 v5, v47, v5, v46
	v_mad_u64_u32 v[6:7], s[2:3], v45, s20, v[6:7]
	v_mul_lo_u32 v46, v45, s21
	v_mul_lo_u32 v47, v44, s20
	v_add3_u32 v7, v47, v7, v46
	s_mov_b64 s[46:47], 0
	s_mov_b64 s[52:53], s[20:21]
                                        ; implicit-def: $sgpr48_sgpr49
                                        ; implicit-def: $sgpr50_sgpr51
                                        ; implicit-def: $sgpr2_sgpr3
                                        ; implicit-def: $sgpr54_sgpr55
	s_branch .LBB993_560
.LBB993_559:                            ;   in Loop: Header=BB993_560 Depth=2
	s_or_b64 exec, exec, s[58:59]
	s_and_b64 s[58:59], exec, s[50:51]
	s_or_b64 s[46:47], s[58:59], s[46:47]
	s_andn2_b64 s[54:55], s[54:55], exec
	s_and_b64 s[56:57], s[56:57], exec
	s_or_b64 s[54:55], s[54:55], s[56:57]
	s_andn2_b64 s[48:49], s[48:49], exec
	s_and_b64 s[56:57], s[2:3], exec
	s_or_b64 s[48:49], s[48:49], s[56:57]
	s_andn2_b64 exec, exec, s[46:47]
	s_cbranch_execz .LBB993_562
.LBB993_560:                            ;   Parent Loop BB993_503 Depth=1
                                        ; =>  This Inner Loop Header: Depth=2
	global_load_ubyte v46, v[4:5], off
	global_load_ubyte v47, v[6:7], off
	s_andn2_b64 s[58:59], s[2:3], exec
	s_or_b64 s[50:51], s[50:51], exec
	s_waitcnt vmcnt(1)
	v_cmp_eq_u16_e32 vcc, 0, v46
	s_waitcnt vmcnt(0)
	v_cmp_ne_u16_e64 s[2:3], 0, v47
	s_or_b64 s[60:61], vcc, s[2:3]
	s_and_b64 s[56:57], vcc, s[2:3]
	s_xor_b64 s[62:63], vcc, s[2:3]
	s_and_b64 s[2:3], s[60:61], s[54:55]
	s_or_b64 s[56:57], s[56:57], s[2:3]
	s_and_b64 s[2:3], s[56:57], exec
	s_or_b64 s[2:3], s[58:59], s[2:3]
	s_and_saveexec_b64 s[58:59], s[62:63]
	s_cbranch_execz .LBB993_559
; %bb.561:                              ;   in Loop: Header=BB993_560 Depth=2
	s_add_u32 s52, s52, -1
	s_addc_u32 s53, s53, -1
	s_cmp_eq_u64 s[52:53], 0
	s_cselect_b64 s[54:55], -1, 0
	s_andn2_b64 s[50:51], s[50:51], exec
	s_and_b64 s[54:55], s[54:55], exec
	v_lshl_add_u64 v[4:5], v[4:5], 0, 1
	v_lshl_add_u64 v[6:7], v[6:7], 0, 1
	s_andn2_b64 s[2:3], s[2:3], exec
	s_or_b64 s[50:51], s[50:51], s[54:55]
                                        ; implicit-def: $sgpr54_sgpr55
	s_branch .LBB993_559
.LBB993_562:                            ;   in Loop: Header=BB993_503 Depth=1
	s_or_b64 exec, exec, s[46:47]
	s_xor_b64 s[2:3], s[48:49], -1
	s_andn2_b64 s[40:41], s[40:41], exec
	s_and_b64 s[2:3], s[2:3], exec
	s_or_b64 s[40:41], s[40:41], s[2:3]
.LBB993_563:                            ;   in Loop: Header=BB993_503 Depth=1
	s_or_b64 exec, exec, s[44:45]
	s_orn2_b64 s[40:41], s[40:41], exec
.LBB993_564:                            ;   in Loop: Header=BB993_503 Depth=1
	s_or_b64 exec, exec, s[42:43]
	v_cndmask_b32_e64 v4, v8, v9, s[40:41]
	v_cndmask_b32_e64 v5, v35, v34, s[40:41]
	v_add_u32_e32 v6, 1, v4
	v_add_u32_e32 v4, -1, v5
	v_min_u32_e32 v4, v6, v4
	v_lshlrev_b32_e32 v4, 3, v4
	ds_read_b64 v[4:5], v4
	v_cndmask_b32_e64 v50, v6, v8, s[40:41]
	v_cndmask_b32_e64 v8, v9, v6, s[40:41]
	v_cmp_lt_u32_e32 vcc, v50, v35
	s_waitcnt lgkmcnt(0)
	v_cndmask_b32_e64 v46, v5, v42, s[40:41]
	v_cndmask_b32_e64 v47, v4, v43, s[40:41]
	;; [unrolled: 1-line block ×4, first 2 shown]
	s_and_saveexec_b64 s[42:43], vcc
	s_cbranch_execz .LBB993_572
; %bb.565:                              ;   in Loop: Header=BB993_503 Depth=1
	v_cmp_lt_u32_e64 s[38:39], v8, v34
	s_xor_b64 s[2:3], s[10:11], -1
	s_and_b64 s[2:3], s[38:39], s[2:3]
	s_and_saveexec_b64 s[44:45], s[2:3]
	s_cbranch_execz .LBB993_571
; %bb.566:                              ;   in Loop: Header=BB993_503 Depth=1
	v_mov_b64_e32 v[6:7], s[22:23]
	v_mad_u64_u32 v[4:5], s[2:3], v47, s20, v[6:7]
	v_mul_lo_u32 v9, v47, s21
	v_mul_lo_u32 v51, v46, s20
	v_add3_u32 v5, v51, v5, v9
	v_mad_u64_u32 v[6:7], s[2:3], v49, s20, v[6:7]
	v_mul_lo_u32 v9, v49, s21
	v_mul_lo_u32 v51, v48, s20
	v_add3_u32 v7, v51, v7, v9
	s_mov_b64 s[46:47], 0
	s_mov_b64 s[52:53], s[20:21]
                                        ; implicit-def: $sgpr48_sgpr49
                                        ; implicit-def: $sgpr50_sgpr51
                                        ; implicit-def: $sgpr2_sgpr3
                                        ; implicit-def: $sgpr54_sgpr55
	s_branch .LBB993_568
.LBB993_567:                            ;   in Loop: Header=BB993_568 Depth=2
	s_or_b64 exec, exec, s[58:59]
	s_and_b64 s[58:59], exec, s[50:51]
	s_or_b64 s[46:47], s[58:59], s[46:47]
	s_andn2_b64 s[54:55], s[54:55], exec
	s_and_b64 s[56:57], s[56:57], exec
	s_or_b64 s[54:55], s[54:55], s[56:57]
	s_andn2_b64 s[48:49], s[48:49], exec
	s_and_b64 s[56:57], s[2:3], exec
	s_or_b64 s[48:49], s[48:49], s[56:57]
	s_andn2_b64 exec, exec, s[46:47]
	s_cbranch_execz .LBB993_570
.LBB993_568:                            ;   Parent Loop BB993_503 Depth=1
                                        ; =>  This Inner Loop Header: Depth=2
	global_load_ubyte v9, v[4:5], off
	global_load_ubyte v51, v[6:7], off
	s_andn2_b64 s[58:59], s[2:3], exec
	s_or_b64 s[50:51], s[50:51], exec
	s_waitcnt vmcnt(1)
	v_cmp_eq_u16_e32 vcc, 0, v9
	s_waitcnt vmcnt(0)
	v_cmp_ne_u16_e64 s[2:3], 0, v51
	s_or_b64 s[60:61], vcc, s[2:3]
	s_and_b64 s[56:57], vcc, s[2:3]
	s_xor_b64 s[62:63], vcc, s[2:3]
	s_and_b64 s[2:3], s[60:61], s[54:55]
	s_or_b64 s[56:57], s[56:57], s[2:3]
	s_and_b64 s[2:3], s[56:57], exec
	s_or_b64 s[2:3], s[58:59], s[2:3]
	s_and_saveexec_b64 s[58:59], s[62:63]
	s_cbranch_execz .LBB993_567
; %bb.569:                              ;   in Loop: Header=BB993_568 Depth=2
	s_add_u32 s52, s52, -1
	s_addc_u32 s53, s53, -1
	s_cmp_eq_u64 s[52:53], 0
	s_cselect_b64 s[54:55], -1, 0
	s_andn2_b64 s[50:51], s[50:51], exec
	s_and_b64 s[54:55], s[54:55], exec
	v_lshl_add_u64 v[4:5], v[4:5], 0, 1
	v_lshl_add_u64 v[6:7], v[6:7], 0, 1
	s_andn2_b64 s[2:3], s[2:3], exec
	s_or_b64 s[50:51], s[50:51], s[54:55]
                                        ; implicit-def: $sgpr54_sgpr55
	s_branch .LBB993_567
.LBB993_570:                            ;   in Loop: Header=BB993_503 Depth=1
	s_or_b64 exec, exec, s[46:47]
	s_xor_b64 s[2:3], s[48:49], -1
	s_andn2_b64 s[38:39], s[38:39], exec
	s_and_b64 s[2:3], s[2:3], exec
	s_or_b64 s[38:39], s[38:39], s[2:3]
.LBB993_571:                            ;   in Loop: Header=BB993_503 Depth=1
	s_or_b64 exec, exec, s[44:45]
	s_orn2_b64 s[38:39], s[38:39], exec
.LBB993_572:                            ;   in Loop: Header=BB993_503 Depth=1
	s_or_b64 exec, exec, s[42:43]
	v_cndmask_b32_e64 v4, v50, v8, s[38:39]
	v_cndmask_b32_e64 v5, v35, v34, s[38:39]
	v_add_u32_e32 v9, 1, v4
	v_add_u32_e32 v4, -1, v5
	v_min_u32_e32 v4, v9, v4
	v_lshlrev_b32_e32 v4, 3, v4
	ds_read_b64 v[6:7], v4
	v_cndmask_b32_e64 v50, v9, v50, s[38:39]
	v_cmp_lt_u32_e32 vcc, v50, v35
	s_waitcnt lgkmcnt(0)
	v_cndmask_b32_e64 v5, v48, v7, s[38:39]
	v_cndmask_b32_e64 v4, v49, v6, s[38:39]
	s_and_saveexec_b64 s[42:43], vcc
	s_cbranch_execz .LBB993_580
; %bb.573:                              ;   in Loop: Header=BB993_503 Depth=1
	v_cndmask_b32_e64 v50, v6, v47, s[38:39]
	v_cndmask_b32_e64 v6, v8, v9, s[38:39]
	;; [unrolled: 1-line block ×3, first 2 shown]
	v_cmp_ge_u32_e32 vcc, v6, v34
	s_nor_b64 s[2:3], vcc, s[10:11]
	s_nop 0
	v_cndmask_b32_e32 v7, v5, v35, vcc
	v_cndmask_b32_e32 v6, v4, v50, vcc
	s_and_saveexec_b64 s[44:45], s[2:3]
	s_cbranch_execz .LBB993_579
; %bb.574:                              ;   in Loop: Header=BB993_503 Depth=1
	v_mov_b64_e32 v[8:9], s[22:23]
	v_mad_u64_u32 v[6:7], s[2:3], v50, s20, v[8:9]
	v_mul_lo_u32 v34, v50, s21
	v_mul_lo_u32 v51, v35, s20
	v_add3_u32 v7, v51, v7, v34
	v_mad_u64_u32 v[8:9], s[2:3], v4, s20, v[8:9]
	v_mul_lo_u32 v34, v4, s21
	v_mul_lo_u32 v51, v5, s20
	v_add3_u32 v9, v51, v9, v34
	s_mov_b64 s[46:47], 0
	s_mov_b64 s[52:53], s[20:21]
                                        ; implicit-def: $sgpr48_sgpr49
                                        ; implicit-def: $sgpr50_sgpr51
                                        ; implicit-def: $sgpr2_sgpr3
                                        ; implicit-def: $sgpr54_sgpr55
	s_branch .LBB993_576
.LBB993_575:                            ;   in Loop: Header=BB993_576 Depth=2
	s_or_b64 exec, exec, s[58:59]
	s_and_b64 s[58:59], exec, s[50:51]
	s_or_b64 s[46:47], s[58:59], s[46:47]
	s_andn2_b64 s[54:55], s[54:55], exec
	s_and_b64 s[56:57], s[56:57], exec
	s_or_b64 s[54:55], s[54:55], s[56:57]
	s_andn2_b64 s[48:49], s[48:49], exec
	s_and_b64 s[56:57], s[2:3], exec
	s_or_b64 s[48:49], s[48:49], s[56:57]
	s_andn2_b64 exec, exec, s[46:47]
	s_cbranch_execz .LBB993_578
.LBB993_576:                            ;   Parent Loop BB993_503 Depth=1
                                        ; =>  This Inner Loop Header: Depth=2
	global_load_ubyte v34, v[6:7], off
	global_load_ubyte v51, v[8:9], off
	s_andn2_b64 s[58:59], s[2:3], exec
	s_or_b64 s[50:51], s[50:51], exec
	s_waitcnt vmcnt(1)
	v_cmp_eq_u16_e32 vcc, 0, v34
	s_waitcnt vmcnt(0)
	v_cmp_ne_u16_e64 s[2:3], 0, v51
	s_or_b64 s[60:61], vcc, s[2:3]
	s_and_b64 s[56:57], vcc, s[2:3]
	s_xor_b64 s[62:63], vcc, s[2:3]
	s_and_b64 s[2:3], s[60:61], s[54:55]
	s_or_b64 s[56:57], s[56:57], s[2:3]
	s_and_b64 s[2:3], s[56:57], exec
	s_or_b64 s[2:3], s[58:59], s[2:3]
	s_and_saveexec_b64 s[58:59], s[62:63]
	s_cbranch_execz .LBB993_575
; %bb.577:                              ;   in Loop: Header=BB993_576 Depth=2
	s_add_u32 s52, s52, -1
	s_addc_u32 s53, s53, -1
	s_cmp_eq_u64 s[52:53], 0
	s_cselect_b64 s[54:55], -1, 0
	s_andn2_b64 s[50:51], s[50:51], exec
	s_and_b64 s[54:55], s[54:55], exec
	v_lshl_add_u64 v[6:7], v[6:7], 0, 1
	v_lshl_add_u64 v[8:9], v[8:9], 0, 1
	s_andn2_b64 s[2:3], s[2:3], exec
	s_or_b64 s[50:51], s[50:51], s[54:55]
                                        ; implicit-def: $sgpr54_sgpr55
	s_branch .LBB993_575
.LBB993_578:                            ;   in Loop: Header=BB993_503 Depth=1
	s_or_b64 exec, exec, s[46:47]
	v_cndmask_b32_e64 v7, v5, v35, s[48:49]
	v_cndmask_b32_e64 v6, v4, v50, s[48:49]
.LBB993_579:                            ;   in Loop: Header=BB993_503 Depth=1
	s_or_b64 exec, exec, s[44:45]
	v_mov_b64_e32 v[4:5], v[6:7]
.LBB993_580:                            ;   in Loop: Header=BB993_503 Depth=1
	s_or_b64 exec, exec, s[42:43]
	v_cndmask_b32_e64 v9, v42, v44, s[40:41]
	v_cndmask_b32_e64 v8, v43, v45, s[40:41]
	;; [unrolled: 1-line block ×14, first 2 shown]
.LBB993_581:                            ;   in Loop: Header=BB993_503 Depth=1
	s_or_b64 exec, exec, s[12:13]
	s_cmpk_lt_u32 s9, 0x400
	s_barrier
	s_cbranch_scc0 .LBB993_583
; %bb.582:                              ;   in Loop: Header=BB993_503 Depth=1
	s_mov_b32 s9, s15
	s_branch .LBB993_503
.LBB993_583:
	s_barrier
	ds_write2_b64 v32, v[14:15], v[16:17] offset1:1
	ds_write2_b64 v32, v[10:11], v[12:13] offset0:2 offset1:3
	ds_write2_b64 v32, v[6:7], v[8:9] offset0:4 offset1:5
	;; [unrolled: 1-line block ×3, first 2 shown]
	s_waitcnt lgkmcnt(0)
	s_barrier
	ds_read_b64 v[2:3], v1
	ds_read_b64 v[4:5], v21 offset:2048
	ds_read_b64 v[6:7], v26 offset:4096
	ds_read_b64 v[8:9], v27 offset:6144
	ds_read_b64 v[10:11], v28 offset:8192
	ds_read_b64 v[12:13], v29 offset:10240
	ds_read_b64 v[16:17], v30 offset:12288
	ds_read_b64 v[14:15], v31 offset:14336
	v_mov_b32_e32 v21, 0
	v_lshl_add_u64 v[22:23], s[24:25], 0, v[20:21]
	s_movk_i32 s0, 0x1000
	s_waitcnt lgkmcnt(7)
	global_store_dwordx2 v20, v[2:3], s[24:25]
	s_waitcnt lgkmcnt(6)
	global_store_dwordx2 v20, v[4:5], s[24:25] offset:2048
	v_add_co_u32_e32 v2, vcc, s0, v22
	s_nop 1
	v_addc_co_u32_e32 v3, vcc, 0, v23, vcc
	s_waitcnt lgkmcnt(5)
	global_store_dwordx2 v[2:3], v[6:7], off
	s_waitcnt lgkmcnt(4)
	global_store_dwordx2 v[2:3], v[8:9], off offset:2048
	v_add_co_u32_e32 v2, vcc, 0x2000, v22
	s_mov_b64 s[26:27], -1
	s_nop 0
	v_addc_co_u32_e32 v3, vcc, 0, v23, vcc
	s_waitcnt lgkmcnt(3)
	global_store_dwordx2 v[2:3], v[10:11], off
	s_waitcnt lgkmcnt(2)
	global_store_dwordx2 v[2:3], v[12:13], off offset:2048
	v_add_co_u32_e32 v2, vcc, 0x3000, v22
	s_nop 1
	v_addc_co_u32_e32 v3, vcc, 0, v23, vcc
	s_waitcnt lgkmcnt(1)
	global_store_dwordx2 v[2:3], v[16:17], off
	s_branch .LBB993_1226
.LBB993_584:
	s_lshl_b64 s[0:1], s[6:7], 11
	s_sub_i32 s33, s8, s0
	v_cmp_gt_u32_e64 s[0:1], s33, v18
	v_lshlrev_b32_e32 v20, 3, v18
                                        ; implicit-def: $vgpr8_vgpr9
	s_and_saveexec_b64 s[2:3], s[0:1]
	s_cbranch_execz .LBB993_586
; %bb.585:
	global_load_dwordx2 v[8:9], v20, s[28:29]
.LBB993_586:
	s_or_b64 exec, exec, s[2:3]
	v_add_u32_e32 v1, 0x100, v18
	v_cmp_gt_u32_e64 s[2:3], s33, v1
                                        ; implicit-def: $vgpr10_vgpr11
	s_and_saveexec_b64 s[4:5], s[2:3]
	s_cbranch_execz .LBB993_588
; %bb.587:
	global_load_dwordx2 v[10:11], v20, s[28:29] offset:2048
.LBB993_588:
	s_or_b64 exec, exec, s[4:5]
	v_add_u32_e32 v2, 0x200, v18
	v_cmp_gt_u32_e64 s[4:5], s33, v2
                                        ; implicit-def: $vgpr12_vgpr13
	s_and_saveexec_b64 s[6:7], s[4:5]
	s_cbranch_execz .LBB993_590
; %bb.589:
	v_lshlrev_b32_e32 v3, 3, v2
	global_load_dwordx2 v[12:13], v3, s[28:29]
.LBB993_590:
	s_or_b64 exec, exec, s[6:7]
	v_add_u32_e32 v3, 0x300, v18
	v_cmp_gt_u32_e64 s[6:7], s33, v3
                                        ; implicit-def: $vgpr14_vgpr15
	s_and_saveexec_b64 s[8:9], s[6:7]
	s_cbranch_execz .LBB993_592
; %bb.591:
	v_lshlrev_b32_e32 v4, 3, v3
	s_waitcnt lgkmcnt(0)
	global_load_dwordx2 v[14:15], v4, s[28:29]
.LBB993_592:
	s_or_b64 exec, exec, s[8:9]
	v_or_b32_e32 v4, 0x400, v18
	v_cmp_gt_u32_e64 s[8:9], s33, v4
                                        ; implicit-def: $vgpr16_vgpr17
	s_and_saveexec_b64 s[10:11], s[8:9]
	s_cbranch_execz .LBB993_594
; %bb.593:
	v_lshlrev_b32_e32 v5, 3, v4
	global_load_dwordx2 v[16:17], v5, s[28:29]
.LBB993_594:
	s_or_b64 exec, exec, s[10:11]
	v_add_u32_e32 v5, 0x500, v18
	v_cmp_gt_u32_e64 s[10:11], s33, v5
                                        ; implicit-def: $vgpr22_vgpr23
	s_and_saveexec_b64 s[12:13], s[10:11]
	s_cbranch_execz .LBB993_596
; %bb.595:
	v_lshlrev_b32_e32 v6, 3, v5
	global_load_dwordx2 v[22:23], v6, s[28:29]
.LBB993_596:
	s_or_b64 exec, exec, s[12:13]
	v_add_u32_e32 v6, 0x600, v18
	v_cmp_gt_u32_e64 s[12:13], s33, v6
                                        ; implicit-def: $vgpr30_vgpr31
	s_and_saveexec_b64 s[26:27], s[12:13]
	s_cbranch_execz .LBB993_598
; %bb.597:
	v_lshlrev_b32_e32 v7, 3, v6
	global_load_dwordx2 v[30:31], v7, s[28:29]
.LBB993_598:
	s_or_b64 exec, exec, s[26:27]
	v_add_u32_e32 v7, 0x700, v18
	v_cmp_gt_u32_e64 s[26:27], s33, v7
                                        ; implicit-def: $vgpr32_vgpr33
	s_and_saveexec_b64 s[30:31], s[26:27]
	s_cbranch_execz .LBB993_600
; %bb.599:
	v_lshlrev_b32_e32 v19, 3, v7
	global_load_dwordx2 v[32:33], v19, s[28:29]
.LBB993_600:
	s_or_b64 exec, exec, s[30:31]
	v_lshrrev_b32_e32 v1, 2, v1
	v_and_b32_e32 v1, 0x1f8, v1
	v_add_u32_e32 v21, v1, v20
	v_lshrrev_b32_e32 v1, 2, v2
	v_and_b32_e32 v1, 0x1f8, v1
	v_add_u32_e32 v24, v1, v20
	;; [unrolled: 3-line block ×6, first 2 shown]
	v_lshrrev_b32_e32 v1, 2, v7
	v_and_b32_e32 v1, 0x3f8, v1
	v_lshrrev_b32_e32 v19, 2, v18
	v_add_u32_e32 v29, v1, v20
	v_lshlrev_b32_e32 v1, 1, v18
	v_and_b32_e32 v19, 0xf8, v19
	v_and_b32_e32 v1, 0x7f8, v1
	v_add_u32_e32 v19, v19, v20
	s_waitcnt vmcnt(0)
	ds_write_b64 v28, v[30:31] offset:12288
	v_lshl_add_u32 v30, v18, 6, v1
	ds_write_b64 v19, v[8:9]
	ds_write_b64 v21, v[10:11] offset:2048
	ds_write_b64 v24, v[12:13] offset:4096
	s_waitcnt lgkmcnt(4)
	ds_write_b64 v25, v[14:15] offset:6144
	ds_write_b64 v26, v[16:17] offset:8192
	;; [unrolled: 1-line block ×4, first 2 shown]
	s_waitcnt lgkmcnt(0)
	s_barrier
	ds_read2_b64 v[14:17], v30 offset1:1
	ds_read2_b64 v[10:13], v30 offset0:2 offset1:3
	ds_read2_b64 v[6:9], v30 offset0:4 offset1:5
	;; [unrolled: 1-line block ×3, first 2 shown]
	s_waitcnt lgkmcnt(0)
	s_barrier
	s_load_dword s15, s[16:17], 0xc
	v_mov_b32_e32 v1, 0
	v_bfe_u32 v22, v0, 10, 10
	v_bfe_u32 v0, v0, 20, 10
	v_cmp_lt_i64_e64 s[28:29], s[20:21], 1
	s_waitcnt lgkmcnt(0)
	s_lshr_b32 s19, s15, 16
	s_cmp_lt_u32 s14, s18
	s_cselect_b32 s14, 12, 18
	s_add_u32 s14, s16, s14
	s_addc_u32 s15, s17, 0
	global_load_ushort v1, v1, s[14:15]
	v_mad_u32_u24 v0, v0, s19, v22
	v_cmp_gt_i64_e64 s[18:19], s[20:21], 0
	s_mov_b64 s[34:35], 0
	s_waitcnt vmcnt(0)
	v_mul_lo_u32 v0, v0, v1
	v_add_lshl_u32 v31, v0, v18, 3
	v_sub_u32_e64 v32, s33, v31 clamp
	v_cmp_lt_u32_e32 vcc, 1, v32
	s_and_b64 s[16:17], vcc, s[18:19]
	s_and_saveexec_b64 s[30:31], s[16:17]
	s_cbranch_execz .LBB993_608
; %bb.601:
	v_mov_b64_e32 v[22:23], s[22:23]
	v_mad_u64_u32 v[0:1], s[14:15], v16, s20, v[22:23]
	v_mul_lo_u32 v33, v16, s21
	v_mul_lo_u32 v34, v17, s20
	v_add3_u32 v1, v34, v1, v33
	v_mad_u64_u32 v[22:23], s[14:15], v14, s20, v[22:23]
	v_mul_lo_u32 v33, v14, s21
	v_mul_lo_u32 v34, v15, s20
	v_add3_u32 v23, v34, v23, v33
	s_mov_b64 s[46:47], s[20:21]
                                        ; implicit-def: $sgpr36_sgpr37
                                        ; implicit-def: $sgpr38_sgpr39
                                        ; implicit-def: $sgpr42_sgpr43
                                        ; implicit-def: $sgpr40_sgpr41
                                        ; implicit-def: $sgpr44_sgpr45
	s_branch .LBB993_603
.LBB993_602:                            ;   in Loop: Header=BB993_603 Depth=1
	s_or_b64 exec, exec, s[48:49]
	s_and_b64 s[48:49], vcc, s[14:15]
	s_or_b64 s[14:15], vcc, s[14:15]
	s_and_b64 s[14:15], s[14:15], s[44:45]
	s_or_b64 s[14:15], s[48:49], s[14:15]
	s_and_b64 s[48:49], exec, s[42:43]
	s_or_b64 s[34:35], s[48:49], s[34:35]
	s_andn2_b64 s[44:45], s[44:45], exec
	s_and_b64 s[14:15], s[14:15], exec
	s_andn2_b64 s[38:39], s[38:39], exec
	s_and_b64 s[48:49], s[40:41], exec
	s_andn2_b64 s[36:37], s[36:37], exec
	s_or_b64 s[44:45], s[44:45], s[14:15]
	s_or_b64 s[38:39], s[38:39], s[48:49]
	s_or_b64 s[36:37], s[36:37], s[14:15]
	s_andn2_b64 exec, exec, s[34:35]
	s_cbranch_execz .LBB993_605
.LBB993_603:                            ; =>This Inner Loop Header: Depth=1
	global_load_ubyte v33, v[0:1], off
	global_load_ubyte v34, v[22:23], off
	s_or_b64 s[40:41], s[40:41], exec
	s_or_b64 s[42:43], s[42:43], exec
	s_waitcnt vmcnt(1)
	v_cmp_eq_u16_e32 vcc, 0, v33
	s_waitcnt vmcnt(0)
	v_cmp_ne_u16_e64 s[14:15], 0, v34
	s_xor_b64 s[50:51], vcc, s[14:15]
	s_and_saveexec_b64 s[48:49], s[50:51]
	s_cbranch_execz .LBB993_602
; %bb.604:                              ;   in Loop: Header=BB993_603 Depth=1
	s_add_u32 s46, s46, -1
	s_addc_u32 s47, s47, -1
	s_cmp_eq_u64 s[46:47], 0
	s_cselect_b64 s[50:51], -1, 0
	s_andn2_b64 s[42:43], s[42:43], exec
	s_and_b64 s[50:51], s[50:51], exec
	v_lshl_add_u64 v[0:1], v[0:1], 0, 1
	v_lshl_add_u64 v[22:23], v[22:23], 0, 1
	s_andn2_b64 s[40:41], s[40:41], exec
	s_or_b64 s[42:43], s[42:43], s[50:51]
	s_branch .LBB993_602
.LBB993_605:
	s_or_b64 exec, exec, s[34:35]
	s_and_saveexec_b64 s[14:15], s[38:39]
	s_xor_b64 s[14:15], exec, s[14:15]
; %bb.606:
	v_cndmask_b32_e64 v1, v17, v15, s[36:37]
	v_cndmask_b32_e64 v0, v16, v14, s[36:37]
	;; [unrolled: 1-line block ×4, first 2 shown]
	v_mov_b64_e32 v[16:17], v[0:1]
; %bb.607:
	s_or_b64 exec, exec, s[14:15]
.LBB993_608:
	s_or_b64 exec, exec, s[30:31]
	v_cmp_lt_u32_e32 vcc, 3, v32
	s_xor_b64 s[30:31], s[28:29], -1
	s_and_b64 s[34:35], vcc, s[30:31]
	s_and_saveexec_b64 s[36:37], s[34:35]
	s_cbranch_execz .LBB993_616
; %bb.609:
	v_mov_b64_e32 v[22:23], s[22:23]
	v_mad_u64_u32 v[0:1], s[14:15], v12, s20, v[22:23]
	v_mul_lo_u32 v33, v12, s21
	v_mul_lo_u32 v34, v13, s20
	v_add3_u32 v1, v34, v1, v33
	v_mad_u64_u32 v[22:23], s[14:15], v10, s20, v[22:23]
	v_mul_lo_u32 v33, v10, s21
	v_mul_lo_u32 v34, v11, s20
	v_add3_u32 v23, v34, v23, v33
	s_mov_b64 s[40:41], 0
	s_mov_b64 s[50:51], s[20:21]
                                        ; implicit-def: $sgpr38_sgpr39
                                        ; implicit-def: $sgpr42_sgpr43
                                        ; implicit-def: $sgpr46_sgpr47
                                        ; implicit-def: $sgpr44_sgpr45
                                        ; implicit-def: $sgpr48_sgpr49
	s_branch .LBB993_611
.LBB993_610:                            ;   in Loop: Header=BB993_611 Depth=1
	s_or_b64 exec, exec, s[52:53]
	s_and_b64 s[52:53], vcc, s[14:15]
	s_or_b64 s[14:15], vcc, s[14:15]
	s_and_b64 s[14:15], s[14:15], s[48:49]
	s_or_b64 s[14:15], s[52:53], s[14:15]
	s_and_b64 s[52:53], exec, s[46:47]
	s_or_b64 s[40:41], s[52:53], s[40:41]
	s_andn2_b64 s[48:49], s[48:49], exec
	s_and_b64 s[14:15], s[14:15], exec
	s_andn2_b64 s[42:43], s[42:43], exec
	s_and_b64 s[52:53], s[44:45], exec
	s_andn2_b64 s[38:39], s[38:39], exec
	s_or_b64 s[48:49], s[48:49], s[14:15]
	s_or_b64 s[42:43], s[42:43], s[52:53]
	;; [unrolled: 1-line block ×3, first 2 shown]
	s_andn2_b64 exec, exec, s[40:41]
	s_cbranch_execz .LBB993_613
.LBB993_611:                            ; =>This Inner Loop Header: Depth=1
	global_load_ubyte v33, v[0:1], off
	global_load_ubyte v34, v[22:23], off
	s_or_b64 s[44:45], s[44:45], exec
	s_or_b64 s[46:47], s[46:47], exec
	s_waitcnt vmcnt(1)
	v_cmp_eq_u16_e32 vcc, 0, v33
	s_waitcnt vmcnt(0)
	v_cmp_ne_u16_e64 s[14:15], 0, v34
	s_xor_b64 s[54:55], vcc, s[14:15]
	s_and_saveexec_b64 s[52:53], s[54:55]
	s_cbranch_execz .LBB993_610
; %bb.612:                              ;   in Loop: Header=BB993_611 Depth=1
	s_add_u32 s50, s50, -1
	s_addc_u32 s51, s51, -1
	s_cmp_eq_u64 s[50:51], 0
	s_cselect_b64 s[54:55], -1, 0
	s_andn2_b64 s[46:47], s[46:47], exec
	s_and_b64 s[54:55], s[54:55], exec
	v_lshl_add_u64 v[0:1], v[0:1], 0, 1
	v_lshl_add_u64 v[22:23], v[22:23], 0, 1
	s_andn2_b64 s[44:45], s[44:45], exec
	s_or_b64 s[46:47], s[46:47], s[54:55]
	s_branch .LBB993_610
.LBB993_613:
	s_or_b64 exec, exec, s[40:41]
	s_and_saveexec_b64 s[14:15], s[42:43]
	s_xor_b64 s[14:15], exec, s[14:15]
; %bb.614:
	v_cndmask_b32_e64 v1, v11, v13, s[38:39]
	v_cndmask_b32_e64 v0, v10, v12, s[38:39]
	;; [unrolled: 1-line block ×4, first 2 shown]
	v_mov_b64_e32 v[10:11], v[0:1]
; %bb.615:
	s_or_b64 exec, exec, s[14:15]
.LBB993_616:
	s_or_b64 exec, exec, s[36:37]
	v_cmp_lt_u32_e32 vcc, 5, v32
	s_and_b64 s[36:37], vcc, s[30:31]
	s_and_saveexec_b64 s[38:39], s[36:37]
	s_cbranch_execz .LBB993_624
; %bb.617:
	v_mov_b64_e32 v[22:23], s[22:23]
	v_mad_u64_u32 v[0:1], s[14:15], v8, s20, v[22:23]
	v_mul_lo_u32 v33, v8, s21
	v_mul_lo_u32 v34, v9, s20
	v_add3_u32 v1, v34, v1, v33
	v_mad_u64_u32 v[22:23], s[14:15], v6, s20, v[22:23]
	v_mul_lo_u32 v33, v6, s21
	v_mul_lo_u32 v34, v7, s20
	v_add3_u32 v23, v34, v23, v33
	s_mov_b64 s[42:43], 0
	s_mov_b64 s[52:53], s[20:21]
                                        ; implicit-def: $sgpr40_sgpr41
                                        ; implicit-def: $sgpr44_sgpr45
                                        ; implicit-def: $sgpr48_sgpr49
                                        ; implicit-def: $sgpr46_sgpr47
                                        ; implicit-def: $sgpr50_sgpr51
	s_branch .LBB993_619
.LBB993_618:                            ;   in Loop: Header=BB993_619 Depth=1
	s_or_b64 exec, exec, s[54:55]
	s_and_b64 s[54:55], vcc, s[14:15]
	s_or_b64 s[14:15], vcc, s[14:15]
	s_and_b64 s[14:15], s[14:15], s[50:51]
	s_or_b64 s[14:15], s[54:55], s[14:15]
	s_and_b64 s[54:55], exec, s[48:49]
	s_or_b64 s[42:43], s[54:55], s[42:43]
	s_andn2_b64 s[50:51], s[50:51], exec
	s_and_b64 s[14:15], s[14:15], exec
	s_andn2_b64 s[44:45], s[44:45], exec
	s_and_b64 s[54:55], s[46:47], exec
	s_andn2_b64 s[40:41], s[40:41], exec
	s_or_b64 s[50:51], s[50:51], s[14:15]
	s_or_b64 s[44:45], s[44:45], s[54:55]
	;; [unrolled: 1-line block ×3, first 2 shown]
	s_andn2_b64 exec, exec, s[42:43]
	s_cbranch_execz .LBB993_621
.LBB993_619:                            ; =>This Inner Loop Header: Depth=1
	global_load_ubyte v33, v[0:1], off
	global_load_ubyte v34, v[22:23], off
	s_or_b64 s[46:47], s[46:47], exec
	s_or_b64 s[48:49], s[48:49], exec
	s_waitcnt vmcnt(1)
	v_cmp_eq_u16_e32 vcc, 0, v33
	s_waitcnt vmcnt(0)
	v_cmp_ne_u16_e64 s[14:15], 0, v34
	s_xor_b64 s[56:57], vcc, s[14:15]
	s_and_saveexec_b64 s[54:55], s[56:57]
	s_cbranch_execz .LBB993_618
; %bb.620:                              ;   in Loop: Header=BB993_619 Depth=1
	s_add_u32 s52, s52, -1
	s_addc_u32 s53, s53, -1
	s_cmp_eq_u64 s[52:53], 0
	s_cselect_b64 s[56:57], -1, 0
	s_andn2_b64 s[48:49], s[48:49], exec
	s_and_b64 s[56:57], s[56:57], exec
	v_lshl_add_u64 v[0:1], v[0:1], 0, 1
	v_lshl_add_u64 v[22:23], v[22:23], 0, 1
	s_andn2_b64 s[46:47], s[46:47], exec
	s_or_b64 s[48:49], s[48:49], s[56:57]
	s_branch .LBB993_618
.LBB993_621:
	s_or_b64 exec, exec, s[42:43]
	s_and_saveexec_b64 s[14:15], s[44:45]
	s_xor_b64 s[14:15], exec, s[14:15]
; %bb.622:
	v_cndmask_b32_e64 v1, v7, v9, s[40:41]
	v_cndmask_b32_e64 v0, v6, v8, s[40:41]
	v_cndmask_b32_e64 v9, v9, v7, s[40:41]
	v_cndmask_b32_e64 v8, v8, v6, s[40:41]
	v_mov_b64_e32 v[6:7], v[0:1]
; %bb.623:
	s_or_b64 exec, exec, s[14:15]
.LBB993_624:
	s_or_b64 exec, exec, s[38:39]
	v_cmp_lt_u32_e32 vcc, 7, v32
	s_and_b64 s[38:39], vcc, s[30:31]
	s_and_saveexec_b64 s[40:41], s[38:39]
	s_cbranch_execz .LBB993_632
; %bb.625:
	v_mov_b64_e32 v[22:23], s[22:23]
	v_mad_u64_u32 v[0:1], s[14:15], v4, s20, v[22:23]
	v_mul_lo_u32 v33, v4, s21
	v_mul_lo_u32 v34, v5, s20
	v_add3_u32 v1, v34, v1, v33
	v_mad_u64_u32 v[22:23], s[14:15], v2, s20, v[22:23]
	v_mul_lo_u32 v33, v2, s21
	v_mul_lo_u32 v34, v3, s20
	v_add3_u32 v23, v34, v23, v33
	s_mov_b64 s[44:45], 0
	s_mov_b64 s[54:55], s[20:21]
                                        ; implicit-def: $sgpr42_sgpr43
                                        ; implicit-def: $sgpr46_sgpr47
                                        ; implicit-def: $sgpr50_sgpr51
                                        ; implicit-def: $sgpr48_sgpr49
                                        ; implicit-def: $sgpr52_sgpr53
	s_branch .LBB993_627
.LBB993_626:                            ;   in Loop: Header=BB993_627 Depth=1
	s_or_b64 exec, exec, s[56:57]
	s_and_b64 s[56:57], vcc, s[14:15]
	s_or_b64 s[14:15], vcc, s[14:15]
	s_and_b64 s[14:15], s[14:15], s[52:53]
	s_or_b64 s[14:15], s[56:57], s[14:15]
	s_and_b64 s[56:57], exec, s[50:51]
	s_or_b64 s[44:45], s[56:57], s[44:45]
	s_andn2_b64 s[52:53], s[52:53], exec
	s_and_b64 s[14:15], s[14:15], exec
	s_andn2_b64 s[46:47], s[46:47], exec
	s_and_b64 s[56:57], s[48:49], exec
	s_andn2_b64 s[42:43], s[42:43], exec
	s_or_b64 s[52:53], s[52:53], s[14:15]
	s_or_b64 s[46:47], s[46:47], s[56:57]
	;; [unrolled: 1-line block ×3, first 2 shown]
	s_andn2_b64 exec, exec, s[44:45]
	s_cbranch_execz .LBB993_629
.LBB993_627:                            ; =>This Inner Loop Header: Depth=1
	global_load_ubyte v33, v[0:1], off
	global_load_ubyte v34, v[22:23], off
	s_or_b64 s[48:49], s[48:49], exec
	s_or_b64 s[50:51], s[50:51], exec
	s_waitcnt vmcnt(1)
	v_cmp_eq_u16_e32 vcc, 0, v33
	s_waitcnt vmcnt(0)
	v_cmp_ne_u16_e64 s[14:15], 0, v34
	s_xor_b64 s[58:59], vcc, s[14:15]
	s_and_saveexec_b64 s[56:57], s[58:59]
	s_cbranch_execz .LBB993_626
; %bb.628:                              ;   in Loop: Header=BB993_627 Depth=1
	s_add_u32 s54, s54, -1
	s_addc_u32 s55, s55, -1
	s_cmp_eq_u64 s[54:55], 0
	s_cselect_b64 s[58:59], -1, 0
	s_andn2_b64 s[50:51], s[50:51], exec
	s_and_b64 s[58:59], s[58:59], exec
	v_lshl_add_u64 v[0:1], v[0:1], 0, 1
	v_lshl_add_u64 v[22:23], v[22:23], 0, 1
	s_andn2_b64 s[48:49], s[48:49], exec
	s_or_b64 s[50:51], s[50:51], s[58:59]
	s_branch .LBB993_626
.LBB993_629:
	s_or_b64 exec, exec, s[44:45]
	s_and_saveexec_b64 s[14:15], s[46:47]
	s_xor_b64 s[14:15], exec, s[14:15]
; %bb.630:
	v_cndmask_b32_e64 v1, v3, v5, s[42:43]
	v_cndmask_b32_e64 v0, v2, v4, s[42:43]
	v_cndmask_b32_e64 v5, v5, v3, s[42:43]
	v_cndmask_b32_e64 v4, v4, v2, s[42:43]
	v_mov_b64_e32 v[2:3], v[0:1]
; %bb.631:
	s_or_b64 exec, exec, s[14:15]
.LBB993_632:
	s_or_b64 exec, exec, s[40:41]
	v_cmp_lt_u32_e32 vcc, 2, v32
	s_and_b64 s[40:41], vcc, s[30:31]
	s_and_saveexec_b64 s[14:15], s[40:41]
	s_xor_b64 s[42:43], exec, s[14:15]
	s_cbranch_execz .LBB993_640
; %bb.633:
	v_mov_b64_e32 v[22:23], s[22:23]
	v_mad_u64_u32 v[0:1], s[14:15], v10, s20, v[22:23]
	v_mul_lo_u32 v33, v10, s21
	v_mul_lo_u32 v34, v11, s20
	v_add3_u32 v1, v34, v1, v33
	v_mad_u64_u32 v[22:23], s[14:15], v16, s20, v[22:23]
	v_mul_lo_u32 v33, v16, s21
	v_mul_lo_u32 v34, v17, s20
	v_add3_u32 v23, v34, v23, v33
	s_mov_b64 s[46:47], 0
	s_mov_b64 s[56:57], s[20:21]
                                        ; implicit-def: $sgpr44_sgpr45
                                        ; implicit-def: $sgpr48_sgpr49
                                        ; implicit-def: $sgpr52_sgpr53
                                        ; implicit-def: $sgpr50_sgpr51
                                        ; implicit-def: $sgpr54_sgpr55
	s_branch .LBB993_635
.LBB993_634:                            ;   in Loop: Header=BB993_635 Depth=1
	s_or_b64 exec, exec, s[58:59]
	s_and_b64 s[58:59], vcc, s[14:15]
	s_or_b64 s[14:15], vcc, s[14:15]
	s_and_b64 s[14:15], s[14:15], s[54:55]
	s_or_b64 s[14:15], s[58:59], s[14:15]
	s_and_b64 s[58:59], exec, s[52:53]
	s_or_b64 s[46:47], s[58:59], s[46:47]
	s_andn2_b64 s[54:55], s[54:55], exec
	s_and_b64 s[14:15], s[14:15], exec
	s_andn2_b64 s[48:49], s[48:49], exec
	s_and_b64 s[58:59], s[50:51], exec
	s_andn2_b64 s[44:45], s[44:45], exec
	s_or_b64 s[54:55], s[54:55], s[14:15]
	s_or_b64 s[48:49], s[48:49], s[58:59]
	;; [unrolled: 1-line block ×3, first 2 shown]
	s_andn2_b64 exec, exec, s[46:47]
	s_cbranch_execz .LBB993_637
.LBB993_635:                            ; =>This Inner Loop Header: Depth=1
	global_load_ubyte v33, v[0:1], off
	global_load_ubyte v34, v[22:23], off
	s_or_b64 s[50:51], s[50:51], exec
	s_or_b64 s[52:53], s[52:53], exec
	s_waitcnt vmcnt(1)
	v_cmp_eq_u16_e32 vcc, 0, v33
	s_waitcnt vmcnt(0)
	v_cmp_ne_u16_e64 s[14:15], 0, v34
	s_xor_b64 s[60:61], vcc, s[14:15]
	s_and_saveexec_b64 s[58:59], s[60:61]
	s_cbranch_execz .LBB993_634
; %bb.636:                              ;   in Loop: Header=BB993_635 Depth=1
	s_add_u32 s56, s56, -1
	s_addc_u32 s57, s57, -1
	s_cmp_eq_u64 s[56:57], 0
	s_cselect_b64 s[60:61], -1, 0
	s_andn2_b64 s[52:53], s[52:53], exec
	s_and_b64 s[60:61], s[60:61], exec
	v_lshl_add_u64 v[0:1], v[0:1], 0, 1
	v_lshl_add_u64 v[22:23], v[22:23], 0, 1
	s_andn2_b64 s[50:51], s[50:51], exec
	s_or_b64 s[52:53], s[52:53], s[60:61]
	s_branch .LBB993_634
.LBB993_637:
	s_or_b64 exec, exec, s[46:47]
	s_and_saveexec_b64 s[14:15], s[48:49]
	s_xor_b64 s[14:15], exec, s[14:15]
; %bb.638:
	v_cndmask_b32_e64 v1, v17, v11, s[44:45]
	v_cndmask_b32_e64 v0, v16, v10, s[44:45]
	;; [unrolled: 1-line block ×4, first 2 shown]
	v_mov_b64_e32 v[16:17], v[0:1]
; %bb.639:
	s_or_b64 exec, exec, s[14:15]
.LBB993_640:
	s_or_b64 exec, exec, s[42:43]
	v_cmp_lt_u32_e32 vcc, 4, v32
	s_and_b64 s[42:43], vcc, s[30:31]
	s_and_saveexec_b64 s[44:45], s[42:43]
	s_cbranch_execz .LBB993_648
; %bb.641:
	v_mov_b64_e32 v[22:23], s[22:23]
	v_mad_u64_u32 v[0:1], s[14:15], v6, s20, v[22:23]
	v_mul_lo_u32 v33, v6, s21
	v_mul_lo_u32 v34, v7, s20
	v_add3_u32 v1, v34, v1, v33
	v_mad_u64_u32 v[22:23], s[14:15], v12, s20, v[22:23]
	v_mul_lo_u32 v33, v12, s21
	v_mul_lo_u32 v34, v13, s20
	v_add3_u32 v23, v34, v23, v33
	s_mov_b64 s[48:49], 0
	s_mov_b64 s[58:59], s[20:21]
                                        ; implicit-def: $sgpr46_sgpr47
                                        ; implicit-def: $sgpr50_sgpr51
                                        ; implicit-def: $sgpr54_sgpr55
                                        ; implicit-def: $sgpr52_sgpr53
                                        ; implicit-def: $sgpr56_sgpr57
	s_branch .LBB993_643
.LBB993_642:                            ;   in Loop: Header=BB993_643 Depth=1
	s_or_b64 exec, exec, s[60:61]
	s_and_b64 s[60:61], vcc, s[14:15]
	s_or_b64 s[14:15], vcc, s[14:15]
	s_and_b64 s[14:15], s[14:15], s[56:57]
	s_or_b64 s[14:15], s[60:61], s[14:15]
	s_and_b64 s[60:61], exec, s[54:55]
	s_or_b64 s[48:49], s[60:61], s[48:49]
	s_andn2_b64 s[56:57], s[56:57], exec
	s_and_b64 s[14:15], s[14:15], exec
	s_andn2_b64 s[50:51], s[50:51], exec
	s_and_b64 s[60:61], s[52:53], exec
	s_andn2_b64 s[46:47], s[46:47], exec
	s_or_b64 s[56:57], s[56:57], s[14:15]
	s_or_b64 s[50:51], s[50:51], s[60:61]
	;; [unrolled: 1-line block ×3, first 2 shown]
	s_andn2_b64 exec, exec, s[48:49]
	s_cbranch_execz .LBB993_645
.LBB993_643:                            ; =>This Inner Loop Header: Depth=1
	global_load_ubyte v33, v[0:1], off
	global_load_ubyte v34, v[22:23], off
	s_or_b64 s[52:53], s[52:53], exec
	s_or_b64 s[54:55], s[54:55], exec
	s_waitcnt vmcnt(1)
	v_cmp_eq_u16_e32 vcc, 0, v33
	s_waitcnt vmcnt(0)
	v_cmp_ne_u16_e64 s[14:15], 0, v34
	s_xor_b64 s[62:63], vcc, s[14:15]
	s_and_saveexec_b64 s[60:61], s[62:63]
	s_cbranch_execz .LBB993_642
; %bb.644:                              ;   in Loop: Header=BB993_643 Depth=1
	s_add_u32 s58, s58, -1
	s_addc_u32 s59, s59, -1
	s_cmp_eq_u64 s[58:59], 0
	s_cselect_b64 s[62:63], -1, 0
	s_andn2_b64 s[54:55], s[54:55], exec
	s_and_b64 s[62:63], s[62:63], exec
	v_lshl_add_u64 v[0:1], v[0:1], 0, 1
	v_lshl_add_u64 v[22:23], v[22:23], 0, 1
	s_andn2_b64 s[52:53], s[52:53], exec
	s_or_b64 s[54:55], s[54:55], s[62:63]
	s_branch .LBB993_642
.LBB993_645:
	s_or_b64 exec, exec, s[48:49]
	s_and_saveexec_b64 s[14:15], s[50:51]
	s_xor_b64 s[14:15], exec, s[14:15]
; %bb.646:
	v_cndmask_b32_e64 v1, v13, v7, s[46:47]
	v_cndmask_b32_e64 v0, v12, v6, s[46:47]
	;; [unrolled: 1-line block ×4, first 2 shown]
	v_mov_b64_e32 v[12:13], v[0:1]
; %bb.647:
	s_or_b64 exec, exec, s[14:15]
.LBB993_648:
	s_or_b64 exec, exec, s[44:45]
	v_cmp_lt_u32_e32 vcc, 6, v32
	s_and_b64 s[44:45], vcc, s[30:31]
	s_and_saveexec_b64 s[46:47], s[44:45]
	s_cbranch_execnz .LBB993_670
; %bb.649:
	s_or_b64 exec, exec, s[46:47]
	s_and_saveexec_b64 s[46:47], s[16:17]
	s_cbranch_execnz .LBB993_677
.LBB993_650:
	s_or_b64 exec, exec, s[46:47]
	s_and_saveexec_b64 s[46:47], s[34:35]
	s_cbranch_execnz .LBB993_684
.LBB993_651:
	s_or_b64 exec, exec, s[46:47]
	s_and_saveexec_b64 s[46:47], s[36:37]
	s_cbranch_execnz .LBB993_691
.LBB993_652:
	s_or_b64 exec, exec, s[46:47]
	s_and_saveexec_b64 s[46:47], s[38:39]
	s_cbranch_execnz .LBB993_698
.LBB993_653:
	s_or_b64 exec, exec, s[46:47]
	s_and_saveexec_b64 s[46:47], s[40:41]
	s_cbranch_execnz .LBB993_705
.LBB993_654:
	s_or_b64 exec, exec, s[46:47]
	s_and_saveexec_b64 s[46:47], s[42:43]
	s_cbranch_execnz .LBB993_712
.LBB993_655:
	s_or_b64 exec, exec, s[46:47]
	s_and_saveexec_b64 s[46:47], s[44:45]
	s_cbranch_execnz .LBB993_719
.LBB993_656:
	s_or_b64 exec, exec, s[46:47]
	s_and_saveexec_b64 s[46:47], s[16:17]
	s_cbranch_execnz .LBB993_726
.LBB993_657:
	s_or_b64 exec, exec, s[46:47]
	s_and_saveexec_b64 s[46:47], s[34:35]
	s_cbranch_execnz .LBB993_733
.LBB993_658:
	s_or_b64 exec, exec, s[46:47]
	s_and_saveexec_b64 s[46:47], s[36:37]
	s_cbranch_execnz .LBB993_740
.LBB993_659:
	s_or_b64 exec, exec, s[46:47]
	s_and_saveexec_b64 s[46:47], s[38:39]
	s_cbranch_execnz .LBB993_747
.LBB993_660:
	s_or_b64 exec, exec, s[46:47]
	s_and_saveexec_b64 s[46:47], s[40:41]
	s_cbranch_execnz .LBB993_754
.LBB993_661:
	s_or_b64 exec, exec, s[46:47]
	s_and_saveexec_b64 s[46:47], s[42:43]
	s_cbranch_execnz .LBB993_761
.LBB993_662:
	s_or_b64 exec, exec, s[46:47]
	s_and_saveexec_b64 s[46:47], s[44:45]
	s_cbranch_execnz .LBB993_768
.LBB993_663:
	s_or_b64 exec, exec, s[46:47]
	s_and_saveexec_b64 s[46:47], s[16:17]
	s_cbranch_execnz .LBB993_775
.LBB993_664:
	s_or_b64 exec, exec, s[46:47]
	s_and_saveexec_b64 s[16:17], s[34:35]
	s_cbranch_execnz .LBB993_782
.LBB993_665:
	s_or_b64 exec, exec, s[16:17]
	s_and_saveexec_b64 s[16:17], s[36:37]
	s_cbranch_execnz .LBB993_789
.LBB993_666:
	s_or_b64 exec, exec, s[16:17]
	s_and_saveexec_b64 s[16:17], s[38:39]
	s_cbranch_execnz .LBB993_796
.LBB993_667:
	s_or_b64 exec, exec, s[16:17]
	s_and_saveexec_b64 s[16:17], s[40:41]
	s_cbranch_execnz .LBB993_803
.LBB993_668:
	s_or_b64 exec, exec, s[16:17]
	s_and_saveexec_b64 s[16:17], s[42:43]
	s_cbranch_execnz .LBB993_810
.LBB993_669:
	s_or_b64 exec, exec, s[16:17]
	s_and_saveexec_b64 s[16:17], s[44:45]
	s_cbranch_execnz .LBB993_817
	s_branch .LBB993_824
.LBB993_670:
	v_mov_b64_e32 v[22:23], s[22:23]
	v_mad_u64_u32 v[0:1], s[14:15], v2, s20, v[22:23]
	v_mul_lo_u32 v32, v2, s21
	v_mul_lo_u32 v33, v3, s20
	v_add3_u32 v1, v33, v1, v32
	v_mad_u64_u32 v[22:23], s[14:15], v8, s20, v[22:23]
	v_mul_lo_u32 v32, v8, s21
	v_mul_lo_u32 v33, v9, s20
	v_add3_u32 v23, v33, v23, v32
	s_mov_b64 s[50:51], 0
	s_mov_b64 s[60:61], s[20:21]
                                        ; implicit-def: $sgpr48_sgpr49
                                        ; implicit-def: $sgpr52_sgpr53
                                        ; implicit-def: $sgpr56_sgpr57
                                        ; implicit-def: $sgpr54_sgpr55
                                        ; implicit-def: $sgpr58_sgpr59
	s_branch .LBB993_672
.LBB993_671:                            ;   in Loop: Header=BB993_672 Depth=1
	s_or_b64 exec, exec, s[62:63]
	s_and_b64 s[62:63], vcc, s[14:15]
	s_or_b64 s[14:15], vcc, s[14:15]
	s_and_b64 s[14:15], s[14:15], s[58:59]
	s_or_b64 s[14:15], s[62:63], s[14:15]
	s_and_b64 s[62:63], exec, s[56:57]
	s_or_b64 s[50:51], s[62:63], s[50:51]
	s_andn2_b64 s[58:59], s[58:59], exec
	s_and_b64 s[14:15], s[14:15], exec
	s_andn2_b64 s[52:53], s[52:53], exec
	s_and_b64 s[62:63], s[54:55], exec
	s_andn2_b64 s[48:49], s[48:49], exec
	s_or_b64 s[58:59], s[58:59], s[14:15]
	s_or_b64 s[52:53], s[52:53], s[62:63]
	;; [unrolled: 1-line block ×3, first 2 shown]
	s_andn2_b64 exec, exec, s[50:51]
	s_cbranch_execz .LBB993_674
.LBB993_672:                            ; =>This Inner Loop Header: Depth=1
	global_load_ubyte v32, v[0:1], off
	global_load_ubyte v33, v[22:23], off
	s_or_b64 s[54:55], s[54:55], exec
	s_or_b64 s[56:57], s[56:57], exec
	s_waitcnt vmcnt(1)
	v_cmp_eq_u16_e32 vcc, 0, v32
	s_waitcnt vmcnt(0)
	v_cmp_ne_u16_e64 s[14:15], 0, v33
	s_xor_b64 s[64:65], vcc, s[14:15]
	s_and_saveexec_b64 s[62:63], s[64:65]
	s_cbranch_execz .LBB993_671
; %bb.673:                              ;   in Loop: Header=BB993_672 Depth=1
	s_add_u32 s60, s60, -1
	s_addc_u32 s61, s61, -1
	s_cmp_eq_u64 s[60:61], 0
	s_cselect_b64 s[64:65], -1, 0
	s_andn2_b64 s[56:57], s[56:57], exec
	s_and_b64 s[64:65], s[64:65], exec
	v_lshl_add_u64 v[0:1], v[0:1], 0, 1
	v_lshl_add_u64 v[22:23], v[22:23], 0, 1
	s_andn2_b64 s[54:55], s[54:55], exec
	s_or_b64 s[56:57], s[56:57], s[64:65]
	s_branch .LBB993_671
.LBB993_674:
	s_or_b64 exec, exec, s[50:51]
	s_and_saveexec_b64 s[14:15], s[52:53]
	s_xor_b64 s[14:15], exec, s[14:15]
; %bb.675:
	v_cndmask_b32_e64 v1, v9, v3, s[48:49]
	v_cndmask_b32_e64 v0, v8, v2, s[48:49]
	;; [unrolled: 1-line block ×4, first 2 shown]
	v_mov_b64_e32 v[8:9], v[0:1]
; %bb.676:
	s_or_b64 exec, exec, s[14:15]
	s_or_b64 exec, exec, s[46:47]
	s_and_saveexec_b64 s[46:47], s[16:17]
	s_cbranch_execz .LBB993_650
.LBB993_677:
	v_mov_b64_e32 v[22:23], s[22:23]
	v_mad_u64_u32 v[0:1], s[14:15], v16, s20, v[22:23]
	v_mul_lo_u32 v32, v16, s21
	v_mul_lo_u32 v33, v17, s20
	v_add3_u32 v1, v33, v1, v32
	v_mad_u64_u32 v[22:23], s[14:15], v14, s20, v[22:23]
	v_mul_lo_u32 v32, v14, s21
	v_mul_lo_u32 v33, v15, s20
	v_add3_u32 v23, v33, v23, v32
	s_mov_b64 s[50:51], 0
	s_mov_b64 s[60:61], s[20:21]
                                        ; implicit-def: $sgpr48_sgpr49
                                        ; implicit-def: $sgpr52_sgpr53
                                        ; implicit-def: $sgpr56_sgpr57
                                        ; implicit-def: $sgpr54_sgpr55
                                        ; implicit-def: $sgpr58_sgpr59
	s_branch .LBB993_679
.LBB993_678:                            ;   in Loop: Header=BB993_679 Depth=1
	s_or_b64 exec, exec, s[62:63]
	s_and_b64 s[62:63], vcc, s[14:15]
	s_or_b64 s[14:15], vcc, s[14:15]
	s_and_b64 s[14:15], s[14:15], s[58:59]
	s_or_b64 s[14:15], s[62:63], s[14:15]
	s_and_b64 s[62:63], exec, s[56:57]
	s_or_b64 s[50:51], s[62:63], s[50:51]
	s_andn2_b64 s[58:59], s[58:59], exec
	s_and_b64 s[14:15], s[14:15], exec
	s_andn2_b64 s[52:53], s[52:53], exec
	s_and_b64 s[62:63], s[54:55], exec
	s_andn2_b64 s[48:49], s[48:49], exec
	s_or_b64 s[58:59], s[58:59], s[14:15]
	s_or_b64 s[52:53], s[52:53], s[62:63]
	;; [unrolled: 1-line block ×3, first 2 shown]
	s_andn2_b64 exec, exec, s[50:51]
	s_cbranch_execz .LBB993_681
.LBB993_679:                            ; =>This Inner Loop Header: Depth=1
	global_load_ubyte v32, v[0:1], off
	global_load_ubyte v33, v[22:23], off
	s_or_b64 s[54:55], s[54:55], exec
	s_or_b64 s[56:57], s[56:57], exec
	s_waitcnt vmcnt(1)
	v_cmp_eq_u16_e32 vcc, 0, v32
	s_waitcnt vmcnt(0)
	v_cmp_ne_u16_e64 s[14:15], 0, v33
	s_xor_b64 s[64:65], vcc, s[14:15]
	s_and_saveexec_b64 s[62:63], s[64:65]
	s_cbranch_execz .LBB993_678
; %bb.680:                              ;   in Loop: Header=BB993_679 Depth=1
	s_add_u32 s60, s60, -1
	s_addc_u32 s61, s61, -1
	s_cmp_eq_u64 s[60:61], 0
	s_cselect_b64 s[64:65], -1, 0
	s_andn2_b64 s[56:57], s[56:57], exec
	s_and_b64 s[64:65], s[64:65], exec
	v_lshl_add_u64 v[0:1], v[0:1], 0, 1
	v_lshl_add_u64 v[22:23], v[22:23], 0, 1
	s_andn2_b64 s[54:55], s[54:55], exec
	s_or_b64 s[56:57], s[56:57], s[64:65]
	s_branch .LBB993_678
.LBB993_681:
	s_or_b64 exec, exec, s[50:51]
	s_and_saveexec_b64 s[14:15], s[52:53]
	s_xor_b64 s[14:15], exec, s[14:15]
; %bb.682:
	v_cndmask_b32_e64 v1, v17, v15, s[48:49]
	v_cndmask_b32_e64 v0, v16, v14, s[48:49]
	;; [unrolled: 1-line block ×4, first 2 shown]
	v_mov_b64_e32 v[16:17], v[0:1]
; %bb.683:
	s_or_b64 exec, exec, s[14:15]
	s_or_b64 exec, exec, s[46:47]
	s_and_saveexec_b64 s[46:47], s[34:35]
	s_cbranch_execz .LBB993_651
.LBB993_684:
	v_mov_b64_e32 v[22:23], s[22:23]
	v_mad_u64_u32 v[0:1], s[14:15], v12, s20, v[22:23]
	v_mul_lo_u32 v32, v12, s21
	v_mul_lo_u32 v33, v13, s20
	v_add3_u32 v1, v33, v1, v32
	v_mad_u64_u32 v[22:23], s[14:15], v10, s20, v[22:23]
	v_mul_lo_u32 v32, v10, s21
	v_mul_lo_u32 v33, v11, s20
	v_add3_u32 v23, v33, v23, v32
	s_mov_b64 s[50:51], 0
	s_mov_b64 s[60:61], s[20:21]
                                        ; implicit-def: $sgpr48_sgpr49
                                        ; implicit-def: $sgpr52_sgpr53
                                        ; implicit-def: $sgpr56_sgpr57
                                        ; implicit-def: $sgpr54_sgpr55
                                        ; implicit-def: $sgpr58_sgpr59
	s_branch .LBB993_686
.LBB993_685:                            ;   in Loop: Header=BB993_686 Depth=1
	s_or_b64 exec, exec, s[62:63]
	s_and_b64 s[62:63], vcc, s[14:15]
	s_or_b64 s[14:15], vcc, s[14:15]
	s_and_b64 s[14:15], s[14:15], s[58:59]
	s_or_b64 s[14:15], s[62:63], s[14:15]
	s_and_b64 s[62:63], exec, s[56:57]
	s_or_b64 s[50:51], s[62:63], s[50:51]
	s_andn2_b64 s[58:59], s[58:59], exec
	s_and_b64 s[14:15], s[14:15], exec
	s_andn2_b64 s[52:53], s[52:53], exec
	s_and_b64 s[62:63], s[54:55], exec
	s_andn2_b64 s[48:49], s[48:49], exec
	s_or_b64 s[58:59], s[58:59], s[14:15]
	s_or_b64 s[52:53], s[52:53], s[62:63]
	;; [unrolled: 1-line block ×3, first 2 shown]
	s_andn2_b64 exec, exec, s[50:51]
	s_cbranch_execz .LBB993_688
.LBB993_686:                            ; =>This Inner Loop Header: Depth=1
	global_load_ubyte v32, v[0:1], off
	global_load_ubyte v33, v[22:23], off
	s_or_b64 s[54:55], s[54:55], exec
	s_or_b64 s[56:57], s[56:57], exec
	s_waitcnt vmcnt(1)
	v_cmp_eq_u16_e32 vcc, 0, v32
	s_waitcnt vmcnt(0)
	v_cmp_ne_u16_e64 s[14:15], 0, v33
	s_xor_b64 s[64:65], vcc, s[14:15]
	s_and_saveexec_b64 s[62:63], s[64:65]
	s_cbranch_execz .LBB993_685
; %bb.687:                              ;   in Loop: Header=BB993_686 Depth=1
	s_add_u32 s60, s60, -1
	s_addc_u32 s61, s61, -1
	s_cmp_eq_u64 s[60:61], 0
	s_cselect_b64 s[64:65], -1, 0
	s_andn2_b64 s[56:57], s[56:57], exec
	s_and_b64 s[64:65], s[64:65], exec
	v_lshl_add_u64 v[0:1], v[0:1], 0, 1
	v_lshl_add_u64 v[22:23], v[22:23], 0, 1
	s_andn2_b64 s[54:55], s[54:55], exec
	s_or_b64 s[56:57], s[56:57], s[64:65]
	s_branch .LBB993_685
.LBB993_688:
	s_or_b64 exec, exec, s[50:51]
	s_and_saveexec_b64 s[14:15], s[52:53]
	s_xor_b64 s[14:15], exec, s[14:15]
; %bb.689:
	v_cndmask_b32_e64 v1, v11, v13, s[48:49]
	v_cndmask_b32_e64 v0, v10, v12, s[48:49]
	;; [unrolled: 1-line block ×4, first 2 shown]
	v_mov_b64_e32 v[10:11], v[0:1]
; %bb.690:
	s_or_b64 exec, exec, s[14:15]
	s_or_b64 exec, exec, s[46:47]
	s_and_saveexec_b64 s[46:47], s[36:37]
	s_cbranch_execz .LBB993_652
.LBB993_691:
	v_mov_b64_e32 v[22:23], s[22:23]
	v_mad_u64_u32 v[0:1], s[14:15], v8, s20, v[22:23]
	v_mul_lo_u32 v32, v8, s21
	v_mul_lo_u32 v33, v9, s20
	v_add3_u32 v1, v33, v1, v32
	v_mad_u64_u32 v[22:23], s[14:15], v6, s20, v[22:23]
	v_mul_lo_u32 v32, v6, s21
	v_mul_lo_u32 v33, v7, s20
	v_add3_u32 v23, v33, v23, v32
	s_mov_b64 s[50:51], 0
	s_mov_b64 s[60:61], s[20:21]
                                        ; implicit-def: $sgpr48_sgpr49
                                        ; implicit-def: $sgpr52_sgpr53
                                        ; implicit-def: $sgpr56_sgpr57
                                        ; implicit-def: $sgpr54_sgpr55
                                        ; implicit-def: $sgpr58_sgpr59
	s_branch .LBB993_693
.LBB993_692:                            ;   in Loop: Header=BB993_693 Depth=1
	s_or_b64 exec, exec, s[62:63]
	s_and_b64 s[62:63], vcc, s[14:15]
	s_or_b64 s[14:15], vcc, s[14:15]
	s_and_b64 s[14:15], s[14:15], s[58:59]
	s_or_b64 s[14:15], s[62:63], s[14:15]
	s_and_b64 s[62:63], exec, s[56:57]
	s_or_b64 s[50:51], s[62:63], s[50:51]
	s_andn2_b64 s[58:59], s[58:59], exec
	s_and_b64 s[14:15], s[14:15], exec
	s_andn2_b64 s[52:53], s[52:53], exec
	s_and_b64 s[62:63], s[54:55], exec
	s_andn2_b64 s[48:49], s[48:49], exec
	s_or_b64 s[58:59], s[58:59], s[14:15]
	s_or_b64 s[52:53], s[52:53], s[62:63]
	;; [unrolled: 1-line block ×3, first 2 shown]
	s_andn2_b64 exec, exec, s[50:51]
	s_cbranch_execz .LBB993_695
.LBB993_693:                            ; =>This Inner Loop Header: Depth=1
	global_load_ubyte v32, v[0:1], off
	global_load_ubyte v33, v[22:23], off
	s_or_b64 s[54:55], s[54:55], exec
	s_or_b64 s[56:57], s[56:57], exec
	s_waitcnt vmcnt(1)
	v_cmp_eq_u16_e32 vcc, 0, v32
	s_waitcnt vmcnt(0)
	v_cmp_ne_u16_e64 s[14:15], 0, v33
	s_xor_b64 s[64:65], vcc, s[14:15]
	s_and_saveexec_b64 s[62:63], s[64:65]
	s_cbranch_execz .LBB993_692
; %bb.694:                              ;   in Loop: Header=BB993_693 Depth=1
	s_add_u32 s60, s60, -1
	s_addc_u32 s61, s61, -1
	s_cmp_eq_u64 s[60:61], 0
	s_cselect_b64 s[64:65], -1, 0
	s_andn2_b64 s[56:57], s[56:57], exec
	s_and_b64 s[64:65], s[64:65], exec
	v_lshl_add_u64 v[0:1], v[0:1], 0, 1
	v_lshl_add_u64 v[22:23], v[22:23], 0, 1
	s_andn2_b64 s[54:55], s[54:55], exec
	s_or_b64 s[56:57], s[56:57], s[64:65]
	s_branch .LBB993_692
.LBB993_695:
	s_or_b64 exec, exec, s[50:51]
	s_and_saveexec_b64 s[14:15], s[52:53]
	s_xor_b64 s[14:15], exec, s[14:15]
; %bb.696:
	v_cndmask_b32_e64 v1, v7, v9, s[48:49]
	v_cndmask_b32_e64 v0, v6, v8, s[48:49]
	;; [unrolled: 1-line block ×4, first 2 shown]
	v_mov_b64_e32 v[6:7], v[0:1]
; %bb.697:
	s_or_b64 exec, exec, s[14:15]
	s_or_b64 exec, exec, s[46:47]
	s_and_saveexec_b64 s[46:47], s[38:39]
	s_cbranch_execz .LBB993_653
.LBB993_698:
	v_mov_b64_e32 v[22:23], s[22:23]
	v_mad_u64_u32 v[0:1], s[14:15], v4, s20, v[22:23]
	v_mul_lo_u32 v32, v4, s21
	v_mul_lo_u32 v33, v5, s20
	v_add3_u32 v1, v33, v1, v32
	v_mad_u64_u32 v[22:23], s[14:15], v2, s20, v[22:23]
	v_mul_lo_u32 v32, v2, s21
	v_mul_lo_u32 v33, v3, s20
	v_add3_u32 v23, v33, v23, v32
	s_mov_b64 s[50:51], 0
	s_mov_b64 s[60:61], s[20:21]
                                        ; implicit-def: $sgpr48_sgpr49
                                        ; implicit-def: $sgpr52_sgpr53
                                        ; implicit-def: $sgpr56_sgpr57
                                        ; implicit-def: $sgpr54_sgpr55
                                        ; implicit-def: $sgpr58_sgpr59
	s_branch .LBB993_700
.LBB993_699:                            ;   in Loop: Header=BB993_700 Depth=1
	s_or_b64 exec, exec, s[62:63]
	s_and_b64 s[62:63], vcc, s[14:15]
	s_or_b64 s[14:15], vcc, s[14:15]
	s_and_b64 s[14:15], s[14:15], s[58:59]
	s_or_b64 s[14:15], s[62:63], s[14:15]
	s_and_b64 s[62:63], exec, s[56:57]
	s_or_b64 s[50:51], s[62:63], s[50:51]
	s_andn2_b64 s[58:59], s[58:59], exec
	s_and_b64 s[14:15], s[14:15], exec
	s_andn2_b64 s[52:53], s[52:53], exec
	s_and_b64 s[62:63], s[54:55], exec
	s_andn2_b64 s[48:49], s[48:49], exec
	s_or_b64 s[58:59], s[58:59], s[14:15]
	s_or_b64 s[52:53], s[52:53], s[62:63]
	;; [unrolled: 1-line block ×3, first 2 shown]
	s_andn2_b64 exec, exec, s[50:51]
	s_cbranch_execz .LBB993_702
.LBB993_700:                            ; =>This Inner Loop Header: Depth=1
	global_load_ubyte v32, v[0:1], off
	global_load_ubyte v33, v[22:23], off
	s_or_b64 s[54:55], s[54:55], exec
	s_or_b64 s[56:57], s[56:57], exec
	s_waitcnt vmcnt(1)
	v_cmp_eq_u16_e32 vcc, 0, v32
	s_waitcnt vmcnt(0)
	v_cmp_ne_u16_e64 s[14:15], 0, v33
	s_xor_b64 s[64:65], vcc, s[14:15]
	s_and_saveexec_b64 s[62:63], s[64:65]
	s_cbranch_execz .LBB993_699
; %bb.701:                              ;   in Loop: Header=BB993_700 Depth=1
	s_add_u32 s60, s60, -1
	s_addc_u32 s61, s61, -1
	s_cmp_eq_u64 s[60:61], 0
	s_cselect_b64 s[64:65], -1, 0
	s_andn2_b64 s[56:57], s[56:57], exec
	s_and_b64 s[64:65], s[64:65], exec
	v_lshl_add_u64 v[0:1], v[0:1], 0, 1
	v_lshl_add_u64 v[22:23], v[22:23], 0, 1
	s_andn2_b64 s[54:55], s[54:55], exec
	s_or_b64 s[56:57], s[56:57], s[64:65]
	s_branch .LBB993_699
.LBB993_702:
	s_or_b64 exec, exec, s[50:51]
	s_and_saveexec_b64 s[14:15], s[52:53]
	s_xor_b64 s[14:15], exec, s[14:15]
; %bb.703:
	v_cndmask_b32_e64 v1, v3, v5, s[48:49]
	v_cndmask_b32_e64 v0, v2, v4, s[48:49]
	;; [unrolled: 1-line block ×4, first 2 shown]
	v_mov_b64_e32 v[2:3], v[0:1]
; %bb.704:
	s_or_b64 exec, exec, s[14:15]
	s_or_b64 exec, exec, s[46:47]
	s_and_saveexec_b64 s[46:47], s[40:41]
	s_cbranch_execz .LBB993_654
.LBB993_705:
	v_mov_b64_e32 v[22:23], s[22:23]
	v_mad_u64_u32 v[0:1], s[14:15], v10, s20, v[22:23]
	v_mul_lo_u32 v32, v10, s21
	v_mul_lo_u32 v33, v11, s20
	v_add3_u32 v1, v33, v1, v32
	v_mad_u64_u32 v[22:23], s[14:15], v16, s20, v[22:23]
	v_mul_lo_u32 v32, v16, s21
	v_mul_lo_u32 v33, v17, s20
	v_add3_u32 v23, v33, v23, v32
	s_mov_b64 s[50:51], 0
	s_mov_b64 s[60:61], s[20:21]
                                        ; implicit-def: $sgpr48_sgpr49
                                        ; implicit-def: $sgpr52_sgpr53
                                        ; implicit-def: $sgpr56_sgpr57
                                        ; implicit-def: $sgpr54_sgpr55
                                        ; implicit-def: $sgpr58_sgpr59
	s_branch .LBB993_707
.LBB993_706:                            ;   in Loop: Header=BB993_707 Depth=1
	s_or_b64 exec, exec, s[62:63]
	s_and_b64 s[62:63], vcc, s[14:15]
	s_or_b64 s[14:15], vcc, s[14:15]
	s_and_b64 s[14:15], s[14:15], s[58:59]
	s_or_b64 s[14:15], s[62:63], s[14:15]
	s_and_b64 s[62:63], exec, s[56:57]
	s_or_b64 s[50:51], s[62:63], s[50:51]
	s_andn2_b64 s[58:59], s[58:59], exec
	s_and_b64 s[14:15], s[14:15], exec
	s_andn2_b64 s[52:53], s[52:53], exec
	s_and_b64 s[62:63], s[54:55], exec
	s_andn2_b64 s[48:49], s[48:49], exec
	s_or_b64 s[58:59], s[58:59], s[14:15]
	s_or_b64 s[52:53], s[52:53], s[62:63]
	;; [unrolled: 1-line block ×3, first 2 shown]
	s_andn2_b64 exec, exec, s[50:51]
	s_cbranch_execz .LBB993_709
.LBB993_707:                            ; =>This Inner Loop Header: Depth=1
	global_load_ubyte v32, v[0:1], off
	global_load_ubyte v33, v[22:23], off
	s_or_b64 s[54:55], s[54:55], exec
	s_or_b64 s[56:57], s[56:57], exec
	s_waitcnt vmcnt(1)
	v_cmp_eq_u16_e32 vcc, 0, v32
	s_waitcnt vmcnt(0)
	v_cmp_ne_u16_e64 s[14:15], 0, v33
	s_xor_b64 s[64:65], vcc, s[14:15]
	s_and_saveexec_b64 s[62:63], s[64:65]
	s_cbranch_execz .LBB993_706
; %bb.708:                              ;   in Loop: Header=BB993_707 Depth=1
	s_add_u32 s60, s60, -1
	s_addc_u32 s61, s61, -1
	s_cmp_eq_u64 s[60:61], 0
	s_cselect_b64 s[64:65], -1, 0
	s_andn2_b64 s[56:57], s[56:57], exec
	s_and_b64 s[64:65], s[64:65], exec
	v_lshl_add_u64 v[0:1], v[0:1], 0, 1
	v_lshl_add_u64 v[22:23], v[22:23], 0, 1
	s_andn2_b64 s[54:55], s[54:55], exec
	s_or_b64 s[56:57], s[56:57], s[64:65]
	s_branch .LBB993_706
.LBB993_709:
	s_or_b64 exec, exec, s[50:51]
	s_and_saveexec_b64 s[14:15], s[52:53]
	s_xor_b64 s[14:15], exec, s[14:15]
; %bb.710:
	v_cndmask_b32_e64 v1, v17, v11, s[48:49]
	v_cndmask_b32_e64 v0, v16, v10, s[48:49]
	;; [unrolled: 1-line block ×4, first 2 shown]
	v_mov_b64_e32 v[16:17], v[0:1]
; %bb.711:
	s_or_b64 exec, exec, s[14:15]
	s_or_b64 exec, exec, s[46:47]
	s_and_saveexec_b64 s[46:47], s[42:43]
	s_cbranch_execz .LBB993_655
.LBB993_712:
	v_mov_b64_e32 v[22:23], s[22:23]
	v_mad_u64_u32 v[0:1], s[14:15], v6, s20, v[22:23]
	v_mul_lo_u32 v32, v6, s21
	v_mul_lo_u32 v33, v7, s20
	v_add3_u32 v1, v33, v1, v32
	v_mad_u64_u32 v[22:23], s[14:15], v12, s20, v[22:23]
	v_mul_lo_u32 v32, v12, s21
	v_mul_lo_u32 v33, v13, s20
	v_add3_u32 v23, v33, v23, v32
	s_mov_b64 s[50:51], 0
	s_mov_b64 s[60:61], s[20:21]
                                        ; implicit-def: $sgpr48_sgpr49
                                        ; implicit-def: $sgpr52_sgpr53
                                        ; implicit-def: $sgpr56_sgpr57
                                        ; implicit-def: $sgpr54_sgpr55
                                        ; implicit-def: $sgpr58_sgpr59
	s_branch .LBB993_714
.LBB993_713:                            ;   in Loop: Header=BB993_714 Depth=1
	s_or_b64 exec, exec, s[62:63]
	s_and_b64 s[62:63], vcc, s[14:15]
	s_or_b64 s[14:15], vcc, s[14:15]
	s_and_b64 s[14:15], s[14:15], s[58:59]
	s_or_b64 s[14:15], s[62:63], s[14:15]
	s_and_b64 s[62:63], exec, s[56:57]
	s_or_b64 s[50:51], s[62:63], s[50:51]
	s_andn2_b64 s[58:59], s[58:59], exec
	s_and_b64 s[14:15], s[14:15], exec
	s_andn2_b64 s[52:53], s[52:53], exec
	s_and_b64 s[62:63], s[54:55], exec
	s_andn2_b64 s[48:49], s[48:49], exec
	s_or_b64 s[58:59], s[58:59], s[14:15]
	s_or_b64 s[52:53], s[52:53], s[62:63]
	;; [unrolled: 1-line block ×3, first 2 shown]
	s_andn2_b64 exec, exec, s[50:51]
	s_cbranch_execz .LBB993_716
.LBB993_714:                            ; =>This Inner Loop Header: Depth=1
	global_load_ubyte v32, v[0:1], off
	global_load_ubyte v33, v[22:23], off
	s_or_b64 s[54:55], s[54:55], exec
	s_or_b64 s[56:57], s[56:57], exec
	s_waitcnt vmcnt(1)
	v_cmp_eq_u16_e32 vcc, 0, v32
	s_waitcnt vmcnt(0)
	v_cmp_ne_u16_e64 s[14:15], 0, v33
	s_xor_b64 s[64:65], vcc, s[14:15]
	s_and_saveexec_b64 s[62:63], s[64:65]
	s_cbranch_execz .LBB993_713
; %bb.715:                              ;   in Loop: Header=BB993_714 Depth=1
	s_add_u32 s60, s60, -1
	s_addc_u32 s61, s61, -1
	s_cmp_eq_u64 s[60:61], 0
	s_cselect_b64 s[64:65], -1, 0
	s_andn2_b64 s[56:57], s[56:57], exec
	s_and_b64 s[64:65], s[64:65], exec
	v_lshl_add_u64 v[0:1], v[0:1], 0, 1
	v_lshl_add_u64 v[22:23], v[22:23], 0, 1
	s_andn2_b64 s[54:55], s[54:55], exec
	s_or_b64 s[56:57], s[56:57], s[64:65]
	s_branch .LBB993_713
.LBB993_716:
	s_or_b64 exec, exec, s[50:51]
	s_and_saveexec_b64 s[14:15], s[52:53]
	s_xor_b64 s[14:15], exec, s[14:15]
; %bb.717:
	v_cndmask_b32_e64 v1, v13, v7, s[48:49]
	v_cndmask_b32_e64 v0, v12, v6, s[48:49]
	v_cndmask_b32_e64 v7, v7, v13, s[48:49]
	v_cndmask_b32_e64 v6, v6, v12, s[48:49]
	v_mov_b64_e32 v[12:13], v[0:1]
; %bb.718:
	s_or_b64 exec, exec, s[14:15]
	s_or_b64 exec, exec, s[46:47]
	s_and_saveexec_b64 s[46:47], s[44:45]
	s_cbranch_execz .LBB993_656
.LBB993_719:
	v_mov_b64_e32 v[22:23], s[22:23]
	v_mad_u64_u32 v[0:1], s[14:15], v2, s20, v[22:23]
	v_mul_lo_u32 v32, v2, s21
	v_mul_lo_u32 v33, v3, s20
	v_add3_u32 v1, v33, v1, v32
	v_mad_u64_u32 v[22:23], s[14:15], v8, s20, v[22:23]
	v_mul_lo_u32 v32, v8, s21
	v_mul_lo_u32 v33, v9, s20
	v_add3_u32 v23, v33, v23, v32
	s_mov_b64 s[50:51], 0
	s_mov_b64 s[60:61], s[20:21]
                                        ; implicit-def: $sgpr48_sgpr49
                                        ; implicit-def: $sgpr52_sgpr53
                                        ; implicit-def: $sgpr56_sgpr57
                                        ; implicit-def: $sgpr54_sgpr55
                                        ; implicit-def: $sgpr58_sgpr59
	s_branch .LBB993_721
.LBB993_720:                            ;   in Loop: Header=BB993_721 Depth=1
	s_or_b64 exec, exec, s[62:63]
	s_and_b64 s[62:63], vcc, s[14:15]
	s_or_b64 s[14:15], vcc, s[14:15]
	s_and_b64 s[14:15], s[14:15], s[58:59]
	s_or_b64 s[14:15], s[62:63], s[14:15]
	s_and_b64 s[62:63], exec, s[56:57]
	s_or_b64 s[50:51], s[62:63], s[50:51]
	s_andn2_b64 s[58:59], s[58:59], exec
	s_and_b64 s[14:15], s[14:15], exec
	s_andn2_b64 s[52:53], s[52:53], exec
	s_and_b64 s[62:63], s[54:55], exec
	s_andn2_b64 s[48:49], s[48:49], exec
	s_or_b64 s[58:59], s[58:59], s[14:15]
	s_or_b64 s[52:53], s[52:53], s[62:63]
	;; [unrolled: 1-line block ×3, first 2 shown]
	s_andn2_b64 exec, exec, s[50:51]
	s_cbranch_execz .LBB993_723
.LBB993_721:                            ; =>This Inner Loop Header: Depth=1
	global_load_ubyte v32, v[0:1], off
	global_load_ubyte v33, v[22:23], off
	s_or_b64 s[54:55], s[54:55], exec
	s_or_b64 s[56:57], s[56:57], exec
	s_waitcnt vmcnt(1)
	v_cmp_eq_u16_e32 vcc, 0, v32
	s_waitcnt vmcnt(0)
	v_cmp_ne_u16_e64 s[14:15], 0, v33
	s_xor_b64 s[64:65], vcc, s[14:15]
	s_and_saveexec_b64 s[62:63], s[64:65]
	s_cbranch_execz .LBB993_720
; %bb.722:                              ;   in Loop: Header=BB993_721 Depth=1
	s_add_u32 s60, s60, -1
	s_addc_u32 s61, s61, -1
	s_cmp_eq_u64 s[60:61], 0
	s_cselect_b64 s[64:65], -1, 0
	s_andn2_b64 s[56:57], s[56:57], exec
	s_and_b64 s[64:65], s[64:65], exec
	v_lshl_add_u64 v[0:1], v[0:1], 0, 1
	v_lshl_add_u64 v[22:23], v[22:23], 0, 1
	s_andn2_b64 s[54:55], s[54:55], exec
	s_or_b64 s[56:57], s[56:57], s[64:65]
	s_branch .LBB993_720
.LBB993_723:
	s_or_b64 exec, exec, s[50:51]
	s_and_saveexec_b64 s[14:15], s[52:53]
	s_xor_b64 s[14:15], exec, s[14:15]
; %bb.724:
	v_cndmask_b32_e64 v1, v9, v3, s[48:49]
	v_cndmask_b32_e64 v0, v8, v2, s[48:49]
	;; [unrolled: 1-line block ×4, first 2 shown]
	v_mov_b64_e32 v[8:9], v[0:1]
; %bb.725:
	s_or_b64 exec, exec, s[14:15]
	s_or_b64 exec, exec, s[46:47]
	s_and_saveexec_b64 s[46:47], s[16:17]
	s_cbranch_execz .LBB993_657
.LBB993_726:
	v_mov_b64_e32 v[22:23], s[22:23]
	v_mad_u64_u32 v[0:1], s[14:15], v16, s20, v[22:23]
	v_mul_lo_u32 v32, v16, s21
	v_mul_lo_u32 v33, v17, s20
	v_add3_u32 v1, v33, v1, v32
	v_mad_u64_u32 v[22:23], s[14:15], v14, s20, v[22:23]
	v_mul_lo_u32 v32, v14, s21
	v_mul_lo_u32 v33, v15, s20
	v_add3_u32 v23, v33, v23, v32
	s_mov_b64 s[50:51], 0
	s_mov_b64 s[60:61], s[20:21]
                                        ; implicit-def: $sgpr48_sgpr49
                                        ; implicit-def: $sgpr52_sgpr53
                                        ; implicit-def: $sgpr56_sgpr57
                                        ; implicit-def: $sgpr54_sgpr55
                                        ; implicit-def: $sgpr58_sgpr59
	s_branch .LBB993_728
.LBB993_727:                            ;   in Loop: Header=BB993_728 Depth=1
	s_or_b64 exec, exec, s[62:63]
	s_and_b64 s[62:63], vcc, s[14:15]
	s_or_b64 s[14:15], vcc, s[14:15]
	s_and_b64 s[14:15], s[14:15], s[58:59]
	s_or_b64 s[14:15], s[62:63], s[14:15]
	s_and_b64 s[62:63], exec, s[56:57]
	s_or_b64 s[50:51], s[62:63], s[50:51]
	s_andn2_b64 s[58:59], s[58:59], exec
	s_and_b64 s[14:15], s[14:15], exec
	s_andn2_b64 s[52:53], s[52:53], exec
	s_and_b64 s[62:63], s[54:55], exec
	s_andn2_b64 s[48:49], s[48:49], exec
	s_or_b64 s[58:59], s[58:59], s[14:15]
	s_or_b64 s[52:53], s[52:53], s[62:63]
	;; [unrolled: 1-line block ×3, first 2 shown]
	s_andn2_b64 exec, exec, s[50:51]
	s_cbranch_execz .LBB993_730
.LBB993_728:                            ; =>This Inner Loop Header: Depth=1
	global_load_ubyte v32, v[0:1], off
	global_load_ubyte v33, v[22:23], off
	s_or_b64 s[54:55], s[54:55], exec
	s_or_b64 s[56:57], s[56:57], exec
	s_waitcnt vmcnt(1)
	v_cmp_eq_u16_e32 vcc, 0, v32
	s_waitcnt vmcnt(0)
	v_cmp_ne_u16_e64 s[14:15], 0, v33
	s_xor_b64 s[64:65], vcc, s[14:15]
	s_and_saveexec_b64 s[62:63], s[64:65]
	s_cbranch_execz .LBB993_727
; %bb.729:                              ;   in Loop: Header=BB993_728 Depth=1
	s_add_u32 s60, s60, -1
	s_addc_u32 s61, s61, -1
	s_cmp_eq_u64 s[60:61], 0
	s_cselect_b64 s[64:65], -1, 0
	s_andn2_b64 s[56:57], s[56:57], exec
	s_and_b64 s[64:65], s[64:65], exec
	v_lshl_add_u64 v[0:1], v[0:1], 0, 1
	v_lshl_add_u64 v[22:23], v[22:23], 0, 1
	s_andn2_b64 s[54:55], s[54:55], exec
	s_or_b64 s[56:57], s[56:57], s[64:65]
	s_branch .LBB993_727
.LBB993_730:
	s_or_b64 exec, exec, s[50:51]
	s_and_saveexec_b64 s[14:15], s[52:53]
	s_xor_b64 s[14:15], exec, s[14:15]
; %bb.731:
	v_cndmask_b32_e64 v1, v17, v15, s[48:49]
	v_cndmask_b32_e64 v0, v16, v14, s[48:49]
	;; [unrolled: 1-line block ×4, first 2 shown]
	v_mov_b64_e32 v[16:17], v[0:1]
; %bb.732:
	s_or_b64 exec, exec, s[14:15]
	s_or_b64 exec, exec, s[46:47]
	s_and_saveexec_b64 s[46:47], s[34:35]
	s_cbranch_execz .LBB993_658
.LBB993_733:
	v_mov_b64_e32 v[22:23], s[22:23]
	v_mad_u64_u32 v[0:1], s[14:15], v12, s20, v[22:23]
	v_mul_lo_u32 v32, v12, s21
	v_mul_lo_u32 v33, v13, s20
	v_add3_u32 v1, v33, v1, v32
	v_mad_u64_u32 v[22:23], s[14:15], v10, s20, v[22:23]
	v_mul_lo_u32 v32, v10, s21
	v_mul_lo_u32 v33, v11, s20
	v_add3_u32 v23, v33, v23, v32
	s_mov_b64 s[50:51], 0
	s_mov_b64 s[60:61], s[20:21]
                                        ; implicit-def: $sgpr48_sgpr49
                                        ; implicit-def: $sgpr52_sgpr53
                                        ; implicit-def: $sgpr56_sgpr57
                                        ; implicit-def: $sgpr54_sgpr55
                                        ; implicit-def: $sgpr58_sgpr59
	s_branch .LBB993_735
.LBB993_734:                            ;   in Loop: Header=BB993_735 Depth=1
	s_or_b64 exec, exec, s[62:63]
	s_and_b64 s[62:63], vcc, s[14:15]
	s_or_b64 s[14:15], vcc, s[14:15]
	s_and_b64 s[14:15], s[14:15], s[58:59]
	s_or_b64 s[14:15], s[62:63], s[14:15]
	s_and_b64 s[62:63], exec, s[56:57]
	s_or_b64 s[50:51], s[62:63], s[50:51]
	s_andn2_b64 s[58:59], s[58:59], exec
	s_and_b64 s[14:15], s[14:15], exec
	s_andn2_b64 s[52:53], s[52:53], exec
	s_and_b64 s[62:63], s[54:55], exec
	s_andn2_b64 s[48:49], s[48:49], exec
	s_or_b64 s[58:59], s[58:59], s[14:15]
	s_or_b64 s[52:53], s[52:53], s[62:63]
	;; [unrolled: 1-line block ×3, first 2 shown]
	s_andn2_b64 exec, exec, s[50:51]
	s_cbranch_execz .LBB993_737
.LBB993_735:                            ; =>This Inner Loop Header: Depth=1
	global_load_ubyte v32, v[0:1], off
	global_load_ubyte v33, v[22:23], off
	s_or_b64 s[54:55], s[54:55], exec
	s_or_b64 s[56:57], s[56:57], exec
	s_waitcnt vmcnt(1)
	v_cmp_eq_u16_e32 vcc, 0, v32
	s_waitcnt vmcnt(0)
	v_cmp_ne_u16_e64 s[14:15], 0, v33
	s_xor_b64 s[64:65], vcc, s[14:15]
	s_and_saveexec_b64 s[62:63], s[64:65]
	s_cbranch_execz .LBB993_734
; %bb.736:                              ;   in Loop: Header=BB993_735 Depth=1
	s_add_u32 s60, s60, -1
	s_addc_u32 s61, s61, -1
	s_cmp_eq_u64 s[60:61], 0
	s_cselect_b64 s[64:65], -1, 0
	s_andn2_b64 s[56:57], s[56:57], exec
	s_and_b64 s[64:65], s[64:65], exec
	v_lshl_add_u64 v[0:1], v[0:1], 0, 1
	v_lshl_add_u64 v[22:23], v[22:23], 0, 1
	s_andn2_b64 s[54:55], s[54:55], exec
	s_or_b64 s[56:57], s[56:57], s[64:65]
	s_branch .LBB993_734
.LBB993_737:
	s_or_b64 exec, exec, s[50:51]
	s_and_saveexec_b64 s[14:15], s[52:53]
	s_xor_b64 s[14:15], exec, s[14:15]
; %bb.738:
	v_cndmask_b32_e64 v1, v11, v13, s[48:49]
	v_cndmask_b32_e64 v0, v10, v12, s[48:49]
	;; [unrolled: 1-line block ×4, first 2 shown]
	v_mov_b64_e32 v[10:11], v[0:1]
; %bb.739:
	s_or_b64 exec, exec, s[14:15]
	s_or_b64 exec, exec, s[46:47]
	s_and_saveexec_b64 s[46:47], s[36:37]
	s_cbranch_execz .LBB993_659
.LBB993_740:
	v_mov_b64_e32 v[22:23], s[22:23]
	v_mad_u64_u32 v[0:1], s[14:15], v8, s20, v[22:23]
	v_mul_lo_u32 v32, v8, s21
	v_mul_lo_u32 v33, v9, s20
	v_add3_u32 v1, v33, v1, v32
	v_mad_u64_u32 v[22:23], s[14:15], v6, s20, v[22:23]
	v_mul_lo_u32 v32, v6, s21
	v_mul_lo_u32 v33, v7, s20
	v_add3_u32 v23, v33, v23, v32
	s_mov_b64 s[50:51], 0
	s_mov_b64 s[60:61], s[20:21]
                                        ; implicit-def: $sgpr48_sgpr49
                                        ; implicit-def: $sgpr52_sgpr53
                                        ; implicit-def: $sgpr56_sgpr57
                                        ; implicit-def: $sgpr54_sgpr55
                                        ; implicit-def: $sgpr58_sgpr59
	s_branch .LBB993_742
.LBB993_741:                            ;   in Loop: Header=BB993_742 Depth=1
	s_or_b64 exec, exec, s[62:63]
	s_and_b64 s[62:63], vcc, s[14:15]
	s_or_b64 s[14:15], vcc, s[14:15]
	s_and_b64 s[14:15], s[14:15], s[58:59]
	s_or_b64 s[14:15], s[62:63], s[14:15]
	s_and_b64 s[62:63], exec, s[56:57]
	s_or_b64 s[50:51], s[62:63], s[50:51]
	s_andn2_b64 s[58:59], s[58:59], exec
	s_and_b64 s[14:15], s[14:15], exec
	s_andn2_b64 s[52:53], s[52:53], exec
	s_and_b64 s[62:63], s[54:55], exec
	s_andn2_b64 s[48:49], s[48:49], exec
	s_or_b64 s[58:59], s[58:59], s[14:15]
	s_or_b64 s[52:53], s[52:53], s[62:63]
	;; [unrolled: 1-line block ×3, first 2 shown]
	s_andn2_b64 exec, exec, s[50:51]
	s_cbranch_execz .LBB993_744
.LBB993_742:                            ; =>This Inner Loop Header: Depth=1
	global_load_ubyte v32, v[0:1], off
	global_load_ubyte v33, v[22:23], off
	s_or_b64 s[54:55], s[54:55], exec
	s_or_b64 s[56:57], s[56:57], exec
	s_waitcnt vmcnt(1)
	v_cmp_eq_u16_e32 vcc, 0, v32
	s_waitcnt vmcnt(0)
	v_cmp_ne_u16_e64 s[14:15], 0, v33
	s_xor_b64 s[64:65], vcc, s[14:15]
	s_and_saveexec_b64 s[62:63], s[64:65]
	s_cbranch_execz .LBB993_741
; %bb.743:                              ;   in Loop: Header=BB993_742 Depth=1
	s_add_u32 s60, s60, -1
	s_addc_u32 s61, s61, -1
	s_cmp_eq_u64 s[60:61], 0
	s_cselect_b64 s[64:65], -1, 0
	s_andn2_b64 s[56:57], s[56:57], exec
	s_and_b64 s[64:65], s[64:65], exec
	v_lshl_add_u64 v[0:1], v[0:1], 0, 1
	v_lshl_add_u64 v[22:23], v[22:23], 0, 1
	s_andn2_b64 s[54:55], s[54:55], exec
	s_or_b64 s[56:57], s[56:57], s[64:65]
	s_branch .LBB993_741
.LBB993_744:
	s_or_b64 exec, exec, s[50:51]
	s_and_saveexec_b64 s[14:15], s[52:53]
	s_xor_b64 s[14:15], exec, s[14:15]
; %bb.745:
	v_cndmask_b32_e64 v1, v7, v9, s[48:49]
	v_cndmask_b32_e64 v0, v6, v8, s[48:49]
	;; [unrolled: 1-line block ×4, first 2 shown]
	v_mov_b64_e32 v[6:7], v[0:1]
; %bb.746:
	s_or_b64 exec, exec, s[14:15]
	s_or_b64 exec, exec, s[46:47]
	s_and_saveexec_b64 s[46:47], s[38:39]
	s_cbranch_execz .LBB993_660
.LBB993_747:
	v_mov_b64_e32 v[22:23], s[22:23]
	v_mad_u64_u32 v[0:1], s[14:15], v4, s20, v[22:23]
	v_mul_lo_u32 v32, v4, s21
	v_mul_lo_u32 v33, v5, s20
	v_add3_u32 v1, v33, v1, v32
	v_mad_u64_u32 v[22:23], s[14:15], v2, s20, v[22:23]
	v_mul_lo_u32 v32, v2, s21
	v_mul_lo_u32 v33, v3, s20
	v_add3_u32 v23, v33, v23, v32
	s_mov_b64 s[50:51], 0
	s_mov_b64 s[60:61], s[20:21]
                                        ; implicit-def: $sgpr48_sgpr49
                                        ; implicit-def: $sgpr52_sgpr53
                                        ; implicit-def: $sgpr56_sgpr57
                                        ; implicit-def: $sgpr54_sgpr55
                                        ; implicit-def: $sgpr58_sgpr59
	s_branch .LBB993_749
.LBB993_748:                            ;   in Loop: Header=BB993_749 Depth=1
	s_or_b64 exec, exec, s[62:63]
	s_and_b64 s[62:63], vcc, s[14:15]
	s_or_b64 s[14:15], vcc, s[14:15]
	s_and_b64 s[14:15], s[14:15], s[58:59]
	s_or_b64 s[14:15], s[62:63], s[14:15]
	s_and_b64 s[62:63], exec, s[56:57]
	s_or_b64 s[50:51], s[62:63], s[50:51]
	s_andn2_b64 s[58:59], s[58:59], exec
	s_and_b64 s[14:15], s[14:15], exec
	s_andn2_b64 s[52:53], s[52:53], exec
	s_and_b64 s[62:63], s[54:55], exec
	s_andn2_b64 s[48:49], s[48:49], exec
	s_or_b64 s[58:59], s[58:59], s[14:15]
	s_or_b64 s[52:53], s[52:53], s[62:63]
	;; [unrolled: 1-line block ×3, first 2 shown]
	s_andn2_b64 exec, exec, s[50:51]
	s_cbranch_execz .LBB993_751
.LBB993_749:                            ; =>This Inner Loop Header: Depth=1
	global_load_ubyte v32, v[0:1], off
	global_load_ubyte v33, v[22:23], off
	s_or_b64 s[54:55], s[54:55], exec
	s_or_b64 s[56:57], s[56:57], exec
	s_waitcnt vmcnt(1)
	v_cmp_eq_u16_e32 vcc, 0, v32
	s_waitcnt vmcnt(0)
	v_cmp_ne_u16_e64 s[14:15], 0, v33
	s_xor_b64 s[64:65], vcc, s[14:15]
	s_and_saveexec_b64 s[62:63], s[64:65]
	s_cbranch_execz .LBB993_748
; %bb.750:                              ;   in Loop: Header=BB993_749 Depth=1
	s_add_u32 s60, s60, -1
	s_addc_u32 s61, s61, -1
	s_cmp_eq_u64 s[60:61], 0
	s_cselect_b64 s[64:65], -1, 0
	s_andn2_b64 s[56:57], s[56:57], exec
	s_and_b64 s[64:65], s[64:65], exec
	v_lshl_add_u64 v[0:1], v[0:1], 0, 1
	v_lshl_add_u64 v[22:23], v[22:23], 0, 1
	s_andn2_b64 s[54:55], s[54:55], exec
	s_or_b64 s[56:57], s[56:57], s[64:65]
	s_branch .LBB993_748
.LBB993_751:
	s_or_b64 exec, exec, s[50:51]
	s_and_saveexec_b64 s[14:15], s[52:53]
	s_xor_b64 s[14:15], exec, s[14:15]
; %bb.752:
	v_cndmask_b32_e64 v1, v3, v5, s[48:49]
	v_cndmask_b32_e64 v0, v2, v4, s[48:49]
	;; [unrolled: 1-line block ×4, first 2 shown]
	v_mov_b64_e32 v[2:3], v[0:1]
; %bb.753:
	s_or_b64 exec, exec, s[14:15]
	s_or_b64 exec, exec, s[46:47]
	s_and_saveexec_b64 s[46:47], s[40:41]
	s_cbranch_execz .LBB993_661
.LBB993_754:
	v_mov_b64_e32 v[22:23], s[22:23]
	v_mad_u64_u32 v[0:1], s[14:15], v10, s20, v[22:23]
	v_mul_lo_u32 v32, v10, s21
	v_mul_lo_u32 v33, v11, s20
	v_add3_u32 v1, v33, v1, v32
	v_mad_u64_u32 v[22:23], s[14:15], v16, s20, v[22:23]
	v_mul_lo_u32 v32, v16, s21
	v_mul_lo_u32 v33, v17, s20
	v_add3_u32 v23, v33, v23, v32
	s_mov_b64 s[50:51], 0
	s_mov_b64 s[60:61], s[20:21]
                                        ; implicit-def: $sgpr48_sgpr49
                                        ; implicit-def: $sgpr52_sgpr53
                                        ; implicit-def: $sgpr56_sgpr57
                                        ; implicit-def: $sgpr54_sgpr55
                                        ; implicit-def: $sgpr58_sgpr59
	s_branch .LBB993_756
.LBB993_755:                            ;   in Loop: Header=BB993_756 Depth=1
	s_or_b64 exec, exec, s[62:63]
	s_and_b64 s[62:63], vcc, s[14:15]
	s_or_b64 s[14:15], vcc, s[14:15]
	s_and_b64 s[14:15], s[14:15], s[58:59]
	s_or_b64 s[14:15], s[62:63], s[14:15]
	s_and_b64 s[62:63], exec, s[56:57]
	s_or_b64 s[50:51], s[62:63], s[50:51]
	s_andn2_b64 s[58:59], s[58:59], exec
	s_and_b64 s[14:15], s[14:15], exec
	s_andn2_b64 s[52:53], s[52:53], exec
	s_and_b64 s[62:63], s[54:55], exec
	s_andn2_b64 s[48:49], s[48:49], exec
	s_or_b64 s[58:59], s[58:59], s[14:15]
	s_or_b64 s[52:53], s[52:53], s[62:63]
	s_or_b64 s[48:49], s[48:49], s[14:15]
	s_andn2_b64 exec, exec, s[50:51]
	s_cbranch_execz .LBB993_758
.LBB993_756:                            ; =>This Inner Loop Header: Depth=1
	global_load_ubyte v32, v[0:1], off
	global_load_ubyte v33, v[22:23], off
	s_or_b64 s[54:55], s[54:55], exec
	s_or_b64 s[56:57], s[56:57], exec
	s_waitcnt vmcnt(1)
	v_cmp_eq_u16_e32 vcc, 0, v32
	s_waitcnt vmcnt(0)
	v_cmp_ne_u16_e64 s[14:15], 0, v33
	s_xor_b64 s[64:65], vcc, s[14:15]
	s_and_saveexec_b64 s[62:63], s[64:65]
	s_cbranch_execz .LBB993_755
; %bb.757:                              ;   in Loop: Header=BB993_756 Depth=1
	s_add_u32 s60, s60, -1
	s_addc_u32 s61, s61, -1
	s_cmp_eq_u64 s[60:61], 0
	s_cselect_b64 s[64:65], -1, 0
	s_andn2_b64 s[56:57], s[56:57], exec
	s_and_b64 s[64:65], s[64:65], exec
	v_lshl_add_u64 v[0:1], v[0:1], 0, 1
	v_lshl_add_u64 v[22:23], v[22:23], 0, 1
	s_andn2_b64 s[54:55], s[54:55], exec
	s_or_b64 s[56:57], s[56:57], s[64:65]
	s_branch .LBB993_755
.LBB993_758:
	s_or_b64 exec, exec, s[50:51]
	s_and_saveexec_b64 s[14:15], s[52:53]
	s_xor_b64 s[14:15], exec, s[14:15]
; %bb.759:
	v_cndmask_b32_e64 v1, v17, v11, s[48:49]
	v_cndmask_b32_e64 v0, v16, v10, s[48:49]
	;; [unrolled: 1-line block ×4, first 2 shown]
	v_mov_b64_e32 v[16:17], v[0:1]
; %bb.760:
	s_or_b64 exec, exec, s[14:15]
	s_or_b64 exec, exec, s[46:47]
	s_and_saveexec_b64 s[46:47], s[42:43]
	s_cbranch_execz .LBB993_662
.LBB993_761:
	v_mov_b64_e32 v[22:23], s[22:23]
	v_mad_u64_u32 v[0:1], s[14:15], v6, s20, v[22:23]
	v_mul_lo_u32 v32, v6, s21
	v_mul_lo_u32 v33, v7, s20
	v_add3_u32 v1, v33, v1, v32
	v_mad_u64_u32 v[22:23], s[14:15], v12, s20, v[22:23]
	v_mul_lo_u32 v32, v12, s21
	v_mul_lo_u32 v33, v13, s20
	v_add3_u32 v23, v33, v23, v32
	s_mov_b64 s[50:51], 0
	s_mov_b64 s[60:61], s[20:21]
                                        ; implicit-def: $sgpr48_sgpr49
                                        ; implicit-def: $sgpr52_sgpr53
                                        ; implicit-def: $sgpr56_sgpr57
                                        ; implicit-def: $sgpr54_sgpr55
                                        ; implicit-def: $sgpr58_sgpr59
	s_branch .LBB993_763
.LBB993_762:                            ;   in Loop: Header=BB993_763 Depth=1
	s_or_b64 exec, exec, s[62:63]
	s_and_b64 s[62:63], vcc, s[14:15]
	s_or_b64 s[14:15], vcc, s[14:15]
	s_and_b64 s[14:15], s[14:15], s[58:59]
	s_or_b64 s[14:15], s[62:63], s[14:15]
	s_and_b64 s[62:63], exec, s[56:57]
	s_or_b64 s[50:51], s[62:63], s[50:51]
	s_andn2_b64 s[58:59], s[58:59], exec
	s_and_b64 s[14:15], s[14:15], exec
	s_andn2_b64 s[52:53], s[52:53], exec
	s_and_b64 s[62:63], s[54:55], exec
	s_andn2_b64 s[48:49], s[48:49], exec
	s_or_b64 s[58:59], s[58:59], s[14:15]
	s_or_b64 s[52:53], s[52:53], s[62:63]
	;; [unrolled: 1-line block ×3, first 2 shown]
	s_andn2_b64 exec, exec, s[50:51]
	s_cbranch_execz .LBB993_765
.LBB993_763:                            ; =>This Inner Loop Header: Depth=1
	global_load_ubyte v32, v[0:1], off
	global_load_ubyte v33, v[22:23], off
	s_or_b64 s[54:55], s[54:55], exec
	s_or_b64 s[56:57], s[56:57], exec
	s_waitcnt vmcnt(1)
	v_cmp_eq_u16_e32 vcc, 0, v32
	s_waitcnt vmcnt(0)
	v_cmp_ne_u16_e64 s[14:15], 0, v33
	s_xor_b64 s[64:65], vcc, s[14:15]
	s_and_saveexec_b64 s[62:63], s[64:65]
	s_cbranch_execz .LBB993_762
; %bb.764:                              ;   in Loop: Header=BB993_763 Depth=1
	s_add_u32 s60, s60, -1
	s_addc_u32 s61, s61, -1
	s_cmp_eq_u64 s[60:61], 0
	s_cselect_b64 s[64:65], -1, 0
	s_andn2_b64 s[56:57], s[56:57], exec
	s_and_b64 s[64:65], s[64:65], exec
	v_lshl_add_u64 v[0:1], v[0:1], 0, 1
	v_lshl_add_u64 v[22:23], v[22:23], 0, 1
	s_andn2_b64 s[54:55], s[54:55], exec
	s_or_b64 s[56:57], s[56:57], s[64:65]
	s_branch .LBB993_762
.LBB993_765:
	s_or_b64 exec, exec, s[50:51]
	s_and_saveexec_b64 s[14:15], s[52:53]
	s_xor_b64 s[14:15], exec, s[14:15]
; %bb.766:
	v_cndmask_b32_e64 v1, v13, v7, s[48:49]
	v_cndmask_b32_e64 v0, v12, v6, s[48:49]
	;; [unrolled: 1-line block ×4, first 2 shown]
	v_mov_b64_e32 v[12:13], v[0:1]
; %bb.767:
	s_or_b64 exec, exec, s[14:15]
	s_or_b64 exec, exec, s[46:47]
	s_and_saveexec_b64 s[46:47], s[44:45]
	s_cbranch_execz .LBB993_663
.LBB993_768:
	v_mov_b64_e32 v[22:23], s[22:23]
	v_mad_u64_u32 v[0:1], s[14:15], v2, s20, v[22:23]
	v_mul_lo_u32 v32, v2, s21
	v_mul_lo_u32 v33, v3, s20
	v_add3_u32 v1, v33, v1, v32
	v_mad_u64_u32 v[22:23], s[14:15], v8, s20, v[22:23]
	v_mul_lo_u32 v32, v8, s21
	v_mul_lo_u32 v33, v9, s20
	v_add3_u32 v23, v33, v23, v32
	s_mov_b64 s[50:51], 0
	s_mov_b64 s[60:61], s[20:21]
                                        ; implicit-def: $sgpr48_sgpr49
                                        ; implicit-def: $sgpr52_sgpr53
                                        ; implicit-def: $sgpr56_sgpr57
                                        ; implicit-def: $sgpr54_sgpr55
                                        ; implicit-def: $sgpr58_sgpr59
	s_branch .LBB993_770
.LBB993_769:                            ;   in Loop: Header=BB993_770 Depth=1
	s_or_b64 exec, exec, s[62:63]
	s_and_b64 s[62:63], vcc, s[14:15]
	s_or_b64 s[14:15], vcc, s[14:15]
	s_and_b64 s[14:15], s[14:15], s[58:59]
	s_or_b64 s[14:15], s[62:63], s[14:15]
	s_and_b64 s[62:63], exec, s[56:57]
	s_or_b64 s[50:51], s[62:63], s[50:51]
	s_andn2_b64 s[58:59], s[58:59], exec
	s_and_b64 s[14:15], s[14:15], exec
	s_andn2_b64 s[52:53], s[52:53], exec
	s_and_b64 s[62:63], s[54:55], exec
	s_andn2_b64 s[48:49], s[48:49], exec
	s_or_b64 s[58:59], s[58:59], s[14:15]
	s_or_b64 s[52:53], s[52:53], s[62:63]
	s_or_b64 s[48:49], s[48:49], s[14:15]
	s_andn2_b64 exec, exec, s[50:51]
	s_cbranch_execz .LBB993_772
.LBB993_770:                            ; =>This Inner Loop Header: Depth=1
	global_load_ubyte v32, v[0:1], off
	global_load_ubyte v33, v[22:23], off
	s_or_b64 s[54:55], s[54:55], exec
	s_or_b64 s[56:57], s[56:57], exec
	s_waitcnt vmcnt(1)
	v_cmp_eq_u16_e32 vcc, 0, v32
	s_waitcnt vmcnt(0)
	v_cmp_ne_u16_e64 s[14:15], 0, v33
	s_xor_b64 s[64:65], vcc, s[14:15]
	s_and_saveexec_b64 s[62:63], s[64:65]
	s_cbranch_execz .LBB993_769
; %bb.771:                              ;   in Loop: Header=BB993_770 Depth=1
	s_add_u32 s60, s60, -1
	s_addc_u32 s61, s61, -1
	s_cmp_eq_u64 s[60:61], 0
	s_cselect_b64 s[64:65], -1, 0
	s_andn2_b64 s[56:57], s[56:57], exec
	s_and_b64 s[64:65], s[64:65], exec
	v_lshl_add_u64 v[0:1], v[0:1], 0, 1
	v_lshl_add_u64 v[22:23], v[22:23], 0, 1
	s_andn2_b64 s[54:55], s[54:55], exec
	s_or_b64 s[56:57], s[56:57], s[64:65]
	s_branch .LBB993_769
.LBB993_772:
	s_or_b64 exec, exec, s[50:51]
	s_and_saveexec_b64 s[14:15], s[52:53]
	s_xor_b64 s[14:15], exec, s[14:15]
; %bb.773:
	v_cndmask_b32_e64 v1, v9, v3, s[48:49]
	v_cndmask_b32_e64 v0, v8, v2, s[48:49]
	;; [unrolled: 1-line block ×4, first 2 shown]
	v_mov_b64_e32 v[8:9], v[0:1]
; %bb.774:
	s_or_b64 exec, exec, s[14:15]
	s_or_b64 exec, exec, s[46:47]
	s_and_saveexec_b64 s[46:47], s[16:17]
	s_cbranch_execz .LBB993_664
.LBB993_775:
	v_mov_b64_e32 v[22:23], s[22:23]
	v_mad_u64_u32 v[0:1], s[14:15], v16, s20, v[22:23]
	v_mul_lo_u32 v32, v16, s21
	v_mul_lo_u32 v33, v17, s20
	v_add3_u32 v1, v33, v1, v32
	v_mad_u64_u32 v[22:23], s[14:15], v14, s20, v[22:23]
	v_mul_lo_u32 v32, v14, s21
	v_mul_lo_u32 v33, v15, s20
	v_add3_u32 v23, v33, v23, v32
	s_mov_b64 s[48:49], 0
	s_mov_b64 s[58:59], s[20:21]
                                        ; implicit-def: $sgpr16_sgpr17
                                        ; implicit-def: $sgpr50_sgpr51
                                        ; implicit-def: $sgpr54_sgpr55
                                        ; implicit-def: $sgpr52_sgpr53
                                        ; implicit-def: $sgpr56_sgpr57
	s_branch .LBB993_777
.LBB993_776:                            ;   in Loop: Header=BB993_777 Depth=1
	s_or_b64 exec, exec, s[60:61]
	s_and_b64 s[60:61], vcc, s[14:15]
	s_or_b64 s[14:15], vcc, s[14:15]
	s_and_b64 s[14:15], s[14:15], s[56:57]
	s_or_b64 s[14:15], s[60:61], s[14:15]
	s_and_b64 s[60:61], exec, s[54:55]
	s_or_b64 s[48:49], s[60:61], s[48:49]
	s_andn2_b64 s[56:57], s[56:57], exec
	s_and_b64 s[14:15], s[14:15], exec
	s_andn2_b64 s[50:51], s[50:51], exec
	s_and_b64 s[60:61], s[52:53], exec
	s_andn2_b64 s[16:17], s[16:17], exec
	s_or_b64 s[56:57], s[56:57], s[14:15]
	s_or_b64 s[50:51], s[50:51], s[60:61]
	;; [unrolled: 1-line block ×3, first 2 shown]
	s_andn2_b64 exec, exec, s[48:49]
	s_cbranch_execz .LBB993_779
.LBB993_777:                            ; =>This Inner Loop Header: Depth=1
	global_load_ubyte v32, v[0:1], off
	global_load_ubyte v33, v[22:23], off
	s_or_b64 s[52:53], s[52:53], exec
	s_or_b64 s[54:55], s[54:55], exec
	s_waitcnt vmcnt(1)
	v_cmp_eq_u16_e32 vcc, 0, v32
	s_waitcnt vmcnt(0)
	v_cmp_ne_u16_e64 s[14:15], 0, v33
	s_xor_b64 s[62:63], vcc, s[14:15]
	s_and_saveexec_b64 s[60:61], s[62:63]
	s_cbranch_execz .LBB993_776
; %bb.778:                              ;   in Loop: Header=BB993_777 Depth=1
	s_add_u32 s58, s58, -1
	s_addc_u32 s59, s59, -1
	s_cmp_eq_u64 s[58:59], 0
	s_cselect_b64 s[62:63], -1, 0
	s_andn2_b64 s[54:55], s[54:55], exec
	s_and_b64 s[62:63], s[62:63], exec
	v_lshl_add_u64 v[0:1], v[0:1], 0, 1
	v_lshl_add_u64 v[22:23], v[22:23], 0, 1
	s_andn2_b64 s[52:53], s[52:53], exec
	s_or_b64 s[54:55], s[54:55], s[62:63]
	s_branch .LBB993_776
.LBB993_779:
	s_or_b64 exec, exec, s[48:49]
	s_and_saveexec_b64 s[14:15], s[50:51]
	s_xor_b64 s[14:15], exec, s[14:15]
; %bb.780:
	v_cndmask_b32_e64 v1, v17, v15, s[16:17]
	v_cndmask_b32_e64 v0, v16, v14, s[16:17]
	;; [unrolled: 1-line block ×4, first 2 shown]
	v_mov_b64_e32 v[16:17], v[0:1]
; %bb.781:
	s_or_b64 exec, exec, s[14:15]
	s_or_b64 exec, exec, s[46:47]
	s_and_saveexec_b64 s[16:17], s[34:35]
	s_cbranch_execz .LBB993_665
.LBB993_782:
	v_mov_b64_e32 v[22:23], s[22:23]
	v_mad_u64_u32 v[0:1], s[14:15], v12, s20, v[22:23]
	v_mul_lo_u32 v32, v12, s21
	v_mul_lo_u32 v33, v13, s20
	v_add3_u32 v1, v33, v1, v32
	v_mad_u64_u32 v[22:23], s[14:15], v10, s20, v[22:23]
	v_mul_lo_u32 v32, v10, s21
	v_mul_lo_u32 v33, v11, s20
	v_add3_u32 v23, v33, v23, v32
	s_mov_b64 s[46:47], 0
	s_mov_b64 s[56:57], s[20:21]
                                        ; implicit-def: $sgpr34_sgpr35
                                        ; implicit-def: $sgpr48_sgpr49
                                        ; implicit-def: $sgpr52_sgpr53
                                        ; implicit-def: $sgpr50_sgpr51
                                        ; implicit-def: $sgpr54_sgpr55
	s_branch .LBB993_784
.LBB993_783:                            ;   in Loop: Header=BB993_784 Depth=1
	s_or_b64 exec, exec, s[58:59]
	s_and_b64 s[58:59], vcc, s[14:15]
	s_or_b64 s[14:15], vcc, s[14:15]
	s_and_b64 s[14:15], s[14:15], s[54:55]
	s_or_b64 s[14:15], s[58:59], s[14:15]
	s_and_b64 s[58:59], exec, s[52:53]
	s_or_b64 s[46:47], s[58:59], s[46:47]
	s_andn2_b64 s[54:55], s[54:55], exec
	s_and_b64 s[14:15], s[14:15], exec
	s_andn2_b64 s[48:49], s[48:49], exec
	s_and_b64 s[58:59], s[50:51], exec
	s_andn2_b64 s[34:35], s[34:35], exec
	s_or_b64 s[54:55], s[54:55], s[14:15]
	s_or_b64 s[48:49], s[48:49], s[58:59]
	;; [unrolled: 1-line block ×3, first 2 shown]
	s_andn2_b64 exec, exec, s[46:47]
	s_cbranch_execz .LBB993_786
.LBB993_784:                            ; =>This Inner Loop Header: Depth=1
	global_load_ubyte v32, v[0:1], off
	global_load_ubyte v33, v[22:23], off
	s_or_b64 s[50:51], s[50:51], exec
	s_or_b64 s[52:53], s[52:53], exec
	s_waitcnt vmcnt(1)
	v_cmp_eq_u16_e32 vcc, 0, v32
	s_waitcnt vmcnt(0)
	v_cmp_ne_u16_e64 s[14:15], 0, v33
	s_xor_b64 s[60:61], vcc, s[14:15]
	s_and_saveexec_b64 s[58:59], s[60:61]
	s_cbranch_execz .LBB993_783
; %bb.785:                              ;   in Loop: Header=BB993_784 Depth=1
	s_add_u32 s56, s56, -1
	s_addc_u32 s57, s57, -1
	s_cmp_eq_u64 s[56:57], 0
	s_cselect_b64 s[60:61], -1, 0
	s_andn2_b64 s[52:53], s[52:53], exec
	s_and_b64 s[60:61], s[60:61], exec
	v_lshl_add_u64 v[0:1], v[0:1], 0, 1
	v_lshl_add_u64 v[22:23], v[22:23], 0, 1
	s_andn2_b64 s[50:51], s[50:51], exec
	s_or_b64 s[52:53], s[52:53], s[60:61]
	s_branch .LBB993_783
.LBB993_786:
	s_or_b64 exec, exec, s[46:47]
	s_and_saveexec_b64 s[14:15], s[48:49]
	s_xor_b64 s[14:15], exec, s[14:15]
; %bb.787:
	v_cndmask_b32_e64 v1, v11, v13, s[34:35]
	v_cndmask_b32_e64 v0, v10, v12, s[34:35]
	;; [unrolled: 1-line block ×4, first 2 shown]
	v_mov_b64_e32 v[10:11], v[0:1]
; %bb.788:
	s_or_b64 exec, exec, s[14:15]
	s_or_b64 exec, exec, s[16:17]
	s_and_saveexec_b64 s[16:17], s[36:37]
	s_cbranch_execz .LBB993_666
.LBB993_789:
	v_mov_b64_e32 v[22:23], s[22:23]
	v_mad_u64_u32 v[0:1], s[14:15], v8, s20, v[22:23]
	v_mul_lo_u32 v32, v8, s21
	v_mul_lo_u32 v33, v9, s20
	v_add3_u32 v1, v33, v1, v32
	v_mad_u64_u32 v[22:23], s[14:15], v6, s20, v[22:23]
	v_mul_lo_u32 v32, v6, s21
	v_mul_lo_u32 v33, v7, s20
	v_add3_u32 v23, v33, v23, v32
	s_mov_b64 s[36:37], 0
	s_mov_b64 s[54:55], s[20:21]
                                        ; implicit-def: $sgpr34_sgpr35
                                        ; implicit-def: $sgpr46_sgpr47
                                        ; implicit-def: $sgpr50_sgpr51
                                        ; implicit-def: $sgpr48_sgpr49
                                        ; implicit-def: $sgpr52_sgpr53
	s_branch .LBB993_791
.LBB993_790:                            ;   in Loop: Header=BB993_791 Depth=1
	s_or_b64 exec, exec, s[56:57]
	s_and_b64 s[56:57], vcc, s[14:15]
	s_or_b64 s[14:15], vcc, s[14:15]
	s_and_b64 s[14:15], s[14:15], s[52:53]
	s_or_b64 s[14:15], s[56:57], s[14:15]
	s_and_b64 s[56:57], exec, s[50:51]
	s_or_b64 s[36:37], s[56:57], s[36:37]
	s_andn2_b64 s[52:53], s[52:53], exec
	s_and_b64 s[14:15], s[14:15], exec
	s_andn2_b64 s[46:47], s[46:47], exec
	s_and_b64 s[56:57], s[48:49], exec
	s_andn2_b64 s[34:35], s[34:35], exec
	s_or_b64 s[52:53], s[52:53], s[14:15]
	s_or_b64 s[46:47], s[46:47], s[56:57]
	;; [unrolled: 1-line block ×3, first 2 shown]
	s_andn2_b64 exec, exec, s[36:37]
	s_cbranch_execz .LBB993_793
.LBB993_791:                            ; =>This Inner Loop Header: Depth=1
	global_load_ubyte v32, v[0:1], off
	global_load_ubyte v33, v[22:23], off
	s_or_b64 s[48:49], s[48:49], exec
	s_or_b64 s[50:51], s[50:51], exec
	s_waitcnt vmcnt(1)
	v_cmp_eq_u16_e32 vcc, 0, v32
	s_waitcnt vmcnt(0)
	v_cmp_ne_u16_e64 s[14:15], 0, v33
	s_xor_b64 s[58:59], vcc, s[14:15]
	s_and_saveexec_b64 s[56:57], s[58:59]
	s_cbranch_execz .LBB993_790
; %bb.792:                              ;   in Loop: Header=BB993_791 Depth=1
	s_add_u32 s54, s54, -1
	s_addc_u32 s55, s55, -1
	s_cmp_eq_u64 s[54:55], 0
	s_cselect_b64 s[58:59], -1, 0
	s_andn2_b64 s[50:51], s[50:51], exec
	s_and_b64 s[58:59], s[58:59], exec
	v_lshl_add_u64 v[0:1], v[0:1], 0, 1
	v_lshl_add_u64 v[22:23], v[22:23], 0, 1
	s_andn2_b64 s[48:49], s[48:49], exec
	s_or_b64 s[50:51], s[50:51], s[58:59]
	s_branch .LBB993_790
.LBB993_793:
	s_or_b64 exec, exec, s[36:37]
	s_and_saveexec_b64 s[14:15], s[46:47]
	s_xor_b64 s[14:15], exec, s[14:15]
; %bb.794:
	v_cndmask_b32_e64 v1, v7, v9, s[34:35]
	v_cndmask_b32_e64 v0, v6, v8, s[34:35]
	;; [unrolled: 1-line block ×4, first 2 shown]
	v_mov_b64_e32 v[6:7], v[0:1]
; %bb.795:
	s_or_b64 exec, exec, s[14:15]
	s_or_b64 exec, exec, s[16:17]
	s_and_saveexec_b64 s[16:17], s[38:39]
	s_cbranch_execz .LBB993_667
.LBB993_796:
	v_mov_b64_e32 v[22:23], s[22:23]
	v_mad_u64_u32 v[0:1], s[14:15], v4, s20, v[22:23]
	v_mul_lo_u32 v32, v4, s21
	v_mul_lo_u32 v33, v5, s20
	v_add3_u32 v1, v33, v1, v32
	v_mad_u64_u32 v[22:23], s[14:15], v2, s20, v[22:23]
	v_mul_lo_u32 v32, v2, s21
	v_mul_lo_u32 v33, v3, s20
	v_add3_u32 v23, v33, v23, v32
	s_mov_b64 s[36:37], 0
	s_mov_b64 s[52:53], s[20:21]
                                        ; implicit-def: $sgpr34_sgpr35
                                        ; implicit-def: $sgpr38_sgpr39
                                        ; implicit-def: $sgpr48_sgpr49
                                        ; implicit-def: $sgpr46_sgpr47
                                        ; implicit-def: $sgpr50_sgpr51
	s_branch .LBB993_798
.LBB993_797:                            ;   in Loop: Header=BB993_798 Depth=1
	s_or_b64 exec, exec, s[54:55]
	s_and_b64 s[54:55], vcc, s[14:15]
	s_or_b64 s[14:15], vcc, s[14:15]
	s_and_b64 s[14:15], s[14:15], s[50:51]
	s_or_b64 s[14:15], s[54:55], s[14:15]
	s_and_b64 s[54:55], exec, s[48:49]
	s_or_b64 s[36:37], s[54:55], s[36:37]
	s_andn2_b64 s[50:51], s[50:51], exec
	s_and_b64 s[14:15], s[14:15], exec
	s_andn2_b64 s[38:39], s[38:39], exec
	s_and_b64 s[54:55], s[46:47], exec
	s_andn2_b64 s[34:35], s[34:35], exec
	s_or_b64 s[50:51], s[50:51], s[14:15]
	s_or_b64 s[38:39], s[38:39], s[54:55]
	;; [unrolled: 1-line block ×3, first 2 shown]
	s_andn2_b64 exec, exec, s[36:37]
	s_cbranch_execz .LBB993_800
.LBB993_798:                            ; =>This Inner Loop Header: Depth=1
	global_load_ubyte v32, v[0:1], off
	global_load_ubyte v33, v[22:23], off
	s_or_b64 s[46:47], s[46:47], exec
	s_or_b64 s[48:49], s[48:49], exec
	s_waitcnt vmcnt(1)
	v_cmp_eq_u16_e32 vcc, 0, v32
	s_waitcnt vmcnt(0)
	v_cmp_ne_u16_e64 s[14:15], 0, v33
	s_xor_b64 s[56:57], vcc, s[14:15]
	s_and_saveexec_b64 s[54:55], s[56:57]
	s_cbranch_execz .LBB993_797
; %bb.799:                              ;   in Loop: Header=BB993_798 Depth=1
	s_add_u32 s52, s52, -1
	s_addc_u32 s53, s53, -1
	s_cmp_eq_u64 s[52:53], 0
	s_cselect_b64 s[56:57], -1, 0
	s_andn2_b64 s[48:49], s[48:49], exec
	s_and_b64 s[56:57], s[56:57], exec
	v_lshl_add_u64 v[0:1], v[0:1], 0, 1
	v_lshl_add_u64 v[22:23], v[22:23], 0, 1
	s_andn2_b64 s[46:47], s[46:47], exec
	s_or_b64 s[48:49], s[48:49], s[56:57]
	s_branch .LBB993_797
.LBB993_800:
	s_or_b64 exec, exec, s[36:37]
	s_and_saveexec_b64 s[14:15], s[38:39]
	s_xor_b64 s[14:15], exec, s[14:15]
; %bb.801:
	v_cndmask_b32_e64 v1, v3, v5, s[34:35]
	v_cndmask_b32_e64 v0, v2, v4, s[34:35]
	;; [unrolled: 1-line block ×4, first 2 shown]
	v_mov_b64_e32 v[2:3], v[0:1]
; %bb.802:
	s_or_b64 exec, exec, s[14:15]
	s_or_b64 exec, exec, s[16:17]
	s_and_saveexec_b64 s[16:17], s[40:41]
	s_cbranch_execz .LBB993_668
.LBB993_803:
	v_mov_b64_e32 v[22:23], s[22:23]
	v_mad_u64_u32 v[0:1], s[14:15], v10, s20, v[22:23]
	v_mul_lo_u32 v32, v10, s21
	v_mul_lo_u32 v33, v11, s20
	v_add3_u32 v1, v33, v1, v32
	v_mad_u64_u32 v[22:23], s[14:15], v16, s20, v[22:23]
	v_mul_lo_u32 v32, v16, s21
	v_mul_lo_u32 v33, v17, s20
	v_add3_u32 v23, v33, v23, v32
	s_mov_b64 s[36:37], 0
	s_mov_b64 s[50:51], s[20:21]
                                        ; implicit-def: $sgpr34_sgpr35
                                        ; implicit-def: $sgpr38_sgpr39
                                        ; implicit-def: $sgpr46_sgpr47
                                        ; implicit-def: $sgpr40_sgpr41
                                        ; implicit-def: $sgpr48_sgpr49
	s_branch .LBB993_805
.LBB993_804:                            ;   in Loop: Header=BB993_805 Depth=1
	s_or_b64 exec, exec, s[52:53]
	s_and_b64 s[52:53], vcc, s[14:15]
	s_or_b64 s[14:15], vcc, s[14:15]
	s_and_b64 s[14:15], s[14:15], s[48:49]
	s_or_b64 s[14:15], s[52:53], s[14:15]
	s_and_b64 s[52:53], exec, s[46:47]
	s_or_b64 s[36:37], s[52:53], s[36:37]
	s_andn2_b64 s[48:49], s[48:49], exec
	s_and_b64 s[14:15], s[14:15], exec
	s_andn2_b64 s[38:39], s[38:39], exec
	s_and_b64 s[52:53], s[40:41], exec
	s_andn2_b64 s[34:35], s[34:35], exec
	s_or_b64 s[48:49], s[48:49], s[14:15]
	s_or_b64 s[38:39], s[38:39], s[52:53]
	;; [unrolled: 1-line block ×3, first 2 shown]
	s_andn2_b64 exec, exec, s[36:37]
	s_cbranch_execz .LBB993_807
.LBB993_805:                            ; =>This Inner Loop Header: Depth=1
	global_load_ubyte v32, v[0:1], off
	global_load_ubyte v33, v[22:23], off
	s_or_b64 s[40:41], s[40:41], exec
	s_or_b64 s[46:47], s[46:47], exec
	s_waitcnt vmcnt(1)
	v_cmp_eq_u16_e32 vcc, 0, v32
	s_waitcnt vmcnt(0)
	v_cmp_ne_u16_e64 s[14:15], 0, v33
	s_xor_b64 s[54:55], vcc, s[14:15]
	s_and_saveexec_b64 s[52:53], s[54:55]
	s_cbranch_execz .LBB993_804
; %bb.806:                              ;   in Loop: Header=BB993_805 Depth=1
	s_add_u32 s50, s50, -1
	s_addc_u32 s51, s51, -1
	s_cmp_eq_u64 s[50:51], 0
	s_cselect_b64 s[54:55], -1, 0
	s_andn2_b64 s[46:47], s[46:47], exec
	s_and_b64 s[54:55], s[54:55], exec
	v_lshl_add_u64 v[0:1], v[0:1], 0, 1
	v_lshl_add_u64 v[22:23], v[22:23], 0, 1
	s_andn2_b64 s[40:41], s[40:41], exec
	s_or_b64 s[46:47], s[46:47], s[54:55]
	s_branch .LBB993_804
.LBB993_807:
	s_or_b64 exec, exec, s[36:37]
	s_and_saveexec_b64 s[14:15], s[38:39]
	s_xor_b64 s[14:15], exec, s[14:15]
; %bb.808:
	v_cndmask_b32_e64 v1, v17, v11, s[34:35]
	v_cndmask_b32_e64 v0, v16, v10, s[34:35]
	;; [unrolled: 1-line block ×4, first 2 shown]
	v_mov_b64_e32 v[16:17], v[0:1]
; %bb.809:
	s_or_b64 exec, exec, s[14:15]
	s_or_b64 exec, exec, s[16:17]
	s_and_saveexec_b64 s[16:17], s[42:43]
	s_cbranch_execz .LBB993_669
.LBB993_810:
	v_mov_b64_e32 v[22:23], s[22:23]
	v_mad_u64_u32 v[0:1], s[14:15], v6, s20, v[22:23]
	v_mul_lo_u32 v32, v6, s21
	v_mul_lo_u32 v33, v7, s20
	v_add3_u32 v1, v33, v1, v32
	v_mad_u64_u32 v[22:23], s[14:15], v12, s20, v[22:23]
	v_mul_lo_u32 v32, v12, s21
	v_mul_lo_u32 v33, v13, s20
	v_add3_u32 v23, v33, v23, v32
	s_mov_b64 s[36:37], 0
	s_mov_b64 s[48:49], s[20:21]
                                        ; implicit-def: $sgpr34_sgpr35
                                        ; implicit-def: $sgpr38_sgpr39
                                        ; implicit-def: $sgpr42_sgpr43
                                        ; implicit-def: $sgpr40_sgpr41
                                        ; implicit-def: $sgpr46_sgpr47
	s_branch .LBB993_812
.LBB993_811:                            ;   in Loop: Header=BB993_812 Depth=1
	s_or_b64 exec, exec, s[50:51]
	s_and_b64 s[50:51], vcc, s[14:15]
	s_or_b64 s[14:15], vcc, s[14:15]
	s_and_b64 s[14:15], s[14:15], s[46:47]
	s_or_b64 s[14:15], s[50:51], s[14:15]
	s_and_b64 s[50:51], exec, s[42:43]
	s_or_b64 s[36:37], s[50:51], s[36:37]
	s_andn2_b64 s[46:47], s[46:47], exec
	s_and_b64 s[14:15], s[14:15], exec
	s_andn2_b64 s[38:39], s[38:39], exec
	s_and_b64 s[50:51], s[40:41], exec
	s_andn2_b64 s[34:35], s[34:35], exec
	s_or_b64 s[46:47], s[46:47], s[14:15]
	s_or_b64 s[38:39], s[38:39], s[50:51]
	;; [unrolled: 1-line block ×3, first 2 shown]
	s_andn2_b64 exec, exec, s[36:37]
	s_cbranch_execz .LBB993_814
.LBB993_812:                            ; =>This Inner Loop Header: Depth=1
	global_load_ubyte v32, v[0:1], off
	global_load_ubyte v33, v[22:23], off
	s_or_b64 s[40:41], s[40:41], exec
	s_or_b64 s[42:43], s[42:43], exec
	s_waitcnt vmcnt(1)
	v_cmp_eq_u16_e32 vcc, 0, v32
	s_waitcnt vmcnt(0)
	v_cmp_ne_u16_e64 s[14:15], 0, v33
	s_xor_b64 s[52:53], vcc, s[14:15]
	s_and_saveexec_b64 s[50:51], s[52:53]
	s_cbranch_execz .LBB993_811
; %bb.813:                              ;   in Loop: Header=BB993_812 Depth=1
	s_add_u32 s48, s48, -1
	s_addc_u32 s49, s49, -1
	s_cmp_eq_u64 s[48:49], 0
	s_cselect_b64 s[52:53], -1, 0
	s_andn2_b64 s[42:43], s[42:43], exec
	s_and_b64 s[52:53], s[52:53], exec
	v_lshl_add_u64 v[0:1], v[0:1], 0, 1
	v_lshl_add_u64 v[22:23], v[22:23], 0, 1
	s_andn2_b64 s[40:41], s[40:41], exec
	s_or_b64 s[42:43], s[42:43], s[52:53]
	s_branch .LBB993_811
.LBB993_814:
	s_or_b64 exec, exec, s[36:37]
	s_and_saveexec_b64 s[14:15], s[38:39]
	s_xor_b64 s[14:15], exec, s[14:15]
; %bb.815:
	v_cndmask_b32_e64 v1, v13, v7, s[34:35]
	v_cndmask_b32_e64 v0, v12, v6, s[34:35]
	;; [unrolled: 1-line block ×4, first 2 shown]
	v_mov_b64_e32 v[12:13], v[0:1]
; %bb.816:
	s_or_b64 exec, exec, s[14:15]
	s_or_b64 exec, exec, s[16:17]
	s_and_saveexec_b64 s[16:17], s[44:45]
	s_cbranch_execz .LBB993_824
.LBB993_817:
	v_mov_b64_e32 v[22:23], s[22:23]
	v_mad_u64_u32 v[0:1], s[14:15], v2, s20, v[22:23]
	v_mul_lo_u32 v32, v2, s21
	v_mul_lo_u32 v33, v3, s20
	v_add3_u32 v1, v33, v1, v32
	v_mad_u64_u32 v[22:23], s[14:15], v8, s20, v[22:23]
	v_mul_lo_u32 v32, v8, s21
	v_mul_lo_u32 v33, v9, s20
	v_add3_u32 v23, v33, v23, v32
	s_mov_b64 s[36:37], 0
	s_mov_b64 s[46:47], s[20:21]
                                        ; implicit-def: $sgpr34_sgpr35
                                        ; implicit-def: $sgpr38_sgpr39
                                        ; implicit-def: $sgpr42_sgpr43
                                        ; implicit-def: $sgpr40_sgpr41
                                        ; implicit-def: $sgpr44_sgpr45
	s_branch .LBB993_819
.LBB993_818:                            ;   in Loop: Header=BB993_819 Depth=1
	s_or_b64 exec, exec, s[48:49]
	s_and_b64 s[48:49], vcc, s[14:15]
	s_or_b64 s[14:15], vcc, s[14:15]
	s_and_b64 s[14:15], s[14:15], s[44:45]
	s_or_b64 s[14:15], s[48:49], s[14:15]
	s_and_b64 s[48:49], exec, s[42:43]
	s_or_b64 s[36:37], s[48:49], s[36:37]
	s_andn2_b64 s[44:45], s[44:45], exec
	s_and_b64 s[14:15], s[14:15], exec
	s_andn2_b64 s[38:39], s[38:39], exec
	s_and_b64 s[48:49], s[40:41], exec
	s_andn2_b64 s[34:35], s[34:35], exec
	s_or_b64 s[44:45], s[44:45], s[14:15]
	s_or_b64 s[38:39], s[38:39], s[48:49]
	;; [unrolled: 1-line block ×3, first 2 shown]
	s_andn2_b64 exec, exec, s[36:37]
	s_cbranch_execz .LBB993_821
.LBB993_819:                            ; =>This Inner Loop Header: Depth=1
	global_load_ubyte v32, v[0:1], off
	global_load_ubyte v33, v[22:23], off
	s_or_b64 s[40:41], s[40:41], exec
	s_or_b64 s[42:43], s[42:43], exec
	s_waitcnt vmcnt(1)
	v_cmp_eq_u16_e32 vcc, 0, v32
	s_waitcnt vmcnt(0)
	v_cmp_ne_u16_e64 s[14:15], 0, v33
	s_xor_b64 s[50:51], vcc, s[14:15]
	s_and_saveexec_b64 s[48:49], s[50:51]
	s_cbranch_execz .LBB993_818
; %bb.820:                              ;   in Loop: Header=BB993_819 Depth=1
	s_add_u32 s46, s46, -1
	s_addc_u32 s47, s47, -1
	s_cmp_eq_u64 s[46:47], 0
	s_cselect_b64 s[50:51], -1, 0
	s_andn2_b64 s[42:43], s[42:43], exec
	s_and_b64 s[50:51], s[50:51], exec
	v_lshl_add_u64 v[0:1], v[0:1], 0, 1
	v_lshl_add_u64 v[22:23], v[22:23], 0, 1
	s_andn2_b64 s[40:41], s[40:41], exec
	s_or_b64 s[42:43], s[42:43], s[50:51]
	s_branch .LBB993_818
.LBB993_821:
	s_or_b64 exec, exec, s[36:37]
	s_and_saveexec_b64 s[14:15], s[38:39]
	s_xor_b64 s[14:15], exec, s[14:15]
; %bb.822:
	v_cndmask_b32_e64 v1, v9, v3, s[34:35]
	v_cndmask_b32_e64 v0, v8, v2, s[34:35]
	;; [unrolled: 1-line block ×4, first 2 shown]
	v_mov_b64_e32 v[8:9], v[0:1]
; %bb.823:
	s_or_b64 exec, exec, s[14:15]
.LBB993_824:
	s_or_b64 exec, exec, s[16:17]
	v_mbcnt_lo_u32_b32 v0, -1, 0
	v_mbcnt_hi_u32_b32 v0, -1, v0
	v_and_b32_e32 v1, 0xfffffe00, v31
	v_lshlrev_b32_e32 v31, 3, v1
	v_lshlrev_b32_e32 v33, 3, v0
	v_sub_u32_e64 v32, s33, v1 clamp
	v_lshl_add_u32 v34, v0, 6, v31
	v_or_b32_e32 v0, 8, v33
	v_min_u32_e32 v35, v32, v0
	v_add_u32_e32 v0, 8, v35
	v_and_b32_e32 v39, 0x3f0, v33
	v_min_u32_e32 v36, v32, v0
	v_and_b32_e32 v0, 8, v33
	v_min_u32_e32 v40, v32, v0
	v_sub_u32_e32 v0, v35, v39
	v_sub_u32_e32 v1, v36, v35
	v_sub_u32_e64 v38, v40, v1 clamp
	v_min_u32_e32 v41, v40, v0
	v_lshl_add_u32 v37, v39, 3, v31
	v_cmp_lt_u32_e32 vcc, v38, v41
	ds_write_b128 v34, v[14:17]
	ds_write_b128 v34, v[10:13] offset:16
	ds_write_b128 v34, v[6:9] offset:32
	ds_write_b128 v34, v[2:5] offset:48
	; wave barrier
	s_and_saveexec_b64 s[34:35], vcc
	s_cbranch_execz .LBB993_834
; %bb.825:
	v_lshlrev_b32_e32 v0, 3, v35
	v_lshlrev_b32_e32 v1, 3, v40
	v_add3_u32 v42, v31, v0, v1
	v_cndmask_b32_e64 v0, 0, 1, s[18:19]
	s_mov_b64 s[36:37], 0
	v_cmp_ne_u32_e64 s[14:15], 1, v0
	s_branch .LBB993_828
.LBB993_826:                            ;   in Loop: Header=BB993_828 Depth=1
	s_or_b64 exec, exec, s[40:41]
.LBB993_827:                            ;   in Loop: Header=BB993_828 Depth=1
	v_add_u32_e32 v0, 1, v43
	v_cndmask_b32_e64 v41, v41, v43, s[38:39]
	v_cndmask_b32_e64 v38, v0, v38, s[38:39]
	v_cmp_ge_u32_e32 vcc, v38, v41
	s_or_b64 s[36:37], vcc, s[36:37]
	s_andn2_b64 exec, exec, s[36:37]
	s_cbranch_execz .LBB993_833
.LBB993_828:                            ; =>This Loop Header: Depth=1
                                        ;     Child Loop BB993_831 Depth 2
	v_add_u32_e32 v0, v41, v38
	v_lshrrev_b32_e32 v43, 1, v0
	s_and_b64 vcc, exec, s[14:15]
	s_mov_b64 s[38:39], 0
	s_cbranch_vccnz .LBB993_827
; %bb.829:                              ;   in Loop: Header=BB993_828 Depth=1
	v_not_b32_e32 v0, v43
	v_lshl_add_u32 v0, v0, 3, v42
	ds_read_b64 v[0:1], v0
	v_lshl_add_u32 v44, v43, 3, v37
	ds_read_b64 v[44:45], v44
	v_mov_b64_e32 v[22:23], s[22:23]
	s_mov_b64 s[40:41], 0
	s_waitcnt lgkmcnt(1)
	v_mul_lo_u32 v46, v0, s21
	v_mul_lo_u32 v47, v1, s20
	v_mad_u64_u32 v[0:1], s[16:17], v0, s20, v[22:23]
	v_add3_u32 v1, v47, v1, v46
	s_waitcnt lgkmcnt(0)
	v_mul_lo_u32 v46, v44, s21
	v_mul_lo_u32 v45, v45, s20
	v_mad_u64_u32 v[22:23], s[16:17], v44, s20, v[22:23]
	v_add3_u32 v23, v45, v23, v46
	s_mov_b64 s[44:45], s[20:21]
                                        ; implicit-def: $sgpr38_sgpr39
                                        ; implicit-def: $sgpr42_sgpr43
                                        ; implicit-def: $sgpr16_sgpr17
                                        ; implicit-def: $sgpr46_sgpr47
	s_branch .LBB993_831
.LBB993_830:                            ;   in Loop: Header=BB993_831 Depth=2
	s_or_b64 exec, exec, s[50:51]
	s_and_b64 s[50:51], exec, s[42:43]
	s_or_b64 s[40:41], s[50:51], s[40:41]
	s_andn2_b64 s[46:47], s[46:47], exec
	s_and_b64 s[48:49], s[48:49], exec
	s_or_b64 s[46:47], s[46:47], s[48:49]
	s_andn2_b64 s[38:39], s[38:39], exec
	s_and_b64 s[48:49], s[16:17], exec
	s_or_b64 s[38:39], s[38:39], s[48:49]
	s_andn2_b64 exec, exec, s[40:41]
	s_cbranch_execz .LBB993_826
.LBB993_831:                            ;   Parent Loop BB993_828 Depth=1
                                        ; =>  This Inner Loop Header: Depth=2
	global_load_ubyte v44, v[0:1], off
	global_load_ubyte v45, v[22:23], off
	s_andn2_b64 s[50:51], s[16:17], exec
	s_or_b64 s[42:43], s[42:43], exec
	s_waitcnt vmcnt(1)
	v_cmp_eq_u16_e32 vcc, 0, v44
	s_waitcnt vmcnt(0)
	v_cmp_ne_u16_e64 s[16:17], 0, v45
	s_or_b64 s[52:53], vcc, s[16:17]
	s_and_b64 s[48:49], vcc, s[16:17]
	s_xor_b64 s[54:55], vcc, s[16:17]
	s_and_b64 s[16:17], s[52:53], s[46:47]
	s_or_b64 s[48:49], s[48:49], s[16:17]
	s_and_b64 s[16:17], s[48:49], exec
	s_or_b64 s[16:17], s[50:51], s[16:17]
	s_and_saveexec_b64 s[50:51], s[54:55]
	s_cbranch_execz .LBB993_830
; %bb.832:                              ;   in Loop: Header=BB993_831 Depth=2
	s_add_u32 s44, s44, -1
	s_addc_u32 s45, s45, -1
	s_cmp_eq_u64 s[44:45], 0
	s_cselect_b64 s[46:47], -1, 0
	s_andn2_b64 s[42:43], s[42:43], exec
	s_and_b64 s[46:47], s[46:47], exec
	v_lshl_add_u64 v[0:1], v[0:1], 0, 1
	v_lshl_add_u64 v[22:23], v[22:23], 0, 1
	s_andn2_b64 s[16:17], s[16:17], exec
	s_or_b64 s[42:43], s[42:43], s[46:47]
                                        ; implicit-def: $sgpr46_sgpr47
	s_branch .LBB993_830
.LBB993_833:
	s_or_b64 exec, exec, s[36:37]
.LBB993_834:
	s_or_b64 exec, exec, s[34:35]
	v_add_u32_e32 v0, v35, v40
	v_add_u32_e32 v23, v38, v39
	v_sub_u32_e32 v39, v0, v38
	v_cmp_le_u32_e32 vcc, v23, v35
	v_cmp_le_u32_e64 s[14:15], v39, v36
	s_or_b64 s[14:15], vcc, s[14:15]
	s_and_saveexec_b64 s[34:35], s[14:15]
	s_cbranch_execz .LBB993_902
; %bb.835:
	v_cmp_ge_u32_e32 vcc, v23, v35
	v_cmp_lt_u32_e64 s[14:15], v23, v35
                                        ; implicit-def: $vgpr0_vgpr1
	s_and_saveexec_b64 s[16:17], s[14:15]
; %bb.836:
	v_lshl_add_u32 v0, v38, 3, v37
	ds_read_b64 v[0:1], v0
; %bb.837:
	s_or_b64 exec, exec, s[16:17]
	v_cmp_ge_u32_e64 s[14:15], v39, v36
	v_cmp_lt_u32_e64 s[16:17], v39, v36
                                        ; implicit-def: $vgpr2_vgpr3
	s_and_saveexec_b64 s[36:37], s[16:17]
; %bb.838:
	v_lshl_add_u32 v2, v39, 3, v31
	ds_read_b64 v[2:3], v2
; %bb.839:
	s_or_b64 exec, exec, s[36:37]
	s_or_b64 s[16:17], vcc, s[14:15]
	s_nor_b64 s[38:39], s[16:17], s[28:29]
	s_xor_b64 s[16:17], vcc, -1
	s_or_b64 s[16:17], s[14:15], s[16:17]
	s_and_saveexec_b64 s[36:37], s[38:39]
	s_cbranch_execz .LBB993_845
; %bb.840:
	v_mov_b64_e32 v[6:7], s[22:23]
	s_waitcnt lgkmcnt(0)
	v_mad_u64_u32 v[4:5], s[14:15], v2, s20, v[6:7]
	v_mul_lo_u32 v8, v2, s21
	v_mul_lo_u32 v9, v3, s20
	v_add3_u32 v5, v9, v5, v8
	v_mad_u64_u32 v[6:7], s[14:15], v0, s20, v[6:7]
	v_mul_lo_u32 v8, v0, s21
	v_mul_lo_u32 v9, v1, s20
	v_add3_u32 v7, v9, v7, v8
	s_mov_b64 s[38:39], 0
	s_mov_b64 s[44:45], s[20:21]
                                        ; implicit-def: $sgpr40_sgpr41
                                        ; implicit-def: $sgpr42_sgpr43
                                        ; implicit-def: $sgpr14_sgpr15
                                        ; implicit-def: $sgpr46_sgpr47
	s_branch .LBB993_842
.LBB993_841:                            ;   in Loop: Header=BB993_842 Depth=1
	s_or_b64 exec, exec, s[50:51]
	s_and_b64 s[50:51], exec, s[42:43]
	s_or_b64 s[38:39], s[50:51], s[38:39]
	s_andn2_b64 s[46:47], s[46:47], exec
	s_and_b64 s[48:49], s[48:49], exec
	s_or_b64 s[46:47], s[46:47], s[48:49]
	s_andn2_b64 s[40:41], s[40:41], exec
	s_and_b64 s[48:49], s[14:15], exec
	s_or_b64 s[40:41], s[40:41], s[48:49]
	s_andn2_b64 exec, exec, s[38:39]
	s_cbranch_execz .LBB993_844
.LBB993_842:                            ; =>This Inner Loop Header: Depth=1
	global_load_ubyte v8, v[4:5], off
	global_load_ubyte v9, v[6:7], off
	s_andn2_b64 s[50:51], s[14:15], exec
	s_or_b64 s[42:43], s[42:43], exec
	s_waitcnt vmcnt(1)
	v_cmp_eq_u16_e32 vcc, 0, v8
	s_waitcnt vmcnt(0)
	v_cmp_ne_u16_e64 s[14:15], 0, v9
	s_or_b64 s[52:53], vcc, s[14:15]
	s_and_b64 s[48:49], vcc, s[14:15]
	s_xor_b64 s[54:55], vcc, s[14:15]
	s_and_b64 s[14:15], s[52:53], s[46:47]
	s_or_b64 s[48:49], s[48:49], s[14:15]
	s_and_b64 s[14:15], s[48:49], exec
	s_or_b64 s[14:15], s[50:51], s[14:15]
	s_and_saveexec_b64 s[50:51], s[54:55]
	s_cbranch_execz .LBB993_841
; %bb.843:                              ;   in Loop: Header=BB993_842 Depth=1
	s_add_u32 s44, s44, -1
	s_addc_u32 s45, s45, -1
	s_cmp_eq_u64 s[44:45], 0
	s_cselect_b64 s[46:47], -1, 0
	s_andn2_b64 s[42:43], s[42:43], exec
	s_and_b64 s[46:47], s[46:47], exec
	v_lshl_add_u64 v[4:5], v[4:5], 0, 1
	v_lshl_add_u64 v[6:7], v[6:7], 0, 1
	s_andn2_b64 s[14:15], s[14:15], exec
	s_or_b64 s[42:43], s[42:43], s[46:47]
                                        ; implicit-def: $sgpr46_sgpr47
	s_branch .LBB993_841
.LBB993_844:
	s_or_b64 exec, exec, s[38:39]
	s_xor_b64 s[14:15], s[40:41], -1
	s_andn2_b64 s[16:17], s[16:17], exec
	s_and_b64 s[14:15], s[14:15], exec
	s_or_b64 s[16:17], s[16:17], s[14:15]
.LBB993_845:
	s_or_b64 exec, exec, s[36:37]
	v_cndmask_b32_e64 v4, v39, v23, s[16:17]
	v_cndmask_b32_e64 v5, v36, v35, s[16:17]
	v_add_u32_e32 v6, 1, v4
	v_add_u32_e32 v4, -1, v5
	v_min_u32_e32 v4, v6, v4
	v_lshl_add_u32 v4, v4, 3, v31
	ds_read_b64 v[4:5], v4
	v_cndmask_b32_e64 v8, v6, v39, s[16:17]
	v_cndmask_b32_e64 v9, v23, v6, s[16:17]
	v_cmp_lt_u32_e32 vcc, v8, v36
	s_mov_b64 s[38:39], -1
	s_waitcnt lgkmcnt(0)
	v_cndmask_b32_e64 v14, v5, v3, s[16:17]
	v_cndmask_b32_e64 v15, v4, v2, s[16:17]
	;; [unrolled: 1-line block ×4, first 2 shown]
	s_mov_b64 s[36:37], -1
	s_and_saveexec_b64 s[40:41], vcc
	s_cbranch_execz .LBB993_853
; %bb.846:
	v_cmp_lt_u32_e64 s[36:37], v9, v35
	s_and_b64 s[14:15], s[36:37], s[30:31]
	s_and_saveexec_b64 s[42:43], s[14:15]
	s_cbranch_execz .LBB993_852
; %bb.847:
	v_mov_b64_e32 v[6:7], s[22:23]
	v_mad_u64_u32 v[4:5], s[14:15], v15, s20, v[6:7]
	v_mul_lo_u32 v10, v15, s21
	v_mul_lo_u32 v11, v14, s20
	v_add3_u32 v5, v11, v5, v10
	v_mad_u64_u32 v[6:7], s[14:15], v22, s20, v[6:7]
	v_mul_lo_u32 v10, v22, s21
	v_mul_lo_u32 v11, v16, s20
	v_add3_u32 v7, v11, v7, v10
	s_mov_b64 s[44:45], 0
	s_mov_b64 s[50:51], s[20:21]
                                        ; implicit-def: $sgpr46_sgpr47
                                        ; implicit-def: $sgpr48_sgpr49
                                        ; implicit-def: $sgpr14_sgpr15
                                        ; implicit-def: $sgpr52_sgpr53
	s_branch .LBB993_849
.LBB993_848:                            ;   in Loop: Header=BB993_849 Depth=1
	s_or_b64 exec, exec, s[56:57]
	s_and_b64 s[56:57], exec, s[48:49]
	s_or_b64 s[44:45], s[56:57], s[44:45]
	s_andn2_b64 s[52:53], s[52:53], exec
	s_and_b64 s[54:55], s[54:55], exec
	s_or_b64 s[52:53], s[52:53], s[54:55]
	s_andn2_b64 s[46:47], s[46:47], exec
	s_and_b64 s[54:55], s[14:15], exec
	s_or_b64 s[46:47], s[46:47], s[54:55]
	s_andn2_b64 exec, exec, s[44:45]
	s_cbranch_execz .LBB993_851
.LBB993_849:                            ; =>This Inner Loop Header: Depth=1
	global_load_ubyte v10, v[4:5], off
	global_load_ubyte v11, v[6:7], off
	s_andn2_b64 s[56:57], s[14:15], exec
	s_or_b64 s[48:49], s[48:49], exec
	s_waitcnt vmcnt(1)
	v_cmp_eq_u16_e32 vcc, 0, v10
	s_waitcnt vmcnt(0)
	v_cmp_ne_u16_e64 s[14:15], 0, v11
	s_or_b64 s[58:59], vcc, s[14:15]
	s_and_b64 s[54:55], vcc, s[14:15]
	s_xor_b64 s[60:61], vcc, s[14:15]
	s_and_b64 s[14:15], s[58:59], s[52:53]
	s_or_b64 s[54:55], s[54:55], s[14:15]
	s_and_b64 s[14:15], s[54:55], exec
	s_or_b64 s[14:15], s[56:57], s[14:15]
	s_and_saveexec_b64 s[56:57], s[60:61]
	s_cbranch_execz .LBB993_848
; %bb.850:                              ;   in Loop: Header=BB993_849 Depth=1
	s_add_u32 s50, s50, -1
	s_addc_u32 s51, s51, -1
	s_cmp_eq_u64 s[50:51], 0
	s_cselect_b64 s[52:53], -1, 0
	s_andn2_b64 s[48:49], s[48:49], exec
	s_and_b64 s[52:53], s[52:53], exec
	v_lshl_add_u64 v[4:5], v[4:5], 0, 1
	v_lshl_add_u64 v[6:7], v[6:7], 0, 1
	s_andn2_b64 s[14:15], s[14:15], exec
	s_or_b64 s[48:49], s[48:49], s[52:53]
                                        ; implicit-def: $sgpr52_sgpr53
	s_branch .LBB993_848
.LBB993_851:
	s_or_b64 exec, exec, s[44:45]
	s_xor_b64 s[14:15], s[46:47], -1
	s_andn2_b64 s[36:37], s[36:37], exec
	s_and_b64 s[14:15], s[14:15], exec
	s_or_b64 s[36:37], s[36:37], s[14:15]
.LBB993_852:
	s_or_b64 exec, exec, s[42:43]
	s_orn2_b64 s[36:37], s[36:37], exec
.LBB993_853:
	s_or_b64 exec, exec, s[40:41]
	v_cndmask_b32_e64 v4, v8, v9, s[36:37]
	v_cndmask_b32_e64 v5, v36, v35, s[36:37]
	v_add_u32_e32 v6, 1, v4
	v_add_u32_e32 v4, -1, v5
	v_min_u32_e32 v4, v6, v4
	v_lshl_add_u32 v4, v4, 3, v31
	ds_read_b64 v[4:5], v4
	v_cndmask_b32_e64 v8, v6, v8, s[36:37]
	v_cndmask_b32_e64 v9, v9, v6, s[36:37]
	v_cmp_lt_u32_e32 vcc, v8, v36
	s_waitcnt lgkmcnt(0)
	v_cndmask_b32_e64 v10, v5, v14, s[36:37]
	v_cndmask_b32_e64 v17, v4, v15, s[36:37]
	;; [unrolled: 1-line block ×4, first 2 shown]
	s_and_saveexec_b64 s[40:41], vcc
	s_cbranch_execz .LBB993_861
; %bb.854:
	v_cmp_lt_u32_e64 s[38:39], v9, v35
	s_and_b64 s[14:15], s[38:39], s[30:31]
	s_and_saveexec_b64 s[42:43], s[14:15]
	s_cbranch_execz .LBB993_860
; %bb.855:
	v_mov_b64_e32 v[6:7], s[22:23]
	v_mad_u64_u32 v[4:5], s[14:15], v17, s20, v[6:7]
	v_mul_lo_u32 v12, v17, s21
	v_mul_lo_u32 v13, v10, s20
	v_add3_u32 v5, v13, v5, v12
	v_mad_u64_u32 v[6:7], s[14:15], v23, s20, v[6:7]
	v_mul_lo_u32 v12, v23, s21
	v_mul_lo_u32 v13, v11, s20
	v_add3_u32 v7, v13, v7, v12
	s_mov_b64 s[44:45], 0
	s_mov_b64 s[50:51], s[20:21]
                                        ; implicit-def: $sgpr46_sgpr47
                                        ; implicit-def: $sgpr48_sgpr49
                                        ; implicit-def: $sgpr14_sgpr15
                                        ; implicit-def: $sgpr52_sgpr53
	s_branch .LBB993_857
.LBB993_856:                            ;   in Loop: Header=BB993_857 Depth=1
	s_or_b64 exec, exec, s[56:57]
	s_and_b64 s[56:57], exec, s[48:49]
	s_or_b64 s[44:45], s[56:57], s[44:45]
	s_andn2_b64 s[52:53], s[52:53], exec
	s_and_b64 s[54:55], s[54:55], exec
	s_or_b64 s[52:53], s[52:53], s[54:55]
	s_andn2_b64 s[46:47], s[46:47], exec
	s_and_b64 s[54:55], s[14:15], exec
	s_or_b64 s[46:47], s[46:47], s[54:55]
	s_andn2_b64 exec, exec, s[44:45]
	s_cbranch_execz .LBB993_859
.LBB993_857:                            ; =>This Inner Loop Header: Depth=1
	global_load_ubyte v12, v[4:5], off
	global_load_ubyte v13, v[6:7], off
	s_andn2_b64 s[56:57], s[14:15], exec
	s_or_b64 s[48:49], s[48:49], exec
	s_waitcnt vmcnt(1)
	v_cmp_eq_u16_e32 vcc, 0, v12
	s_waitcnt vmcnt(0)
	v_cmp_ne_u16_e64 s[14:15], 0, v13
	s_or_b64 s[58:59], vcc, s[14:15]
	s_and_b64 s[54:55], vcc, s[14:15]
	s_xor_b64 s[60:61], vcc, s[14:15]
	s_and_b64 s[14:15], s[58:59], s[52:53]
	s_or_b64 s[54:55], s[54:55], s[14:15]
	s_and_b64 s[14:15], s[54:55], exec
	s_or_b64 s[14:15], s[56:57], s[14:15]
	s_and_saveexec_b64 s[56:57], s[60:61]
	s_cbranch_execz .LBB993_856
; %bb.858:                              ;   in Loop: Header=BB993_857 Depth=1
	s_add_u32 s50, s50, -1
	s_addc_u32 s51, s51, -1
	s_cmp_eq_u64 s[50:51], 0
	s_cselect_b64 s[52:53], -1, 0
	s_andn2_b64 s[48:49], s[48:49], exec
	s_and_b64 s[52:53], s[52:53], exec
	v_lshl_add_u64 v[4:5], v[4:5], 0, 1
	v_lshl_add_u64 v[6:7], v[6:7], 0, 1
	s_andn2_b64 s[14:15], s[14:15], exec
	s_or_b64 s[48:49], s[48:49], s[52:53]
                                        ; implicit-def: $sgpr52_sgpr53
	s_branch .LBB993_856
.LBB993_859:
	s_or_b64 exec, exec, s[44:45]
	s_xor_b64 s[14:15], s[46:47], -1
	s_andn2_b64 s[38:39], s[38:39], exec
	s_and_b64 s[14:15], s[14:15], exec
	s_or_b64 s[38:39], s[38:39], s[14:15]
.LBB993_860:
	s_or_b64 exec, exec, s[42:43]
	s_orn2_b64 s[38:39], s[38:39], exec
.LBB993_861:
	s_or_b64 exec, exec, s[40:41]
	v_cndmask_b32_e64 v4, v8, v9, s[38:39]
	v_cndmask_b32_e64 v5, v36, v35, s[38:39]
	v_add_u32_e32 v6, 1, v4
	v_add_u32_e32 v4, -1, v5
	v_min_u32_e32 v4, v6, v4
	v_lshl_add_u32 v4, v4, 3, v31
	ds_read_b64 v[4:5], v4
	v_cndmask_b32_e64 v8, v6, v8, s[38:39]
	v_cndmask_b32_e64 v9, v9, v6, s[38:39]
	v_cmp_lt_u32_e32 vcc, v8, v36
	s_mov_b64 s[42:43], -1
	s_waitcnt lgkmcnt(0)
	v_cndmask_b32_e64 v12, v5, v10, s[38:39]
	v_cndmask_b32_e64 v37, v4, v17, s[38:39]
	;; [unrolled: 1-line block ×4, first 2 shown]
	s_mov_b64 s[40:41], -1
	s_and_saveexec_b64 s[44:45], vcc
	s_cbranch_execz .LBB993_869
; %bb.862:
	v_cmp_lt_u32_e64 s[40:41], v9, v35
	s_and_b64 s[14:15], s[40:41], s[30:31]
	s_and_saveexec_b64 s[46:47], s[14:15]
	s_cbranch_execz .LBB993_868
; %bb.863:
	v_mov_b64_e32 v[6:7], s[22:23]
	v_mad_u64_u32 v[4:5], s[14:15], v37, s20, v[6:7]
	v_mul_lo_u32 v39, v37, s21
	v_mul_lo_u32 v40, v12, s20
	v_add3_u32 v5, v40, v5, v39
	v_mad_u64_u32 v[6:7], s[14:15], v38, s20, v[6:7]
	v_mul_lo_u32 v39, v38, s21
	v_mul_lo_u32 v40, v13, s20
	v_add3_u32 v7, v40, v7, v39
	s_mov_b64 s[48:49], 0
	s_mov_b64 s[54:55], s[20:21]
                                        ; implicit-def: $sgpr50_sgpr51
                                        ; implicit-def: $sgpr52_sgpr53
                                        ; implicit-def: $sgpr14_sgpr15
                                        ; implicit-def: $sgpr56_sgpr57
	s_branch .LBB993_865
.LBB993_864:                            ;   in Loop: Header=BB993_865 Depth=1
	s_or_b64 exec, exec, s[60:61]
	s_and_b64 s[60:61], exec, s[52:53]
	s_or_b64 s[48:49], s[60:61], s[48:49]
	s_andn2_b64 s[56:57], s[56:57], exec
	s_and_b64 s[58:59], s[58:59], exec
	s_or_b64 s[56:57], s[56:57], s[58:59]
	s_andn2_b64 s[50:51], s[50:51], exec
	s_and_b64 s[58:59], s[14:15], exec
	s_or_b64 s[50:51], s[50:51], s[58:59]
	s_andn2_b64 exec, exec, s[48:49]
	s_cbranch_execz .LBB993_867
.LBB993_865:                            ; =>This Inner Loop Header: Depth=1
	global_load_ubyte v39, v[4:5], off
	global_load_ubyte v40, v[6:7], off
	s_andn2_b64 s[60:61], s[14:15], exec
	s_or_b64 s[52:53], s[52:53], exec
	s_waitcnt vmcnt(1)
	v_cmp_eq_u16_e32 vcc, 0, v39
	s_waitcnt vmcnt(0)
	v_cmp_ne_u16_e64 s[14:15], 0, v40
	s_or_b64 s[62:63], vcc, s[14:15]
	s_and_b64 s[58:59], vcc, s[14:15]
	s_xor_b64 s[64:65], vcc, s[14:15]
	s_and_b64 s[14:15], s[62:63], s[56:57]
	s_or_b64 s[58:59], s[58:59], s[14:15]
	s_and_b64 s[14:15], s[58:59], exec
	s_or_b64 s[14:15], s[60:61], s[14:15]
	s_and_saveexec_b64 s[60:61], s[64:65]
	s_cbranch_execz .LBB993_864
; %bb.866:                              ;   in Loop: Header=BB993_865 Depth=1
	s_add_u32 s54, s54, -1
	s_addc_u32 s55, s55, -1
	s_cmp_eq_u64 s[54:55], 0
	s_cselect_b64 s[56:57], -1, 0
	s_andn2_b64 s[52:53], s[52:53], exec
	s_and_b64 s[56:57], s[56:57], exec
	v_lshl_add_u64 v[4:5], v[4:5], 0, 1
	v_lshl_add_u64 v[6:7], v[6:7], 0, 1
	s_andn2_b64 s[14:15], s[14:15], exec
	s_or_b64 s[52:53], s[52:53], s[56:57]
                                        ; implicit-def: $sgpr56_sgpr57
	s_branch .LBB993_864
.LBB993_867:
	s_or_b64 exec, exec, s[48:49]
	s_xor_b64 s[14:15], s[50:51], -1
	s_andn2_b64 s[40:41], s[40:41], exec
	s_and_b64 s[14:15], s[14:15], exec
	s_or_b64 s[40:41], s[40:41], s[14:15]
.LBB993_868:
	s_or_b64 exec, exec, s[46:47]
	s_orn2_b64 s[40:41], s[40:41], exec
.LBB993_869:
	s_or_b64 exec, exec, s[44:45]
	v_cndmask_b32_e64 v4, v8, v9, s[40:41]
	v_cndmask_b32_e64 v5, v36, v35, s[40:41]
	v_add_u32_e32 v6, 1, v4
	v_add_u32_e32 v4, -1, v5
	v_min_u32_e32 v4, v6, v4
	v_lshl_add_u32 v4, v4, 3, v31
	ds_read_b64 v[4:5], v4
	v_cndmask_b32_e64 v45, v6, v8, s[40:41]
	v_cndmask_b32_e64 v46, v9, v6, s[40:41]
	v_cmp_lt_u32_e32 vcc, v45, v36
	s_waitcnt lgkmcnt(0)
	v_cndmask_b32_e64 v39, v5, v12, s[40:41]
	v_cndmask_b32_e64 v40, v4, v37, s[40:41]
	;; [unrolled: 1-line block ×4, first 2 shown]
	s_and_saveexec_b64 s[44:45], vcc
	s_cbranch_execz .LBB993_877
; %bb.870:
	v_cmp_lt_u32_e64 s[42:43], v46, v35
	s_and_b64 s[14:15], s[42:43], s[30:31]
	s_and_saveexec_b64 s[46:47], s[14:15]
	s_cbranch_execz .LBB993_876
; %bb.871:
	v_mov_b64_e32 v[6:7], s[22:23]
	v_mad_u64_u32 v[4:5], s[14:15], v40, s20, v[6:7]
	v_mul_lo_u32 v8, v40, s21
	v_mul_lo_u32 v9, v39, s20
	v_add3_u32 v5, v9, v5, v8
	v_mad_u64_u32 v[6:7], s[14:15], v42, s20, v[6:7]
	v_mul_lo_u32 v8, v42, s21
	v_mul_lo_u32 v9, v41, s20
	v_add3_u32 v7, v9, v7, v8
	s_mov_b64 s[48:49], 0
	s_mov_b64 s[54:55], s[20:21]
                                        ; implicit-def: $sgpr50_sgpr51
                                        ; implicit-def: $sgpr52_sgpr53
                                        ; implicit-def: $sgpr14_sgpr15
                                        ; implicit-def: $sgpr56_sgpr57
	s_branch .LBB993_873
.LBB993_872:                            ;   in Loop: Header=BB993_873 Depth=1
	s_or_b64 exec, exec, s[60:61]
	s_and_b64 s[60:61], exec, s[52:53]
	s_or_b64 s[48:49], s[60:61], s[48:49]
	s_andn2_b64 s[56:57], s[56:57], exec
	s_and_b64 s[58:59], s[58:59], exec
	s_or_b64 s[56:57], s[56:57], s[58:59]
	s_andn2_b64 s[50:51], s[50:51], exec
	s_and_b64 s[58:59], s[14:15], exec
	s_or_b64 s[50:51], s[50:51], s[58:59]
	s_andn2_b64 exec, exec, s[48:49]
	s_cbranch_execz .LBB993_875
.LBB993_873:                            ; =>This Inner Loop Header: Depth=1
	global_load_ubyte v8, v[4:5], off
	global_load_ubyte v9, v[6:7], off
	s_andn2_b64 s[60:61], s[14:15], exec
	s_or_b64 s[52:53], s[52:53], exec
	s_waitcnt vmcnt(1)
	v_cmp_eq_u16_e32 vcc, 0, v8
	s_waitcnt vmcnt(0)
	v_cmp_ne_u16_e64 s[14:15], 0, v9
	s_or_b64 s[62:63], vcc, s[14:15]
	s_and_b64 s[58:59], vcc, s[14:15]
	s_xor_b64 s[64:65], vcc, s[14:15]
	s_and_b64 s[14:15], s[62:63], s[56:57]
	s_or_b64 s[58:59], s[58:59], s[14:15]
	s_and_b64 s[14:15], s[58:59], exec
	s_or_b64 s[14:15], s[60:61], s[14:15]
	s_and_saveexec_b64 s[60:61], s[64:65]
	s_cbranch_execz .LBB993_872
; %bb.874:                              ;   in Loop: Header=BB993_873 Depth=1
	s_add_u32 s54, s54, -1
	s_addc_u32 s55, s55, -1
	s_cmp_eq_u64 s[54:55], 0
	s_cselect_b64 s[56:57], -1, 0
	s_andn2_b64 s[52:53], s[52:53], exec
	s_and_b64 s[56:57], s[56:57], exec
	v_lshl_add_u64 v[4:5], v[4:5], 0, 1
	v_lshl_add_u64 v[6:7], v[6:7], 0, 1
	s_andn2_b64 s[14:15], s[14:15], exec
	s_or_b64 s[52:53], s[52:53], s[56:57]
                                        ; implicit-def: $sgpr56_sgpr57
	s_branch .LBB993_872
.LBB993_875:
	s_or_b64 exec, exec, s[48:49]
	s_xor_b64 s[14:15], s[50:51], -1
	s_andn2_b64 s[42:43], s[42:43], exec
	s_and_b64 s[14:15], s[14:15], exec
	s_or_b64 s[42:43], s[42:43], s[14:15]
.LBB993_876:
	s_or_b64 exec, exec, s[46:47]
	s_orn2_b64 s[42:43], s[42:43], exec
.LBB993_877:
	s_or_b64 exec, exec, s[44:45]
	v_cndmask_b32_e64 v4, v45, v46, s[42:43]
	v_cndmask_b32_e64 v5, v36, v35, s[42:43]
	v_add_u32_e32 v6, 1, v4
	v_add_u32_e32 v4, -1, v5
	v_min_u32_e32 v4, v6, v4
	v_lshl_add_u32 v4, v4, 3, v31
	ds_read_b64 v[4:5], v4
	v_cndmask_b32_e64 v47, v6, v45, s[42:43]
	v_cndmask_b32_e64 v51, v46, v6, s[42:43]
	v_cmp_lt_u32_e32 vcc, v47, v36
	s_mov_b64 s[44:45], -1
	s_waitcnt lgkmcnt(0)
	v_cndmask_b32_e64 v8, v5, v39, s[42:43]
	v_cndmask_b32_e64 v43, v4, v40, s[42:43]
	;; [unrolled: 1-line block ×4, first 2 shown]
	s_mov_b64 s[46:47], -1
	s_and_saveexec_b64 s[48:49], vcc
	s_cbranch_execz .LBB993_885
; %bb.878:
	v_cmp_lt_u32_e64 s[46:47], v51, v35
	s_and_b64 s[14:15], s[46:47], s[30:31]
	s_and_saveexec_b64 s[50:51], s[14:15]
	s_cbranch_execz .LBB993_884
; %bb.879:
	v_mov_b64_e32 v[6:7], s[22:23]
	v_mad_u64_u32 v[4:5], s[14:15], v43, s20, v[6:7]
	v_mul_lo_u32 v45, v43, s21
	v_mul_lo_u32 v46, v8, s20
	v_add3_u32 v5, v46, v5, v45
	v_mad_u64_u32 v[6:7], s[14:15], v44, s20, v[6:7]
	v_mul_lo_u32 v45, v44, s21
	v_mul_lo_u32 v46, v9, s20
	v_add3_u32 v7, v46, v7, v45
	s_mov_b64 s[52:53], 0
	s_mov_b64 s[58:59], s[20:21]
                                        ; implicit-def: $sgpr54_sgpr55
                                        ; implicit-def: $sgpr56_sgpr57
                                        ; implicit-def: $sgpr14_sgpr15
                                        ; implicit-def: $sgpr60_sgpr61
	s_branch .LBB993_881
.LBB993_880:                            ;   in Loop: Header=BB993_881 Depth=1
	s_or_b64 exec, exec, s[64:65]
	s_and_b64 s[64:65], exec, s[56:57]
	s_or_b64 s[52:53], s[64:65], s[52:53]
	s_andn2_b64 s[60:61], s[60:61], exec
	s_and_b64 s[62:63], s[62:63], exec
	s_or_b64 s[60:61], s[60:61], s[62:63]
	s_andn2_b64 s[54:55], s[54:55], exec
	s_and_b64 s[62:63], s[14:15], exec
	s_or_b64 s[54:55], s[54:55], s[62:63]
	s_andn2_b64 exec, exec, s[52:53]
	s_cbranch_execz .LBB993_883
.LBB993_881:                            ; =>This Inner Loop Header: Depth=1
	global_load_ubyte v45, v[4:5], off
	global_load_ubyte v46, v[6:7], off
	s_andn2_b64 s[64:65], s[14:15], exec
	s_or_b64 s[56:57], s[56:57], exec
	s_waitcnt vmcnt(1)
	v_cmp_eq_u16_e32 vcc, 0, v45
	s_waitcnt vmcnt(0)
	v_cmp_ne_u16_e64 s[14:15], 0, v46
	s_or_b64 s[66:67], vcc, s[14:15]
	s_and_b64 s[62:63], vcc, s[14:15]
	s_xor_b64 s[68:69], vcc, s[14:15]
	s_and_b64 s[14:15], s[66:67], s[60:61]
	s_or_b64 s[62:63], s[62:63], s[14:15]
	s_and_b64 s[14:15], s[62:63], exec
	s_or_b64 s[14:15], s[64:65], s[14:15]
	s_and_saveexec_b64 s[64:65], s[68:69]
	s_cbranch_execz .LBB993_880
; %bb.882:                              ;   in Loop: Header=BB993_881 Depth=1
	s_add_u32 s58, s58, -1
	s_addc_u32 s59, s59, -1
	s_cmp_eq_u64 s[58:59], 0
	s_cselect_b64 s[60:61], -1, 0
	s_andn2_b64 s[56:57], s[56:57], exec
	s_and_b64 s[60:61], s[60:61], exec
	v_lshl_add_u64 v[4:5], v[4:5], 0, 1
	v_lshl_add_u64 v[6:7], v[6:7], 0, 1
	s_andn2_b64 s[14:15], s[14:15], exec
	s_or_b64 s[56:57], s[56:57], s[60:61]
                                        ; implicit-def: $sgpr60_sgpr61
	s_branch .LBB993_880
.LBB993_883:
	s_or_b64 exec, exec, s[52:53]
	s_xor_b64 s[14:15], s[54:55], -1
	s_andn2_b64 s[46:47], s[46:47], exec
	s_and_b64 s[14:15], s[14:15], exec
	s_or_b64 s[46:47], s[46:47], s[14:15]
.LBB993_884:
	s_or_b64 exec, exec, s[50:51]
	s_orn2_b64 s[46:47], s[46:47], exec
.LBB993_885:
	s_or_b64 exec, exec, s[48:49]
	v_cndmask_b32_e64 v4, v47, v51, s[46:47]
	v_cndmask_b32_e64 v5, v36, v35, s[46:47]
	v_add_u32_e32 v6, 1, v4
	v_add_u32_e32 v4, -1, v5
	v_min_u32_e32 v4, v6, v4
	v_lshl_add_u32 v4, v4, 3, v31
	ds_read_b64 v[4:5], v4
	v_cndmask_b32_e64 v48, v6, v47, s[46:47]
	v_cndmask_b32_e64 v47, v51, v6, s[46:47]
	v_cmp_lt_u32_e32 vcc, v48, v36
	s_waitcnt lgkmcnt(0)
	v_cndmask_b32_e64 v45, v5, v8, s[46:47]
	v_cndmask_b32_e64 v46, v4, v43, s[46:47]
	;; [unrolled: 1-line block ×4, first 2 shown]
	s_and_saveexec_b64 s[48:49], vcc
	s_cbranch_execz .LBB993_893
; %bb.886:
	v_cmp_lt_u32_e64 s[44:45], v47, v35
	s_and_b64 s[14:15], s[44:45], s[30:31]
	s_and_saveexec_b64 s[50:51], s[14:15]
	s_cbranch_execz .LBB993_892
; %bb.887:
	v_mov_b64_e32 v[6:7], s[22:23]
	v_mad_u64_u32 v[4:5], s[14:15], v46, s20, v[6:7]
	v_mul_lo_u32 v51, v46, s21
	v_mul_lo_u32 v52, v45, s20
	v_add3_u32 v5, v52, v5, v51
	v_mad_u64_u32 v[6:7], s[14:15], v50, s20, v[6:7]
	v_mul_lo_u32 v51, v50, s21
	v_mul_lo_u32 v52, v49, s20
	v_add3_u32 v7, v52, v7, v51
	s_mov_b64 s[52:53], 0
	s_mov_b64 s[58:59], s[20:21]
                                        ; implicit-def: $sgpr54_sgpr55
                                        ; implicit-def: $sgpr56_sgpr57
                                        ; implicit-def: $sgpr14_sgpr15
                                        ; implicit-def: $sgpr60_sgpr61
	s_branch .LBB993_889
.LBB993_888:                            ;   in Loop: Header=BB993_889 Depth=1
	s_or_b64 exec, exec, s[64:65]
	s_and_b64 s[64:65], exec, s[56:57]
	s_or_b64 s[52:53], s[64:65], s[52:53]
	s_andn2_b64 s[60:61], s[60:61], exec
	s_and_b64 s[62:63], s[62:63], exec
	s_or_b64 s[60:61], s[60:61], s[62:63]
	s_andn2_b64 s[54:55], s[54:55], exec
	s_and_b64 s[62:63], s[14:15], exec
	s_or_b64 s[54:55], s[54:55], s[62:63]
	s_andn2_b64 exec, exec, s[52:53]
	s_cbranch_execz .LBB993_891
.LBB993_889:                            ; =>This Inner Loop Header: Depth=1
	global_load_ubyte v51, v[4:5], off
	global_load_ubyte v52, v[6:7], off
	s_andn2_b64 s[64:65], s[14:15], exec
	s_or_b64 s[56:57], s[56:57], exec
	s_waitcnt vmcnt(1)
	v_cmp_eq_u16_e32 vcc, 0, v51
	s_waitcnt vmcnt(0)
	v_cmp_ne_u16_e64 s[14:15], 0, v52
	s_or_b64 s[66:67], vcc, s[14:15]
	s_and_b64 s[62:63], vcc, s[14:15]
	s_xor_b64 s[68:69], vcc, s[14:15]
	s_and_b64 s[14:15], s[66:67], s[60:61]
	s_or_b64 s[62:63], s[62:63], s[14:15]
	s_and_b64 s[14:15], s[62:63], exec
	s_or_b64 s[14:15], s[64:65], s[14:15]
	s_and_saveexec_b64 s[64:65], s[68:69]
	s_cbranch_execz .LBB993_888
; %bb.890:                              ;   in Loop: Header=BB993_889 Depth=1
	s_add_u32 s58, s58, -1
	s_addc_u32 s59, s59, -1
	s_cmp_eq_u64 s[58:59], 0
	s_cselect_b64 s[60:61], -1, 0
	s_andn2_b64 s[56:57], s[56:57], exec
	s_and_b64 s[60:61], s[60:61], exec
	v_lshl_add_u64 v[4:5], v[4:5], 0, 1
	v_lshl_add_u64 v[6:7], v[6:7], 0, 1
	s_andn2_b64 s[14:15], s[14:15], exec
	s_or_b64 s[56:57], s[56:57], s[60:61]
                                        ; implicit-def: $sgpr60_sgpr61
	s_branch .LBB993_888
.LBB993_891:
	s_or_b64 exec, exec, s[52:53]
	s_xor_b64 s[14:15], s[54:55], -1
	s_andn2_b64 s[44:45], s[44:45], exec
	s_and_b64 s[14:15], s[14:15], exec
	s_or_b64 s[44:45], s[44:45], s[14:15]
.LBB993_892:
	s_or_b64 exec, exec, s[50:51]
	s_orn2_b64 s[44:45], s[44:45], exec
.LBB993_893:
	s_or_b64 exec, exec, s[48:49]
	v_cndmask_b32_e64 v4, v48, v47, s[44:45]
	v_cndmask_b32_e64 v5, v36, v35, s[44:45]
	;; [unrolled: 1-line block ×4, first 2 shown]
	v_add_u32_e32 v38, 1, v4
	v_add_u32_e32 v4, -1, v5
	v_min_u32_e32 v4, v38, v4
	v_lshl_add_u32 v4, v4, 3, v31
	v_cndmask_b32_e64 v11, v10, v11, s[38:39]
	v_cndmask_b32_e64 v10, v17, v23, s[38:39]
	;; [unrolled: 1-line block ×4, first 2 shown]
	ds_read_b64 v[22:23], v4
	v_cndmask_b32_e64 v14, v2, v0, s[16:17]
	v_cndmask_b32_e64 v0, v38, v48, s[44:45]
	;; [unrolled: 1-line block ×9, first 2 shown]
	s_waitcnt lgkmcnt(0)
	v_cndmask_b32_e64 v5, v49, v23, s[44:45]
	v_cndmask_b32_e64 v4, v50, v22, s[44:45]
	v_cmp_lt_u32_e32 vcc, v0, v36
	s_and_saveexec_b64 s[16:17], vcc
	s_cbranch_execz .LBB993_901
; %bb.894:
	v_cndmask_b32_e64 v0, v47, v38, s[44:45]
	v_cndmask_b32_e64 v36, v23, v45, s[44:45]
	;; [unrolled: 1-line block ×3, first 2 shown]
	v_cmp_ge_u32_e32 vcc, v0, v35
	s_nor_b64 s[14:15], vcc, s[28:29]
	s_nop 0
	v_cndmask_b32_e32 v1, v5, v36, vcc
	v_cndmask_b32_e32 v0, v4, v37, vcc
	s_and_saveexec_b64 s[36:37], s[14:15]
	s_cbranch_execz .LBB993_900
; %bb.895:
	v_mov_b64_e32 v[22:23], s[22:23]
	v_mad_u64_u32 v[0:1], s[14:15], v37, s20, v[22:23]
	v_mul_lo_u32 v35, v37, s21
	v_mul_lo_u32 v38, v36, s20
	v_add3_u32 v1, v38, v1, v35
	v_mad_u64_u32 v[22:23], s[14:15], v4, s20, v[22:23]
	v_mul_lo_u32 v35, v4, s21
	v_mul_lo_u32 v38, v5, s20
	v_add3_u32 v23, v38, v23, v35
	s_mov_b64 s[38:39], 0
	s_mov_b64 s[44:45], s[20:21]
                                        ; implicit-def: $sgpr40_sgpr41
                                        ; implicit-def: $sgpr42_sgpr43
                                        ; implicit-def: $sgpr14_sgpr15
                                        ; implicit-def: $sgpr46_sgpr47
	s_branch .LBB993_897
.LBB993_896:                            ;   in Loop: Header=BB993_897 Depth=1
	s_or_b64 exec, exec, s[50:51]
	s_and_b64 s[50:51], exec, s[42:43]
	s_or_b64 s[38:39], s[50:51], s[38:39]
	s_andn2_b64 s[46:47], s[46:47], exec
	s_and_b64 s[48:49], s[48:49], exec
	s_or_b64 s[46:47], s[46:47], s[48:49]
	s_andn2_b64 s[40:41], s[40:41], exec
	s_and_b64 s[48:49], s[14:15], exec
	s_or_b64 s[40:41], s[40:41], s[48:49]
	s_andn2_b64 exec, exec, s[38:39]
	s_cbranch_execz .LBB993_899
.LBB993_897:                            ; =>This Inner Loop Header: Depth=1
	global_load_ubyte v35, v[0:1], off
	global_load_ubyte v38, v[22:23], off
	s_andn2_b64 s[50:51], s[14:15], exec
	s_or_b64 s[42:43], s[42:43], exec
	s_waitcnt vmcnt(1)
	v_cmp_eq_u16_e32 vcc, 0, v35
	s_waitcnt vmcnt(0)
	v_cmp_ne_u16_e64 s[14:15], 0, v38
	s_or_b64 s[52:53], vcc, s[14:15]
	s_and_b64 s[48:49], vcc, s[14:15]
	s_xor_b64 s[54:55], vcc, s[14:15]
	s_and_b64 s[14:15], s[52:53], s[46:47]
	s_or_b64 s[48:49], s[48:49], s[14:15]
	s_and_b64 s[14:15], s[48:49], exec
	s_or_b64 s[14:15], s[50:51], s[14:15]
	s_and_saveexec_b64 s[50:51], s[54:55]
	s_cbranch_execz .LBB993_896
; %bb.898:                              ;   in Loop: Header=BB993_897 Depth=1
	s_add_u32 s44, s44, -1
	s_addc_u32 s45, s45, -1
	s_cmp_eq_u64 s[44:45], 0
	s_cselect_b64 s[46:47], -1, 0
	s_andn2_b64 s[42:43], s[42:43], exec
	s_and_b64 s[46:47], s[46:47], exec
	v_lshl_add_u64 v[0:1], v[0:1], 0, 1
	v_lshl_add_u64 v[22:23], v[22:23], 0, 1
	s_andn2_b64 s[14:15], s[14:15], exec
	s_or_b64 s[42:43], s[42:43], s[46:47]
                                        ; implicit-def: $sgpr46_sgpr47
	s_branch .LBB993_896
.LBB993_899:
	s_or_b64 exec, exec, s[38:39]
	v_cndmask_b32_e64 v1, v5, v36, s[40:41]
	v_cndmask_b32_e64 v0, v4, v37, s[40:41]
.LBB993_900:
	s_or_b64 exec, exec, s[36:37]
	v_mov_b64_e32 v[4:5], v[0:1]
.LBB993_901:
	s_or_b64 exec, exec, s[16:17]
.LBB993_902:
	s_or_b64 exec, exec, s[34:35]
	v_and_b32_e32 v39, 0x3e0, v33
	v_or_b32_e32 v0, 16, v39
	v_min_u32_e32 v35, v32, v0
	v_add_u32_e32 v0, 16, v35
	v_min_u32_e32 v36, v32, v0
	v_and_b32_e32 v0, 24, v33
	v_min_u32_e32 v40, v32, v0
	v_sub_u32_e32 v0, v35, v39
	v_sub_u32_e32 v1, v36, v35
	v_sub_u32_e64 v38, v40, v1 clamp
	v_min_u32_e32 v41, v40, v0
	v_lshl_add_u32 v37, v39, 3, v31
	v_cmp_lt_u32_e32 vcc, v38, v41
	; wave barrier
	ds_write_b128 v34, v[14:17]
	ds_write_b128 v34, v[10:13] offset:16
	ds_write_b128 v34, v[6:9] offset:32
	ds_write_b128 v34, v[2:5] offset:48
	; wave barrier
	s_and_saveexec_b64 s[34:35], vcc
	s_cbranch_execz .LBB993_912
; %bb.903:
	v_lshlrev_b32_e32 v0, 3, v35
	v_lshlrev_b32_e32 v1, 3, v40
	v_add3_u32 v42, v31, v0, v1
	v_cndmask_b32_e64 v0, 0, 1, s[18:19]
	s_mov_b64 s[36:37], 0
	v_cmp_ne_u32_e64 s[14:15], 1, v0
	s_branch .LBB993_906
.LBB993_904:                            ;   in Loop: Header=BB993_906 Depth=1
	s_or_b64 exec, exec, s[40:41]
.LBB993_905:                            ;   in Loop: Header=BB993_906 Depth=1
	v_add_u32_e32 v0, 1, v43
	v_cndmask_b32_e64 v41, v41, v43, s[38:39]
	v_cndmask_b32_e64 v38, v0, v38, s[38:39]
	v_cmp_ge_u32_e32 vcc, v38, v41
	s_or_b64 s[36:37], vcc, s[36:37]
	s_andn2_b64 exec, exec, s[36:37]
	s_cbranch_execz .LBB993_911
.LBB993_906:                            ; =>This Loop Header: Depth=1
                                        ;     Child Loop BB993_909 Depth 2
	v_add_u32_e32 v0, v41, v38
	v_lshrrev_b32_e32 v43, 1, v0
	s_and_b64 vcc, exec, s[14:15]
	s_mov_b64 s[38:39], 0
	s_cbranch_vccnz .LBB993_905
; %bb.907:                              ;   in Loop: Header=BB993_906 Depth=1
	v_not_b32_e32 v0, v43
	v_lshl_add_u32 v0, v0, 3, v42
	ds_read_b64 v[0:1], v0
	v_lshl_add_u32 v44, v43, 3, v37
	ds_read_b64 v[44:45], v44
	v_mov_b64_e32 v[22:23], s[22:23]
	s_mov_b64 s[40:41], 0
	s_waitcnt lgkmcnt(1)
	v_mul_lo_u32 v46, v0, s21
	v_mul_lo_u32 v47, v1, s20
	v_mad_u64_u32 v[0:1], s[16:17], v0, s20, v[22:23]
	v_add3_u32 v1, v47, v1, v46
	s_waitcnt lgkmcnt(0)
	v_mul_lo_u32 v46, v44, s21
	v_mul_lo_u32 v45, v45, s20
	v_mad_u64_u32 v[22:23], s[16:17], v44, s20, v[22:23]
	v_add3_u32 v23, v45, v23, v46
	s_mov_b64 s[44:45], s[20:21]
                                        ; implicit-def: $sgpr38_sgpr39
                                        ; implicit-def: $sgpr42_sgpr43
                                        ; implicit-def: $sgpr16_sgpr17
                                        ; implicit-def: $sgpr46_sgpr47
	s_branch .LBB993_909
.LBB993_908:                            ;   in Loop: Header=BB993_909 Depth=2
	s_or_b64 exec, exec, s[50:51]
	s_and_b64 s[50:51], exec, s[42:43]
	s_or_b64 s[40:41], s[50:51], s[40:41]
	s_andn2_b64 s[46:47], s[46:47], exec
	s_and_b64 s[48:49], s[48:49], exec
	s_or_b64 s[46:47], s[46:47], s[48:49]
	s_andn2_b64 s[38:39], s[38:39], exec
	s_and_b64 s[48:49], s[16:17], exec
	s_or_b64 s[38:39], s[38:39], s[48:49]
	s_andn2_b64 exec, exec, s[40:41]
	s_cbranch_execz .LBB993_904
.LBB993_909:                            ;   Parent Loop BB993_906 Depth=1
                                        ; =>  This Inner Loop Header: Depth=2
	global_load_ubyte v44, v[0:1], off
	global_load_ubyte v45, v[22:23], off
	s_andn2_b64 s[50:51], s[16:17], exec
	s_or_b64 s[42:43], s[42:43], exec
	s_waitcnt vmcnt(1)
	v_cmp_eq_u16_e32 vcc, 0, v44
	s_waitcnt vmcnt(0)
	v_cmp_ne_u16_e64 s[16:17], 0, v45
	s_or_b64 s[52:53], vcc, s[16:17]
	s_and_b64 s[48:49], vcc, s[16:17]
	s_xor_b64 s[54:55], vcc, s[16:17]
	s_and_b64 s[16:17], s[52:53], s[46:47]
	s_or_b64 s[48:49], s[48:49], s[16:17]
	s_and_b64 s[16:17], s[48:49], exec
	s_or_b64 s[16:17], s[50:51], s[16:17]
	s_and_saveexec_b64 s[50:51], s[54:55]
	s_cbranch_execz .LBB993_908
; %bb.910:                              ;   in Loop: Header=BB993_909 Depth=2
	s_add_u32 s44, s44, -1
	s_addc_u32 s45, s45, -1
	s_cmp_eq_u64 s[44:45], 0
	s_cselect_b64 s[46:47], -1, 0
	s_andn2_b64 s[42:43], s[42:43], exec
	s_and_b64 s[46:47], s[46:47], exec
	v_lshl_add_u64 v[0:1], v[0:1], 0, 1
	v_lshl_add_u64 v[22:23], v[22:23], 0, 1
	s_andn2_b64 s[16:17], s[16:17], exec
	s_or_b64 s[42:43], s[42:43], s[46:47]
                                        ; implicit-def: $sgpr46_sgpr47
	s_branch .LBB993_908
.LBB993_911:
	s_or_b64 exec, exec, s[36:37]
.LBB993_912:
	s_or_b64 exec, exec, s[34:35]
	v_add_u32_e32 v0, v35, v40
	v_add_u32_e32 v23, v38, v39
	v_sub_u32_e32 v39, v0, v38
	v_cmp_le_u32_e32 vcc, v23, v35
	v_cmp_le_u32_e64 s[14:15], v39, v36
	s_or_b64 s[14:15], vcc, s[14:15]
	s_and_saveexec_b64 s[34:35], s[14:15]
	s_cbranch_execz .LBB993_980
; %bb.913:
	v_cmp_ge_u32_e32 vcc, v23, v35
	v_cmp_lt_u32_e64 s[14:15], v23, v35
                                        ; implicit-def: $vgpr0_vgpr1
	s_and_saveexec_b64 s[16:17], s[14:15]
; %bb.914:
	v_lshl_add_u32 v0, v38, 3, v37
	ds_read_b64 v[0:1], v0
; %bb.915:
	s_or_b64 exec, exec, s[16:17]
	v_cmp_ge_u32_e64 s[14:15], v39, v36
	v_cmp_lt_u32_e64 s[16:17], v39, v36
                                        ; implicit-def: $vgpr2_vgpr3
	s_and_saveexec_b64 s[36:37], s[16:17]
; %bb.916:
	v_lshl_add_u32 v2, v39, 3, v31
	ds_read_b64 v[2:3], v2
; %bb.917:
	s_or_b64 exec, exec, s[36:37]
	s_or_b64 s[16:17], vcc, s[14:15]
	s_nor_b64 s[38:39], s[16:17], s[28:29]
	s_xor_b64 s[16:17], vcc, -1
	s_or_b64 s[16:17], s[14:15], s[16:17]
	s_and_saveexec_b64 s[36:37], s[38:39]
	s_cbranch_execz .LBB993_923
; %bb.918:
	v_mov_b64_e32 v[6:7], s[22:23]
	s_waitcnt lgkmcnt(0)
	v_mad_u64_u32 v[4:5], s[14:15], v2, s20, v[6:7]
	v_mul_lo_u32 v8, v2, s21
	v_mul_lo_u32 v9, v3, s20
	v_add3_u32 v5, v9, v5, v8
	v_mad_u64_u32 v[6:7], s[14:15], v0, s20, v[6:7]
	v_mul_lo_u32 v8, v0, s21
	v_mul_lo_u32 v9, v1, s20
	v_add3_u32 v7, v9, v7, v8
	s_mov_b64 s[38:39], 0
	s_mov_b64 s[44:45], s[20:21]
                                        ; implicit-def: $sgpr40_sgpr41
                                        ; implicit-def: $sgpr42_sgpr43
                                        ; implicit-def: $sgpr14_sgpr15
                                        ; implicit-def: $sgpr46_sgpr47
	s_branch .LBB993_920
.LBB993_919:                            ;   in Loop: Header=BB993_920 Depth=1
	s_or_b64 exec, exec, s[50:51]
	s_and_b64 s[50:51], exec, s[42:43]
	s_or_b64 s[38:39], s[50:51], s[38:39]
	s_andn2_b64 s[46:47], s[46:47], exec
	s_and_b64 s[48:49], s[48:49], exec
	s_or_b64 s[46:47], s[46:47], s[48:49]
	s_andn2_b64 s[40:41], s[40:41], exec
	s_and_b64 s[48:49], s[14:15], exec
	s_or_b64 s[40:41], s[40:41], s[48:49]
	s_andn2_b64 exec, exec, s[38:39]
	s_cbranch_execz .LBB993_922
.LBB993_920:                            ; =>This Inner Loop Header: Depth=1
	global_load_ubyte v8, v[4:5], off
	global_load_ubyte v9, v[6:7], off
	s_andn2_b64 s[50:51], s[14:15], exec
	s_or_b64 s[42:43], s[42:43], exec
	s_waitcnt vmcnt(1)
	v_cmp_eq_u16_e32 vcc, 0, v8
	s_waitcnt vmcnt(0)
	v_cmp_ne_u16_e64 s[14:15], 0, v9
	s_or_b64 s[52:53], vcc, s[14:15]
	s_and_b64 s[48:49], vcc, s[14:15]
	s_xor_b64 s[54:55], vcc, s[14:15]
	s_and_b64 s[14:15], s[52:53], s[46:47]
	s_or_b64 s[48:49], s[48:49], s[14:15]
	s_and_b64 s[14:15], s[48:49], exec
	s_or_b64 s[14:15], s[50:51], s[14:15]
	s_and_saveexec_b64 s[50:51], s[54:55]
	s_cbranch_execz .LBB993_919
; %bb.921:                              ;   in Loop: Header=BB993_920 Depth=1
	s_add_u32 s44, s44, -1
	s_addc_u32 s45, s45, -1
	s_cmp_eq_u64 s[44:45], 0
	s_cselect_b64 s[46:47], -1, 0
	s_andn2_b64 s[42:43], s[42:43], exec
	s_and_b64 s[46:47], s[46:47], exec
	v_lshl_add_u64 v[4:5], v[4:5], 0, 1
	v_lshl_add_u64 v[6:7], v[6:7], 0, 1
	s_andn2_b64 s[14:15], s[14:15], exec
	s_or_b64 s[42:43], s[42:43], s[46:47]
                                        ; implicit-def: $sgpr46_sgpr47
	s_branch .LBB993_919
.LBB993_922:
	s_or_b64 exec, exec, s[38:39]
	s_xor_b64 s[14:15], s[40:41], -1
	s_andn2_b64 s[16:17], s[16:17], exec
	s_and_b64 s[14:15], s[14:15], exec
	s_or_b64 s[16:17], s[16:17], s[14:15]
.LBB993_923:
	s_or_b64 exec, exec, s[36:37]
	v_cndmask_b32_e64 v4, v39, v23, s[16:17]
	v_cndmask_b32_e64 v5, v36, v35, s[16:17]
	v_add_u32_e32 v6, 1, v4
	v_add_u32_e32 v4, -1, v5
	v_min_u32_e32 v4, v6, v4
	v_lshl_add_u32 v4, v4, 3, v31
	ds_read_b64 v[4:5], v4
	v_cndmask_b32_e64 v8, v6, v39, s[16:17]
	v_cndmask_b32_e64 v9, v23, v6, s[16:17]
	v_cmp_lt_u32_e32 vcc, v8, v36
	s_mov_b64 s[38:39], -1
	s_waitcnt lgkmcnt(0)
	v_cndmask_b32_e64 v14, v5, v3, s[16:17]
	v_cndmask_b32_e64 v15, v4, v2, s[16:17]
	;; [unrolled: 1-line block ×4, first 2 shown]
	s_mov_b64 s[36:37], -1
	s_and_saveexec_b64 s[40:41], vcc
	s_cbranch_execz .LBB993_931
; %bb.924:
	v_cmp_lt_u32_e64 s[36:37], v9, v35
	s_and_b64 s[14:15], s[36:37], s[30:31]
	s_and_saveexec_b64 s[42:43], s[14:15]
	s_cbranch_execz .LBB993_930
; %bb.925:
	v_mov_b64_e32 v[6:7], s[22:23]
	v_mad_u64_u32 v[4:5], s[14:15], v15, s20, v[6:7]
	v_mul_lo_u32 v10, v15, s21
	v_mul_lo_u32 v11, v14, s20
	v_add3_u32 v5, v11, v5, v10
	v_mad_u64_u32 v[6:7], s[14:15], v22, s20, v[6:7]
	v_mul_lo_u32 v10, v22, s21
	v_mul_lo_u32 v11, v16, s20
	v_add3_u32 v7, v11, v7, v10
	s_mov_b64 s[44:45], 0
	s_mov_b64 s[50:51], s[20:21]
                                        ; implicit-def: $sgpr46_sgpr47
                                        ; implicit-def: $sgpr48_sgpr49
                                        ; implicit-def: $sgpr14_sgpr15
                                        ; implicit-def: $sgpr52_sgpr53
	s_branch .LBB993_927
.LBB993_926:                            ;   in Loop: Header=BB993_927 Depth=1
	s_or_b64 exec, exec, s[56:57]
	s_and_b64 s[56:57], exec, s[48:49]
	s_or_b64 s[44:45], s[56:57], s[44:45]
	s_andn2_b64 s[52:53], s[52:53], exec
	s_and_b64 s[54:55], s[54:55], exec
	s_or_b64 s[52:53], s[52:53], s[54:55]
	s_andn2_b64 s[46:47], s[46:47], exec
	s_and_b64 s[54:55], s[14:15], exec
	s_or_b64 s[46:47], s[46:47], s[54:55]
	s_andn2_b64 exec, exec, s[44:45]
	s_cbranch_execz .LBB993_929
.LBB993_927:                            ; =>This Inner Loop Header: Depth=1
	global_load_ubyte v10, v[4:5], off
	global_load_ubyte v11, v[6:7], off
	s_andn2_b64 s[56:57], s[14:15], exec
	s_or_b64 s[48:49], s[48:49], exec
	s_waitcnt vmcnt(1)
	v_cmp_eq_u16_e32 vcc, 0, v10
	s_waitcnt vmcnt(0)
	v_cmp_ne_u16_e64 s[14:15], 0, v11
	s_or_b64 s[58:59], vcc, s[14:15]
	s_and_b64 s[54:55], vcc, s[14:15]
	s_xor_b64 s[60:61], vcc, s[14:15]
	s_and_b64 s[14:15], s[58:59], s[52:53]
	s_or_b64 s[54:55], s[54:55], s[14:15]
	s_and_b64 s[14:15], s[54:55], exec
	s_or_b64 s[14:15], s[56:57], s[14:15]
	s_and_saveexec_b64 s[56:57], s[60:61]
	s_cbranch_execz .LBB993_926
; %bb.928:                              ;   in Loop: Header=BB993_927 Depth=1
	s_add_u32 s50, s50, -1
	s_addc_u32 s51, s51, -1
	s_cmp_eq_u64 s[50:51], 0
	s_cselect_b64 s[52:53], -1, 0
	s_andn2_b64 s[48:49], s[48:49], exec
	s_and_b64 s[52:53], s[52:53], exec
	v_lshl_add_u64 v[4:5], v[4:5], 0, 1
	v_lshl_add_u64 v[6:7], v[6:7], 0, 1
	s_andn2_b64 s[14:15], s[14:15], exec
	s_or_b64 s[48:49], s[48:49], s[52:53]
                                        ; implicit-def: $sgpr52_sgpr53
	s_branch .LBB993_926
.LBB993_929:
	s_or_b64 exec, exec, s[44:45]
	s_xor_b64 s[14:15], s[46:47], -1
	s_andn2_b64 s[36:37], s[36:37], exec
	s_and_b64 s[14:15], s[14:15], exec
	s_or_b64 s[36:37], s[36:37], s[14:15]
.LBB993_930:
	s_or_b64 exec, exec, s[42:43]
	s_orn2_b64 s[36:37], s[36:37], exec
.LBB993_931:
	s_or_b64 exec, exec, s[40:41]
	v_cndmask_b32_e64 v4, v8, v9, s[36:37]
	v_cndmask_b32_e64 v5, v36, v35, s[36:37]
	v_add_u32_e32 v6, 1, v4
	v_add_u32_e32 v4, -1, v5
	v_min_u32_e32 v4, v6, v4
	v_lshl_add_u32 v4, v4, 3, v31
	ds_read_b64 v[4:5], v4
	v_cndmask_b32_e64 v8, v6, v8, s[36:37]
	v_cndmask_b32_e64 v9, v9, v6, s[36:37]
	v_cmp_lt_u32_e32 vcc, v8, v36
	s_waitcnt lgkmcnt(0)
	v_cndmask_b32_e64 v10, v5, v14, s[36:37]
	v_cndmask_b32_e64 v17, v4, v15, s[36:37]
	;; [unrolled: 1-line block ×4, first 2 shown]
	s_and_saveexec_b64 s[40:41], vcc
	s_cbranch_execz .LBB993_939
; %bb.932:
	v_cmp_lt_u32_e64 s[38:39], v9, v35
	s_and_b64 s[14:15], s[38:39], s[30:31]
	s_and_saveexec_b64 s[42:43], s[14:15]
	s_cbranch_execz .LBB993_938
; %bb.933:
	v_mov_b64_e32 v[6:7], s[22:23]
	v_mad_u64_u32 v[4:5], s[14:15], v17, s20, v[6:7]
	v_mul_lo_u32 v12, v17, s21
	v_mul_lo_u32 v13, v10, s20
	v_add3_u32 v5, v13, v5, v12
	v_mad_u64_u32 v[6:7], s[14:15], v23, s20, v[6:7]
	v_mul_lo_u32 v12, v23, s21
	v_mul_lo_u32 v13, v11, s20
	v_add3_u32 v7, v13, v7, v12
	s_mov_b64 s[44:45], 0
	s_mov_b64 s[50:51], s[20:21]
                                        ; implicit-def: $sgpr46_sgpr47
                                        ; implicit-def: $sgpr48_sgpr49
                                        ; implicit-def: $sgpr14_sgpr15
                                        ; implicit-def: $sgpr52_sgpr53
	s_branch .LBB993_935
.LBB993_934:                            ;   in Loop: Header=BB993_935 Depth=1
	s_or_b64 exec, exec, s[56:57]
	s_and_b64 s[56:57], exec, s[48:49]
	s_or_b64 s[44:45], s[56:57], s[44:45]
	s_andn2_b64 s[52:53], s[52:53], exec
	s_and_b64 s[54:55], s[54:55], exec
	s_or_b64 s[52:53], s[52:53], s[54:55]
	s_andn2_b64 s[46:47], s[46:47], exec
	s_and_b64 s[54:55], s[14:15], exec
	s_or_b64 s[46:47], s[46:47], s[54:55]
	s_andn2_b64 exec, exec, s[44:45]
	s_cbranch_execz .LBB993_937
.LBB993_935:                            ; =>This Inner Loop Header: Depth=1
	global_load_ubyte v12, v[4:5], off
	global_load_ubyte v13, v[6:7], off
	s_andn2_b64 s[56:57], s[14:15], exec
	s_or_b64 s[48:49], s[48:49], exec
	s_waitcnt vmcnt(1)
	v_cmp_eq_u16_e32 vcc, 0, v12
	s_waitcnt vmcnt(0)
	v_cmp_ne_u16_e64 s[14:15], 0, v13
	s_or_b64 s[58:59], vcc, s[14:15]
	s_and_b64 s[54:55], vcc, s[14:15]
	s_xor_b64 s[60:61], vcc, s[14:15]
	s_and_b64 s[14:15], s[58:59], s[52:53]
	s_or_b64 s[54:55], s[54:55], s[14:15]
	s_and_b64 s[14:15], s[54:55], exec
	s_or_b64 s[14:15], s[56:57], s[14:15]
	s_and_saveexec_b64 s[56:57], s[60:61]
	s_cbranch_execz .LBB993_934
; %bb.936:                              ;   in Loop: Header=BB993_935 Depth=1
	s_add_u32 s50, s50, -1
	s_addc_u32 s51, s51, -1
	s_cmp_eq_u64 s[50:51], 0
	s_cselect_b64 s[52:53], -1, 0
	s_andn2_b64 s[48:49], s[48:49], exec
	s_and_b64 s[52:53], s[52:53], exec
	v_lshl_add_u64 v[4:5], v[4:5], 0, 1
	v_lshl_add_u64 v[6:7], v[6:7], 0, 1
	s_andn2_b64 s[14:15], s[14:15], exec
	s_or_b64 s[48:49], s[48:49], s[52:53]
                                        ; implicit-def: $sgpr52_sgpr53
	s_branch .LBB993_934
.LBB993_937:
	s_or_b64 exec, exec, s[44:45]
	s_xor_b64 s[14:15], s[46:47], -1
	s_andn2_b64 s[38:39], s[38:39], exec
	s_and_b64 s[14:15], s[14:15], exec
	s_or_b64 s[38:39], s[38:39], s[14:15]
.LBB993_938:
	s_or_b64 exec, exec, s[42:43]
	s_orn2_b64 s[38:39], s[38:39], exec
.LBB993_939:
	s_or_b64 exec, exec, s[40:41]
	v_cndmask_b32_e64 v4, v8, v9, s[38:39]
	v_cndmask_b32_e64 v5, v36, v35, s[38:39]
	v_add_u32_e32 v6, 1, v4
	v_add_u32_e32 v4, -1, v5
	v_min_u32_e32 v4, v6, v4
	v_lshl_add_u32 v4, v4, 3, v31
	ds_read_b64 v[4:5], v4
	v_cndmask_b32_e64 v8, v6, v8, s[38:39]
	v_cndmask_b32_e64 v9, v9, v6, s[38:39]
	v_cmp_lt_u32_e32 vcc, v8, v36
	s_mov_b64 s[42:43], -1
	s_waitcnt lgkmcnt(0)
	v_cndmask_b32_e64 v12, v5, v10, s[38:39]
	v_cndmask_b32_e64 v37, v4, v17, s[38:39]
	;; [unrolled: 1-line block ×4, first 2 shown]
	s_mov_b64 s[40:41], -1
	s_and_saveexec_b64 s[44:45], vcc
	s_cbranch_execz .LBB993_947
; %bb.940:
	v_cmp_lt_u32_e64 s[40:41], v9, v35
	s_and_b64 s[14:15], s[40:41], s[30:31]
	s_and_saveexec_b64 s[46:47], s[14:15]
	s_cbranch_execz .LBB993_946
; %bb.941:
	v_mov_b64_e32 v[6:7], s[22:23]
	v_mad_u64_u32 v[4:5], s[14:15], v37, s20, v[6:7]
	v_mul_lo_u32 v39, v37, s21
	v_mul_lo_u32 v40, v12, s20
	v_add3_u32 v5, v40, v5, v39
	v_mad_u64_u32 v[6:7], s[14:15], v38, s20, v[6:7]
	v_mul_lo_u32 v39, v38, s21
	v_mul_lo_u32 v40, v13, s20
	v_add3_u32 v7, v40, v7, v39
	s_mov_b64 s[48:49], 0
	s_mov_b64 s[54:55], s[20:21]
                                        ; implicit-def: $sgpr50_sgpr51
                                        ; implicit-def: $sgpr52_sgpr53
                                        ; implicit-def: $sgpr14_sgpr15
                                        ; implicit-def: $sgpr56_sgpr57
	s_branch .LBB993_943
.LBB993_942:                            ;   in Loop: Header=BB993_943 Depth=1
	s_or_b64 exec, exec, s[60:61]
	s_and_b64 s[60:61], exec, s[52:53]
	s_or_b64 s[48:49], s[60:61], s[48:49]
	s_andn2_b64 s[56:57], s[56:57], exec
	s_and_b64 s[58:59], s[58:59], exec
	s_or_b64 s[56:57], s[56:57], s[58:59]
	s_andn2_b64 s[50:51], s[50:51], exec
	s_and_b64 s[58:59], s[14:15], exec
	s_or_b64 s[50:51], s[50:51], s[58:59]
	s_andn2_b64 exec, exec, s[48:49]
	s_cbranch_execz .LBB993_945
.LBB993_943:                            ; =>This Inner Loop Header: Depth=1
	global_load_ubyte v39, v[4:5], off
	global_load_ubyte v40, v[6:7], off
	s_andn2_b64 s[60:61], s[14:15], exec
	s_or_b64 s[52:53], s[52:53], exec
	s_waitcnt vmcnt(1)
	v_cmp_eq_u16_e32 vcc, 0, v39
	s_waitcnt vmcnt(0)
	v_cmp_ne_u16_e64 s[14:15], 0, v40
	s_or_b64 s[62:63], vcc, s[14:15]
	s_and_b64 s[58:59], vcc, s[14:15]
	s_xor_b64 s[64:65], vcc, s[14:15]
	s_and_b64 s[14:15], s[62:63], s[56:57]
	s_or_b64 s[58:59], s[58:59], s[14:15]
	s_and_b64 s[14:15], s[58:59], exec
	s_or_b64 s[14:15], s[60:61], s[14:15]
	s_and_saveexec_b64 s[60:61], s[64:65]
	s_cbranch_execz .LBB993_942
; %bb.944:                              ;   in Loop: Header=BB993_943 Depth=1
	s_add_u32 s54, s54, -1
	s_addc_u32 s55, s55, -1
	s_cmp_eq_u64 s[54:55], 0
	s_cselect_b64 s[56:57], -1, 0
	s_andn2_b64 s[52:53], s[52:53], exec
	s_and_b64 s[56:57], s[56:57], exec
	v_lshl_add_u64 v[4:5], v[4:5], 0, 1
	v_lshl_add_u64 v[6:7], v[6:7], 0, 1
	s_andn2_b64 s[14:15], s[14:15], exec
	s_or_b64 s[52:53], s[52:53], s[56:57]
                                        ; implicit-def: $sgpr56_sgpr57
	s_branch .LBB993_942
.LBB993_945:
	s_or_b64 exec, exec, s[48:49]
	s_xor_b64 s[14:15], s[50:51], -1
	s_andn2_b64 s[40:41], s[40:41], exec
	s_and_b64 s[14:15], s[14:15], exec
	s_or_b64 s[40:41], s[40:41], s[14:15]
.LBB993_946:
	s_or_b64 exec, exec, s[46:47]
	s_orn2_b64 s[40:41], s[40:41], exec
.LBB993_947:
	s_or_b64 exec, exec, s[44:45]
	v_cndmask_b32_e64 v4, v8, v9, s[40:41]
	v_cndmask_b32_e64 v5, v36, v35, s[40:41]
	v_add_u32_e32 v6, 1, v4
	v_add_u32_e32 v4, -1, v5
	v_min_u32_e32 v4, v6, v4
	v_lshl_add_u32 v4, v4, 3, v31
	ds_read_b64 v[4:5], v4
	v_cndmask_b32_e64 v45, v6, v8, s[40:41]
	v_cndmask_b32_e64 v46, v9, v6, s[40:41]
	v_cmp_lt_u32_e32 vcc, v45, v36
	s_waitcnt lgkmcnt(0)
	v_cndmask_b32_e64 v39, v5, v12, s[40:41]
	v_cndmask_b32_e64 v40, v4, v37, s[40:41]
	;; [unrolled: 1-line block ×4, first 2 shown]
	s_and_saveexec_b64 s[44:45], vcc
	s_cbranch_execz .LBB993_955
; %bb.948:
	v_cmp_lt_u32_e64 s[42:43], v46, v35
	s_and_b64 s[14:15], s[42:43], s[30:31]
	s_and_saveexec_b64 s[46:47], s[14:15]
	s_cbranch_execz .LBB993_954
; %bb.949:
	v_mov_b64_e32 v[6:7], s[22:23]
	v_mad_u64_u32 v[4:5], s[14:15], v40, s20, v[6:7]
	v_mul_lo_u32 v8, v40, s21
	v_mul_lo_u32 v9, v39, s20
	v_add3_u32 v5, v9, v5, v8
	v_mad_u64_u32 v[6:7], s[14:15], v42, s20, v[6:7]
	v_mul_lo_u32 v8, v42, s21
	v_mul_lo_u32 v9, v41, s20
	v_add3_u32 v7, v9, v7, v8
	s_mov_b64 s[48:49], 0
	s_mov_b64 s[54:55], s[20:21]
                                        ; implicit-def: $sgpr50_sgpr51
                                        ; implicit-def: $sgpr52_sgpr53
                                        ; implicit-def: $sgpr14_sgpr15
                                        ; implicit-def: $sgpr56_sgpr57
	s_branch .LBB993_951
.LBB993_950:                            ;   in Loop: Header=BB993_951 Depth=1
	s_or_b64 exec, exec, s[60:61]
	s_and_b64 s[60:61], exec, s[52:53]
	s_or_b64 s[48:49], s[60:61], s[48:49]
	s_andn2_b64 s[56:57], s[56:57], exec
	s_and_b64 s[58:59], s[58:59], exec
	s_or_b64 s[56:57], s[56:57], s[58:59]
	s_andn2_b64 s[50:51], s[50:51], exec
	s_and_b64 s[58:59], s[14:15], exec
	s_or_b64 s[50:51], s[50:51], s[58:59]
	s_andn2_b64 exec, exec, s[48:49]
	s_cbranch_execz .LBB993_953
.LBB993_951:                            ; =>This Inner Loop Header: Depth=1
	global_load_ubyte v8, v[4:5], off
	global_load_ubyte v9, v[6:7], off
	s_andn2_b64 s[60:61], s[14:15], exec
	s_or_b64 s[52:53], s[52:53], exec
	s_waitcnt vmcnt(1)
	v_cmp_eq_u16_e32 vcc, 0, v8
	s_waitcnt vmcnt(0)
	v_cmp_ne_u16_e64 s[14:15], 0, v9
	s_or_b64 s[62:63], vcc, s[14:15]
	s_and_b64 s[58:59], vcc, s[14:15]
	s_xor_b64 s[64:65], vcc, s[14:15]
	s_and_b64 s[14:15], s[62:63], s[56:57]
	s_or_b64 s[58:59], s[58:59], s[14:15]
	s_and_b64 s[14:15], s[58:59], exec
	s_or_b64 s[14:15], s[60:61], s[14:15]
	s_and_saveexec_b64 s[60:61], s[64:65]
	s_cbranch_execz .LBB993_950
; %bb.952:                              ;   in Loop: Header=BB993_951 Depth=1
	s_add_u32 s54, s54, -1
	s_addc_u32 s55, s55, -1
	s_cmp_eq_u64 s[54:55], 0
	s_cselect_b64 s[56:57], -1, 0
	s_andn2_b64 s[52:53], s[52:53], exec
	s_and_b64 s[56:57], s[56:57], exec
	v_lshl_add_u64 v[4:5], v[4:5], 0, 1
	v_lshl_add_u64 v[6:7], v[6:7], 0, 1
	s_andn2_b64 s[14:15], s[14:15], exec
	s_or_b64 s[52:53], s[52:53], s[56:57]
                                        ; implicit-def: $sgpr56_sgpr57
	s_branch .LBB993_950
.LBB993_953:
	s_or_b64 exec, exec, s[48:49]
	s_xor_b64 s[14:15], s[50:51], -1
	s_andn2_b64 s[42:43], s[42:43], exec
	s_and_b64 s[14:15], s[14:15], exec
	s_or_b64 s[42:43], s[42:43], s[14:15]
.LBB993_954:
	s_or_b64 exec, exec, s[46:47]
	s_orn2_b64 s[42:43], s[42:43], exec
.LBB993_955:
	s_or_b64 exec, exec, s[44:45]
	v_cndmask_b32_e64 v4, v45, v46, s[42:43]
	v_cndmask_b32_e64 v5, v36, v35, s[42:43]
	v_add_u32_e32 v6, 1, v4
	v_add_u32_e32 v4, -1, v5
	v_min_u32_e32 v4, v6, v4
	v_lshl_add_u32 v4, v4, 3, v31
	ds_read_b64 v[4:5], v4
	v_cndmask_b32_e64 v47, v6, v45, s[42:43]
	v_cndmask_b32_e64 v51, v46, v6, s[42:43]
	v_cmp_lt_u32_e32 vcc, v47, v36
	s_mov_b64 s[44:45], -1
	s_waitcnt lgkmcnt(0)
	v_cndmask_b32_e64 v8, v5, v39, s[42:43]
	v_cndmask_b32_e64 v43, v4, v40, s[42:43]
	;; [unrolled: 1-line block ×4, first 2 shown]
	s_mov_b64 s[46:47], -1
	s_and_saveexec_b64 s[48:49], vcc
	s_cbranch_execz .LBB993_963
; %bb.956:
	v_cmp_lt_u32_e64 s[46:47], v51, v35
	s_and_b64 s[14:15], s[46:47], s[30:31]
	s_and_saveexec_b64 s[50:51], s[14:15]
	s_cbranch_execz .LBB993_962
; %bb.957:
	v_mov_b64_e32 v[6:7], s[22:23]
	v_mad_u64_u32 v[4:5], s[14:15], v43, s20, v[6:7]
	v_mul_lo_u32 v45, v43, s21
	v_mul_lo_u32 v46, v8, s20
	v_add3_u32 v5, v46, v5, v45
	v_mad_u64_u32 v[6:7], s[14:15], v44, s20, v[6:7]
	v_mul_lo_u32 v45, v44, s21
	v_mul_lo_u32 v46, v9, s20
	v_add3_u32 v7, v46, v7, v45
	s_mov_b64 s[52:53], 0
	s_mov_b64 s[58:59], s[20:21]
                                        ; implicit-def: $sgpr54_sgpr55
                                        ; implicit-def: $sgpr56_sgpr57
                                        ; implicit-def: $sgpr14_sgpr15
                                        ; implicit-def: $sgpr60_sgpr61
	s_branch .LBB993_959
.LBB993_958:                            ;   in Loop: Header=BB993_959 Depth=1
	s_or_b64 exec, exec, s[64:65]
	s_and_b64 s[64:65], exec, s[56:57]
	s_or_b64 s[52:53], s[64:65], s[52:53]
	s_andn2_b64 s[60:61], s[60:61], exec
	s_and_b64 s[62:63], s[62:63], exec
	s_or_b64 s[60:61], s[60:61], s[62:63]
	s_andn2_b64 s[54:55], s[54:55], exec
	s_and_b64 s[62:63], s[14:15], exec
	s_or_b64 s[54:55], s[54:55], s[62:63]
	s_andn2_b64 exec, exec, s[52:53]
	s_cbranch_execz .LBB993_961
.LBB993_959:                            ; =>This Inner Loop Header: Depth=1
	global_load_ubyte v45, v[4:5], off
	global_load_ubyte v46, v[6:7], off
	s_andn2_b64 s[64:65], s[14:15], exec
	s_or_b64 s[56:57], s[56:57], exec
	s_waitcnt vmcnt(1)
	v_cmp_eq_u16_e32 vcc, 0, v45
	s_waitcnt vmcnt(0)
	v_cmp_ne_u16_e64 s[14:15], 0, v46
	s_or_b64 s[66:67], vcc, s[14:15]
	s_and_b64 s[62:63], vcc, s[14:15]
	s_xor_b64 s[68:69], vcc, s[14:15]
	s_and_b64 s[14:15], s[66:67], s[60:61]
	s_or_b64 s[62:63], s[62:63], s[14:15]
	s_and_b64 s[14:15], s[62:63], exec
	s_or_b64 s[14:15], s[64:65], s[14:15]
	s_and_saveexec_b64 s[64:65], s[68:69]
	s_cbranch_execz .LBB993_958
; %bb.960:                              ;   in Loop: Header=BB993_959 Depth=1
	s_add_u32 s58, s58, -1
	s_addc_u32 s59, s59, -1
	s_cmp_eq_u64 s[58:59], 0
	s_cselect_b64 s[60:61], -1, 0
	s_andn2_b64 s[56:57], s[56:57], exec
	s_and_b64 s[60:61], s[60:61], exec
	v_lshl_add_u64 v[4:5], v[4:5], 0, 1
	v_lshl_add_u64 v[6:7], v[6:7], 0, 1
	s_andn2_b64 s[14:15], s[14:15], exec
	s_or_b64 s[56:57], s[56:57], s[60:61]
                                        ; implicit-def: $sgpr60_sgpr61
	s_branch .LBB993_958
.LBB993_961:
	s_or_b64 exec, exec, s[52:53]
	s_xor_b64 s[14:15], s[54:55], -1
	s_andn2_b64 s[46:47], s[46:47], exec
	s_and_b64 s[14:15], s[14:15], exec
	s_or_b64 s[46:47], s[46:47], s[14:15]
.LBB993_962:
	s_or_b64 exec, exec, s[50:51]
	s_orn2_b64 s[46:47], s[46:47], exec
.LBB993_963:
	s_or_b64 exec, exec, s[48:49]
	v_cndmask_b32_e64 v4, v47, v51, s[46:47]
	v_cndmask_b32_e64 v5, v36, v35, s[46:47]
	v_add_u32_e32 v6, 1, v4
	v_add_u32_e32 v4, -1, v5
	v_min_u32_e32 v4, v6, v4
	v_lshl_add_u32 v4, v4, 3, v31
	ds_read_b64 v[4:5], v4
	v_cndmask_b32_e64 v48, v6, v47, s[46:47]
	v_cndmask_b32_e64 v47, v51, v6, s[46:47]
	v_cmp_lt_u32_e32 vcc, v48, v36
	s_waitcnt lgkmcnt(0)
	v_cndmask_b32_e64 v45, v5, v8, s[46:47]
	v_cndmask_b32_e64 v46, v4, v43, s[46:47]
	;; [unrolled: 1-line block ×4, first 2 shown]
	s_and_saveexec_b64 s[48:49], vcc
	s_cbranch_execz .LBB993_971
; %bb.964:
	v_cmp_lt_u32_e64 s[44:45], v47, v35
	s_and_b64 s[14:15], s[44:45], s[30:31]
	s_and_saveexec_b64 s[50:51], s[14:15]
	s_cbranch_execz .LBB993_970
; %bb.965:
	v_mov_b64_e32 v[6:7], s[22:23]
	v_mad_u64_u32 v[4:5], s[14:15], v46, s20, v[6:7]
	v_mul_lo_u32 v51, v46, s21
	v_mul_lo_u32 v52, v45, s20
	v_add3_u32 v5, v52, v5, v51
	v_mad_u64_u32 v[6:7], s[14:15], v50, s20, v[6:7]
	v_mul_lo_u32 v51, v50, s21
	v_mul_lo_u32 v52, v49, s20
	v_add3_u32 v7, v52, v7, v51
	s_mov_b64 s[52:53], 0
	s_mov_b64 s[58:59], s[20:21]
                                        ; implicit-def: $sgpr54_sgpr55
                                        ; implicit-def: $sgpr56_sgpr57
                                        ; implicit-def: $sgpr14_sgpr15
                                        ; implicit-def: $sgpr60_sgpr61
	s_branch .LBB993_967
.LBB993_966:                            ;   in Loop: Header=BB993_967 Depth=1
	s_or_b64 exec, exec, s[64:65]
	s_and_b64 s[64:65], exec, s[56:57]
	s_or_b64 s[52:53], s[64:65], s[52:53]
	s_andn2_b64 s[60:61], s[60:61], exec
	s_and_b64 s[62:63], s[62:63], exec
	s_or_b64 s[60:61], s[60:61], s[62:63]
	s_andn2_b64 s[54:55], s[54:55], exec
	s_and_b64 s[62:63], s[14:15], exec
	s_or_b64 s[54:55], s[54:55], s[62:63]
	s_andn2_b64 exec, exec, s[52:53]
	s_cbranch_execz .LBB993_969
.LBB993_967:                            ; =>This Inner Loop Header: Depth=1
	global_load_ubyte v51, v[4:5], off
	global_load_ubyte v52, v[6:7], off
	s_andn2_b64 s[64:65], s[14:15], exec
	s_or_b64 s[56:57], s[56:57], exec
	s_waitcnt vmcnt(1)
	v_cmp_eq_u16_e32 vcc, 0, v51
	s_waitcnt vmcnt(0)
	v_cmp_ne_u16_e64 s[14:15], 0, v52
	s_or_b64 s[66:67], vcc, s[14:15]
	s_and_b64 s[62:63], vcc, s[14:15]
	s_xor_b64 s[68:69], vcc, s[14:15]
	s_and_b64 s[14:15], s[66:67], s[60:61]
	s_or_b64 s[62:63], s[62:63], s[14:15]
	s_and_b64 s[14:15], s[62:63], exec
	s_or_b64 s[14:15], s[64:65], s[14:15]
	s_and_saveexec_b64 s[64:65], s[68:69]
	s_cbranch_execz .LBB993_966
; %bb.968:                              ;   in Loop: Header=BB993_967 Depth=1
	s_add_u32 s58, s58, -1
	s_addc_u32 s59, s59, -1
	s_cmp_eq_u64 s[58:59], 0
	s_cselect_b64 s[60:61], -1, 0
	s_andn2_b64 s[56:57], s[56:57], exec
	s_and_b64 s[60:61], s[60:61], exec
	v_lshl_add_u64 v[4:5], v[4:5], 0, 1
	v_lshl_add_u64 v[6:7], v[6:7], 0, 1
	s_andn2_b64 s[14:15], s[14:15], exec
	s_or_b64 s[56:57], s[56:57], s[60:61]
                                        ; implicit-def: $sgpr60_sgpr61
	s_branch .LBB993_966
.LBB993_969:
	s_or_b64 exec, exec, s[52:53]
	s_xor_b64 s[14:15], s[54:55], -1
	s_andn2_b64 s[44:45], s[44:45], exec
	s_and_b64 s[14:15], s[14:15], exec
	s_or_b64 s[44:45], s[44:45], s[14:15]
.LBB993_970:
	s_or_b64 exec, exec, s[50:51]
	s_orn2_b64 s[44:45], s[44:45], exec
.LBB993_971:
	s_or_b64 exec, exec, s[48:49]
	v_cndmask_b32_e64 v4, v48, v47, s[44:45]
	v_cndmask_b32_e64 v5, v36, v35, s[44:45]
	;; [unrolled: 1-line block ×4, first 2 shown]
	v_add_u32_e32 v38, 1, v4
	v_add_u32_e32 v4, -1, v5
	v_min_u32_e32 v4, v38, v4
	v_lshl_add_u32 v4, v4, 3, v31
	v_cndmask_b32_e64 v11, v10, v11, s[38:39]
	v_cndmask_b32_e64 v10, v17, v23, s[38:39]
	;; [unrolled: 1-line block ×4, first 2 shown]
	ds_read_b64 v[22:23], v4
	v_cndmask_b32_e64 v14, v2, v0, s[16:17]
	v_cndmask_b32_e64 v0, v38, v48, s[44:45]
	;; [unrolled: 1-line block ×9, first 2 shown]
	s_waitcnt lgkmcnt(0)
	v_cndmask_b32_e64 v5, v49, v23, s[44:45]
	v_cndmask_b32_e64 v4, v50, v22, s[44:45]
	v_cmp_lt_u32_e32 vcc, v0, v36
	s_and_saveexec_b64 s[16:17], vcc
	s_cbranch_execz .LBB993_979
; %bb.972:
	v_cndmask_b32_e64 v0, v47, v38, s[44:45]
	v_cndmask_b32_e64 v36, v23, v45, s[44:45]
	v_cndmask_b32_e64 v37, v22, v46, s[44:45]
	v_cmp_ge_u32_e32 vcc, v0, v35
	s_nor_b64 s[14:15], vcc, s[28:29]
	s_nop 0
	v_cndmask_b32_e32 v1, v5, v36, vcc
	v_cndmask_b32_e32 v0, v4, v37, vcc
	s_and_saveexec_b64 s[36:37], s[14:15]
	s_cbranch_execz .LBB993_978
; %bb.973:
	v_mov_b64_e32 v[22:23], s[22:23]
	v_mad_u64_u32 v[0:1], s[14:15], v37, s20, v[22:23]
	v_mul_lo_u32 v35, v37, s21
	v_mul_lo_u32 v38, v36, s20
	v_add3_u32 v1, v38, v1, v35
	v_mad_u64_u32 v[22:23], s[14:15], v4, s20, v[22:23]
	v_mul_lo_u32 v35, v4, s21
	v_mul_lo_u32 v38, v5, s20
	v_add3_u32 v23, v38, v23, v35
	s_mov_b64 s[38:39], 0
	s_mov_b64 s[44:45], s[20:21]
                                        ; implicit-def: $sgpr40_sgpr41
                                        ; implicit-def: $sgpr42_sgpr43
                                        ; implicit-def: $sgpr14_sgpr15
                                        ; implicit-def: $sgpr46_sgpr47
	s_branch .LBB993_975
.LBB993_974:                            ;   in Loop: Header=BB993_975 Depth=1
	s_or_b64 exec, exec, s[50:51]
	s_and_b64 s[50:51], exec, s[42:43]
	s_or_b64 s[38:39], s[50:51], s[38:39]
	s_andn2_b64 s[46:47], s[46:47], exec
	s_and_b64 s[48:49], s[48:49], exec
	s_or_b64 s[46:47], s[46:47], s[48:49]
	s_andn2_b64 s[40:41], s[40:41], exec
	s_and_b64 s[48:49], s[14:15], exec
	s_or_b64 s[40:41], s[40:41], s[48:49]
	s_andn2_b64 exec, exec, s[38:39]
	s_cbranch_execz .LBB993_977
.LBB993_975:                            ; =>This Inner Loop Header: Depth=1
	global_load_ubyte v35, v[0:1], off
	global_load_ubyte v38, v[22:23], off
	s_andn2_b64 s[50:51], s[14:15], exec
	s_or_b64 s[42:43], s[42:43], exec
	s_waitcnt vmcnt(1)
	v_cmp_eq_u16_e32 vcc, 0, v35
	s_waitcnt vmcnt(0)
	v_cmp_ne_u16_e64 s[14:15], 0, v38
	s_or_b64 s[52:53], vcc, s[14:15]
	s_and_b64 s[48:49], vcc, s[14:15]
	s_xor_b64 s[54:55], vcc, s[14:15]
	s_and_b64 s[14:15], s[52:53], s[46:47]
	s_or_b64 s[48:49], s[48:49], s[14:15]
	s_and_b64 s[14:15], s[48:49], exec
	s_or_b64 s[14:15], s[50:51], s[14:15]
	s_and_saveexec_b64 s[50:51], s[54:55]
	s_cbranch_execz .LBB993_974
; %bb.976:                              ;   in Loop: Header=BB993_975 Depth=1
	s_add_u32 s44, s44, -1
	s_addc_u32 s45, s45, -1
	s_cmp_eq_u64 s[44:45], 0
	s_cselect_b64 s[46:47], -1, 0
	s_andn2_b64 s[42:43], s[42:43], exec
	s_and_b64 s[46:47], s[46:47], exec
	v_lshl_add_u64 v[0:1], v[0:1], 0, 1
	v_lshl_add_u64 v[22:23], v[22:23], 0, 1
	s_andn2_b64 s[14:15], s[14:15], exec
	s_or_b64 s[42:43], s[42:43], s[46:47]
                                        ; implicit-def: $sgpr46_sgpr47
	s_branch .LBB993_974
.LBB993_977:
	s_or_b64 exec, exec, s[38:39]
	v_cndmask_b32_e64 v1, v5, v36, s[40:41]
	v_cndmask_b32_e64 v0, v4, v37, s[40:41]
.LBB993_978:
	s_or_b64 exec, exec, s[36:37]
	v_mov_b64_e32 v[4:5], v[0:1]
.LBB993_979:
	s_or_b64 exec, exec, s[16:17]
.LBB993_980:
	s_or_b64 exec, exec, s[34:35]
	v_and_b32_e32 v39, 0x3c0, v33
	v_or_b32_e32 v0, 32, v39
	v_min_u32_e32 v35, v32, v0
	v_add_u32_e32 v0, 32, v35
	v_min_u32_e32 v36, v32, v0
	v_and_b32_e32 v0, 56, v33
	v_min_u32_e32 v40, v32, v0
	v_sub_u32_e32 v0, v35, v39
	v_sub_u32_e32 v1, v36, v35
	v_sub_u32_e64 v38, v40, v1 clamp
	v_min_u32_e32 v41, v40, v0
	v_lshl_add_u32 v37, v39, 3, v31
	v_cmp_lt_u32_e32 vcc, v38, v41
	; wave barrier
	ds_write_b128 v34, v[14:17]
	ds_write_b128 v34, v[10:13] offset:16
	ds_write_b128 v34, v[6:9] offset:32
	;; [unrolled: 1-line block ×3, first 2 shown]
	; wave barrier
	s_and_saveexec_b64 s[34:35], vcc
	s_cbranch_execz .LBB993_990
; %bb.981:
	v_lshlrev_b32_e32 v0, 3, v35
	v_lshlrev_b32_e32 v1, 3, v40
	v_add3_u32 v42, v31, v0, v1
	v_cndmask_b32_e64 v0, 0, 1, s[18:19]
	s_mov_b64 s[36:37], 0
	v_cmp_ne_u32_e64 s[14:15], 1, v0
	s_branch .LBB993_984
.LBB993_982:                            ;   in Loop: Header=BB993_984 Depth=1
	s_or_b64 exec, exec, s[40:41]
.LBB993_983:                            ;   in Loop: Header=BB993_984 Depth=1
	v_add_u32_e32 v0, 1, v43
	v_cndmask_b32_e64 v41, v41, v43, s[38:39]
	v_cndmask_b32_e64 v38, v0, v38, s[38:39]
	v_cmp_ge_u32_e32 vcc, v38, v41
	s_or_b64 s[36:37], vcc, s[36:37]
	s_andn2_b64 exec, exec, s[36:37]
	s_cbranch_execz .LBB993_989
.LBB993_984:                            ; =>This Loop Header: Depth=1
                                        ;     Child Loop BB993_987 Depth 2
	v_add_u32_e32 v0, v41, v38
	v_lshrrev_b32_e32 v43, 1, v0
	s_and_b64 vcc, exec, s[14:15]
	s_mov_b64 s[38:39], 0
	s_cbranch_vccnz .LBB993_983
; %bb.985:                              ;   in Loop: Header=BB993_984 Depth=1
	v_not_b32_e32 v0, v43
	v_lshl_add_u32 v0, v0, 3, v42
	ds_read_b64 v[0:1], v0
	v_lshl_add_u32 v44, v43, 3, v37
	ds_read_b64 v[44:45], v44
	v_mov_b64_e32 v[22:23], s[22:23]
	s_mov_b64 s[40:41], 0
	s_waitcnt lgkmcnt(1)
	v_mul_lo_u32 v46, v0, s21
	v_mul_lo_u32 v47, v1, s20
	v_mad_u64_u32 v[0:1], s[16:17], v0, s20, v[22:23]
	v_add3_u32 v1, v47, v1, v46
	s_waitcnt lgkmcnt(0)
	v_mul_lo_u32 v46, v44, s21
	v_mul_lo_u32 v45, v45, s20
	v_mad_u64_u32 v[22:23], s[16:17], v44, s20, v[22:23]
	v_add3_u32 v23, v45, v23, v46
	s_mov_b64 s[44:45], s[20:21]
                                        ; implicit-def: $sgpr38_sgpr39
                                        ; implicit-def: $sgpr42_sgpr43
                                        ; implicit-def: $sgpr16_sgpr17
                                        ; implicit-def: $sgpr46_sgpr47
	s_branch .LBB993_987
.LBB993_986:                            ;   in Loop: Header=BB993_987 Depth=2
	s_or_b64 exec, exec, s[50:51]
	s_and_b64 s[50:51], exec, s[42:43]
	s_or_b64 s[40:41], s[50:51], s[40:41]
	s_andn2_b64 s[46:47], s[46:47], exec
	s_and_b64 s[48:49], s[48:49], exec
	s_or_b64 s[46:47], s[46:47], s[48:49]
	s_andn2_b64 s[38:39], s[38:39], exec
	s_and_b64 s[48:49], s[16:17], exec
	s_or_b64 s[38:39], s[38:39], s[48:49]
	s_andn2_b64 exec, exec, s[40:41]
	s_cbranch_execz .LBB993_982
.LBB993_987:                            ;   Parent Loop BB993_984 Depth=1
                                        ; =>  This Inner Loop Header: Depth=2
	global_load_ubyte v44, v[0:1], off
	global_load_ubyte v45, v[22:23], off
	s_andn2_b64 s[50:51], s[16:17], exec
	s_or_b64 s[42:43], s[42:43], exec
	s_waitcnt vmcnt(1)
	v_cmp_eq_u16_e32 vcc, 0, v44
	s_waitcnt vmcnt(0)
	v_cmp_ne_u16_e64 s[16:17], 0, v45
	s_or_b64 s[52:53], vcc, s[16:17]
	s_and_b64 s[48:49], vcc, s[16:17]
	s_xor_b64 s[54:55], vcc, s[16:17]
	s_and_b64 s[16:17], s[52:53], s[46:47]
	s_or_b64 s[48:49], s[48:49], s[16:17]
	s_and_b64 s[16:17], s[48:49], exec
	s_or_b64 s[16:17], s[50:51], s[16:17]
	s_and_saveexec_b64 s[50:51], s[54:55]
	s_cbranch_execz .LBB993_986
; %bb.988:                              ;   in Loop: Header=BB993_987 Depth=2
	s_add_u32 s44, s44, -1
	s_addc_u32 s45, s45, -1
	s_cmp_eq_u64 s[44:45], 0
	s_cselect_b64 s[46:47], -1, 0
	s_andn2_b64 s[42:43], s[42:43], exec
	s_and_b64 s[46:47], s[46:47], exec
	v_lshl_add_u64 v[0:1], v[0:1], 0, 1
	v_lshl_add_u64 v[22:23], v[22:23], 0, 1
	s_andn2_b64 s[16:17], s[16:17], exec
	s_or_b64 s[42:43], s[42:43], s[46:47]
                                        ; implicit-def: $sgpr46_sgpr47
	s_branch .LBB993_986
.LBB993_989:
	s_or_b64 exec, exec, s[36:37]
.LBB993_990:
	s_or_b64 exec, exec, s[34:35]
	v_add_u32_e32 v0, v35, v40
	v_add_u32_e32 v23, v38, v39
	v_sub_u32_e32 v39, v0, v38
	v_cmp_le_u32_e32 vcc, v23, v35
	v_cmp_le_u32_e64 s[14:15], v39, v36
	s_or_b64 s[14:15], vcc, s[14:15]
	s_and_saveexec_b64 s[34:35], s[14:15]
	s_cbranch_execz .LBB993_1058
; %bb.991:
	v_cmp_ge_u32_e32 vcc, v23, v35
	v_cmp_lt_u32_e64 s[14:15], v23, v35
                                        ; implicit-def: $vgpr0_vgpr1
	s_and_saveexec_b64 s[16:17], s[14:15]
; %bb.992:
	v_lshl_add_u32 v0, v38, 3, v37
	ds_read_b64 v[0:1], v0
; %bb.993:
	s_or_b64 exec, exec, s[16:17]
	v_cmp_ge_u32_e64 s[14:15], v39, v36
	v_cmp_lt_u32_e64 s[16:17], v39, v36
                                        ; implicit-def: $vgpr2_vgpr3
	s_and_saveexec_b64 s[36:37], s[16:17]
; %bb.994:
	v_lshl_add_u32 v2, v39, 3, v31
	ds_read_b64 v[2:3], v2
; %bb.995:
	s_or_b64 exec, exec, s[36:37]
	s_or_b64 s[16:17], vcc, s[14:15]
	s_nor_b64 s[38:39], s[16:17], s[28:29]
	s_xor_b64 s[16:17], vcc, -1
	s_or_b64 s[16:17], s[14:15], s[16:17]
	s_and_saveexec_b64 s[36:37], s[38:39]
	s_cbranch_execz .LBB993_1001
; %bb.996:
	v_mov_b64_e32 v[6:7], s[22:23]
	s_waitcnt lgkmcnt(0)
	v_mad_u64_u32 v[4:5], s[14:15], v2, s20, v[6:7]
	v_mul_lo_u32 v8, v2, s21
	v_mul_lo_u32 v9, v3, s20
	v_add3_u32 v5, v9, v5, v8
	v_mad_u64_u32 v[6:7], s[14:15], v0, s20, v[6:7]
	v_mul_lo_u32 v8, v0, s21
	v_mul_lo_u32 v9, v1, s20
	v_add3_u32 v7, v9, v7, v8
	s_mov_b64 s[38:39], 0
	s_mov_b64 s[44:45], s[20:21]
                                        ; implicit-def: $sgpr40_sgpr41
                                        ; implicit-def: $sgpr42_sgpr43
                                        ; implicit-def: $sgpr14_sgpr15
                                        ; implicit-def: $sgpr46_sgpr47
	s_branch .LBB993_998
.LBB993_997:                            ;   in Loop: Header=BB993_998 Depth=1
	s_or_b64 exec, exec, s[50:51]
	s_and_b64 s[50:51], exec, s[42:43]
	s_or_b64 s[38:39], s[50:51], s[38:39]
	s_andn2_b64 s[46:47], s[46:47], exec
	s_and_b64 s[48:49], s[48:49], exec
	s_or_b64 s[46:47], s[46:47], s[48:49]
	s_andn2_b64 s[40:41], s[40:41], exec
	s_and_b64 s[48:49], s[14:15], exec
	s_or_b64 s[40:41], s[40:41], s[48:49]
	s_andn2_b64 exec, exec, s[38:39]
	s_cbranch_execz .LBB993_1000
.LBB993_998:                            ; =>This Inner Loop Header: Depth=1
	global_load_ubyte v8, v[4:5], off
	global_load_ubyte v9, v[6:7], off
	s_andn2_b64 s[50:51], s[14:15], exec
	s_or_b64 s[42:43], s[42:43], exec
	s_waitcnt vmcnt(1)
	v_cmp_eq_u16_e32 vcc, 0, v8
	s_waitcnt vmcnt(0)
	v_cmp_ne_u16_e64 s[14:15], 0, v9
	s_or_b64 s[52:53], vcc, s[14:15]
	s_and_b64 s[48:49], vcc, s[14:15]
	s_xor_b64 s[54:55], vcc, s[14:15]
	s_and_b64 s[14:15], s[52:53], s[46:47]
	s_or_b64 s[48:49], s[48:49], s[14:15]
	s_and_b64 s[14:15], s[48:49], exec
	s_or_b64 s[14:15], s[50:51], s[14:15]
	s_and_saveexec_b64 s[50:51], s[54:55]
	s_cbranch_execz .LBB993_997
; %bb.999:                              ;   in Loop: Header=BB993_998 Depth=1
	s_add_u32 s44, s44, -1
	s_addc_u32 s45, s45, -1
	s_cmp_eq_u64 s[44:45], 0
	s_cselect_b64 s[46:47], -1, 0
	s_andn2_b64 s[42:43], s[42:43], exec
	s_and_b64 s[46:47], s[46:47], exec
	v_lshl_add_u64 v[4:5], v[4:5], 0, 1
	v_lshl_add_u64 v[6:7], v[6:7], 0, 1
	s_andn2_b64 s[14:15], s[14:15], exec
	s_or_b64 s[42:43], s[42:43], s[46:47]
                                        ; implicit-def: $sgpr46_sgpr47
	s_branch .LBB993_997
.LBB993_1000:
	s_or_b64 exec, exec, s[38:39]
	s_xor_b64 s[14:15], s[40:41], -1
	s_andn2_b64 s[16:17], s[16:17], exec
	s_and_b64 s[14:15], s[14:15], exec
	s_or_b64 s[16:17], s[16:17], s[14:15]
.LBB993_1001:
	s_or_b64 exec, exec, s[36:37]
	v_cndmask_b32_e64 v4, v39, v23, s[16:17]
	v_cndmask_b32_e64 v5, v36, v35, s[16:17]
	v_add_u32_e32 v6, 1, v4
	v_add_u32_e32 v4, -1, v5
	v_min_u32_e32 v4, v6, v4
	v_lshl_add_u32 v4, v4, 3, v31
	ds_read_b64 v[4:5], v4
	v_cndmask_b32_e64 v8, v6, v39, s[16:17]
	v_cndmask_b32_e64 v9, v23, v6, s[16:17]
	v_cmp_lt_u32_e32 vcc, v8, v36
	s_mov_b64 s[38:39], -1
	s_waitcnt lgkmcnt(0)
	v_cndmask_b32_e64 v14, v5, v3, s[16:17]
	v_cndmask_b32_e64 v15, v4, v2, s[16:17]
	;; [unrolled: 1-line block ×4, first 2 shown]
	s_mov_b64 s[36:37], -1
	s_and_saveexec_b64 s[40:41], vcc
	s_cbranch_execz .LBB993_1009
; %bb.1002:
	v_cmp_lt_u32_e64 s[36:37], v9, v35
	s_and_b64 s[14:15], s[36:37], s[30:31]
	s_and_saveexec_b64 s[42:43], s[14:15]
	s_cbranch_execz .LBB993_1008
; %bb.1003:
	v_mov_b64_e32 v[6:7], s[22:23]
	v_mad_u64_u32 v[4:5], s[14:15], v15, s20, v[6:7]
	v_mul_lo_u32 v10, v15, s21
	v_mul_lo_u32 v11, v14, s20
	v_add3_u32 v5, v11, v5, v10
	v_mad_u64_u32 v[6:7], s[14:15], v22, s20, v[6:7]
	v_mul_lo_u32 v10, v22, s21
	v_mul_lo_u32 v11, v16, s20
	v_add3_u32 v7, v11, v7, v10
	s_mov_b64 s[44:45], 0
	s_mov_b64 s[50:51], s[20:21]
                                        ; implicit-def: $sgpr46_sgpr47
                                        ; implicit-def: $sgpr48_sgpr49
                                        ; implicit-def: $sgpr14_sgpr15
                                        ; implicit-def: $sgpr52_sgpr53
	s_branch .LBB993_1005
.LBB993_1004:                           ;   in Loop: Header=BB993_1005 Depth=1
	s_or_b64 exec, exec, s[56:57]
	s_and_b64 s[56:57], exec, s[48:49]
	s_or_b64 s[44:45], s[56:57], s[44:45]
	s_andn2_b64 s[52:53], s[52:53], exec
	s_and_b64 s[54:55], s[54:55], exec
	s_or_b64 s[52:53], s[52:53], s[54:55]
	s_andn2_b64 s[46:47], s[46:47], exec
	s_and_b64 s[54:55], s[14:15], exec
	s_or_b64 s[46:47], s[46:47], s[54:55]
	s_andn2_b64 exec, exec, s[44:45]
	s_cbranch_execz .LBB993_1007
.LBB993_1005:                           ; =>This Inner Loop Header: Depth=1
	global_load_ubyte v10, v[4:5], off
	global_load_ubyte v11, v[6:7], off
	s_andn2_b64 s[56:57], s[14:15], exec
	s_or_b64 s[48:49], s[48:49], exec
	s_waitcnt vmcnt(1)
	v_cmp_eq_u16_e32 vcc, 0, v10
	s_waitcnt vmcnt(0)
	v_cmp_ne_u16_e64 s[14:15], 0, v11
	s_or_b64 s[58:59], vcc, s[14:15]
	s_and_b64 s[54:55], vcc, s[14:15]
	s_xor_b64 s[60:61], vcc, s[14:15]
	s_and_b64 s[14:15], s[58:59], s[52:53]
	s_or_b64 s[54:55], s[54:55], s[14:15]
	s_and_b64 s[14:15], s[54:55], exec
	s_or_b64 s[14:15], s[56:57], s[14:15]
	s_and_saveexec_b64 s[56:57], s[60:61]
	s_cbranch_execz .LBB993_1004
; %bb.1006:                             ;   in Loop: Header=BB993_1005 Depth=1
	s_add_u32 s50, s50, -1
	s_addc_u32 s51, s51, -1
	s_cmp_eq_u64 s[50:51], 0
	s_cselect_b64 s[52:53], -1, 0
	s_andn2_b64 s[48:49], s[48:49], exec
	s_and_b64 s[52:53], s[52:53], exec
	v_lshl_add_u64 v[4:5], v[4:5], 0, 1
	v_lshl_add_u64 v[6:7], v[6:7], 0, 1
	s_andn2_b64 s[14:15], s[14:15], exec
	s_or_b64 s[48:49], s[48:49], s[52:53]
                                        ; implicit-def: $sgpr52_sgpr53
	s_branch .LBB993_1004
.LBB993_1007:
	s_or_b64 exec, exec, s[44:45]
	s_xor_b64 s[14:15], s[46:47], -1
	s_andn2_b64 s[36:37], s[36:37], exec
	s_and_b64 s[14:15], s[14:15], exec
	s_or_b64 s[36:37], s[36:37], s[14:15]
.LBB993_1008:
	s_or_b64 exec, exec, s[42:43]
	s_orn2_b64 s[36:37], s[36:37], exec
.LBB993_1009:
	s_or_b64 exec, exec, s[40:41]
	v_cndmask_b32_e64 v4, v8, v9, s[36:37]
	v_cndmask_b32_e64 v5, v36, v35, s[36:37]
	v_add_u32_e32 v6, 1, v4
	v_add_u32_e32 v4, -1, v5
	v_min_u32_e32 v4, v6, v4
	v_lshl_add_u32 v4, v4, 3, v31
	ds_read_b64 v[4:5], v4
	v_cndmask_b32_e64 v8, v6, v8, s[36:37]
	v_cndmask_b32_e64 v9, v9, v6, s[36:37]
	v_cmp_lt_u32_e32 vcc, v8, v36
	s_waitcnt lgkmcnt(0)
	v_cndmask_b32_e64 v10, v5, v14, s[36:37]
	v_cndmask_b32_e64 v17, v4, v15, s[36:37]
	;; [unrolled: 1-line block ×4, first 2 shown]
	s_and_saveexec_b64 s[40:41], vcc
	s_cbranch_execz .LBB993_1017
; %bb.1010:
	v_cmp_lt_u32_e64 s[38:39], v9, v35
	s_and_b64 s[14:15], s[38:39], s[30:31]
	s_and_saveexec_b64 s[42:43], s[14:15]
	s_cbranch_execz .LBB993_1016
; %bb.1011:
	v_mov_b64_e32 v[6:7], s[22:23]
	v_mad_u64_u32 v[4:5], s[14:15], v17, s20, v[6:7]
	v_mul_lo_u32 v12, v17, s21
	v_mul_lo_u32 v13, v10, s20
	v_add3_u32 v5, v13, v5, v12
	v_mad_u64_u32 v[6:7], s[14:15], v23, s20, v[6:7]
	v_mul_lo_u32 v12, v23, s21
	v_mul_lo_u32 v13, v11, s20
	v_add3_u32 v7, v13, v7, v12
	s_mov_b64 s[44:45], 0
	s_mov_b64 s[50:51], s[20:21]
                                        ; implicit-def: $sgpr46_sgpr47
                                        ; implicit-def: $sgpr48_sgpr49
                                        ; implicit-def: $sgpr14_sgpr15
                                        ; implicit-def: $sgpr52_sgpr53
	s_branch .LBB993_1013
.LBB993_1012:                           ;   in Loop: Header=BB993_1013 Depth=1
	s_or_b64 exec, exec, s[56:57]
	s_and_b64 s[56:57], exec, s[48:49]
	s_or_b64 s[44:45], s[56:57], s[44:45]
	s_andn2_b64 s[52:53], s[52:53], exec
	s_and_b64 s[54:55], s[54:55], exec
	s_or_b64 s[52:53], s[52:53], s[54:55]
	s_andn2_b64 s[46:47], s[46:47], exec
	s_and_b64 s[54:55], s[14:15], exec
	s_or_b64 s[46:47], s[46:47], s[54:55]
	s_andn2_b64 exec, exec, s[44:45]
	s_cbranch_execz .LBB993_1015
.LBB993_1013:                           ; =>This Inner Loop Header: Depth=1
	global_load_ubyte v12, v[4:5], off
	global_load_ubyte v13, v[6:7], off
	s_andn2_b64 s[56:57], s[14:15], exec
	s_or_b64 s[48:49], s[48:49], exec
	s_waitcnt vmcnt(1)
	v_cmp_eq_u16_e32 vcc, 0, v12
	s_waitcnt vmcnt(0)
	v_cmp_ne_u16_e64 s[14:15], 0, v13
	s_or_b64 s[58:59], vcc, s[14:15]
	s_and_b64 s[54:55], vcc, s[14:15]
	s_xor_b64 s[60:61], vcc, s[14:15]
	s_and_b64 s[14:15], s[58:59], s[52:53]
	s_or_b64 s[54:55], s[54:55], s[14:15]
	s_and_b64 s[14:15], s[54:55], exec
	s_or_b64 s[14:15], s[56:57], s[14:15]
	s_and_saveexec_b64 s[56:57], s[60:61]
	s_cbranch_execz .LBB993_1012
; %bb.1014:                             ;   in Loop: Header=BB993_1013 Depth=1
	s_add_u32 s50, s50, -1
	s_addc_u32 s51, s51, -1
	s_cmp_eq_u64 s[50:51], 0
	s_cselect_b64 s[52:53], -1, 0
	s_andn2_b64 s[48:49], s[48:49], exec
	s_and_b64 s[52:53], s[52:53], exec
	v_lshl_add_u64 v[4:5], v[4:5], 0, 1
	v_lshl_add_u64 v[6:7], v[6:7], 0, 1
	s_andn2_b64 s[14:15], s[14:15], exec
	s_or_b64 s[48:49], s[48:49], s[52:53]
                                        ; implicit-def: $sgpr52_sgpr53
	s_branch .LBB993_1012
.LBB993_1015:
	s_or_b64 exec, exec, s[44:45]
	s_xor_b64 s[14:15], s[46:47], -1
	s_andn2_b64 s[38:39], s[38:39], exec
	s_and_b64 s[14:15], s[14:15], exec
	s_or_b64 s[38:39], s[38:39], s[14:15]
.LBB993_1016:
	s_or_b64 exec, exec, s[42:43]
	s_orn2_b64 s[38:39], s[38:39], exec
.LBB993_1017:
	s_or_b64 exec, exec, s[40:41]
	v_cndmask_b32_e64 v4, v8, v9, s[38:39]
	v_cndmask_b32_e64 v5, v36, v35, s[38:39]
	v_add_u32_e32 v6, 1, v4
	v_add_u32_e32 v4, -1, v5
	v_min_u32_e32 v4, v6, v4
	v_lshl_add_u32 v4, v4, 3, v31
	ds_read_b64 v[4:5], v4
	v_cndmask_b32_e64 v8, v6, v8, s[38:39]
	v_cndmask_b32_e64 v9, v9, v6, s[38:39]
	v_cmp_lt_u32_e32 vcc, v8, v36
	s_mov_b64 s[42:43], -1
	s_waitcnt lgkmcnt(0)
	v_cndmask_b32_e64 v12, v5, v10, s[38:39]
	v_cndmask_b32_e64 v37, v4, v17, s[38:39]
	;; [unrolled: 1-line block ×4, first 2 shown]
	s_mov_b64 s[40:41], -1
	s_and_saveexec_b64 s[44:45], vcc
	s_cbranch_execz .LBB993_1025
; %bb.1018:
	v_cmp_lt_u32_e64 s[40:41], v9, v35
	s_and_b64 s[14:15], s[40:41], s[30:31]
	s_and_saveexec_b64 s[46:47], s[14:15]
	s_cbranch_execz .LBB993_1024
; %bb.1019:
	v_mov_b64_e32 v[6:7], s[22:23]
	v_mad_u64_u32 v[4:5], s[14:15], v37, s20, v[6:7]
	v_mul_lo_u32 v39, v37, s21
	v_mul_lo_u32 v40, v12, s20
	v_add3_u32 v5, v40, v5, v39
	v_mad_u64_u32 v[6:7], s[14:15], v38, s20, v[6:7]
	v_mul_lo_u32 v39, v38, s21
	v_mul_lo_u32 v40, v13, s20
	v_add3_u32 v7, v40, v7, v39
	s_mov_b64 s[48:49], 0
	s_mov_b64 s[54:55], s[20:21]
                                        ; implicit-def: $sgpr50_sgpr51
                                        ; implicit-def: $sgpr52_sgpr53
                                        ; implicit-def: $sgpr14_sgpr15
                                        ; implicit-def: $sgpr56_sgpr57
	s_branch .LBB993_1021
.LBB993_1020:                           ;   in Loop: Header=BB993_1021 Depth=1
	s_or_b64 exec, exec, s[60:61]
	s_and_b64 s[60:61], exec, s[52:53]
	s_or_b64 s[48:49], s[60:61], s[48:49]
	s_andn2_b64 s[56:57], s[56:57], exec
	s_and_b64 s[58:59], s[58:59], exec
	s_or_b64 s[56:57], s[56:57], s[58:59]
	s_andn2_b64 s[50:51], s[50:51], exec
	s_and_b64 s[58:59], s[14:15], exec
	s_or_b64 s[50:51], s[50:51], s[58:59]
	s_andn2_b64 exec, exec, s[48:49]
	s_cbranch_execz .LBB993_1023
.LBB993_1021:                           ; =>This Inner Loop Header: Depth=1
	global_load_ubyte v39, v[4:5], off
	global_load_ubyte v40, v[6:7], off
	s_andn2_b64 s[60:61], s[14:15], exec
	s_or_b64 s[52:53], s[52:53], exec
	s_waitcnt vmcnt(1)
	v_cmp_eq_u16_e32 vcc, 0, v39
	s_waitcnt vmcnt(0)
	v_cmp_ne_u16_e64 s[14:15], 0, v40
	s_or_b64 s[62:63], vcc, s[14:15]
	s_and_b64 s[58:59], vcc, s[14:15]
	s_xor_b64 s[64:65], vcc, s[14:15]
	s_and_b64 s[14:15], s[62:63], s[56:57]
	s_or_b64 s[58:59], s[58:59], s[14:15]
	s_and_b64 s[14:15], s[58:59], exec
	s_or_b64 s[14:15], s[60:61], s[14:15]
	s_and_saveexec_b64 s[60:61], s[64:65]
	s_cbranch_execz .LBB993_1020
; %bb.1022:                             ;   in Loop: Header=BB993_1021 Depth=1
	s_add_u32 s54, s54, -1
	s_addc_u32 s55, s55, -1
	s_cmp_eq_u64 s[54:55], 0
	s_cselect_b64 s[56:57], -1, 0
	s_andn2_b64 s[52:53], s[52:53], exec
	s_and_b64 s[56:57], s[56:57], exec
	v_lshl_add_u64 v[4:5], v[4:5], 0, 1
	v_lshl_add_u64 v[6:7], v[6:7], 0, 1
	s_andn2_b64 s[14:15], s[14:15], exec
	s_or_b64 s[52:53], s[52:53], s[56:57]
                                        ; implicit-def: $sgpr56_sgpr57
	s_branch .LBB993_1020
.LBB993_1023:
	s_or_b64 exec, exec, s[48:49]
	s_xor_b64 s[14:15], s[50:51], -1
	s_andn2_b64 s[40:41], s[40:41], exec
	s_and_b64 s[14:15], s[14:15], exec
	s_or_b64 s[40:41], s[40:41], s[14:15]
.LBB993_1024:
	s_or_b64 exec, exec, s[46:47]
	s_orn2_b64 s[40:41], s[40:41], exec
.LBB993_1025:
	s_or_b64 exec, exec, s[44:45]
	v_cndmask_b32_e64 v4, v8, v9, s[40:41]
	v_cndmask_b32_e64 v5, v36, v35, s[40:41]
	v_add_u32_e32 v6, 1, v4
	v_add_u32_e32 v4, -1, v5
	v_min_u32_e32 v4, v6, v4
	v_lshl_add_u32 v4, v4, 3, v31
	ds_read_b64 v[4:5], v4
	v_cndmask_b32_e64 v45, v6, v8, s[40:41]
	v_cndmask_b32_e64 v46, v9, v6, s[40:41]
	v_cmp_lt_u32_e32 vcc, v45, v36
	s_waitcnt lgkmcnt(0)
	v_cndmask_b32_e64 v39, v5, v12, s[40:41]
	v_cndmask_b32_e64 v40, v4, v37, s[40:41]
	;; [unrolled: 1-line block ×4, first 2 shown]
	s_and_saveexec_b64 s[44:45], vcc
	s_cbranch_execz .LBB993_1033
; %bb.1026:
	v_cmp_lt_u32_e64 s[42:43], v46, v35
	s_and_b64 s[14:15], s[42:43], s[30:31]
	s_and_saveexec_b64 s[46:47], s[14:15]
	s_cbranch_execz .LBB993_1032
; %bb.1027:
	v_mov_b64_e32 v[6:7], s[22:23]
	v_mad_u64_u32 v[4:5], s[14:15], v40, s20, v[6:7]
	v_mul_lo_u32 v8, v40, s21
	v_mul_lo_u32 v9, v39, s20
	v_add3_u32 v5, v9, v5, v8
	v_mad_u64_u32 v[6:7], s[14:15], v42, s20, v[6:7]
	v_mul_lo_u32 v8, v42, s21
	v_mul_lo_u32 v9, v41, s20
	v_add3_u32 v7, v9, v7, v8
	s_mov_b64 s[48:49], 0
	s_mov_b64 s[54:55], s[20:21]
                                        ; implicit-def: $sgpr50_sgpr51
                                        ; implicit-def: $sgpr52_sgpr53
                                        ; implicit-def: $sgpr14_sgpr15
                                        ; implicit-def: $sgpr56_sgpr57
	s_branch .LBB993_1029
.LBB993_1028:                           ;   in Loop: Header=BB993_1029 Depth=1
	s_or_b64 exec, exec, s[60:61]
	s_and_b64 s[60:61], exec, s[52:53]
	s_or_b64 s[48:49], s[60:61], s[48:49]
	s_andn2_b64 s[56:57], s[56:57], exec
	s_and_b64 s[58:59], s[58:59], exec
	s_or_b64 s[56:57], s[56:57], s[58:59]
	s_andn2_b64 s[50:51], s[50:51], exec
	s_and_b64 s[58:59], s[14:15], exec
	s_or_b64 s[50:51], s[50:51], s[58:59]
	s_andn2_b64 exec, exec, s[48:49]
	s_cbranch_execz .LBB993_1031
.LBB993_1029:                           ; =>This Inner Loop Header: Depth=1
	global_load_ubyte v8, v[4:5], off
	global_load_ubyte v9, v[6:7], off
	s_andn2_b64 s[60:61], s[14:15], exec
	s_or_b64 s[52:53], s[52:53], exec
	s_waitcnt vmcnt(1)
	v_cmp_eq_u16_e32 vcc, 0, v8
	s_waitcnt vmcnt(0)
	v_cmp_ne_u16_e64 s[14:15], 0, v9
	s_or_b64 s[62:63], vcc, s[14:15]
	s_and_b64 s[58:59], vcc, s[14:15]
	s_xor_b64 s[64:65], vcc, s[14:15]
	s_and_b64 s[14:15], s[62:63], s[56:57]
	s_or_b64 s[58:59], s[58:59], s[14:15]
	s_and_b64 s[14:15], s[58:59], exec
	s_or_b64 s[14:15], s[60:61], s[14:15]
	s_and_saveexec_b64 s[60:61], s[64:65]
	s_cbranch_execz .LBB993_1028
; %bb.1030:                             ;   in Loop: Header=BB993_1029 Depth=1
	s_add_u32 s54, s54, -1
	s_addc_u32 s55, s55, -1
	s_cmp_eq_u64 s[54:55], 0
	s_cselect_b64 s[56:57], -1, 0
	s_andn2_b64 s[52:53], s[52:53], exec
	s_and_b64 s[56:57], s[56:57], exec
	v_lshl_add_u64 v[4:5], v[4:5], 0, 1
	v_lshl_add_u64 v[6:7], v[6:7], 0, 1
	s_andn2_b64 s[14:15], s[14:15], exec
	s_or_b64 s[52:53], s[52:53], s[56:57]
                                        ; implicit-def: $sgpr56_sgpr57
	s_branch .LBB993_1028
.LBB993_1031:
	s_or_b64 exec, exec, s[48:49]
	s_xor_b64 s[14:15], s[50:51], -1
	s_andn2_b64 s[42:43], s[42:43], exec
	s_and_b64 s[14:15], s[14:15], exec
	s_or_b64 s[42:43], s[42:43], s[14:15]
.LBB993_1032:
	s_or_b64 exec, exec, s[46:47]
	s_orn2_b64 s[42:43], s[42:43], exec
.LBB993_1033:
	s_or_b64 exec, exec, s[44:45]
	v_cndmask_b32_e64 v4, v45, v46, s[42:43]
	v_cndmask_b32_e64 v5, v36, v35, s[42:43]
	v_add_u32_e32 v6, 1, v4
	v_add_u32_e32 v4, -1, v5
	v_min_u32_e32 v4, v6, v4
	v_lshl_add_u32 v4, v4, 3, v31
	ds_read_b64 v[4:5], v4
	v_cndmask_b32_e64 v47, v6, v45, s[42:43]
	v_cndmask_b32_e64 v51, v46, v6, s[42:43]
	v_cmp_lt_u32_e32 vcc, v47, v36
	s_mov_b64 s[44:45], -1
	s_waitcnt lgkmcnt(0)
	v_cndmask_b32_e64 v8, v5, v39, s[42:43]
	v_cndmask_b32_e64 v43, v4, v40, s[42:43]
	v_cndmask_b32_e64 v9, v41, v5, s[42:43]
	v_cndmask_b32_e64 v44, v42, v4, s[42:43]
	s_mov_b64 s[46:47], -1
	s_and_saveexec_b64 s[48:49], vcc
	s_cbranch_execz .LBB993_1041
; %bb.1034:
	v_cmp_lt_u32_e64 s[46:47], v51, v35
	s_and_b64 s[14:15], s[46:47], s[30:31]
	s_and_saveexec_b64 s[50:51], s[14:15]
	s_cbranch_execz .LBB993_1040
; %bb.1035:
	v_mov_b64_e32 v[6:7], s[22:23]
	v_mad_u64_u32 v[4:5], s[14:15], v43, s20, v[6:7]
	v_mul_lo_u32 v45, v43, s21
	v_mul_lo_u32 v46, v8, s20
	v_add3_u32 v5, v46, v5, v45
	v_mad_u64_u32 v[6:7], s[14:15], v44, s20, v[6:7]
	v_mul_lo_u32 v45, v44, s21
	v_mul_lo_u32 v46, v9, s20
	v_add3_u32 v7, v46, v7, v45
	s_mov_b64 s[52:53], 0
	s_mov_b64 s[58:59], s[20:21]
                                        ; implicit-def: $sgpr54_sgpr55
                                        ; implicit-def: $sgpr56_sgpr57
                                        ; implicit-def: $sgpr14_sgpr15
                                        ; implicit-def: $sgpr60_sgpr61
	s_branch .LBB993_1037
.LBB993_1036:                           ;   in Loop: Header=BB993_1037 Depth=1
	s_or_b64 exec, exec, s[64:65]
	s_and_b64 s[64:65], exec, s[56:57]
	s_or_b64 s[52:53], s[64:65], s[52:53]
	s_andn2_b64 s[60:61], s[60:61], exec
	s_and_b64 s[62:63], s[62:63], exec
	s_or_b64 s[60:61], s[60:61], s[62:63]
	s_andn2_b64 s[54:55], s[54:55], exec
	s_and_b64 s[62:63], s[14:15], exec
	s_or_b64 s[54:55], s[54:55], s[62:63]
	s_andn2_b64 exec, exec, s[52:53]
	s_cbranch_execz .LBB993_1039
.LBB993_1037:                           ; =>This Inner Loop Header: Depth=1
	global_load_ubyte v45, v[4:5], off
	global_load_ubyte v46, v[6:7], off
	s_andn2_b64 s[64:65], s[14:15], exec
	s_or_b64 s[56:57], s[56:57], exec
	s_waitcnt vmcnt(1)
	v_cmp_eq_u16_e32 vcc, 0, v45
	s_waitcnt vmcnt(0)
	v_cmp_ne_u16_e64 s[14:15], 0, v46
	s_or_b64 s[66:67], vcc, s[14:15]
	s_and_b64 s[62:63], vcc, s[14:15]
	s_xor_b64 s[68:69], vcc, s[14:15]
	s_and_b64 s[14:15], s[66:67], s[60:61]
	s_or_b64 s[62:63], s[62:63], s[14:15]
	s_and_b64 s[14:15], s[62:63], exec
	s_or_b64 s[14:15], s[64:65], s[14:15]
	s_and_saveexec_b64 s[64:65], s[68:69]
	s_cbranch_execz .LBB993_1036
; %bb.1038:                             ;   in Loop: Header=BB993_1037 Depth=1
	s_add_u32 s58, s58, -1
	s_addc_u32 s59, s59, -1
	s_cmp_eq_u64 s[58:59], 0
	s_cselect_b64 s[60:61], -1, 0
	s_andn2_b64 s[56:57], s[56:57], exec
	s_and_b64 s[60:61], s[60:61], exec
	v_lshl_add_u64 v[4:5], v[4:5], 0, 1
	v_lshl_add_u64 v[6:7], v[6:7], 0, 1
	s_andn2_b64 s[14:15], s[14:15], exec
	s_or_b64 s[56:57], s[56:57], s[60:61]
                                        ; implicit-def: $sgpr60_sgpr61
	s_branch .LBB993_1036
.LBB993_1039:
	s_or_b64 exec, exec, s[52:53]
	s_xor_b64 s[14:15], s[54:55], -1
	s_andn2_b64 s[46:47], s[46:47], exec
	s_and_b64 s[14:15], s[14:15], exec
	s_or_b64 s[46:47], s[46:47], s[14:15]
.LBB993_1040:
	s_or_b64 exec, exec, s[50:51]
	s_orn2_b64 s[46:47], s[46:47], exec
.LBB993_1041:
	s_or_b64 exec, exec, s[48:49]
	v_cndmask_b32_e64 v4, v47, v51, s[46:47]
	v_cndmask_b32_e64 v5, v36, v35, s[46:47]
	v_add_u32_e32 v6, 1, v4
	v_add_u32_e32 v4, -1, v5
	v_min_u32_e32 v4, v6, v4
	v_lshl_add_u32 v4, v4, 3, v31
	ds_read_b64 v[4:5], v4
	v_cndmask_b32_e64 v48, v6, v47, s[46:47]
	v_cndmask_b32_e64 v47, v51, v6, s[46:47]
	v_cmp_lt_u32_e32 vcc, v48, v36
	s_waitcnt lgkmcnt(0)
	v_cndmask_b32_e64 v45, v5, v8, s[46:47]
	v_cndmask_b32_e64 v46, v4, v43, s[46:47]
	;; [unrolled: 1-line block ×4, first 2 shown]
	s_and_saveexec_b64 s[48:49], vcc
	s_cbranch_execz .LBB993_1049
; %bb.1042:
	v_cmp_lt_u32_e64 s[44:45], v47, v35
	s_and_b64 s[14:15], s[44:45], s[30:31]
	s_and_saveexec_b64 s[50:51], s[14:15]
	s_cbranch_execz .LBB993_1048
; %bb.1043:
	v_mov_b64_e32 v[6:7], s[22:23]
	v_mad_u64_u32 v[4:5], s[14:15], v46, s20, v[6:7]
	v_mul_lo_u32 v51, v46, s21
	v_mul_lo_u32 v52, v45, s20
	v_add3_u32 v5, v52, v5, v51
	v_mad_u64_u32 v[6:7], s[14:15], v50, s20, v[6:7]
	v_mul_lo_u32 v51, v50, s21
	v_mul_lo_u32 v52, v49, s20
	v_add3_u32 v7, v52, v7, v51
	s_mov_b64 s[52:53], 0
	s_mov_b64 s[58:59], s[20:21]
                                        ; implicit-def: $sgpr54_sgpr55
                                        ; implicit-def: $sgpr56_sgpr57
                                        ; implicit-def: $sgpr14_sgpr15
                                        ; implicit-def: $sgpr60_sgpr61
	s_branch .LBB993_1045
.LBB993_1044:                           ;   in Loop: Header=BB993_1045 Depth=1
	s_or_b64 exec, exec, s[64:65]
	s_and_b64 s[64:65], exec, s[56:57]
	s_or_b64 s[52:53], s[64:65], s[52:53]
	s_andn2_b64 s[60:61], s[60:61], exec
	s_and_b64 s[62:63], s[62:63], exec
	s_or_b64 s[60:61], s[60:61], s[62:63]
	s_andn2_b64 s[54:55], s[54:55], exec
	s_and_b64 s[62:63], s[14:15], exec
	s_or_b64 s[54:55], s[54:55], s[62:63]
	s_andn2_b64 exec, exec, s[52:53]
	s_cbranch_execz .LBB993_1047
.LBB993_1045:                           ; =>This Inner Loop Header: Depth=1
	global_load_ubyte v51, v[4:5], off
	global_load_ubyte v52, v[6:7], off
	s_andn2_b64 s[64:65], s[14:15], exec
	s_or_b64 s[56:57], s[56:57], exec
	s_waitcnt vmcnt(1)
	v_cmp_eq_u16_e32 vcc, 0, v51
	s_waitcnt vmcnt(0)
	v_cmp_ne_u16_e64 s[14:15], 0, v52
	s_or_b64 s[66:67], vcc, s[14:15]
	s_and_b64 s[62:63], vcc, s[14:15]
	s_xor_b64 s[68:69], vcc, s[14:15]
	s_and_b64 s[14:15], s[66:67], s[60:61]
	s_or_b64 s[62:63], s[62:63], s[14:15]
	s_and_b64 s[14:15], s[62:63], exec
	s_or_b64 s[14:15], s[64:65], s[14:15]
	s_and_saveexec_b64 s[64:65], s[68:69]
	s_cbranch_execz .LBB993_1044
; %bb.1046:                             ;   in Loop: Header=BB993_1045 Depth=1
	s_add_u32 s58, s58, -1
	s_addc_u32 s59, s59, -1
	s_cmp_eq_u64 s[58:59], 0
	s_cselect_b64 s[60:61], -1, 0
	s_andn2_b64 s[56:57], s[56:57], exec
	s_and_b64 s[60:61], s[60:61], exec
	v_lshl_add_u64 v[4:5], v[4:5], 0, 1
	v_lshl_add_u64 v[6:7], v[6:7], 0, 1
	s_andn2_b64 s[14:15], s[14:15], exec
	s_or_b64 s[56:57], s[56:57], s[60:61]
                                        ; implicit-def: $sgpr60_sgpr61
	s_branch .LBB993_1044
.LBB993_1047:
	s_or_b64 exec, exec, s[52:53]
	s_xor_b64 s[14:15], s[54:55], -1
	s_andn2_b64 s[44:45], s[44:45], exec
	s_and_b64 s[14:15], s[14:15], exec
	s_or_b64 s[44:45], s[44:45], s[14:15]
.LBB993_1048:
	s_or_b64 exec, exec, s[50:51]
	s_orn2_b64 s[44:45], s[44:45], exec
.LBB993_1049:
	s_or_b64 exec, exec, s[48:49]
	v_cndmask_b32_e64 v4, v48, v47, s[44:45]
	v_cndmask_b32_e64 v5, v36, v35, s[44:45]
	;; [unrolled: 1-line block ×4, first 2 shown]
	v_add_u32_e32 v38, 1, v4
	v_add_u32_e32 v4, -1, v5
	v_min_u32_e32 v4, v38, v4
	v_lshl_add_u32 v4, v4, 3, v31
	v_cndmask_b32_e64 v11, v10, v11, s[38:39]
	v_cndmask_b32_e64 v10, v17, v23, s[38:39]
	v_cndmask_b32_e64 v17, v14, v16, s[36:37]
	v_cndmask_b32_e64 v16, v15, v22, s[36:37]
	ds_read_b64 v[22:23], v4
	v_cndmask_b32_e64 v14, v2, v0, s[16:17]
	v_cndmask_b32_e64 v0, v38, v48, s[44:45]
	;; [unrolled: 1-line block ×9, first 2 shown]
	s_waitcnt lgkmcnt(0)
	v_cndmask_b32_e64 v5, v49, v23, s[44:45]
	v_cndmask_b32_e64 v4, v50, v22, s[44:45]
	v_cmp_lt_u32_e32 vcc, v0, v36
	s_and_saveexec_b64 s[16:17], vcc
	s_cbranch_execz .LBB993_1057
; %bb.1050:
	v_cndmask_b32_e64 v0, v47, v38, s[44:45]
	v_cndmask_b32_e64 v36, v23, v45, s[44:45]
	;; [unrolled: 1-line block ×3, first 2 shown]
	v_cmp_ge_u32_e32 vcc, v0, v35
	s_nor_b64 s[14:15], vcc, s[28:29]
	s_nop 0
	v_cndmask_b32_e32 v1, v5, v36, vcc
	v_cndmask_b32_e32 v0, v4, v37, vcc
	s_and_saveexec_b64 s[36:37], s[14:15]
	s_cbranch_execz .LBB993_1056
; %bb.1051:
	v_mov_b64_e32 v[22:23], s[22:23]
	v_mad_u64_u32 v[0:1], s[14:15], v37, s20, v[22:23]
	v_mul_lo_u32 v35, v37, s21
	v_mul_lo_u32 v38, v36, s20
	v_add3_u32 v1, v38, v1, v35
	v_mad_u64_u32 v[22:23], s[14:15], v4, s20, v[22:23]
	v_mul_lo_u32 v35, v4, s21
	v_mul_lo_u32 v38, v5, s20
	v_add3_u32 v23, v38, v23, v35
	s_mov_b64 s[38:39], 0
	s_mov_b64 s[44:45], s[20:21]
                                        ; implicit-def: $sgpr40_sgpr41
                                        ; implicit-def: $sgpr42_sgpr43
                                        ; implicit-def: $sgpr14_sgpr15
                                        ; implicit-def: $sgpr46_sgpr47
	s_branch .LBB993_1053
.LBB993_1052:                           ;   in Loop: Header=BB993_1053 Depth=1
	s_or_b64 exec, exec, s[50:51]
	s_and_b64 s[50:51], exec, s[42:43]
	s_or_b64 s[38:39], s[50:51], s[38:39]
	s_andn2_b64 s[46:47], s[46:47], exec
	s_and_b64 s[48:49], s[48:49], exec
	s_or_b64 s[46:47], s[46:47], s[48:49]
	s_andn2_b64 s[40:41], s[40:41], exec
	s_and_b64 s[48:49], s[14:15], exec
	s_or_b64 s[40:41], s[40:41], s[48:49]
	s_andn2_b64 exec, exec, s[38:39]
	s_cbranch_execz .LBB993_1055
.LBB993_1053:                           ; =>This Inner Loop Header: Depth=1
	global_load_ubyte v35, v[0:1], off
	global_load_ubyte v38, v[22:23], off
	s_andn2_b64 s[50:51], s[14:15], exec
	s_or_b64 s[42:43], s[42:43], exec
	s_waitcnt vmcnt(1)
	v_cmp_eq_u16_e32 vcc, 0, v35
	s_waitcnt vmcnt(0)
	v_cmp_ne_u16_e64 s[14:15], 0, v38
	s_or_b64 s[52:53], vcc, s[14:15]
	s_and_b64 s[48:49], vcc, s[14:15]
	s_xor_b64 s[54:55], vcc, s[14:15]
	s_and_b64 s[14:15], s[52:53], s[46:47]
	s_or_b64 s[48:49], s[48:49], s[14:15]
	s_and_b64 s[14:15], s[48:49], exec
	s_or_b64 s[14:15], s[50:51], s[14:15]
	s_and_saveexec_b64 s[50:51], s[54:55]
	s_cbranch_execz .LBB993_1052
; %bb.1054:                             ;   in Loop: Header=BB993_1053 Depth=1
	s_add_u32 s44, s44, -1
	s_addc_u32 s45, s45, -1
	s_cmp_eq_u64 s[44:45], 0
	s_cselect_b64 s[46:47], -1, 0
	s_andn2_b64 s[42:43], s[42:43], exec
	s_and_b64 s[46:47], s[46:47], exec
	v_lshl_add_u64 v[0:1], v[0:1], 0, 1
	v_lshl_add_u64 v[22:23], v[22:23], 0, 1
	s_andn2_b64 s[14:15], s[14:15], exec
	s_or_b64 s[42:43], s[42:43], s[46:47]
                                        ; implicit-def: $sgpr46_sgpr47
	s_branch .LBB993_1052
.LBB993_1055:
	s_or_b64 exec, exec, s[38:39]
	v_cndmask_b32_e64 v1, v5, v36, s[40:41]
	v_cndmask_b32_e64 v0, v4, v37, s[40:41]
.LBB993_1056:
	s_or_b64 exec, exec, s[36:37]
	v_mov_b64_e32 v[4:5], v[0:1]
.LBB993_1057:
	s_or_b64 exec, exec, s[16:17]
.LBB993_1058:
	s_or_b64 exec, exec, s[34:35]
	v_and_b32_e32 v36, 0x380, v33
	v_or_b32_e32 v0, 64, v36
	; wave barrier
	ds_write_b128 v34, v[14:17]
	ds_write_b128 v34, v[10:13] offset:16
	ds_write_b128 v34, v[6:9] offset:32
	;; [unrolled: 1-line block ×3, first 2 shown]
	v_min_u32_e32 v34, v32, v0
	v_add_u32_e32 v0, 64, v34
	v_min_u32_e32 v35, v32, v0
	v_and_b32_e32 v0, 0x78, v33
	v_min_u32_e32 v37, v32, v0
	v_sub_u32_e32 v0, v34, v36
	v_sub_u32_e32 v1, v35, v34
	v_sub_u32_e64 v33, v37, v1 clamp
	v_min_u32_e32 v38, v37, v0
	v_lshl_add_u32 v32, v36, 3, v31
	v_cmp_lt_u32_e32 vcc, v33, v38
	; wave barrier
	s_and_saveexec_b64 s[34:35], vcc
	s_cbranch_execz .LBB993_1068
; %bb.1059:
	v_lshlrev_b32_e32 v0, 3, v34
	v_lshlrev_b32_e32 v1, 3, v37
	v_add3_u32 v39, v31, v0, v1
	v_cndmask_b32_e64 v0, 0, 1, s[18:19]
	s_mov_b64 s[36:37], 0
	v_cmp_ne_u32_e64 s[14:15], 1, v0
	s_branch .LBB993_1062
.LBB993_1060:                           ;   in Loop: Header=BB993_1062 Depth=1
	s_or_b64 exec, exec, s[40:41]
.LBB993_1061:                           ;   in Loop: Header=BB993_1062 Depth=1
	v_add_u32_e32 v0, 1, v40
	v_cndmask_b32_e64 v38, v38, v40, s[38:39]
	v_cndmask_b32_e64 v33, v0, v33, s[38:39]
	v_cmp_ge_u32_e32 vcc, v33, v38
	s_or_b64 s[36:37], vcc, s[36:37]
	s_andn2_b64 exec, exec, s[36:37]
	s_cbranch_execz .LBB993_1067
.LBB993_1062:                           ; =>This Loop Header: Depth=1
                                        ;     Child Loop BB993_1065 Depth 2
	v_add_u32_e32 v0, v38, v33
	v_lshrrev_b32_e32 v40, 1, v0
	s_and_b64 vcc, exec, s[14:15]
	s_mov_b64 s[38:39], 0
	s_cbranch_vccnz .LBB993_1061
; %bb.1063:                             ;   in Loop: Header=BB993_1062 Depth=1
	v_not_b32_e32 v0, v40
	v_lshl_add_u32 v0, v0, 3, v39
	ds_read_b64 v[0:1], v0
	v_lshl_add_u32 v41, v40, 3, v32
	ds_read_b64 v[42:43], v41
	v_mov_b64_e32 v[22:23], s[22:23]
	s_mov_b64 s[40:41], 0
	s_waitcnt lgkmcnt(1)
	v_mul_lo_u32 v41, v0, s21
	v_mul_lo_u32 v44, v1, s20
	v_mad_u64_u32 v[0:1], s[16:17], v0, s20, v[22:23]
	v_add3_u32 v1, v44, v1, v41
	s_waitcnt lgkmcnt(0)
	v_mul_lo_u32 v41, v42, s21
	v_mul_lo_u32 v43, v43, s20
	v_mad_u64_u32 v[22:23], s[16:17], v42, s20, v[22:23]
	v_add3_u32 v23, v43, v23, v41
	s_mov_b64 s[44:45], s[20:21]
                                        ; implicit-def: $sgpr38_sgpr39
                                        ; implicit-def: $sgpr42_sgpr43
                                        ; implicit-def: $sgpr16_sgpr17
                                        ; implicit-def: $sgpr46_sgpr47
	s_branch .LBB993_1065
.LBB993_1064:                           ;   in Loop: Header=BB993_1065 Depth=2
	s_or_b64 exec, exec, s[50:51]
	s_and_b64 s[50:51], exec, s[42:43]
	s_or_b64 s[40:41], s[50:51], s[40:41]
	s_andn2_b64 s[46:47], s[46:47], exec
	s_and_b64 s[48:49], s[48:49], exec
	s_or_b64 s[46:47], s[46:47], s[48:49]
	s_andn2_b64 s[38:39], s[38:39], exec
	s_and_b64 s[48:49], s[16:17], exec
	s_or_b64 s[38:39], s[38:39], s[48:49]
	s_andn2_b64 exec, exec, s[40:41]
	s_cbranch_execz .LBB993_1060
.LBB993_1065:                           ;   Parent Loop BB993_1062 Depth=1
                                        ; =>  This Inner Loop Header: Depth=2
	global_load_ubyte v41, v[0:1], off
	global_load_ubyte v42, v[22:23], off
	s_andn2_b64 s[50:51], s[16:17], exec
	s_or_b64 s[42:43], s[42:43], exec
	s_waitcnt vmcnt(1)
	v_cmp_eq_u16_e32 vcc, 0, v41
	s_waitcnt vmcnt(0)
	v_cmp_ne_u16_e64 s[16:17], 0, v42
	s_or_b64 s[52:53], vcc, s[16:17]
	s_and_b64 s[48:49], vcc, s[16:17]
	s_xor_b64 s[54:55], vcc, s[16:17]
	s_and_b64 s[16:17], s[52:53], s[46:47]
	s_or_b64 s[48:49], s[48:49], s[16:17]
	s_and_b64 s[16:17], s[48:49], exec
	s_or_b64 s[16:17], s[50:51], s[16:17]
	s_and_saveexec_b64 s[50:51], s[54:55]
	s_cbranch_execz .LBB993_1064
; %bb.1066:                             ;   in Loop: Header=BB993_1065 Depth=2
	s_add_u32 s44, s44, -1
	s_addc_u32 s45, s45, -1
	s_cmp_eq_u64 s[44:45], 0
	s_cselect_b64 s[46:47], -1, 0
	s_andn2_b64 s[42:43], s[42:43], exec
	s_and_b64 s[46:47], s[46:47], exec
	v_lshl_add_u64 v[0:1], v[0:1], 0, 1
	v_lshl_add_u64 v[22:23], v[22:23], 0, 1
	s_andn2_b64 s[16:17], s[16:17], exec
	s_or_b64 s[42:43], s[42:43], s[46:47]
                                        ; implicit-def: $sgpr46_sgpr47
	s_branch .LBB993_1064
.LBB993_1067:
	s_or_b64 exec, exec, s[36:37]
.LBB993_1068:
	s_or_b64 exec, exec, s[34:35]
	v_add_u32_e32 v0, v34, v37
	v_add_u32_e32 v23, v33, v36
	v_sub_u32_e32 v36, v0, v33
	v_cmp_le_u32_e32 vcc, v23, v34
	v_cmp_le_u32_e64 s[14:15], v36, v35
	s_or_b64 s[14:15], vcc, s[14:15]
	s_and_saveexec_b64 s[34:35], s[14:15]
	s_cbranch_execz .LBB993_1136
; %bb.1069:
	v_cmp_ge_u32_e32 vcc, v23, v34
	v_cmp_lt_u32_e64 s[14:15], v23, v34
                                        ; implicit-def: $vgpr0_vgpr1
	s_and_saveexec_b64 s[16:17], s[14:15]
; %bb.1070:
	v_lshl_add_u32 v0, v33, 3, v32
	ds_read_b64 v[0:1], v0
; %bb.1071:
	s_or_b64 exec, exec, s[16:17]
	v_cmp_ge_u32_e64 s[14:15], v36, v35
	v_cmp_lt_u32_e64 s[16:17], v36, v35
                                        ; implicit-def: $vgpr2_vgpr3
	s_and_saveexec_b64 s[36:37], s[16:17]
; %bb.1072:
	v_lshl_add_u32 v2, v36, 3, v31
	ds_read_b64 v[2:3], v2
; %bb.1073:
	s_or_b64 exec, exec, s[36:37]
	s_or_b64 s[16:17], vcc, s[14:15]
	s_nor_b64 s[38:39], s[16:17], s[28:29]
	s_xor_b64 s[16:17], vcc, -1
	s_or_b64 s[16:17], s[14:15], s[16:17]
	s_and_saveexec_b64 s[36:37], s[38:39]
	s_cbranch_execz .LBB993_1079
; %bb.1074:
	v_mov_b64_e32 v[6:7], s[22:23]
	s_waitcnt lgkmcnt(0)
	v_mad_u64_u32 v[4:5], s[14:15], v2, s20, v[6:7]
	v_mul_lo_u32 v8, v2, s21
	v_mul_lo_u32 v9, v3, s20
	v_add3_u32 v5, v9, v5, v8
	v_mad_u64_u32 v[6:7], s[14:15], v0, s20, v[6:7]
	v_mul_lo_u32 v8, v0, s21
	v_mul_lo_u32 v9, v1, s20
	v_add3_u32 v7, v9, v7, v8
	s_mov_b64 s[38:39], 0
	s_mov_b64 s[44:45], s[20:21]
                                        ; implicit-def: $sgpr40_sgpr41
                                        ; implicit-def: $sgpr42_sgpr43
                                        ; implicit-def: $sgpr14_sgpr15
                                        ; implicit-def: $sgpr46_sgpr47
	s_branch .LBB993_1076
.LBB993_1075:                           ;   in Loop: Header=BB993_1076 Depth=1
	s_or_b64 exec, exec, s[50:51]
	s_and_b64 s[50:51], exec, s[42:43]
	s_or_b64 s[38:39], s[50:51], s[38:39]
	s_andn2_b64 s[46:47], s[46:47], exec
	s_and_b64 s[48:49], s[48:49], exec
	s_or_b64 s[46:47], s[46:47], s[48:49]
	s_andn2_b64 s[40:41], s[40:41], exec
	s_and_b64 s[48:49], s[14:15], exec
	s_or_b64 s[40:41], s[40:41], s[48:49]
	s_andn2_b64 exec, exec, s[38:39]
	s_cbranch_execz .LBB993_1078
.LBB993_1076:                           ; =>This Inner Loop Header: Depth=1
	global_load_ubyte v8, v[4:5], off
	global_load_ubyte v9, v[6:7], off
	s_andn2_b64 s[50:51], s[14:15], exec
	s_or_b64 s[42:43], s[42:43], exec
	s_waitcnt vmcnt(1)
	v_cmp_eq_u16_e32 vcc, 0, v8
	s_waitcnt vmcnt(0)
	v_cmp_ne_u16_e64 s[14:15], 0, v9
	s_or_b64 s[52:53], vcc, s[14:15]
	s_and_b64 s[48:49], vcc, s[14:15]
	s_xor_b64 s[54:55], vcc, s[14:15]
	s_and_b64 s[14:15], s[52:53], s[46:47]
	s_or_b64 s[48:49], s[48:49], s[14:15]
	s_and_b64 s[14:15], s[48:49], exec
	s_or_b64 s[14:15], s[50:51], s[14:15]
	s_and_saveexec_b64 s[50:51], s[54:55]
	s_cbranch_execz .LBB993_1075
; %bb.1077:                             ;   in Loop: Header=BB993_1076 Depth=1
	s_add_u32 s44, s44, -1
	s_addc_u32 s45, s45, -1
	s_cmp_eq_u64 s[44:45], 0
	s_cselect_b64 s[46:47], -1, 0
	s_andn2_b64 s[42:43], s[42:43], exec
	s_and_b64 s[46:47], s[46:47], exec
	v_lshl_add_u64 v[4:5], v[4:5], 0, 1
	v_lshl_add_u64 v[6:7], v[6:7], 0, 1
	s_andn2_b64 s[14:15], s[14:15], exec
	s_or_b64 s[42:43], s[42:43], s[46:47]
                                        ; implicit-def: $sgpr46_sgpr47
	s_branch .LBB993_1075
.LBB993_1078:
	s_or_b64 exec, exec, s[38:39]
	s_xor_b64 s[14:15], s[40:41], -1
	s_andn2_b64 s[16:17], s[16:17], exec
	s_and_b64 s[14:15], s[14:15], exec
	s_or_b64 s[16:17], s[16:17], s[14:15]
.LBB993_1079:
	s_or_b64 exec, exec, s[36:37]
	v_cndmask_b32_e64 v4, v36, v23, s[16:17]
	v_cndmask_b32_e64 v5, v35, v34, s[16:17]
	v_add_u32_e32 v6, 1, v4
	v_add_u32_e32 v4, -1, v5
	v_min_u32_e32 v4, v6, v4
	v_lshl_add_u32 v4, v4, 3, v31
	ds_read_b64 v[4:5], v4
	v_cndmask_b32_e64 v8, v6, v36, s[16:17]
	v_cndmask_b32_e64 v9, v23, v6, s[16:17]
	v_cmp_lt_u32_e32 vcc, v8, v35
	s_mov_b64 s[38:39], -1
	s_waitcnt lgkmcnt(0)
	v_cndmask_b32_e64 v14, v5, v3, s[16:17]
	v_cndmask_b32_e64 v15, v4, v2, s[16:17]
	;; [unrolled: 1-line block ×4, first 2 shown]
	s_mov_b64 s[36:37], -1
	s_and_saveexec_b64 s[40:41], vcc
	s_cbranch_execz .LBB993_1087
; %bb.1080:
	v_cmp_lt_u32_e64 s[36:37], v9, v34
	s_and_b64 s[14:15], s[36:37], s[30:31]
	s_and_saveexec_b64 s[42:43], s[14:15]
	s_cbranch_execz .LBB993_1086
; %bb.1081:
	v_mov_b64_e32 v[6:7], s[22:23]
	v_mad_u64_u32 v[4:5], s[14:15], v15, s20, v[6:7]
	v_mul_lo_u32 v10, v15, s21
	v_mul_lo_u32 v11, v14, s20
	v_add3_u32 v5, v11, v5, v10
	v_mad_u64_u32 v[6:7], s[14:15], v22, s20, v[6:7]
	v_mul_lo_u32 v10, v22, s21
	v_mul_lo_u32 v11, v16, s20
	v_add3_u32 v7, v11, v7, v10
	s_mov_b64 s[44:45], 0
	s_mov_b64 s[50:51], s[20:21]
                                        ; implicit-def: $sgpr46_sgpr47
                                        ; implicit-def: $sgpr48_sgpr49
                                        ; implicit-def: $sgpr14_sgpr15
                                        ; implicit-def: $sgpr52_sgpr53
	s_branch .LBB993_1083
.LBB993_1082:                           ;   in Loop: Header=BB993_1083 Depth=1
	s_or_b64 exec, exec, s[56:57]
	s_and_b64 s[56:57], exec, s[48:49]
	s_or_b64 s[44:45], s[56:57], s[44:45]
	s_andn2_b64 s[52:53], s[52:53], exec
	s_and_b64 s[54:55], s[54:55], exec
	s_or_b64 s[52:53], s[52:53], s[54:55]
	s_andn2_b64 s[46:47], s[46:47], exec
	s_and_b64 s[54:55], s[14:15], exec
	s_or_b64 s[46:47], s[46:47], s[54:55]
	s_andn2_b64 exec, exec, s[44:45]
	s_cbranch_execz .LBB993_1085
.LBB993_1083:                           ; =>This Inner Loop Header: Depth=1
	global_load_ubyte v10, v[4:5], off
	global_load_ubyte v11, v[6:7], off
	s_andn2_b64 s[56:57], s[14:15], exec
	s_or_b64 s[48:49], s[48:49], exec
	s_waitcnt vmcnt(1)
	v_cmp_eq_u16_e32 vcc, 0, v10
	s_waitcnt vmcnt(0)
	v_cmp_ne_u16_e64 s[14:15], 0, v11
	s_or_b64 s[58:59], vcc, s[14:15]
	s_and_b64 s[54:55], vcc, s[14:15]
	s_xor_b64 s[60:61], vcc, s[14:15]
	s_and_b64 s[14:15], s[58:59], s[52:53]
	s_or_b64 s[54:55], s[54:55], s[14:15]
	s_and_b64 s[14:15], s[54:55], exec
	s_or_b64 s[14:15], s[56:57], s[14:15]
	s_and_saveexec_b64 s[56:57], s[60:61]
	s_cbranch_execz .LBB993_1082
; %bb.1084:                             ;   in Loop: Header=BB993_1083 Depth=1
	s_add_u32 s50, s50, -1
	s_addc_u32 s51, s51, -1
	s_cmp_eq_u64 s[50:51], 0
	s_cselect_b64 s[52:53], -1, 0
	s_andn2_b64 s[48:49], s[48:49], exec
	s_and_b64 s[52:53], s[52:53], exec
	v_lshl_add_u64 v[4:5], v[4:5], 0, 1
	v_lshl_add_u64 v[6:7], v[6:7], 0, 1
	s_andn2_b64 s[14:15], s[14:15], exec
	s_or_b64 s[48:49], s[48:49], s[52:53]
                                        ; implicit-def: $sgpr52_sgpr53
	s_branch .LBB993_1082
.LBB993_1085:
	s_or_b64 exec, exec, s[44:45]
	s_xor_b64 s[14:15], s[46:47], -1
	s_andn2_b64 s[36:37], s[36:37], exec
	s_and_b64 s[14:15], s[14:15], exec
	s_or_b64 s[36:37], s[36:37], s[14:15]
.LBB993_1086:
	s_or_b64 exec, exec, s[42:43]
	s_orn2_b64 s[36:37], s[36:37], exec
.LBB993_1087:
	s_or_b64 exec, exec, s[40:41]
	v_cndmask_b32_e64 v4, v8, v9, s[36:37]
	v_cndmask_b32_e64 v5, v35, v34, s[36:37]
	v_add_u32_e32 v6, 1, v4
	v_add_u32_e32 v4, -1, v5
	v_min_u32_e32 v4, v6, v4
	v_lshl_add_u32 v4, v4, 3, v31
	ds_read_b64 v[4:5], v4
	v_cndmask_b32_e64 v8, v6, v8, s[36:37]
	v_cndmask_b32_e64 v9, v9, v6, s[36:37]
	v_cmp_lt_u32_e32 vcc, v8, v35
	s_waitcnt lgkmcnt(0)
	v_cndmask_b32_e64 v10, v5, v14, s[36:37]
	v_cndmask_b32_e64 v17, v4, v15, s[36:37]
	;; [unrolled: 1-line block ×4, first 2 shown]
	s_and_saveexec_b64 s[40:41], vcc
	s_cbranch_execz .LBB993_1095
; %bb.1088:
	v_cmp_lt_u32_e64 s[38:39], v9, v34
	s_and_b64 s[14:15], s[38:39], s[30:31]
	s_and_saveexec_b64 s[42:43], s[14:15]
	s_cbranch_execz .LBB993_1094
; %bb.1089:
	v_mov_b64_e32 v[6:7], s[22:23]
	v_mad_u64_u32 v[4:5], s[14:15], v17, s20, v[6:7]
	v_mul_lo_u32 v12, v17, s21
	v_mul_lo_u32 v13, v10, s20
	v_add3_u32 v5, v13, v5, v12
	v_mad_u64_u32 v[6:7], s[14:15], v23, s20, v[6:7]
	v_mul_lo_u32 v12, v23, s21
	v_mul_lo_u32 v13, v11, s20
	v_add3_u32 v7, v13, v7, v12
	s_mov_b64 s[44:45], 0
	s_mov_b64 s[50:51], s[20:21]
                                        ; implicit-def: $sgpr46_sgpr47
                                        ; implicit-def: $sgpr48_sgpr49
                                        ; implicit-def: $sgpr14_sgpr15
                                        ; implicit-def: $sgpr52_sgpr53
	s_branch .LBB993_1091
.LBB993_1090:                           ;   in Loop: Header=BB993_1091 Depth=1
	s_or_b64 exec, exec, s[56:57]
	s_and_b64 s[56:57], exec, s[48:49]
	s_or_b64 s[44:45], s[56:57], s[44:45]
	s_andn2_b64 s[52:53], s[52:53], exec
	s_and_b64 s[54:55], s[54:55], exec
	s_or_b64 s[52:53], s[52:53], s[54:55]
	s_andn2_b64 s[46:47], s[46:47], exec
	s_and_b64 s[54:55], s[14:15], exec
	s_or_b64 s[46:47], s[46:47], s[54:55]
	s_andn2_b64 exec, exec, s[44:45]
	s_cbranch_execz .LBB993_1093
.LBB993_1091:                           ; =>This Inner Loop Header: Depth=1
	global_load_ubyte v12, v[4:5], off
	global_load_ubyte v13, v[6:7], off
	s_andn2_b64 s[56:57], s[14:15], exec
	s_or_b64 s[48:49], s[48:49], exec
	s_waitcnt vmcnt(1)
	v_cmp_eq_u16_e32 vcc, 0, v12
	s_waitcnt vmcnt(0)
	v_cmp_ne_u16_e64 s[14:15], 0, v13
	s_or_b64 s[58:59], vcc, s[14:15]
	s_and_b64 s[54:55], vcc, s[14:15]
	s_xor_b64 s[60:61], vcc, s[14:15]
	s_and_b64 s[14:15], s[58:59], s[52:53]
	s_or_b64 s[54:55], s[54:55], s[14:15]
	s_and_b64 s[14:15], s[54:55], exec
	s_or_b64 s[14:15], s[56:57], s[14:15]
	s_and_saveexec_b64 s[56:57], s[60:61]
	s_cbranch_execz .LBB993_1090
; %bb.1092:                             ;   in Loop: Header=BB993_1091 Depth=1
	s_add_u32 s50, s50, -1
	s_addc_u32 s51, s51, -1
	s_cmp_eq_u64 s[50:51], 0
	s_cselect_b64 s[52:53], -1, 0
	s_andn2_b64 s[48:49], s[48:49], exec
	s_and_b64 s[52:53], s[52:53], exec
	v_lshl_add_u64 v[4:5], v[4:5], 0, 1
	v_lshl_add_u64 v[6:7], v[6:7], 0, 1
	s_andn2_b64 s[14:15], s[14:15], exec
	s_or_b64 s[48:49], s[48:49], s[52:53]
                                        ; implicit-def: $sgpr52_sgpr53
	s_branch .LBB993_1090
.LBB993_1093:
	s_or_b64 exec, exec, s[44:45]
	s_xor_b64 s[14:15], s[46:47], -1
	s_andn2_b64 s[38:39], s[38:39], exec
	s_and_b64 s[14:15], s[14:15], exec
	s_or_b64 s[38:39], s[38:39], s[14:15]
.LBB993_1094:
	s_or_b64 exec, exec, s[42:43]
	s_orn2_b64 s[38:39], s[38:39], exec
.LBB993_1095:
	s_or_b64 exec, exec, s[40:41]
	v_cndmask_b32_e64 v4, v8, v9, s[38:39]
	v_cndmask_b32_e64 v5, v35, v34, s[38:39]
	v_add_u32_e32 v6, 1, v4
	v_add_u32_e32 v4, -1, v5
	v_min_u32_e32 v4, v6, v4
	v_lshl_add_u32 v4, v4, 3, v31
	ds_read_b64 v[4:5], v4
	v_cndmask_b32_e64 v8, v6, v8, s[38:39]
	v_cndmask_b32_e64 v9, v9, v6, s[38:39]
	v_cmp_lt_u32_e32 vcc, v8, v35
	s_mov_b64 s[42:43], -1
	s_waitcnt lgkmcnt(0)
	v_cndmask_b32_e64 v12, v5, v10, s[38:39]
	v_cndmask_b32_e64 v32, v4, v17, s[38:39]
	;; [unrolled: 1-line block ×4, first 2 shown]
	s_mov_b64 s[40:41], -1
	s_and_saveexec_b64 s[44:45], vcc
	s_cbranch_execz .LBB993_1103
; %bb.1096:
	v_cmp_lt_u32_e64 s[40:41], v9, v34
	s_and_b64 s[14:15], s[40:41], s[30:31]
	s_and_saveexec_b64 s[46:47], s[14:15]
	s_cbranch_execz .LBB993_1102
; %bb.1097:
	v_mov_b64_e32 v[6:7], s[22:23]
	v_mad_u64_u32 v[4:5], s[14:15], v32, s20, v[6:7]
	v_mul_lo_u32 v36, v32, s21
	v_mul_lo_u32 v37, v12, s20
	v_add3_u32 v5, v37, v5, v36
	v_mad_u64_u32 v[6:7], s[14:15], v33, s20, v[6:7]
	v_mul_lo_u32 v36, v33, s21
	v_mul_lo_u32 v37, v13, s20
	v_add3_u32 v7, v37, v7, v36
	s_mov_b64 s[48:49], 0
	s_mov_b64 s[54:55], s[20:21]
                                        ; implicit-def: $sgpr50_sgpr51
                                        ; implicit-def: $sgpr52_sgpr53
                                        ; implicit-def: $sgpr14_sgpr15
                                        ; implicit-def: $sgpr56_sgpr57
	s_branch .LBB993_1099
.LBB993_1098:                           ;   in Loop: Header=BB993_1099 Depth=1
	s_or_b64 exec, exec, s[60:61]
	s_and_b64 s[60:61], exec, s[52:53]
	s_or_b64 s[48:49], s[60:61], s[48:49]
	s_andn2_b64 s[56:57], s[56:57], exec
	s_and_b64 s[58:59], s[58:59], exec
	s_or_b64 s[56:57], s[56:57], s[58:59]
	s_andn2_b64 s[50:51], s[50:51], exec
	s_and_b64 s[58:59], s[14:15], exec
	s_or_b64 s[50:51], s[50:51], s[58:59]
	s_andn2_b64 exec, exec, s[48:49]
	s_cbranch_execz .LBB993_1101
.LBB993_1099:                           ; =>This Inner Loop Header: Depth=1
	global_load_ubyte v36, v[4:5], off
	global_load_ubyte v37, v[6:7], off
	s_andn2_b64 s[60:61], s[14:15], exec
	s_or_b64 s[52:53], s[52:53], exec
	s_waitcnt vmcnt(1)
	v_cmp_eq_u16_e32 vcc, 0, v36
	s_waitcnt vmcnt(0)
	v_cmp_ne_u16_e64 s[14:15], 0, v37
	s_or_b64 s[62:63], vcc, s[14:15]
	s_and_b64 s[58:59], vcc, s[14:15]
	s_xor_b64 s[64:65], vcc, s[14:15]
	s_and_b64 s[14:15], s[62:63], s[56:57]
	s_or_b64 s[58:59], s[58:59], s[14:15]
	s_and_b64 s[14:15], s[58:59], exec
	s_or_b64 s[14:15], s[60:61], s[14:15]
	s_and_saveexec_b64 s[60:61], s[64:65]
	s_cbranch_execz .LBB993_1098
; %bb.1100:                             ;   in Loop: Header=BB993_1099 Depth=1
	s_add_u32 s54, s54, -1
	s_addc_u32 s55, s55, -1
	s_cmp_eq_u64 s[54:55], 0
	s_cselect_b64 s[56:57], -1, 0
	s_andn2_b64 s[52:53], s[52:53], exec
	s_and_b64 s[56:57], s[56:57], exec
	v_lshl_add_u64 v[4:5], v[4:5], 0, 1
	v_lshl_add_u64 v[6:7], v[6:7], 0, 1
	s_andn2_b64 s[14:15], s[14:15], exec
	s_or_b64 s[52:53], s[52:53], s[56:57]
                                        ; implicit-def: $sgpr56_sgpr57
	s_branch .LBB993_1098
.LBB993_1101:
	s_or_b64 exec, exec, s[48:49]
	s_xor_b64 s[14:15], s[50:51], -1
	s_andn2_b64 s[40:41], s[40:41], exec
	s_and_b64 s[14:15], s[14:15], exec
	s_or_b64 s[40:41], s[40:41], s[14:15]
.LBB993_1102:
	s_or_b64 exec, exec, s[46:47]
	s_orn2_b64 s[40:41], s[40:41], exec
.LBB993_1103:
	s_or_b64 exec, exec, s[44:45]
	v_cndmask_b32_e64 v4, v8, v9, s[40:41]
	v_cndmask_b32_e64 v5, v35, v34, s[40:41]
	v_add_u32_e32 v6, 1, v4
	v_add_u32_e32 v4, -1, v5
	v_min_u32_e32 v4, v6, v4
	v_lshl_add_u32 v4, v4, 3, v31
	ds_read_b64 v[4:5], v4
	v_cndmask_b32_e64 v42, v6, v8, s[40:41]
	v_cndmask_b32_e64 v43, v9, v6, s[40:41]
	v_cmp_lt_u32_e32 vcc, v42, v35
	s_waitcnt lgkmcnt(0)
	v_cndmask_b32_e64 v36, v5, v12, s[40:41]
	v_cndmask_b32_e64 v37, v4, v32, s[40:41]
	;; [unrolled: 1-line block ×4, first 2 shown]
	s_and_saveexec_b64 s[44:45], vcc
	s_cbranch_execz .LBB993_1111
; %bb.1104:
	v_cmp_lt_u32_e64 s[42:43], v43, v34
	s_and_b64 s[14:15], s[42:43], s[30:31]
	s_and_saveexec_b64 s[46:47], s[14:15]
	s_cbranch_execz .LBB993_1110
; %bb.1105:
	v_mov_b64_e32 v[6:7], s[22:23]
	v_mad_u64_u32 v[4:5], s[14:15], v37, s20, v[6:7]
	v_mul_lo_u32 v8, v37, s21
	v_mul_lo_u32 v9, v36, s20
	v_add3_u32 v5, v9, v5, v8
	v_mad_u64_u32 v[6:7], s[14:15], v39, s20, v[6:7]
	v_mul_lo_u32 v8, v39, s21
	v_mul_lo_u32 v9, v38, s20
	v_add3_u32 v7, v9, v7, v8
	s_mov_b64 s[48:49], 0
	s_mov_b64 s[54:55], s[20:21]
                                        ; implicit-def: $sgpr50_sgpr51
                                        ; implicit-def: $sgpr52_sgpr53
                                        ; implicit-def: $sgpr14_sgpr15
                                        ; implicit-def: $sgpr56_sgpr57
	s_branch .LBB993_1107
.LBB993_1106:                           ;   in Loop: Header=BB993_1107 Depth=1
	s_or_b64 exec, exec, s[60:61]
	s_and_b64 s[60:61], exec, s[52:53]
	s_or_b64 s[48:49], s[60:61], s[48:49]
	s_andn2_b64 s[56:57], s[56:57], exec
	s_and_b64 s[58:59], s[58:59], exec
	s_or_b64 s[56:57], s[56:57], s[58:59]
	s_andn2_b64 s[50:51], s[50:51], exec
	s_and_b64 s[58:59], s[14:15], exec
	s_or_b64 s[50:51], s[50:51], s[58:59]
	s_andn2_b64 exec, exec, s[48:49]
	s_cbranch_execz .LBB993_1109
.LBB993_1107:                           ; =>This Inner Loop Header: Depth=1
	global_load_ubyte v8, v[4:5], off
	global_load_ubyte v9, v[6:7], off
	s_andn2_b64 s[60:61], s[14:15], exec
	s_or_b64 s[52:53], s[52:53], exec
	s_waitcnt vmcnt(1)
	v_cmp_eq_u16_e32 vcc, 0, v8
	s_waitcnt vmcnt(0)
	v_cmp_ne_u16_e64 s[14:15], 0, v9
	s_or_b64 s[62:63], vcc, s[14:15]
	s_and_b64 s[58:59], vcc, s[14:15]
	s_xor_b64 s[64:65], vcc, s[14:15]
	s_and_b64 s[14:15], s[62:63], s[56:57]
	s_or_b64 s[58:59], s[58:59], s[14:15]
	s_and_b64 s[14:15], s[58:59], exec
	s_or_b64 s[14:15], s[60:61], s[14:15]
	s_and_saveexec_b64 s[60:61], s[64:65]
	s_cbranch_execz .LBB993_1106
; %bb.1108:                             ;   in Loop: Header=BB993_1107 Depth=1
	s_add_u32 s54, s54, -1
	s_addc_u32 s55, s55, -1
	s_cmp_eq_u64 s[54:55], 0
	s_cselect_b64 s[56:57], -1, 0
	s_andn2_b64 s[52:53], s[52:53], exec
	s_and_b64 s[56:57], s[56:57], exec
	v_lshl_add_u64 v[4:5], v[4:5], 0, 1
	v_lshl_add_u64 v[6:7], v[6:7], 0, 1
	s_andn2_b64 s[14:15], s[14:15], exec
	s_or_b64 s[52:53], s[52:53], s[56:57]
                                        ; implicit-def: $sgpr56_sgpr57
	s_branch .LBB993_1106
.LBB993_1109:
	s_or_b64 exec, exec, s[48:49]
	s_xor_b64 s[14:15], s[50:51], -1
	s_andn2_b64 s[42:43], s[42:43], exec
	s_and_b64 s[14:15], s[14:15], exec
	s_or_b64 s[42:43], s[42:43], s[14:15]
.LBB993_1110:
	s_or_b64 exec, exec, s[46:47]
	s_orn2_b64 s[42:43], s[42:43], exec
.LBB993_1111:
	s_or_b64 exec, exec, s[44:45]
	v_cndmask_b32_e64 v4, v42, v43, s[42:43]
	v_cndmask_b32_e64 v5, v35, v34, s[42:43]
	v_add_u32_e32 v6, 1, v4
	v_add_u32_e32 v4, -1, v5
	v_min_u32_e32 v4, v6, v4
	v_lshl_add_u32 v4, v4, 3, v31
	ds_read_b64 v[4:5], v4
	v_cndmask_b32_e64 v44, v6, v42, s[42:43]
	v_cndmask_b32_e64 v48, v43, v6, s[42:43]
	v_cmp_lt_u32_e32 vcc, v44, v35
	s_mov_b64 s[44:45], -1
	s_waitcnt lgkmcnt(0)
	v_cndmask_b32_e64 v8, v5, v36, s[42:43]
	v_cndmask_b32_e64 v40, v4, v37, s[42:43]
	;; [unrolled: 1-line block ×4, first 2 shown]
	s_mov_b64 s[46:47], -1
	s_and_saveexec_b64 s[48:49], vcc
	s_cbranch_execz .LBB993_1119
; %bb.1112:
	v_cmp_lt_u32_e64 s[46:47], v48, v34
	s_and_b64 s[14:15], s[46:47], s[30:31]
	s_and_saveexec_b64 s[50:51], s[14:15]
	s_cbranch_execz .LBB993_1118
; %bb.1113:
	v_mov_b64_e32 v[6:7], s[22:23]
	v_mad_u64_u32 v[4:5], s[14:15], v40, s20, v[6:7]
	v_mul_lo_u32 v42, v40, s21
	v_mul_lo_u32 v43, v8, s20
	v_add3_u32 v5, v43, v5, v42
	v_mad_u64_u32 v[6:7], s[14:15], v41, s20, v[6:7]
	v_mul_lo_u32 v42, v41, s21
	v_mul_lo_u32 v43, v9, s20
	v_add3_u32 v7, v43, v7, v42
	s_mov_b64 s[52:53], 0
	s_mov_b64 s[58:59], s[20:21]
                                        ; implicit-def: $sgpr54_sgpr55
                                        ; implicit-def: $sgpr56_sgpr57
                                        ; implicit-def: $sgpr14_sgpr15
                                        ; implicit-def: $sgpr60_sgpr61
	s_branch .LBB993_1115
.LBB993_1114:                           ;   in Loop: Header=BB993_1115 Depth=1
	s_or_b64 exec, exec, s[64:65]
	s_and_b64 s[64:65], exec, s[56:57]
	s_or_b64 s[52:53], s[64:65], s[52:53]
	s_andn2_b64 s[60:61], s[60:61], exec
	s_and_b64 s[62:63], s[62:63], exec
	s_or_b64 s[60:61], s[60:61], s[62:63]
	s_andn2_b64 s[54:55], s[54:55], exec
	s_and_b64 s[62:63], s[14:15], exec
	s_or_b64 s[54:55], s[54:55], s[62:63]
	s_andn2_b64 exec, exec, s[52:53]
	s_cbranch_execz .LBB993_1117
.LBB993_1115:                           ; =>This Inner Loop Header: Depth=1
	global_load_ubyte v42, v[4:5], off
	global_load_ubyte v43, v[6:7], off
	s_andn2_b64 s[64:65], s[14:15], exec
	s_or_b64 s[56:57], s[56:57], exec
	s_waitcnt vmcnt(1)
	v_cmp_eq_u16_e32 vcc, 0, v42
	s_waitcnt vmcnt(0)
	v_cmp_ne_u16_e64 s[14:15], 0, v43
	s_or_b64 s[66:67], vcc, s[14:15]
	s_and_b64 s[62:63], vcc, s[14:15]
	s_xor_b64 s[68:69], vcc, s[14:15]
	s_and_b64 s[14:15], s[66:67], s[60:61]
	s_or_b64 s[62:63], s[62:63], s[14:15]
	s_and_b64 s[14:15], s[62:63], exec
	s_or_b64 s[14:15], s[64:65], s[14:15]
	s_and_saveexec_b64 s[64:65], s[68:69]
	s_cbranch_execz .LBB993_1114
; %bb.1116:                             ;   in Loop: Header=BB993_1115 Depth=1
	s_add_u32 s58, s58, -1
	s_addc_u32 s59, s59, -1
	s_cmp_eq_u64 s[58:59], 0
	s_cselect_b64 s[60:61], -1, 0
	s_andn2_b64 s[56:57], s[56:57], exec
	s_and_b64 s[60:61], s[60:61], exec
	v_lshl_add_u64 v[4:5], v[4:5], 0, 1
	v_lshl_add_u64 v[6:7], v[6:7], 0, 1
	s_andn2_b64 s[14:15], s[14:15], exec
	s_or_b64 s[56:57], s[56:57], s[60:61]
                                        ; implicit-def: $sgpr60_sgpr61
	s_branch .LBB993_1114
.LBB993_1117:
	s_or_b64 exec, exec, s[52:53]
	s_xor_b64 s[14:15], s[54:55], -1
	s_andn2_b64 s[46:47], s[46:47], exec
	s_and_b64 s[14:15], s[14:15], exec
	s_or_b64 s[46:47], s[46:47], s[14:15]
.LBB993_1118:
	s_or_b64 exec, exec, s[50:51]
	s_orn2_b64 s[46:47], s[46:47], exec
.LBB993_1119:
	s_or_b64 exec, exec, s[48:49]
	v_cndmask_b32_e64 v4, v44, v48, s[46:47]
	v_cndmask_b32_e64 v5, v35, v34, s[46:47]
	v_add_u32_e32 v6, 1, v4
	v_add_u32_e32 v4, -1, v5
	v_min_u32_e32 v4, v6, v4
	v_lshl_add_u32 v4, v4, 3, v31
	ds_read_b64 v[4:5], v4
	v_cndmask_b32_e64 v45, v6, v44, s[46:47]
	v_cndmask_b32_e64 v44, v48, v6, s[46:47]
	v_cmp_lt_u32_e32 vcc, v45, v35
	s_waitcnt lgkmcnt(0)
	v_cndmask_b32_e64 v42, v5, v8, s[46:47]
	v_cndmask_b32_e64 v43, v4, v40, s[46:47]
	;; [unrolled: 1-line block ×4, first 2 shown]
	s_and_saveexec_b64 s[48:49], vcc
	s_cbranch_execz .LBB993_1127
; %bb.1120:
	v_cmp_lt_u32_e64 s[44:45], v44, v34
	s_and_b64 s[14:15], s[44:45], s[30:31]
	s_and_saveexec_b64 s[50:51], s[14:15]
	s_cbranch_execz .LBB993_1126
; %bb.1121:
	v_mov_b64_e32 v[6:7], s[22:23]
	v_mad_u64_u32 v[4:5], s[14:15], v43, s20, v[6:7]
	v_mul_lo_u32 v48, v43, s21
	v_mul_lo_u32 v49, v42, s20
	v_add3_u32 v5, v49, v5, v48
	v_mad_u64_u32 v[6:7], s[14:15], v47, s20, v[6:7]
	v_mul_lo_u32 v48, v47, s21
	v_mul_lo_u32 v49, v46, s20
	v_add3_u32 v7, v49, v7, v48
	s_mov_b64 s[52:53], 0
	s_mov_b64 s[58:59], s[20:21]
                                        ; implicit-def: $sgpr54_sgpr55
                                        ; implicit-def: $sgpr56_sgpr57
                                        ; implicit-def: $sgpr14_sgpr15
                                        ; implicit-def: $sgpr60_sgpr61
	s_branch .LBB993_1123
.LBB993_1122:                           ;   in Loop: Header=BB993_1123 Depth=1
	s_or_b64 exec, exec, s[64:65]
	s_and_b64 s[64:65], exec, s[56:57]
	s_or_b64 s[52:53], s[64:65], s[52:53]
	s_andn2_b64 s[60:61], s[60:61], exec
	s_and_b64 s[62:63], s[62:63], exec
	s_or_b64 s[60:61], s[60:61], s[62:63]
	s_andn2_b64 s[54:55], s[54:55], exec
	s_and_b64 s[62:63], s[14:15], exec
	s_or_b64 s[54:55], s[54:55], s[62:63]
	s_andn2_b64 exec, exec, s[52:53]
	s_cbranch_execz .LBB993_1125
.LBB993_1123:                           ; =>This Inner Loop Header: Depth=1
	global_load_ubyte v48, v[4:5], off
	global_load_ubyte v49, v[6:7], off
	s_andn2_b64 s[64:65], s[14:15], exec
	s_or_b64 s[56:57], s[56:57], exec
	s_waitcnt vmcnt(1)
	v_cmp_eq_u16_e32 vcc, 0, v48
	s_waitcnt vmcnt(0)
	v_cmp_ne_u16_e64 s[14:15], 0, v49
	s_or_b64 s[66:67], vcc, s[14:15]
	s_and_b64 s[62:63], vcc, s[14:15]
	s_xor_b64 s[68:69], vcc, s[14:15]
	s_and_b64 s[14:15], s[66:67], s[60:61]
	s_or_b64 s[62:63], s[62:63], s[14:15]
	s_and_b64 s[14:15], s[62:63], exec
	s_or_b64 s[14:15], s[64:65], s[14:15]
	s_and_saveexec_b64 s[64:65], s[68:69]
	s_cbranch_execz .LBB993_1122
; %bb.1124:                             ;   in Loop: Header=BB993_1123 Depth=1
	s_add_u32 s58, s58, -1
	s_addc_u32 s59, s59, -1
	s_cmp_eq_u64 s[58:59], 0
	s_cselect_b64 s[60:61], -1, 0
	s_andn2_b64 s[56:57], s[56:57], exec
	s_and_b64 s[60:61], s[60:61], exec
	v_lshl_add_u64 v[4:5], v[4:5], 0, 1
	v_lshl_add_u64 v[6:7], v[6:7], 0, 1
	s_andn2_b64 s[14:15], s[14:15], exec
	s_or_b64 s[56:57], s[56:57], s[60:61]
                                        ; implicit-def: $sgpr60_sgpr61
	s_branch .LBB993_1122
.LBB993_1125:
	s_or_b64 exec, exec, s[52:53]
	s_xor_b64 s[14:15], s[54:55], -1
	s_andn2_b64 s[44:45], s[44:45], exec
	s_and_b64 s[14:15], s[14:15], exec
	s_or_b64 s[44:45], s[44:45], s[14:15]
.LBB993_1126:
	s_or_b64 exec, exec, s[50:51]
	s_orn2_b64 s[44:45], s[44:45], exec
.LBB993_1127:
	s_or_b64 exec, exec, s[48:49]
	v_cndmask_b32_e64 v4, v45, v44, s[44:45]
	v_cndmask_b32_e64 v5, v35, v34, s[44:45]
	;; [unrolled: 1-line block ×4, first 2 shown]
	v_add_u32_e32 v33, 1, v4
	v_add_u32_e32 v4, -1, v5
	v_min_u32_e32 v4, v33, v4
	v_lshl_add_u32 v4, v4, 3, v31
	v_cndmask_b32_e64 v11, v10, v11, s[38:39]
	v_cndmask_b32_e64 v10, v17, v23, s[38:39]
	v_cndmask_b32_e64 v17, v14, v16, s[36:37]
	v_cndmask_b32_e64 v16, v15, v22, s[36:37]
	ds_read_b64 v[22:23], v4
	v_cndmask_b32_e64 v14, v2, v0, s[16:17]
	v_cndmask_b32_e64 v0, v33, v45, s[44:45]
	;; [unrolled: 1-line block ×9, first 2 shown]
	s_waitcnt lgkmcnt(0)
	v_cndmask_b32_e64 v5, v46, v23, s[44:45]
	v_cndmask_b32_e64 v4, v47, v22, s[44:45]
	v_cmp_lt_u32_e32 vcc, v0, v35
	s_and_saveexec_b64 s[16:17], vcc
	s_cbranch_execz .LBB993_1135
; %bb.1128:
	v_cndmask_b32_e64 v0, v44, v33, s[44:45]
	v_cndmask_b32_e64 v31, v23, v42, s[44:45]
	;; [unrolled: 1-line block ×3, first 2 shown]
	v_cmp_ge_u32_e32 vcc, v0, v34
	s_nor_b64 s[14:15], vcc, s[28:29]
	s_nop 0
	v_cndmask_b32_e32 v1, v5, v31, vcc
	v_cndmask_b32_e32 v0, v4, v32, vcc
	s_and_saveexec_b64 s[36:37], s[14:15]
	s_cbranch_execz .LBB993_1134
; %bb.1129:
	v_mov_b64_e32 v[22:23], s[22:23]
	v_mad_u64_u32 v[0:1], s[14:15], v32, s20, v[22:23]
	v_mul_lo_u32 v33, v32, s21
	v_mul_lo_u32 v34, v31, s20
	v_add3_u32 v1, v34, v1, v33
	v_mad_u64_u32 v[22:23], s[14:15], v4, s20, v[22:23]
	v_mul_lo_u32 v33, v4, s21
	v_mul_lo_u32 v34, v5, s20
	v_add3_u32 v23, v34, v23, v33
	s_mov_b64 s[38:39], 0
	s_mov_b64 s[44:45], s[20:21]
                                        ; implicit-def: $sgpr40_sgpr41
                                        ; implicit-def: $sgpr42_sgpr43
                                        ; implicit-def: $sgpr14_sgpr15
                                        ; implicit-def: $sgpr46_sgpr47
	s_branch .LBB993_1131
.LBB993_1130:                           ;   in Loop: Header=BB993_1131 Depth=1
	s_or_b64 exec, exec, s[50:51]
	s_and_b64 s[50:51], exec, s[42:43]
	s_or_b64 s[38:39], s[50:51], s[38:39]
	s_andn2_b64 s[46:47], s[46:47], exec
	s_and_b64 s[48:49], s[48:49], exec
	s_or_b64 s[46:47], s[46:47], s[48:49]
	s_andn2_b64 s[40:41], s[40:41], exec
	s_and_b64 s[48:49], s[14:15], exec
	s_or_b64 s[40:41], s[40:41], s[48:49]
	s_andn2_b64 exec, exec, s[38:39]
	s_cbranch_execz .LBB993_1133
.LBB993_1131:                           ; =>This Inner Loop Header: Depth=1
	global_load_ubyte v33, v[0:1], off
	global_load_ubyte v34, v[22:23], off
	s_andn2_b64 s[50:51], s[14:15], exec
	s_or_b64 s[42:43], s[42:43], exec
	s_waitcnt vmcnt(1)
	v_cmp_eq_u16_e32 vcc, 0, v33
	s_waitcnt vmcnt(0)
	v_cmp_ne_u16_e64 s[14:15], 0, v34
	s_or_b64 s[52:53], vcc, s[14:15]
	s_and_b64 s[48:49], vcc, s[14:15]
	s_xor_b64 s[54:55], vcc, s[14:15]
	s_and_b64 s[14:15], s[52:53], s[46:47]
	s_or_b64 s[48:49], s[48:49], s[14:15]
	s_and_b64 s[14:15], s[48:49], exec
	s_or_b64 s[14:15], s[50:51], s[14:15]
	s_and_saveexec_b64 s[50:51], s[54:55]
	s_cbranch_execz .LBB993_1130
; %bb.1132:                             ;   in Loop: Header=BB993_1131 Depth=1
	s_add_u32 s44, s44, -1
	s_addc_u32 s45, s45, -1
	s_cmp_eq_u64 s[44:45], 0
	s_cselect_b64 s[46:47], -1, 0
	s_andn2_b64 s[42:43], s[42:43], exec
	s_and_b64 s[46:47], s[46:47], exec
	v_lshl_add_u64 v[0:1], v[0:1], 0, 1
	v_lshl_add_u64 v[22:23], v[22:23], 0, 1
	s_andn2_b64 s[14:15], s[14:15], exec
	s_or_b64 s[42:43], s[42:43], s[46:47]
                                        ; implicit-def: $sgpr46_sgpr47
	s_branch .LBB993_1130
.LBB993_1133:
	s_or_b64 exec, exec, s[38:39]
	v_cndmask_b32_e64 v1, v5, v31, s[40:41]
	v_cndmask_b32_e64 v0, v4, v32, s[40:41]
.LBB993_1134:
	s_or_b64 exec, exec, s[36:37]
	v_mov_b64_e32 v[4:5], v[0:1]
.LBB993_1135:
	s_or_b64 exec, exec, s[16:17]
.LBB993_1136:
	s_or_b64 exec, exec, s[34:35]
	s_cmpk_lt_u32 s33, 0x81
	; wave barrier
	s_waitcnt lgkmcnt(0)
	s_barrier
	s_cbranch_scc1 .LBB993_1217
; %bb.1137:
	v_cndmask_b32_e64 v0, 0, 1, s[18:19]
	v_lshlrev_b32_e32 v31, 3, v20
	s_movk_i32 s66, 0x80
	v_cmp_ne_u32_e64 s[14:15], 1, v0
	s_branch .LBB993_1142
.LBB993_1138:                           ;   in Loop: Header=BB993_1142 Depth=1
	s_or_b64 exec, exec, s[52:53]
	v_cndmask_b32_e64 v7, v5, v33, s[54:55]
	v_cndmask_b32_e64 v6, v4, v48, s[54:55]
.LBB993_1139:                           ;   in Loop: Header=BB993_1142 Depth=1
	s_or_b64 exec, exec, s[50:51]
	v_mov_b64_e32 v[4:5], v[6:7]
.LBB993_1140:                           ;   in Loop: Header=BB993_1142 Depth=1
	s_or_b64 exec, exec, s[48:49]
	v_cndmask_b32_e64 v9, v40, v42, s[46:47]
	v_cndmask_b32_e64 v8, v41, v43, s[46:47]
	;; [unrolled: 1-line block ×14, first 2 shown]
.LBB993_1141:                           ;   in Loop: Header=BB993_1142 Depth=1
	s_or_b64 exec, exec, s[34:35]
	s_cmp_lt_u32 s66, s33
	s_barrier
	s_cbranch_scc0 .LBB993_1217
.LBB993_1142:                           ; =>This Loop Header: Depth=1
                                        ;     Child Loop BB993_1146 Depth 2
                                        ;       Child Loop BB993_1149 Depth 3
                                        ;     Child Loop BB993_1160 Depth 2
                                        ;     Child Loop BB993_1167 Depth 2
	;; [unrolled: 1-line block ×8, first 2 shown]
	s_mov_b32 s16, s66
	s_lshl_b32 s66, s66, 1
	s_sub_i32 s18, 0, s66
	v_and_b32_e32 v36, s18, v20
	v_add_u32_e32 v0, s16, v36
	v_min_u32_e32 v32, s33, v0
	s_add_i32 s17, s66, -1
	v_add_u32_e32 v0, s16, v32
	v_min_u32_e32 v33, s33, v0
	v_and_b32_e32 v0, s17, v20
	v_min_u32_e32 v37, s33, v0
	v_sub_u32_e32 v0, v32, v36
	v_sub_u32_e32 v1, v33, v32
	v_sub_u32_e64 v35, v37, v1 clamp
	v_min_u32_e32 v38, v37, v0
	v_lshlrev_b32_e32 v34, 3, v36
	v_cmp_lt_u32_e32 vcc, v35, v38
	ds_write_b128 v31, v[14:17]
	ds_write_b128 v31, v[10:13] offset:16
	ds_write_b128 v31, v[6:9] offset:32
	;; [unrolled: 1-line block ×3, first 2 shown]
	s_waitcnt lgkmcnt(0)
	s_barrier
	s_and_saveexec_b64 s[18:19], vcc
	s_cbranch_execz .LBB993_1152
; %bb.1143:                             ;   in Loop: Header=BB993_1142 Depth=1
	v_lshlrev_b32_e32 v0, 3, v37
	v_lshl_add_u32 v39, v32, 3, v0
	s_mov_b64 s[34:35], 0
	s_branch .LBB993_1146
.LBB993_1144:                           ;   in Loop: Header=BB993_1146 Depth=2
	s_or_b64 exec, exec, s[38:39]
.LBB993_1145:                           ;   in Loop: Header=BB993_1146 Depth=2
	v_add_u32_e32 v0, 1, v40
	v_cndmask_b32_e64 v38, v38, v40, s[36:37]
	v_cndmask_b32_e64 v35, v0, v35, s[36:37]
	v_cmp_ge_u32_e32 vcc, v35, v38
	s_or_b64 s[34:35], vcc, s[34:35]
	s_andn2_b64 exec, exec, s[34:35]
	s_cbranch_execz .LBB993_1151
.LBB993_1146:                           ;   Parent Loop BB993_1142 Depth=1
                                        ; =>  This Loop Header: Depth=2
                                        ;       Child Loop BB993_1149 Depth 3
	v_add_u32_e32 v0, v38, v35
	v_lshrrev_b32_e32 v40, 1, v0
	s_and_b64 vcc, exec, s[14:15]
	s_mov_b64 s[36:37], 0
	s_cbranch_vccnz .LBB993_1145
; %bb.1147:                             ;   in Loop: Header=BB993_1146 Depth=2
	v_not_b32_e32 v0, v40
	v_lshl_add_u32 v0, v0, 3, v39
	ds_read_b64 v[0:1], v0
	v_lshl_add_u32 v41, v40, 3, v34
	ds_read_b64 v[42:43], v41
	v_mov_b64_e32 v[22:23], s[22:23]
	s_mov_b64 s[38:39], 0
	s_waitcnt lgkmcnt(1)
	v_mul_lo_u32 v41, v0, s21
	v_mul_lo_u32 v44, v1, s20
	v_mad_u64_u32 v[0:1], s[16:17], v0, s20, v[22:23]
	v_add3_u32 v1, v44, v1, v41
	s_waitcnt lgkmcnt(0)
	v_mul_lo_u32 v41, v42, s21
	v_mul_lo_u32 v43, v43, s20
	v_mad_u64_u32 v[22:23], s[16:17], v42, s20, v[22:23]
	v_add3_u32 v23, v43, v23, v41
	s_mov_b64 s[42:43], s[20:21]
                                        ; implicit-def: $sgpr36_sgpr37
                                        ; implicit-def: $sgpr40_sgpr41
                                        ; implicit-def: $sgpr16_sgpr17
                                        ; implicit-def: $sgpr44_sgpr45
	s_branch .LBB993_1149
.LBB993_1148:                           ;   in Loop: Header=BB993_1149 Depth=3
	s_or_b64 exec, exec, s[48:49]
	s_and_b64 s[48:49], exec, s[40:41]
	s_or_b64 s[38:39], s[48:49], s[38:39]
	s_andn2_b64 s[44:45], s[44:45], exec
	s_and_b64 s[46:47], s[46:47], exec
	s_or_b64 s[44:45], s[44:45], s[46:47]
	s_andn2_b64 s[36:37], s[36:37], exec
	s_and_b64 s[46:47], s[16:17], exec
	s_or_b64 s[36:37], s[36:37], s[46:47]
	s_andn2_b64 exec, exec, s[38:39]
	s_cbranch_execz .LBB993_1144
.LBB993_1149:                           ;   Parent Loop BB993_1142 Depth=1
                                        ;     Parent Loop BB993_1146 Depth=2
                                        ; =>    This Inner Loop Header: Depth=3
	global_load_ubyte v41, v[0:1], off
	global_load_ubyte v42, v[22:23], off
	s_andn2_b64 s[48:49], s[16:17], exec
	s_or_b64 s[40:41], s[40:41], exec
	s_waitcnt vmcnt(1)
	v_cmp_eq_u16_e32 vcc, 0, v41
	s_waitcnt vmcnt(0)
	v_cmp_ne_u16_e64 s[16:17], 0, v42
	s_or_b64 s[50:51], vcc, s[16:17]
	s_and_b64 s[46:47], vcc, s[16:17]
	s_xor_b64 s[52:53], vcc, s[16:17]
	s_and_b64 s[16:17], s[50:51], s[44:45]
	s_or_b64 s[46:47], s[46:47], s[16:17]
	s_and_b64 s[16:17], s[46:47], exec
	s_or_b64 s[16:17], s[48:49], s[16:17]
	s_and_saveexec_b64 s[48:49], s[52:53]
	s_cbranch_execz .LBB993_1148
; %bb.1150:                             ;   in Loop: Header=BB993_1149 Depth=3
	s_add_u32 s42, s42, -1
	s_addc_u32 s43, s43, -1
	s_cmp_eq_u64 s[42:43], 0
	s_cselect_b64 s[44:45], -1, 0
	s_andn2_b64 s[40:41], s[40:41], exec
	s_and_b64 s[44:45], s[44:45], exec
	v_lshl_add_u64 v[0:1], v[0:1], 0, 1
	v_lshl_add_u64 v[22:23], v[22:23], 0, 1
	s_andn2_b64 s[16:17], s[16:17], exec
	s_or_b64 s[40:41], s[40:41], s[44:45]
                                        ; implicit-def: $sgpr44_sgpr45
	s_branch .LBB993_1148
.LBB993_1151:                           ;   in Loop: Header=BB993_1142 Depth=1
	s_or_b64 exec, exec, s[34:35]
.LBB993_1152:                           ;   in Loop: Header=BB993_1142 Depth=1
	s_or_b64 exec, exec, s[18:19]
	v_sub_u32_e32 v0, v37, v35
	v_add_u32_e32 v23, v35, v36
	v_add_u32_e32 v36, v0, v32
	v_cmp_le_u32_e32 vcc, v23, v32
	v_cmp_le_u32_e64 s[16:17], v36, v33
	s_or_b64 s[16:17], vcc, s[16:17]
	s_and_saveexec_b64 s[34:35], s[16:17]
	s_cbranch_execz .LBB993_1141
; %bb.1153:                             ;   in Loop: Header=BB993_1142 Depth=1
	v_cmp_ge_u32_e32 vcc, v23, v32
	v_cmp_lt_u32_e64 s[16:17], v23, v32
                                        ; implicit-def: $vgpr0_vgpr1
	s_and_saveexec_b64 s[18:19], s[16:17]
; %bb.1154:                             ;   in Loop: Header=BB993_1142 Depth=1
	v_lshl_add_u32 v0, v35, 3, v34
	ds_read_b64 v[0:1], v0
; %bb.1155:                             ;   in Loop: Header=BB993_1142 Depth=1
	s_or_b64 exec, exec, s[18:19]
	v_cmp_ge_u32_e64 s[16:17], v36, v33
	v_cmp_lt_u32_e64 s[18:19], v36, v33
                                        ; implicit-def: $vgpr2_vgpr3
	s_and_saveexec_b64 s[36:37], s[18:19]
; %bb.1156:                             ;   in Loop: Header=BB993_1142 Depth=1
	v_lshlrev_b32_e32 v2, 3, v36
	ds_read_b64 v[2:3], v2
; %bb.1157:                             ;   in Loop: Header=BB993_1142 Depth=1
	s_or_b64 exec, exec, s[36:37]
	s_or_b64 s[18:19], vcc, s[16:17]
	s_nor_b64 s[38:39], s[18:19], s[28:29]
	s_xor_b64 s[18:19], vcc, -1
	s_or_b64 s[18:19], s[16:17], s[18:19]
	s_and_saveexec_b64 s[36:37], s[38:39]
	s_cbranch_execz .LBB993_1163
; %bb.1158:                             ;   in Loop: Header=BB993_1142 Depth=1
	v_mov_b64_e32 v[6:7], s[22:23]
	s_waitcnt lgkmcnt(0)
	v_mad_u64_u32 v[4:5], s[16:17], v2, s20, v[6:7]
	v_mul_lo_u32 v8, v2, s21
	v_mul_lo_u32 v9, v3, s20
	v_add3_u32 v5, v9, v5, v8
	v_mad_u64_u32 v[6:7], s[16:17], v0, s20, v[6:7]
	v_mul_lo_u32 v8, v0, s21
	v_mul_lo_u32 v9, v1, s20
	v_add3_u32 v7, v9, v7, v8
	s_mov_b64 s[38:39], 0
	s_mov_b64 s[44:45], s[20:21]
                                        ; implicit-def: $sgpr40_sgpr41
                                        ; implicit-def: $sgpr42_sgpr43
                                        ; implicit-def: $sgpr16_sgpr17
                                        ; implicit-def: $sgpr46_sgpr47
	s_branch .LBB993_1160
.LBB993_1159:                           ;   in Loop: Header=BB993_1160 Depth=2
	s_or_b64 exec, exec, s[50:51]
	s_and_b64 s[50:51], exec, s[42:43]
	s_or_b64 s[38:39], s[50:51], s[38:39]
	s_andn2_b64 s[46:47], s[46:47], exec
	s_and_b64 s[48:49], s[48:49], exec
	s_or_b64 s[46:47], s[46:47], s[48:49]
	s_andn2_b64 s[40:41], s[40:41], exec
	s_and_b64 s[48:49], s[16:17], exec
	s_or_b64 s[40:41], s[40:41], s[48:49]
	s_andn2_b64 exec, exec, s[38:39]
	s_cbranch_execz .LBB993_1162
.LBB993_1160:                           ;   Parent Loop BB993_1142 Depth=1
                                        ; =>  This Inner Loop Header: Depth=2
	global_load_ubyte v8, v[4:5], off
	global_load_ubyte v9, v[6:7], off
	s_andn2_b64 s[50:51], s[16:17], exec
	s_or_b64 s[42:43], s[42:43], exec
	s_waitcnt vmcnt(1)
	v_cmp_eq_u16_e32 vcc, 0, v8
	s_waitcnt vmcnt(0)
	v_cmp_ne_u16_e64 s[16:17], 0, v9
	s_or_b64 s[52:53], vcc, s[16:17]
	s_and_b64 s[48:49], vcc, s[16:17]
	s_xor_b64 s[54:55], vcc, s[16:17]
	s_and_b64 s[16:17], s[52:53], s[46:47]
	s_or_b64 s[48:49], s[48:49], s[16:17]
	s_and_b64 s[16:17], s[48:49], exec
	s_or_b64 s[16:17], s[50:51], s[16:17]
	s_and_saveexec_b64 s[50:51], s[54:55]
	s_cbranch_execz .LBB993_1159
; %bb.1161:                             ;   in Loop: Header=BB993_1160 Depth=2
	s_add_u32 s44, s44, -1
	s_addc_u32 s45, s45, -1
	s_cmp_eq_u64 s[44:45], 0
	s_cselect_b64 s[46:47], -1, 0
	s_andn2_b64 s[42:43], s[42:43], exec
	s_and_b64 s[46:47], s[46:47], exec
	v_lshl_add_u64 v[4:5], v[4:5], 0, 1
	v_lshl_add_u64 v[6:7], v[6:7], 0, 1
	s_andn2_b64 s[16:17], s[16:17], exec
	s_or_b64 s[42:43], s[42:43], s[46:47]
                                        ; implicit-def: $sgpr46_sgpr47
	s_branch .LBB993_1159
.LBB993_1162:                           ;   in Loop: Header=BB993_1142 Depth=1
	s_or_b64 exec, exec, s[38:39]
	s_xor_b64 s[16:17], s[40:41], -1
	s_andn2_b64 s[18:19], s[18:19], exec
	s_and_b64 s[16:17], s[16:17], exec
	s_or_b64 s[18:19], s[18:19], s[16:17]
.LBB993_1163:                           ;   in Loop: Header=BB993_1142 Depth=1
	s_or_b64 exec, exec, s[36:37]
	v_cndmask_b32_e64 v4, v36, v23, s[18:19]
	v_cndmask_b32_e64 v5, v33, v32, s[18:19]
	v_add_u32_e32 v6, 1, v4
	v_add_u32_e32 v4, -1, v5
	v_min_u32_e32 v4, v6, v4
	v_lshlrev_b32_e32 v4, 3, v4
	ds_read_b64 v[4:5], v4
	v_cndmask_b32_e64 v8, v6, v36, s[18:19]
	v_cndmask_b32_e64 v9, v23, v6, s[18:19]
	v_cmp_lt_u32_e32 vcc, v8, v33
	s_mov_b64 s[38:39], -1
	s_waitcnt lgkmcnt(0)
	v_cndmask_b32_e64 v14, v5, v3, s[18:19]
	v_cndmask_b32_e64 v15, v4, v2, s[18:19]
	;; [unrolled: 1-line block ×4, first 2 shown]
	s_mov_b64 s[36:37], -1
	s_and_saveexec_b64 s[40:41], vcc
	s_cbranch_execz .LBB993_1171
; %bb.1164:                             ;   in Loop: Header=BB993_1142 Depth=1
	v_cmp_lt_u32_e64 s[36:37], v9, v32
	s_and_b64 s[16:17], s[36:37], s[30:31]
	s_and_saveexec_b64 s[42:43], s[16:17]
	s_cbranch_execz .LBB993_1170
; %bb.1165:                             ;   in Loop: Header=BB993_1142 Depth=1
	v_mov_b64_e32 v[6:7], s[22:23]
	v_mad_u64_u32 v[4:5], s[16:17], v15, s20, v[6:7]
	v_mul_lo_u32 v10, v15, s21
	v_mul_lo_u32 v11, v14, s20
	v_add3_u32 v5, v11, v5, v10
	v_mad_u64_u32 v[6:7], s[16:17], v22, s20, v[6:7]
	v_mul_lo_u32 v10, v22, s21
	v_mul_lo_u32 v11, v16, s20
	v_add3_u32 v7, v11, v7, v10
	s_mov_b64 s[44:45], 0
	s_mov_b64 s[50:51], s[20:21]
                                        ; implicit-def: $sgpr46_sgpr47
                                        ; implicit-def: $sgpr48_sgpr49
                                        ; implicit-def: $sgpr16_sgpr17
                                        ; implicit-def: $sgpr52_sgpr53
	s_branch .LBB993_1167
.LBB993_1166:                           ;   in Loop: Header=BB993_1167 Depth=2
	s_or_b64 exec, exec, s[56:57]
	s_and_b64 s[56:57], exec, s[48:49]
	s_or_b64 s[44:45], s[56:57], s[44:45]
	s_andn2_b64 s[52:53], s[52:53], exec
	s_and_b64 s[54:55], s[54:55], exec
	s_or_b64 s[52:53], s[52:53], s[54:55]
	s_andn2_b64 s[46:47], s[46:47], exec
	s_and_b64 s[54:55], s[16:17], exec
	s_or_b64 s[46:47], s[46:47], s[54:55]
	s_andn2_b64 exec, exec, s[44:45]
	s_cbranch_execz .LBB993_1169
.LBB993_1167:                           ;   Parent Loop BB993_1142 Depth=1
                                        ; =>  This Inner Loop Header: Depth=2
	global_load_ubyte v10, v[4:5], off
	global_load_ubyte v11, v[6:7], off
	s_andn2_b64 s[56:57], s[16:17], exec
	s_or_b64 s[48:49], s[48:49], exec
	s_waitcnt vmcnt(1)
	v_cmp_eq_u16_e32 vcc, 0, v10
	s_waitcnt vmcnt(0)
	v_cmp_ne_u16_e64 s[16:17], 0, v11
	s_or_b64 s[58:59], vcc, s[16:17]
	s_and_b64 s[54:55], vcc, s[16:17]
	s_xor_b64 s[60:61], vcc, s[16:17]
	s_and_b64 s[16:17], s[58:59], s[52:53]
	s_or_b64 s[54:55], s[54:55], s[16:17]
	s_and_b64 s[16:17], s[54:55], exec
	s_or_b64 s[16:17], s[56:57], s[16:17]
	s_and_saveexec_b64 s[56:57], s[60:61]
	s_cbranch_execz .LBB993_1166
; %bb.1168:                             ;   in Loop: Header=BB993_1167 Depth=2
	s_add_u32 s50, s50, -1
	s_addc_u32 s51, s51, -1
	s_cmp_eq_u64 s[50:51], 0
	s_cselect_b64 s[52:53], -1, 0
	s_andn2_b64 s[48:49], s[48:49], exec
	s_and_b64 s[52:53], s[52:53], exec
	v_lshl_add_u64 v[4:5], v[4:5], 0, 1
	v_lshl_add_u64 v[6:7], v[6:7], 0, 1
	s_andn2_b64 s[16:17], s[16:17], exec
	s_or_b64 s[48:49], s[48:49], s[52:53]
                                        ; implicit-def: $sgpr52_sgpr53
	s_branch .LBB993_1166
.LBB993_1169:                           ;   in Loop: Header=BB993_1142 Depth=1
	s_or_b64 exec, exec, s[44:45]
	s_xor_b64 s[16:17], s[46:47], -1
	s_andn2_b64 s[36:37], s[36:37], exec
	s_and_b64 s[16:17], s[16:17], exec
	s_or_b64 s[36:37], s[36:37], s[16:17]
.LBB993_1170:                           ;   in Loop: Header=BB993_1142 Depth=1
	s_or_b64 exec, exec, s[42:43]
	s_orn2_b64 s[36:37], s[36:37], exec
.LBB993_1171:                           ;   in Loop: Header=BB993_1142 Depth=1
	s_or_b64 exec, exec, s[40:41]
	v_cndmask_b32_e64 v4, v8, v9, s[36:37]
	v_cndmask_b32_e64 v5, v33, v32, s[36:37]
	v_add_u32_e32 v6, 1, v4
	v_add_u32_e32 v4, -1, v5
	v_min_u32_e32 v4, v6, v4
	v_lshlrev_b32_e32 v4, 3, v4
	ds_read_b64 v[4:5], v4
	v_cndmask_b32_e64 v8, v6, v8, s[36:37]
	v_cndmask_b32_e64 v9, v9, v6, s[36:37]
	v_cmp_lt_u32_e32 vcc, v8, v33
	s_waitcnt lgkmcnt(0)
	v_cndmask_b32_e64 v10, v5, v14, s[36:37]
	v_cndmask_b32_e64 v17, v4, v15, s[36:37]
	;; [unrolled: 1-line block ×4, first 2 shown]
	s_and_saveexec_b64 s[40:41], vcc
	s_cbranch_execz .LBB993_1179
; %bb.1172:                             ;   in Loop: Header=BB993_1142 Depth=1
	v_cmp_lt_u32_e64 s[38:39], v9, v32
	s_and_b64 s[16:17], s[38:39], s[30:31]
	s_and_saveexec_b64 s[42:43], s[16:17]
	s_cbranch_execz .LBB993_1178
; %bb.1173:                             ;   in Loop: Header=BB993_1142 Depth=1
	v_mov_b64_e32 v[6:7], s[22:23]
	v_mad_u64_u32 v[4:5], s[16:17], v17, s20, v[6:7]
	v_mul_lo_u32 v12, v17, s21
	v_mul_lo_u32 v13, v10, s20
	v_add3_u32 v5, v13, v5, v12
	v_mad_u64_u32 v[6:7], s[16:17], v23, s20, v[6:7]
	v_mul_lo_u32 v12, v23, s21
	v_mul_lo_u32 v13, v11, s20
	v_add3_u32 v7, v13, v7, v12
	s_mov_b64 s[44:45], 0
	s_mov_b64 s[50:51], s[20:21]
                                        ; implicit-def: $sgpr46_sgpr47
                                        ; implicit-def: $sgpr48_sgpr49
                                        ; implicit-def: $sgpr16_sgpr17
                                        ; implicit-def: $sgpr52_sgpr53
	s_branch .LBB993_1175
.LBB993_1174:                           ;   in Loop: Header=BB993_1175 Depth=2
	s_or_b64 exec, exec, s[56:57]
	s_and_b64 s[56:57], exec, s[48:49]
	s_or_b64 s[44:45], s[56:57], s[44:45]
	s_andn2_b64 s[52:53], s[52:53], exec
	s_and_b64 s[54:55], s[54:55], exec
	s_or_b64 s[52:53], s[52:53], s[54:55]
	s_andn2_b64 s[46:47], s[46:47], exec
	s_and_b64 s[54:55], s[16:17], exec
	s_or_b64 s[46:47], s[46:47], s[54:55]
	s_andn2_b64 exec, exec, s[44:45]
	s_cbranch_execz .LBB993_1177
.LBB993_1175:                           ;   Parent Loop BB993_1142 Depth=1
                                        ; =>  This Inner Loop Header: Depth=2
	global_load_ubyte v12, v[4:5], off
	global_load_ubyte v13, v[6:7], off
	s_andn2_b64 s[56:57], s[16:17], exec
	s_or_b64 s[48:49], s[48:49], exec
	s_waitcnt vmcnt(1)
	v_cmp_eq_u16_e32 vcc, 0, v12
	s_waitcnt vmcnt(0)
	v_cmp_ne_u16_e64 s[16:17], 0, v13
	s_or_b64 s[58:59], vcc, s[16:17]
	s_and_b64 s[54:55], vcc, s[16:17]
	s_xor_b64 s[60:61], vcc, s[16:17]
	s_and_b64 s[16:17], s[58:59], s[52:53]
	s_or_b64 s[54:55], s[54:55], s[16:17]
	s_and_b64 s[16:17], s[54:55], exec
	s_or_b64 s[16:17], s[56:57], s[16:17]
	s_and_saveexec_b64 s[56:57], s[60:61]
	s_cbranch_execz .LBB993_1174
; %bb.1176:                             ;   in Loop: Header=BB993_1175 Depth=2
	s_add_u32 s50, s50, -1
	s_addc_u32 s51, s51, -1
	s_cmp_eq_u64 s[50:51], 0
	s_cselect_b64 s[52:53], -1, 0
	s_andn2_b64 s[48:49], s[48:49], exec
	s_and_b64 s[52:53], s[52:53], exec
	v_lshl_add_u64 v[4:5], v[4:5], 0, 1
	v_lshl_add_u64 v[6:7], v[6:7], 0, 1
	s_andn2_b64 s[16:17], s[16:17], exec
	s_or_b64 s[48:49], s[48:49], s[52:53]
                                        ; implicit-def: $sgpr52_sgpr53
	s_branch .LBB993_1174
.LBB993_1177:                           ;   in Loop: Header=BB993_1142 Depth=1
	s_or_b64 exec, exec, s[44:45]
	s_xor_b64 s[16:17], s[46:47], -1
	s_andn2_b64 s[38:39], s[38:39], exec
	s_and_b64 s[16:17], s[16:17], exec
	s_or_b64 s[38:39], s[38:39], s[16:17]
.LBB993_1178:                           ;   in Loop: Header=BB993_1142 Depth=1
	s_or_b64 exec, exec, s[42:43]
	s_orn2_b64 s[38:39], s[38:39], exec
.LBB993_1179:                           ;   in Loop: Header=BB993_1142 Depth=1
	s_or_b64 exec, exec, s[40:41]
	v_cndmask_b32_e64 v4, v8, v9, s[38:39]
	v_cndmask_b32_e64 v5, v33, v32, s[38:39]
	v_add_u32_e32 v6, 1, v4
	v_add_u32_e32 v4, -1, v5
	v_min_u32_e32 v4, v6, v4
	v_lshlrev_b32_e32 v4, 3, v4
	ds_read_b64 v[4:5], v4
	v_cndmask_b32_e64 v8, v6, v8, s[38:39]
	v_cndmask_b32_e64 v9, v9, v6, s[38:39]
	v_cmp_lt_u32_e32 vcc, v8, v33
	s_mov_b64 s[42:43], -1
	s_waitcnt lgkmcnt(0)
	v_cndmask_b32_e64 v12, v5, v10, s[38:39]
	v_cndmask_b32_e64 v34, v4, v17, s[38:39]
	;; [unrolled: 1-line block ×4, first 2 shown]
	s_mov_b64 s[40:41], -1
	s_and_saveexec_b64 s[44:45], vcc
	s_cbranch_execz .LBB993_1187
; %bb.1180:                             ;   in Loop: Header=BB993_1142 Depth=1
	v_cmp_lt_u32_e64 s[40:41], v9, v32
	s_and_b64 s[16:17], s[40:41], s[30:31]
	s_and_saveexec_b64 s[46:47], s[16:17]
	s_cbranch_execz .LBB993_1186
; %bb.1181:                             ;   in Loop: Header=BB993_1142 Depth=1
	v_mov_b64_e32 v[6:7], s[22:23]
	v_mad_u64_u32 v[4:5], s[16:17], v34, s20, v[6:7]
	v_mul_lo_u32 v36, v34, s21
	v_mul_lo_u32 v37, v12, s20
	v_add3_u32 v5, v37, v5, v36
	v_mad_u64_u32 v[6:7], s[16:17], v35, s20, v[6:7]
	v_mul_lo_u32 v36, v35, s21
	v_mul_lo_u32 v37, v13, s20
	v_add3_u32 v7, v37, v7, v36
	s_mov_b64 s[48:49], 0
	s_mov_b64 s[54:55], s[20:21]
                                        ; implicit-def: $sgpr50_sgpr51
                                        ; implicit-def: $sgpr52_sgpr53
                                        ; implicit-def: $sgpr16_sgpr17
                                        ; implicit-def: $sgpr56_sgpr57
	s_branch .LBB993_1183
.LBB993_1182:                           ;   in Loop: Header=BB993_1183 Depth=2
	s_or_b64 exec, exec, s[60:61]
	s_and_b64 s[60:61], exec, s[52:53]
	s_or_b64 s[48:49], s[60:61], s[48:49]
	s_andn2_b64 s[56:57], s[56:57], exec
	s_and_b64 s[58:59], s[58:59], exec
	s_or_b64 s[56:57], s[56:57], s[58:59]
	s_andn2_b64 s[50:51], s[50:51], exec
	s_and_b64 s[58:59], s[16:17], exec
	s_or_b64 s[50:51], s[50:51], s[58:59]
	s_andn2_b64 exec, exec, s[48:49]
	s_cbranch_execz .LBB993_1185
.LBB993_1183:                           ;   Parent Loop BB993_1142 Depth=1
                                        ; =>  This Inner Loop Header: Depth=2
	global_load_ubyte v36, v[4:5], off
	global_load_ubyte v37, v[6:7], off
	s_andn2_b64 s[60:61], s[16:17], exec
	s_or_b64 s[52:53], s[52:53], exec
	s_waitcnt vmcnt(1)
	v_cmp_eq_u16_e32 vcc, 0, v36
	s_waitcnt vmcnt(0)
	v_cmp_ne_u16_e64 s[16:17], 0, v37
	s_or_b64 s[62:63], vcc, s[16:17]
	s_and_b64 s[58:59], vcc, s[16:17]
	s_xor_b64 s[64:65], vcc, s[16:17]
	s_and_b64 s[16:17], s[62:63], s[56:57]
	s_or_b64 s[58:59], s[58:59], s[16:17]
	s_and_b64 s[16:17], s[58:59], exec
	s_or_b64 s[16:17], s[60:61], s[16:17]
	s_and_saveexec_b64 s[60:61], s[64:65]
	s_cbranch_execz .LBB993_1182
; %bb.1184:                             ;   in Loop: Header=BB993_1183 Depth=2
	s_add_u32 s54, s54, -1
	s_addc_u32 s55, s55, -1
	s_cmp_eq_u64 s[54:55], 0
	s_cselect_b64 s[56:57], -1, 0
	s_andn2_b64 s[52:53], s[52:53], exec
	s_and_b64 s[56:57], s[56:57], exec
	v_lshl_add_u64 v[4:5], v[4:5], 0, 1
	v_lshl_add_u64 v[6:7], v[6:7], 0, 1
	s_andn2_b64 s[16:17], s[16:17], exec
	s_or_b64 s[52:53], s[52:53], s[56:57]
                                        ; implicit-def: $sgpr56_sgpr57
	s_branch .LBB993_1182
.LBB993_1185:                           ;   in Loop: Header=BB993_1142 Depth=1
	s_or_b64 exec, exec, s[48:49]
	s_xor_b64 s[16:17], s[50:51], -1
	s_andn2_b64 s[40:41], s[40:41], exec
	s_and_b64 s[16:17], s[16:17], exec
	s_or_b64 s[40:41], s[40:41], s[16:17]
.LBB993_1186:                           ;   in Loop: Header=BB993_1142 Depth=1
	s_or_b64 exec, exec, s[46:47]
	s_orn2_b64 s[40:41], s[40:41], exec
.LBB993_1187:                           ;   in Loop: Header=BB993_1142 Depth=1
	s_or_b64 exec, exec, s[44:45]
	v_cndmask_b32_e64 v4, v8, v9, s[40:41]
	v_cndmask_b32_e64 v5, v33, v32, s[40:41]
	v_add_u32_e32 v6, 1, v4
	v_add_u32_e32 v4, -1, v5
	v_min_u32_e32 v4, v6, v4
	v_lshlrev_b32_e32 v4, 3, v4
	ds_read_b64 v[4:5], v4
	v_cndmask_b32_e64 v8, v6, v8, s[40:41]
	v_cndmask_b32_e64 v9, v9, v6, s[40:41]
	v_cmp_lt_u32_e32 vcc, v8, v33
	s_waitcnt lgkmcnt(0)
	v_cndmask_b32_e64 v36, v5, v12, s[40:41]
	v_cndmask_b32_e64 v37, v4, v34, s[40:41]
	;; [unrolled: 1-line block ×4, first 2 shown]
	s_and_saveexec_b64 s[44:45], vcc
	s_cbranch_execz .LBB993_1195
; %bb.1188:                             ;   in Loop: Header=BB993_1142 Depth=1
	v_cmp_lt_u32_e64 s[42:43], v9, v32
	s_and_b64 s[16:17], s[42:43], s[30:31]
	s_and_saveexec_b64 s[46:47], s[16:17]
	s_cbranch_execz .LBB993_1194
; %bb.1189:                             ;   in Loop: Header=BB993_1142 Depth=1
	v_mov_b64_e32 v[6:7], s[22:23]
	v_mad_u64_u32 v[4:5], s[16:17], v37, s20, v[6:7]
	v_mul_lo_u32 v40, v37, s21
	v_mul_lo_u32 v41, v36, s20
	v_add3_u32 v5, v41, v5, v40
	v_mad_u64_u32 v[6:7], s[16:17], v39, s20, v[6:7]
	v_mul_lo_u32 v40, v39, s21
	v_mul_lo_u32 v41, v38, s20
	v_add3_u32 v7, v41, v7, v40
	s_mov_b64 s[48:49], 0
	s_mov_b64 s[54:55], s[20:21]
                                        ; implicit-def: $sgpr50_sgpr51
                                        ; implicit-def: $sgpr52_sgpr53
                                        ; implicit-def: $sgpr16_sgpr17
                                        ; implicit-def: $sgpr56_sgpr57
	s_branch .LBB993_1191
.LBB993_1190:                           ;   in Loop: Header=BB993_1191 Depth=2
	s_or_b64 exec, exec, s[60:61]
	s_and_b64 s[60:61], exec, s[52:53]
	s_or_b64 s[48:49], s[60:61], s[48:49]
	s_andn2_b64 s[56:57], s[56:57], exec
	s_and_b64 s[58:59], s[58:59], exec
	s_or_b64 s[56:57], s[56:57], s[58:59]
	s_andn2_b64 s[50:51], s[50:51], exec
	s_and_b64 s[58:59], s[16:17], exec
	s_or_b64 s[50:51], s[50:51], s[58:59]
	s_andn2_b64 exec, exec, s[48:49]
	s_cbranch_execz .LBB993_1193
.LBB993_1191:                           ;   Parent Loop BB993_1142 Depth=1
                                        ; =>  This Inner Loop Header: Depth=2
	global_load_ubyte v40, v[4:5], off
	global_load_ubyte v41, v[6:7], off
	s_andn2_b64 s[60:61], s[16:17], exec
	s_or_b64 s[52:53], s[52:53], exec
	s_waitcnt vmcnt(1)
	v_cmp_eq_u16_e32 vcc, 0, v40
	s_waitcnt vmcnt(0)
	v_cmp_ne_u16_e64 s[16:17], 0, v41
	s_or_b64 s[62:63], vcc, s[16:17]
	s_and_b64 s[58:59], vcc, s[16:17]
	s_xor_b64 s[64:65], vcc, s[16:17]
	s_and_b64 s[16:17], s[62:63], s[56:57]
	s_or_b64 s[58:59], s[58:59], s[16:17]
	s_and_b64 s[16:17], s[58:59], exec
	s_or_b64 s[16:17], s[60:61], s[16:17]
	s_and_saveexec_b64 s[60:61], s[64:65]
	s_cbranch_execz .LBB993_1190
; %bb.1192:                             ;   in Loop: Header=BB993_1191 Depth=2
	s_add_u32 s54, s54, -1
	s_addc_u32 s55, s55, -1
	s_cmp_eq_u64 s[54:55], 0
	s_cselect_b64 s[56:57], -1, 0
	s_andn2_b64 s[52:53], s[52:53], exec
	s_and_b64 s[56:57], s[56:57], exec
	v_lshl_add_u64 v[4:5], v[4:5], 0, 1
	v_lshl_add_u64 v[6:7], v[6:7], 0, 1
	s_andn2_b64 s[16:17], s[16:17], exec
	s_or_b64 s[52:53], s[52:53], s[56:57]
                                        ; implicit-def: $sgpr56_sgpr57
	s_branch .LBB993_1190
.LBB993_1193:                           ;   in Loop: Header=BB993_1142 Depth=1
	s_or_b64 exec, exec, s[48:49]
	s_xor_b64 s[16:17], s[50:51], -1
	s_andn2_b64 s[42:43], s[42:43], exec
	s_and_b64 s[16:17], s[16:17], exec
	s_or_b64 s[42:43], s[42:43], s[16:17]
.LBB993_1194:                           ;   in Loop: Header=BB993_1142 Depth=1
	s_or_b64 exec, exec, s[46:47]
	s_orn2_b64 s[42:43], s[42:43], exec
.LBB993_1195:                           ;   in Loop: Header=BB993_1142 Depth=1
	s_or_b64 exec, exec, s[44:45]
	v_cndmask_b32_e64 v4, v8, v9, s[42:43]
	v_cndmask_b32_e64 v5, v33, v32, s[42:43]
	v_add_u32_e32 v6, 1, v4
	v_add_u32_e32 v4, -1, v5
	v_min_u32_e32 v4, v6, v4
	v_lshlrev_b32_e32 v4, 3, v4
	ds_read_b64 v[4:5], v4
	v_cndmask_b32_e64 v8, v6, v8, s[42:43]
	v_cndmask_b32_e64 v9, v9, v6, s[42:43]
	v_cmp_lt_u32_e32 vcc, v8, v33
	s_mov_b64 s[44:45], -1
	s_waitcnt lgkmcnt(0)
	v_cndmask_b32_e64 v40, v5, v36, s[42:43]
	v_cndmask_b32_e64 v41, v4, v37, s[42:43]
	;; [unrolled: 1-line block ×4, first 2 shown]
	s_mov_b64 s[46:47], -1
	s_and_saveexec_b64 s[48:49], vcc
	s_cbranch_execz .LBB993_1203
; %bb.1196:                             ;   in Loop: Header=BB993_1142 Depth=1
	v_cmp_lt_u32_e64 s[46:47], v9, v32
	s_and_b64 s[16:17], s[46:47], s[30:31]
	s_and_saveexec_b64 s[50:51], s[16:17]
	s_cbranch_execz .LBB993_1202
; %bb.1197:                             ;   in Loop: Header=BB993_1142 Depth=1
	v_mov_b64_e32 v[6:7], s[22:23]
	v_mad_u64_u32 v[4:5], s[16:17], v41, s20, v[6:7]
	v_mul_lo_u32 v44, v41, s21
	v_mul_lo_u32 v45, v40, s20
	v_add3_u32 v5, v45, v5, v44
	v_mad_u64_u32 v[6:7], s[16:17], v43, s20, v[6:7]
	v_mul_lo_u32 v44, v43, s21
	v_mul_lo_u32 v45, v42, s20
	v_add3_u32 v7, v45, v7, v44
	s_mov_b64 s[52:53], 0
	s_mov_b64 s[58:59], s[20:21]
                                        ; implicit-def: $sgpr54_sgpr55
                                        ; implicit-def: $sgpr56_sgpr57
                                        ; implicit-def: $sgpr16_sgpr17
                                        ; implicit-def: $sgpr60_sgpr61
	s_branch .LBB993_1199
.LBB993_1198:                           ;   in Loop: Header=BB993_1199 Depth=2
	s_or_b64 exec, exec, s[64:65]
	s_and_b64 s[64:65], exec, s[56:57]
	s_or_b64 s[52:53], s[64:65], s[52:53]
	s_andn2_b64 s[60:61], s[60:61], exec
	s_and_b64 s[62:63], s[62:63], exec
	s_or_b64 s[60:61], s[60:61], s[62:63]
	s_andn2_b64 s[54:55], s[54:55], exec
	s_and_b64 s[62:63], s[16:17], exec
	s_or_b64 s[54:55], s[54:55], s[62:63]
	s_andn2_b64 exec, exec, s[52:53]
	s_cbranch_execz .LBB993_1201
.LBB993_1199:                           ;   Parent Loop BB993_1142 Depth=1
                                        ; =>  This Inner Loop Header: Depth=2
	global_load_ubyte v44, v[4:5], off
	global_load_ubyte v45, v[6:7], off
	s_andn2_b64 s[64:65], s[16:17], exec
	s_or_b64 s[56:57], s[56:57], exec
	s_waitcnt vmcnt(1)
	v_cmp_eq_u16_e32 vcc, 0, v44
	s_waitcnt vmcnt(0)
	v_cmp_ne_u16_e64 s[16:17], 0, v45
	s_or_b64 s[68:69], vcc, s[16:17]
	s_and_b64 s[62:63], vcc, s[16:17]
	s_xor_b64 s[70:71], vcc, s[16:17]
	s_and_b64 s[16:17], s[68:69], s[60:61]
	s_or_b64 s[62:63], s[62:63], s[16:17]
	s_and_b64 s[16:17], s[62:63], exec
	s_or_b64 s[16:17], s[64:65], s[16:17]
	s_and_saveexec_b64 s[64:65], s[70:71]
	s_cbranch_execz .LBB993_1198
; %bb.1200:                             ;   in Loop: Header=BB993_1199 Depth=2
	s_add_u32 s58, s58, -1
	s_addc_u32 s59, s59, -1
	s_cmp_eq_u64 s[58:59], 0
	s_cselect_b64 s[60:61], -1, 0
	s_andn2_b64 s[56:57], s[56:57], exec
	s_and_b64 s[60:61], s[60:61], exec
	v_lshl_add_u64 v[4:5], v[4:5], 0, 1
	v_lshl_add_u64 v[6:7], v[6:7], 0, 1
	s_andn2_b64 s[16:17], s[16:17], exec
	s_or_b64 s[56:57], s[56:57], s[60:61]
                                        ; implicit-def: $sgpr60_sgpr61
	s_branch .LBB993_1198
.LBB993_1201:                           ;   in Loop: Header=BB993_1142 Depth=1
	s_or_b64 exec, exec, s[52:53]
	s_xor_b64 s[16:17], s[54:55], -1
	s_andn2_b64 s[46:47], s[46:47], exec
	s_and_b64 s[16:17], s[16:17], exec
	s_or_b64 s[46:47], s[46:47], s[16:17]
.LBB993_1202:                           ;   in Loop: Header=BB993_1142 Depth=1
	s_or_b64 exec, exec, s[50:51]
	s_orn2_b64 s[46:47], s[46:47], exec
.LBB993_1203:                           ;   in Loop: Header=BB993_1142 Depth=1
	s_or_b64 exec, exec, s[48:49]
	v_cndmask_b32_e64 v4, v8, v9, s[46:47]
	v_cndmask_b32_e64 v5, v33, v32, s[46:47]
	v_add_u32_e32 v6, 1, v4
	v_add_u32_e32 v4, -1, v5
	v_min_u32_e32 v4, v6, v4
	v_lshlrev_b32_e32 v4, 3, v4
	ds_read_b64 v[4:5], v4
	v_cndmask_b32_e64 v48, v6, v8, s[46:47]
	v_cndmask_b32_e64 v8, v9, v6, s[46:47]
	v_cmp_lt_u32_e32 vcc, v48, v33
	s_waitcnt lgkmcnt(0)
	v_cndmask_b32_e64 v44, v5, v40, s[46:47]
	v_cndmask_b32_e64 v45, v4, v41, s[46:47]
	;; [unrolled: 1-line block ×4, first 2 shown]
	s_and_saveexec_b64 s[48:49], vcc
	s_cbranch_execz .LBB993_1211
; %bb.1204:                             ;   in Loop: Header=BB993_1142 Depth=1
	v_cmp_lt_u32_e64 s[44:45], v8, v32
	s_and_b64 s[16:17], s[44:45], s[30:31]
	s_and_saveexec_b64 s[50:51], s[16:17]
	s_cbranch_execz .LBB993_1210
; %bb.1205:                             ;   in Loop: Header=BB993_1142 Depth=1
	v_mov_b64_e32 v[6:7], s[22:23]
	v_mad_u64_u32 v[4:5], s[16:17], v45, s20, v[6:7]
	v_mul_lo_u32 v9, v45, s21
	v_mul_lo_u32 v49, v44, s20
	v_add3_u32 v5, v49, v5, v9
	v_mad_u64_u32 v[6:7], s[16:17], v47, s20, v[6:7]
	v_mul_lo_u32 v9, v47, s21
	v_mul_lo_u32 v49, v46, s20
	v_add3_u32 v7, v49, v7, v9
	s_mov_b64 s[52:53], 0
	s_mov_b64 s[58:59], s[20:21]
                                        ; implicit-def: $sgpr54_sgpr55
                                        ; implicit-def: $sgpr56_sgpr57
                                        ; implicit-def: $sgpr16_sgpr17
                                        ; implicit-def: $sgpr60_sgpr61
	s_branch .LBB993_1207
.LBB993_1206:                           ;   in Loop: Header=BB993_1207 Depth=2
	s_or_b64 exec, exec, s[64:65]
	s_and_b64 s[64:65], exec, s[56:57]
	s_or_b64 s[52:53], s[64:65], s[52:53]
	s_andn2_b64 s[60:61], s[60:61], exec
	s_and_b64 s[62:63], s[62:63], exec
	s_or_b64 s[60:61], s[60:61], s[62:63]
	s_andn2_b64 s[54:55], s[54:55], exec
	s_and_b64 s[62:63], s[16:17], exec
	s_or_b64 s[54:55], s[54:55], s[62:63]
	s_andn2_b64 exec, exec, s[52:53]
	s_cbranch_execz .LBB993_1209
.LBB993_1207:                           ;   Parent Loop BB993_1142 Depth=1
                                        ; =>  This Inner Loop Header: Depth=2
	global_load_ubyte v9, v[4:5], off
	global_load_ubyte v49, v[6:7], off
	s_andn2_b64 s[64:65], s[16:17], exec
	s_or_b64 s[56:57], s[56:57], exec
	s_waitcnt vmcnt(1)
	v_cmp_eq_u16_e32 vcc, 0, v9
	s_waitcnt vmcnt(0)
	v_cmp_ne_u16_e64 s[16:17], 0, v49
	s_or_b64 s[68:69], vcc, s[16:17]
	s_and_b64 s[62:63], vcc, s[16:17]
	s_xor_b64 s[70:71], vcc, s[16:17]
	s_and_b64 s[16:17], s[68:69], s[60:61]
	s_or_b64 s[62:63], s[62:63], s[16:17]
	s_and_b64 s[16:17], s[62:63], exec
	s_or_b64 s[16:17], s[64:65], s[16:17]
	s_and_saveexec_b64 s[64:65], s[70:71]
	s_cbranch_execz .LBB993_1206
; %bb.1208:                             ;   in Loop: Header=BB993_1207 Depth=2
	s_add_u32 s58, s58, -1
	s_addc_u32 s59, s59, -1
	s_cmp_eq_u64 s[58:59], 0
	s_cselect_b64 s[60:61], -1, 0
	s_andn2_b64 s[56:57], s[56:57], exec
	s_and_b64 s[60:61], s[60:61], exec
	v_lshl_add_u64 v[4:5], v[4:5], 0, 1
	v_lshl_add_u64 v[6:7], v[6:7], 0, 1
	s_andn2_b64 s[16:17], s[16:17], exec
	s_or_b64 s[56:57], s[56:57], s[60:61]
                                        ; implicit-def: $sgpr60_sgpr61
	s_branch .LBB993_1206
.LBB993_1209:                           ;   in Loop: Header=BB993_1142 Depth=1
	s_or_b64 exec, exec, s[52:53]
	s_xor_b64 s[16:17], s[54:55], -1
	s_andn2_b64 s[44:45], s[44:45], exec
	s_and_b64 s[16:17], s[16:17], exec
	s_or_b64 s[44:45], s[44:45], s[16:17]
.LBB993_1210:                           ;   in Loop: Header=BB993_1142 Depth=1
	s_or_b64 exec, exec, s[50:51]
	s_orn2_b64 s[44:45], s[44:45], exec
.LBB993_1211:                           ;   in Loop: Header=BB993_1142 Depth=1
	s_or_b64 exec, exec, s[48:49]
	v_cndmask_b32_e64 v4, v48, v8, s[44:45]
	v_cndmask_b32_e64 v5, v33, v32, s[44:45]
	v_add_u32_e32 v9, 1, v4
	v_add_u32_e32 v4, -1, v5
	v_min_u32_e32 v4, v9, v4
	v_lshlrev_b32_e32 v4, 3, v4
	ds_read_b64 v[6:7], v4
	v_cndmask_b32_e64 v48, v9, v48, s[44:45]
	v_cmp_lt_u32_e32 vcc, v48, v33
	s_waitcnt lgkmcnt(0)
	v_cndmask_b32_e64 v5, v46, v7, s[44:45]
	v_cndmask_b32_e64 v4, v47, v6, s[44:45]
	s_and_saveexec_b64 s[48:49], vcc
	s_cbranch_execz .LBB993_1140
; %bb.1212:                             ;   in Loop: Header=BB993_1142 Depth=1
	v_cndmask_b32_e64 v48, v6, v45, s[44:45]
	v_cndmask_b32_e64 v6, v8, v9, s[44:45]
	;; [unrolled: 1-line block ×3, first 2 shown]
	v_cmp_ge_u32_e32 vcc, v6, v32
	s_nor_b64 s[16:17], vcc, s[28:29]
	s_nop 0
	v_cndmask_b32_e32 v7, v5, v33, vcc
	v_cndmask_b32_e32 v6, v4, v48, vcc
	s_and_saveexec_b64 s[50:51], s[16:17]
	s_cbranch_execz .LBB993_1139
; %bb.1213:                             ;   in Loop: Header=BB993_1142 Depth=1
	v_mov_b64_e32 v[8:9], s[22:23]
	v_mad_u64_u32 v[6:7], s[16:17], v48, s20, v[8:9]
	v_mul_lo_u32 v32, v48, s21
	v_mul_lo_u32 v49, v33, s20
	v_add3_u32 v7, v49, v7, v32
	v_mad_u64_u32 v[8:9], s[16:17], v4, s20, v[8:9]
	v_mul_lo_u32 v32, v4, s21
	v_mul_lo_u32 v49, v5, s20
	v_add3_u32 v9, v49, v9, v32
	s_mov_b64 s[52:53], 0
	s_mov_b64 s[58:59], s[20:21]
                                        ; implicit-def: $sgpr54_sgpr55
                                        ; implicit-def: $sgpr56_sgpr57
                                        ; implicit-def: $sgpr16_sgpr17
                                        ; implicit-def: $sgpr60_sgpr61
	s_branch .LBB993_1215
.LBB993_1214:                           ;   in Loop: Header=BB993_1215 Depth=2
	s_or_b64 exec, exec, s[64:65]
	s_and_b64 s[64:65], exec, s[56:57]
	s_or_b64 s[52:53], s[64:65], s[52:53]
	s_andn2_b64 s[60:61], s[60:61], exec
	s_and_b64 s[62:63], s[62:63], exec
	s_or_b64 s[60:61], s[60:61], s[62:63]
	s_andn2_b64 s[54:55], s[54:55], exec
	s_and_b64 s[62:63], s[16:17], exec
	s_or_b64 s[54:55], s[54:55], s[62:63]
	s_andn2_b64 exec, exec, s[52:53]
	s_cbranch_execz .LBB993_1138
.LBB993_1215:                           ;   Parent Loop BB993_1142 Depth=1
                                        ; =>  This Inner Loop Header: Depth=2
	global_load_ubyte v32, v[6:7], off
	global_load_ubyte v49, v[8:9], off
	s_andn2_b64 s[64:65], s[16:17], exec
	s_or_b64 s[56:57], s[56:57], exec
	s_waitcnt vmcnt(1)
	v_cmp_eq_u16_e32 vcc, 0, v32
	s_waitcnt vmcnt(0)
	v_cmp_ne_u16_e64 s[16:17], 0, v49
	s_or_b64 s[68:69], vcc, s[16:17]
	s_and_b64 s[62:63], vcc, s[16:17]
	s_xor_b64 s[70:71], vcc, s[16:17]
	s_and_b64 s[16:17], s[68:69], s[60:61]
	s_or_b64 s[62:63], s[62:63], s[16:17]
	s_and_b64 s[16:17], s[62:63], exec
	s_or_b64 s[16:17], s[64:65], s[16:17]
	s_and_saveexec_b64 s[64:65], s[70:71]
	s_cbranch_execz .LBB993_1214
; %bb.1216:                             ;   in Loop: Header=BB993_1215 Depth=2
	s_add_u32 s58, s58, -1
	s_addc_u32 s59, s59, -1
	s_cmp_eq_u64 s[58:59], 0
	s_cselect_b64 s[60:61], -1, 0
	s_andn2_b64 s[56:57], s[56:57], exec
	s_and_b64 s[60:61], s[60:61], exec
	v_lshl_add_u64 v[6:7], v[6:7], 0, 1
	v_lshl_add_u64 v[8:9], v[8:9], 0, 1
	s_andn2_b64 s[16:17], s[16:17], exec
	s_or_b64 s[56:57], s[56:57], s[60:61]
                                        ; implicit-def: $sgpr60_sgpr61
	s_branch .LBB993_1214
.LBB993_1217:
	s_barrier
	ds_write2_b64 v30, v[14:15], v[16:17] offset1:1
	ds_write2_b64 v30, v[10:11], v[12:13] offset0:2 offset1:3
	ds_write2_b64 v30, v[6:7], v[8:9] offset0:4 offset1:5
	ds_write2_b64 v30, v[2:3], v[4:5] offset0:6 offset1:7
	s_waitcnt lgkmcnt(0)
	s_barrier
	ds_read_b64 v[12:13], v21 offset:2048
	ds_read_b64 v[10:11], v24 offset:4096
	;; [unrolled: 1-line block ×7, first 2 shown]
	v_mov_b32_e32 v21, 0
	v_lshl_add_u64 v[2:3], s[24:25], 0, v[20:21]
	s_and_saveexec_b64 s[14:15], s[0:1]
	s_cbranch_execnz .LBB993_1229
; %bb.1218:
	s_or_b64 exec, exec, s[14:15]
	s_and_saveexec_b64 s[0:1], s[2:3]
	s_cbranch_execnz .LBB993_1230
.LBB993_1219:
	s_or_b64 exec, exec, s[0:1]
	s_and_saveexec_b64 s[0:1], s[4:5]
	s_cbranch_execnz .LBB993_1231
.LBB993_1220:
	s_or_b64 exec, exec, s[0:1]
	s_and_saveexec_b64 s[0:1], s[6:7]
	s_cbranch_execnz .LBB993_1232
.LBB993_1221:
	s_or_b64 exec, exec, s[0:1]
	s_and_saveexec_b64 s[0:1], s[8:9]
	s_cbranch_execnz .LBB993_1233
.LBB993_1222:
	s_or_b64 exec, exec, s[0:1]
	s_and_saveexec_b64 s[0:1], s[10:11]
	s_cbranch_execnz .LBB993_1234
.LBB993_1223:
	s_or_b64 exec, exec, s[0:1]
	s_and_saveexec_b64 s[0:1], s[12:13]
	s_cbranch_execz .LBB993_1225
.LBB993_1224:
	v_add_co_u32_e32 v2, vcc, 0x3000, v2
	s_nop 1
	v_addc_co_u32_e32 v3, vcc, 0, v3, vcc
	s_waitcnt lgkmcnt(1)
	global_store_dwordx2 v[2:3], v[0:1], off
.LBB993_1225:
	s_or_b64 exec, exec, s[0:1]
	v_mov_b32_e32 v19, v21
.LBB993_1226:
	s_and_saveexec_b64 s[0:1], s[26:27]
	s_cbranch_execz .LBB993_1228
; %bb.1227:
	s_waitcnt lgkmcnt(1)
	v_lshl_add_u64 v[0:1], v[18:19], 3, s[24:25]
	v_add_co_u32_e32 v0, vcc, 0x3000, v0
	s_nop 1
	v_addc_co_u32_e32 v1, vcc, 0, v1, vcc
	s_waitcnt lgkmcnt(0)
	global_store_dwordx2 v[0:1], v[14:15], off offset:2048
.LBB993_1228:
	s_endpgm
.LBB993_1229:
	ds_read_b64 v[16:17], v19
	s_waitcnt lgkmcnt(0)
	global_store_dwordx2 v[2:3], v[16:17], off
	s_or_b64 exec, exec, s[14:15]
	s_and_saveexec_b64 s[0:1], s[2:3]
	s_cbranch_execz .LBB993_1219
.LBB993_1230:
	s_waitcnt lgkmcnt(6)
	global_store_dwordx2 v[2:3], v[12:13], off offset:2048
	s_or_b64 exec, exec, s[0:1]
	s_and_saveexec_b64 s[0:1], s[4:5]
	s_cbranch_execz .LBB993_1220
.LBB993_1231:
	s_waitcnt lgkmcnt(6)
	v_add_co_u32_e32 v12, vcc, 0x1000, v2
	s_nop 1
	v_addc_co_u32_e32 v13, vcc, 0, v3, vcc
	s_waitcnt lgkmcnt(5)
	global_store_dwordx2 v[12:13], v[10:11], off
	s_or_b64 exec, exec, s[0:1]
	s_and_saveexec_b64 s[0:1], s[6:7]
	s_cbranch_execz .LBB993_1221
.LBB993_1232:
	s_waitcnt lgkmcnt(5)
	v_add_co_u32_e32 v10, vcc, 0x1000, v2
	s_nop 1
	v_addc_co_u32_e32 v11, vcc, 0, v3, vcc
	s_waitcnt lgkmcnt(4)
	global_store_dwordx2 v[10:11], v[8:9], off offset:2048
	s_or_b64 exec, exec, s[0:1]
	s_and_saveexec_b64 s[0:1], s[8:9]
	s_cbranch_execz .LBB993_1222
.LBB993_1233:
	s_waitcnt lgkmcnt(4)
	v_add_co_u32_e32 v8, vcc, 0x2000, v2
	s_nop 1
	v_addc_co_u32_e32 v9, vcc, 0, v3, vcc
	s_waitcnt lgkmcnt(3)
	global_store_dwordx2 v[8:9], v[6:7], off
	s_or_b64 exec, exec, s[0:1]
	s_and_saveexec_b64 s[0:1], s[10:11]
	s_cbranch_execz .LBB993_1223
.LBB993_1234:
	s_waitcnt lgkmcnt(3)
	v_add_co_u32_e32 v6, vcc, 0x2000, v2
	s_nop 1
	v_addc_co_u32_e32 v7, vcc, 0, v3, vcc
	s_waitcnt lgkmcnt(2)
	global_store_dwordx2 v[6:7], v[4:5], off offset:2048
	s_or_b64 exec, exec, s[0:1]
	s_and_saveexec_b64 s[0:1], s[12:13]
	s_cbranch_execnz .LBB993_1224
	s_branch .LBB993_1225
	.section	.rodata,"a",@progbits
	.p2align	6, 0x0
	.amdhsa_kernel _ZN7rocprim17ROCPRIM_400000_NS6detail17trampoline_kernelINS0_14default_configENS1_37merge_sort_block_sort_config_selectorIlNS0_10empty_typeEEEZNS1_21merge_sort_block_sortIS3_PlS8_PS5_S9_ZN2at6native12_GLOBAL__N_124unique_dim_cuda_templateIbEESt5tupleIJNSA_6TensorESF_SF_EERKSF_lbbbEUlllE_EE10hipError_tT0_T1_T2_T3_mRjT4_P12ihipStream_tbNS1_7vsmem_tEEUlT_E_NS1_11comp_targetILNS1_3genE0ELNS1_11target_archE4294967295ELNS1_3gpuE0ELNS1_3repE0EEENS1_30default_config_static_selectorELNS0_4arch9wavefront6targetE1EEEvSM_
		.amdhsa_group_segment_fixed_size 16896
		.amdhsa_private_segment_fixed_size 0
		.amdhsa_kernarg_size 328
		.amdhsa_user_sgpr_count 2
		.amdhsa_user_sgpr_dispatch_ptr 0
		.amdhsa_user_sgpr_queue_ptr 0
		.amdhsa_user_sgpr_kernarg_segment_ptr 1
		.amdhsa_user_sgpr_dispatch_id 0
		.amdhsa_user_sgpr_kernarg_preload_length 0
		.amdhsa_user_sgpr_kernarg_preload_offset 0
		.amdhsa_user_sgpr_private_segment_size 0
		.amdhsa_uses_dynamic_stack 0
		.amdhsa_enable_private_segment 0
		.amdhsa_system_sgpr_workgroup_id_x 1
		.amdhsa_system_sgpr_workgroup_id_y 1
		.amdhsa_system_sgpr_workgroup_id_z 1
		.amdhsa_system_sgpr_workgroup_info 0
		.amdhsa_system_vgpr_workitem_id 2
		.amdhsa_next_free_vgpr 55
		.amdhsa_next_free_sgpr 72
		.amdhsa_accum_offset 56
		.amdhsa_reserve_vcc 1
		.amdhsa_float_round_mode_32 0
		.amdhsa_float_round_mode_16_64 0
		.amdhsa_float_denorm_mode_32 3
		.amdhsa_float_denorm_mode_16_64 3
		.amdhsa_dx10_clamp 1
		.amdhsa_ieee_mode 1
		.amdhsa_fp16_overflow 0
		.amdhsa_tg_split 0
		.amdhsa_exception_fp_ieee_invalid_op 0
		.amdhsa_exception_fp_denorm_src 0
		.amdhsa_exception_fp_ieee_div_zero 0
		.amdhsa_exception_fp_ieee_overflow 0
		.amdhsa_exception_fp_ieee_underflow 0
		.amdhsa_exception_fp_ieee_inexact 0
		.amdhsa_exception_int_div_zero 0
	.end_amdhsa_kernel
	.section	.text._ZN7rocprim17ROCPRIM_400000_NS6detail17trampoline_kernelINS0_14default_configENS1_37merge_sort_block_sort_config_selectorIlNS0_10empty_typeEEEZNS1_21merge_sort_block_sortIS3_PlS8_PS5_S9_ZN2at6native12_GLOBAL__N_124unique_dim_cuda_templateIbEESt5tupleIJNSA_6TensorESF_SF_EERKSF_lbbbEUlllE_EE10hipError_tT0_T1_T2_T3_mRjT4_P12ihipStream_tbNS1_7vsmem_tEEUlT_E_NS1_11comp_targetILNS1_3genE0ELNS1_11target_archE4294967295ELNS1_3gpuE0ELNS1_3repE0EEENS1_30default_config_static_selectorELNS0_4arch9wavefront6targetE1EEEvSM_,"axG",@progbits,_ZN7rocprim17ROCPRIM_400000_NS6detail17trampoline_kernelINS0_14default_configENS1_37merge_sort_block_sort_config_selectorIlNS0_10empty_typeEEEZNS1_21merge_sort_block_sortIS3_PlS8_PS5_S9_ZN2at6native12_GLOBAL__N_124unique_dim_cuda_templateIbEESt5tupleIJNSA_6TensorESF_SF_EERKSF_lbbbEUlllE_EE10hipError_tT0_T1_T2_T3_mRjT4_P12ihipStream_tbNS1_7vsmem_tEEUlT_E_NS1_11comp_targetILNS1_3genE0ELNS1_11target_archE4294967295ELNS1_3gpuE0ELNS1_3repE0EEENS1_30default_config_static_selectorELNS0_4arch9wavefront6targetE1EEEvSM_,comdat
.Lfunc_end993:
	.size	_ZN7rocprim17ROCPRIM_400000_NS6detail17trampoline_kernelINS0_14default_configENS1_37merge_sort_block_sort_config_selectorIlNS0_10empty_typeEEEZNS1_21merge_sort_block_sortIS3_PlS8_PS5_S9_ZN2at6native12_GLOBAL__N_124unique_dim_cuda_templateIbEESt5tupleIJNSA_6TensorESF_SF_EERKSF_lbbbEUlllE_EE10hipError_tT0_T1_T2_T3_mRjT4_P12ihipStream_tbNS1_7vsmem_tEEUlT_E_NS1_11comp_targetILNS1_3genE0ELNS1_11target_archE4294967295ELNS1_3gpuE0ELNS1_3repE0EEENS1_30default_config_static_selectorELNS0_4arch9wavefront6targetE1EEEvSM_, .Lfunc_end993-_ZN7rocprim17ROCPRIM_400000_NS6detail17trampoline_kernelINS0_14default_configENS1_37merge_sort_block_sort_config_selectorIlNS0_10empty_typeEEEZNS1_21merge_sort_block_sortIS3_PlS8_PS5_S9_ZN2at6native12_GLOBAL__N_124unique_dim_cuda_templateIbEESt5tupleIJNSA_6TensorESF_SF_EERKSF_lbbbEUlllE_EE10hipError_tT0_T1_T2_T3_mRjT4_P12ihipStream_tbNS1_7vsmem_tEEUlT_E_NS1_11comp_targetILNS1_3genE0ELNS1_11target_archE4294967295ELNS1_3gpuE0ELNS1_3repE0EEENS1_30default_config_static_selectorELNS0_4arch9wavefront6targetE1EEEvSM_
                                        ; -- End function
	.set _ZN7rocprim17ROCPRIM_400000_NS6detail17trampoline_kernelINS0_14default_configENS1_37merge_sort_block_sort_config_selectorIlNS0_10empty_typeEEEZNS1_21merge_sort_block_sortIS3_PlS8_PS5_S9_ZN2at6native12_GLOBAL__N_124unique_dim_cuda_templateIbEESt5tupleIJNSA_6TensorESF_SF_EERKSF_lbbbEUlllE_EE10hipError_tT0_T1_T2_T3_mRjT4_P12ihipStream_tbNS1_7vsmem_tEEUlT_E_NS1_11comp_targetILNS1_3genE0ELNS1_11target_archE4294967295ELNS1_3gpuE0ELNS1_3repE0EEENS1_30default_config_static_selectorELNS0_4arch9wavefront6targetE1EEEvSM_.num_vgpr, 55
	.set _ZN7rocprim17ROCPRIM_400000_NS6detail17trampoline_kernelINS0_14default_configENS1_37merge_sort_block_sort_config_selectorIlNS0_10empty_typeEEEZNS1_21merge_sort_block_sortIS3_PlS8_PS5_S9_ZN2at6native12_GLOBAL__N_124unique_dim_cuda_templateIbEESt5tupleIJNSA_6TensorESF_SF_EERKSF_lbbbEUlllE_EE10hipError_tT0_T1_T2_T3_mRjT4_P12ihipStream_tbNS1_7vsmem_tEEUlT_E_NS1_11comp_targetILNS1_3genE0ELNS1_11target_archE4294967295ELNS1_3gpuE0ELNS1_3repE0EEENS1_30default_config_static_selectorELNS0_4arch9wavefront6targetE1EEEvSM_.num_agpr, 0
	.set _ZN7rocprim17ROCPRIM_400000_NS6detail17trampoline_kernelINS0_14default_configENS1_37merge_sort_block_sort_config_selectorIlNS0_10empty_typeEEEZNS1_21merge_sort_block_sortIS3_PlS8_PS5_S9_ZN2at6native12_GLOBAL__N_124unique_dim_cuda_templateIbEESt5tupleIJNSA_6TensorESF_SF_EERKSF_lbbbEUlllE_EE10hipError_tT0_T1_T2_T3_mRjT4_P12ihipStream_tbNS1_7vsmem_tEEUlT_E_NS1_11comp_targetILNS1_3genE0ELNS1_11target_archE4294967295ELNS1_3gpuE0ELNS1_3repE0EEENS1_30default_config_static_selectorELNS0_4arch9wavefront6targetE1EEEvSM_.numbered_sgpr, 72
	.set _ZN7rocprim17ROCPRIM_400000_NS6detail17trampoline_kernelINS0_14default_configENS1_37merge_sort_block_sort_config_selectorIlNS0_10empty_typeEEEZNS1_21merge_sort_block_sortIS3_PlS8_PS5_S9_ZN2at6native12_GLOBAL__N_124unique_dim_cuda_templateIbEESt5tupleIJNSA_6TensorESF_SF_EERKSF_lbbbEUlllE_EE10hipError_tT0_T1_T2_T3_mRjT4_P12ihipStream_tbNS1_7vsmem_tEEUlT_E_NS1_11comp_targetILNS1_3genE0ELNS1_11target_archE4294967295ELNS1_3gpuE0ELNS1_3repE0EEENS1_30default_config_static_selectorELNS0_4arch9wavefront6targetE1EEEvSM_.num_named_barrier, 0
	.set _ZN7rocprim17ROCPRIM_400000_NS6detail17trampoline_kernelINS0_14default_configENS1_37merge_sort_block_sort_config_selectorIlNS0_10empty_typeEEEZNS1_21merge_sort_block_sortIS3_PlS8_PS5_S9_ZN2at6native12_GLOBAL__N_124unique_dim_cuda_templateIbEESt5tupleIJNSA_6TensorESF_SF_EERKSF_lbbbEUlllE_EE10hipError_tT0_T1_T2_T3_mRjT4_P12ihipStream_tbNS1_7vsmem_tEEUlT_E_NS1_11comp_targetILNS1_3genE0ELNS1_11target_archE4294967295ELNS1_3gpuE0ELNS1_3repE0EEENS1_30default_config_static_selectorELNS0_4arch9wavefront6targetE1EEEvSM_.private_seg_size, 0
	.set _ZN7rocprim17ROCPRIM_400000_NS6detail17trampoline_kernelINS0_14default_configENS1_37merge_sort_block_sort_config_selectorIlNS0_10empty_typeEEEZNS1_21merge_sort_block_sortIS3_PlS8_PS5_S9_ZN2at6native12_GLOBAL__N_124unique_dim_cuda_templateIbEESt5tupleIJNSA_6TensorESF_SF_EERKSF_lbbbEUlllE_EE10hipError_tT0_T1_T2_T3_mRjT4_P12ihipStream_tbNS1_7vsmem_tEEUlT_E_NS1_11comp_targetILNS1_3genE0ELNS1_11target_archE4294967295ELNS1_3gpuE0ELNS1_3repE0EEENS1_30default_config_static_selectorELNS0_4arch9wavefront6targetE1EEEvSM_.uses_vcc, 1
	.set _ZN7rocprim17ROCPRIM_400000_NS6detail17trampoline_kernelINS0_14default_configENS1_37merge_sort_block_sort_config_selectorIlNS0_10empty_typeEEEZNS1_21merge_sort_block_sortIS3_PlS8_PS5_S9_ZN2at6native12_GLOBAL__N_124unique_dim_cuda_templateIbEESt5tupleIJNSA_6TensorESF_SF_EERKSF_lbbbEUlllE_EE10hipError_tT0_T1_T2_T3_mRjT4_P12ihipStream_tbNS1_7vsmem_tEEUlT_E_NS1_11comp_targetILNS1_3genE0ELNS1_11target_archE4294967295ELNS1_3gpuE0ELNS1_3repE0EEENS1_30default_config_static_selectorELNS0_4arch9wavefront6targetE1EEEvSM_.uses_flat_scratch, 0
	.set _ZN7rocprim17ROCPRIM_400000_NS6detail17trampoline_kernelINS0_14default_configENS1_37merge_sort_block_sort_config_selectorIlNS0_10empty_typeEEEZNS1_21merge_sort_block_sortIS3_PlS8_PS5_S9_ZN2at6native12_GLOBAL__N_124unique_dim_cuda_templateIbEESt5tupleIJNSA_6TensorESF_SF_EERKSF_lbbbEUlllE_EE10hipError_tT0_T1_T2_T3_mRjT4_P12ihipStream_tbNS1_7vsmem_tEEUlT_E_NS1_11comp_targetILNS1_3genE0ELNS1_11target_archE4294967295ELNS1_3gpuE0ELNS1_3repE0EEENS1_30default_config_static_selectorELNS0_4arch9wavefront6targetE1EEEvSM_.has_dyn_sized_stack, 0
	.set _ZN7rocprim17ROCPRIM_400000_NS6detail17trampoline_kernelINS0_14default_configENS1_37merge_sort_block_sort_config_selectorIlNS0_10empty_typeEEEZNS1_21merge_sort_block_sortIS3_PlS8_PS5_S9_ZN2at6native12_GLOBAL__N_124unique_dim_cuda_templateIbEESt5tupleIJNSA_6TensorESF_SF_EERKSF_lbbbEUlllE_EE10hipError_tT0_T1_T2_T3_mRjT4_P12ihipStream_tbNS1_7vsmem_tEEUlT_E_NS1_11comp_targetILNS1_3genE0ELNS1_11target_archE4294967295ELNS1_3gpuE0ELNS1_3repE0EEENS1_30default_config_static_selectorELNS0_4arch9wavefront6targetE1EEEvSM_.has_recursion, 0
	.set _ZN7rocprim17ROCPRIM_400000_NS6detail17trampoline_kernelINS0_14default_configENS1_37merge_sort_block_sort_config_selectorIlNS0_10empty_typeEEEZNS1_21merge_sort_block_sortIS3_PlS8_PS5_S9_ZN2at6native12_GLOBAL__N_124unique_dim_cuda_templateIbEESt5tupleIJNSA_6TensorESF_SF_EERKSF_lbbbEUlllE_EE10hipError_tT0_T1_T2_T3_mRjT4_P12ihipStream_tbNS1_7vsmem_tEEUlT_E_NS1_11comp_targetILNS1_3genE0ELNS1_11target_archE4294967295ELNS1_3gpuE0ELNS1_3repE0EEENS1_30default_config_static_selectorELNS0_4arch9wavefront6targetE1EEEvSM_.has_indirect_call, 0
	.section	.AMDGPU.csdata,"",@progbits
; Kernel info:
; codeLenInByte = 60316
; TotalNumSgprs: 78
; NumVgprs: 55
; NumAgprs: 0
; TotalNumVgprs: 55
; ScratchSize: 0
; MemoryBound: 0
; FloatMode: 240
; IeeeMode: 1
; LDSByteSize: 16896 bytes/workgroup (compile time only)
; SGPRBlocks: 9
; VGPRBlocks: 6
; NumSGPRsForWavesPerEU: 78
; NumVGPRsForWavesPerEU: 55
; AccumOffset: 56
; Occupancy: 8
; WaveLimiterHint : 1
; COMPUTE_PGM_RSRC2:SCRATCH_EN: 0
; COMPUTE_PGM_RSRC2:USER_SGPR: 2
; COMPUTE_PGM_RSRC2:TRAP_HANDLER: 0
; COMPUTE_PGM_RSRC2:TGID_X_EN: 1
; COMPUTE_PGM_RSRC2:TGID_Y_EN: 1
; COMPUTE_PGM_RSRC2:TGID_Z_EN: 1
; COMPUTE_PGM_RSRC2:TIDIG_COMP_CNT: 2
; COMPUTE_PGM_RSRC3_GFX90A:ACCUM_OFFSET: 13
; COMPUTE_PGM_RSRC3_GFX90A:TG_SPLIT: 0
	.section	.text._ZN7rocprim17ROCPRIM_400000_NS6detail17trampoline_kernelINS0_14default_configENS1_37merge_sort_block_sort_config_selectorIlNS0_10empty_typeEEEZNS1_21merge_sort_block_sortIS3_PlS8_PS5_S9_ZN2at6native12_GLOBAL__N_124unique_dim_cuda_templateIbEESt5tupleIJNSA_6TensorESF_SF_EERKSF_lbbbEUlllE_EE10hipError_tT0_T1_T2_T3_mRjT4_P12ihipStream_tbNS1_7vsmem_tEEUlT_E_NS1_11comp_targetILNS1_3genE5ELNS1_11target_archE942ELNS1_3gpuE9ELNS1_3repE0EEENS1_30default_config_static_selectorELNS0_4arch9wavefront6targetE1EEEvSM_,"axG",@progbits,_ZN7rocprim17ROCPRIM_400000_NS6detail17trampoline_kernelINS0_14default_configENS1_37merge_sort_block_sort_config_selectorIlNS0_10empty_typeEEEZNS1_21merge_sort_block_sortIS3_PlS8_PS5_S9_ZN2at6native12_GLOBAL__N_124unique_dim_cuda_templateIbEESt5tupleIJNSA_6TensorESF_SF_EERKSF_lbbbEUlllE_EE10hipError_tT0_T1_T2_T3_mRjT4_P12ihipStream_tbNS1_7vsmem_tEEUlT_E_NS1_11comp_targetILNS1_3genE5ELNS1_11target_archE942ELNS1_3gpuE9ELNS1_3repE0EEENS1_30default_config_static_selectorELNS0_4arch9wavefront6targetE1EEEvSM_,comdat
	.globl	_ZN7rocprim17ROCPRIM_400000_NS6detail17trampoline_kernelINS0_14default_configENS1_37merge_sort_block_sort_config_selectorIlNS0_10empty_typeEEEZNS1_21merge_sort_block_sortIS3_PlS8_PS5_S9_ZN2at6native12_GLOBAL__N_124unique_dim_cuda_templateIbEESt5tupleIJNSA_6TensorESF_SF_EERKSF_lbbbEUlllE_EE10hipError_tT0_T1_T2_T3_mRjT4_P12ihipStream_tbNS1_7vsmem_tEEUlT_E_NS1_11comp_targetILNS1_3genE5ELNS1_11target_archE942ELNS1_3gpuE9ELNS1_3repE0EEENS1_30default_config_static_selectorELNS0_4arch9wavefront6targetE1EEEvSM_ ; -- Begin function _ZN7rocprim17ROCPRIM_400000_NS6detail17trampoline_kernelINS0_14default_configENS1_37merge_sort_block_sort_config_selectorIlNS0_10empty_typeEEEZNS1_21merge_sort_block_sortIS3_PlS8_PS5_S9_ZN2at6native12_GLOBAL__N_124unique_dim_cuda_templateIbEESt5tupleIJNSA_6TensorESF_SF_EERKSF_lbbbEUlllE_EE10hipError_tT0_T1_T2_T3_mRjT4_P12ihipStream_tbNS1_7vsmem_tEEUlT_E_NS1_11comp_targetILNS1_3genE5ELNS1_11target_archE942ELNS1_3gpuE9ELNS1_3repE0EEENS1_30default_config_static_selectorELNS0_4arch9wavefront6targetE1EEEvSM_
	.p2align	8
	.type	_ZN7rocprim17ROCPRIM_400000_NS6detail17trampoline_kernelINS0_14default_configENS1_37merge_sort_block_sort_config_selectorIlNS0_10empty_typeEEEZNS1_21merge_sort_block_sortIS3_PlS8_PS5_S9_ZN2at6native12_GLOBAL__N_124unique_dim_cuda_templateIbEESt5tupleIJNSA_6TensorESF_SF_EERKSF_lbbbEUlllE_EE10hipError_tT0_T1_T2_T3_mRjT4_P12ihipStream_tbNS1_7vsmem_tEEUlT_E_NS1_11comp_targetILNS1_3genE5ELNS1_11target_archE942ELNS1_3gpuE9ELNS1_3repE0EEENS1_30default_config_static_selectorELNS0_4arch9wavefront6targetE1EEEvSM_,@function
_ZN7rocprim17ROCPRIM_400000_NS6detail17trampoline_kernelINS0_14default_configENS1_37merge_sort_block_sort_config_selectorIlNS0_10empty_typeEEEZNS1_21merge_sort_block_sortIS3_PlS8_PS5_S9_ZN2at6native12_GLOBAL__N_124unique_dim_cuda_templateIbEESt5tupleIJNSA_6TensorESF_SF_EERKSF_lbbbEUlllE_EE10hipError_tT0_T1_T2_T3_mRjT4_P12ihipStream_tbNS1_7vsmem_tEEUlT_E_NS1_11comp_targetILNS1_3genE5ELNS1_11target_archE942ELNS1_3gpuE9ELNS1_3repE0EEENS1_30default_config_static_selectorELNS0_4arch9wavefront6targetE1EEEvSM_: ; @_ZN7rocprim17ROCPRIM_400000_NS6detail17trampoline_kernelINS0_14default_configENS1_37merge_sort_block_sort_config_selectorIlNS0_10empty_typeEEEZNS1_21merge_sort_block_sortIS3_PlS8_PS5_S9_ZN2at6native12_GLOBAL__N_124unique_dim_cuda_templateIbEESt5tupleIJNSA_6TensorESF_SF_EERKSF_lbbbEUlllE_EE10hipError_tT0_T1_T2_T3_mRjT4_P12ihipStream_tbNS1_7vsmem_tEEUlT_E_NS1_11comp_targetILNS1_3genE5ELNS1_11target_archE942ELNS1_3gpuE9ELNS1_3repE0EEENS1_30default_config_static_selectorELNS0_4arch9wavefront6targetE1EEEvSM_
; %bb.0:
	.section	.rodata,"a",@progbits
	.p2align	6, 0x0
	.amdhsa_kernel _ZN7rocprim17ROCPRIM_400000_NS6detail17trampoline_kernelINS0_14default_configENS1_37merge_sort_block_sort_config_selectorIlNS0_10empty_typeEEEZNS1_21merge_sort_block_sortIS3_PlS8_PS5_S9_ZN2at6native12_GLOBAL__N_124unique_dim_cuda_templateIbEESt5tupleIJNSA_6TensorESF_SF_EERKSF_lbbbEUlllE_EE10hipError_tT0_T1_T2_T3_mRjT4_P12ihipStream_tbNS1_7vsmem_tEEUlT_E_NS1_11comp_targetILNS1_3genE5ELNS1_11target_archE942ELNS1_3gpuE9ELNS1_3repE0EEENS1_30default_config_static_selectorELNS0_4arch9wavefront6targetE1EEEvSM_
		.amdhsa_group_segment_fixed_size 0
		.amdhsa_private_segment_fixed_size 0
		.amdhsa_kernarg_size 72
		.amdhsa_user_sgpr_count 2
		.amdhsa_user_sgpr_dispatch_ptr 0
		.amdhsa_user_sgpr_queue_ptr 0
		.amdhsa_user_sgpr_kernarg_segment_ptr 1
		.amdhsa_user_sgpr_dispatch_id 0
		.amdhsa_user_sgpr_kernarg_preload_length 0
		.amdhsa_user_sgpr_kernarg_preload_offset 0
		.amdhsa_user_sgpr_private_segment_size 0
		.amdhsa_uses_dynamic_stack 0
		.amdhsa_enable_private_segment 0
		.amdhsa_system_sgpr_workgroup_id_x 1
		.amdhsa_system_sgpr_workgroup_id_y 0
		.amdhsa_system_sgpr_workgroup_id_z 0
		.amdhsa_system_sgpr_workgroup_info 0
		.amdhsa_system_vgpr_workitem_id 0
		.amdhsa_next_free_vgpr 1
		.amdhsa_next_free_sgpr 0
		.amdhsa_accum_offset 4
		.amdhsa_reserve_vcc 0
		.amdhsa_float_round_mode_32 0
		.amdhsa_float_round_mode_16_64 0
		.amdhsa_float_denorm_mode_32 3
		.amdhsa_float_denorm_mode_16_64 3
		.amdhsa_dx10_clamp 1
		.amdhsa_ieee_mode 1
		.amdhsa_fp16_overflow 0
		.amdhsa_tg_split 0
		.amdhsa_exception_fp_ieee_invalid_op 0
		.amdhsa_exception_fp_denorm_src 0
		.amdhsa_exception_fp_ieee_div_zero 0
		.amdhsa_exception_fp_ieee_overflow 0
		.amdhsa_exception_fp_ieee_underflow 0
		.amdhsa_exception_fp_ieee_inexact 0
		.amdhsa_exception_int_div_zero 0
	.end_amdhsa_kernel
	.section	.text._ZN7rocprim17ROCPRIM_400000_NS6detail17trampoline_kernelINS0_14default_configENS1_37merge_sort_block_sort_config_selectorIlNS0_10empty_typeEEEZNS1_21merge_sort_block_sortIS3_PlS8_PS5_S9_ZN2at6native12_GLOBAL__N_124unique_dim_cuda_templateIbEESt5tupleIJNSA_6TensorESF_SF_EERKSF_lbbbEUlllE_EE10hipError_tT0_T1_T2_T3_mRjT4_P12ihipStream_tbNS1_7vsmem_tEEUlT_E_NS1_11comp_targetILNS1_3genE5ELNS1_11target_archE942ELNS1_3gpuE9ELNS1_3repE0EEENS1_30default_config_static_selectorELNS0_4arch9wavefront6targetE1EEEvSM_,"axG",@progbits,_ZN7rocprim17ROCPRIM_400000_NS6detail17trampoline_kernelINS0_14default_configENS1_37merge_sort_block_sort_config_selectorIlNS0_10empty_typeEEEZNS1_21merge_sort_block_sortIS3_PlS8_PS5_S9_ZN2at6native12_GLOBAL__N_124unique_dim_cuda_templateIbEESt5tupleIJNSA_6TensorESF_SF_EERKSF_lbbbEUlllE_EE10hipError_tT0_T1_T2_T3_mRjT4_P12ihipStream_tbNS1_7vsmem_tEEUlT_E_NS1_11comp_targetILNS1_3genE5ELNS1_11target_archE942ELNS1_3gpuE9ELNS1_3repE0EEENS1_30default_config_static_selectorELNS0_4arch9wavefront6targetE1EEEvSM_,comdat
.Lfunc_end994:
	.size	_ZN7rocprim17ROCPRIM_400000_NS6detail17trampoline_kernelINS0_14default_configENS1_37merge_sort_block_sort_config_selectorIlNS0_10empty_typeEEEZNS1_21merge_sort_block_sortIS3_PlS8_PS5_S9_ZN2at6native12_GLOBAL__N_124unique_dim_cuda_templateIbEESt5tupleIJNSA_6TensorESF_SF_EERKSF_lbbbEUlllE_EE10hipError_tT0_T1_T2_T3_mRjT4_P12ihipStream_tbNS1_7vsmem_tEEUlT_E_NS1_11comp_targetILNS1_3genE5ELNS1_11target_archE942ELNS1_3gpuE9ELNS1_3repE0EEENS1_30default_config_static_selectorELNS0_4arch9wavefront6targetE1EEEvSM_, .Lfunc_end994-_ZN7rocprim17ROCPRIM_400000_NS6detail17trampoline_kernelINS0_14default_configENS1_37merge_sort_block_sort_config_selectorIlNS0_10empty_typeEEEZNS1_21merge_sort_block_sortIS3_PlS8_PS5_S9_ZN2at6native12_GLOBAL__N_124unique_dim_cuda_templateIbEESt5tupleIJNSA_6TensorESF_SF_EERKSF_lbbbEUlllE_EE10hipError_tT0_T1_T2_T3_mRjT4_P12ihipStream_tbNS1_7vsmem_tEEUlT_E_NS1_11comp_targetILNS1_3genE5ELNS1_11target_archE942ELNS1_3gpuE9ELNS1_3repE0EEENS1_30default_config_static_selectorELNS0_4arch9wavefront6targetE1EEEvSM_
                                        ; -- End function
	.set _ZN7rocprim17ROCPRIM_400000_NS6detail17trampoline_kernelINS0_14default_configENS1_37merge_sort_block_sort_config_selectorIlNS0_10empty_typeEEEZNS1_21merge_sort_block_sortIS3_PlS8_PS5_S9_ZN2at6native12_GLOBAL__N_124unique_dim_cuda_templateIbEESt5tupleIJNSA_6TensorESF_SF_EERKSF_lbbbEUlllE_EE10hipError_tT0_T1_T2_T3_mRjT4_P12ihipStream_tbNS1_7vsmem_tEEUlT_E_NS1_11comp_targetILNS1_3genE5ELNS1_11target_archE942ELNS1_3gpuE9ELNS1_3repE0EEENS1_30default_config_static_selectorELNS0_4arch9wavefront6targetE1EEEvSM_.num_vgpr, 0
	.set _ZN7rocprim17ROCPRIM_400000_NS6detail17trampoline_kernelINS0_14default_configENS1_37merge_sort_block_sort_config_selectorIlNS0_10empty_typeEEEZNS1_21merge_sort_block_sortIS3_PlS8_PS5_S9_ZN2at6native12_GLOBAL__N_124unique_dim_cuda_templateIbEESt5tupleIJNSA_6TensorESF_SF_EERKSF_lbbbEUlllE_EE10hipError_tT0_T1_T2_T3_mRjT4_P12ihipStream_tbNS1_7vsmem_tEEUlT_E_NS1_11comp_targetILNS1_3genE5ELNS1_11target_archE942ELNS1_3gpuE9ELNS1_3repE0EEENS1_30default_config_static_selectorELNS0_4arch9wavefront6targetE1EEEvSM_.num_agpr, 0
	.set _ZN7rocprim17ROCPRIM_400000_NS6detail17trampoline_kernelINS0_14default_configENS1_37merge_sort_block_sort_config_selectorIlNS0_10empty_typeEEEZNS1_21merge_sort_block_sortIS3_PlS8_PS5_S9_ZN2at6native12_GLOBAL__N_124unique_dim_cuda_templateIbEESt5tupleIJNSA_6TensorESF_SF_EERKSF_lbbbEUlllE_EE10hipError_tT0_T1_T2_T3_mRjT4_P12ihipStream_tbNS1_7vsmem_tEEUlT_E_NS1_11comp_targetILNS1_3genE5ELNS1_11target_archE942ELNS1_3gpuE9ELNS1_3repE0EEENS1_30default_config_static_selectorELNS0_4arch9wavefront6targetE1EEEvSM_.numbered_sgpr, 0
	.set _ZN7rocprim17ROCPRIM_400000_NS6detail17trampoline_kernelINS0_14default_configENS1_37merge_sort_block_sort_config_selectorIlNS0_10empty_typeEEEZNS1_21merge_sort_block_sortIS3_PlS8_PS5_S9_ZN2at6native12_GLOBAL__N_124unique_dim_cuda_templateIbEESt5tupleIJNSA_6TensorESF_SF_EERKSF_lbbbEUlllE_EE10hipError_tT0_T1_T2_T3_mRjT4_P12ihipStream_tbNS1_7vsmem_tEEUlT_E_NS1_11comp_targetILNS1_3genE5ELNS1_11target_archE942ELNS1_3gpuE9ELNS1_3repE0EEENS1_30default_config_static_selectorELNS0_4arch9wavefront6targetE1EEEvSM_.num_named_barrier, 0
	.set _ZN7rocprim17ROCPRIM_400000_NS6detail17trampoline_kernelINS0_14default_configENS1_37merge_sort_block_sort_config_selectorIlNS0_10empty_typeEEEZNS1_21merge_sort_block_sortIS3_PlS8_PS5_S9_ZN2at6native12_GLOBAL__N_124unique_dim_cuda_templateIbEESt5tupleIJNSA_6TensorESF_SF_EERKSF_lbbbEUlllE_EE10hipError_tT0_T1_T2_T3_mRjT4_P12ihipStream_tbNS1_7vsmem_tEEUlT_E_NS1_11comp_targetILNS1_3genE5ELNS1_11target_archE942ELNS1_3gpuE9ELNS1_3repE0EEENS1_30default_config_static_selectorELNS0_4arch9wavefront6targetE1EEEvSM_.private_seg_size, 0
	.set _ZN7rocprim17ROCPRIM_400000_NS6detail17trampoline_kernelINS0_14default_configENS1_37merge_sort_block_sort_config_selectorIlNS0_10empty_typeEEEZNS1_21merge_sort_block_sortIS3_PlS8_PS5_S9_ZN2at6native12_GLOBAL__N_124unique_dim_cuda_templateIbEESt5tupleIJNSA_6TensorESF_SF_EERKSF_lbbbEUlllE_EE10hipError_tT0_T1_T2_T3_mRjT4_P12ihipStream_tbNS1_7vsmem_tEEUlT_E_NS1_11comp_targetILNS1_3genE5ELNS1_11target_archE942ELNS1_3gpuE9ELNS1_3repE0EEENS1_30default_config_static_selectorELNS0_4arch9wavefront6targetE1EEEvSM_.uses_vcc, 0
	.set _ZN7rocprim17ROCPRIM_400000_NS6detail17trampoline_kernelINS0_14default_configENS1_37merge_sort_block_sort_config_selectorIlNS0_10empty_typeEEEZNS1_21merge_sort_block_sortIS3_PlS8_PS5_S9_ZN2at6native12_GLOBAL__N_124unique_dim_cuda_templateIbEESt5tupleIJNSA_6TensorESF_SF_EERKSF_lbbbEUlllE_EE10hipError_tT0_T1_T2_T3_mRjT4_P12ihipStream_tbNS1_7vsmem_tEEUlT_E_NS1_11comp_targetILNS1_3genE5ELNS1_11target_archE942ELNS1_3gpuE9ELNS1_3repE0EEENS1_30default_config_static_selectorELNS0_4arch9wavefront6targetE1EEEvSM_.uses_flat_scratch, 0
	.set _ZN7rocprim17ROCPRIM_400000_NS6detail17trampoline_kernelINS0_14default_configENS1_37merge_sort_block_sort_config_selectorIlNS0_10empty_typeEEEZNS1_21merge_sort_block_sortIS3_PlS8_PS5_S9_ZN2at6native12_GLOBAL__N_124unique_dim_cuda_templateIbEESt5tupleIJNSA_6TensorESF_SF_EERKSF_lbbbEUlllE_EE10hipError_tT0_T1_T2_T3_mRjT4_P12ihipStream_tbNS1_7vsmem_tEEUlT_E_NS1_11comp_targetILNS1_3genE5ELNS1_11target_archE942ELNS1_3gpuE9ELNS1_3repE0EEENS1_30default_config_static_selectorELNS0_4arch9wavefront6targetE1EEEvSM_.has_dyn_sized_stack, 0
	.set _ZN7rocprim17ROCPRIM_400000_NS6detail17trampoline_kernelINS0_14default_configENS1_37merge_sort_block_sort_config_selectorIlNS0_10empty_typeEEEZNS1_21merge_sort_block_sortIS3_PlS8_PS5_S9_ZN2at6native12_GLOBAL__N_124unique_dim_cuda_templateIbEESt5tupleIJNSA_6TensorESF_SF_EERKSF_lbbbEUlllE_EE10hipError_tT0_T1_T2_T3_mRjT4_P12ihipStream_tbNS1_7vsmem_tEEUlT_E_NS1_11comp_targetILNS1_3genE5ELNS1_11target_archE942ELNS1_3gpuE9ELNS1_3repE0EEENS1_30default_config_static_selectorELNS0_4arch9wavefront6targetE1EEEvSM_.has_recursion, 0
	.set _ZN7rocprim17ROCPRIM_400000_NS6detail17trampoline_kernelINS0_14default_configENS1_37merge_sort_block_sort_config_selectorIlNS0_10empty_typeEEEZNS1_21merge_sort_block_sortIS3_PlS8_PS5_S9_ZN2at6native12_GLOBAL__N_124unique_dim_cuda_templateIbEESt5tupleIJNSA_6TensorESF_SF_EERKSF_lbbbEUlllE_EE10hipError_tT0_T1_T2_T3_mRjT4_P12ihipStream_tbNS1_7vsmem_tEEUlT_E_NS1_11comp_targetILNS1_3genE5ELNS1_11target_archE942ELNS1_3gpuE9ELNS1_3repE0EEENS1_30default_config_static_selectorELNS0_4arch9wavefront6targetE1EEEvSM_.has_indirect_call, 0
	.section	.AMDGPU.csdata,"",@progbits
; Kernel info:
; codeLenInByte = 0
; TotalNumSgprs: 6
; NumVgprs: 0
; NumAgprs: 0
; TotalNumVgprs: 0
; ScratchSize: 0
; MemoryBound: 0
; FloatMode: 240
; IeeeMode: 1
; LDSByteSize: 0 bytes/workgroup (compile time only)
; SGPRBlocks: 0
; VGPRBlocks: 0
; NumSGPRsForWavesPerEU: 6
; NumVGPRsForWavesPerEU: 1
; AccumOffset: 4
; Occupancy: 8
; WaveLimiterHint : 0
; COMPUTE_PGM_RSRC2:SCRATCH_EN: 0
; COMPUTE_PGM_RSRC2:USER_SGPR: 2
; COMPUTE_PGM_RSRC2:TRAP_HANDLER: 0
; COMPUTE_PGM_RSRC2:TGID_X_EN: 1
; COMPUTE_PGM_RSRC2:TGID_Y_EN: 0
; COMPUTE_PGM_RSRC2:TGID_Z_EN: 0
; COMPUTE_PGM_RSRC2:TIDIG_COMP_CNT: 0
; COMPUTE_PGM_RSRC3_GFX90A:ACCUM_OFFSET: 0
; COMPUTE_PGM_RSRC3_GFX90A:TG_SPLIT: 0
	.section	.text._ZN7rocprim17ROCPRIM_400000_NS6detail17trampoline_kernelINS0_14default_configENS1_37merge_sort_block_sort_config_selectorIlNS0_10empty_typeEEEZNS1_21merge_sort_block_sortIS3_PlS8_PS5_S9_ZN2at6native12_GLOBAL__N_124unique_dim_cuda_templateIbEESt5tupleIJNSA_6TensorESF_SF_EERKSF_lbbbEUlllE_EE10hipError_tT0_T1_T2_T3_mRjT4_P12ihipStream_tbNS1_7vsmem_tEEUlT_E_NS1_11comp_targetILNS1_3genE4ELNS1_11target_archE910ELNS1_3gpuE8ELNS1_3repE0EEENS1_30default_config_static_selectorELNS0_4arch9wavefront6targetE1EEEvSM_,"axG",@progbits,_ZN7rocprim17ROCPRIM_400000_NS6detail17trampoline_kernelINS0_14default_configENS1_37merge_sort_block_sort_config_selectorIlNS0_10empty_typeEEEZNS1_21merge_sort_block_sortIS3_PlS8_PS5_S9_ZN2at6native12_GLOBAL__N_124unique_dim_cuda_templateIbEESt5tupleIJNSA_6TensorESF_SF_EERKSF_lbbbEUlllE_EE10hipError_tT0_T1_T2_T3_mRjT4_P12ihipStream_tbNS1_7vsmem_tEEUlT_E_NS1_11comp_targetILNS1_3genE4ELNS1_11target_archE910ELNS1_3gpuE8ELNS1_3repE0EEENS1_30default_config_static_selectorELNS0_4arch9wavefront6targetE1EEEvSM_,comdat
	.globl	_ZN7rocprim17ROCPRIM_400000_NS6detail17trampoline_kernelINS0_14default_configENS1_37merge_sort_block_sort_config_selectorIlNS0_10empty_typeEEEZNS1_21merge_sort_block_sortIS3_PlS8_PS5_S9_ZN2at6native12_GLOBAL__N_124unique_dim_cuda_templateIbEESt5tupleIJNSA_6TensorESF_SF_EERKSF_lbbbEUlllE_EE10hipError_tT0_T1_T2_T3_mRjT4_P12ihipStream_tbNS1_7vsmem_tEEUlT_E_NS1_11comp_targetILNS1_3genE4ELNS1_11target_archE910ELNS1_3gpuE8ELNS1_3repE0EEENS1_30default_config_static_selectorELNS0_4arch9wavefront6targetE1EEEvSM_ ; -- Begin function _ZN7rocprim17ROCPRIM_400000_NS6detail17trampoline_kernelINS0_14default_configENS1_37merge_sort_block_sort_config_selectorIlNS0_10empty_typeEEEZNS1_21merge_sort_block_sortIS3_PlS8_PS5_S9_ZN2at6native12_GLOBAL__N_124unique_dim_cuda_templateIbEESt5tupleIJNSA_6TensorESF_SF_EERKSF_lbbbEUlllE_EE10hipError_tT0_T1_T2_T3_mRjT4_P12ihipStream_tbNS1_7vsmem_tEEUlT_E_NS1_11comp_targetILNS1_3genE4ELNS1_11target_archE910ELNS1_3gpuE8ELNS1_3repE0EEENS1_30default_config_static_selectorELNS0_4arch9wavefront6targetE1EEEvSM_
	.p2align	8
	.type	_ZN7rocprim17ROCPRIM_400000_NS6detail17trampoline_kernelINS0_14default_configENS1_37merge_sort_block_sort_config_selectorIlNS0_10empty_typeEEEZNS1_21merge_sort_block_sortIS3_PlS8_PS5_S9_ZN2at6native12_GLOBAL__N_124unique_dim_cuda_templateIbEESt5tupleIJNSA_6TensorESF_SF_EERKSF_lbbbEUlllE_EE10hipError_tT0_T1_T2_T3_mRjT4_P12ihipStream_tbNS1_7vsmem_tEEUlT_E_NS1_11comp_targetILNS1_3genE4ELNS1_11target_archE910ELNS1_3gpuE8ELNS1_3repE0EEENS1_30default_config_static_selectorELNS0_4arch9wavefront6targetE1EEEvSM_,@function
_ZN7rocprim17ROCPRIM_400000_NS6detail17trampoline_kernelINS0_14default_configENS1_37merge_sort_block_sort_config_selectorIlNS0_10empty_typeEEEZNS1_21merge_sort_block_sortIS3_PlS8_PS5_S9_ZN2at6native12_GLOBAL__N_124unique_dim_cuda_templateIbEESt5tupleIJNSA_6TensorESF_SF_EERKSF_lbbbEUlllE_EE10hipError_tT0_T1_T2_T3_mRjT4_P12ihipStream_tbNS1_7vsmem_tEEUlT_E_NS1_11comp_targetILNS1_3genE4ELNS1_11target_archE910ELNS1_3gpuE8ELNS1_3repE0EEENS1_30default_config_static_selectorELNS0_4arch9wavefront6targetE1EEEvSM_: ; @_ZN7rocprim17ROCPRIM_400000_NS6detail17trampoline_kernelINS0_14default_configENS1_37merge_sort_block_sort_config_selectorIlNS0_10empty_typeEEEZNS1_21merge_sort_block_sortIS3_PlS8_PS5_S9_ZN2at6native12_GLOBAL__N_124unique_dim_cuda_templateIbEESt5tupleIJNSA_6TensorESF_SF_EERKSF_lbbbEUlllE_EE10hipError_tT0_T1_T2_T3_mRjT4_P12ihipStream_tbNS1_7vsmem_tEEUlT_E_NS1_11comp_targetILNS1_3genE4ELNS1_11target_archE910ELNS1_3gpuE8ELNS1_3repE0EEENS1_30default_config_static_selectorELNS0_4arch9wavefront6targetE1EEEvSM_
; %bb.0:
	.section	.rodata,"a",@progbits
	.p2align	6, 0x0
	.amdhsa_kernel _ZN7rocprim17ROCPRIM_400000_NS6detail17trampoline_kernelINS0_14default_configENS1_37merge_sort_block_sort_config_selectorIlNS0_10empty_typeEEEZNS1_21merge_sort_block_sortIS3_PlS8_PS5_S9_ZN2at6native12_GLOBAL__N_124unique_dim_cuda_templateIbEESt5tupleIJNSA_6TensorESF_SF_EERKSF_lbbbEUlllE_EE10hipError_tT0_T1_T2_T3_mRjT4_P12ihipStream_tbNS1_7vsmem_tEEUlT_E_NS1_11comp_targetILNS1_3genE4ELNS1_11target_archE910ELNS1_3gpuE8ELNS1_3repE0EEENS1_30default_config_static_selectorELNS0_4arch9wavefront6targetE1EEEvSM_
		.amdhsa_group_segment_fixed_size 0
		.amdhsa_private_segment_fixed_size 0
		.amdhsa_kernarg_size 72
		.amdhsa_user_sgpr_count 2
		.amdhsa_user_sgpr_dispatch_ptr 0
		.amdhsa_user_sgpr_queue_ptr 0
		.amdhsa_user_sgpr_kernarg_segment_ptr 1
		.amdhsa_user_sgpr_dispatch_id 0
		.amdhsa_user_sgpr_kernarg_preload_length 0
		.amdhsa_user_sgpr_kernarg_preload_offset 0
		.amdhsa_user_sgpr_private_segment_size 0
		.amdhsa_uses_dynamic_stack 0
		.amdhsa_enable_private_segment 0
		.amdhsa_system_sgpr_workgroup_id_x 1
		.amdhsa_system_sgpr_workgroup_id_y 0
		.amdhsa_system_sgpr_workgroup_id_z 0
		.amdhsa_system_sgpr_workgroup_info 0
		.amdhsa_system_vgpr_workitem_id 0
		.amdhsa_next_free_vgpr 1
		.amdhsa_next_free_sgpr 0
		.amdhsa_accum_offset 4
		.amdhsa_reserve_vcc 0
		.amdhsa_float_round_mode_32 0
		.amdhsa_float_round_mode_16_64 0
		.amdhsa_float_denorm_mode_32 3
		.amdhsa_float_denorm_mode_16_64 3
		.amdhsa_dx10_clamp 1
		.amdhsa_ieee_mode 1
		.amdhsa_fp16_overflow 0
		.amdhsa_tg_split 0
		.amdhsa_exception_fp_ieee_invalid_op 0
		.amdhsa_exception_fp_denorm_src 0
		.amdhsa_exception_fp_ieee_div_zero 0
		.amdhsa_exception_fp_ieee_overflow 0
		.amdhsa_exception_fp_ieee_underflow 0
		.amdhsa_exception_fp_ieee_inexact 0
		.amdhsa_exception_int_div_zero 0
	.end_amdhsa_kernel
	.section	.text._ZN7rocprim17ROCPRIM_400000_NS6detail17trampoline_kernelINS0_14default_configENS1_37merge_sort_block_sort_config_selectorIlNS0_10empty_typeEEEZNS1_21merge_sort_block_sortIS3_PlS8_PS5_S9_ZN2at6native12_GLOBAL__N_124unique_dim_cuda_templateIbEESt5tupleIJNSA_6TensorESF_SF_EERKSF_lbbbEUlllE_EE10hipError_tT0_T1_T2_T3_mRjT4_P12ihipStream_tbNS1_7vsmem_tEEUlT_E_NS1_11comp_targetILNS1_3genE4ELNS1_11target_archE910ELNS1_3gpuE8ELNS1_3repE0EEENS1_30default_config_static_selectorELNS0_4arch9wavefront6targetE1EEEvSM_,"axG",@progbits,_ZN7rocprim17ROCPRIM_400000_NS6detail17trampoline_kernelINS0_14default_configENS1_37merge_sort_block_sort_config_selectorIlNS0_10empty_typeEEEZNS1_21merge_sort_block_sortIS3_PlS8_PS5_S9_ZN2at6native12_GLOBAL__N_124unique_dim_cuda_templateIbEESt5tupleIJNSA_6TensorESF_SF_EERKSF_lbbbEUlllE_EE10hipError_tT0_T1_T2_T3_mRjT4_P12ihipStream_tbNS1_7vsmem_tEEUlT_E_NS1_11comp_targetILNS1_3genE4ELNS1_11target_archE910ELNS1_3gpuE8ELNS1_3repE0EEENS1_30default_config_static_selectorELNS0_4arch9wavefront6targetE1EEEvSM_,comdat
.Lfunc_end995:
	.size	_ZN7rocprim17ROCPRIM_400000_NS6detail17trampoline_kernelINS0_14default_configENS1_37merge_sort_block_sort_config_selectorIlNS0_10empty_typeEEEZNS1_21merge_sort_block_sortIS3_PlS8_PS5_S9_ZN2at6native12_GLOBAL__N_124unique_dim_cuda_templateIbEESt5tupleIJNSA_6TensorESF_SF_EERKSF_lbbbEUlllE_EE10hipError_tT0_T1_T2_T3_mRjT4_P12ihipStream_tbNS1_7vsmem_tEEUlT_E_NS1_11comp_targetILNS1_3genE4ELNS1_11target_archE910ELNS1_3gpuE8ELNS1_3repE0EEENS1_30default_config_static_selectorELNS0_4arch9wavefront6targetE1EEEvSM_, .Lfunc_end995-_ZN7rocprim17ROCPRIM_400000_NS6detail17trampoline_kernelINS0_14default_configENS1_37merge_sort_block_sort_config_selectorIlNS0_10empty_typeEEEZNS1_21merge_sort_block_sortIS3_PlS8_PS5_S9_ZN2at6native12_GLOBAL__N_124unique_dim_cuda_templateIbEESt5tupleIJNSA_6TensorESF_SF_EERKSF_lbbbEUlllE_EE10hipError_tT0_T1_T2_T3_mRjT4_P12ihipStream_tbNS1_7vsmem_tEEUlT_E_NS1_11comp_targetILNS1_3genE4ELNS1_11target_archE910ELNS1_3gpuE8ELNS1_3repE0EEENS1_30default_config_static_selectorELNS0_4arch9wavefront6targetE1EEEvSM_
                                        ; -- End function
	.set _ZN7rocprim17ROCPRIM_400000_NS6detail17trampoline_kernelINS0_14default_configENS1_37merge_sort_block_sort_config_selectorIlNS0_10empty_typeEEEZNS1_21merge_sort_block_sortIS3_PlS8_PS5_S9_ZN2at6native12_GLOBAL__N_124unique_dim_cuda_templateIbEESt5tupleIJNSA_6TensorESF_SF_EERKSF_lbbbEUlllE_EE10hipError_tT0_T1_T2_T3_mRjT4_P12ihipStream_tbNS1_7vsmem_tEEUlT_E_NS1_11comp_targetILNS1_3genE4ELNS1_11target_archE910ELNS1_3gpuE8ELNS1_3repE0EEENS1_30default_config_static_selectorELNS0_4arch9wavefront6targetE1EEEvSM_.num_vgpr, 0
	.set _ZN7rocprim17ROCPRIM_400000_NS6detail17trampoline_kernelINS0_14default_configENS1_37merge_sort_block_sort_config_selectorIlNS0_10empty_typeEEEZNS1_21merge_sort_block_sortIS3_PlS8_PS5_S9_ZN2at6native12_GLOBAL__N_124unique_dim_cuda_templateIbEESt5tupleIJNSA_6TensorESF_SF_EERKSF_lbbbEUlllE_EE10hipError_tT0_T1_T2_T3_mRjT4_P12ihipStream_tbNS1_7vsmem_tEEUlT_E_NS1_11comp_targetILNS1_3genE4ELNS1_11target_archE910ELNS1_3gpuE8ELNS1_3repE0EEENS1_30default_config_static_selectorELNS0_4arch9wavefront6targetE1EEEvSM_.num_agpr, 0
	.set _ZN7rocprim17ROCPRIM_400000_NS6detail17trampoline_kernelINS0_14default_configENS1_37merge_sort_block_sort_config_selectorIlNS0_10empty_typeEEEZNS1_21merge_sort_block_sortIS3_PlS8_PS5_S9_ZN2at6native12_GLOBAL__N_124unique_dim_cuda_templateIbEESt5tupleIJNSA_6TensorESF_SF_EERKSF_lbbbEUlllE_EE10hipError_tT0_T1_T2_T3_mRjT4_P12ihipStream_tbNS1_7vsmem_tEEUlT_E_NS1_11comp_targetILNS1_3genE4ELNS1_11target_archE910ELNS1_3gpuE8ELNS1_3repE0EEENS1_30default_config_static_selectorELNS0_4arch9wavefront6targetE1EEEvSM_.numbered_sgpr, 0
	.set _ZN7rocprim17ROCPRIM_400000_NS6detail17trampoline_kernelINS0_14default_configENS1_37merge_sort_block_sort_config_selectorIlNS0_10empty_typeEEEZNS1_21merge_sort_block_sortIS3_PlS8_PS5_S9_ZN2at6native12_GLOBAL__N_124unique_dim_cuda_templateIbEESt5tupleIJNSA_6TensorESF_SF_EERKSF_lbbbEUlllE_EE10hipError_tT0_T1_T2_T3_mRjT4_P12ihipStream_tbNS1_7vsmem_tEEUlT_E_NS1_11comp_targetILNS1_3genE4ELNS1_11target_archE910ELNS1_3gpuE8ELNS1_3repE0EEENS1_30default_config_static_selectorELNS0_4arch9wavefront6targetE1EEEvSM_.num_named_barrier, 0
	.set _ZN7rocprim17ROCPRIM_400000_NS6detail17trampoline_kernelINS0_14default_configENS1_37merge_sort_block_sort_config_selectorIlNS0_10empty_typeEEEZNS1_21merge_sort_block_sortIS3_PlS8_PS5_S9_ZN2at6native12_GLOBAL__N_124unique_dim_cuda_templateIbEESt5tupleIJNSA_6TensorESF_SF_EERKSF_lbbbEUlllE_EE10hipError_tT0_T1_T2_T3_mRjT4_P12ihipStream_tbNS1_7vsmem_tEEUlT_E_NS1_11comp_targetILNS1_3genE4ELNS1_11target_archE910ELNS1_3gpuE8ELNS1_3repE0EEENS1_30default_config_static_selectorELNS0_4arch9wavefront6targetE1EEEvSM_.private_seg_size, 0
	.set _ZN7rocprim17ROCPRIM_400000_NS6detail17trampoline_kernelINS0_14default_configENS1_37merge_sort_block_sort_config_selectorIlNS0_10empty_typeEEEZNS1_21merge_sort_block_sortIS3_PlS8_PS5_S9_ZN2at6native12_GLOBAL__N_124unique_dim_cuda_templateIbEESt5tupleIJNSA_6TensorESF_SF_EERKSF_lbbbEUlllE_EE10hipError_tT0_T1_T2_T3_mRjT4_P12ihipStream_tbNS1_7vsmem_tEEUlT_E_NS1_11comp_targetILNS1_3genE4ELNS1_11target_archE910ELNS1_3gpuE8ELNS1_3repE0EEENS1_30default_config_static_selectorELNS0_4arch9wavefront6targetE1EEEvSM_.uses_vcc, 0
	.set _ZN7rocprim17ROCPRIM_400000_NS6detail17trampoline_kernelINS0_14default_configENS1_37merge_sort_block_sort_config_selectorIlNS0_10empty_typeEEEZNS1_21merge_sort_block_sortIS3_PlS8_PS5_S9_ZN2at6native12_GLOBAL__N_124unique_dim_cuda_templateIbEESt5tupleIJNSA_6TensorESF_SF_EERKSF_lbbbEUlllE_EE10hipError_tT0_T1_T2_T3_mRjT4_P12ihipStream_tbNS1_7vsmem_tEEUlT_E_NS1_11comp_targetILNS1_3genE4ELNS1_11target_archE910ELNS1_3gpuE8ELNS1_3repE0EEENS1_30default_config_static_selectorELNS0_4arch9wavefront6targetE1EEEvSM_.uses_flat_scratch, 0
	.set _ZN7rocprim17ROCPRIM_400000_NS6detail17trampoline_kernelINS0_14default_configENS1_37merge_sort_block_sort_config_selectorIlNS0_10empty_typeEEEZNS1_21merge_sort_block_sortIS3_PlS8_PS5_S9_ZN2at6native12_GLOBAL__N_124unique_dim_cuda_templateIbEESt5tupleIJNSA_6TensorESF_SF_EERKSF_lbbbEUlllE_EE10hipError_tT0_T1_T2_T3_mRjT4_P12ihipStream_tbNS1_7vsmem_tEEUlT_E_NS1_11comp_targetILNS1_3genE4ELNS1_11target_archE910ELNS1_3gpuE8ELNS1_3repE0EEENS1_30default_config_static_selectorELNS0_4arch9wavefront6targetE1EEEvSM_.has_dyn_sized_stack, 0
	.set _ZN7rocprim17ROCPRIM_400000_NS6detail17trampoline_kernelINS0_14default_configENS1_37merge_sort_block_sort_config_selectorIlNS0_10empty_typeEEEZNS1_21merge_sort_block_sortIS3_PlS8_PS5_S9_ZN2at6native12_GLOBAL__N_124unique_dim_cuda_templateIbEESt5tupleIJNSA_6TensorESF_SF_EERKSF_lbbbEUlllE_EE10hipError_tT0_T1_T2_T3_mRjT4_P12ihipStream_tbNS1_7vsmem_tEEUlT_E_NS1_11comp_targetILNS1_3genE4ELNS1_11target_archE910ELNS1_3gpuE8ELNS1_3repE0EEENS1_30default_config_static_selectorELNS0_4arch9wavefront6targetE1EEEvSM_.has_recursion, 0
	.set _ZN7rocprim17ROCPRIM_400000_NS6detail17trampoline_kernelINS0_14default_configENS1_37merge_sort_block_sort_config_selectorIlNS0_10empty_typeEEEZNS1_21merge_sort_block_sortIS3_PlS8_PS5_S9_ZN2at6native12_GLOBAL__N_124unique_dim_cuda_templateIbEESt5tupleIJNSA_6TensorESF_SF_EERKSF_lbbbEUlllE_EE10hipError_tT0_T1_T2_T3_mRjT4_P12ihipStream_tbNS1_7vsmem_tEEUlT_E_NS1_11comp_targetILNS1_3genE4ELNS1_11target_archE910ELNS1_3gpuE8ELNS1_3repE0EEENS1_30default_config_static_selectorELNS0_4arch9wavefront6targetE1EEEvSM_.has_indirect_call, 0
	.section	.AMDGPU.csdata,"",@progbits
; Kernel info:
; codeLenInByte = 0
; TotalNumSgprs: 6
; NumVgprs: 0
; NumAgprs: 0
; TotalNumVgprs: 0
; ScratchSize: 0
; MemoryBound: 0
; FloatMode: 240
; IeeeMode: 1
; LDSByteSize: 0 bytes/workgroup (compile time only)
; SGPRBlocks: 0
; VGPRBlocks: 0
; NumSGPRsForWavesPerEU: 6
; NumVGPRsForWavesPerEU: 1
; AccumOffset: 4
; Occupancy: 8
; WaveLimiterHint : 0
; COMPUTE_PGM_RSRC2:SCRATCH_EN: 0
; COMPUTE_PGM_RSRC2:USER_SGPR: 2
; COMPUTE_PGM_RSRC2:TRAP_HANDLER: 0
; COMPUTE_PGM_RSRC2:TGID_X_EN: 1
; COMPUTE_PGM_RSRC2:TGID_Y_EN: 0
; COMPUTE_PGM_RSRC2:TGID_Z_EN: 0
; COMPUTE_PGM_RSRC2:TIDIG_COMP_CNT: 0
; COMPUTE_PGM_RSRC3_GFX90A:ACCUM_OFFSET: 0
; COMPUTE_PGM_RSRC3_GFX90A:TG_SPLIT: 0
	.section	.text._ZN7rocprim17ROCPRIM_400000_NS6detail17trampoline_kernelINS0_14default_configENS1_37merge_sort_block_sort_config_selectorIlNS0_10empty_typeEEEZNS1_21merge_sort_block_sortIS3_PlS8_PS5_S9_ZN2at6native12_GLOBAL__N_124unique_dim_cuda_templateIbEESt5tupleIJNSA_6TensorESF_SF_EERKSF_lbbbEUlllE_EE10hipError_tT0_T1_T2_T3_mRjT4_P12ihipStream_tbNS1_7vsmem_tEEUlT_E_NS1_11comp_targetILNS1_3genE3ELNS1_11target_archE908ELNS1_3gpuE7ELNS1_3repE0EEENS1_30default_config_static_selectorELNS0_4arch9wavefront6targetE1EEEvSM_,"axG",@progbits,_ZN7rocprim17ROCPRIM_400000_NS6detail17trampoline_kernelINS0_14default_configENS1_37merge_sort_block_sort_config_selectorIlNS0_10empty_typeEEEZNS1_21merge_sort_block_sortIS3_PlS8_PS5_S9_ZN2at6native12_GLOBAL__N_124unique_dim_cuda_templateIbEESt5tupleIJNSA_6TensorESF_SF_EERKSF_lbbbEUlllE_EE10hipError_tT0_T1_T2_T3_mRjT4_P12ihipStream_tbNS1_7vsmem_tEEUlT_E_NS1_11comp_targetILNS1_3genE3ELNS1_11target_archE908ELNS1_3gpuE7ELNS1_3repE0EEENS1_30default_config_static_selectorELNS0_4arch9wavefront6targetE1EEEvSM_,comdat
	.globl	_ZN7rocprim17ROCPRIM_400000_NS6detail17trampoline_kernelINS0_14default_configENS1_37merge_sort_block_sort_config_selectorIlNS0_10empty_typeEEEZNS1_21merge_sort_block_sortIS3_PlS8_PS5_S9_ZN2at6native12_GLOBAL__N_124unique_dim_cuda_templateIbEESt5tupleIJNSA_6TensorESF_SF_EERKSF_lbbbEUlllE_EE10hipError_tT0_T1_T2_T3_mRjT4_P12ihipStream_tbNS1_7vsmem_tEEUlT_E_NS1_11comp_targetILNS1_3genE3ELNS1_11target_archE908ELNS1_3gpuE7ELNS1_3repE0EEENS1_30default_config_static_selectorELNS0_4arch9wavefront6targetE1EEEvSM_ ; -- Begin function _ZN7rocprim17ROCPRIM_400000_NS6detail17trampoline_kernelINS0_14default_configENS1_37merge_sort_block_sort_config_selectorIlNS0_10empty_typeEEEZNS1_21merge_sort_block_sortIS3_PlS8_PS5_S9_ZN2at6native12_GLOBAL__N_124unique_dim_cuda_templateIbEESt5tupleIJNSA_6TensorESF_SF_EERKSF_lbbbEUlllE_EE10hipError_tT0_T1_T2_T3_mRjT4_P12ihipStream_tbNS1_7vsmem_tEEUlT_E_NS1_11comp_targetILNS1_3genE3ELNS1_11target_archE908ELNS1_3gpuE7ELNS1_3repE0EEENS1_30default_config_static_selectorELNS0_4arch9wavefront6targetE1EEEvSM_
	.p2align	8
	.type	_ZN7rocprim17ROCPRIM_400000_NS6detail17trampoline_kernelINS0_14default_configENS1_37merge_sort_block_sort_config_selectorIlNS0_10empty_typeEEEZNS1_21merge_sort_block_sortIS3_PlS8_PS5_S9_ZN2at6native12_GLOBAL__N_124unique_dim_cuda_templateIbEESt5tupleIJNSA_6TensorESF_SF_EERKSF_lbbbEUlllE_EE10hipError_tT0_T1_T2_T3_mRjT4_P12ihipStream_tbNS1_7vsmem_tEEUlT_E_NS1_11comp_targetILNS1_3genE3ELNS1_11target_archE908ELNS1_3gpuE7ELNS1_3repE0EEENS1_30default_config_static_selectorELNS0_4arch9wavefront6targetE1EEEvSM_,@function
_ZN7rocprim17ROCPRIM_400000_NS6detail17trampoline_kernelINS0_14default_configENS1_37merge_sort_block_sort_config_selectorIlNS0_10empty_typeEEEZNS1_21merge_sort_block_sortIS3_PlS8_PS5_S9_ZN2at6native12_GLOBAL__N_124unique_dim_cuda_templateIbEESt5tupleIJNSA_6TensorESF_SF_EERKSF_lbbbEUlllE_EE10hipError_tT0_T1_T2_T3_mRjT4_P12ihipStream_tbNS1_7vsmem_tEEUlT_E_NS1_11comp_targetILNS1_3genE3ELNS1_11target_archE908ELNS1_3gpuE7ELNS1_3repE0EEENS1_30default_config_static_selectorELNS0_4arch9wavefront6targetE1EEEvSM_: ; @_ZN7rocprim17ROCPRIM_400000_NS6detail17trampoline_kernelINS0_14default_configENS1_37merge_sort_block_sort_config_selectorIlNS0_10empty_typeEEEZNS1_21merge_sort_block_sortIS3_PlS8_PS5_S9_ZN2at6native12_GLOBAL__N_124unique_dim_cuda_templateIbEESt5tupleIJNSA_6TensorESF_SF_EERKSF_lbbbEUlllE_EE10hipError_tT0_T1_T2_T3_mRjT4_P12ihipStream_tbNS1_7vsmem_tEEUlT_E_NS1_11comp_targetILNS1_3genE3ELNS1_11target_archE908ELNS1_3gpuE7ELNS1_3repE0EEENS1_30default_config_static_selectorELNS0_4arch9wavefront6targetE1EEEvSM_
; %bb.0:
	.section	.rodata,"a",@progbits
	.p2align	6, 0x0
	.amdhsa_kernel _ZN7rocprim17ROCPRIM_400000_NS6detail17trampoline_kernelINS0_14default_configENS1_37merge_sort_block_sort_config_selectorIlNS0_10empty_typeEEEZNS1_21merge_sort_block_sortIS3_PlS8_PS5_S9_ZN2at6native12_GLOBAL__N_124unique_dim_cuda_templateIbEESt5tupleIJNSA_6TensorESF_SF_EERKSF_lbbbEUlllE_EE10hipError_tT0_T1_T2_T3_mRjT4_P12ihipStream_tbNS1_7vsmem_tEEUlT_E_NS1_11comp_targetILNS1_3genE3ELNS1_11target_archE908ELNS1_3gpuE7ELNS1_3repE0EEENS1_30default_config_static_selectorELNS0_4arch9wavefront6targetE1EEEvSM_
		.amdhsa_group_segment_fixed_size 0
		.amdhsa_private_segment_fixed_size 0
		.amdhsa_kernarg_size 72
		.amdhsa_user_sgpr_count 2
		.amdhsa_user_sgpr_dispatch_ptr 0
		.amdhsa_user_sgpr_queue_ptr 0
		.amdhsa_user_sgpr_kernarg_segment_ptr 1
		.amdhsa_user_sgpr_dispatch_id 0
		.amdhsa_user_sgpr_kernarg_preload_length 0
		.amdhsa_user_sgpr_kernarg_preload_offset 0
		.amdhsa_user_sgpr_private_segment_size 0
		.amdhsa_uses_dynamic_stack 0
		.amdhsa_enable_private_segment 0
		.amdhsa_system_sgpr_workgroup_id_x 1
		.amdhsa_system_sgpr_workgroup_id_y 0
		.amdhsa_system_sgpr_workgroup_id_z 0
		.amdhsa_system_sgpr_workgroup_info 0
		.amdhsa_system_vgpr_workitem_id 0
		.amdhsa_next_free_vgpr 1
		.amdhsa_next_free_sgpr 0
		.amdhsa_accum_offset 4
		.amdhsa_reserve_vcc 0
		.amdhsa_float_round_mode_32 0
		.amdhsa_float_round_mode_16_64 0
		.amdhsa_float_denorm_mode_32 3
		.amdhsa_float_denorm_mode_16_64 3
		.amdhsa_dx10_clamp 1
		.amdhsa_ieee_mode 1
		.amdhsa_fp16_overflow 0
		.amdhsa_tg_split 0
		.amdhsa_exception_fp_ieee_invalid_op 0
		.amdhsa_exception_fp_denorm_src 0
		.amdhsa_exception_fp_ieee_div_zero 0
		.amdhsa_exception_fp_ieee_overflow 0
		.amdhsa_exception_fp_ieee_underflow 0
		.amdhsa_exception_fp_ieee_inexact 0
		.amdhsa_exception_int_div_zero 0
	.end_amdhsa_kernel
	.section	.text._ZN7rocprim17ROCPRIM_400000_NS6detail17trampoline_kernelINS0_14default_configENS1_37merge_sort_block_sort_config_selectorIlNS0_10empty_typeEEEZNS1_21merge_sort_block_sortIS3_PlS8_PS5_S9_ZN2at6native12_GLOBAL__N_124unique_dim_cuda_templateIbEESt5tupleIJNSA_6TensorESF_SF_EERKSF_lbbbEUlllE_EE10hipError_tT0_T1_T2_T3_mRjT4_P12ihipStream_tbNS1_7vsmem_tEEUlT_E_NS1_11comp_targetILNS1_3genE3ELNS1_11target_archE908ELNS1_3gpuE7ELNS1_3repE0EEENS1_30default_config_static_selectorELNS0_4arch9wavefront6targetE1EEEvSM_,"axG",@progbits,_ZN7rocprim17ROCPRIM_400000_NS6detail17trampoline_kernelINS0_14default_configENS1_37merge_sort_block_sort_config_selectorIlNS0_10empty_typeEEEZNS1_21merge_sort_block_sortIS3_PlS8_PS5_S9_ZN2at6native12_GLOBAL__N_124unique_dim_cuda_templateIbEESt5tupleIJNSA_6TensorESF_SF_EERKSF_lbbbEUlllE_EE10hipError_tT0_T1_T2_T3_mRjT4_P12ihipStream_tbNS1_7vsmem_tEEUlT_E_NS1_11comp_targetILNS1_3genE3ELNS1_11target_archE908ELNS1_3gpuE7ELNS1_3repE0EEENS1_30default_config_static_selectorELNS0_4arch9wavefront6targetE1EEEvSM_,comdat
.Lfunc_end996:
	.size	_ZN7rocprim17ROCPRIM_400000_NS6detail17trampoline_kernelINS0_14default_configENS1_37merge_sort_block_sort_config_selectorIlNS0_10empty_typeEEEZNS1_21merge_sort_block_sortIS3_PlS8_PS5_S9_ZN2at6native12_GLOBAL__N_124unique_dim_cuda_templateIbEESt5tupleIJNSA_6TensorESF_SF_EERKSF_lbbbEUlllE_EE10hipError_tT0_T1_T2_T3_mRjT4_P12ihipStream_tbNS1_7vsmem_tEEUlT_E_NS1_11comp_targetILNS1_3genE3ELNS1_11target_archE908ELNS1_3gpuE7ELNS1_3repE0EEENS1_30default_config_static_selectorELNS0_4arch9wavefront6targetE1EEEvSM_, .Lfunc_end996-_ZN7rocprim17ROCPRIM_400000_NS6detail17trampoline_kernelINS0_14default_configENS1_37merge_sort_block_sort_config_selectorIlNS0_10empty_typeEEEZNS1_21merge_sort_block_sortIS3_PlS8_PS5_S9_ZN2at6native12_GLOBAL__N_124unique_dim_cuda_templateIbEESt5tupleIJNSA_6TensorESF_SF_EERKSF_lbbbEUlllE_EE10hipError_tT0_T1_T2_T3_mRjT4_P12ihipStream_tbNS1_7vsmem_tEEUlT_E_NS1_11comp_targetILNS1_3genE3ELNS1_11target_archE908ELNS1_3gpuE7ELNS1_3repE0EEENS1_30default_config_static_selectorELNS0_4arch9wavefront6targetE1EEEvSM_
                                        ; -- End function
	.set _ZN7rocprim17ROCPRIM_400000_NS6detail17trampoline_kernelINS0_14default_configENS1_37merge_sort_block_sort_config_selectorIlNS0_10empty_typeEEEZNS1_21merge_sort_block_sortIS3_PlS8_PS5_S9_ZN2at6native12_GLOBAL__N_124unique_dim_cuda_templateIbEESt5tupleIJNSA_6TensorESF_SF_EERKSF_lbbbEUlllE_EE10hipError_tT0_T1_T2_T3_mRjT4_P12ihipStream_tbNS1_7vsmem_tEEUlT_E_NS1_11comp_targetILNS1_3genE3ELNS1_11target_archE908ELNS1_3gpuE7ELNS1_3repE0EEENS1_30default_config_static_selectorELNS0_4arch9wavefront6targetE1EEEvSM_.num_vgpr, 0
	.set _ZN7rocprim17ROCPRIM_400000_NS6detail17trampoline_kernelINS0_14default_configENS1_37merge_sort_block_sort_config_selectorIlNS0_10empty_typeEEEZNS1_21merge_sort_block_sortIS3_PlS8_PS5_S9_ZN2at6native12_GLOBAL__N_124unique_dim_cuda_templateIbEESt5tupleIJNSA_6TensorESF_SF_EERKSF_lbbbEUlllE_EE10hipError_tT0_T1_T2_T3_mRjT4_P12ihipStream_tbNS1_7vsmem_tEEUlT_E_NS1_11comp_targetILNS1_3genE3ELNS1_11target_archE908ELNS1_3gpuE7ELNS1_3repE0EEENS1_30default_config_static_selectorELNS0_4arch9wavefront6targetE1EEEvSM_.num_agpr, 0
	.set _ZN7rocprim17ROCPRIM_400000_NS6detail17trampoline_kernelINS0_14default_configENS1_37merge_sort_block_sort_config_selectorIlNS0_10empty_typeEEEZNS1_21merge_sort_block_sortIS3_PlS8_PS5_S9_ZN2at6native12_GLOBAL__N_124unique_dim_cuda_templateIbEESt5tupleIJNSA_6TensorESF_SF_EERKSF_lbbbEUlllE_EE10hipError_tT0_T1_T2_T3_mRjT4_P12ihipStream_tbNS1_7vsmem_tEEUlT_E_NS1_11comp_targetILNS1_3genE3ELNS1_11target_archE908ELNS1_3gpuE7ELNS1_3repE0EEENS1_30default_config_static_selectorELNS0_4arch9wavefront6targetE1EEEvSM_.numbered_sgpr, 0
	.set _ZN7rocprim17ROCPRIM_400000_NS6detail17trampoline_kernelINS0_14default_configENS1_37merge_sort_block_sort_config_selectorIlNS0_10empty_typeEEEZNS1_21merge_sort_block_sortIS3_PlS8_PS5_S9_ZN2at6native12_GLOBAL__N_124unique_dim_cuda_templateIbEESt5tupleIJNSA_6TensorESF_SF_EERKSF_lbbbEUlllE_EE10hipError_tT0_T1_T2_T3_mRjT4_P12ihipStream_tbNS1_7vsmem_tEEUlT_E_NS1_11comp_targetILNS1_3genE3ELNS1_11target_archE908ELNS1_3gpuE7ELNS1_3repE0EEENS1_30default_config_static_selectorELNS0_4arch9wavefront6targetE1EEEvSM_.num_named_barrier, 0
	.set _ZN7rocprim17ROCPRIM_400000_NS6detail17trampoline_kernelINS0_14default_configENS1_37merge_sort_block_sort_config_selectorIlNS0_10empty_typeEEEZNS1_21merge_sort_block_sortIS3_PlS8_PS5_S9_ZN2at6native12_GLOBAL__N_124unique_dim_cuda_templateIbEESt5tupleIJNSA_6TensorESF_SF_EERKSF_lbbbEUlllE_EE10hipError_tT0_T1_T2_T3_mRjT4_P12ihipStream_tbNS1_7vsmem_tEEUlT_E_NS1_11comp_targetILNS1_3genE3ELNS1_11target_archE908ELNS1_3gpuE7ELNS1_3repE0EEENS1_30default_config_static_selectorELNS0_4arch9wavefront6targetE1EEEvSM_.private_seg_size, 0
	.set _ZN7rocprim17ROCPRIM_400000_NS6detail17trampoline_kernelINS0_14default_configENS1_37merge_sort_block_sort_config_selectorIlNS0_10empty_typeEEEZNS1_21merge_sort_block_sortIS3_PlS8_PS5_S9_ZN2at6native12_GLOBAL__N_124unique_dim_cuda_templateIbEESt5tupleIJNSA_6TensorESF_SF_EERKSF_lbbbEUlllE_EE10hipError_tT0_T1_T2_T3_mRjT4_P12ihipStream_tbNS1_7vsmem_tEEUlT_E_NS1_11comp_targetILNS1_3genE3ELNS1_11target_archE908ELNS1_3gpuE7ELNS1_3repE0EEENS1_30default_config_static_selectorELNS0_4arch9wavefront6targetE1EEEvSM_.uses_vcc, 0
	.set _ZN7rocprim17ROCPRIM_400000_NS6detail17trampoline_kernelINS0_14default_configENS1_37merge_sort_block_sort_config_selectorIlNS0_10empty_typeEEEZNS1_21merge_sort_block_sortIS3_PlS8_PS5_S9_ZN2at6native12_GLOBAL__N_124unique_dim_cuda_templateIbEESt5tupleIJNSA_6TensorESF_SF_EERKSF_lbbbEUlllE_EE10hipError_tT0_T1_T2_T3_mRjT4_P12ihipStream_tbNS1_7vsmem_tEEUlT_E_NS1_11comp_targetILNS1_3genE3ELNS1_11target_archE908ELNS1_3gpuE7ELNS1_3repE0EEENS1_30default_config_static_selectorELNS0_4arch9wavefront6targetE1EEEvSM_.uses_flat_scratch, 0
	.set _ZN7rocprim17ROCPRIM_400000_NS6detail17trampoline_kernelINS0_14default_configENS1_37merge_sort_block_sort_config_selectorIlNS0_10empty_typeEEEZNS1_21merge_sort_block_sortIS3_PlS8_PS5_S9_ZN2at6native12_GLOBAL__N_124unique_dim_cuda_templateIbEESt5tupleIJNSA_6TensorESF_SF_EERKSF_lbbbEUlllE_EE10hipError_tT0_T1_T2_T3_mRjT4_P12ihipStream_tbNS1_7vsmem_tEEUlT_E_NS1_11comp_targetILNS1_3genE3ELNS1_11target_archE908ELNS1_3gpuE7ELNS1_3repE0EEENS1_30default_config_static_selectorELNS0_4arch9wavefront6targetE1EEEvSM_.has_dyn_sized_stack, 0
	.set _ZN7rocprim17ROCPRIM_400000_NS6detail17trampoline_kernelINS0_14default_configENS1_37merge_sort_block_sort_config_selectorIlNS0_10empty_typeEEEZNS1_21merge_sort_block_sortIS3_PlS8_PS5_S9_ZN2at6native12_GLOBAL__N_124unique_dim_cuda_templateIbEESt5tupleIJNSA_6TensorESF_SF_EERKSF_lbbbEUlllE_EE10hipError_tT0_T1_T2_T3_mRjT4_P12ihipStream_tbNS1_7vsmem_tEEUlT_E_NS1_11comp_targetILNS1_3genE3ELNS1_11target_archE908ELNS1_3gpuE7ELNS1_3repE0EEENS1_30default_config_static_selectorELNS0_4arch9wavefront6targetE1EEEvSM_.has_recursion, 0
	.set _ZN7rocprim17ROCPRIM_400000_NS6detail17trampoline_kernelINS0_14default_configENS1_37merge_sort_block_sort_config_selectorIlNS0_10empty_typeEEEZNS1_21merge_sort_block_sortIS3_PlS8_PS5_S9_ZN2at6native12_GLOBAL__N_124unique_dim_cuda_templateIbEESt5tupleIJNSA_6TensorESF_SF_EERKSF_lbbbEUlllE_EE10hipError_tT0_T1_T2_T3_mRjT4_P12ihipStream_tbNS1_7vsmem_tEEUlT_E_NS1_11comp_targetILNS1_3genE3ELNS1_11target_archE908ELNS1_3gpuE7ELNS1_3repE0EEENS1_30default_config_static_selectorELNS0_4arch9wavefront6targetE1EEEvSM_.has_indirect_call, 0
	.section	.AMDGPU.csdata,"",@progbits
; Kernel info:
; codeLenInByte = 0
; TotalNumSgprs: 6
; NumVgprs: 0
; NumAgprs: 0
; TotalNumVgprs: 0
; ScratchSize: 0
; MemoryBound: 0
; FloatMode: 240
; IeeeMode: 1
; LDSByteSize: 0 bytes/workgroup (compile time only)
; SGPRBlocks: 0
; VGPRBlocks: 0
; NumSGPRsForWavesPerEU: 6
; NumVGPRsForWavesPerEU: 1
; AccumOffset: 4
; Occupancy: 8
; WaveLimiterHint : 0
; COMPUTE_PGM_RSRC2:SCRATCH_EN: 0
; COMPUTE_PGM_RSRC2:USER_SGPR: 2
; COMPUTE_PGM_RSRC2:TRAP_HANDLER: 0
; COMPUTE_PGM_RSRC2:TGID_X_EN: 1
; COMPUTE_PGM_RSRC2:TGID_Y_EN: 0
; COMPUTE_PGM_RSRC2:TGID_Z_EN: 0
; COMPUTE_PGM_RSRC2:TIDIG_COMP_CNT: 0
; COMPUTE_PGM_RSRC3_GFX90A:ACCUM_OFFSET: 0
; COMPUTE_PGM_RSRC3_GFX90A:TG_SPLIT: 0
	.section	.text._ZN7rocprim17ROCPRIM_400000_NS6detail17trampoline_kernelINS0_14default_configENS1_37merge_sort_block_sort_config_selectorIlNS0_10empty_typeEEEZNS1_21merge_sort_block_sortIS3_PlS8_PS5_S9_ZN2at6native12_GLOBAL__N_124unique_dim_cuda_templateIbEESt5tupleIJNSA_6TensorESF_SF_EERKSF_lbbbEUlllE_EE10hipError_tT0_T1_T2_T3_mRjT4_P12ihipStream_tbNS1_7vsmem_tEEUlT_E_NS1_11comp_targetILNS1_3genE2ELNS1_11target_archE906ELNS1_3gpuE6ELNS1_3repE0EEENS1_30default_config_static_selectorELNS0_4arch9wavefront6targetE1EEEvSM_,"axG",@progbits,_ZN7rocprim17ROCPRIM_400000_NS6detail17trampoline_kernelINS0_14default_configENS1_37merge_sort_block_sort_config_selectorIlNS0_10empty_typeEEEZNS1_21merge_sort_block_sortIS3_PlS8_PS5_S9_ZN2at6native12_GLOBAL__N_124unique_dim_cuda_templateIbEESt5tupleIJNSA_6TensorESF_SF_EERKSF_lbbbEUlllE_EE10hipError_tT0_T1_T2_T3_mRjT4_P12ihipStream_tbNS1_7vsmem_tEEUlT_E_NS1_11comp_targetILNS1_3genE2ELNS1_11target_archE906ELNS1_3gpuE6ELNS1_3repE0EEENS1_30default_config_static_selectorELNS0_4arch9wavefront6targetE1EEEvSM_,comdat
	.globl	_ZN7rocprim17ROCPRIM_400000_NS6detail17trampoline_kernelINS0_14default_configENS1_37merge_sort_block_sort_config_selectorIlNS0_10empty_typeEEEZNS1_21merge_sort_block_sortIS3_PlS8_PS5_S9_ZN2at6native12_GLOBAL__N_124unique_dim_cuda_templateIbEESt5tupleIJNSA_6TensorESF_SF_EERKSF_lbbbEUlllE_EE10hipError_tT0_T1_T2_T3_mRjT4_P12ihipStream_tbNS1_7vsmem_tEEUlT_E_NS1_11comp_targetILNS1_3genE2ELNS1_11target_archE906ELNS1_3gpuE6ELNS1_3repE0EEENS1_30default_config_static_selectorELNS0_4arch9wavefront6targetE1EEEvSM_ ; -- Begin function _ZN7rocprim17ROCPRIM_400000_NS6detail17trampoline_kernelINS0_14default_configENS1_37merge_sort_block_sort_config_selectorIlNS0_10empty_typeEEEZNS1_21merge_sort_block_sortIS3_PlS8_PS5_S9_ZN2at6native12_GLOBAL__N_124unique_dim_cuda_templateIbEESt5tupleIJNSA_6TensorESF_SF_EERKSF_lbbbEUlllE_EE10hipError_tT0_T1_T2_T3_mRjT4_P12ihipStream_tbNS1_7vsmem_tEEUlT_E_NS1_11comp_targetILNS1_3genE2ELNS1_11target_archE906ELNS1_3gpuE6ELNS1_3repE0EEENS1_30default_config_static_selectorELNS0_4arch9wavefront6targetE1EEEvSM_
	.p2align	8
	.type	_ZN7rocprim17ROCPRIM_400000_NS6detail17trampoline_kernelINS0_14default_configENS1_37merge_sort_block_sort_config_selectorIlNS0_10empty_typeEEEZNS1_21merge_sort_block_sortIS3_PlS8_PS5_S9_ZN2at6native12_GLOBAL__N_124unique_dim_cuda_templateIbEESt5tupleIJNSA_6TensorESF_SF_EERKSF_lbbbEUlllE_EE10hipError_tT0_T1_T2_T3_mRjT4_P12ihipStream_tbNS1_7vsmem_tEEUlT_E_NS1_11comp_targetILNS1_3genE2ELNS1_11target_archE906ELNS1_3gpuE6ELNS1_3repE0EEENS1_30default_config_static_selectorELNS0_4arch9wavefront6targetE1EEEvSM_,@function
_ZN7rocprim17ROCPRIM_400000_NS6detail17trampoline_kernelINS0_14default_configENS1_37merge_sort_block_sort_config_selectorIlNS0_10empty_typeEEEZNS1_21merge_sort_block_sortIS3_PlS8_PS5_S9_ZN2at6native12_GLOBAL__N_124unique_dim_cuda_templateIbEESt5tupleIJNSA_6TensorESF_SF_EERKSF_lbbbEUlllE_EE10hipError_tT0_T1_T2_T3_mRjT4_P12ihipStream_tbNS1_7vsmem_tEEUlT_E_NS1_11comp_targetILNS1_3genE2ELNS1_11target_archE906ELNS1_3gpuE6ELNS1_3repE0EEENS1_30default_config_static_selectorELNS0_4arch9wavefront6targetE1EEEvSM_: ; @_ZN7rocprim17ROCPRIM_400000_NS6detail17trampoline_kernelINS0_14default_configENS1_37merge_sort_block_sort_config_selectorIlNS0_10empty_typeEEEZNS1_21merge_sort_block_sortIS3_PlS8_PS5_S9_ZN2at6native12_GLOBAL__N_124unique_dim_cuda_templateIbEESt5tupleIJNSA_6TensorESF_SF_EERKSF_lbbbEUlllE_EE10hipError_tT0_T1_T2_T3_mRjT4_P12ihipStream_tbNS1_7vsmem_tEEUlT_E_NS1_11comp_targetILNS1_3genE2ELNS1_11target_archE906ELNS1_3gpuE6ELNS1_3repE0EEENS1_30default_config_static_selectorELNS0_4arch9wavefront6targetE1EEEvSM_
; %bb.0:
	.section	.rodata,"a",@progbits
	.p2align	6, 0x0
	.amdhsa_kernel _ZN7rocprim17ROCPRIM_400000_NS6detail17trampoline_kernelINS0_14default_configENS1_37merge_sort_block_sort_config_selectorIlNS0_10empty_typeEEEZNS1_21merge_sort_block_sortIS3_PlS8_PS5_S9_ZN2at6native12_GLOBAL__N_124unique_dim_cuda_templateIbEESt5tupleIJNSA_6TensorESF_SF_EERKSF_lbbbEUlllE_EE10hipError_tT0_T1_T2_T3_mRjT4_P12ihipStream_tbNS1_7vsmem_tEEUlT_E_NS1_11comp_targetILNS1_3genE2ELNS1_11target_archE906ELNS1_3gpuE6ELNS1_3repE0EEENS1_30default_config_static_selectorELNS0_4arch9wavefront6targetE1EEEvSM_
		.amdhsa_group_segment_fixed_size 0
		.amdhsa_private_segment_fixed_size 0
		.amdhsa_kernarg_size 72
		.amdhsa_user_sgpr_count 2
		.amdhsa_user_sgpr_dispatch_ptr 0
		.amdhsa_user_sgpr_queue_ptr 0
		.amdhsa_user_sgpr_kernarg_segment_ptr 1
		.amdhsa_user_sgpr_dispatch_id 0
		.amdhsa_user_sgpr_kernarg_preload_length 0
		.amdhsa_user_sgpr_kernarg_preload_offset 0
		.amdhsa_user_sgpr_private_segment_size 0
		.amdhsa_uses_dynamic_stack 0
		.amdhsa_enable_private_segment 0
		.amdhsa_system_sgpr_workgroup_id_x 1
		.amdhsa_system_sgpr_workgroup_id_y 0
		.amdhsa_system_sgpr_workgroup_id_z 0
		.amdhsa_system_sgpr_workgroup_info 0
		.amdhsa_system_vgpr_workitem_id 0
		.amdhsa_next_free_vgpr 1
		.amdhsa_next_free_sgpr 0
		.amdhsa_accum_offset 4
		.amdhsa_reserve_vcc 0
		.amdhsa_float_round_mode_32 0
		.amdhsa_float_round_mode_16_64 0
		.amdhsa_float_denorm_mode_32 3
		.amdhsa_float_denorm_mode_16_64 3
		.amdhsa_dx10_clamp 1
		.amdhsa_ieee_mode 1
		.amdhsa_fp16_overflow 0
		.amdhsa_tg_split 0
		.amdhsa_exception_fp_ieee_invalid_op 0
		.amdhsa_exception_fp_denorm_src 0
		.amdhsa_exception_fp_ieee_div_zero 0
		.amdhsa_exception_fp_ieee_overflow 0
		.amdhsa_exception_fp_ieee_underflow 0
		.amdhsa_exception_fp_ieee_inexact 0
		.amdhsa_exception_int_div_zero 0
	.end_amdhsa_kernel
	.section	.text._ZN7rocprim17ROCPRIM_400000_NS6detail17trampoline_kernelINS0_14default_configENS1_37merge_sort_block_sort_config_selectorIlNS0_10empty_typeEEEZNS1_21merge_sort_block_sortIS3_PlS8_PS5_S9_ZN2at6native12_GLOBAL__N_124unique_dim_cuda_templateIbEESt5tupleIJNSA_6TensorESF_SF_EERKSF_lbbbEUlllE_EE10hipError_tT0_T1_T2_T3_mRjT4_P12ihipStream_tbNS1_7vsmem_tEEUlT_E_NS1_11comp_targetILNS1_3genE2ELNS1_11target_archE906ELNS1_3gpuE6ELNS1_3repE0EEENS1_30default_config_static_selectorELNS0_4arch9wavefront6targetE1EEEvSM_,"axG",@progbits,_ZN7rocprim17ROCPRIM_400000_NS6detail17trampoline_kernelINS0_14default_configENS1_37merge_sort_block_sort_config_selectorIlNS0_10empty_typeEEEZNS1_21merge_sort_block_sortIS3_PlS8_PS5_S9_ZN2at6native12_GLOBAL__N_124unique_dim_cuda_templateIbEESt5tupleIJNSA_6TensorESF_SF_EERKSF_lbbbEUlllE_EE10hipError_tT0_T1_T2_T3_mRjT4_P12ihipStream_tbNS1_7vsmem_tEEUlT_E_NS1_11comp_targetILNS1_3genE2ELNS1_11target_archE906ELNS1_3gpuE6ELNS1_3repE0EEENS1_30default_config_static_selectorELNS0_4arch9wavefront6targetE1EEEvSM_,comdat
.Lfunc_end997:
	.size	_ZN7rocprim17ROCPRIM_400000_NS6detail17trampoline_kernelINS0_14default_configENS1_37merge_sort_block_sort_config_selectorIlNS0_10empty_typeEEEZNS1_21merge_sort_block_sortIS3_PlS8_PS5_S9_ZN2at6native12_GLOBAL__N_124unique_dim_cuda_templateIbEESt5tupleIJNSA_6TensorESF_SF_EERKSF_lbbbEUlllE_EE10hipError_tT0_T1_T2_T3_mRjT4_P12ihipStream_tbNS1_7vsmem_tEEUlT_E_NS1_11comp_targetILNS1_3genE2ELNS1_11target_archE906ELNS1_3gpuE6ELNS1_3repE0EEENS1_30default_config_static_selectorELNS0_4arch9wavefront6targetE1EEEvSM_, .Lfunc_end997-_ZN7rocprim17ROCPRIM_400000_NS6detail17trampoline_kernelINS0_14default_configENS1_37merge_sort_block_sort_config_selectorIlNS0_10empty_typeEEEZNS1_21merge_sort_block_sortIS3_PlS8_PS5_S9_ZN2at6native12_GLOBAL__N_124unique_dim_cuda_templateIbEESt5tupleIJNSA_6TensorESF_SF_EERKSF_lbbbEUlllE_EE10hipError_tT0_T1_T2_T3_mRjT4_P12ihipStream_tbNS1_7vsmem_tEEUlT_E_NS1_11comp_targetILNS1_3genE2ELNS1_11target_archE906ELNS1_3gpuE6ELNS1_3repE0EEENS1_30default_config_static_selectorELNS0_4arch9wavefront6targetE1EEEvSM_
                                        ; -- End function
	.set _ZN7rocprim17ROCPRIM_400000_NS6detail17trampoline_kernelINS0_14default_configENS1_37merge_sort_block_sort_config_selectorIlNS0_10empty_typeEEEZNS1_21merge_sort_block_sortIS3_PlS8_PS5_S9_ZN2at6native12_GLOBAL__N_124unique_dim_cuda_templateIbEESt5tupleIJNSA_6TensorESF_SF_EERKSF_lbbbEUlllE_EE10hipError_tT0_T1_T2_T3_mRjT4_P12ihipStream_tbNS1_7vsmem_tEEUlT_E_NS1_11comp_targetILNS1_3genE2ELNS1_11target_archE906ELNS1_3gpuE6ELNS1_3repE0EEENS1_30default_config_static_selectorELNS0_4arch9wavefront6targetE1EEEvSM_.num_vgpr, 0
	.set _ZN7rocprim17ROCPRIM_400000_NS6detail17trampoline_kernelINS0_14default_configENS1_37merge_sort_block_sort_config_selectorIlNS0_10empty_typeEEEZNS1_21merge_sort_block_sortIS3_PlS8_PS5_S9_ZN2at6native12_GLOBAL__N_124unique_dim_cuda_templateIbEESt5tupleIJNSA_6TensorESF_SF_EERKSF_lbbbEUlllE_EE10hipError_tT0_T1_T2_T3_mRjT4_P12ihipStream_tbNS1_7vsmem_tEEUlT_E_NS1_11comp_targetILNS1_3genE2ELNS1_11target_archE906ELNS1_3gpuE6ELNS1_3repE0EEENS1_30default_config_static_selectorELNS0_4arch9wavefront6targetE1EEEvSM_.num_agpr, 0
	.set _ZN7rocprim17ROCPRIM_400000_NS6detail17trampoline_kernelINS0_14default_configENS1_37merge_sort_block_sort_config_selectorIlNS0_10empty_typeEEEZNS1_21merge_sort_block_sortIS3_PlS8_PS5_S9_ZN2at6native12_GLOBAL__N_124unique_dim_cuda_templateIbEESt5tupleIJNSA_6TensorESF_SF_EERKSF_lbbbEUlllE_EE10hipError_tT0_T1_T2_T3_mRjT4_P12ihipStream_tbNS1_7vsmem_tEEUlT_E_NS1_11comp_targetILNS1_3genE2ELNS1_11target_archE906ELNS1_3gpuE6ELNS1_3repE0EEENS1_30default_config_static_selectorELNS0_4arch9wavefront6targetE1EEEvSM_.numbered_sgpr, 0
	.set _ZN7rocprim17ROCPRIM_400000_NS6detail17trampoline_kernelINS0_14default_configENS1_37merge_sort_block_sort_config_selectorIlNS0_10empty_typeEEEZNS1_21merge_sort_block_sortIS3_PlS8_PS5_S9_ZN2at6native12_GLOBAL__N_124unique_dim_cuda_templateIbEESt5tupleIJNSA_6TensorESF_SF_EERKSF_lbbbEUlllE_EE10hipError_tT0_T1_T2_T3_mRjT4_P12ihipStream_tbNS1_7vsmem_tEEUlT_E_NS1_11comp_targetILNS1_3genE2ELNS1_11target_archE906ELNS1_3gpuE6ELNS1_3repE0EEENS1_30default_config_static_selectorELNS0_4arch9wavefront6targetE1EEEvSM_.num_named_barrier, 0
	.set _ZN7rocprim17ROCPRIM_400000_NS6detail17trampoline_kernelINS0_14default_configENS1_37merge_sort_block_sort_config_selectorIlNS0_10empty_typeEEEZNS1_21merge_sort_block_sortIS3_PlS8_PS5_S9_ZN2at6native12_GLOBAL__N_124unique_dim_cuda_templateIbEESt5tupleIJNSA_6TensorESF_SF_EERKSF_lbbbEUlllE_EE10hipError_tT0_T1_T2_T3_mRjT4_P12ihipStream_tbNS1_7vsmem_tEEUlT_E_NS1_11comp_targetILNS1_3genE2ELNS1_11target_archE906ELNS1_3gpuE6ELNS1_3repE0EEENS1_30default_config_static_selectorELNS0_4arch9wavefront6targetE1EEEvSM_.private_seg_size, 0
	.set _ZN7rocprim17ROCPRIM_400000_NS6detail17trampoline_kernelINS0_14default_configENS1_37merge_sort_block_sort_config_selectorIlNS0_10empty_typeEEEZNS1_21merge_sort_block_sortIS3_PlS8_PS5_S9_ZN2at6native12_GLOBAL__N_124unique_dim_cuda_templateIbEESt5tupleIJNSA_6TensorESF_SF_EERKSF_lbbbEUlllE_EE10hipError_tT0_T1_T2_T3_mRjT4_P12ihipStream_tbNS1_7vsmem_tEEUlT_E_NS1_11comp_targetILNS1_3genE2ELNS1_11target_archE906ELNS1_3gpuE6ELNS1_3repE0EEENS1_30default_config_static_selectorELNS0_4arch9wavefront6targetE1EEEvSM_.uses_vcc, 0
	.set _ZN7rocprim17ROCPRIM_400000_NS6detail17trampoline_kernelINS0_14default_configENS1_37merge_sort_block_sort_config_selectorIlNS0_10empty_typeEEEZNS1_21merge_sort_block_sortIS3_PlS8_PS5_S9_ZN2at6native12_GLOBAL__N_124unique_dim_cuda_templateIbEESt5tupleIJNSA_6TensorESF_SF_EERKSF_lbbbEUlllE_EE10hipError_tT0_T1_T2_T3_mRjT4_P12ihipStream_tbNS1_7vsmem_tEEUlT_E_NS1_11comp_targetILNS1_3genE2ELNS1_11target_archE906ELNS1_3gpuE6ELNS1_3repE0EEENS1_30default_config_static_selectorELNS0_4arch9wavefront6targetE1EEEvSM_.uses_flat_scratch, 0
	.set _ZN7rocprim17ROCPRIM_400000_NS6detail17trampoline_kernelINS0_14default_configENS1_37merge_sort_block_sort_config_selectorIlNS0_10empty_typeEEEZNS1_21merge_sort_block_sortIS3_PlS8_PS5_S9_ZN2at6native12_GLOBAL__N_124unique_dim_cuda_templateIbEESt5tupleIJNSA_6TensorESF_SF_EERKSF_lbbbEUlllE_EE10hipError_tT0_T1_T2_T3_mRjT4_P12ihipStream_tbNS1_7vsmem_tEEUlT_E_NS1_11comp_targetILNS1_3genE2ELNS1_11target_archE906ELNS1_3gpuE6ELNS1_3repE0EEENS1_30default_config_static_selectorELNS0_4arch9wavefront6targetE1EEEvSM_.has_dyn_sized_stack, 0
	.set _ZN7rocprim17ROCPRIM_400000_NS6detail17trampoline_kernelINS0_14default_configENS1_37merge_sort_block_sort_config_selectorIlNS0_10empty_typeEEEZNS1_21merge_sort_block_sortIS3_PlS8_PS5_S9_ZN2at6native12_GLOBAL__N_124unique_dim_cuda_templateIbEESt5tupleIJNSA_6TensorESF_SF_EERKSF_lbbbEUlllE_EE10hipError_tT0_T1_T2_T3_mRjT4_P12ihipStream_tbNS1_7vsmem_tEEUlT_E_NS1_11comp_targetILNS1_3genE2ELNS1_11target_archE906ELNS1_3gpuE6ELNS1_3repE0EEENS1_30default_config_static_selectorELNS0_4arch9wavefront6targetE1EEEvSM_.has_recursion, 0
	.set _ZN7rocprim17ROCPRIM_400000_NS6detail17trampoline_kernelINS0_14default_configENS1_37merge_sort_block_sort_config_selectorIlNS0_10empty_typeEEEZNS1_21merge_sort_block_sortIS3_PlS8_PS5_S9_ZN2at6native12_GLOBAL__N_124unique_dim_cuda_templateIbEESt5tupleIJNSA_6TensorESF_SF_EERKSF_lbbbEUlllE_EE10hipError_tT0_T1_T2_T3_mRjT4_P12ihipStream_tbNS1_7vsmem_tEEUlT_E_NS1_11comp_targetILNS1_3genE2ELNS1_11target_archE906ELNS1_3gpuE6ELNS1_3repE0EEENS1_30default_config_static_selectorELNS0_4arch9wavefront6targetE1EEEvSM_.has_indirect_call, 0
	.section	.AMDGPU.csdata,"",@progbits
; Kernel info:
; codeLenInByte = 0
; TotalNumSgprs: 6
; NumVgprs: 0
; NumAgprs: 0
; TotalNumVgprs: 0
; ScratchSize: 0
; MemoryBound: 0
; FloatMode: 240
; IeeeMode: 1
; LDSByteSize: 0 bytes/workgroup (compile time only)
; SGPRBlocks: 0
; VGPRBlocks: 0
; NumSGPRsForWavesPerEU: 6
; NumVGPRsForWavesPerEU: 1
; AccumOffset: 4
; Occupancy: 8
; WaveLimiterHint : 0
; COMPUTE_PGM_RSRC2:SCRATCH_EN: 0
; COMPUTE_PGM_RSRC2:USER_SGPR: 2
; COMPUTE_PGM_RSRC2:TRAP_HANDLER: 0
; COMPUTE_PGM_RSRC2:TGID_X_EN: 1
; COMPUTE_PGM_RSRC2:TGID_Y_EN: 0
; COMPUTE_PGM_RSRC2:TGID_Z_EN: 0
; COMPUTE_PGM_RSRC2:TIDIG_COMP_CNT: 0
; COMPUTE_PGM_RSRC3_GFX90A:ACCUM_OFFSET: 0
; COMPUTE_PGM_RSRC3_GFX90A:TG_SPLIT: 0
	.section	.text._ZN7rocprim17ROCPRIM_400000_NS6detail17trampoline_kernelINS0_14default_configENS1_37merge_sort_block_sort_config_selectorIlNS0_10empty_typeEEEZNS1_21merge_sort_block_sortIS3_PlS8_PS5_S9_ZN2at6native12_GLOBAL__N_124unique_dim_cuda_templateIbEESt5tupleIJNSA_6TensorESF_SF_EERKSF_lbbbEUlllE_EE10hipError_tT0_T1_T2_T3_mRjT4_P12ihipStream_tbNS1_7vsmem_tEEUlT_E_NS1_11comp_targetILNS1_3genE10ELNS1_11target_archE1201ELNS1_3gpuE5ELNS1_3repE0EEENS1_30default_config_static_selectorELNS0_4arch9wavefront6targetE1EEEvSM_,"axG",@progbits,_ZN7rocprim17ROCPRIM_400000_NS6detail17trampoline_kernelINS0_14default_configENS1_37merge_sort_block_sort_config_selectorIlNS0_10empty_typeEEEZNS1_21merge_sort_block_sortIS3_PlS8_PS5_S9_ZN2at6native12_GLOBAL__N_124unique_dim_cuda_templateIbEESt5tupleIJNSA_6TensorESF_SF_EERKSF_lbbbEUlllE_EE10hipError_tT0_T1_T2_T3_mRjT4_P12ihipStream_tbNS1_7vsmem_tEEUlT_E_NS1_11comp_targetILNS1_3genE10ELNS1_11target_archE1201ELNS1_3gpuE5ELNS1_3repE0EEENS1_30default_config_static_selectorELNS0_4arch9wavefront6targetE1EEEvSM_,comdat
	.globl	_ZN7rocprim17ROCPRIM_400000_NS6detail17trampoline_kernelINS0_14default_configENS1_37merge_sort_block_sort_config_selectorIlNS0_10empty_typeEEEZNS1_21merge_sort_block_sortIS3_PlS8_PS5_S9_ZN2at6native12_GLOBAL__N_124unique_dim_cuda_templateIbEESt5tupleIJNSA_6TensorESF_SF_EERKSF_lbbbEUlllE_EE10hipError_tT0_T1_T2_T3_mRjT4_P12ihipStream_tbNS1_7vsmem_tEEUlT_E_NS1_11comp_targetILNS1_3genE10ELNS1_11target_archE1201ELNS1_3gpuE5ELNS1_3repE0EEENS1_30default_config_static_selectorELNS0_4arch9wavefront6targetE1EEEvSM_ ; -- Begin function _ZN7rocprim17ROCPRIM_400000_NS6detail17trampoline_kernelINS0_14default_configENS1_37merge_sort_block_sort_config_selectorIlNS0_10empty_typeEEEZNS1_21merge_sort_block_sortIS3_PlS8_PS5_S9_ZN2at6native12_GLOBAL__N_124unique_dim_cuda_templateIbEESt5tupleIJNSA_6TensorESF_SF_EERKSF_lbbbEUlllE_EE10hipError_tT0_T1_T2_T3_mRjT4_P12ihipStream_tbNS1_7vsmem_tEEUlT_E_NS1_11comp_targetILNS1_3genE10ELNS1_11target_archE1201ELNS1_3gpuE5ELNS1_3repE0EEENS1_30default_config_static_selectorELNS0_4arch9wavefront6targetE1EEEvSM_
	.p2align	8
	.type	_ZN7rocprim17ROCPRIM_400000_NS6detail17trampoline_kernelINS0_14default_configENS1_37merge_sort_block_sort_config_selectorIlNS0_10empty_typeEEEZNS1_21merge_sort_block_sortIS3_PlS8_PS5_S9_ZN2at6native12_GLOBAL__N_124unique_dim_cuda_templateIbEESt5tupleIJNSA_6TensorESF_SF_EERKSF_lbbbEUlllE_EE10hipError_tT0_T1_T2_T3_mRjT4_P12ihipStream_tbNS1_7vsmem_tEEUlT_E_NS1_11comp_targetILNS1_3genE10ELNS1_11target_archE1201ELNS1_3gpuE5ELNS1_3repE0EEENS1_30default_config_static_selectorELNS0_4arch9wavefront6targetE1EEEvSM_,@function
_ZN7rocprim17ROCPRIM_400000_NS6detail17trampoline_kernelINS0_14default_configENS1_37merge_sort_block_sort_config_selectorIlNS0_10empty_typeEEEZNS1_21merge_sort_block_sortIS3_PlS8_PS5_S9_ZN2at6native12_GLOBAL__N_124unique_dim_cuda_templateIbEESt5tupleIJNSA_6TensorESF_SF_EERKSF_lbbbEUlllE_EE10hipError_tT0_T1_T2_T3_mRjT4_P12ihipStream_tbNS1_7vsmem_tEEUlT_E_NS1_11comp_targetILNS1_3genE10ELNS1_11target_archE1201ELNS1_3gpuE5ELNS1_3repE0EEENS1_30default_config_static_selectorELNS0_4arch9wavefront6targetE1EEEvSM_: ; @_ZN7rocprim17ROCPRIM_400000_NS6detail17trampoline_kernelINS0_14default_configENS1_37merge_sort_block_sort_config_selectorIlNS0_10empty_typeEEEZNS1_21merge_sort_block_sortIS3_PlS8_PS5_S9_ZN2at6native12_GLOBAL__N_124unique_dim_cuda_templateIbEESt5tupleIJNSA_6TensorESF_SF_EERKSF_lbbbEUlllE_EE10hipError_tT0_T1_T2_T3_mRjT4_P12ihipStream_tbNS1_7vsmem_tEEUlT_E_NS1_11comp_targetILNS1_3genE10ELNS1_11target_archE1201ELNS1_3gpuE5ELNS1_3repE0EEENS1_30default_config_static_selectorELNS0_4arch9wavefront6targetE1EEEvSM_
; %bb.0:
	.section	.rodata,"a",@progbits
	.p2align	6, 0x0
	.amdhsa_kernel _ZN7rocprim17ROCPRIM_400000_NS6detail17trampoline_kernelINS0_14default_configENS1_37merge_sort_block_sort_config_selectorIlNS0_10empty_typeEEEZNS1_21merge_sort_block_sortIS3_PlS8_PS5_S9_ZN2at6native12_GLOBAL__N_124unique_dim_cuda_templateIbEESt5tupleIJNSA_6TensorESF_SF_EERKSF_lbbbEUlllE_EE10hipError_tT0_T1_T2_T3_mRjT4_P12ihipStream_tbNS1_7vsmem_tEEUlT_E_NS1_11comp_targetILNS1_3genE10ELNS1_11target_archE1201ELNS1_3gpuE5ELNS1_3repE0EEENS1_30default_config_static_selectorELNS0_4arch9wavefront6targetE1EEEvSM_
		.amdhsa_group_segment_fixed_size 0
		.amdhsa_private_segment_fixed_size 0
		.amdhsa_kernarg_size 72
		.amdhsa_user_sgpr_count 2
		.amdhsa_user_sgpr_dispatch_ptr 0
		.amdhsa_user_sgpr_queue_ptr 0
		.amdhsa_user_sgpr_kernarg_segment_ptr 1
		.amdhsa_user_sgpr_dispatch_id 0
		.amdhsa_user_sgpr_kernarg_preload_length 0
		.amdhsa_user_sgpr_kernarg_preload_offset 0
		.amdhsa_user_sgpr_private_segment_size 0
		.amdhsa_uses_dynamic_stack 0
		.amdhsa_enable_private_segment 0
		.amdhsa_system_sgpr_workgroup_id_x 1
		.amdhsa_system_sgpr_workgroup_id_y 0
		.amdhsa_system_sgpr_workgroup_id_z 0
		.amdhsa_system_sgpr_workgroup_info 0
		.amdhsa_system_vgpr_workitem_id 0
		.amdhsa_next_free_vgpr 1
		.amdhsa_next_free_sgpr 0
		.amdhsa_accum_offset 4
		.amdhsa_reserve_vcc 0
		.amdhsa_float_round_mode_32 0
		.amdhsa_float_round_mode_16_64 0
		.amdhsa_float_denorm_mode_32 3
		.amdhsa_float_denorm_mode_16_64 3
		.amdhsa_dx10_clamp 1
		.amdhsa_ieee_mode 1
		.amdhsa_fp16_overflow 0
		.amdhsa_tg_split 0
		.amdhsa_exception_fp_ieee_invalid_op 0
		.amdhsa_exception_fp_denorm_src 0
		.amdhsa_exception_fp_ieee_div_zero 0
		.amdhsa_exception_fp_ieee_overflow 0
		.amdhsa_exception_fp_ieee_underflow 0
		.amdhsa_exception_fp_ieee_inexact 0
		.amdhsa_exception_int_div_zero 0
	.end_amdhsa_kernel
	.section	.text._ZN7rocprim17ROCPRIM_400000_NS6detail17trampoline_kernelINS0_14default_configENS1_37merge_sort_block_sort_config_selectorIlNS0_10empty_typeEEEZNS1_21merge_sort_block_sortIS3_PlS8_PS5_S9_ZN2at6native12_GLOBAL__N_124unique_dim_cuda_templateIbEESt5tupleIJNSA_6TensorESF_SF_EERKSF_lbbbEUlllE_EE10hipError_tT0_T1_T2_T3_mRjT4_P12ihipStream_tbNS1_7vsmem_tEEUlT_E_NS1_11comp_targetILNS1_3genE10ELNS1_11target_archE1201ELNS1_3gpuE5ELNS1_3repE0EEENS1_30default_config_static_selectorELNS0_4arch9wavefront6targetE1EEEvSM_,"axG",@progbits,_ZN7rocprim17ROCPRIM_400000_NS6detail17trampoline_kernelINS0_14default_configENS1_37merge_sort_block_sort_config_selectorIlNS0_10empty_typeEEEZNS1_21merge_sort_block_sortIS3_PlS8_PS5_S9_ZN2at6native12_GLOBAL__N_124unique_dim_cuda_templateIbEESt5tupleIJNSA_6TensorESF_SF_EERKSF_lbbbEUlllE_EE10hipError_tT0_T1_T2_T3_mRjT4_P12ihipStream_tbNS1_7vsmem_tEEUlT_E_NS1_11comp_targetILNS1_3genE10ELNS1_11target_archE1201ELNS1_3gpuE5ELNS1_3repE0EEENS1_30default_config_static_selectorELNS0_4arch9wavefront6targetE1EEEvSM_,comdat
.Lfunc_end998:
	.size	_ZN7rocprim17ROCPRIM_400000_NS6detail17trampoline_kernelINS0_14default_configENS1_37merge_sort_block_sort_config_selectorIlNS0_10empty_typeEEEZNS1_21merge_sort_block_sortIS3_PlS8_PS5_S9_ZN2at6native12_GLOBAL__N_124unique_dim_cuda_templateIbEESt5tupleIJNSA_6TensorESF_SF_EERKSF_lbbbEUlllE_EE10hipError_tT0_T1_T2_T3_mRjT4_P12ihipStream_tbNS1_7vsmem_tEEUlT_E_NS1_11comp_targetILNS1_3genE10ELNS1_11target_archE1201ELNS1_3gpuE5ELNS1_3repE0EEENS1_30default_config_static_selectorELNS0_4arch9wavefront6targetE1EEEvSM_, .Lfunc_end998-_ZN7rocprim17ROCPRIM_400000_NS6detail17trampoline_kernelINS0_14default_configENS1_37merge_sort_block_sort_config_selectorIlNS0_10empty_typeEEEZNS1_21merge_sort_block_sortIS3_PlS8_PS5_S9_ZN2at6native12_GLOBAL__N_124unique_dim_cuda_templateIbEESt5tupleIJNSA_6TensorESF_SF_EERKSF_lbbbEUlllE_EE10hipError_tT0_T1_T2_T3_mRjT4_P12ihipStream_tbNS1_7vsmem_tEEUlT_E_NS1_11comp_targetILNS1_3genE10ELNS1_11target_archE1201ELNS1_3gpuE5ELNS1_3repE0EEENS1_30default_config_static_selectorELNS0_4arch9wavefront6targetE1EEEvSM_
                                        ; -- End function
	.set _ZN7rocprim17ROCPRIM_400000_NS6detail17trampoline_kernelINS0_14default_configENS1_37merge_sort_block_sort_config_selectorIlNS0_10empty_typeEEEZNS1_21merge_sort_block_sortIS3_PlS8_PS5_S9_ZN2at6native12_GLOBAL__N_124unique_dim_cuda_templateIbEESt5tupleIJNSA_6TensorESF_SF_EERKSF_lbbbEUlllE_EE10hipError_tT0_T1_T2_T3_mRjT4_P12ihipStream_tbNS1_7vsmem_tEEUlT_E_NS1_11comp_targetILNS1_3genE10ELNS1_11target_archE1201ELNS1_3gpuE5ELNS1_3repE0EEENS1_30default_config_static_selectorELNS0_4arch9wavefront6targetE1EEEvSM_.num_vgpr, 0
	.set _ZN7rocprim17ROCPRIM_400000_NS6detail17trampoline_kernelINS0_14default_configENS1_37merge_sort_block_sort_config_selectorIlNS0_10empty_typeEEEZNS1_21merge_sort_block_sortIS3_PlS8_PS5_S9_ZN2at6native12_GLOBAL__N_124unique_dim_cuda_templateIbEESt5tupleIJNSA_6TensorESF_SF_EERKSF_lbbbEUlllE_EE10hipError_tT0_T1_T2_T3_mRjT4_P12ihipStream_tbNS1_7vsmem_tEEUlT_E_NS1_11comp_targetILNS1_3genE10ELNS1_11target_archE1201ELNS1_3gpuE5ELNS1_3repE0EEENS1_30default_config_static_selectorELNS0_4arch9wavefront6targetE1EEEvSM_.num_agpr, 0
	.set _ZN7rocprim17ROCPRIM_400000_NS6detail17trampoline_kernelINS0_14default_configENS1_37merge_sort_block_sort_config_selectorIlNS0_10empty_typeEEEZNS1_21merge_sort_block_sortIS3_PlS8_PS5_S9_ZN2at6native12_GLOBAL__N_124unique_dim_cuda_templateIbEESt5tupleIJNSA_6TensorESF_SF_EERKSF_lbbbEUlllE_EE10hipError_tT0_T1_T2_T3_mRjT4_P12ihipStream_tbNS1_7vsmem_tEEUlT_E_NS1_11comp_targetILNS1_3genE10ELNS1_11target_archE1201ELNS1_3gpuE5ELNS1_3repE0EEENS1_30default_config_static_selectorELNS0_4arch9wavefront6targetE1EEEvSM_.numbered_sgpr, 0
	.set _ZN7rocprim17ROCPRIM_400000_NS6detail17trampoline_kernelINS0_14default_configENS1_37merge_sort_block_sort_config_selectorIlNS0_10empty_typeEEEZNS1_21merge_sort_block_sortIS3_PlS8_PS5_S9_ZN2at6native12_GLOBAL__N_124unique_dim_cuda_templateIbEESt5tupleIJNSA_6TensorESF_SF_EERKSF_lbbbEUlllE_EE10hipError_tT0_T1_T2_T3_mRjT4_P12ihipStream_tbNS1_7vsmem_tEEUlT_E_NS1_11comp_targetILNS1_3genE10ELNS1_11target_archE1201ELNS1_3gpuE5ELNS1_3repE0EEENS1_30default_config_static_selectorELNS0_4arch9wavefront6targetE1EEEvSM_.num_named_barrier, 0
	.set _ZN7rocprim17ROCPRIM_400000_NS6detail17trampoline_kernelINS0_14default_configENS1_37merge_sort_block_sort_config_selectorIlNS0_10empty_typeEEEZNS1_21merge_sort_block_sortIS3_PlS8_PS5_S9_ZN2at6native12_GLOBAL__N_124unique_dim_cuda_templateIbEESt5tupleIJNSA_6TensorESF_SF_EERKSF_lbbbEUlllE_EE10hipError_tT0_T1_T2_T3_mRjT4_P12ihipStream_tbNS1_7vsmem_tEEUlT_E_NS1_11comp_targetILNS1_3genE10ELNS1_11target_archE1201ELNS1_3gpuE5ELNS1_3repE0EEENS1_30default_config_static_selectorELNS0_4arch9wavefront6targetE1EEEvSM_.private_seg_size, 0
	.set _ZN7rocprim17ROCPRIM_400000_NS6detail17trampoline_kernelINS0_14default_configENS1_37merge_sort_block_sort_config_selectorIlNS0_10empty_typeEEEZNS1_21merge_sort_block_sortIS3_PlS8_PS5_S9_ZN2at6native12_GLOBAL__N_124unique_dim_cuda_templateIbEESt5tupleIJNSA_6TensorESF_SF_EERKSF_lbbbEUlllE_EE10hipError_tT0_T1_T2_T3_mRjT4_P12ihipStream_tbNS1_7vsmem_tEEUlT_E_NS1_11comp_targetILNS1_3genE10ELNS1_11target_archE1201ELNS1_3gpuE5ELNS1_3repE0EEENS1_30default_config_static_selectorELNS0_4arch9wavefront6targetE1EEEvSM_.uses_vcc, 0
	.set _ZN7rocprim17ROCPRIM_400000_NS6detail17trampoline_kernelINS0_14default_configENS1_37merge_sort_block_sort_config_selectorIlNS0_10empty_typeEEEZNS1_21merge_sort_block_sortIS3_PlS8_PS5_S9_ZN2at6native12_GLOBAL__N_124unique_dim_cuda_templateIbEESt5tupleIJNSA_6TensorESF_SF_EERKSF_lbbbEUlllE_EE10hipError_tT0_T1_T2_T3_mRjT4_P12ihipStream_tbNS1_7vsmem_tEEUlT_E_NS1_11comp_targetILNS1_3genE10ELNS1_11target_archE1201ELNS1_3gpuE5ELNS1_3repE0EEENS1_30default_config_static_selectorELNS0_4arch9wavefront6targetE1EEEvSM_.uses_flat_scratch, 0
	.set _ZN7rocprim17ROCPRIM_400000_NS6detail17trampoline_kernelINS0_14default_configENS1_37merge_sort_block_sort_config_selectorIlNS0_10empty_typeEEEZNS1_21merge_sort_block_sortIS3_PlS8_PS5_S9_ZN2at6native12_GLOBAL__N_124unique_dim_cuda_templateIbEESt5tupleIJNSA_6TensorESF_SF_EERKSF_lbbbEUlllE_EE10hipError_tT0_T1_T2_T3_mRjT4_P12ihipStream_tbNS1_7vsmem_tEEUlT_E_NS1_11comp_targetILNS1_3genE10ELNS1_11target_archE1201ELNS1_3gpuE5ELNS1_3repE0EEENS1_30default_config_static_selectorELNS0_4arch9wavefront6targetE1EEEvSM_.has_dyn_sized_stack, 0
	.set _ZN7rocprim17ROCPRIM_400000_NS6detail17trampoline_kernelINS0_14default_configENS1_37merge_sort_block_sort_config_selectorIlNS0_10empty_typeEEEZNS1_21merge_sort_block_sortIS3_PlS8_PS5_S9_ZN2at6native12_GLOBAL__N_124unique_dim_cuda_templateIbEESt5tupleIJNSA_6TensorESF_SF_EERKSF_lbbbEUlllE_EE10hipError_tT0_T1_T2_T3_mRjT4_P12ihipStream_tbNS1_7vsmem_tEEUlT_E_NS1_11comp_targetILNS1_3genE10ELNS1_11target_archE1201ELNS1_3gpuE5ELNS1_3repE0EEENS1_30default_config_static_selectorELNS0_4arch9wavefront6targetE1EEEvSM_.has_recursion, 0
	.set _ZN7rocprim17ROCPRIM_400000_NS6detail17trampoline_kernelINS0_14default_configENS1_37merge_sort_block_sort_config_selectorIlNS0_10empty_typeEEEZNS1_21merge_sort_block_sortIS3_PlS8_PS5_S9_ZN2at6native12_GLOBAL__N_124unique_dim_cuda_templateIbEESt5tupleIJNSA_6TensorESF_SF_EERKSF_lbbbEUlllE_EE10hipError_tT0_T1_T2_T3_mRjT4_P12ihipStream_tbNS1_7vsmem_tEEUlT_E_NS1_11comp_targetILNS1_3genE10ELNS1_11target_archE1201ELNS1_3gpuE5ELNS1_3repE0EEENS1_30default_config_static_selectorELNS0_4arch9wavefront6targetE1EEEvSM_.has_indirect_call, 0
	.section	.AMDGPU.csdata,"",@progbits
; Kernel info:
; codeLenInByte = 0
; TotalNumSgprs: 6
; NumVgprs: 0
; NumAgprs: 0
; TotalNumVgprs: 0
; ScratchSize: 0
; MemoryBound: 0
; FloatMode: 240
; IeeeMode: 1
; LDSByteSize: 0 bytes/workgroup (compile time only)
; SGPRBlocks: 0
; VGPRBlocks: 0
; NumSGPRsForWavesPerEU: 6
; NumVGPRsForWavesPerEU: 1
; AccumOffset: 4
; Occupancy: 8
; WaveLimiterHint : 0
; COMPUTE_PGM_RSRC2:SCRATCH_EN: 0
; COMPUTE_PGM_RSRC2:USER_SGPR: 2
; COMPUTE_PGM_RSRC2:TRAP_HANDLER: 0
; COMPUTE_PGM_RSRC2:TGID_X_EN: 1
; COMPUTE_PGM_RSRC2:TGID_Y_EN: 0
; COMPUTE_PGM_RSRC2:TGID_Z_EN: 0
; COMPUTE_PGM_RSRC2:TIDIG_COMP_CNT: 0
; COMPUTE_PGM_RSRC3_GFX90A:ACCUM_OFFSET: 0
; COMPUTE_PGM_RSRC3_GFX90A:TG_SPLIT: 0
	.section	.text._ZN7rocprim17ROCPRIM_400000_NS6detail17trampoline_kernelINS0_14default_configENS1_37merge_sort_block_sort_config_selectorIlNS0_10empty_typeEEEZNS1_21merge_sort_block_sortIS3_PlS8_PS5_S9_ZN2at6native12_GLOBAL__N_124unique_dim_cuda_templateIbEESt5tupleIJNSA_6TensorESF_SF_EERKSF_lbbbEUlllE_EE10hipError_tT0_T1_T2_T3_mRjT4_P12ihipStream_tbNS1_7vsmem_tEEUlT_E_NS1_11comp_targetILNS1_3genE10ELNS1_11target_archE1200ELNS1_3gpuE4ELNS1_3repE0EEENS1_30default_config_static_selectorELNS0_4arch9wavefront6targetE1EEEvSM_,"axG",@progbits,_ZN7rocprim17ROCPRIM_400000_NS6detail17trampoline_kernelINS0_14default_configENS1_37merge_sort_block_sort_config_selectorIlNS0_10empty_typeEEEZNS1_21merge_sort_block_sortIS3_PlS8_PS5_S9_ZN2at6native12_GLOBAL__N_124unique_dim_cuda_templateIbEESt5tupleIJNSA_6TensorESF_SF_EERKSF_lbbbEUlllE_EE10hipError_tT0_T1_T2_T3_mRjT4_P12ihipStream_tbNS1_7vsmem_tEEUlT_E_NS1_11comp_targetILNS1_3genE10ELNS1_11target_archE1200ELNS1_3gpuE4ELNS1_3repE0EEENS1_30default_config_static_selectorELNS0_4arch9wavefront6targetE1EEEvSM_,comdat
	.globl	_ZN7rocprim17ROCPRIM_400000_NS6detail17trampoline_kernelINS0_14default_configENS1_37merge_sort_block_sort_config_selectorIlNS0_10empty_typeEEEZNS1_21merge_sort_block_sortIS3_PlS8_PS5_S9_ZN2at6native12_GLOBAL__N_124unique_dim_cuda_templateIbEESt5tupleIJNSA_6TensorESF_SF_EERKSF_lbbbEUlllE_EE10hipError_tT0_T1_T2_T3_mRjT4_P12ihipStream_tbNS1_7vsmem_tEEUlT_E_NS1_11comp_targetILNS1_3genE10ELNS1_11target_archE1200ELNS1_3gpuE4ELNS1_3repE0EEENS1_30default_config_static_selectorELNS0_4arch9wavefront6targetE1EEEvSM_ ; -- Begin function _ZN7rocprim17ROCPRIM_400000_NS6detail17trampoline_kernelINS0_14default_configENS1_37merge_sort_block_sort_config_selectorIlNS0_10empty_typeEEEZNS1_21merge_sort_block_sortIS3_PlS8_PS5_S9_ZN2at6native12_GLOBAL__N_124unique_dim_cuda_templateIbEESt5tupleIJNSA_6TensorESF_SF_EERKSF_lbbbEUlllE_EE10hipError_tT0_T1_T2_T3_mRjT4_P12ihipStream_tbNS1_7vsmem_tEEUlT_E_NS1_11comp_targetILNS1_3genE10ELNS1_11target_archE1200ELNS1_3gpuE4ELNS1_3repE0EEENS1_30default_config_static_selectorELNS0_4arch9wavefront6targetE1EEEvSM_
	.p2align	8
	.type	_ZN7rocprim17ROCPRIM_400000_NS6detail17trampoline_kernelINS0_14default_configENS1_37merge_sort_block_sort_config_selectorIlNS0_10empty_typeEEEZNS1_21merge_sort_block_sortIS3_PlS8_PS5_S9_ZN2at6native12_GLOBAL__N_124unique_dim_cuda_templateIbEESt5tupleIJNSA_6TensorESF_SF_EERKSF_lbbbEUlllE_EE10hipError_tT0_T1_T2_T3_mRjT4_P12ihipStream_tbNS1_7vsmem_tEEUlT_E_NS1_11comp_targetILNS1_3genE10ELNS1_11target_archE1200ELNS1_3gpuE4ELNS1_3repE0EEENS1_30default_config_static_selectorELNS0_4arch9wavefront6targetE1EEEvSM_,@function
_ZN7rocprim17ROCPRIM_400000_NS6detail17trampoline_kernelINS0_14default_configENS1_37merge_sort_block_sort_config_selectorIlNS0_10empty_typeEEEZNS1_21merge_sort_block_sortIS3_PlS8_PS5_S9_ZN2at6native12_GLOBAL__N_124unique_dim_cuda_templateIbEESt5tupleIJNSA_6TensorESF_SF_EERKSF_lbbbEUlllE_EE10hipError_tT0_T1_T2_T3_mRjT4_P12ihipStream_tbNS1_7vsmem_tEEUlT_E_NS1_11comp_targetILNS1_3genE10ELNS1_11target_archE1200ELNS1_3gpuE4ELNS1_3repE0EEENS1_30default_config_static_selectorELNS0_4arch9wavefront6targetE1EEEvSM_: ; @_ZN7rocprim17ROCPRIM_400000_NS6detail17trampoline_kernelINS0_14default_configENS1_37merge_sort_block_sort_config_selectorIlNS0_10empty_typeEEEZNS1_21merge_sort_block_sortIS3_PlS8_PS5_S9_ZN2at6native12_GLOBAL__N_124unique_dim_cuda_templateIbEESt5tupleIJNSA_6TensorESF_SF_EERKSF_lbbbEUlllE_EE10hipError_tT0_T1_T2_T3_mRjT4_P12ihipStream_tbNS1_7vsmem_tEEUlT_E_NS1_11comp_targetILNS1_3genE10ELNS1_11target_archE1200ELNS1_3gpuE4ELNS1_3repE0EEENS1_30default_config_static_selectorELNS0_4arch9wavefront6targetE1EEEvSM_
; %bb.0:
	.section	.rodata,"a",@progbits
	.p2align	6, 0x0
	.amdhsa_kernel _ZN7rocprim17ROCPRIM_400000_NS6detail17trampoline_kernelINS0_14default_configENS1_37merge_sort_block_sort_config_selectorIlNS0_10empty_typeEEEZNS1_21merge_sort_block_sortIS3_PlS8_PS5_S9_ZN2at6native12_GLOBAL__N_124unique_dim_cuda_templateIbEESt5tupleIJNSA_6TensorESF_SF_EERKSF_lbbbEUlllE_EE10hipError_tT0_T1_T2_T3_mRjT4_P12ihipStream_tbNS1_7vsmem_tEEUlT_E_NS1_11comp_targetILNS1_3genE10ELNS1_11target_archE1200ELNS1_3gpuE4ELNS1_3repE0EEENS1_30default_config_static_selectorELNS0_4arch9wavefront6targetE1EEEvSM_
		.amdhsa_group_segment_fixed_size 0
		.amdhsa_private_segment_fixed_size 0
		.amdhsa_kernarg_size 72
		.amdhsa_user_sgpr_count 2
		.amdhsa_user_sgpr_dispatch_ptr 0
		.amdhsa_user_sgpr_queue_ptr 0
		.amdhsa_user_sgpr_kernarg_segment_ptr 1
		.amdhsa_user_sgpr_dispatch_id 0
		.amdhsa_user_sgpr_kernarg_preload_length 0
		.amdhsa_user_sgpr_kernarg_preload_offset 0
		.amdhsa_user_sgpr_private_segment_size 0
		.amdhsa_uses_dynamic_stack 0
		.amdhsa_enable_private_segment 0
		.amdhsa_system_sgpr_workgroup_id_x 1
		.amdhsa_system_sgpr_workgroup_id_y 0
		.amdhsa_system_sgpr_workgroup_id_z 0
		.amdhsa_system_sgpr_workgroup_info 0
		.amdhsa_system_vgpr_workitem_id 0
		.amdhsa_next_free_vgpr 1
		.amdhsa_next_free_sgpr 0
		.amdhsa_accum_offset 4
		.amdhsa_reserve_vcc 0
		.amdhsa_float_round_mode_32 0
		.amdhsa_float_round_mode_16_64 0
		.amdhsa_float_denorm_mode_32 3
		.amdhsa_float_denorm_mode_16_64 3
		.amdhsa_dx10_clamp 1
		.amdhsa_ieee_mode 1
		.amdhsa_fp16_overflow 0
		.amdhsa_tg_split 0
		.amdhsa_exception_fp_ieee_invalid_op 0
		.amdhsa_exception_fp_denorm_src 0
		.amdhsa_exception_fp_ieee_div_zero 0
		.amdhsa_exception_fp_ieee_overflow 0
		.amdhsa_exception_fp_ieee_underflow 0
		.amdhsa_exception_fp_ieee_inexact 0
		.amdhsa_exception_int_div_zero 0
	.end_amdhsa_kernel
	.section	.text._ZN7rocprim17ROCPRIM_400000_NS6detail17trampoline_kernelINS0_14default_configENS1_37merge_sort_block_sort_config_selectorIlNS0_10empty_typeEEEZNS1_21merge_sort_block_sortIS3_PlS8_PS5_S9_ZN2at6native12_GLOBAL__N_124unique_dim_cuda_templateIbEESt5tupleIJNSA_6TensorESF_SF_EERKSF_lbbbEUlllE_EE10hipError_tT0_T1_T2_T3_mRjT4_P12ihipStream_tbNS1_7vsmem_tEEUlT_E_NS1_11comp_targetILNS1_3genE10ELNS1_11target_archE1200ELNS1_3gpuE4ELNS1_3repE0EEENS1_30default_config_static_selectorELNS0_4arch9wavefront6targetE1EEEvSM_,"axG",@progbits,_ZN7rocprim17ROCPRIM_400000_NS6detail17trampoline_kernelINS0_14default_configENS1_37merge_sort_block_sort_config_selectorIlNS0_10empty_typeEEEZNS1_21merge_sort_block_sortIS3_PlS8_PS5_S9_ZN2at6native12_GLOBAL__N_124unique_dim_cuda_templateIbEESt5tupleIJNSA_6TensorESF_SF_EERKSF_lbbbEUlllE_EE10hipError_tT0_T1_T2_T3_mRjT4_P12ihipStream_tbNS1_7vsmem_tEEUlT_E_NS1_11comp_targetILNS1_3genE10ELNS1_11target_archE1200ELNS1_3gpuE4ELNS1_3repE0EEENS1_30default_config_static_selectorELNS0_4arch9wavefront6targetE1EEEvSM_,comdat
.Lfunc_end999:
	.size	_ZN7rocprim17ROCPRIM_400000_NS6detail17trampoline_kernelINS0_14default_configENS1_37merge_sort_block_sort_config_selectorIlNS0_10empty_typeEEEZNS1_21merge_sort_block_sortIS3_PlS8_PS5_S9_ZN2at6native12_GLOBAL__N_124unique_dim_cuda_templateIbEESt5tupleIJNSA_6TensorESF_SF_EERKSF_lbbbEUlllE_EE10hipError_tT0_T1_T2_T3_mRjT4_P12ihipStream_tbNS1_7vsmem_tEEUlT_E_NS1_11comp_targetILNS1_3genE10ELNS1_11target_archE1200ELNS1_3gpuE4ELNS1_3repE0EEENS1_30default_config_static_selectorELNS0_4arch9wavefront6targetE1EEEvSM_, .Lfunc_end999-_ZN7rocprim17ROCPRIM_400000_NS6detail17trampoline_kernelINS0_14default_configENS1_37merge_sort_block_sort_config_selectorIlNS0_10empty_typeEEEZNS1_21merge_sort_block_sortIS3_PlS8_PS5_S9_ZN2at6native12_GLOBAL__N_124unique_dim_cuda_templateIbEESt5tupleIJNSA_6TensorESF_SF_EERKSF_lbbbEUlllE_EE10hipError_tT0_T1_T2_T3_mRjT4_P12ihipStream_tbNS1_7vsmem_tEEUlT_E_NS1_11comp_targetILNS1_3genE10ELNS1_11target_archE1200ELNS1_3gpuE4ELNS1_3repE0EEENS1_30default_config_static_selectorELNS0_4arch9wavefront6targetE1EEEvSM_
                                        ; -- End function
	.set _ZN7rocprim17ROCPRIM_400000_NS6detail17trampoline_kernelINS0_14default_configENS1_37merge_sort_block_sort_config_selectorIlNS0_10empty_typeEEEZNS1_21merge_sort_block_sortIS3_PlS8_PS5_S9_ZN2at6native12_GLOBAL__N_124unique_dim_cuda_templateIbEESt5tupleIJNSA_6TensorESF_SF_EERKSF_lbbbEUlllE_EE10hipError_tT0_T1_T2_T3_mRjT4_P12ihipStream_tbNS1_7vsmem_tEEUlT_E_NS1_11comp_targetILNS1_3genE10ELNS1_11target_archE1200ELNS1_3gpuE4ELNS1_3repE0EEENS1_30default_config_static_selectorELNS0_4arch9wavefront6targetE1EEEvSM_.num_vgpr, 0
	.set _ZN7rocprim17ROCPRIM_400000_NS6detail17trampoline_kernelINS0_14default_configENS1_37merge_sort_block_sort_config_selectorIlNS0_10empty_typeEEEZNS1_21merge_sort_block_sortIS3_PlS8_PS5_S9_ZN2at6native12_GLOBAL__N_124unique_dim_cuda_templateIbEESt5tupleIJNSA_6TensorESF_SF_EERKSF_lbbbEUlllE_EE10hipError_tT0_T1_T2_T3_mRjT4_P12ihipStream_tbNS1_7vsmem_tEEUlT_E_NS1_11comp_targetILNS1_3genE10ELNS1_11target_archE1200ELNS1_3gpuE4ELNS1_3repE0EEENS1_30default_config_static_selectorELNS0_4arch9wavefront6targetE1EEEvSM_.num_agpr, 0
	.set _ZN7rocprim17ROCPRIM_400000_NS6detail17trampoline_kernelINS0_14default_configENS1_37merge_sort_block_sort_config_selectorIlNS0_10empty_typeEEEZNS1_21merge_sort_block_sortIS3_PlS8_PS5_S9_ZN2at6native12_GLOBAL__N_124unique_dim_cuda_templateIbEESt5tupleIJNSA_6TensorESF_SF_EERKSF_lbbbEUlllE_EE10hipError_tT0_T1_T2_T3_mRjT4_P12ihipStream_tbNS1_7vsmem_tEEUlT_E_NS1_11comp_targetILNS1_3genE10ELNS1_11target_archE1200ELNS1_3gpuE4ELNS1_3repE0EEENS1_30default_config_static_selectorELNS0_4arch9wavefront6targetE1EEEvSM_.numbered_sgpr, 0
	.set _ZN7rocprim17ROCPRIM_400000_NS6detail17trampoline_kernelINS0_14default_configENS1_37merge_sort_block_sort_config_selectorIlNS0_10empty_typeEEEZNS1_21merge_sort_block_sortIS3_PlS8_PS5_S9_ZN2at6native12_GLOBAL__N_124unique_dim_cuda_templateIbEESt5tupleIJNSA_6TensorESF_SF_EERKSF_lbbbEUlllE_EE10hipError_tT0_T1_T2_T3_mRjT4_P12ihipStream_tbNS1_7vsmem_tEEUlT_E_NS1_11comp_targetILNS1_3genE10ELNS1_11target_archE1200ELNS1_3gpuE4ELNS1_3repE0EEENS1_30default_config_static_selectorELNS0_4arch9wavefront6targetE1EEEvSM_.num_named_barrier, 0
	.set _ZN7rocprim17ROCPRIM_400000_NS6detail17trampoline_kernelINS0_14default_configENS1_37merge_sort_block_sort_config_selectorIlNS0_10empty_typeEEEZNS1_21merge_sort_block_sortIS3_PlS8_PS5_S9_ZN2at6native12_GLOBAL__N_124unique_dim_cuda_templateIbEESt5tupleIJNSA_6TensorESF_SF_EERKSF_lbbbEUlllE_EE10hipError_tT0_T1_T2_T3_mRjT4_P12ihipStream_tbNS1_7vsmem_tEEUlT_E_NS1_11comp_targetILNS1_3genE10ELNS1_11target_archE1200ELNS1_3gpuE4ELNS1_3repE0EEENS1_30default_config_static_selectorELNS0_4arch9wavefront6targetE1EEEvSM_.private_seg_size, 0
	.set _ZN7rocprim17ROCPRIM_400000_NS6detail17trampoline_kernelINS0_14default_configENS1_37merge_sort_block_sort_config_selectorIlNS0_10empty_typeEEEZNS1_21merge_sort_block_sortIS3_PlS8_PS5_S9_ZN2at6native12_GLOBAL__N_124unique_dim_cuda_templateIbEESt5tupleIJNSA_6TensorESF_SF_EERKSF_lbbbEUlllE_EE10hipError_tT0_T1_T2_T3_mRjT4_P12ihipStream_tbNS1_7vsmem_tEEUlT_E_NS1_11comp_targetILNS1_3genE10ELNS1_11target_archE1200ELNS1_3gpuE4ELNS1_3repE0EEENS1_30default_config_static_selectorELNS0_4arch9wavefront6targetE1EEEvSM_.uses_vcc, 0
	.set _ZN7rocprim17ROCPRIM_400000_NS6detail17trampoline_kernelINS0_14default_configENS1_37merge_sort_block_sort_config_selectorIlNS0_10empty_typeEEEZNS1_21merge_sort_block_sortIS3_PlS8_PS5_S9_ZN2at6native12_GLOBAL__N_124unique_dim_cuda_templateIbEESt5tupleIJNSA_6TensorESF_SF_EERKSF_lbbbEUlllE_EE10hipError_tT0_T1_T2_T3_mRjT4_P12ihipStream_tbNS1_7vsmem_tEEUlT_E_NS1_11comp_targetILNS1_3genE10ELNS1_11target_archE1200ELNS1_3gpuE4ELNS1_3repE0EEENS1_30default_config_static_selectorELNS0_4arch9wavefront6targetE1EEEvSM_.uses_flat_scratch, 0
	.set _ZN7rocprim17ROCPRIM_400000_NS6detail17trampoline_kernelINS0_14default_configENS1_37merge_sort_block_sort_config_selectorIlNS0_10empty_typeEEEZNS1_21merge_sort_block_sortIS3_PlS8_PS5_S9_ZN2at6native12_GLOBAL__N_124unique_dim_cuda_templateIbEESt5tupleIJNSA_6TensorESF_SF_EERKSF_lbbbEUlllE_EE10hipError_tT0_T1_T2_T3_mRjT4_P12ihipStream_tbNS1_7vsmem_tEEUlT_E_NS1_11comp_targetILNS1_3genE10ELNS1_11target_archE1200ELNS1_3gpuE4ELNS1_3repE0EEENS1_30default_config_static_selectorELNS0_4arch9wavefront6targetE1EEEvSM_.has_dyn_sized_stack, 0
	.set _ZN7rocprim17ROCPRIM_400000_NS6detail17trampoline_kernelINS0_14default_configENS1_37merge_sort_block_sort_config_selectorIlNS0_10empty_typeEEEZNS1_21merge_sort_block_sortIS3_PlS8_PS5_S9_ZN2at6native12_GLOBAL__N_124unique_dim_cuda_templateIbEESt5tupleIJNSA_6TensorESF_SF_EERKSF_lbbbEUlllE_EE10hipError_tT0_T1_T2_T3_mRjT4_P12ihipStream_tbNS1_7vsmem_tEEUlT_E_NS1_11comp_targetILNS1_3genE10ELNS1_11target_archE1200ELNS1_3gpuE4ELNS1_3repE0EEENS1_30default_config_static_selectorELNS0_4arch9wavefront6targetE1EEEvSM_.has_recursion, 0
	.set _ZN7rocprim17ROCPRIM_400000_NS6detail17trampoline_kernelINS0_14default_configENS1_37merge_sort_block_sort_config_selectorIlNS0_10empty_typeEEEZNS1_21merge_sort_block_sortIS3_PlS8_PS5_S9_ZN2at6native12_GLOBAL__N_124unique_dim_cuda_templateIbEESt5tupleIJNSA_6TensorESF_SF_EERKSF_lbbbEUlllE_EE10hipError_tT0_T1_T2_T3_mRjT4_P12ihipStream_tbNS1_7vsmem_tEEUlT_E_NS1_11comp_targetILNS1_3genE10ELNS1_11target_archE1200ELNS1_3gpuE4ELNS1_3repE0EEENS1_30default_config_static_selectorELNS0_4arch9wavefront6targetE1EEEvSM_.has_indirect_call, 0
	.section	.AMDGPU.csdata,"",@progbits
; Kernel info:
; codeLenInByte = 0
; TotalNumSgprs: 6
; NumVgprs: 0
; NumAgprs: 0
; TotalNumVgprs: 0
; ScratchSize: 0
; MemoryBound: 0
; FloatMode: 240
; IeeeMode: 1
; LDSByteSize: 0 bytes/workgroup (compile time only)
; SGPRBlocks: 0
; VGPRBlocks: 0
; NumSGPRsForWavesPerEU: 6
; NumVGPRsForWavesPerEU: 1
; AccumOffset: 4
; Occupancy: 8
; WaveLimiterHint : 0
; COMPUTE_PGM_RSRC2:SCRATCH_EN: 0
; COMPUTE_PGM_RSRC2:USER_SGPR: 2
; COMPUTE_PGM_RSRC2:TRAP_HANDLER: 0
; COMPUTE_PGM_RSRC2:TGID_X_EN: 1
; COMPUTE_PGM_RSRC2:TGID_Y_EN: 0
; COMPUTE_PGM_RSRC2:TGID_Z_EN: 0
; COMPUTE_PGM_RSRC2:TIDIG_COMP_CNT: 0
; COMPUTE_PGM_RSRC3_GFX90A:ACCUM_OFFSET: 0
; COMPUTE_PGM_RSRC3_GFX90A:TG_SPLIT: 0
	.section	.text._ZN7rocprim17ROCPRIM_400000_NS6detail17trampoline_kernelINS0_14default_configENS1_37merge_sort_block_sort_config_selectorIlNS0_10empty_typeEEEZNS1_21merge_sort_block_sortIS3_PlS8_PS5_S9_ZN2at6native12_GLOBAL__N_124unique_dim_cuda_templateIbEESt5tupleIJNSA_6TensorESF_SF_EERKSF_lbbbEUlllE_EE10hipError_tT0_T1_T2_T3_mRjT4_P12ihipStream_tbNS1_7vsmem_tEEUlT_E_NS1_11comp_targetILNS1_3genE9ELNS1_11target_archE1100ELNS1_3gpuE3ELNS1_3repE0EEENS1_30default_config_static_selectorELNS0_4arch9wavefront6targetE1EEEvSM_,"axG",@progbits,_ZN7rocprim17ROCPRIM_400000_NS6detail17trampoline_kernelINS0_14default_configENS1_37merge_sort_block_sort_config_selectorIlNS0_10empty_typeEEEZNS1_21merge_sort_block_sortIS3_PlS8_PS5_S9_ZN2at6native12_GLOBAL__N_124unique_dim_cuda_templateIbEESt5tupleIJNSA_6TensorESF_SF_EERKSF_lbbbEUlllE_EE10hipError_tT0_T1_T2_T3_mRjT4_P12ihipStream_tbNS1_7vsmem_tEEUlT_E_NS1_11comp_targetILNS1_3genE9ELNS1_11target_archE1100ELNS1_3gpuE3ELNS1_3repE0EEENS1_30default_config_static_selectorELNS0_4arch9wavefront6targetE1EEEvSM_,comdat
	.globl	_ZN7rocprim17ROCPRIM_400000_NS6detail17trampoline_kernelINS0_14default_configENS1_37merge_sort_block_sort_config_selectorIlNS0_10empty_typeEEEZNS1_21merge_sort_block_sortIS3_PlS8_PS5_S9_ZN2at6native12_GLOBAL__N_124unique_dim_cuda_templateIbEESt5tupleIJNSA_6TensorESF_SF_EERKSF_lbbbEUlllE_EE10hipError_tT0_T1_T2_T3_mRjT4_P12ihipStream_tbNS1_7vsmem_tEEUlT_E_NS1_11comp_targetILNS1_3genE9ELNS1_11target_archE1100ELNS1_3gpuE3ELNS1_3repE0EEENS1_30default_config_static_selectorELNS0_4arch9wavefront6targetE1EEEvSM_ ; -- Begin function _ZN7rocprim17ROCPRIM_400000_NS6detail17trampoline_kernelINS0_14default_configENS1_37merge_sort_block_sort_config_selectorIlNS0_10empty_typeEEEZNS1_21merge_sort_block_sortIS3_PlS8_PS5_S9_ZN2at6native12_GLOBAL__N_124unique_dim_cuda_templateIbEESt5tupleIJNSA_6TensorESF_SF_EERKSF_lbbbEUlllE_EE10hipError_tT0_T1_T2_T3_mRjT4_P12ihipStream_tbNS1_7vsmem_tEEUlT_E_NS1_11comp_targetILNS1_3genE9ELNS1_11target_archE1100ELNS1_3gpuE3ELNS1_3repE0EEENS1_30default_config_static_selectorELNS0_4arch9wavefront6targetE1EEEvSM_
	.p2align	8
	.type	_ZN7rocprim17ROCPRIM_400000_NS6detail17trampoline_kernelINS0_14default_configENS1_37merge_sort_block_sort_config_selectorIlNS0_10empty_typeEEEZNS1_21merge_sort_block_sortIS3_PlS8_PS5_S9_ZN2at6native12_GLOBAL__N_124unique_dim_cuda_templateIbEESt5tupleIJNSA_6TensorESF_SF_EERKSF_lbbbEUlllE_EE10hipError_tT0_T1_T2_T3_mRjT4_P12ihipStream_tbNS1_7vsmem_tEEUlT_E_NS1_11comp_targetILNS1_3genE9ELNS1_11target_archE1100ELNS1_3gpuE3ELNS1_3repE0EEENS1_30default_config_static_selectorELNS0_4arch9wavefront6targetE1EEEvSM_,@function
_ZN7rocprim17ROCPRIM_400000_NS6detail17trampoline_kernelINS0_14default_configENS1_37merge_sort_block_sort_config_selectorIlNS0_10empty_typeEEEZNS1_21merge_sort_block_sortIS3_PlS8_PS5_S9_ZN2at6native12_GLOBAL__N_124unique_dim_cuda_templateIbEESt5tupleIJNSA_6TensorESF_SF_EERKSF_lbbbEUlllE_EE10hipError_tT0_T1_T2_T3_mRjT4_P12ihipStream_tbNS1_7vsmem_tEEUlT_E_NS1_11comp_targetILNS1_3genE9ELNS1_11target_archE1100ELNS1_3gpuE3ELNS1_3repE0EEENS1_30default_config_static_selectorELNS0_4arch9wavefront6targetE1EEEvSM_: ; @_ZN7rocprim17ROCPRIM_400000_NS6detail17trampoline_kernelINS0_14default_configENS1_37merge_sort_block_sort_config_selectorIlNS0_10empty_typeEEEZNS1_21merge_sort_block_sortIS3_PlS8_PS5_S9_ZN2at6native12_GLOBAL__N_124unique_dim_cuda_templateIbEESt5tupleIJNSA_6TensorESF_SF_EERKSF_lbbbEUlllE_EE10hipError_tT0_T1_T2_T3_mRjT4_P12ihipStream_tbNS1_7vsmem_tEEUlT_E_NS1_11comp_targetILNS1_3genE9ELNS1_11target_archE1100ELNS1_3gpuE3ELNS1_3repE0EEENS1_30default_config_static_selectorELNS0_4arch9wavefront6targetE1EEEvSM_
; %bb.0:
	.section	.rodata,"a",@progbits
	.p2align	6, 0x0
	.amdhsa_kernel _ZN7rocprim17ROCPRIM_400000_NS6detail17trampoline_kernelINS0_14default_configENS1_37merge_sort_block_sort_config_selectorIlNS0_10empty_typeEEEZNS1_21merge_sort_block_sortIS3_PlS8_PS5_S9_ZN2at6native12_GLOBAL__N_124unique_dim_cuda_templateIbEESt5tupleIJNSA_6TensorESF_SF_EERKSF_lbbbEUlllE_EE10hipError_tT0_T1_T2_T3_mRjT4_P12ihipStream_tbNS1_7vsmem_tEEUlT_E_NS1_11comp_targetILNS1_3genE9ELNS1_11target_archE1100ELNS1_3gpuE3ELNS1_3repE0EEENS1_30default_config_static_selectorELNS0_4arch9wavefront6targetE1EEEvSM_
		.amdhsa_group_segment_fixed_size 0
		.amdhsa_private_segment_fixed_size 0
		.amdhsa_kernarg_size 72
		.amdhsa_user_sgpr_count 2
		.amdhsa_user_sgpr_dispatch_ptr 0
		.amdhsa_user_sgpr_queue_ptr 0
		.amdhsa_user_sgpr_kernarg_segment_ptr 1
		.amdhsa_user_sgpr_dispatch_id 0
		.amdhsa_user_sgpr_kernarg_preload_length 0
		.amdhsa_user_sgpr_kernarg_preload_offset 0
		.amdhsa_user_sgpr_private_segment_size 0
		.amdhsa_uses_dynamic_stack 0
		.amdhsa_enable_private_segment 0
		.amdhsa_system_sgpr_workgroup_id_x 1
		.amdhsa_system_sgpr_workgroup_id_y 0
		.amdhsa_system_sgpr_workgroup_id_z 0
		.amdhsa_system_sgpr_workgroup_info 0
		.amdhsa_system_vgpr_workitem_id 0
		.amdhsa_next_free_vgpr 1
		.amdhsa_next_free_sgpr 0
		.amdhsa_accum_offset 4
		.amdhsa_reserve_vcc 0
		.amdhsa_float_round_mode_32 0
		.amdhsa_float_round_mode_16_64 0
		.amdhsa_float_denorm_mode_32 3
		.amdhsa_float_denorm_mode_16_64 3
		.amdhsa_dx10_clamp 1
		.amdhsa_ieee_mode 1
		.amdhsa_fp16_overflow 0
		.amdhsa_tg_split 0
		.amdhsa_exception_fp_ieee_invalid_op 0
		.amdhsa_exception_fp_denorm_src 0
		.amdhsa_exception_fp_ieee_div_zero 0
		.amdhsa_exception_fp_ieee_overflow 0
		.amdhsa_exception_fp_ieee_underflow 0
		.amdhsa_exception_fp_ieee_inexact 0
		.amdhsa_exception_int_div_zero 0
	.end_amdhsa_kernel
	.section	.text._ZN7rocprim17ROCPRIM_400000_NS6detail17trampoline_kernelINS0_14default_configENS1_37merge_sort_block_sort_config_selectorIlNS0_10empty_typeEEEZNS1_21merge_sort_block_sortIS3_PlS8_PS5_S9_ZN2at6native12_GLOBAL__N_124unique_dim_cuda_templateIbEESt5tupleIJNSA_6TensorESF_SF_EERKSF_lbbbEUlllE_EE10hipError_tT0_T1_T2_T3_mRjT4_P12ihipStream_tbNS1_7vsmem_tEEUlT_E_NS1_11comp_targetILNS1_3genE9ELNS1_11target_archE1100ELNS1_3gpuE3ELNS1_3repE0EEENS1_30default_config_static_selectorELNS0_4arch9wavefront6targetE1EEEvSM_,"axG",@progbits,_ZN7rocprim17ROCPRIM_400000_NS6detail17trampoline_kernelINS0_14default_configENS1_37merge_sort_block_sort_config_selectorIlNS0_10empty_typeEEEZNS1_21merge_sort_block_sortIS3_PlS8_PS5_S9_ZN2at6native12_GLOBAL__N_124unique_dim_cuda_templateIbEESt5tupleIJNSA_6TensorESF_SF_EERKSF_lbbbEUlllE_EE10hipError_tT0_T1_T2_T3_mRjT4_P12ihipStream_tbNS1_7vsmem_tEEUlT_E_NS1_11comp_targetILNS1_3genE9ELNS1_11target_archE1100ELNS1_3gpuE3ELNS1_3repE0EEENS1_30default_config_static_selectorELNS0_4arch9wavefront6targetE1EEEvSM_,comdat
.Lfunc_end1000:
	.size	_ZN7rocprim17ROCPRIM_400000_NS6detail17trampoline_kernelINS0_14default_configENS1_37merge_sort_block_sort_config_selectorIlNS0_10empty_typeEEEZNS1_21merge_sort_block_sortIS3_PlS8_PS5_S9_ZN2at6native12_GLOBAL__N_124unique_dim_cuda_templateIbEESt5tupleIJNSA_6TensorESF_SF_EERKSF_lbbbEUlllE_EE10hipError_tT0_T1_T2_T3_mRjT4_P12ihipStream_tbNS1_7vsmem_tEEUlT_E_NS1_11comp_targetILNS1_3genE9ELNS1_11target_archE1100ELNS1_3gpuE3ELNS1_3repE0EEENS1_30default_config_static_selectorELNS0_4arch9wavefront6targetE1EEEvSM_, .Lfunc_end1000-_ZN7rocprim17ROCPRIM_400000_NS6detail17trampoline_kernelINS0_14default_configENS1_37merge_sort_block_sort_config_selectorIlNS0_10empty_typeEEEZNS1_21merge_sort_block_sortIS3_PlS8_PS5_S9_ZN2at6native12_GLOBAL__N_124unique_dim_cuda_templateIbEESt5tupleIJNSA_6TensorESF_SF_EERKSF_lbbbEUlllE_EE10hipError_tT0_T1_T2_T3_mRjT4_P12ihipStream_tbNS1_7vsmem_tEEUlT_E_NS1_11comp_targetILNS1_3genE9ELNS1_11target_archE1100ELNS1_3gpuE3ELNS1_3repE0EEENS1_30default_config_static_selectorELNS0_4arch9wavefront6targetE1EEEvSM_
                                        ; -- End function
	.set _ZN7rocprim17ROCPRIM_400000_NS6detail17trampoline_kernelINS0_14default_configENS1_37merge_sort_block_sort_config_selectorIlNS0_10empty_typeEEEZNS1_21merge_sort_block_sortIS3_PlS8_PS5_S9_ZN2at6native12_GLOBAL__N_124unique_dim_cuda_templateIbEESt5tupleIJNSA_6TensorESF_SF_EERKSF_lbbbEUlllE_EE10hipError_tT0_T1_T2_T3_mRjT4_P12ihipStream_tbNS1_7vsmem_tEEUlT_E_NS1_11comp_targetILNS1_3genE9ELNS1_11target_archE1100ELNS1_3gpuE3ELNS1_3repE0EEENS1_30default_config_static_selectorELNS0_4arch9wavefront6targetE1EEEvSM_.num_vgpr, 0
	.set _ZN7rocprim17ROCPRIM_400000_NS6detail17trampoline_kernelINS0_14default_configENS1_37merge_sort_block_sort_config_selectorIlNS0_10empty_typeEEEZNS1_21merge_sort_block_sortIS3_PlS8_PS5_S9_ZN2at6native12_GLOBAL__N_124unique_dim_cuda_templateIbEESt5tupleIJNSA_6TensorESF_SF_EERKSF_lbbbEUlllE_EE10hipError_tT0_T1_T2_T3_mRjT4_P12ihipStream_tbNS1_7vsmem_tEEUlT_E_NS1_11comp_targetILNS1_3genE9ELNS1_11target_archE1100ELNS1_3gpuE3ELNS1_3repE0EEENS1_30default_config_static_selectorELNS0_4arch9wavefront6targetE1EEEvSM_.num_agpr, 0
	.set _ZN7rocprim17ROCPRIM_400000_NS6detail17trampoline_kernelINS0_14default_configENS1_37merge_sort_block_sort_config_selectorIlNS0_10empty_typeEEEZNS1_21merge_sort_block_sortIS3_PlS8_PS5_S9_ZN2at6native12_GLOBAL__N_124unique_dim_cuda_templateIbEESt5tupleIJNSA_6TensorESF_SF_EERKSF_lbbbEUlllE_EE10hipError_tT0_T1_T2_T3_mRjT4_P12ihipStream_tbNS1_7vsmem_tEEUlT_E_NS1_11comp_targetILNS1_3genE9ELNS1_11target_archE1100ELNS1_3gpuE3ELNS1_3repE0EEENS1_30default_config_static_selectorELNS0_4arch9wavefront6targetE1EEEvSM_.numbered_sgpr, 0
	.set _ZN7rocprim17ROCPRIM_400000_NS6detail17trampoline_kernelINS0_14default_configENS1_37merge_sort_block_sort_config_selectorIlNS0_10empty_typeEEEZNS1_21merge_sort_block_sortIS3_PlS8_PS5_S9_ZN2at6native12_GLOBAL__N_124unique_dim_cuda_templateIbEESt5tupleIJNSA_6TensorESF_SF_EERKSF_lbbbEUlllE_EE10hipError_tT0_T1_T2_T3_mRjT4_P12ihipStream_tbNS1_7vsmem_tEEUlT_E_NS1_11comp_targetILNS1_3genE9ELNS1_11target_archE1100ELNS1_3gpuE3ELNS1_3repE0EEENS1_30default_config_static_selectorELNS0_4arch9wavefront6targetE1EEEvSM_.num_named_barrier, 0
	.set _ZN7rocprim17ROCPRIM_400000_NS6detail17trampoline_kernelINS0_14default_configENS1_37merge_sort_block_sort_config_selectorIlNS0_10empty_typeEEEZNS1_21merge_sort_block_sortIS3_PlS8_PS5_S9_ZN2at6native12_GLOBAL__N_124unique_dim_cuda_templateIbEESt5tupleIJNSA_6TensorESF_SF_EERKSF_lbbbEUlllE_EE10hipError_tT0_T1_T2_T3_mRjT4_P12ihipStream_tbNS1_7vsmem_tEEUlT_E_NS1_11comp_targetILNS1_3genE9ELNS1_11target_archE1100ELNS1_3gpuE3ELNS1_3repE0EEENS1_30default_config_static_selectorELNS0_4arch9wavefront6targetE1EEEvSM_.private_seg_size, 0
	.set _ZN7rocprim17ROCPRIM_400000_NS6detail17trampoline_kernelINS0_14default_configENS1_37merge_sort_block_sort_config_selectorIlNS0_10empty_typeEEEZNS1_21merge_sort_block_sortIS3_PlS8_PS5_S9_ZN2at6native12_GLOBAL__N_124unique_dim_cuda_templateIbEESt5tupleIJNSA_6TensorESF_SF_EERKSF_lbbbEUlllE_EE10hipError_tT0_T1_T2_T3_mRjT4_P12ihipStream_tbNS1_7vsmem_tEEUlT_E_NS1_11comp_targetILNS1_3genE9ELNS1_11target_archE1100ELNS1_3gpuE3ELNS1_3repE0EEENS1_30default_config_static_selectorELNS0_4arch9wavefront6targetE1EEEvSM_.uses_vcc, 0
	.set _ZN7rocprim17ROCPRIM_400000_NS6detail17trampoline_kernelINS0_14default_configENS1_37merge_sort_block_sort_config_selectorIlNS0_10empty_typeEEEZNS1_21merge_sort_block_sortIS3_PlS8_PS5_S9_ZN2at6native12_GLOBAL__N_124unique_dim_cuda_templateIbEESt5tupleIJNSA_6TensorESF_SF_EERKSF_lbbbEUlllE_EE10hipError_tT0_T1_T2_T3_mRjT4_P12ihipStream_tbNS1_7vsmem_tEEUlT_E_NS1_11comp_targetILNS1_3genE9ELNS1_11target_archE1100ELNS1_3gpuE3ELNS1_3repE0EEENS1_30default_config_static_selectorELNS0_4arch9wavefront6targetE1EEEvSM_.uses_flat_scratch, 0
	.set _ZN7rocprim17ROCPRIM_400000_NS6detail17trampoline_kernelINS0_14default_configENS1_37merge_sort_block_sort_config_selectorIlNS0_10empty_typeEEEZNS1_21merge_sort_block_sortIS3_PlS8_PS5_S9_ZN2at6native12_GLOBAL__N_124unique_dim_cuda_templateIbEESt5tupleIJNSA_6TensorESF_SF_EERKSF_lbbbEUlllE_EE10hipError_tT0_T1_T2_T3_mRjT4_P12ihipStream_tbNS1_7vsmem_tEEUlT_E_NS1_11comp_targetILNS1_3genE9ELNS1_11target_archE1100ELNS1_3gpuE3ELNS1_3repE0EEENS1_30default_config_static_selectorELNS0_4arch9wavefront6targetE1EEEvSM_.has_dyn_sized_stack, 0
	.set _ZN7rocprim17ROCPRIM_400000_NS6detail17trampoline_kernelINS0_14default_configENS1_37merge_sort_block_sort_config_selectorIlNS0_10empty_typeEEEZNS1_21merge_sort_block_sortIS3_PlS8_PS5_S9_ZN2at6native12_GLOBAL__N_124unique_dim_cuda_templateIbEESt5tupleIJNSA_6TensorESF_SF_EERKSF_lbbbEUlllE_EE10hipError_tT0_T1_T2_T3_mRjT4_P12ihipStream_tbNS1_7vsmem_tEEUlT_E_NS1_11comp_targetILNS1_3genE9ELNS1_11target_archE1100ELNS1_3gpuE3ELNS1_3repE0EEENS1_30default_config_static_selectorELNS0_4arch9wavefront6targetE1EEEvSM_.has_recursion, 0
	.set _ZN7rocprim17ROCPRIM_400000_NS6detail17trampoline_kernelINS0_14default_configENS1_37merge_sort_block_sort_config_selectorIlNS0_10empty_typeEEEZNS1_21merge_sort_block_sortIS3_PlS8_PS5_S9_ZN2at6native12_GLOBAL__N_124unique_dim_cuda_templateIbEESt5tupleIJNSA_6TensorESF_SF_EERKSF_lbbbEUlllE_EE10hipError_tT0_T1_T2_T3_mRjT4_P12ihipStream_tbNS1_7vsmem_tEEUlT_E_NS1_11comp_targetILNS1_3genE9ELNS1_11target_archE1100ELNS1_3gpuE3ELNS1_3repE0EEENS1_30default_config_static_selectorELNS0_4arch9wavefront6targetE1EEEvSM_.has_indirect_call, 0
	.section	.AMDGPU.csdata,"",@progbits
; Kernel info:
; codeLenInByte = 0
; TotalNumSgprs: 6
; NumVgprs: 0
; NumAgprs: 0
; TotalNumVgprs: 0
; ScratchSize: 0
; MemoryBound: 0
; FloatMode: 240
; IeeeMode: 1
; LDSByteSize: 0 bytes/workgroup (compile time only)
; SGPRBlocks: 0
; VGPRBlocks: 0
; NumSGPRsForWavesPerEU: 6
; NumVGPRsForWavesPerEU: 1
; AccumOffset: 4
; Occupancy: 8
; WaveLimiterHint : 0
; COMPUTE_PGM_RSRC2:SCRATCH_EN: 0
; COMPUTE_PGM_RSRC2:USER_SGPR: 2
; COMPUTE_PGM_RSRC2:TRAP_HANDLER: 0
; COMPUTE_PGM_RSRC2:TGID_X_EN: 1
; COMPUTE_PGM_RSRC2:TGID_Y_EN: 0
; COMPUTE_PGM_RSRC2:TGID_Z_EN: 0
; COMPUTE_PGM_RSRC2:TIDIG_COMP_CNT: 0
; COMPUTE_PGM_RSRC3_GFX90A:ACCUM_OFFSET: 0
; COMPUTE_PGM_RSRC3_GFX90A:TG_SPLIT: 0
	.section	.text._ZN7rocprim17ROCPRIM_400000_NS6detail17trampoline_kernelINS0_14default_configENS1_37merge_sort_block_sort_config_selectorIlNS0_10empty_typeEEEZNS1_21merge_sort_block_sortIS3_PlS8_PS5_S9_ZN2at6native12_GLOBAL__N_124unique_dim_cuda_templateIbEESt5tupleIJNSA_6TensorESF_SF_EERKSF_lbbbEUlllE_EE10hipError_tT0_T1_T2_T3_mRjT4_P12ihipStream_tbNS1_7vsmem_tEEUlT_E_NS1_11comp_targetILNS1_3genE8ELNS1_11target_archE1030ELNS1_3gpuE2ELNS1_3repE0EEENS1_30default_config_static_selectorELNS0_4arch9wavefront6targetE1EEEvSM_,"axG",@progbits,_ZN7rocprim17ROCPRIM_400000_NS6detail17trampoline_kernelINS0_14default_configENS1_37merge_sort_block_sort_config_selectorIlNS0_10empty_typeEEEZNS1_21merge_sort_block_sortIS3_PlS8_PS5_S9_ZN2at6native12_GLOBAL__N_124unique_dim_cuda_templateIbEESt5tupleIJNSA_6TensorESF_SF_EERKSF_lbbbEUlllE_EE10hipError_tT0_T1_T2_T3_mRjT4_P12ihipStream_tbNS1_7vsmem_tEEUlT_E_NS1_11comp_targetILNS1_3genE8ELNS1_11target_archE1030ELNS1_3gpuE2ELNS1_3repE0EEENS1_30default_config_static_selectorELNS0_4arch9wavefront6targetE1EEEvSM_,comdat
	.globl	_ZN7rocprim17ROCPRIM_400000_NS6detail17trampoline_kernelINS0_14default_configENS1_37merge_sort_block_sort_config_selectorIlNS0_10empty_typeEEEZNS1_21merge_sort_block_sortIS3_PlS8_PS5_S9_ZN2at6native12_GLOBAL__N_124unique_dim_cuda_templateIbEESt5tupleIJNSA_6TensorESF_SF_EERKSF_lbbbEUlllE_EE10hipError_tT0_T1_T2_T3_mRjT4_P12ihipStream_tbNS1_7vsmem_tEEUlT_E_NS1_11comp_targetILNS1_3genE8ELNS1_11target_archE1030ELNS1_3gpuE2ELNS1_3repE0EEENS1_30default_config_static_selectorELNS0_4arch9wavefront6targetE1EEEvSM_ ; -- Begin function _ZN7rocprim17ROCPRIM_400000_NS6detail17trampoline_kernelINS0_14default_configENS1_37merge_sort_block_sort_config_selectorIlNS0_10empty_typeEEEZNS1_21merge_sort_block_sortIS3_PlS8_PS5_S9_ZN2at6native12_GLOBAL__N_124unique_dim_cuda_templateIbEESt5tupleIJNSA_6TensorESF_SF_EERKSF_lbbbEUlllE_EE10hipError_tT0_T1_T2_T3_mRjT4_P12ihipStream_tbNS1_7vsmem_tEEUlT_E_NS1_11comp_targetILNS1_3genE8ELNS1_11target_archE1030ELNS1_3gpuE2ELNS1_3repE0EEENS1_30default_config_static_selectorELNS0_4arch9wavefront6targetE1EEEvSM_
	.p2align	8
	.type	_ZN7rocprim17ROCPRIM_400000_NS6detail17trampoline_kernelINS0_14default_configENS1_37merge_sort_block_sort_config_selectorIlNS0_10empty_typeEEEZNS1_21merge_sort_block_sortIS3_PlS8_PS5_S9_ZN2at6native12_GLOBAL__N_124unique_dim_cuda_templateIbEESt5tupleIJNSA_6TensorESF_SF_EERKSF_lbbbEUlllE_EE10hipError_tT0_T1_T2_T3_mRjT4_P12ihipStream_tbNS1_7vsmem_tEEUlT_E_NS1_11comp_targetILNS1_3genE8ELNS1_11target_archE1030ELNS1_3gpuE2ELNS1_3repE0EEENS1_30default_config_static_selectorELNS0_4arch9wavefront6targetE1EEEvSM_,@function
_ZN7rocprim17ROCPRIM_400000_NS6detail17trampoline_kernelINS0_14default_configENS1_37merge_sort_block_sort_config_selectorIlNS0_10empty_typeEEEZNS1_21merge_sort_block_sortIS3_PlS8_PS5_S9_ZN2at6native12_GLOBAL__N_124unique_dim_cuda_templateIbEESt5tupleIJNSA_6TensorESF_SF_EERKSF_lbbbEUlllE_EE10hipError_tT0_T1_T2_T3_mRjT4_P12ihipStream_tbNS1_7vsmem_tEEUlT_E_NS1_11comp_targetILNS1_3genE8ELNS1_11target_archE1030ELNS1_3gpuE2ELNS1_3repE0EEENS1_30default_config_static_selectorELNS0_4arch9wavefront6targetE1EEEvSM_: ; @_ZN7rocprim17ROCPRIM_400000_NS6detail17trampoline_kernelINS0_14default_configENS1_37merge_sort_block_sort_config_selectorIlNS0_10empty_typeEEEZNS1_21merge_sort_block_sortIS3_PlS8_PS5_S9_ZN2at6native12_GLOBAL__N_124unique_dim_cuda_templateIbEESt5tupleIJNSA_6TensorESF_SF_EERKSF_lbbbEUlllE_EE10hipError_tT0_T1_T2_T3_mRjT4_P12ihipStream_tbNS1_7vsmem_tEEUlT_E_NS1_11comp_targetILNS1_3genE8ELNS1_11target_archE1030ELNS1_3gpuE2ELNS1_3repE0EEENS1_30default_config_static_selectorELNS0_4arch9wavefront6targetE1EEEvSM_
; %bb.0:
	.section	.rodata,"a",@progbits
	.p2align	6, 0x0
	.amdhsa_kernel _ZN7rocprim17ROCPRIM_400000_NS6detail17trampoline_kernelINS0_14default_configENS1_37merge_sort_block_sort_config_selectorIlNS0_10empty_typeEEEZNS1_21merge_sort_block_sortIS3_PlS8_PS5_S9_ZN2at6native12_GLOBAL__N_124unique_dim_cuda_templateIbEESt5tupleIJNSA_6TensorESF_SF_EERKSF_lbbbEUlllE_EE10hipError_tT0_T1_T2_T3_mRjT4_P12ihipStream_tbNS1_7vsmem_tEEUlT_E_NS1_11comp_targetILNS1_3genE8ELNS1_11target_archE1030ELNS1_3gpuE2ELNS1_3repE0EEENS1_30default_config_static_selectorELNS0_4arch9wavefront6targetE1EEEvSM_
		.amdhsa_group_segment_fixed_size 0
		.amdhsa_private_segment_fixed_size 0
		.amdhsa_kernarg_size 72
		.amdhsa_user_sgpr_count 2
		.amdhsa_user_sgpr_dispatch_ptr 0
		.amdhsa_user_sgpr_queue_ptr 0
		.amdhsa_user_sgpr_kernarg_segment_ptr 1
		.amdhsa_user_sgpr_dispatch_id 0
		.amdhsa_user_sgpr_kernarg_preload_length 0
		.amdhsa_user_sgpr_kernarg_preload_offset 0
		.amdhsa_user_sgpr_private_segment_size 0
		.amdhsa_uses_dynamic_stack 0
		.amdhsa_enable_private_segment 0
		.amdhsa_system_sgpr_workgroup_id_x 1
		.amdhsa_system_sgpr_workgroup_id_y 0
		.amdhsa_system_sgpr_workgroup_id_z 0
		.amdhsa_system_sgpr_workgroup_info 0
		.amdhsa_system_vgpr_workitem_id 0
		.amdhsa_next_free_vgpr 1
		.amdhsa_next_free_sgpr 0
		.amdhsa_accum_offset 4
		.amdhsa_reserve_vcc 0
		.amdhsa_float_round_mode_32 0
		.amdhsa_float_round_mode_16_64 0
		.amdhsa_float_denorm_mode_32 3
		.amdhsa_float_denorm_mode_16_64 3
		.amdhsa_dx10_clamp 1
		.amdhsa_ieee_mode 1
		.amdhsa_fp16_overflow 0
		.amdhsa_tg_split 0
		.amdhsa_exception_fp_ieee_invalid_op 0
		.amdhsa_exception_fp_denorm_src 0
		.amdhsa_exception_fp_ieee_div_zero 0
		.amdhsa_exception_fp_ieee_overflow 0
		.amdhsa_exception_fp_ieee_underflow 0
		.amdhsa_exception_fp_ieee_inexact 0
		.amdhsa_exception_int_div_zero 0
	.end_amdhsa_kernel
	.section	.text._ZN7rocprim17ROCPRIM_400000_NS6detail17trampoline_kernelINS0_14default_configENS1_37merge_sort_block_sort_config_selectorIlNS0_10empty_typeEEEZNS1_21merge_sort_block_sortIS3_PlS8_PS5_S9_ZN2at6native12_GLOBAL__N_124unique_dim_cuda_templateIbEESt5tupleIJNSA_6TensorESF_SF_EERKSF_lbbbEUlllE_EE10hipError_tT0_T1_T2_T3_mRjT4_P12ihipStream_tbNS1_7vsmem_tEEUlT_E_NS1_11comp_targetILNS1_3genE8ELNS1_11target_archE1030ELNS1_3gpuE2ELNS1_3repE0EEENS1_30default_config_static_selectorELNS0_4arch9wavefront6targetE1EEEvSM_,"axG",@progbits,_ZN7rocprim17ROCPRIM_400000_NS6detail17trampoline_kernelINS0_14default_configENS1_37merge_sort_block_sort_config_selectorIlNS0_10empty_typeEEEZNS1_21merge_sort_block_sortIS3_PlS8_PS5_S9_ZN2at6native12_GLOBAL__N_124unique_dim_cuda_templateIbEESt5tupleIJNSA_6TensorESF_SF_EERKSF_lbbbEUlllE_EE10hipError_tT0_T1_T2_T3_mRjT4_P12ihipStream_tbNS1_7vsmem_tEEUlT_E_NS1_11comp_targetILNS1_3genE8ELNS1_11target_archE1030ELNS1_3gpuE2ELNS1_3repE0EEENS1_30default_config_static_selectorELNS0_4arch9wavefront6targetE1EEEvSM_,comdat
.Lfunc_end1001:
	.size	_ZN7rocprim17ROCPRIM_400000_NS6detail17trampoline_kernelINS0_14default_configENS1_37merge_sort_block_sort_config_selectorIlNS0_10empty_typeEEEZNS1_21merge_sort_block_sortIS3_PlS8_PS5_S9_ZN2at6native12_GLOBAL__N_124unique_dim_cuda_templateIbEESt5tupleIJNSA_6TensorESF_SF_EERKSF_lbbbEUlllE_EE10hipError_tT0_T1_T2_T3_mRjT4_P12ihipStream_tbNS1_7vsmem_tEEUlT_E_NS1_11comp_targetILNS1_3genE8ELNS1_11target_archE1030ELNS1_3gpuE2ELNS1_3repE0EEENS1_30default_config_static_selectorELNS0_4arch9wavefront6targetE1EEEvSM_, .Lfunc_end1001-_ZN7rocprim17ROCPRIM_400000_NS6detail17trampoline_kernelINS0_14default_configENS1_37merge_sort_block_sort_config_selectorIlNS0_10empty_typeEEEZNS1_21merge_sort_block_sortIS3_PlS8_PS5_S9_ZN2at6native12_GLOBAL__N_124unique_dim_cuda_templateIbEESt5tupleIJNSA_6TensorESF_SF_EERKSF_lbbbEUlllE_EE10hipError_tT0_T1_T2_T3_mRjT4_P12ihipStream_tbNS1_7vsmem_tEEUlT_E_NS1_11comp_targetILNS1_3genE8ELNS1_11target_archE1030ELNS1_3gpuE2ELNS1_3repE0EEENS1_30default_config_static_selectorELNS0_4arch9wavefront6targetE1EEEvSM_
                                        ; -- End function
	.set _ZN7rocprim17ROCPRIM_400000_NS6detail17trampoline_kernelINS0_14default_configENS1_37merge_sort_block_sort_config_selectorIlNS0_10empty_typeEEEZNS1_21merge_sort_block_sortIS3_PlS8_PS5_S9_ZN2at6native12_GLOBAL__N_124unique_dim_cuda_templateIbEESt5tupleIJNSA_6TensorESF_SF_EERKSF_lbbbEUlllE_EE10hipError_tT0_T1_T2_T3_mRjT4_P12ihipStream_tbNS1_7vsmem_tEEUlT_E_NS1_11comp_targetILNS1_3genE8ELNS1_11target_archE1030ELNS1_3gpuE2ELNS1_3repE0EEENS1_30default_config_static_selectorELNS0_4arch9wavefront6targetE1EEEvSM_.num_vgpr, 0
	.set _ZN7rocprim17ROCPRIM_400000_NS6detail17trampoline_kernelINS0_14default_configENS1_37merge_sort_block_sort_config_selectorIlNS0_10empty_typeEEEZNS1_21merge_sort_block_sortIS3_PlS8_PS5_S9_ZN2at6native12_GLOBAL__N_124unique_dim_cuda_templateIbEESt5tupleIJNSA_6TensorESF_SF_EERKSF_lbbbEUlllE_EE10hipError_tT0_T1_T2_T3_mRjT4_P12ihipStream_tbNS1_7vsmem_tEEUlT_E_NS1_11comp_targetILNS1_3genE8ELNS1_11target_archE1030ELNS1_3gpuE2ELNS1_3repE0EEENS1_30default_config_static_selectorELNS0_4arch9wavefront6targetE1EEEvSM_.num_agpr, 0
	.set _ZN7rocprim17ROCPRIM_400000_NS6detail17trampoline_kernelINS0_14default_configENS1_37merge_sort_block_sort_config_selectorIlNS0_10empty_typeEEEZNS1_21merge_sort_block_sortIS3_PlS8_PS5_S9_ZN2at6native12_GLOBAL__N_124unique_dim_cuda_templateIbEESt5tupleIJNSA_6TensorESF_SF_EERKSF_lbbbEUlllE_EE10hipError_tT0_T1_T2_T3_mRjT4_P12ihipStream_tbNS1_7vsmem_tEEUlT_E_NS1_11comp_targetILNS1_3genE8ELNS1_11target_archE1030ELNS1_3gpuE2ELNS1_3repE0EEENS1_30default_config_static_selectorELNS0_4arch9wavefront6targetE1EEEvSM_.numbered_sgpr, 0
	.set _ZN7rocprim17ROCPRIM_400000_NS6detail17trampoline_kernelINS0_14default_configENS1_37merge_sort_block_sort_config_selectorIlNS0_10empty_typeEEEZNS1_21merge_sort_block_sortIS3_PlS8_PS5_S9_ZN2at6native12_GLOBAL__N_124unique_dim_cuda_templateIbEESt5tupleIJNSA_6TensorESF_SF_EERKSF_lbbbEUlllE_EE10hipError_tT0_T1_T2_T3_mRjT4_P12ihipStream_tbNS1_7vsmem_tEEUlT_E_NS1_11comp_targetILNS1_3genE8ELNS1_11target_archE1030ELNS1_3gpuE2ELNS1_3repE0EEENS1_30default_config_static_selectorELNS0_4arch9wavefront6targetE1EEEvSM_.num_named_barrier, 0
	.set _ZN7rocprim17ROCPRIM_400000_NS6detail17trampoline_kernelINS0_14default_configENS1_37merge_sort_block_sort_config_selectorIlNS0_10empty_typeEEEZNS1_21merge_sort_block_sortIS3_PlS8_PS5_S9_ZN2at6native12_GLOBAL__N_124unique_dim_cuda_templateIbEESt5tupleIJNSA_6TensorESF_SF_EERKSF_lbbbEUlllE_EE10hipError_tT0_T1_T2_T3_mRjT4_P12ihipStream_tbNS1_7vsmem_tEEUlT_E_NS1_11comp_targetILNS1_3genE8ELNS1_11target_archE1030ELNS1_3gpuE2ELNS1_3repE0EEENS1_30default_config_static_selectorELNS0_4arch9wavefront6targetE1EEEvSM_.private_seg_size, 0
	.set _ZN7rocprim17ROCPRIM_400000_NS6detail17trampoline_kernelINS0_14default_configENS1_37merge_sort_block_sort_config_selectorIlNS0_10empty_typeEEEZNS1_21merge_sort_block_sortIS3_PlS8_PS5_S9_ZN2at6native12_GLOBAL__N_124unique_dim_cuda_templateIbEESt5tupleIJNSA_6TensorESF_SF_EERKSF_lbbbEUlllE_EE10hipError_tT0_T1_T2_T3_mRjT4_P12ihipStream_tbNS1_7vsmem_tEEUlT_E_NS1_11comp_targetILNS1_3genE8ELNS1_11target_archE1030ELNS1_3gpuE2ELNS1_3repE0EEENS1_30default_config_static_selectorELNS0_4arch9wavefront6targetE1EEEvSM_.uses_vcc, 0
	.set _ZN7rocprim17ROCPRIM_400000_NS6detail17trampoline_kernelINS0_14default_configENS1_37merge_sort_block_sort_config_selectorIlNS0_10empty_typeEEEZNS1_21merge_sort_block_sortIS3_PlS8_PS5_S9_ZN2at6native12_GLOBAL__N_124unique_dim_cuda_templateIbEESt5tupleIJNSA_6TensorESF_SF_EERKSF_lbbbEUlllE_EE10hipError_tT0_T1_T2_T3_mRjT4_P12ihipStream_tbNS1_7vsmem_tEEUlT_E_NS1_11comp_targetILNS1_3genE8ELNS1_11target_archE1030ELNS1_3gpuE2ELNS1_3repE0EEENS1_30default_config_static_selectorELNS0_4arch9wavefront6targetE1EEEvSM_.uses_flat_scratch, 0
	.set _ZN7rocprim17ROCPRIM_400000_NS6detail17trampoline_kernelINS0_14default_configENS1_37merge_sort_block_sort_config_selectorIlNS0_10empty_typeEEEZNS1_21merge_sort_block_sortIS3_PlS8_PS5_S9_ZN2at6native12_GLOBAL__N_124unique_dim_cuda_templateIbEESt5tupleIJNSA_6TensorESF_SF_EERKSF_lbbbEUlllE_EE10hipError_tT0_T1_T2_T3_mRjT4_P12ihipStream_tbNS1_7vsmem_tEEUlT_E_NS1_11comp_targetILNS1_3genE8ELNS1_11target_archE1030ELNS1_3gpuE2ELNS1_3repE0EEENS1_30default_config_static_selectorELNS0_4arch9wavefront6targetE1EEEvSM_.has_dyn_sized_stack, 0
	.set _ZN7rocprim17ROCPRIM_400000_NS6detail17trampoline_kernelINS0_14default_configENS1_37merge_sort_block_sort_config_selectorIlNS0_10empty_typeEEEZNS1_21merge_sort_block_sortIS3_PlS8_PS5_S9_ZN2at6native12_GLOBAL__N_124unique_dim_cuda_templateIbEESt5tupleIJNSA_6TensorESF_SF_EERKSF_lbbbEUlllE_EE10hipError_tT0_T1_T2_T3_mRjT4_P12ihipStream_tbNS1_7vsmem_tEEUlT_E_NS1_11comp_targetILNS1_3genE8ELNS1_11target_archE1030ELNS1_3gpuE2ELNS1_3repE0EEENS1_30default_config_static_selectorELNS0_4arch9wavefront6targetE1EEEvSM_.has_recursion, 0
	.set _ZN7rocprim17ROCPRIM_400000_NS6detail17trampoline_kernelINS0_14default_configENS1_37merge_sort_block_sort_config_selectorIlNS0_10empty_typeEEEZNS1_21merge_sort_block_sortIS3_PlS8_PS5_S9_ZN2at6native12_GLOBAL__N_124unique_dim_cuda_templateIbEESt5tupleIJNSA_6TensorESF_SF_EERKSF_lbbbEUlllE_EE10hipError_tT0_T1_T2_T3_mRjT4_P12ihipStream_tbNS1_7vsmem_tEEUlT_E_NS1_11comp_targetILNS1_3genE8ELNS1_11target_archE1030ELNS1_3gpuE2ELNS1_3repE0EEENS1_30default_config_static_selectorELNS0_4arch9wavefront6targetE1EEEvSM_.has_indirect_call, 0
	.section	.AMDGPU.csdata,"",@progbits
; Kernel info:
; codeLenInByte = 0
; TotalNumSgprs: 6
; NumVgprs: 0
; NumAgprs: 0
; TotalNumVgprs: 0
; ScratchSize: 0
; MemoryBound: 0
; FloatMode: 240
; IeeeMode: 1
; LDSByteSize: 0 bytes/workgroup (compile time only)
; SGPRBlocks: 0
; VGPRBlocks: 0
; NumSGPRsForWavesPerEU: 6
; NumVGPRsForWavesPerEU: 1
; AccumOffset: 4
; Occupancy: 8
; WaveLimiterHint : 0
; COMPUTE_PGM_RSRC2:SCRATCH_EN: 0
; COMPUTE_PGM_RSRC2:USER_SGPR: 2
; COMPUTE_PGM_RSRC2:TRAP_HANDLER: 0
; COMPUTE_PGM_RSRC2:TGID_X_EN: 1
; COMPUTE_PGM_RSRC2:TGID_Y_EN: 0
; COMPUTE_PGM_RSRC2:TGID_Z_EN: 0
; COMPUTE_PGM_RSRC2:TIDIG_COMP_CNT: 0
; COMPUTE_PGM_RSRC3_GFX90A:ACCUM_OFFSET: 0
; COMPUTE_PGM_RSRC3_GFX90A:TG_SPLIT: 0
	.section	.text._ZN7rocprim17ROCPRIM_400000_NS6detail17trampoline_kernelINS0_14default_configENS1_38merge_sort_block_merge_config_selectorIlNS0_10empty_typeEEEZZNS1_27merge_sort_block_merge_implIS3_PlPS5_mZN2at6native12_GLOBAL__N_124unique_dim_cuda_templateIbEESt5tupleIJNSA_6TensorESF_SF_EERKSF_lbbbEUlllE_EE10hipError_tT0_T1_T2_jT3_P12ihipStream_tbPNSt15iterator_traitsISL_E10value_typeEPNSR_ISM_E10value_typeEPSN_NS1_7vsmem_tEENKUlT_SL_SM_SN_E_clIS8_S8_S9_S9_EESK_S10_SL_SM_SN_EUlS10_E_NS1_11comp_targetILNS1_3genE0ELNS1_11target_archE4294967295ELNS1_3gpuE0ELNS1_3repE0EEENS1_48merge_mergepath_partition_config_static_selectorELNS0_4arch9wavefront6targetE1EEEvSM_,"axG",@progbits,_ZN7rocprim17ROCPRIM_400000_NS6detail17trampoline_kernelINS0_14default_configENS1_38merge_sort_block_merge_config_selectorIlNS0_10empty_typeEEEZZNS1_27merge_sort_block_merge_implIS3_PlPS5_mZN2at6native12_GLOBAL__N_124unique_dim_cuda_templateIbEESt5tupleIJNSA_6TensorESF_SF_EERKSF_lbbbEUlllE_EE10hipError_tT0_T1_T2_jT3_P12ihipStream_tbPNSt15iterator_traitsISL_E10value_typeEPNSR_ISM_E10value_typeEPSN_NS1_7vsmem_tEENKUlT_SL_SM_SN_E_clIS8_S8_S9_S9_EESK_S10_SL_SM_SN_EUlS10_E_NS1_11comp_targetILNS1_3genE0ELNS1_11target_archE4294967295ELNS1_3gpuE0ELNS1_3repE0EEENS1_48merge_mergepath_partition_config_static_selectorELNS0_4arch9wavefront6targetE1EEEvSM_,comdat
	.globl	_ZN7rocprim17ROCPRIM_400000_NS6detail17trampoline_kernelINS0_14default_configENS1_38merge_sort_block_merge_config_selectorIlNS0_10empty_typeEEEZZNS1_27merge_sort_block_merge_implIS3_PlPS5_mZN2at6native12_GLOBAL__N_124unique_dim_cuda_templateIbEESt5tupleIJNSA_6TensorESF_SF_EERKSF_lbbbEUlllE_EE10hipError_tT0_T1_T2_jT3_P12ihipStream_tbPNSt15iterator_traitsISL_E10value_typeEPNSR_ISM_E10value_typeEPSN_NS1_7vsmem_tEENKUlT_SL_SM_SN_E_clIS8_S8_S9_S9_EESK_S10_SL_SM_SN_EUlS10_E_NS1_11comp_targetILNS1_3genE0ELNS1_11target_archE4294967295ELNS1_3gpuE0ELNS1_3repE0EEENS1_48merge_mergepath_partition_config_static_selectorELNS0_4arch9wavefront6targetE1EEEvSM_ ; -- Begin function _ZN7rocprim17ROCPRIM_400000_NS6detail17trampoline_kernelINS0_14default_configENS1_38merge_sort_block_merge_config_selectorIlNS0_10empty_typeEEEZZNS1_27merge_sort_block_merge_implIS3_PlPS5_mZN2at6native12_GLOBAL__N_124unique_dim_cuda_templateIbEESt5tupleIJNSA_6TensorESF_SF_EERKSF_lbbbEUlllE_EE10hipError_tT0_T1_T2_jT3_P12ihipStream_tbPNSt15iterator_traitsISL_E10value_typeEPNSR_ISM_E10value_typeEPSN_NS1_7vsmem_tEENKUlT_SL_SM_SN_E_clIS8_S8_S9_S9_EESK_S10_SL_SM_SN_EUlS10_E_NS1_11comp_targetILNS1_3genE0ELNS1_11target_archE4294967295ELNS1_3gpuE0ELNS1_3repE0EEENS1_48merge_mergepath_partition_config_static_selectorELNS0_4arch9wavefront6targetE1EEEvSM_
	.p2align	8
	.type	_ZN7rocprim17ROCPRIM_400000_NS6detail17trampoline_kernelINS0_14default_configENS1_38merge_sort_block_merge_config_selectorIlNS0_10empty_typeEEEZZNS1_27merge_sort_block_merge_implIS3_PlPS5_mZN2at6native12_GLOBAL__N_124unique_dim_cuda_templateIbEESt5tupleIJNSA_6TensorESF_SF_EERKSF_lbbbEUlllE_EE10hipError_tT0_T1_T2_jT3_P12ihipStream_tbPNSt15iterator_traitsISL_E10value_typeEPNSR_ISM_E10value_typeEPSN_NS1_7vsmem_tEENKUlT_SL_SM_SN_E_clIS8_S8_S9_S9_EESK_S10_SL_SM_SN_EUlS10_E_NS1_11comp_targetILNS1_3genE0ELNS1_11target_archE4294967295ELNS1_3gpuE0ELNS1_3repE0EEENS1_48merge_mergepath_partition_config_static_selectorELNS0_4arch9wavefront6targetE1EEEvSM_,@function
_ZN7rocprim17ROCPRIM_400000_NS6detail17trampoline_kernelINS0_14default_configENS1_38merge_sort_block_merge_config_selectorIlNS0_10empty_typeEEEZZNS1_27merge_sort_block_merge_implIS3_PlPS5_mZN2at6native12_GLOBAL__N_124unique_dim_cuda_templateIbEESt5tupleIJNSA_6TensorESF_SF_EERKSF_lbbbEUlllE_EE10hipError_tT0_T1_T2_jT3_P12ihipStream_tbPNSt15iterator_traitsISL_E10value_typeEPNSR_ISM_E10value_typeEPSN_NS1_7vsmem_tEENKUlT_SL_SM_SN_E_clIS8_S8_S9_S9_EESK_S10_SL_SM_SN_EUlS10_E_NS1_11comp_targetILNS1_3genE0ELNS1_11target_archE4294967295ELNS1_3gpuE0ELNS1_3repE0EEENS1_48merge_mergepath_partition_config_static_selectorELNS0_4arch9wavefront6targetE1EEEvSM_: ; @_ZN7rocprim17ROCPRIM_400000_NS6detail17trampoline_kernelINS0_14default_configENS1_38merge_sort_block_merge_config_selectorIlNS0_10empty_typeEEEZZNS1_27merge_sort_block_merge_implIS3_PlPS5_mZN2at6native12_GLOBAL__N_124unique_dim_cuda_templateIbEESt5tupleIJNSA_6TensorESF_SF_EERKSF_lbbbEUlllE_EE10hipError_tT0_T1_T2_jT3_P12ihipStream_tbPNSt15iterator_traitsISL_E10value_typeEPNSR_ISM_E10value_typeEPSN_NS1_7vsmem_tEENKUlT_SL_SM_SN_E_clIS8_S8_S9_S9_EESK_S10_SL_SM_SN_EUlS10_E_NS1_11comp_targetILNS1_3genE0ELNS1_11target_archE4294967295ELNS1_3gpuE0ELNS1_3repE0EEENS1_48merge_mergepath_partition_config_static_selectorELNS0_4arch9wavefront6targetE1EEEvSM_
; %bb.0:
	s_load_dword s3, s[0:1], 0x0
	v_lshl_or_b32 v0, s2, 7, v0
	s_waitcnt lgkmcnt(0)
	v_cmp_gt_u32_e32 vcc, s3, v0
	s_and_saveexec_b64 s[2:3], vcc
	s_cbranch_execz .LBB1002_12
; %bb.1:
	s_load_dwordx4 s[12:15], s[0:1], 0x8
	s_load_dwordx8 s[4:11], s[0:1], 0x18
	v_mov_b32_e32 v5, 0
	v_mov_b32_e32 v7, v5
	s_waitcnt lgkmcnt(0)
	s_lshr_b64 s[0:1], s[12:13], 9
	s_and_b32 s0, s0, -2
	s_add_i32 s1, s0, -1
	s_sub_i32 s0, 0, s0
	v_and_b32_e32 v4, s0, v0
	v_lshlrev_b64 v[8:9], 10, v[4:5]
	v_mov_b32_e32 v1, s15
	v_cmp_lt_u64_e32 vcc, s[14:15], v[8:9]
	v_mov_b32_e32 v4, s14
	v_and_b32_e32 v6, s1, v0
	v_cndmask_b32_e32 v3, v9, v1, vcc
	v_cndmask_b32_e32 v2, v8, v4, vcc
	v_lshl_add_u64 v[8:9], v[8:9], 0, s[12:13]
	v_cmp_lt_u64_e32 vcc, s[14:15], v[8:9]
	s_nop 1
	v_cndmask_b32_e32 v11, v9, v1, vcc
	v_cndmask_b32_e32 v10, v8, v4, vcc
	v_lshl_add_u64 v[8:9], v[10:11], 0, s[12:13]
	v_cmp_lt_u64_e32 vcc, s[14:15], v[8:9]
	s_nop 1
	v_cndmask_b32_e32 v14, v8, v4, vcc
	v_cndmask_b32_e32 v1, v9, v1, vcc
	v_sub_co_u32_e32 v8, vcc, v14, v2
	v_lshlrev_b64 v[4:5], 10, v[6:7]
	s_nop 0
	v_subb_co_u32_e32 v9, vcc, v1, v3, vcc
	v_cmp_lt_u64_e32 vcc, v[8:9], v[4:5]
	s_nop 1
	v_cndmask_b32_e32 v13, v5, v9, vcc
	v_cndmask_b32_e32 v12, v4, v8, vcc
	v_sub_co_u32_e32 v6, vcc, v10, v2
	s_nop 1
	v_subb_co_u32_e32 v7, vcc, v11, v3, vcc
	v_sub_co_u32_e32 v4, vcc, v10, v14
	s_nop 1
	v_subb_co_u32_e32 v5, vcc, v11, v1, vcc
	v_lshl_add_u64 v[4:5], v[12:13], 0, v[4:5]
	v_cmp_gt_u64_e32 vcc, v[4:5], v[12:13]
	s_nop 1
	v_cndmask_b32_e64 v5, v5, 0, vcc
	v_cndmask_b32_e64 v4, v4, 0, vcc
	v_cmp_lt_u64_e32 vcc, v[12:13], v[6:7]
	s_nop 1
	v_cndmask_b32_e32 v7, v7, v13, vcc
	v_cndmask_b32_e32 v6, v6, v12, vcc
	v_cmp_lt_u64_e32 vcc, v[4:5], v[6:7]
	s_and_saveexec_b64 s[12:13], vcc
	s_cbranch_execz .LBB1002_11
; %bb.2:
	v_cmp_gt_i64_e64 s[0:1], s[6:7], 0
	v_lshl_add_u64 v[10:11], v[10:11], 3, s[4:5]
	v_lshl_add_u64 v[8:9], v[2:3], 3, s[4:5]
	v_cndmask_b32_e64 v1, 0, 1, s[0:1]
	s_mov_b64 s[4:5], 0
	v_lshl_add_u64 v[10:11], v[12:13], 3, v[10:11]
	v_cmp_ne_u32_e64 s[0:1], 1, v1
	s_branch .LBB1002_5
.LBB1002_3:                             ;   in Loop: Header=BB1002_5 Depth=1
	s_or_b64 exec, exec, s[16:17]
.LBB1002_4:                             ;   in Loop: Header=BB1002_5 Depth=1
	v_lshl_add_u64 v[14:15], v[12:13], 0, 1
	v_cndmask_b32_e64 v7, v7, v13, s[14:15]
	v_cndmask_b32_e64 v6, v6, v12, s[14:15]
	;; [unrolled: 1-line block ×4, first 2 shown]
	v_cmp_ge_u64_e32 vcc, v[4:5], v[6:7]
	s_or_b64 s[4:5], vcc, s[4:5]
	s_andn2_b64 exec, exec, s[4:5]
	s_cbranch_execz .LBB1002_10
.LBB1002_5:                             ; =>This Loop Header: Depth=1
                                        ;     Child Loop BB1002_8 Depth 2
	v_lshl_add_u64 v[12:13], v[6:7], 0, v[4:5]
	v_lshrrev_b64 v[12:13], 1, v[12:13]
	s_and_b64 vcc, exec, s[0:1]
	s_mov_b64 s[14:15], 0
	s_cbranch_vccnz .LBB1002_4
; %bb.6:                                ;   in Loop: Header=BB1002_5 Depth=1
	v_not_b32_e32 v15, v13
	v_not_b32_e32 v14, v12
	v_lshl_add_u64 v[14:15], v[14:15], 3, v[10:11]
	v_lshl_add_u64 v[16:17], v[12:13], 3, v[8:9]
	global_load_dwordx2 v[14:15], v[14:15], off
	v_mov_b64_e32 v[18:19], s[8:9]
	global_load_dwordx2 v[16:17], v[16:17], off
	s_mov_b64 s[16:17], 0
                                        ; implicit-def: $sgpr14_sgpr15
                                        ; implicit-def: $sgpr18_sgpr19
                                        ; implicit-def: $sgpr2_sgpr3
                                        ; implicit-def: $sgpr22_sgpr23
	s_waitcnt vmcnt(1)
	v_mul_lo_u32 v1, v14, s7
	v_mul_lo_u32 v20, v15, s6
	v_mad_u64_u32 v[14:15], s[20:21], v14, s6, v[18:19]
	s_waitcnt vmcnt(0)
	v_mul_lo_u32 v21, v16, s7
	v_mul_lo_u32 v22, v17, s6
	v_mad_u64_u32 v[16:17], s[20:21], v16, s6, v[18:19]
	v_add3_u32 v15, v20, v15, v1
	v_add3_u32 v17, v22, v17, v21
	s_mov_b64 s[20:21], s[6:7]
	s_branch .LBB1002_8
.LBB1002_7:                             ;   in Loop: Header=BB1002_8 Depth=2
	s_or_b64 exec, exec, s[26:27]
	s_and_b64 s[26:27], exec, s[18:19]
	s_or_b64 s[16:17], s[26:27], s[16:17]
	s_andn2_b64 s[22:23], s[22:23], exec
	s_and_b64 s[24:25], s[24:25], exec
	s_or_b64 s[22:23], s[22:23], s[24:25]
	s_andn2_b64 s[14:15], s[14:15], exec
	s_and_b64 s[24:25], s[2:3], exec
	s_or_b64 s[14:15], s[14:15], s[24:25]
	s_andn2_b64 exec, exec, s[16:17]
	s_cbranch_execz .LBB1002_3
.LBB1002_8:                             ;   Parent Loop BB1002_5 Depth=1
                                        ; =>  This Inner Loop Header: Depth=2
	global_load_ubyte v1, v[14:15], off
	global_load_ubyte v18, v[16:17], off
	s_andn2_b64 s[26:27], s[2:3], exec
	s_or_b64 s[18:19], s[18:19], exec
	s_waitcnt vmcnt(1)
	v_cmp_eq_u16_e32 vcc, 0, v1
	s_waitcnt vmcnt(0)
	v_cmp_ne_u16_e64 s[2:3], 0, v18
	s_or_b64 s[28:29], vcc, s[2:3]
	s_and_b64 s[24:25], vcc, s[2:3]
	s_xor_b64 s[30:31], vcc, s[2:3]
	s_and_b64 s[2:3], s[28:29], s[22:23]
	s_or_b64 s[24:25], s[24:25], s[2:3]
	s_and_b64 s[2:3], s[24:25], exec
	s_or_b64 s[2:3], s[26:27], s[2:3]
	s_and_saveexec_b64 s[26:27], s[30:31]
	s_cbranch_execz .LBB1002_7
; %bb.9:                                ;   in Loop: Header=BB1002_8 Depth=2
	s_add_u32 s20, s20, -1
	s_addc_u32 s21, s21, -1
	s_cmp_eq_u64 s[20:21], 0
	s_cselect_b64 s[22:23], -1, 0
	s_andn2_b64 s[18:19], s[18:19], exec
	s_and_b64 s[22:23], s[22:23], exec
	v_lshl_add_u64 v[14:15], v[14:15], 0, 1
	v_lshl_add_u64 v[16:17], v[16:17], 0, 1
	s_andn2_b64 s[2:3], s[2:3], exec
	s_or_b64 s[18:19], s[18:19], s[22:23]
                                        ; implicit-def: $sgpr22_sgpr23
	s_branch .LBB1002_7
.LBB1002_10:
	s_or_b64 exec, exec, s[4:5]
.LBB1002_11:
	s_or_b64 exec, exec, s[12:13]
	v_mov_b32_e32 v6, s10
	v_mov_b32_e32 v7, s11
	;; [unrolled: 1-line block ×3, first 2 shown]
	v_lshl_add_u64 v[2:3], v[4:5], 0, v[2:3]
	v_lshl_add_u64 v[0:1], v[0:1], 3, v[6:7]
	global_store_dwordx2 v[0:1], v[2:3], off
.LBB1002_12:
	s_endpgm
	.section	.rodata,"a",@progbits
	.p2align	6, 0x0
	.amdhsa_kernel _ZN7rocprim17ROCPRIM_400000_NS6detail17trampoline_kernelINS0_14default_configENS1_38merge_sort_block_merge_config_selectorIlNS0_10empty_typeEEEZZNS1_27merge_sort_block_merge_implIS3_PlPS5_mZN2at6native12_GLOBAL__N_124unique_dim_cuda_templateIbEESt5tupleIJNSA_6TensorESF_SF_EERKSF_lbbbEUlllE_EE10hipError_tT0_T1_T2_jT3_P12ihipStream_tbPNSt15iterator_traitsISL_E10value_typeEPNSR_ISM_E10value_typeEPSN_NS1_7vsmem_tEENKUlT_SL_SM_SN_E_clIS8_S8_S9_S9_EESK_S10_SL_SM_SN_EUlS10_E_NS1_11comp_targetILNS1_3genE0ELNS1_11target_archE4294967295ELNS1_3gpuE0ELNS1_3repE0EEENS1_48merge_mergepath_partition_config_static_selectorELNS0_4arch9wavefront6targetE1EEEvSM_
		.amdhsa_group_segment_fixed_size 0
		.amdhsa_private_segment_fixed_size 0
		.amdhsa_kernarg_size 56
		.amdhsa_user_sgpr_count 2
		.amdhsa_user_sgpr_dispatch_ptr 0
		.amdhsa_user_sgpr_queue_ptr 0
		.amdhsa_user_sgpr_kernarg_segment_ptr 1
		.amdhsa_user_sgpr_dispatch_id 0
		.amdhsa_user_sgpr_kernarg_preload_length 0
		.amdhsa_user_sgpr_kernarg_preload_offset 0
		.amdhsa_user_sgpr_private_segment_size 0
		.amdhsa_uses_dynamic_stack 0
		.amdhsa_enable_private_segment 0
		.amdhsa_system_sgpr_workgroup_id_x 1
		.amdhsa_system_sgpr_workgroup_id_y 0
		.amdhsa_system_sgpr_workgroup_id_z 0
		.amdhsa_system_sgpr_workgroup_info 0
		.amdhsa_system_vgpr_workitem_id 0
		.amdhsa_next_free_vgpr 23
		.amdhsa_next_free_sgpr 32
		.amdhsa_accum_offset 24
		.amdhsa_reserve_vcc 1
		.amdhsa_float_round_mode_32 0
		.amdhsa_float_round_mode_16_64 0
		.amdhsa_float_denorm_mode_32 3
		.amdhsa_float_denorm_mode_16_64 3
		.amdhsa_dx10_clamp 1
		.amdhsa_ieee_mode 1
		.amdhsa_fp16_overflow 0
		.amdhsa_tg_split 0
		.amdhsa_exception_fp_ieee_invalid_op 0
		.amdhsa_exception_fp_denorm_src 0
		.amdhsa_exception_fp_ieee_div_zero 0
		.amdhsa_exception_fp_ieee_overflow 0
		.amdhsa_exception_fp_ieee_underflow 0
		.amdhsa_exception_fp_ieee_inexact 0
		.amdhsa_exception_int_div_zero 0
	.end_amdhsa_kernel
	.section	.text._ZN7rocprim17ROCPRIM_400000_NS6detail17trampoline_kernelINS0_14default_configENS1_38merge_sort_block_merge_config_selectorIlNS0_10empty_typeEEEZZNS1_27merge_sort_block_merge_implIS3_PlPS5_mZN2at6native12_GLOBAL__N_124unique_dim_cuda_templateIbEESt5tupleIJNSA_6TensorESF_SF_EERKSF_lbbbEUlllE_EE10hipError_tT0_T1_T2_jT3_P12ihipStream_tbPNSt15iterator_traitsISL_E10value_typeEPNSR_ISM_E10value_typeEPSN_NS1_7vsmem_tEENKUlT_SL_SM_SN_E_clIS8_S8_S9_S9_EESK_S10_SL_SM_SN_EUlS10_E_NS1_11comp_targetILNS1_3genE0ELNS1_11target_archE4294967295ELNS1_3gpuE0ELNS1_3repE0EEENS1_48merge_mergepath_partition_config_static_selectorELNS0_4arch9wavefront6targetE1EEEvSM_,"axG",@progbits,_ZN7rocprim17ROCPRIM_400000_NS6detail17trampoline_kernelINS0_14default_configENS1_38merge_sort_block_merge_config_selectorIlNS0_10empty_typeEEEZZNS1_27merge_sort_block_merge_implIS3_PlPS5_mZN2at6native12_GLOBAL__N_124unique_dim_cuda_templateIbEESt5tupleIJNSA_6TensorESF_SF_EERKSF_lbbbEUlllE_EE10hipError_tT0_T1_T2_jT3_P12ihipStream_tbPNSt15iterator_traitsISL_E10value_typeEPNSR_ISM_E10value_typeEPSN_NS1_7vsmem_tEENKUlT_SL_SM_SN_E_clIS8_S8_S9_S9_EESK_S10_SL_SM_SN_EUlS10_E_NS1_11comp_targetILNS1_3genE0ELNS1_11target_archE4294967295ELNS1_3gpuE0ELNS1_3repE0EEENS1_48merge_mergepath_partition_config_static_selectorELNS0_4arch9wavefront6targetE1EEEvSM_,comdat
.Lfunc_end1002:
	.size	_ZN7rocprim17ROCPRIM_400000_NS6detail17trampoline_kernelINS0_14default_configENS1_38merge_sort_block_merge_config_selectorIlNS0_10empty_typeEEEZZNS1_27merge_sort_block_merge_implIS3_PlPS5_mZN2at6native12_GLOBAL__N_124unique_dim_cuda_templateIbEESt5tupleIJNSA_6TensorESF_SF_EERKSF_lbbbEUlllE_EE10hipError_tT0_T1_T2_jT3_P12ihipStream_tbPNSt15iterator_traitsISL_E10value_typeEPNSR_ISM_E10value_typeEPSN_NS1_7vsmem_tEENKUlT_SL_SM_SN_E_clIS8_S8_S9_S9_EESK_S10_SL_SM_SN_EUlS10_E_NS1_11comp_targetILNS1_3genE0ELNS1_11target_archE4294967295ELNS1_3gpuE0ELNS1_3repE0EEENS1_48merge_mergepath_partition_config_static_selectorELNS0_4arch9wavefront6targetE1EEEvSM_, .Lfunc_end1002-_ZN7rocprim17ROCPRIM_400000_NS6detail17trampoline_kernelINS0_14default_configENS1_38merge_sort_block_merge_config_selectorIlNS0_10empty_typeEEEZZNS1_27merge_sort_block_merge_implIS3_PlPS5_mZN2at6native12_GLOBAL__N_124unique_dim_cuda_templateIbEESt5tupleIJNSA_6TensorESF_SF_EERKSF_lbbbEUlllE_EE10hipError_tT0_T1_T2_jT3_P12ihipStream_tbPNSt15iterator_traitsISL_E10value_typeEPNSR_ISM_E10value_typeEPSN_NS1_7vsmem_tEENKUlT_SL_SM_SN_E_clIS8_S8_S9_S9_EESK_S10_SL_SM_SN_EUlS10_E_NS1_11comp_targetILNS1_3genE0ELNS1_11target_archE4294967295ELNS1_3gpuE0ELNS1_3repE0EEENS1_48merge_mergepath_partition_config_static_selectorELNS0_4arch9wavefront6targetE1EEEvSM_
                                        ; -- End function
	.set _ZN7rocprim17ROCPRIM_400000_NS6detail17trampoline_kernelINS0_14default_configENS1_38merge_sort_block_merge_config_selectorIlNS0_10empty_typeEEEZZNS1_27merge_sort_block_merge_implIS3_PlPS5_mZN2at6native12_GLOBAL__N_124unique_dim_cuda_templateIbEESt5tupleIJNSA_6TensorESF_SF_EERKSF_lbbbEUlllE_EE10hipError_tT0_T1_T2_jT3_P12ihipStream_tbPNSt15iterator_traitsISL_E10value_typeEPNSR_ISM_E10value_typeEPSN_NS1_7vsmem_tEENKUlT_SL_SM_SN_E_clIS8_S8_S9_S9_EESK_S10_SL_SM_SN_EUlS10_E_NS1_11comp_targetILNS1_3genE0ELNS1_11target_archE4294967295ELNS1_3gpuE0ELNS1_3repE0EEENS1_48merge_mergepath_partition_config_static_selectorELNS0_4arch9wavefront6targetE1EEEvSM_.num_vgpr, 23
	.set _ZN7rocprim17ROCPRIM_400000_NS6detail17trampoline_kernelINS0_14default_configENS1_38merge_sort_block_merge_config_selectorIlNS0_10empty_typeEEEZZNS1_27merge_sort_block_merge_implIS3_PlPS5_mZN2at6native12_GLOBAL__N_124unique_dim_cuda_templateIbEESt5tupleIJNSA_6TensorESF_SF_EERKSF_lbbbEUlllE_EE10hipError_tT0_T1_T2_jT3_P12ihipStream_tbPNSt15iterator_traitsISL_E10value_typeEPNSR_ISM_E10value_typeEPSN_NS1_7vsmem_tEENKUlT_SL_SM_SN_E_clIS8_S8_S9_S9_EESK_S10_SL_SM_SN_EUlS10_E_NS1_11comp_targetILNS1_3genE0ELNS1_11target_archE4294967295ELNS1_3gpuE0ELNS1_3repE0EEENS1_48merge_mergepath_partition_config_static_selectorELNS0_4arch9wavefront6targetE1EEEvSM_.num_agpr, 0
	.set _ZN7rocprim17ROCPRIM_400000_NS6detail17trampoline_kernelINS0_14default_configENS1_38merge_sort_block_merge_config_selectorIlNS0_10empty_typeEEEZZNS1_27merge_sort_block_merge_implIS3_PlPS5_mZN2at6native12_GLOBAL__N_124unique_dim_cuda_templateIbEESt5tupleIJNSA_6TensorESF_SF_EERKSF_lbbbEUlllE_EE10hipError_tT0_T1_T2_jT3_P12ihipStream_tbPNSt15iterator_traitsISL_E10value_typeEPNSR_ISM_E10value_typeEPSN_NS1_7vsmem_tEENKUlT_SL_SM_SN_E_clIS8_S8_S9_S9_EESK_S10_SL_SM_SN_EUlS10_E_NS1_11comp_targetILNS1_3genE0ELNS1_11target_archE4294967295ELNS1_3gpuE0ELNS1_3repE0EEENS1_48merge_mergepath_partition_config_static_selectorELNS0_4arch9wavefront6targetE1EEEvSM_.numbered_sgpr, 32
	.set _ZN7rocprim17ROCPRIM_400000_NS6detail17trampoline_kernelINS0_14default_configENS1_38merge_sort_block_merge_config_selectorIlNS0_10empty_typeEEEZZNS1_27merge_sort_block_merge_implIS3_PlPS5_mZN2at6native12_GLOBAL__N_124unique_dim_cuda_templateIbEESt5tupleIJNSA_6TensorESF_SF_EERKSF_lbbbEUlllE_EE10hipError_tT0_T1_T2_jT3_P12ihipStream_tbPNSt15iterator_traitsISL_E10value_typeEPNSR_ISM_E10value_typeEPSN_NS1_7vsmem_tEENKUlT_SL_SM_SN_E_clIS8_S8_S9_S9_EESK_S10_SL_SM_SN_EUlS10_E_NS1_11comp_targetILNS1_3genE0ELNS1_11target_archE4294967295ELNS1_3gpuE0ELNS1_3repE0EEENS1_48merge_mergepath_partition_config_static_selectorELNS0_4arch9wavefront6targetE1EEEvSM_.num_named_barrier, 0
	.set _ZN7rocprim17ROCPRIM_400000_NS6detail17trampoline_kernelINS0_14default_configENS1_38merge_sort_block_merge_config_selectorIlNS0_10empty_typeEEEZZNS1_27merge_sort_block_merge_implIS3_PlPS5_mZN2at6native12_GLOBAL__N_124unique_dim_cuda_templateIbEESt5tupleIJNSA_6TensorESF_SF_EERKSF_lbbbEUlllE_EE10hipError_tT0_T1_T2_jT3_P12ihipStream_tbPNSt15iterator_traitsISL_E10value_typeEPNSR_ISM_E10value_typeEPSN_NS1_7vsmem_tEENKUlT_SL_SM_SN_E_clIS8_S8_S9_S9_EESK_S10_SL_SM_SN_EUlS10_E_NS1_11comp_targetILNS1_3genE0ELNS1_11target_archE4294967295ELNS1_3gpuE0ELNS1_3repE0EEENS1_48merge_mergepath_partition_config_static_selectorELNS0_4arch9wavefront6targetE1EEEvSM_.private_seg_size, 0
	.set _ZN7rocprim17ROCPRIM_400000_NS6detail17trampoline_kernelINS0_14default_configENS1_38merge_sort_block_merge_config_selectorIlNS0_10empty_typeEEEZZNS1_27merge_sort_block_merge_implIS3_PlPS5_mZN2at6native12_GLOBAL__N_124unique_dim_cuda_templateIbEESt5tupleIJNSA_6TensorESF_SF_EERKSF_lbbbEUlllE_EE10hipError_tT0_T1_T2_jT3_P12ihipStream_tbPNSt15iterator_traitsISL_E10value_typeEPNSR_ISM_E10value_typeEPSN_NS1_7vsmem_tEENKUlT_SL_SM_SN_E_clIS8_S8_S9_S9_EESK_S10_SL_SM_SN_EUlS10_E_NS1_11comp_targetILNS1_3genE0ELNS1_11target_archE4294967295ELNS1_3gpuE0ELNS1_3repE0EEENS1_48merge_mergepath_partition_config_static_selectorELNS0_4arch9wavefront6targetE1EEEvSM_.uses_vcc, 1
	.set _ZN7rocprim17ROCPRIM_400000_NS6detail17trampoline_kernelINS0_14default_configENS1_38merge_sort_block_merge_config_selectorIlNS0_10empty_typeEEEZZNS1_27merge_sort_block_merge_implIS3_PlPS5_mZN2at6native12_GLOBAL__N_124unique_dim_cuda_templateIbEESt5tupleIJNSA_6TensorESF_SF_EERKSF_lbbbEUlllE_EE10hipError_tT0_T1_T2_jT3_P12ihipStream_tbPNSt15iterator_traitsISL_E10value_typeEPNSR_ISM_E10value_typeEPSN_NS1_7vsmem_tEENKUlT_SL_SM_SN_E_clIS8_S8_S9_S9_EESK_S10_SL_SM_SN_EUlS10_E_NS1_11comp_targetILNS1_3genE0ELNS1_11target_archE4294967295ELNS1_3gpuE0ELNS1_3repE0EEENS1_48merge_mergepath_partition_config_static_selectorELNS0_4arch9wavefront6targetE1EEEvSM_.uses_flat_scratch, 0
	.set _ZN7rocprim17ROCPRIM_400000_NS6detail17trampoline_kernelINS0_14default_configENS1_38merge_sort_block_merge_config_selectorIlNS0_10empty_typeEEEZZNS1_27merge_sort_block_merge_implIS3_PlPS5_mZN2at6native12_GLOBAL__N_124unique_dim_cuda_templateIbEESt5tupleIJNSA_6TensorESF_SF_EERKSF_lbbbEUlllE_EE10hipError_tT0_T1_T2_jT3_P12ihipStream_tbPNSt15iterator_traitsISL_E10value_typeEPNSR_ISM_E10value_typeEPSN_NS1_7vsmem_tEENKUlT_SL_SM_SN_E_clIS8_S8_S9_S9_EESK_S10_SL_SM_SN_EUlS10_E_NS1_11comp_targetILNS1_3genE0ELNS1_11target_archE4294967295ELNS1_3gpuE0ELNS1_3repE0EEENS1_48merge_mergepath_partition_config_static_selectorELNS0_4arch9wavefront6targetE1EEEvSM_.has_dyn_sized_stack, 0
	.set _ZN7rocprim17ROCPRIM_400000_NS6detail17trampoline_kernelINS0_14default_configENS1_38merge_sort_block_merge_config_selectorIlNS0_10empty_typeEEEZZNS1_27merge_sort_block_merge_implIS3_PlPS5_mZN2at6native12_GLOBAL__N_124unique_dim_cuda_templateIbEESt5tupleIJNSA_6TensorESF_SF_EERKSF_lbbbEUlllE_EE10hipError_tT0_T1_T2_jT3_P12ihipStream_tbPNSt15iterator_traitsISL_E10value_typeEPNSR_ISM_E10value_typeEPSN_NS1_7vsmem_tEENKUlT_SL_SM_SN_E_clIS8_S8_S9_S9_EESK_S10_SL_SM_SN_EUlS10_E_NS1_11comp_targetILNS1_3genE0ELNS1_11target_archE4294967295ELNS1_3gpuE0ELNS1_3repE0EEENS1_48merge_mergepath_partition_config_static_selectorELNS0_4arch9wavefront6targetE1EEEvSM_.has_recursion, 0
	.set _ZN7rocprim17ROCPRIM_400000_NS6detail17trampoline_kernelINS0_14default_configENS1_38merge_sort_block_merge_config_selectorIlNS0_10empty_typeEEEZZNS1_27merge_sort_block_merge_implIS3_PlPS5_mZN2at6native12_GLOBAL__N_124unique_dim_cuda_templateIbEESt5tupleIJNSA_6TensorESF_SF_EERKSF_lbbbEUlllE_EE10hipError_tT0_T1_T2_jT3_P12ihipStream_tbPNSt15iterator_traitsISL_E10value_typeEPNSR_ISM_E10value_typeEPSN_NS1_7vsmem_tEENKUlT_SL_SM_SN_E_clIS8_S8_S9_S9_EESK_S10_SL_SM_SN_EUlS10_E_NS1_11comp_targetILNS1_3genE0ELNS1_11target_archE4294967295ELNS1_3gpuE0ELNS1_3repE0EEENS1_48merge_mergepath_partition_config_static_selectorELNS0_4arch9wavefront6targetE1EEEvSM_.has_indirect_call, 0
	.section	.AMDGPU.csdata,"",@progbits
; Kernel info:
; codeLenInByte = 776
; TotalNumSgprs: 38
; NumVgprs: 23
; NumAgprs: 0
; TotalNumVgprs: 23
; ScratchSize: 0
; MemoryBound: 0
; FloatMode: 240
; IeeeMode: 1
; LDSByteSize: 0 bytes/workgroup (compile time only)
; SGPRBlocks: 4
; VGPRBlocks: 2
; NumSGPRsForWavesPerEU: 38
; NumVGPRsForWavesPerEU: 23
; AccumOffset: 24
; Occupancy: 8
; WaveLimiterHint : 0
; COMPUTE_PGM_RSRC2:SCRATCH_EN: 0
; COMPUTE_PGM_RSRC2:USER_SGPR: 2
; COMPUTE_PGM_RSRC2:TRAP_HANDLER: 0
; COMPUTE_PGM_RSRC2:TGID_X_EN: 1
; COMPUTE_PGM_RSRC2:TGID_Y_EN: 0
; COMPUTE_PGM_RSRC2:TGID_Z_EN: 0
; COMPUTE_PGM_RSRC2:TIDIG_COMP_CNT: 0
; COMPUTE_PGM_RSRC3_GFX90A:ACCUM_OFFSET: 5
; COMPUTE_PGM_RSRC3_GFX90A:TG_SPLIT: 0
	.section	.text._ZN7rocprim17ROCPRIM_400000_NS6detail17trampoline_kernelINS0_14default_configENS1_38merge_sort_block_merge_config_selectorIlNS0_10empty_typeEEEZZNS1_27merge_sort_block_merge_implIS3_PlPS5_mZN2at6native12_GLOBAL__N_124unique_dim_cuda_templateIbEESt5tupleIJNSA_6TensorESF_SF_EERKSF_lbbbEUlllE_EE10hipError_tT0_T1_T2_jT3_P12ihipStream_tbPNSt15iterator_traitsISL_E10value_typeEPNSR_ISM_E10value_typeEPSN_NS1_7vsmem_tEENKUlT_SL_SM_SN_E_clIS8_S8_S9_S9_EESK_S10_SL_SM_SN_EUlS10_E_NS1_11comp_targetILNS1_3genE10ELNS1_11target_archE1201ELNS1_3gpuE5ELNS1_3repE0EEENS1_48merge_mergepath_partition_config_static_selectorELNS0_4arch9wavefront6targetE1EEEvSM_,"axG",@progbits,_ZN7rocprim17ROCPRIM_400000_NS6detail17trampoline_kernelINS0_14default_configENS1_38merge_sort_block_merge_config_selectorIlNS0_10empty_typeEEEZZNS1_27merge_sort_block_merge_implIS3_PlPS5_mZN2at6native12_GLOBAL__N_124unique_dim_cuda_templateIbEESt5tupleIJNSA_6TensorESF_SF_EERKSF_lbbbEUlllE_EE10hipError_tT0_T1_T2_jT3_P12ihipStream_tbPNSt15iterator_traitsISL_E10value_typeEPNSR_ISM_E10value_typeEPSN_NS1_7vsmem_tEENKUlT_SL_SM_SN_E_clIS8_S8_S9_S9_EESK_S10_SL_SM_SN_EUlS10_E_NS1_11comp_targetILNS1_3genE10ELNS1_11target_archE1201ELNS1_3gpuE5ELNS1_3repE0EEENS1_48merge_mergepath_partition_config_static_selectorELNS0_4arch9wavefront6targetE1EEEvSM_,comdat
	.globl	_ZN7rocprim17ROCPRIM_400000_NS6detail17trampoline_kernelINS0_14default_configENS1_38merge_sort_block_merge_config_selectorIlNS0_10empty_typeEEEZZNS1_27merge_sort_block_merge_implIS3_PlPS5_mZN2at6native12_GLOBAL__N_124unique_dim_cuda_templateIbEESt5tupleIJNSA_6TensorESF_SF_EERKSF_lbbbEUlllE_EE10hipError_tT0_T1_T2_jT3_P12ihipStream_tbPNSt15iterator_traitsISL_E10value_typeEPNSR_ISM_E10value_typeEPSN_NS1_7vsmem_tEENKUlT_SL_SM_SN_E_clIS8_S8_S9_S9_EESK_S10_SL_SM_SN_EUlS10_E_NS1_11comp_targetILNS1_3genE10ELNS1_11target_archE1201ELNS1_3gpuE5ELNS1_3repE0EEENS1_48merge_mergepath_partition_config_static_selectorELNS0_4arch9wavefront6targetE1EEEvSM_ ; -- Begin function _ZN7rocprim17ROCPRIM_400000_NS6detail17trampoline_kernelINS0_14default_configENS1_38merge_sort_block_merge_config_selectorIlNS0_10empty_typeEEEZZNS1_27merge_sort_block_merge_implIS3_PlPS5_mZN2at6native12_GLOBAL__N_124unique_dim_cuda_templateIbEESt5tupleIJNSA_6TensorESF_SF_EERKSF_lbbbEUlllE_EE10hipError_tT0_T1_T2_jT3_P12ihipStream_tbPNSt15iterator_traitsISL_E10value_typeEPNSR_ISM_E10value_typeEPSN_NS1_7vsmem_tEENKUlT_SL_SM_SN_E_clIS8_S8_S9_S9_EESK_S10_SL_SM_SN_EUlS10_E_NS1_11comp_targetILNS1_3genE10ELNS1_11target_archE1201ELNS1_3gpuE5ELNS1_3repE0EEENS1_48merge_mergepath_partition_config_static_selectorELNS0_4arch9wavefront6targetE1EEEvSM_
	.p2align	8
	.type	_ZN7rocprim17ROCPRIM_400000_NS6detail17trampoline_kernelINS0_14default_configENS1_38merge_sort_block_merge_config_selectorIlNS0_10empty_typeEEEZZNS1_27merge_sort_block_merge_implIS3_PlPS5_mZN2at6native12_GLOBAL__N_124unique_dim_cuda_templateIbEESt5tupleIJNSA_6TensorESF_SF_EERKSF_lbbbEUlllE_EE10hipError_tT0_T1_T2_jT3_P12ihipStream_tbPNSt15iterator_traitsISL_E10value_typeEPNSR_ISM_E10value_typeEPSN_NS1_7vsmem_tEENKUlT_SL_SM_SN_E_clIS8_S8_S9_S9_EESK_S10_SL_SM_SN_EUlS10_E_NS1_11comp_targetILNS1_3genE10ELNS1_11target_archE1201ELNS1_3gpuE5ELNS1_3repE0EEENS1_48merge_mergepath_partition_config_static_selectorELNS0_4arch9wavefront6targetE1EEEvSM_,@function
_ZN7rocprim17ROCPRIM_400000_NS6detail17trampoline_kernelINS0_14default_configENS1_38merge_sort_block_merge_config_selectorIlNS0_10empty_typeEEEZZNS1_27merge_sort_block_merge_implIS3_PlPS5_mZN2at6native12_GLOBAL__N_124unique_dim_cuda_templateIbEESt5tupleIJNSA_6TensorESF_SF_EERKSF_lbbbEUlllE_EE10hipError_tT0_T1_T2_jT3_P12ihipStream_tbPNSt15iterator_traitsISL_E10value_typeEPNSR_ISM_E10value_typeEPSN_NS1_7vsmem_tEENKUlT_SL_SM_SN_E_clIS8_S8_S9_S9_EESK_S10_SL_SM_SN_EUlS10_E_NS1_11comp_targetILNS1_3genE10ELNS1_11target_archE1201ELNS1_3gpuE5ELNS1_3repE0EEENS1_48merge_mergepath_partition_config_static_selectorELNS0_4arch9wavefront6targetE1EEEvSM_: ; @_ZN7rocprim17ROCPRIM_400000_NS6detail17trampoline_kernelINS0_14default_configENS1_38merge_sort_block_merge_config_selectorIlNS0_10empty_typeEEEZZNS1_27merge_sort_block_merge_implIS3_PlPS5_mZN2at6native12_GLOBAL__N_124unique_dim_cuda_templateIbEESt5tupleIJNSA_6TensorESF_SF_EERKSF_lbbbEUlllE_EE10hipError_tT0_T1_T2_jT3_P12ihipStream_tbPNSt15iterator_traitsISL_E10value_typeEPNSR_ISM_E10value_typeEPSN_NS1_7vsmem_tEENKUlT_SL_SM_SN_E_clIS8_S8_S9_S9_EESK_S10_SL_SM_SN_EUlS10_E_NS1_11comp_targetILNS1_3genE10ELNS1_11target_archE1201ELNS1_3gpuE5ELNS1_3repE0EEENS1_48merge_mergepath_partition_config_static_selectorELNS0_4arch9wavefront6targetE1EEEvSM_
; %bb.0:
	.section	.rodata,"a",@progbits
	.p2align	6, 0x0
	.amdhsa_kernel _ZN7rocprim17ROCPRIM_400000_NS6detail17trampoline_kernelINS0_14default_configENS1_38merge_sort_block_merge_config_selectorIlNS0_10empty_typeEEEZZNS1_27merge_sort_block_merge_implIS3_PlPS5_mZN2at6native12_GLOBAL__N_124unique_dim_cuda_templateIbEESt5tupleIJNSA_6TensorESF_SF_EERKSF_lbbbEUlllE_EE10hipError_tT0_T1_T2_jT3_P12ihipStream_tbPNSt15iterator_traitsISL_E10value_typeEPNSR_ISM_E10value_typeEPSN_NS1_7vsmem_tEENKUlT_SL_SM_SN_E_clIS8_S8_S9_S9_EESK_S10_SL_SM_SN_EUlS10_E_NS1_11comp_targetILNS1_3genE10ELNS1_11target_archE1201ELNS1_3gpuE5ELNS1_3repE0EEENS1_48merge_mergepath_partition_config_static_selectorELNS0_4arch9wavefront6targetE1EEEvSM_
		.amdhsa_group_segment_fixed_size 0
		.amdhsa_private_segment_fixed_size 0
		.amdhsa_kernarg_size 56
		.amdhsa_user_sgpr_count 2
		.amdhsa_user_sgpr_dispatch_ptr 0
		.amdhsa_user_sgpr_queue_ptr 0
		.amdhsa_user_sgpr_kernarg_segment_ptr 1
		.amdhsa_user_sgpr_dispatch_id 0
		.amdhsa_user_sgpr_kernarg_preload_length 0
		.amdhsa_user_sgpr_kernarg_preload_offset 0
		.amdhsa_user_sgpr_private_segment_size 0
		.amdhsa_uses_dynamic_stack 0
		.amdhsa_enable_private_segment 0
		.amdhsa_system_sgpr_workgroup_id_x 1
		.amdhsa_system_sgpr_workgroup_id_y 0
		.amdhsa_system_sgpr_workgroup_id_z 0
		.amdhsa_system_sgpr_workgroup_info 0
		.amdhsa_system_vgpr_workitem_id 0
		.amdhsa_next_free_vgpr 1
		.amdhsa_next_free_sgpr 0
		.amdhsa_accum_offset 4
		.amdhsa_reserve_vcc 0
		.amdhsa_float_round_mode_32 0
		.amdhsa_float_round_mode_16_64 0
		.amdhsa_float_denorm_mode_32 3
		.amdhsa_float_denorm_mode_16_64 3
		.amdhsa_dx10_clamp 1
		.amdhsa_ieee_mode 1
		.amdhsa_fp16_overflow 0
		.amdhsa_tg_split 0
		.amdhsa_exception_fp_ieee_invalid_op 0
		.amdhsa_exception_fp_denorm_src 0
		.amdhsa_exception_fp_ieee_div_zero 0
		.amdhsa_exception_fp_ieee_overflow 0
		.amdhsa_exception_fp_ieee_underflow 0
		.amdhsa_exception_fp_ieee_inexact 0
		.amdhsa_exception_int_div_zero 0
	.end_amdhsa_kernel
	.section	.text._ZN7rocprim17ROCPRIM_400000_NS6detail17trampoline_kernelINS0_14default_configENS1_38merge_sort_block_merge_config_selectorIlNS0_10empty_typeEEEZZNS1_27merge_sort_block_merge_implIS3_PlPS5_mZN2at6native12_GLOBAL__N_124unique_dim_cuda_templateIbEESt5tupleIJNSA_6TensorESF_SF_EERKSF_lbbbEUlllE_EE10hipError_tT0_T1_T2_jT3_P12ihipStream_tbPNSt15iterator_traitsISL_E10value_typeEPNSR_ISM_E10value_typeEPSN_NS1_7vsmem_tEENKUlT_SL_SM_SN_E_clIS8_S8_S9_S9_EESK_S10_SL_SM_SN_EUlS10_E_NS1_11comp_targetILNS1_3genE10ELNS1_11target_archE1201ELNS1_3gpuE5ELNS1_3repE0EEENS1_48merge_mergepath_partition_config_static_selectorELNS0_4arch9wavefront6targetE1EEEvSM_,"axG",@progbits,_ZN7rocprim17ROCPRIM_400000_NS6detail17trampoline_kernelINS0_14default_configENS1_38merge_sort_block_merge_config_selectorIlNS0_10empty_typeEEEZZNS1_27merge_sort_block_merge_implIS3_PlPS5_mZN2at6native12_GLOBAL__N_124unique_dim_cuda_templateIbEESt5tupleIJNSA_6TensorESF_SF_EERKSF_lbbbEUlllE_EE10hipError_tT0_T1_T2_jT3_P12ihipStream_tbPNSt15iterator_traitsISL_E10value_typeEPNSR_ISM_E10value_typeEPSN_NS1_7vsmem_tEENKUlT_SL_SM_SN_E_clIS8_S8_S9_S9_EESK_S10_SL_SM_SN_EUlS10_E_NS1_11comp_targetILNS1_3genE10ELNS1_11target_archE1201ELNS1_3gpuE5ELNS1_3repE0EEENS1_48merge_mergepath_partition_config_static_selectorELNS0_4arch9wavefront6targetE1EEEvSM_,comdat
.Lfunc_end1003:
	.size	_ZN7rocprim17ROCPRIM_400000_NS6detail17trampoline_kernelINS0_14default_configENS1_38merge_sort_block_merge_config_selectorIlNS0_10empty_typeEEEZZNS1_27merge_sort_block_merge_implIS3_PlPS5_mZN2at6native12_GLOBAL__N_124unique_dim_cuda_templateIbEESt5tupleIJNSA_6TensorESF_SF_EERKSF_lbbbEUlllE_EE10hipError_tT0_T1_T2_jT3_P12ihipStream_tbPNSt15iterator_traitsISL_E10value_typeEPNSR_ISM_E10value_typeEPSN_NS1_7vsmem_tEENKUlT_SL_SM_SN_E_clIS8_S8_S9_S9_EESK_S10_SL_SM_SN_EUlS10_E_NS1_11comp_targetILNS1_3genE10ELNS1_11target_archE1201ELNS1_3gpuE5ELNS1_3repE0EEENS1_48merge_mergepath_partition_config_static_selectorELNS0_4arch9wavefront6targetE1EEEvSM_, .Lfunc_end1003-_ZN7rocprim17ROCPRIM_400000_NS6detail17trampoline_kernelINS0_14default_configENS1_38merge_sort_block_merge_config_selectorIlNS0_10empty_typeEEEZZNS1_27merge_sort_block_merge_implIS3_PlPS5_mZN2at6native12_GLOBAL__N_124unique_dim_cuda_templateIbEESt5tupleIJNSA_6TensorESF_SF_EERKSF_lbbbEUlllE_EE10hipError_tT0_T1_T2_jT3_P12ihipStream_tbPNSt15iterator_traitsISL_E10value_typeEPNSR_ISM_E10value_typeEPSN_NS1_7vsmem_tEENKUlT_SL_SM_SN_E_clIS8_S8_S9_S9_EESK_S10_SL_SM_SN_EUlS10_E_NS1_11comp_targetILNS1_3genE10ELNS1_11target_archE1201ELNS1_3gpuE5ELNS1_3repE0EEENS1_48merge_mergepath_partition_config_static_selectorELNS0_4arch9wavefront6targetE1EEEvSM_
                                        ; -- End function
	.set _ZN7rocprim17ROCPRIM_400000_NS6detail17trampoline_kernelINS0_14default_configENS1_38merge_sort_block_merge_config_selectorIlNS0_10empty_typeEEEZZNS1_27merge_sort_block_merge_implIS3_PlPS5_mZN2at6native12_GLOBAL__N_124unique_dim_cuda_templateIbEESt5tupleIJNSA_6TensorESF_SF_EERKSF_lbbbEUlllE_EE10hipError_tT0_T1_T2_jT3_P12ihipStream_tbPNSt15iterator_traitsISL_E10value_typeEPNSR_ISM_E10value_typeEPSN_NS1_7vsmem_tEENKUlT_SL_SM_SN_E_clIS8_S8_S9_S9_EESK_S10_SL_SM_SN_EUlS10_E_NS1_11comp_targetILNS1_3genE10ELNS1_11target_archE1201ELNS1_3gpuE5ELNS1_3repE0EEENS1_48merge_mergepath_partition_config_static_selectorELNS0_4arch9wavefront6targetE1EEEvSM_.num_vgpr, 0
	.set _ZN7rocprim17ROCPRIM_400000_NS6detail17trampoline_kernelINS0_14default_configENS1_38merge_sort_block_merge_config_selectorIlNS0_10empty_typeEEEZZNS1_27merge_sort_block_merge_implIS3_PlPS5_mZN2at6native12_GLOBAL__N_124unique_dim_cuda_templateIbEESt5tupleIJNSA_6TensorESF_SF_EERKSF_lbbbEUlllE_EE10hipError_tT0_T1_T2_jT3_P12ihipStream_tbPNSt15iterator_traitsISL_E10value_typeEPNSR_ISM_E10value_typeEPSN_NS1_7vsmem_tEENKUlT_SL_SM_SN_E_clIS8_S8_S9_S9_EESK_S10_SL_SM_SN_EUlS10_E_NS1_11comp_targetILNS1_3genE10ELNS1_11target_archE1201ELNS1_3gpuE5ELNS1_3repE0EEENS1_48merge_mergepath_partition_config_static_selectorELNS0_4arch9wavefront6targetE1EEEvSM_.num_agpr, 0
	.set _ZN7rocprim17ROCPRIM_400000_NS6detail17trampoline_kernelINS0_14default_configENS1_38merge_sort_block_merge_config_selectorIlNS0_10empty_typeEEEZZNS1_27merge_sort_block_merge_implIS3_PlPS5_mZN2at6native12_GLOBAL__N_124unique_dim_cuda_templateIbEESt5tupleIJNSA_6TensorESF_SF_EERKSF_lbbbEUlllE_EE10hipError_tT0_T1_T2_jT3_P12ihipStream_tbPNSt15iterator_traitsISL_E10value_typeEPNSR_ISM_E10value_typeEPSN_NS1_7vsmem_tEENKUlT_SL_SM_SN_E_clIS8_S8_S9_S9_EESK_S10_SL_SM_SN_EUlS10_E_NS1_11comp_targetILNS1_3genE10ELNS1_11target_archE1201ELNS1_3gpuE5ELNS1_3repE0EEENS1_48merge_mergepath_partition_config_static_selectorELNS0_4arch9wavefront6targetE1EEEvSM_.numbered_sgpr, 0
	.set _ZN7rocprim17ROCPRIM_400000_NS6detail17trampoline_kernelINS0_14default_configENS1_38merge_sort_block_merge_config_selectorIlNS0_10empty_typeEEEZZNS1_27merge_sort_block_merge_implIS3_PlPS5_mZN2at6native12_GLOBAL__N_124unique_dim_cuda_templateIbEESt5tupleIJNSA_6TensorESF_SF_EERKSF_lbbbEUlllE_EE10hipError_tT0_T1_T2_jT3_P12ihipStream_tbPNSt15iterator_traitsISL_E10value_typeEPNSR_ISM_E10value_typeEPSN_NS1_7vsmem_tEENKUlT_SL_SM_SN_E_clIS8_S8_S9_S9_EESK_S10_SL_SM_SN_EUlS10_E_NS1_11comp_targetILNS1_3genE10ELNS1_11target_archE1201ELNS1_3gpuE5ELNS1_3repE0EEENS1_48merge_mergepath_partition_config_static_selectorELNS0_4arch9wavefront6targetE1EEEvSM_.num_named_barrier, 0
	.set _ZN7rocprim17ROCPRIM_400000_NS6detail17trampoline_kernelINS0_14default_configENS1_38merge_sort_block_merge_config_selectorIlNS0_10empty_typeEEEZZNS1_27merge_sort_block_merge_implIS3_PlPS5_mZN2at6native12_GLOBAL__N_124unique_dim_cuda_templateIbEESt5tupleIJNSA_6TensorESF_SF_EERKSF_lbbbEUlllE_EE10hipError_tT0_T1_T2_jT3_P12ihipStream_tbPNSt15iterator_traitsISL_E10value_typeEPNSR_ISM_E10value_typeEPSN_NS1_7vsmem_tEENKUlT_SL_SM_SN_E_clIS8_S8_S9_S9_EESK_S10_SL_SM_SN_EUlS10_E_NS1_11comp_targetILNS1_3genE10ELNS1_11target_archE1201ELNS1_3gpuE5ELNS1_3repE0EEENS1_48merge_mergepath_partition_config_static_selectorELNS0_4arch9wavefront6targetE1EEEvSM_.private_seg_size, 0
	.set _ZN7rocprim17ROCPRIM_400000_NS6detail17trampoline_kernelINS0_14default_configENS1_38merge_sort_block_merge_config_selectorIlNS0_10empty_typeEEEZZNS1_27merge_sort_block_merge_implIS3_PlPS5_mZN2at6native12_GLOBAL__N_124unique_dim_cuda_templateIbEESt5tupleIJNSA_6TensorESF_SF_EERKSF_lbbbEUlllE_EE10hipError_tT0_T1_T2_jT3_P12ihipStream_tbPNSt15iterator_traitsISL_E10value_typeEPNSR_ISM_E10value_typeEPSN_NS1_7vsmem_tEENKUlT_SL_SM_SN_E_clIS8_S8_S9_S9_EESK_S10_SL_SM_SN_EUlS10_E_NS1_11comp_targetILNS1_3genE10ELNS1_11target_archE1201ELNS1_3gpuE5ELNS1_3repE0EEENS1_48merge_mergepath_partition_config_static_selectorELNS0_4arch9wavefront6targetE1EEEvSM_.uses_vcc, 0
	.set _ZN7rocprim17ROCPRIM_400000_NS6detail17trampoline_kernelINS0_14default_configENS1_38merge_sort_block_merge_config_selectorIlNS0_10empty_typeEEEZZNS1_27merge_sort_block_merge_implIS3_PlPS5_mZN2at6native12_GLOBAL__N_124unique_dim_cuda_templateIbEESt5tupleIJNSA_6TensorESF_SF_EERKSF_lbbbEUlllE_EE10hipError_tT0_T1_T2_jT3_P12ihipStream_tbPNSt15iterator_traitsISL_E10value_typeEPNSR_ISM_E10value_typeEPSN_NS1_7vsmem_tEENKUlT_SL_SM_SN_E_clIS8_S8_S9_S9_EESK_S10_SL_SM_SN_EUlS10_E_NS1_11comp_targetILNS1_3genE10ELNS1_11target_archE1201ELNS1_3gpuE5ELNS1_3repE0EEENS1_48merge_mergepath_partition_config_static_selectorELNS0_4arch9wavefront6targetE1EEEvSM_.uses_flat_scratch, 0
	.set _ZN7rocprim17ROCPRIM_400000_NS6detail17trampoline_kernelINS0_14default_configENS1_38merge_sort_block_merge_config_selectorIlNS0_10empty_typeEEEZZNS1_27merge_sort_block_merge_implIS3_PlPS5_mZN2at6native12_GLOBAL__N_124unique_dim_cuda_templateIbEESt5tupleIJNSA_6TensorESF_SF_EERKSF_lbbbEUlllE_EE10hipError_tT0_T1_T2_jT3_P12ihipStream_tbPNSt15iterator_traitsISL_E10value_typeEPNSR_ISM_E10value_typeEPSN_NS1_7vsmem_tEENKUlT_SL_SM_SN_E_clIS8_S8_S9_S9_EESK_S10_SL_SM_SN_EUlS10_E_NS1_11comp_targetILNS1_3genE10ELNS1_11target_archE1201ELNS1_3gpuE5ELNS1_3repE0EEENS1_48merge_mergepath_partition_config_static_selectorELNS0_4arch9wavefront6targetE1EEEvSM_.has_dyn_sized_stack, 0
	.set _ZN7rocprim17ROCPRIM_400000_NS6detail17trampoline_kernelINS0_14default_configENS1_38merge_sort_block_merge_config_selectorIlNS0_10empty_typeEEEZZNS1_27merge_sort_block_merge_implIS3_PlPS5_mZN2at6native12_GLOBAL__N_124unique_dim_cuda_templateIbEESt5tupleIJNSA_6TensorESF_SF_EERKSF_lbbbEUlllE_EE10hipError_tT0_T1_T2_jT3_P12ihipStream_tbPNSt15iterator_traitsISL_E10value_typeEPNSR_ISM_E10value_typeEPSN_NS1_7vsmem_tEENKUlT_SL_SM_SN_E_clIS8_S8_S9_S9_EESK_S10_SL_SM_SN_EUlS10_E_NS1_11comp_targetILNS1_3genE10ELNS1_11target_archE1201ELNS1_3gpuE5ELNS1_3repE0EEENS1_48merge_mergepath_partition_config_static_selectorELNS0_4arch9wavefront6targetE1EEEvSM_.has_recursion, 0
	.set _ZN7rocprim17ROCPRIM_400000_NS6detail17trampoline_kernelINS0_14default_configENS1_38merge_sort_block_merge_config_selectorIlNS0_10empty_typeEEEZZNS1_27merge_sort_block_merge_implIS3_PlPS5_mZN2at6native12_GLOBAL__N_124unique_dim_cuda_templateIbEESt5tupleIJNSA_6TensorESF_SF_EERKSF_lbbbEUlllE_EE10hipError_tT0_T1_T2_jT3_P12ihipStream_tbPNSt15iterator_traitsISL_E10value_typeEPNSR_ISM_E10value_typeEPSN_NS1_7vsmem_tEENKUlT_SL_SM_SN_E_clIS8_S8_S9_S9_EESK_S10_SL_SM_SN_EUlS10_E_NS1_11comp_targetILNS1_3genE10ELNS1_11target_archE1201ELNS1_3gpuE5ELNS1_3repE0EEENS1_48merge_mergepath_partition_config_static_selectorELNS0_4arch9wavefront6targetE1EEEvSM_.has_indirect_call, 0
	.section	.AMDGPU.csdata,"",@progbits
; Kernel info:
; codeLenInByte = 0
; TotalNumSgprs: 6
; NumVgprs: 0
; NumAgprs: 0
; TotalNumVgprs: 0
; ScratchSize: 0
; MemoryBound: 0
; FloatMode: 240
; IeeeMode: 1
; LDSByteSize: 0 bytes/workgroup (compile time only)
; SGPRBlocks: 0
; VGPRBlocks: 0
; NumSGPRsForWavesPerEU: 6
; NumVGPRsForWavesPerEU: 1
; AccumOffset: 4
; Occupancy: 8
; WaveLimiterHint : 0
; COMPUTE_PGM_RSRC2:SCRATCH_EN: 0
; COMPUTE_PGM_RSRC2:USER_SGPR: 2
; COMPUTE_PGM_RSRC2:TRAP_HANDLER: 0
; COMPUTE_PGM_RSRC2:TGID_X_EN: 1
; COMPUTE_PGM_RSRC2:TGID_Y_EN: 0
; COMPUTE_PGM_RSRC2:TGID_Z_EN: 0
; COMPUTE_PGM_RSRC2:TIDIG_COMP_CNT: 0
; COMPUTE_PGM_RSRC3_GFX90A:ACCUM_OFFSET: 0
; COMPUTE_PGM_RSRC3_GFX90A:TG_SPLIT: 0
	.section	.text._ZN7rocprim17ROCPRIM_400000_NS6detail17trampoline_kernelINS0_14default_configENS1_38merge_sort_block_merge_config_selectorIlNS0_10empty_typeEEEZZNS1_27merge_sort_block_merge_implIS3_PlPS5_mZN2at6native12_GLOBAL__N_124unique_dim_cuda_templateIbEESt5tupleIJNSA_6TensorESF_SF_EERKSF_lbbbEUlllE_EE10hipError_tT0_T1_T2_jT3_P12ihipStream_tbPNSt15iterator_traitsISL_E10value_typeEPNSR_ISM_E10value_typeEPSN_NS1_7vsmem_tEENKUlT_SL_SM_SN_E_clIS8_S8_S9_S9_EESK_S10_SL_SM_SN_EUlS10_E_NS1_11comp_targetILNS1_3genE5ELNS1_11target_archE942ELNS1_3gpuE9ELNS1_3repE0EEENS1_48merge_mergepath_partition_config_static_selectorELNS0_4arch9wavefront6targetE1EEEvSM_,"axG",@progbits,_ZN7rocprim17ROCPRIM_400000_NS6detail17trampoline_kernelINS0_14default_configENS1_38merge_sort_block_merge_config_selectorIlNS0_10empty_typeEEEZZNS1_27merge_sort_block_merge_implIS3_PlPS5_mZN2at6native12_GLOBAL__N_124unique_dim_cuda_templateIbEESt5tupleIJNSA_6TensorESF_SF_EERKSF_lbbbEUlllE_EE10hipError_tT0_T1_T2_jT3_P12ihipStream_tbPNSt15iterator_traitsISL_E10value_typeEPNSR_ISM_E10value_typeEPSN_NS1_7vsmem_tEENKUlT_SL_SM_SN_E_clIS8_S8_S9_S9_EESK_S10_SL_SM_SN_EUlS10_E_NS1_11comp_targetILNS1_3genE5ELNS1_11target_archE942ELNS1_3gpuE9ELNS1_3repE0EEENS1_48merge_mergepath_partition_config_static_selectorELNS0_4arch9wavefront6targetE1EEEvSM_,comdat
	.globl	_ZN7rocprim17ROCPRIM_400000_NS6detail17trampoline_kernelINS0_14default_configENS1_38merge_sort_block_merge_config_selectorIlNS0_10empty_typeEEEZZNS1_27merge_sort_block_merge_implIS3_PlPS5_mZN2at6native12_GLOBAL__N_124unique_dim_cuda_templateIbEESt5tupleIJNSA_6TensorESF_SF_EERKSF_lbbbEUlllE_EE10hipError_tT0_T1_T2_jT3_P12ihipStream_tbPNSt15iterator_traitsISL_E10value_typeEPNSR_ISM_E10value_typeEPSN_NS1_7vsmem_tEENKUlT_SL_SM_SN_E_clIS8_S8_S9_S9_EESK_S10_SL_SM_SN_EUlS10_E_NS1_11comp_targetILNS1_3genE5ELNS1_11target_archE942ELNS1_3gpuE9ELNS1_3repE0EEENS1_48merge_mergepath_partition_config_static_selectorELNS0_4arch9wavefront6targetE1EEEvSM_ ; -- Begin function _ZN7rocprim17ROCPRIM_400000_NS6detail17trampoline_kernelINS0_14default_configENS1_38merge_sort_block_merge_config_selectorIlNS0_10empty_typeEEEZZNS1_27merge_sort_block_merge_implIS3_PlPS5_mZN2at6native12_GLOBAL__N_124unique_dim_cuda_templateIbEESt5tupleIJNSA_6TensorESF_SF_EERKSF_lbbbEUlllE_EE10hipError_tT0_T1_T2_jT3_P12ihipStream_tbPNSt15iterator_traitsISL_E10value_typeEPNSR_ISM_E10value_typeEPSN_NS1_7vsmem_tEENKUlT_SL_SM_SN_E_clIS8_S8_S9_S9_EESK_S10_SL_SM_SN_EUlS10_E_NS1_11comp_targetILNS1_3genE5ELNS1_11target_archE942ELNS1_3gpuE9ELNS1_3repE0EEENS1_48merge_mergepath_partition_config_static_selectorELNS0_4arch9wavefront6targetE1EEEvSM_
	.p2align	8
	.type	_ZN7rocprim17ROCPRIM_400000_NS6detail17trampoline_kernelINS0_14default_configENS1_38merge_sort_block_merge_config_selectorIlNS0_10empty_typeEEEZZNS1_27merge_sort_block_merge_implIS3_PlPS5_mZN2at6native12_GLOBAL__N_124unique_dim_cuda_templateIbEESt5tupleIJNSA_6TensorESF_SF_EERKSF_lbbbEUlllE_EE10hipError_tT0_T1_T2_jT3_P12ihipStream_tbPNSt15iterator_traitsISL_E10value_typeEPNSR_ISM_E10value_typeEPSN_NS1_7vsmem_tEENKUlT_SL_SM_SN_E_clIS8_S8_S9_S9_EESK_S10_SL_SM_SN_EUlS10_E_NS1_11comp_targetILNS1_3genE5ELNS1_11target_archE942ELNS1_3gpuE9ELNS1_3repE0EEENS1_48merge_mergepath_partition_config_static_selectorELNS0_4arch9wavefront6targetE1EEEvSM_,@function
_ZN7rocprim17ROCPRIM_400000_NS6detail17trampoline_kernelINS0_14default_configENS1_38merge_sort_block_merge_config_selectorIlNS0_10empty_typeEEEZZNS1_27merge_sort_block_merge_implIS3_PlPS5_mZN2at6native12_GLOBAL__N_124unique_dim_cuda_templateIbEESt5tupleIJNSA_6TensorESF_SF_EERKSF_lbbbEUlllE_EE10hipError_tT0_T1_T2_jT3_P12ihipStream_tbPNSt15iterator_traitsISL_E10value_typeEPNSR_ISM_E10value_typeEPSN_NS1_7vsmem_tEENKUlT_SL_SM_SN_E_clIS8_S8_S9_S9_EESK_S10_SL_SM_SN_EUlS10_E_NS1_11comp_targetILNS1_3genE5ELNS1_11target_archE942ELNS1_3gpuE9ELNS1_3repE0EEENS1_48merge_mergepath_partition_config_static_selectorELNS0_4arch9wavefront6targetE1EEEvSM_: ; @_ZN7rocprim17ROCPRIM_400000_NS6detail17trampoline_kernelINS0_14default_configENS1_38merge_sort_block_merge_config_selectorIlNS0_10empty_typeEEEZZNS1_27merge_sort_block_merge_implIS3_PlPS5_mZN2at6native12_GLOBAL__N_124unique_dim_cuda_templateIbEESt5tupleIJNSA_6TensorESF_SF_EERKSF_lbbbEUlllE_EE10hipError_tT0_T1_T2_jT3_P12ihipStream_tbPNSt15iterator_traitsISL_E10value_typeEPNSR_ISM_E10value_typeEPSN_NS1_7vsmem_tEENKUlT_SL_SM_SN_E_clIS8_S8_S9_S9_EESK_S10_SL_SM_SN_EUlS10_E_NS1_11comp_targetILNS1_3genE5ELNS1_11target_archE942ELNS1_3gpuE9ELNS1_3repE0EEENS1_48merge_mergepath_partition_config_static_selectorELNS0_4arch9wavefront6targetE1EEEvSM_
; %bb.0:
	.section	.rodata,"a",@progbits
	.p2align	6, 0x0
	.amdhsa_kernel _ZN7rocprim17ROCPRIM_400000_NS6detail17trampoline_kernelINS0_14default_configENS1_38merge_sort_block_merge_config_selectorIlNS0_10empty_typeEEEZZNS1_27merge_sort_block_merge_implIS3_PlPS5_mZN2at6native12_GLOBAL__N_124unique_dim_cuda_templateIbEESt5tupleIJNSA_6TensorESF_SF_EERKSF_lbbbEUlllE_EE10hipError_tT0_T1_T2_jT3_P12ihipStream_tbPNSt15iterator_traitsISL_E10value_typeEPNSR_ISM_E10value_typeEPSN_NS1_7vsmem_tEENKUlT_SL_SM_SN_E_clIS8_S8_S9_S9_EESK_S10_SL_SM_SN_EUlS10_E_NS1_11comp_targetILNS1_3genE5ELNS1_11target_archE942ELNS1_3gpuE9ELNS1_3repE0EEENS1_48merge_mergepath_partition_config_static_selectorELNS0_4arch9wavefront6targetE1EEEvSM_
		.amdhsa_group_segment_fixed_size 0
		.amdhsa_private_segment_fixed_size 0
		.amdhsa_kernarg_size 56
		.amdhsa_user_sgpr_count 2
		.amdhsa_user_sgpr_dispatch_ptr 0
		.amdhsa_user_sgpr_queue_ptr 0
		.amdhsa_user_sgpr_kernarg_segment_ptr 1
		.amdhsa_user_sgpr_dispatch_id 0
		.amdhsa_user_sgpr_kernarg_preload_length 0
		.amdhsa_user_sgpr_kernarg_preload_offset 0
		.amdhsa_user_sgpr_private_segment_size 0
		.amdhsa_uses_dynamic_stack 0
		.amdhsa_enable_private_segment 0
		.amdhsa_system_sgpr_workgroup_id_x 1
		.amdhsa_system_sgpr_workgroup_id_y 0
		.amdhsa_system_sgpr_workgroup_id_z 0
		.amdhsa_system_sgpr_workgroup_info 0
		.amdhsa_system_vgpr_workitem_id 0
		.amdhsa_next_free_vgpr 1
		.amdhsa_next_free_sgpr 0
		.amdhsa_accum_offset 4
		.amdhsa_reserve_vcc 0
		.amdhsa_float_round_mode_32 0
		.amdhsa_float_round_mode_16_64 0
		.amdhsa_float_denorm_mode_32 3
		.amdhsa_float_denorm_mode_16_64 3
		.amdhsa_dx10_clamp 1
		.amdhsa_ieee_mode 1
		.amdhsa_fp16_overflow 0
		.amdhsa_tg_split 0
		.amdhsa_exception_fp_ieee_invalid_op 0
		.amdhsa_exception_fp_denorm_src 0
		.amdhsa_exception_fp_ieee_div_zero 0
		.amdhsa_exception_fp_ieee_overflow 0
		.amdhsa_exception_fp_ieee_underflow 0
		.amdhsa_exception_fp_ieee_inexact 0
		.amdhsa_exception_int_div_zero 0
	.end_amdhsa_kernel
	.section	.text._ZN7rocprim17ROCPRIM_400000_NS6detail17trampoline_kernelINS0_14default_configENS1_38merge_sort_block_merge_config_selectorIlNS0_10empty_typeEEEZZNS1_27merge_sort_block_merge_implIS3_PlPS5_mZN2at6native12_GLOBAL__N_124unique_dim_cuda_templateIbEESt5tupleIJNSA_6TensorESF_SF_EERKSF_lbbbEUlllE_EE10hipError_tT0_T1_T2_jT3_P12ihipStream_tbPNSt15iterator_traitsISL_E10value_typeEPNSR_ISM_E10value_typeEPSN_NS1_7vsmem_tEENKUlT_SL_SM_SN_E_clIS8_S8_S9_S9_EESK_S10_SL_SM_SN_EUlS10_E_NS1_11comp_targetILNS1_3genE5ELNS1_11target_archE942ELNS1_3gpuE9ELNS1_3repE0EEENS1_48merge_mergepath_partition_config_static_selectorELNS0_4arch9wavefront6targetE1EEEvSM_,"axG",@progbits,_ZN7rocprim17ROCPRIM_400000_NS6detail17trampoline_kernelINS0_14default_configENS1_38merge_sort_block_merge_config_selectorIlNS0_10empty_typeEEEZZNS1_27merge_sort_block_merge_implIS3_PlPS5_mZN2at6native12_GLOBAL__N_124unique_dim_cuda_templateIbEESt5tupleIJNSA_6TensorESF_SF_EERKSF_lbbbEUlllE_EE10hipError_tT0_T1_T2_jT3_P12ihipStream_tbPNSt15iterator_traitsISL_E10value_typeEPNSR_ISM_E10value_typeEPSN_NS1_7vsmem_tEENKUlT_SL_SM_SN_E_clIS8_S8_S9_S9_EESK_S10_SL_SM_SN_EUlS10_E_NS1_11comp_targetILNS1_3genE5ELNS1_11target_archE942ELNS1_3gpuE9ELNS1_3repE0EEENS1_48merge_mergepath_partition_config_static_selectorELNS0_4arch9wavefront6targetE1EEEvSM_,comdat
.Lfunc_end1004:
	.size	_ZN7rocprim17ROCPRIM_400000_NS6detail17trampoline_kernelINS0_14default_configENS1_38merge_sort_block_merge_config_selectorIlNS0_10empty_typeEEEZZNS1_27merge_sort_block_merge_implIS3_PlPS5_mZN2at6native12_GLOBAL__N_124unique_dim_cuda_templateIbEESt5tupleIJNSA_6TensorESF_SF_EERKSF_lbbbEUlllE_EE10hipError_tT0_T1_T2_jT3_P12ihipStream_tbPNSt15iterator_traitsISL_E10value_typeEPNSR_ISM_E10value_typeEPSN_NS1_7vsmem_tEENKUlT_SL_SM_SN_E_clIS8_S8_S9_S9_EESK_S10_SL_SM_SN_EUlS10_E_NS1_11comp_targetILNS1_3genE5ELNS1_11target_archE942ELNS1_3gpuE9ELNS1_3repE0EEENS1_48merge_mergepath_partition_config_static_selectorELNS0_4arch9wavefront6targetE1EEEvSM_, .Lfunc_end1004-_ZN7rocprim17ROCPRIM_400000_NS6detail17trampoline_kernelINS0_14default_configENS1_38merge_sort_block_merge_config_selectorIlNS0_10empty_typeEEEZZNS1_27merge_sort_block_merge_implIS3_PlPS5_mZN2at6native12_GLOBAL__N_124unique_dim_cuda_templateIbEESt5tupleIJNSA_6TensorESF_SF_EERKSF_lbbbEUlllE_EE10hipError_tT0_T1_T2_jT3_P12ihipStream_tbPNSt15iterator_traitsISL_E10value_typeEPNSR_ISM_E10value_typeEPSN_NS1_7vsmem_tEENKUlT_SL_SM_SN_E_clIS8_S8_S9_S9_EESK_S10_SL_SM_SN_EUlS10_E_NS1_11comp_targetILNS1_3genE5ELNS1_11target_archE942ELNS1_3gpuE9ELNS1_3repE0EEENS1_48merge_mergepath_partition_config_static_selectorELNS0_4arch9wavefront6targetE1EEEvSM_
                                        ; -- End function
	.set _ZN7rocprim17ROCPRIM_400000_NS6detail17trampoline_kernelINS0_14default_configENS1_38merge_sort_block_merge_config_selectorIlNS0_10empty_typeEEEZZNS1_27merge_sort_block_merge_implIS3_PlPS5_mZN2at6native12_GLOBAL__N_124unique_dim_cuda_templateIbEESt5tupleIJNSA_6TensorESF_SF_EERKSF_lbbbEUlllE_EE10hipError_tT0_T1_T2_jT3_P12ihipStream_tbPNSt15iterator_traitsISL_E10value_typeEPNSR_ISM_E10value_typeEPSN_NS1_7vsmem_tEENKUlT_SL_SM_SN_E_clIS8_S8_S9_S9_EESK_S10_SL_SM_SN_EUlS10_E_NS1_11comp_targetILNS1_3genE5ELNS1_11target_archE942ELNS1_3gpuE9ELNS1_3repE0EEENS1_48merge_mergepath_partition_config_static_selectorELNS0_4arch9wavefront6targetE1EEEvSM_.num_vgpr, 0
	.set _ZN7rocprim17ROCPRIM_400000_NS6detail17trampoline_kernelINS0_14default_configENS1_38merge_sort_block_merge_config_selectorIlNS0_10empty_typeEEEZZNS1_27merge_sort_block_merge_implIS3_PlPS5_mZN2at6native12_GLOBAL__N_124unique_dim_cuda_templateIbEESt5tupleIJNSA_6TensorESF_SF_EERKSF_lbbbEUlllE_EE10hipError_tT0_T1_T2_jT3_P12ihipStream_tbPNSt15iterator_traitsISL_E10value_typeEPNSR_ISM_E10value_typeEPSN_NS1_7vsmem_tEENKUlT_SL_SM_SN_E_clIS8_S8_S9_S9_EESK_S10_SL_SM_SN_EUlS10_E_NS1_11comp_targetILNS1_3genE5ELNS1_11target_archE942ELNS1_3gpuE9ELNS1_3repE0EEENS1_48merge_mergepath_partition_config_static_selectorELNS0_4arch9wavefront6targetE1EEEvSM_.num_agpr, 0
	.set _ZN7rocprim17ROCPRIM_400000_NS6detail17trampoline_kernelINS0_14default_configENS1_38merge_sort_block_merge_config_selectorIlNS0_10empty_typeEEEZZNS1_27merge_sort_block_merge_implIS3_PlPS5_mZN2at6native12_GLOBAL__N_124unique_dim_cuda_templateIbEESt5tupleIJNSA_6TensorESF_SF_EERKSF_lbbbEUlllE_EE10hipError_tT0_T1_T2_jT3_P12ihipStream_tbPNSt15iterator_traitsISL_E10value_typeEPNSR_ISM_E10value_typeEPSN_NS1_7vsmem_tEENKUlT_SL_SM_SN_E_clIS8_S8_S9_S9_EESK_S10_SL_SM_SN_EUlS10_E_NS1_11comp_targetILNS1_3genE5ELNS1_11target_archE942ELNS1_3gpuE9ELNS1_3repE0EEENS1_48merge_mergepath_partition_config_static_selectorELNS0_4arch9wavefront6targetE1EEEvSM_.numbered_sgpr, 0
	.set _ZN7rocprim17ROCPRIM_400000_NS6detail17trampoline_kernelINS0_14default_configENS1_38merge_sort_block_merge_config_selectorIlNS0_10empty_typeEEEZZNS1_27merge_sort_block_merge_implIS3_PlPS5_mZN2at6native12_GLOBAL__N_124unique_dim_cuda_templateIbEESt5tupleIJNSA_6TensorESF_SF_EERKSF_lbbbEUlllE_EE10hipError_tT0_T1_T2_jT3_P12ihipStream_tbPNSt15iterator_traitsISL_E10value_typeEPNSR_ISM_E10value_typeEPSN_NS1_7vsmem_tEENKUlT_SL_SM_SN_E_clIS8_S8_S9_S9_EESK_S10_SL_SM_SN_EUlS10_E_NS1_11comp_targetILNS1_3genE5ELNS1_11target_archE942ELNS1_3gpuE9ELNS1_3repE0EEENS1_48merge_mergepath_partition_config_static_selectorELNS0_4arch9wavefront6targetE1EEEvSM_.num_named_barrier, 0
	.set _ZN7rocprim17ROCPRIM_400000_NS6detail17trampoline_kernelINS0_14default_configENS1_38merge_sort_block_merge_config_selectorIlNS0_10empty_typeEEEZZNS1_27merge_sort_block_merge_implIS3_PlPS5_mZN2at6native12_GLOBAL__N_124unique_dim_cuda_templateIbEESt5tupleIJNSA_6TensorESF_SF_EERKSF_lbbbEUlllE_EE10hipError_tT0_T1_T2_jT3_P12ihipStream_tbPNSt15iterator_traitsISL_E10value_typeEPNSR_ISM_E10value_typeEPSN_NS1_7vsmem_tEENKUlT_SL_SM_SN_E_clIS8_S8_S9_S9_EESK_S10_SL_SM_SN_EUlS10_E_NS1_11comp_targetILNS1_3genE5ELNS1_11target_archE942ELNS1_3gpuE9ELNS1_3repE0EEENS1_48merge_mergepath_partition_config_static_selectorELNS0_4arch9wavefront6targetE1EEEvSM_.private_seg_size, 0
	.set _ZN7rocprim17ROCPRIM_400000_NS6detail17trampoline_kernelINS0_14default_configENS1_38merge_sort_block_merge_config_selectorIlNS0_10empty_typeEEEZZNS1_27merge_sort_block_merge_implIS3_PlPS5_mZN2at6native12_GLOBAL__N_124unique_dim_cuda_templateIbEESt5tupleIJNSA_6TensorESF_SF_EERKSF_lbbbEUlllE_EE10hipError_tT0_T1_T2_jT3_P12ihipStream_tbPNSt15iterator_traitsISL_E10value_typeEPNSR_ISM_E10value_typeEPSN_NS1_7vsmem_tEENKUlT_SL_SM_SN_E_clIS8_S8_S9_S9_EESK_S10_SL_SM_SN_EUlS10_E_NS1_11comp_targetILNS1_3genE5ELNS1_11target_archE942ELNS1_3gpuE9ELNS1_3repE0EEENS1_48merge_mergepath_partition_config_static_selectorELNS0_4arch9wavefront6targetE1EEEvSM_.uses_vcc, 0
	.set _ZN7rocprim17ROCPRIM_400000_NS6detail17trampoline_kernelINS0_14default_configENS1_38merge_sort_block_merge_config_selectorIlNS0_10empty_typeEEEZZNS1_27merge_sort_block_merge_implIS3_PlPS5_mZN2at6native12_GLOBAL__N_124unique_dim_cuda_templateIbEESt5tupleIJNSA_6TensorESF_SF_EERKSF_lbbbEUlllE_EE10hipError_tT0_T1_T2_jT3_P12ihipStream_tbPNSt15iterator_traitsISL_E10value_typeEPNSR_ISM_E10value_typeEPSN_NS1_7vsmem_tEENKUlT_SL_SM_SN_E_clIS8_S8_S9_S9_EESK_S10_SL_SM_SN_EUlS10_E_NS1_11comp_targetILNS1_3genE5ELNS1_11target_archE942ELNS1_3gpuE9ELNS1_3repE0EEENS1_48merge_mergepath_partition_config_static_selectorELNS0_4arch9wavefront6targetE1EEEvSM_.uses_flat_scratch, 0
	.set _ZN7rocprim17ROCPRIM_400000_NS6detail17trampoline_kernelINS0_14default_configENS1_38merge_sort_block_merge_config_selectorIlNS0_10empty_typeEEEZZNS1_27merge_sort_block_merge_implIS3_PlPS5_mZN2at6native12_GLOBAL__N_124unique_dim_cuda_templateIbEESt5tupleIJNSA_6TensorESF_SF_EERKSF_lbbbEUlllE_EE10hipError_tT0_T1_T2_jT3_P12ihipStream_tbPNSt15iterator_traitsISL_E10value_typeEPNSR_ISM_E10value_typeEPSN_NS1_7vsmem_tEENKUlT_SL_SM_SN_E_clIS8_S8_S9_S9_EESK_S10_SL_SM_SN_EUlS10_E_NS1_11comp_targetILNS1_3genE5ELNS1_11target_archE942ELNS1_3gpuE9ELNS1_3repE0EEENS1_48merge_mergepath_partition_config_static_selectorELNS0_4arch9wavefront6targetE1EEEvSM_.has_dyn_sized_stack, 0
	.set _ZN7rocprim17ROCPRIM_400000_NS6detail17trampoline_kernelINS0_14default_configENS1_38merge_sort_block_merge_config_selectorIlNS0_10empty_typeEEEZZNS1_27merge_sort_block_merge_implIS3_PlPS5_mZN2at6native12_GLOBAL__N_124unique_dim_cuda_templateIbEESt5tupleIJNSA_6TensorESF_SF_EERKSF_lbbbEUlllE_EE10hipError_tT0_T1_T2_jT3_P12ihipStream_tbPNSt15iterator_traitsISL_E10value_typeEPNSR_ISM_E10value_typeEPSN_NS1_7vsmem_tEENKUlT_SL_SM_SN_E_clIS8_S8_S9_S9_EESK_S10_SL_SM_SN_EUlS10_E_NS1_11comp_targetILNS1_3genE5ELNS1_11target_archE942ELNS1_3gpuE9ELNS1_3repE0EEENS1_48merge_mergepath_partition_config_static_selectorELNS0_4arch9wavefront6targetE1EEEvSM_.has_recursion, 0
	.set _ZN7rocprim17ROCPRIM_400000_NS6detail17trampoline_kernelINS0_14default_configENS1_38merge_sort_block_merge_config_selectorIlNS0_10empty_typeEEEZZNS1_27merge_sort_block_merge_implIS3_PlPS5_mZN2at6native12_GLOBAL__N_124unique_dim_cuda_templateIbEESt5tupleIJNSA_6TensorESF_SF_EERKSF_lbbbEUlllE_EE10hipError_tT0_T1_T2_jT3_P12ihipStream_tbPNSt15iterator_traitsISL_E10value_typeEPNSR_ISM_E10value_typeEPSN_NS1_7vsmem_tEENKUlT_SL_SM_SN_E_clIS8_S8_S9_S9_EESK_S10_SL_SM_SN_EUlS10_E_NS1_11comp_targetILNS1_3genE5ELNS1_11target_archE942ELNS1_3gpuE9ELNS1_3repE0EEENS1_48merge_mergepath_partition_config_static_selectorELNS0_4arch9wavefront6targetE1EEEvSM_.has_indirect_call, 0
	.section	.AMDGPU.csdata,"",@progbits
; Kernel info:
; codeLenInByte = 0
; TotalNumSgprs: 6
; NumVgprs: 0
; NumAgprs: 0
; TotalNumVgprs: 0
; ScratchSize: 0
; MemoryBound: 0
; FloatMode: 240
; IeeeMode: 1
; LDSByteSize: 0 bytes/workgroup (compile time only)
; SGPRBlocks: 0
; VGPRBlocks: 0
; NumSGPRsForWavesPerEU: 6
; NumVGPRsForWavesPerEU: 1
; AccumOffset: 4
; Occupancy: 8
; WaveLimiterHint : 0
; COMPUTE_PGM_RSRC2:SCRATCH_EN: 0
; COMPUTE_PGM_RSRC2:USER_SGPR: 2
; COMPUTE_PGM_RSRC2:TRAP_HANDLER: 0
; COMPUTE_PGM_RSRC2:TGID_X_EN: 1
; COMPUTE_PGM_RSRC2:TGID_Y_EN: 0
; COMPUTE_PGM_RSRC2:TGID_Z_EN: 0
; COMPUTE_PGM_RSRC2:TIDIG_COMP_CNT: 0
; COMPUTE_PGM_RSRC3_GFX90A:ACCUM_OFFSET: 0
; COMPUTE_PGM_RSRC3_GFX90A:TG_SPLIT: 0
	.section	.text._ZN7rocprim17ROCPRIM_400000_NS6detail17trampoline_kernelINS0_14default_configENS1_38merge_sort_block_merge_config_selectorIlNS0_10empty_typeEEEZZNS1_27merge_sort_block_merge_implIS3_PlPS5_mZN2at6native12_GLOBAL__N_124unique_dim_cuda_templateIbEESt5tupleIJNSA_6TensorESF_SF_EERKSF_lbbbEUlllE_EE10hipError_tT0_T1_T2_jT3_P12ihipStream_tbPNSt15iterator_traitsISL_E10value_typeEPNSR_ISM_E10value_typeEPSN_NS1_7vsmem_tEENKUlT_SL_SM_SN_E_clIS8_S8_S9_S9_EESK_S10_SL_SM_SN_EUlS10_E_NS1_11comp_targetILNS1_3genE4ELNS1_11target_archE910ELNS1_3gpuE8ELNS1_3repE0EEENS1_48merge_mergepath_partition_config_static_selectorELNS0_4arch9wavefront6targetE1EEEvSM_,"axG",@progbits,_ZN7rocprim17ROCPRIM_400000_NS6detail17trampoline_kernelINS0_14default_configENS1_38merge_sort_block_merge_config_selectorIlNS0_10empty_typeEEEZZNS1_27merge_sort_block_merge_implIS3_PlPS5_mZN2at6native12_GLOBAL__N_124unique_dim_cuda_templateIbEESt5tupleIJNSA_6TensorESF_SF_EERKSF_lbbbEUlllE_EE10hipError_tT0_T1_T2_jT3_P12ihipStream_tbPNSt15iterator_traitsISL_E10value_typeEPNSR_ISM_E10value_typeEPSN_NS1_7vsmem_tEENKUlT_SL_SM_SN_E_clIS8_S8_S9_S9_EESK_S10_SL_SM_SN_EUlS10_E_NS1_11comp_targetILNS1_3genE4ELNS1_11target_archE910ELNS1_3gpuE8ELNS1_3repE0EEENS1_48merge_mergepath_partition_config_static_selectorELNS0_4arch9wavefront6targetE1EEEvSM_,comdat
	.globl	_ZN7rocprim17ROCPRIM_400000_NS6detail17trampoline_kernelINS0_14default_configENS1_38merge_sort_block_merge_config_selectorIlNS0_10empty_typeEEEZZNS1_27merge_sort_block_merge_implIS3_PlPS5_mZN2at6native12_GLOBAL__N_124unique_dim_cuda_templateIbEESt5tupleIJNSA_6TensorESF_SF_EERKSF_lbbbEUlllE_EE10hipError_tT0_T1_T2_jT3_P12ihipStream_tbPNSt15iterator_traitsISL_E10value_typeEPNSR_ISM_E10value_typeEPSN_NS1_7vsmem_tEENKUlT_SL_SM_SN_E_clIS8_S8_S9_S9_EESK_S10_SL_SM_SN_EUlS10_E_NS1_11comp_targetILNS1_3genE4ELNS1_11target_archE910ELNS1_3gpuE8ELNS1_3repE0EEENS1_48merge_mergepath_partition_config_static_selectorELNS0_4arch9wavefront6targetE1EEEvSM_ ; -- Begin function _ZN7rocprim17ROCPRIM_400000_NS6detail17trampoline_kernelINS0_14default_configENS1_38merge_sort_block_merge_config_selectorIlNS0_10empty_typeEEEZZNS1_27merge_sort_block_merge_implIS3_PlPS5_mZN2at6native12_GLOBAL__N_124unique_dim_cuda_templateIbEESt5tupleIJNSA_6TensorESF_SF_EERKSF_lbbbEUlllE_EE10hipError_tT0_T1_T2_jT3_P12ihipStream_tbPNSt15iterator_traitsISL_E10value_typeEPNSR_ISM_E10value_typeEPSN_NS1_7vsmem_tEENKUlT_SL_SM_SN_E_clIS8_S8_S9_S9_EESK_S10_SL_SM_SN_EUlS10_E_NS1_11comp_targetILNS1_3genE4ELNS1_11target_archE910ELNS1_3gpuE8ELNS1_3repE0EEENS1_48merge_mergepath_partition_config_static_selectorELNS0_4arch9wavefront6targetE1EEEvSM_
	.p2align	8
	.type	_ZN7rocprim17ROCPRIM_400000_NS6detail17trampoline_kernelINS0_14default_configENS1_38merge_sort_block_merge_config_selectorIlNS0_10empty_typeEEEZZNS1_27merge_sort_block_merge_implIS3_PlPS5_mZN2at6native12_GLOBAL__N_124unique_dim_cuda_templateIbEESt5tupleIJNSA_6TensorESF_SF_EERKSF_lbbbEUlllE_EE10hipError_tT0_T1_T2_jT3_P12ihipStream_tbPNSt15iterator_traitsISL_E10value_typeEPNSR_ISM_E10value_typeEPSN_NS1_7vsmem_tEENKUlT_SL_SM_SN_E_clIS8_S8_S9_S9_EESK_S10_SL_SM_SN_EUlS10_E_NS1_11comp_targetILNS1_3genE4ELNS1_11target_archE910ELNS1_3gpuE8ELNS1_3repE0EEENS1_48merge_mergepath_partition_config_static_selectorELNS0_4arch9wavefront6targetE1EEEvSM_,@function
_ZN7rocprim17ROCPRIM_400000_NS6detail17trampoline_kernelINS0_14default_configENS1_38merge_sort_block_merge_config_selectorIlNS0_10empty_typeEEEZZNS1_27merge_sort_block_merge_implIS3_PlPS5_mZN2at6native12_GLOBAL__N_124unique_dim_cuda_templateIbEESt5tupleIJNSA_6TensorESF_SF_EERKSF_lbbbEUlllE_EE10hipError_tT0_T1_T2_jT3_P12ihipStream_tbPNSt15iterator_traitsISL_E10value_typeEPNSR_ISM_E10value_typeEPSN_NS1_7vsmem_tEENKUlT_SL_SM_SN_E_clIS8_S8_S9_S9_EESK_S10_SL_SM_SN_EUlS10_E_NS1_11comp_targetILNS1_3genE4ELNS1_11target_archE910ELNS1_3gpuE8ELNS1_3repE0EEENS1_48merge_mergepath_partition_config_static_selectorELNS0_4arch9wavefront6targetE1EEEvSM_: ; @_ZN7rocprim17ROCPRIM_400000_NS6detail17trampoline_kernelINS0_14default_configENS1_38merge_sort_block_merge_config_selectorIlNS0_10empty_typeEEEZZNS1_27merge_sort_block_merge_implIS3_PlPS5_mZN2at6native12_GLOBAL__N_124unique_dim_cuda_templateIbEESt5tupleIJNSA_6TensorESF_SF_EERKSF_lbbbEUlllE_EE10hipError_tT0_T1_T2_jT3_P12ihipStream_tbPNSt15iterator_traitsISL_E10value_typeEPNSR_ISM_E10value_typeEPSN_NS1_7vsmem_tEENKUlT_SL_SM_SN_E_clIS8_S8_S9_S9_EESK_S10_SL_SM_SN_EUlS10_E_NS1_11comp_targetILNS1_3genE4ELNS1_11target_archE910ELNS1_3gpuE8ELNS1_3repE0EEENS1_48merge_mergepath_partition_config_static_selectorELNS0_4arch9wavefront6targetE1EEEvSM_
; %bb.0:
	.section	.rodata,"a",@progbits
	.p2align	6, 0x0
	.amdhsa_kernel _ZN7rocprim17ROCPRIM_400000_NS6detail17trampoline_kernelINS0_14default_configENS1_38merge_sort_block_merge_config_selectorIlNS0_10empty_typeEEEZZNS1_27merge_sort_block_merge_implIS3_PlPS5_mZN2at6native12_GLOBAL__N_124unique_dim_cuda_templateIbEESt5tupleIJNSA_6TensorESF_SF_EERKSF_lbbbEUlllE_EE10hipError_tT0_T1_T2_jT3_P12ihipStream_tbPNSt15iterator_traitsISL_E10value_typeEPNSR_ISM_E10value_typeEPSN_NS1_7vsmem_tEENKUlT_SL_SM_SN_E_clIS8_S8_S9_S9_EESK_S10_SL_SM_SN_EUlS10_E_NS1_11comp_targetILNS1_3genE4ELNS1_11target_archE910ELNS1_3gpuE8ELNS1_3repE0EEENS1_48merge_mergepath_partition_config_static_selectorELNS0_4arch9wavefront6targetE1EEEvSM_
		.amdhsa_group_segment_fixed_size 0
		.amdhsa_private_segment_fixed_size 0
		.amdhsa_kernarg_size 56
		.amdhsa_user_sgpr_count 2
		.amdhsa_user_sgpr_dispatch_ptr 0
		.amdhsa_user_sgpr_queue_ptr 0
		.amdhsa_user_sgpr_kernarg_segment_ptr 1
		.amdhsa_user_sgpr_dispatch_id 0
		.amdhsa_user_sgpr_kernarg_preload_length 0
		.amdhsa_user_sgpr_kernarg_preload_offset 0
		.amdhsa_user_sgpr_private_segment_size 0
		.amdhsa_uses_dynamic_stack 0
		.amdhsa_enable_private_segment 0
		.amdhsa_system_sgpr_workgroup_id_x 1
		.amdhsa_system_sgpr_workgroup_id_y 0
		.amdhsa_system_sgpr_workgroup_id_z 0
		.amdhsa_system_sgpr_workgroup_info 0
		.amdhsa_system_vgpr_workitem_id 0
		.amdhsa_next_free_vgpr 1
		.amdhsa_next_free_sgpr 0
		.amdhsa_accum_offset 4
		.amdhsa_reserve_vcc 0
		.amdhsa_float_round_mode_32 0
		.amdhsa_float_round_mode_16_64 0
		.amdhsa_float_denorm_mode_32 3
		.amdhsa_float_denorm_mode_16_64 3
		.amdhsa_dx10_clamp 1
		.amdhsa_ieee_mode 1
		.amdhsa_fp16_overflow 0
		.amdhsa_tg_split 0
		.amdhsa_exception_fp_ieee_invalid_op 0
		.amdhsa_exception_fp_denorm_src 0
		.amdhsa_exception_fp_ieee_div_zero 0
		.amdhsa_exception_fp_ieee_overflow 0
		.amdhsa_exception_fp_ieee_underflow 0
		.amdhsa_exception_fp_ieee_inexact 0
		.amdhsa_exception_int_div_zero 0
	.end_amdhsa_kernel
	.section	.text._ZN7rocprim17ROCPRIM_400000_NS6detail17trampoline_kernelINS0_14default_configENS1_38merge_sort_block_merge_config_selectorIlNS0_10empty_typeEEEZZNS1_27merge_sort_block_merge_implIS3_PlPS5_mZN2at6native12_GLOBAL__N_124unique_dim_cuda_templateIbEESt5tupleIJNSA_6TensorESF_SF_EERKSF_lbbbEUlllE_EE10hipError_tT0_T1_T2_jT3_P12ihipStream_tbPNSt15iterator_traitsISL_E10value_typeEPNSR_ISM_E10value_typeEPSN_NS1_7vsmem_tEENKUlT_SL_SM_SN_E_clIS8_S8_S9_S9_EESK_S10_SL_SM_SN_EUlS10_E_NS1_11comp_targetILNS1_3genE4ELNS1_11target_archE910ELNS1_3gpuE8ELNS1_3repE0EEENS1_48merge_mergepath_partition_config_static_selectorELNS0_4arch9wavefront6targetE1EEEvSM_,"axG",@progbits,_ZN7rocprim17ROCPRIM_400000_NS6detail17trampoline_kernelINS0_14default_configENS1_38merge_sort_block_merge_config_selectorIlNS0_10empty_typeEEEZZNS1_27merge_sort_block_merge_implIS3_PlPS5_mZN2at6native12_GLOBAL__N_124unique_dim_cuda_templateIbEESt5tupleIJNSA_6TensorESF_SF_EERKSF_lbbbEUlllE_EE10hipError_tT0_T1_T2_jT3_P12ihipStream_tbPNSt15iterator_traitsISL_E10value_typeEPNSR_ISM_E10value_typeEPSN_NS1_7vsmem_tEENKUlT_SL_SM_SN_E_clIS8_S8_S9_S9_EESK_S10_SL_SM_SN_EUlS10_E_NS1_11comp_targetILNS1_3genE4ELNS1_11target_archE910ELNS1_3gpuE8ELNS1_3repE0EEENS1_48merge_mergepath_partition_config_static_selectorELNS0_4arch9wavefront6targetE1EEEvSM_,comdat
.Lfunc_end1005:
	.size	_ZN7rocprim17ROCPRIM_400000_NS6detail17trampoline_kernelINS0_14default_configENS1_38merge_sort_block_merge_config_selectorIlNS0_10empty_typeEEEZZNS1_27merge_sort_block_merge_implIS3_PlPS5_mZN2at6native12_GLOBAL__N_124unique_dim_cuda_templateIbEESt5tupleIJNSA_6TensorESF_SF_EERKSF_lbbbEUlllE_EE10hipError_tT0_T1_T2_jT3_P12ihipStream_tbPNSt15iterator_traitsISL_E10value_typeEPNSR_ISM_E10value_typeEPSN_NS1_7vsmem_tEENKUlT_SL_SM_SN_E_clIS8_S8_S9_S9_EESK_S10_SL_SM_SN_EUlS10_E_NS1_11comp_targetILNS1_3genE4ELNS1_11target_archE910ELNS1_3gpuE8ELNS1_3repE0EEENS1_48merge_mergepath_partition_config_static_selectorELNS0_4arch9wavefront6targetE1EEEvSM_, .Lfunc_end1005-_ZN7rocprim17ROCPRIM_400000_NS6detail17trampoline_kernelINS0_14default_configENS1_38merge_sort_block_merge_config_selectorIlNS0_10empty_typeEEEZZNS1_27merge_sort_block_merge_implIS3_PlPS5_mZN2at6native12_GLOBAL__N_124unique_dim_cuda_templateIbEESt5tupleIJNSA_6TensorESF_SF_EERKSF_lbbbEUlllE_EE10hipError_tT0_T1_T2_jT3_P12ihipStream_tbPNSt15iterator_traitsISL_E10value_typeEPNSR_ISM_E10value_typeEPSN_NS1_7vsmem_tEENKUlT_SL_SM_SN_E_clIS8_S8_S9_S9_EESK_S10_SL_SM_SN_EUlS10_E_NS1_11comp_targetILNS1_3genE4ELNS1_11target_archE910ELNS1_3gpuE8ELNS1_3repE0EEENS1_48merge_mergepath_partition_config_static_selectorELNS0_4arch9wavefront6targetE1EEEvSM_
                                        ; -- End function
	.set _ZN7rocprim17ROCPRIM_400000_NS6detail17trampoline_kernelINS0_14default_configENS1_38merge_sort_block_merge_config_selectorIlNS0_10empty_typeEEEZZNS1_27merge_sort_block_merge_implIS3_PlPS5_mZN2at6native12_GLOBAL__N_124unique_dim_cuda_templateIbEESt5tupleIJNSA_6TensorESF_SF_EERKSF_lbbbEUlllE_EE10hipError_tT0_T1_T2_jT3_P12ihipStream_tbPNSt15iterator_traitsISL_E10value_typeEPNSR_ISM_E10value_typeEPSN_NS1_7vsmem_tEENKUlT_SL_SM_SN_E_clIS8_S8_S9_S9_EESK_S10_SL_SM_SN_EUlS10_E_NS1_11comp_targetILNS1_3genE4ELNS1_11target_archE910ELNS1_3gpuE8ELNS1_3repE0EEENS1_48merge_mergepath_partition_config_static_selectorELNS0_4arch9wavefront6targetE1EEEvSM_.num_vgpr, 0
	.set _ZN7rocprim17ROCPRIM_400000_NS6detail17trampoline_kernelINS0_14default_configENS1_38merge_sort_block_merge_config_selectorIlNS0_10empty_typeEEEZZNS1_27merge_sort_block_merge_implIS3_PlPS5_mZN2at6native12_GLOBAL__N_124unique_dim_cuda_templateIbEESt5tupleIJNSA_6TensorESF_SF_EERKSF_lbbbEUlllE_EE10hipError_tT0_T1_T2_jT3_P12ihipStream_tbPNSt15iterator_traitsISL_E10value_typeEPNSR_ISM_E10value_typeEPSN_NS1_7vsmem_tEENKUlT_SL_SM_SN_E_clIS8_S8_S9_S9_EESK_S10_SL_SM_SN_EUlS10_E_NS1_11comp_targetILNS1_3genE4ELNS1_11target_archE910ELNS1_3gpuE8ELNS1_3repE0EEENS1_48merge_mergepath_partition_config_static_selectorELNS0_4arch9wavefront6targetE1EEEvSM_.num_agpr, 0
	.set _ZN7rocprim17ROCPRIM_400000_NS6detail17trampoline_kernelINS0_14default_configENS1_38merge_sort_block_merge_config_selectorIlNS0_10empty_typeEEEZZNS1_27merge_sort_block_merge_implIS3_PlPS5_mZN2at6native12_GLOBAL__N_124unique_dim_cuda_templateIbEESt5tupleIJNSA_6TensorESF_SF_EERKSF_lbbbEUlllE_EE10hipError_tT0_T1_T2_jT3_P12ihipStream_tbPNSt15iterator_traitsISL_E10value_typeEPNSR_ISM_E10value_typeEPSN_NS1_7vsmem_tEENKUlT_SL_SM_SN_E_clIS8_S8_S9_S9_EESK_S10_SL_SM_SN_EUlS10_E_NS1_11comp_targetILNS1_3genE4ELNS1_11target_archE910ELNS1_3gpuE8ELNS1_3repE0EEENS1_48merge_mergepath_partition_config_static_selectorELNS0_4arch9wavefront6targetE1EEEvSM_.numbered_sgpr, 0
	.set _ZN7rocprim17ROCPRIM_400000_NS6detail17trampoline_kernelINS0_14default_configENS1_38merge_sort_block_merge_config_selectorIlNS0_10empty_typeEEEZZNS1_27merge_sort_block_merge_implIS3_PlPS5_mZN2at6native12_GLOBAL__N_124unique_dim_cuda_templateIbEESt5tupleIJNSA_6TensorESF_SF_EERKSF_lbbbEUlllE_EE10hipError_tT0_T1_T2_jT3_P12ihipStream_tbPNSt15iterator_traitsISL_E10value_typeEPNSR_ISM_E10value_typeEPSN_NS1_7vsmem_tEENKUlT_SL_SM_SN_E_clIS8_S8_S9_S9_EESK_S10_SL_SM_SN_EUlS10_E_NS1_11comp_targetILNS1_3genE4ELNS1_11target_archE910ELNS1_3gpuE8ELNS1_3repE0EEENS1_48merge_mergepath_partition_config_static_selectorELNS0_4arch9wavefront6targetE1EEEvSM_.num_named_barrier, 0
	.set _ZN7rocprim17ROCPRIM_400000_NS6detail17trampoline_kernelINS0_14default_configENS1_38merge_sort_block_merge_config_selectorIlNS0_10empty_typeEEEZZNS1_27merge_sort_block_merge_implIS3_PlPS5_mZN2at6native12_GLOBAL__N_124unique_dim_cuda_templateIbEESt5tupleIJNSA_6TensorESF_SF_EERKSF_lbbbEUlllE_EE10hipError_tT0_T1_T2_jT3_P12ihipStream_tbPNSt15iterator_traitsISL_E10value_typeEPNSR_ISM_E10value_typeEPSN_NS1_7vsmem_tEENKUlT_SL_SM_SN_E_clIS8_S8_S9_S9_EESK_S10_SL_SM_SN_EUlS10_E_NS1_11comp_targetILNS1_3genE4ELNS1_11target_archE910ELNS1_3gpuE8ELNS1_3repE0EEENS1_48merge_mergepath_partition_config_static_selectorELNS0_4arch9wavefront6targetE1EEEvSM_.private_seg_size, 0
	.set _ZN7rocprim17ROCPRIM_400000_NS6detail17trampoline_kernelINS0_14default_configENS1_38merge_sort_block_merge_config_selectorIlNS0_10empty_typeEEEZZNS1_27merge_sort_block_merge_implIS3_PlPS5_mZN2at6native12_GLOBAL__N_124unique_dim_cuda_templateIbEESt5tupleIJNSA_6TensorESF_SF_EERKSF_lbbbEUlllE_EE10hipError_tT0_T1_T2_jT3_P12ihipStream_tbPNSt15iterator_traitsISL_E10value_typeEPNSR_ISM_E10value_typeEPSN_NS1_7vsmem_tEENKUlT_SL_SM_SN_E_clIS8_S8_S9_S9_EESK_S10_SL_SM_SN_EUlS10_E_NS1_11comp_targetILNS1_3genE4ELNS1_11target_archE910ELNS1_3gpuE8ELNS1_3repE0EEENS1_48merge_mergepath_partition_config_static_selectorELNS0_4arch9wavefront6targetE1EEEvSM_.uses_vcc, 0
	.set _ZN7rocprim17ROCPRIM_400000_NS6detail17trampoline_kernelINS0_14default_configENS1_38merge_sort_block_merge_config_selectorIlNS0_10empty_typeEEEZZNS1_27merge_sort_block_merge_implIS3_PlPS5_mZN2at6native12_GLOBAL__N_124unique_dim_cuda_templateIbEESt5tupleIJNSA_6TensorESF_SF_EERKSF_lbbbEUlllE_EE10hipError_tT0_T1_T2_jT3_P12ihipStream_tbPNSt15iterator_traitsISL_E10value_typeEPNSR_ISM_E10value_typeEPSN_NS1_7vsmem_tEENKUlT_SL_SM_SN_E_clIS8_S8_S9_S9_EESK_S10_SL_SM_SN_EUlS10_E_NS1_11comp_targetILNS1_3genE4ELNS1_11target_archE910ELNS1_3gpuE8ELNS1_3repE0EEENS1_48merge_mergepath_partition_config_static_selectorELNS0_4arch9wavefront6targetE1EEEvSM_.uses_flat_scratch, 0
	.set _ZN7rocprim17ROCPRIM_400000_NS6detail17trampoline_kernelINS0_14default_configENS1_38merge_sort_block_merge_config_selectorIlNS0_10empty_typeEEEZZNS1_27merge_sort_block_merge_implIS3_PlPS5_mZN2at6native12_GLOBAL__N_124unique_dim_cuda_templateIbEESt5tupleIJNSA_6TensorESF_SF_EERKSF_lbbbEUlllE_EE10hipError_tT0_T1_T2_jT3_P12ihipStream_tbPNSt15iterator_traitsISL_E10value_typeEPNSR_ISM_E10value_typeEPSN_NS1_7vsmem_tEENKUlT_SL_SM_SN_E_clIS8_S8_S9_S9_EESK_S10_SL_SM_SN_EUlS10_E_NS1_11comp_targetILNS1_3genE4ELNS1_11target_archE910ELNS1_3gpuE8ELNS1_3repE0EEENS1_48merge_mergepath_partition_config_static_selectorELNS0_4arch9wavefront6targetE1EEEvSM_.has_dyn_sized_stack, 0
	.set _ZN7rocprim17ROCPRIM_400000_NS6detail17trampoline_kernelINS0_14default_configENS1_38merge_sort_block_merge_config_selectorIlNS0_10empty_typeEEEZZNS1_27merge_sort_block_merge_implIS3_PlPS5_mZN2at6native12_GLOBAL__N_124unique_dim_cuda_templateIbEESt5tupleIJNSA_6TensorESF_SF_EERKSF_lbbbEUlllE_EE10hipError_tT0_T1_T2_jT3_P12ihipStream_tbPNSt15iterator_traitsISL_E10value_typeEPNSR_ISM_E10value_typeEPSN_NS1_7vsmem_tEENKUlT_SL_SM_SN_E_clIS8_S8_S9_S9_EESK_S10_SL_SM_SN_EUlS10_E_NS1_11comp_targetILNS1_3genE4ELNS1_11target_archE910ELNS1_3gpuE8ELNS1_3repE0EEENS1_48merge_mergepath_partition_config_static_selectorELNS0_4arch9wavefront6targetE1EEEvSM_.has_recursion, 0
	.set _ZN7rocprim17ROCPRIM_400000_NS6detail17trampoline_kernelINS0_14default_configENS1_38merge_sort_block_merge_config_selectorIlNS0_10empty_typeEEEZZNS1_27merge_sort_block_merge_implIS3_PlPS5_mZN2at6native12_GLOBAL__N_124unique_dim_cuda_templateIbEESt5tupleIJNSA_6TensorESF_SF_EERKSF_lbbbEUlllE_EE10hipError_tT0_T1_T2_jT3_P12ihipStream_tbPNSt15iterator_traitsISL_E10value_typeEPNSR_ISM_E10value_typeEPSN_NS1_7vsmem_tEENKUlT_SL_SM_SN_E_clIS8_S8_S9_S9_EESK_S10_SL_SM_SN_EUlS10_E_NS1_11comp_targetILNS1_3genE4ELNS1_11target_archE910ELNS1_3gpuE8ELNS1_3repE0EEENS1_48merge_mergepath_partition_config_static_selectorELNS0_4arch9wavefront6targetE1EEEvSM_.has_indirect_call, 0
	.section	.AMDGPU.csdata,"",@progbits
; Kernel info:
; codeLenInByte = 0
; TotalNumSgprs: 6
; NumVgprs: 0
; NumAgprs: 0
; TotalNumVgprs: 0
; ScratchSize: 0
; MemoryBound: 0
; FloatMode: 240
; IeeeMode: 1
; LDSByteSize: 0 bytes/workgroup (compile time only)
; SGPRBlocks: 0
; VGPRBlocks: 0
; NumSGPRsForWavesPerEU: 6
; NumVGPRsForWavesPerEU: 1
; AccumOffset: 4
; Occupancy: 8
; WaveLimiterHint : 0
; COMPUTE_PGM_RSRC2:SCRATCH_EN: 0
; COMPUTE_PGM_RSRC2:USER_SGPR: 2
; COMPUTE_PGM_RSRC2:TRAP_HANDLER: 0
; COMPUTE_PGM_RSRC2:TGID_X_EN: 1
; COMPUTE_PGM_RSRC2:TGID_Y_EN: 0
; COMPUTE_PGM_RSRC2:TGID_Z_EN: 0
; COMPUTE_PGM_RSRC2:TIDIG_COMP_CNT: 0
; COMPUTE_PGM_RSRC3_GFX90A:ACCUM_OFFSET: 0
; COMPUTE_PGM_RSRC3_GFX90A:TG_SPLIT: 0
	.section	.text._ZN7rocprim17ROCPRIM_400000_NS6detail17trampoline_kernelINS0_14default_configENS1_38merge_sort_block_merge_config_selectorIlNS0_10empty_typeEEEZZNS1_27merge_sort_block_merge_implIS3_PlPS5_mZN2at6native12_GLOBAL__N_124unique_dim_cuda_templateIbEESt5tupleIJNSA_6TensorESF_SF_EERKSF_lbbbEUlllE_EE10hipError_tT0_T1_T2_jT3_P12ihipStream_tbPNSt15iterator_traitsISL_E10value_typeEPNSR_ISM_E10value_typeEPSN_NS1_7vsmem_tEENKUlT_SL_SM_SN_E_clIS8_S8_S9_S9_EESK_S10_SL_SM_SN_EUlS10_E_NS1_11comp_targetILNS1_3genE3ELNS1_11target_archE908ELNS1_3gpuE7ELNS1_3repE0EEENS1_48merge_mergepath_partition_config_static_selectorELNS0_4arch9wavefront6targetE1EEEvSM_,"axG",@progbits,_ZN7rocprim17ROCPRIM_400000_NS6detail17trampoline_kernelINS0_14default_configENS1_38merge_sort_block_merge_config_selectorIlNS0_10empty_typeEEEZZNS1_27merge_sort_block_merge_implIS3_PlPS5_mZN2at6native12_GLOBAL__N_124unique_dim_cuda_templateIbEESt5tupleIJNSA_6TensorESF_SF_EERKSF_lbbbEUlllE_EE10hipError_tT0_T1_T2_jT3_P12ihipStream_tbPNSt15iterator_traitsISL_E10value_typeEPNSR_ISM_E10value_typeEPSN_NS1_7vsmem_tEENKUlT_SL_SM_SN_E_clIS8_S8_S9_S9_EESK_S10_SL_SM_SN_EUlS10_E_NS1_11comp_targetILNS1_3genE3ELNS1_11target_archE908ELNS1_3gpuE7ELNS1_3repE0EEENS1_48merge_mergepath_partition_config_static_selectorELNS0_4arch9wavefront6targetE1EEEvSM_,comdat
	.globl	_ZN7rocprim17ROCPRIM_400000_NS6detail17trampoline_kernelINS0_14default_configENS1_38merge_sort_block_merge_config_selectorIlNS0_10empty_typeEEEZZNS1_27merge_sort_block_merge_implIS3_PlPS5_mZN2at6native12_GLOBAL__N_124unique_dim_cuda_templateIbEESt5tupleIJNSA_6TensorESF_SF_EERKSF_lbbbEUlllE_EE10hipError_tT0_T1_T2_jT3_P12ihipStream_tbPNSt15iterator_traitsISL_E10value_typeEPNSR_ISM_E10value_typeEPSN_NS1_7vsmem_tEENKUlT_SL_SM_SN_E_clIS8_S8_S9_S9_EESK_S10_SL_SM_SN_EUlS10_E_NS1_11comp_targetILNS1_3genE3ELNS1_11target_archE908ELNS1_3gpuE7ELNS1_3repE0EEENS1_48merge_mergepath_partition_config_static_selectorELNS0_4arch9wavefront6targetE1EEEvSM_ ; -- Begin function _ZN7rocprim17ROCPRIM_400000_NS6detail17trampoline_kernelINS0_14default_configENS1_38merge_sort_block_merge_config_selectorIlNS0_10empty_typeEEEZZNS1_27merge_sort_block_merge_implIS3_PlPS5_mZN2at6native12_GLOBAL__N_124unique_dim_cuda_templateIbEESt5tupleIJNSA_6TensorESF_SF_EERKSF_lbbbEUlllE_EE10hipError_tT0_T1_T2_jT3_P12ihipStream_tbPNSt15iterator_traitsISL_E10value_typeEPNSR_ISM_E10value_typeEPSN_NS1_7vsmem_tEENKUlT_SL_SM_SN_E_clIS8_S8_S9_S9_EESK_S10_SL_SM_SN_EUlS10_E_NS1_11comp_targetILNS1_3genE3ELNS1_11target_archE908ELNS1_3gpuE7ELNS1_3repE0EEENS1_48merge_mergepath_partition_config_static_selectorELNS0_4arch9wavefront6targetE1EEEvSM_
	.p2align	8
	.type	_ZN7rocprim17ROCPRIM_400000_NS6detail17trampoline_kernelINS0_14default_configENS1_38merge_sort_block_merge_config_selectorIlNS0_10empty_typeEEEZZNS1_27merge_sort_block_merge_implIS3_PlPS5_mZN2at6native12_GLOBAL__N_124unique_dim_cuda_templateIbEESt5tupleIJNSA_6TensorESF_SF_EERKSF_lbbbEUlllE_EE10hipError_tT0_T1_T2_jT3_P12ihipStream_tbPNSt15iterator_traitsISL_E10value_typeEPNSR_ISM_E10value_typeEPSN_NS1_7vsmem_tEENKUlT_SL_SM_SN_E_clIS8_S8_S9_S9_EESK_S10_SL_SM_SN_EUlS10_E_NS1_11comp_targetILNS1_3genE3ELNS1_11target_archE908ELNS1_3gpuE7ELNS1_3repE0EEENS1_48merge_mergepath_partition_config_static_selectorELNS0_4arch9wavefront6targetE1EEEvSM_,@function
_ZN7rocprim17ROCPRIM_400000_NS6detail17trampoline_kernelINS0_14default_configENS1_38merge_sort_block_merge_config_selectorIlNS0_10empty_typeEEEZZNS1_27merge_sort_block_merge_implIS3_PlPS5_mZN2at6native12_GLOBAL__N_124unique_dim_cuda_templateIbEESt5tupleIJNSA_6TensorESF_SF_EERKSF_lbbbEUlllE_EE10hipError_tT0_T1_T2_jT3_P12ihipStream_tbPNSt15iterator_traitsISL_E10value_typeEPNSR_ISM_E10value_typeEPSN_NS1_7vsmem_tEENKUlT_SL_SM_SN_E_clIS8_S8_S9_S9_EESK_S10_SL_SM_SN_EUlS10_E_NS1_11comp_targetILNS1_3genE3ELNS1_11target_archE908ELNS1_3gpuE7ELNS1_3repE0EEENS1_48merge_mergepath_partition_config_static_selectorELNS0_4arch9wavefront6targetE1EEEvSM_: ; @_ZN7rocprim17ROCPRIM_400000_NS6detail17trampoline_kernelINS0_14default_configENS1_38merge_sort_block_merge_config_selectorIlNS0_10empty_typeEEEZZNS1_27merge_sort_block_merge_implIS3_PlPS5_mZN2at6native12_GLOBAL__N_124unique_dim_cuda_templateIbEESt5tupleIJNSA_6TensorESF_SF_EERKSF_lbbbEUlllE_EE10hipError_tT0_T1_T2_jT3_P12ihipStream_tbPNSt15iterator_traitsISL_E10value_typeEPNSR_ISM_E10value_typeEPSN_NS1_7vsmem_tEENKUlT_SL_SM_SN_E_clIS8_S8_S9_S9_EESK_S10_SL_SM_SN_EUlS10_E_NS1_11comp_targetILNS1_3genE3ELNS1_11target_archE908ELNS1_3gpuE7ELNS1_3repE0EEENS1_48merge_mergepath_partition_config_static_selectorELNS0_4arch9wavefront6targetE1EEEvSM_
; %bb.0:
	.section	.rodata,"a",@progbits
	.p2align	6, 0x0
	.amdhsa_kernel _ZN7rocprim17ROCPRIM_400000_NS6detail17trampoline_kernelINS0_14default_configENS1_38merge_sort_block_merge_config_selectorIlNS0_10empty_typeEEEZZNS1_27merge_sort_block_merge_implIS3_PlPS5_mZN2at6native12_GLOBAL__N_124unique_dim_cuda_templateIbEESt5tupleIJNSA_6TensorESF_SF_EERKSF_lbbbEUlllE_EE10hipError_tT0_T1_T2_jT3_P12ihipStream_tbPNSt15iterator_traitsISL_E10value_typeEPNSR_ISM_E10value_typeEPSN_NS1_7vsmem_tEENKUlT_SL_SM_SN_E_clIS8_S8_S9_S9_EESK_S10_SL_SM_SN_EUlS10_E_NS1_11comp_targetILNS1_3genE3ELNS1_11target_archE908ELNS1_3gpuE7ELNS1_3repE0EEENS1_48merge_mergepath_partition_config_static_selectorELNS0_4arch9wavefront6targetE1EEEvSM_
		.amdhsa_group_segment_fixed_size 0
		.amdhsa_private_segment_fixed_size 0
		.amdhsa_kernarg_size 56
		.amdhsa_user_sgpr_count 2
		.amdhsa_user_sgpr_dispatch_ptr 0
		.amdhsa_user_sgpr_queue_ptr 0
		.amdhsa_user_sgpr_kernarg_segment_ptr 1
		.amdhsa_user_sgpr_dispatch_id 0
		.amdhsa_user_sgpr_kernarg_preload_length 0
		.amdhsa_user_sgpr_kernarg_preload_offset 0
		.amdhsa_user_sgpr_private_segment_size 0
		.amdhsa_uses_dynamic_stack 0
		.amdhsa_enable_private_segment 0
		.amdhsa_system_sgpr_workgroup_id_x 1
		.amdhsa_system_sgpr_workgroup_id_y 0
		.amdhsa_system_sgpr_workgroup_id_z 0
		.amdhsa_system_sgpr_workgroup_info 0
		.amdhsa_system_vgpr_workitem_id 0
		.amdhsa_next_free_vgpr 1
		.amdhsa_next_free_sgpr 0
		.amdhsa_accum_offset 4
		.amdhsa_reserve_vcc 0
		.amdhsa_float_round_mode_32 0
		.amdhsa_float_round_mode_16_64 0
		.amdhsa_float_denorm_mode_32 3
		.amdhsa_float_denorm_mode_16_64 3
		.amdhsa_dx10_clamp 1
		.amdhsa_ieee_mode 1
		.amdhsa_fp16_overflow 0
		.amdhsa_tg_split 0
		.amdhsa_exception_fp_ieee_invalid_op 0
		.amdhsa_exception_fp_denorm_src 0
		.amdhsa_exception_fp_ieee_div_zero 0
		.amdhsa_exception_fp_ieee_overflow 0
		.amdhsa_exception_fp_ieee_underflow 0
		.amdhsa_exception_fp_ieee_inexact 0
		.amdhsa_exception_int_div_zero 0
	.end_amdhsa_kernel
	.section	.text._ZN7rocprim17ROCPRIM_400000_NS6detail17trampoline_kernelINS0_14default_configENS1_38merge_sort_block_merge_config_selectorIlNS0_10empty_typeEEEZZNS1_27merge_sort_block_merge_implIS3_PlPS5_mZN2at6native12_GLOBAL__N_124unique_dim_cuda_templateIbEESt5tupleIJNSA_6TensorESF_SF_EERKSF_lbbbEUlllE_EE10hipError_tT0_T1_T2_jT3_P12ihipStream_tbPNSt15iterator_traitsISL_E10value_typeEPNSR_ISM_E10value_typeEPSN_NS1_7vsmem_tEENKUlT_SL_SM_SN_E_clIS8_S8_S9_S9_EESK_S10_SL_SM_SN_EUlS10_E_NS1_11comp_targetILNS1_3genE3ELNS1_11target_archE908ELNS1_3gpuE7ELNS1_3repE0EEENS1_48merge_mergepath_partition_config_static_selectorELNS0_4arch9wavefront6targetE1EEEvSM_,"axG",@progbits,_ZN7rocprim17ROCPRIM_400000_NS6detail17trampoline_kernelINS0_14default_configENS1_38merge_sort_block_merge_config_selectorIlNS0_10empty_typeEEEZZNS1_27merge_sort_block_merge_implIS3_PlPS5_mZN2at6native12_GLOBAL__N_124unique_dim_cuda_templateIbEESt5tupleIJNSA_6TensorESF_SF_EERKSF_lbbbEUlllE_EE10hipError_tT0_T1_T2_jT3_P12ihipStream_tbPNSt15iterator_traitsISL_E10value_typeEPNSR_ISM_E10value_typeEPSN_NS1_7vsmem_tEENKUlT_SL_SM_SN_E_clIS8_S8_S9_S9_EESK_S10_SL_SM_SN_EUlS10_E_NS1_11comp_targetILNS1_3genE3ELNS1_11target_archE908ELNS1_3gpuE7ELNS1_3repE0EEENS1_48merge_mergepath_partition_config_static_selectorELNS0_4arch9wavefront6targetE1EEEvSM_,comdat
.Lfunc_end1006:
	.size	_ZN7rocprim17ROCPRIM_400000_NS6detail17trampoline_kernelINS0_14default_configENS1_38merge_sort_block_merge_config_selectorIlNS0_10empty_typeEEEZZNS1_27merge_sort_block_merge_implIS3_PlPS5_mZN2at6native12_GLOBAL__N_124unique_dim_cuda_templateIbEESt5tupleIJNSA_6TensorESF_SF_EERKSF_lbbbEUlllE_EE10hipError_tT0_T1_T2_jT3_P12ihipStream_tbPNSt15iterator_traitsISL_E10value_typeEPNSR_ISM_E10value_typeEPSN_NS1_7vsmem_tEENKUlT_SL_SM_SN_E_clIS8_S8_S9_S9_EESK_S10_SL_SM_SN_EUlS10_E_NS1_11comp_targetILNS1_3genE3ELNS1_11target_archE908ELNS1_3gpuE7ELNS1_3repE0EEENS1_48merge_mergepath_partition_config_static_selectorELNS0_4arch9wavefront6targetE1EEEvSM_, .Lfunc_end1006-_ZN7rocprim17ROCPRIM_400000_NS6detail17trampoline_kernelINS0_14default_configENS1_38merge_sort_block_merge_config_selectorIlNS0_10empty_typeEEEZZNS1_27merge_sort_block_merge_implIS3_PlPS5_mZN2at6native12_GLOBAL__N_124unique_dim_cuda_templateIbEESt5tupleIJNSA_6TensorESF_SF_EERKSF_lbbbEUlllE_EE10hipError_tT0_T1_T2_jT3_P12ihipStream_tbPNSt15iterator_traitsISL_E10value_typeEPNSR_ISM_E10value_typeEPSN_NS1_7vsmem_tEENKUlT_SL_SM_SN_E_clIS8_S8_S9_S9_EESK_S10_SL_SM_SN_EUlS10_E_NS1_11comp_targetILNS1_3genE3ELNS1_11target_archE908ELNS1_3gpuE7ELNS1_3repE0EEENS1_48merge_mergepath_partition_config_static_selectorELNS0_4arch9wavefront6targetE1EEEvSM_
                                        ; -- End function
	.set _ZN7rocprim17ROCPRIM_400000_NS6detail17trampoline_kernelINS0_14default_configENS1_38merge_sort_block_merge_config_selectorIlNS0_10empty_typeEEEZZNS1_27merge_sort_block_merge_implIS3_PlPS5_mZN2at6native12_GLOBAL__N_124unique_dim_cuda_templateIbEESt5tupleIJNSA_6TensorESF_SF_EERKSF_lbbbEUlllE_EE10hipError_tT0_T1_T2_jT3_P12ihipStream_tbPNSt15iterator_traitsISL_E10value_typeEPNSR_ISM_E10value_typeEPSN_NS1_7vsmem_tEENKUlT_SL_SM_SN_E_clIS8_S8_S9_S9_EESK_S10_SL_SM_SN_EUlS10_E_NS1_11comp_targetILNS1_3genE3ELNS1_11target_archE908ELNS1_3gpuE7ELNS1_3repE0EEENS1_48merge_mergepath_partition_config_static_selectorELNS0_4arch9wavefront6targetE1EEEvSM_.num_vgpr, 0
	.set _ZN7rocprim17ROCPRIM_400000_NS6detail17trampoline_kernelINS0_14default_configENS1_38merge_sort_block_merge_config_selectorIlNS0_10empty_typeEEEZZNS1_27merge_sort_block_merge_implIS3_PlPS5_mZN2at6native12_GLOBAL__N_124unique_dim_cuda_templateIbEESt5tupleIJNSA_6TensorESF_SF_EERKSF_lbbbEUlllE_EE10hipError_tT0_T1_T2_jT3_P12ihipStream_tbPNSt15iterator_traitsISL_E10value_typeEPNSR_ISM_E10value_typeEPSN_NS1_7vsmem_tEENKUlT_SL_SM_SN_E_clIS8_S8_S9_S9_EESK_S10_SL_SM_SN_EUlS10_E_NS1_11comp_targetILNS1_3genE3ELNS1_11target_archE908ELNS1_3gpuE7ELNS1_3repE0EEENS1_48merge_mergepath_partition_config_static_selectorELNS0_4arch9wavefront6targetE1EEEvSM_.num_agpr, 0
	.set _ZN7rocprim17ROCPRIM_400000_NS6detail17trampoline_kernelINS0_14default_configENS1_38merge_sort_block_merge_config_selectorIlNS0_10empty_typeEEEZZNS1_27merge_sort_block_merge_implIS3_PlPS5_mZN2at6native12_GLOBAL__N_124unique_dim_cuda_templateIbEESt5tupleIJNSA_6TensorESF_SF_EERKSF_lbbbEUlllE_EE10hipError_tT0_T1_T2_jT3_P12ihipStream_tbPNSt15iterator_traitsISL_E10value_typeEPNSR_ISM_E10value_typeEPSN_NS1_7vsmem_tEENKUlT_SL_SM_SN_E_clIS8_S8_S9_S9_EESK_S10_SL_SM_SN_EUlS10_E_NS1_11comp_targetILNS1_3genE3ELNS1_11target_archE908ELNS1_3gpuE7ELNS1_3repE0EEENS1_48merge_mergepath_partition_config_static_selectorELNS0_4arch9wavefront6targetE1EEEvSM_.numbered_sgpr, 0
	.set _ZN7rocprim17ROCPRIM_400000_NS6detail17trampoline_kernelINS0_14default_configENS1_38merge_sort_block_merge_config_selectorIlNS0_10empty_typeEEEZZNS1_27merge_sort_block_merge_implIS3_PlPS5_mZN2at6native12_GLOBAL__N_124unique_dim_cuda_templateIbEESt5tupleIJNSA_6TensorESF_SF_EERKSF_lbbbEUlllE_EE10hipError_tT0_T1_T2_jT3_P12ihipStream_tbPNSt15iterator_traitsISL_E10value_typeEPNSR_ISM_E10value_typeEPSN_NS1_7vsmem_tEENKUlT_SL_SM_SN_E_clIS8_S8_S9_S9_EESK_S10_SL_SM_SN_EUlS10_E_NS1_11comp_targetILNS1_3genE3ELNS1_11target_archE908ELNS1_3gpuE7ELNS1_3repE0EEENS1_48merge_mergepath_partition_config_static_selectorELNS0_4arch9wavefront6targetE1EEEvSM_.num_named_barrier, 0
	.set _ZN7rocprim17ROCPRIM_400000_NS6detail17trampoline_kernelINS0_14default_configENS1_38merge_sort_block_merge_config_selectorIlNS0_10empty_typeEEEZZNS1_27merge_sort_block_merge_implIS3_PlPS5_mZN2at6native12_GLOBAL__N_124unique_dim_cuda_templateIbEESt5tupleIJNSA_6TensorESF_SF_EERKSF_lbbbEUlllE_EE10hipError_tT0_T1_T2_jT3_P12ihipStream_tbPNSt15iterator_traitsISL_E10value_typeEPNSR_ISM_E10value_typeEPSN_NS1_7vsmem_tEENKUlT_SL_SM_SN_E_clIS8_S8_S9_S9_EESK_S10_SL_SM_SN_EUlS10_E_NS1_11comp_targetILNS1_3genE3ELNS1_11target_archE908ELNS1_3gpuE7ELNS1_3repE0EEENS1_48merge_mergepath_partition_config_static_selectorELNS0_4arch9wavefront6targetE1EEEvSM_.private_seg_size, 0
	.set _ZN7rocprim17ROCPRIM_400000_NS6detail17trampoline_kernelINS0_14default_configENS1_38merge_sort_block_merge_config_selectorIlNS0_10empty_typeEEEZZNS1_27merge_sort_block_merge_implIS3_PlPS5_mZN2at6native12_GLOBAL__N_124unique_dim_cuda_templateIbEESt5tupleIJNSA_6TensorESF_SF_EERKSF_lbbbEUlllE_EE10hipError_tT0_T1_T2_jT3_P12ihipStream_tbPNSt15iterator_traitsISL_E10value_typeEPNSR_ISM_E10value_typeEPSN_NS1_7vsmem_tEENKUlT_SL_SM_SN_E_clIS8_S8_S9_S9_EESK_S10_SL_SM_SN_EUlS10_E_NS1_11comp_targetILNS1_3genE3ELNS1_11target_archE908ELNS1_3gpuE7ELNS1_3repE0EEENS1_48merge_mergepath_partition_config_static_selectorELNS0_4arch9wavefront6targetE1EEEvSM_.uses_vcc, 0
	.set _ZN7rocprim17ROCPRIM_400000_NS6detail17trampoline_kernelINS0_14default_configENS1_38merge_sort_block_merge_config_selectorIlNS0_10empty_typeEEEZZNS1_27merge_sort_block_merge_implIS3_PlPS5_mZN2at6native12_GLOBAL__N_124unique_dim_cuda_templateIbEESt5tupleIJNSA_6TensorESF_SF_EERKSF_lbbbEUlllE_EE10hipError_tT0_T1_T2_jT3_P12ihipStream_tbPNSt15iterator_traitsISL_E10value_typeEPNSR_ISM_E10value_typeEPSN_NS1_7vsmem_tEENKUlT_SL_SM_SN_E_clIS8_S8_S9_S9_EESK_S10_SL_SM_SN_EUlS10_E_NS1_11comp_targetILNS1_3genE3ELNS1_11target_archE908ELNS1_3gpuE7ELNS1_3repE0EEENS1_48merge_mergepath_partition_config_static_selectorELNS0_4arch9wavefront6targetE1EEEvSM_.uses_flat_scratch, 0
	.set _ZN7rocprim17ROCPRIM_400000_NS6detail17trampoline_kernelINS0_14default_configENS1_38merge_sort_block_merge_config_selectorIlNS0_10empty_typeEEEZZNS1_27merge_sort_block_merge_implIS3_PlPS5_mZN2at6native12_GLOBAL__N_124unique_dim_cuda_templateIbEESt5tupleIJNSA_6TensorESF_SF_EERKSF_lbbbEUlllE_EE10hipError_tT0_T1_T2_jT3_P12ihipStream_tbPNSt15iterator_traitsISL_E10value_typeEPNSR_ISM_E10value_typeEPSN_NS1_7vsmem_tEENKUlT_SL_SM_SN_E_clIS8_S8_S9_S9_EESK_S10_SL_SM_SN_EUlS10_E_NS1_11comp_targetILNS1_3genE3ELNS1_11target_archE908ELNS1_3gpuE7ELNS1_3repE0EEENS1_48merge_mergepath_partition_config_static_selectorELNS0_4arch9wavefront6targetE1EEEvSM_.has_dyn_sized_stack, 0
	.set _ZN7rocprim17ROCPRIM_400000_NS6detail17trampoline_kernelINS0_14default_configENS1_38merge_sort_block_merge_config_selectorIlNS0_10empty_typeEEEZZNS1_27merge_sort_block_merge_implIS3_PlPS5_mZN2at6native12_GLOBAL__N_124unique_dim_cuda_templateIbEESt5tupleIJNSA_6TensorESF_SF_EERKSF_lbbbEUlllE_EE10hipError_tT0_T1_T2_jT3_P12ihipStream_tbPNSt15iterator_traitsISL_E10value_typeEPNSR_ISM_E10value_typeEPSN_NS1_7vsmem_tEENKUlT_SL_SM_SN_E_clIS8_S8_S9_S9_EESK_S10_SL_SM_SN_EUlS10_E_NS1_11comp_targetILNS1_3genE3ELNS1_11target_archE908ELNS1_3gpuE7ELNS1_3repE0EEENS1_48merge_mergepath_partition_config_static_selectorELNS0_4arch9wavefront6targetE1EEEvSM_.has_recursion, 0
	.set _ZN7rocprim17ROCPRIM_400000_NS6detail17trampoline_kernelINS0_14default_configENS1_38merge_sort_block_merge_config_selectorIlNS0_10empty_typeEEEZZNS1_27merge_sort_block_merge_implIS3_PlPS5_mZN2at6native12_GLOBAL__N_124unique_dim_cuda_templateIbEESt5tupleIJNSA_6TensorESF_SF_EERKSF_lbbbEUlllE_EE10hipError_tT0_T1_T2_jT3_P12ihipStream_tbPNSt15iterator_traitsISL_E10value_typeEPNSR_ISM_E10value_typeEPSN_NS1_7vsmem_tEENKUlT_SL_SM_SN_E_clIS8_S8_S9_S9_EESK_S10_SL_SM_SN_EUlS10_E_NS1_11comp_targetILNS1_3genE3ELNS1_11target_archE908ELNS1_3gpuE7ELNS1_3repE0EEENS1_48merge_mergepath_partition_config_static_selectorELNS0_4arch9wavefront6targetE1EEEvSM_.has_indirect_call, 0
	.section	.AMDGPU.csdata,"",@progbits
; Kernel info:
; codeLenInByte = 0
; TotalNumSgprs: 6
; NumVgprs: 0
; NumAgprs: 0
; TotalNumVgprs: 0
; ScratchSize: 0
; MemoryBound: 0
; FloatMode: 240
; IeeeMode: 1
; LDSByteSize: 0 bytes/workgroup (compile time only)
; SGPRBlocks: 0
; VGPRBlocks: 0
; NumSGPRsForWavesPerEU: 6
; NumVGPRsForWavesPerEU: 1
; AccumOffset: 4
; Occupancy: 8
; WaveLimiterHint : 0
; COMPUTE_PGM_RSRC2:SCRATCH_EN: 0
; COMPUTE_PGM_RSRC2:USER_SGPR: 2
; COMPUTE_PGM_RSRC2:TRAP_HANDLER: 0
; COMPUTE_PGM_RSRC2:TGID_X_EN: 1
; COMPUTE_PGM_RSRC2:TGID_Y_EN: 0
; COMPUTE_PGM_RSRC2:TGID_Z_EN: 0
; COMPUTE_PGM_RSRC2:TIDIG_COMP_CNT: 0
; COMPUTE_PGM_RSRC3_GFX90A:ACCUM_OFFSET: 0
; COMPUTE_PGM_RSRC3_GFX90A:TG_SPLIT: 0
	.section	.text._ZN7rocprim17ROCPRIM_400000_NS6detail17trampoline_kernelINS0_14default_configENS1_38merge_sort_block_merge_config_selectorIlNS0_10empty_typeEEEZZNS1_27merge_sort_block_merge_implIS3_PlPS5_mZN2at6native12_GLOBAL__N_124unique_dim_cuda_templateIbEESt5tupleIJNSA_6TensorESF_SF_EERKSF_lbbbEUlllE_EE10hipError_tT0_T1_T2_jT3_P12ihipStream_tbPNSt15iterator_traitsISL_E10value_typeEPNSR_ISM_E10value_typeEPSN_NS1_7vsmem_tEENKUlT_SL_SM_SN_E_clIS8_S8_S9_S9_EESK_S10_SL_SM_SN_EUlS10_E_NS1_11comp_targetILNS1_3genE2ELNS1_11target_archE906ELNS1_3gpuE6ELNS1_3repE0EEENS1_48merge_mergepath_partition_config_static_selectorELNS0_4arch9wavefront6targetE1EEEvSM_,"axG",@progbits,_ZN7rocprim17ROCPRIM_400000_NS6detail17trampoline_kernelINS0_14default_configENS1_38merge_sort_block_merge_config_selectorIlNS0_10empty_typeEEEZZNS1_27merge_sort_block_merge_implIS3_PlPS5_mZN2at6native12_GLOBAL__N_124unique_dim_cuda_templateIbEESt5tupleIJNSA_6TensorESF_SF_EERKSF_lbbbEUlllE_EE10hipError_tT0_T1_T2_jT3_P12ihipStream_tbPNSt15iterator_traitsISL_E10value_typeEPNSR_ISM_E10value_typeEPSN_NS1_7vsmem_tEENKUlT_SL_SM_SN_E_clIS8_S8_S9_S9_EESK_S10_SL_SM_SN_EUlS10_E_NS1_11comp_targetILNS1_3genE2ELNS1_11target_archE906ELNS1_3gpuE6ELNS1_3repE0EEENS1_48merge_mergepath_partition_config_static_selectorELNS0_4arch9wavefront6targetE1EEEvSM_,comdat
	.globl	_ZN7rocprim17ROCPRIM_400000_NS6detail17trampoline_kernelINS0_14default_configENS1_38merge_sort_block_merge_config_selectorIlNS0_10empty_typeEEEZZNS1_27merge_sort_block_merge_implIS3_PlPS5_mZN2at6native12_GLOBAL__N_124unique_dim_cuda_templateIbEESt5tupleIJNSA_6TensorESF_SF_EERKSF_lbbbEUlllE_EE10hipError_tT0_T1_T2_jT3_P12ihipStream_tbPNSt15iterator_traitsISL_E10value_typeEPNSR_ISM_E10value_typeEPSN_NS1_7vsmem_tEENKUlT_SL_SM_SN_E_clIS8_S8_S9_S9_EESK_S10_SL_SM_SN_EUlS10_E_NS1_11comp_targetILNS1_3genE2ELNS1_11target_archE906ELNS1_3gpuE6ELNS1_3repE0EEENS1_48merge_mergepath_partition_config_static_selectorELNS0_4arch9wavefront6targetE1EEEvSM_ ; -- Begin function _ZN7rocprim17ROCPRIM_400000_NS6detail17trampoline_kernelINS0_14default_configENS1_38merge_sort_block_merge_config_selectorIlNS0_10empty_typeEEEZZNS1_27merge_sort_block_merge_implIS3_PlPS5_mZN2at6native12_GLOBAL__N_124unique_dim_cuda_templateIbEESt5tupleIJNSA_6TensorESF_SF_EERKSF_lbbbEUlllE_EE10hipError_tT0_T1_T2_jT3_P12ihipStream_tbPNSt15iterator_traitsISL_E10value_typeEPNSR_ISM_E10value_typeEPSN_NS1_7vsmem_tEENKUlT_SL_SM_SN_E_clIS8_S8_S9_S9_EESK_S10_SL_SM_SN_EUlS10_E_NS1_11comp_targetILNS1_3genE2ELNS1_11target_archE906ELNS1_3gpuE6ELNS1_3repE0EEENS1_48merge_mergepath_partition_config_static_selectorELNS0_4arch9wavefront6targetE1EEEvSM_
	.p2align	8
	.type	_ZN7rocprim17ROCPRIM_400000_NS6detail17trampoline_kernelINS0_14default_configENS1_38merge_sort_block_merge_config_selectorIlNS0_10empty_typeEEEZZNS1_27merge_sort_block_merge_implIS3_PlPS5_mZN2at6native12_GLOBAL__N_124unique_dim_cuda_templateIbEESt5tupleIJNSA_6TensorESF_SF_EERKSF_lbbbEUlllE_EE10hipError_tT0_T1_T2_jT3_P12ihipStream_tbPNSt15iterator_traitsISL_E10value_typeEPNSR_ISM_E10value_typeEPSN_NS1_7vsmem_tEENKUlT_SL_SM_SN_E_clIS8_S8_S9_S9_EESK_S10_SL_SM_SN_EUlS10_E_NS1_11comp_targetILNS1_3genE2ELNS1_11target_archE906ELNS1_3gpuE6ELNS1_3repE0EEENS1_48merge_mergepath_partition_config_static_selectorELNS0_4arch9wavefront6targetE1EEEvSM_,@function
_ZN7rocprim17ROCPRIM_400000_NS6detail17trampoline_kernelINS0_14default_configENS1_38merge_sort_block_merge_config_selectorIlNS0_10empty_typeEEEZZNS1_27merge_sort_block_merge_implIS3_PlPS5_mZN2at6native12_GLOBAL__N_124unique_dim_cuda_templateIbEESt5tupleIJNSA_6TensorESF_SF_EERKSF_lbbbEUlllE_EE10hipError_tT0_T1_T2_jT3_P12ihipStream_tbPNSt15iterator_traitsISL_E10value_typeEPNSR_ISM_E10value_typeEPSN_NS1_7vsmem_tEENKUlT_SL_SM_SN_E_clIS8_S8_S9_S9_EESK_S10_SL_SM_SN_EUlS10_E_NS1_11comp_targetILNS1_3genE2ELNS1_11target_archE906ELNS1_3gpuE6ELNS1_3repE0EEENS1_48merge_mergepath_partition_config_static_selectorELNS0_4arch9wavefront6targetE1EEEvSM_: ; @_ZN7rocprim17ROCPRIM_400000_NS6detail17trampoline_kernelINS0_14default_configENS1_38merge_sort_block_merge_config_selectorIlNS0_10empty_typeEEEZZNS1_27merge_sort_block_merge_implIS3_PlPS5_mZN2at6native12_GLOBAL__N_124unique_dim_cuda_templateIbEESt5tupleIJNSA_6TensorESF_SF_EERKSF_lbbbEUlllE_EE10hipError_tT0_T1_T2_jT3_P12ihipStream_tbPNSt15iterator_traitsISL_E10value_typeEPNSR_ISM_E10value_typeEPSN_NS1_7vsmem_tEENKUlT_SL_SM_SN_E_clIS8_S8_S9_S9_EESK_S10_SL_SM_SN_EUlS10_E_NS1_11comp_targetILNS1_3genE2ELNS1_11target_archE906ELNS1_3gpuE6ELNS1_3repE0EEENS1_48merge_mergepath_partition_config_static_selectorELNS0_4arch9wavefront6targetE1EEEvSM_
; %bb.0:
	.section	.rodata,"a",@progbits
	.p2align	6, 0x0
	.amdhsa_kernel _ZN7rocprim17ROCPRIM_400000_NS6detail17trampoline_kernelINS0_14default_configENS1_38merge_sort_block_merge_config_selectorIlNS0_10empty_typeEEEZZNS1_27merge_sort_block_merge_implIS3_PlPS5_mZN2at6native12_GLOBAL__N_124unique_dim_cuda_templateIbEESt5tupleIJNSA_6TensorESF_SF_EERKSF_lbbbEUlllE_EE10hipError_tT0_T1_T2_jT3_P12ihipStream_tbPNSt15iterator_traitsISL_E10value_typeEPNSR_ISM_E10value_typeEPSN_NS1_7vsmem_tEENKUlT_SL_SM_SN_E_clIS8_S8_S9_S9_EESK_S10_SL_SM_SN_EUlS10_E_NS1_11comp_targetILNS1_3genE2ELNS1_11target_archE906ELNS1_3gpuE6ELNS1_3repE0EEENS1_48merge_mergepath_partition_config_static_selectorELNS0_4arch9wavefront6targetE1EEEvSM_
		.amdhsa_group_segment_fixed_size 0
		.amdhsa_private_segment_fixed_size 0
		.amdhsa_kernarg_size 56
		.amdhsa_user_sgpr_count 2
		.amdhsa_user_sgpr_dispatch_ptr 0
		.amdhsa_user_sgpr_queue_ptr 0
		.amdhsa_user_sgpr_kernarg_segment_ptr 1
		.amdhsa_user_sgpr_dispatch_id 0
		.amdhsa_user_sgpr_kernarg_preload_length 0
		.amdhsa_user_sgpr_kernarg_preload_offset 0
		.amdhsa_user_sgpr_private_segment_size 0
		.amdhsa_uses_dynamic_stack 0
		.amdhsa_enable_private_segment 0
		.amdhsa_system_sgpr_workgroup_id_x 1
		.amdhsa_system_sgpr_workgroup_id_y 0
		.amdhsa_system_sgpr_workgroup_id_z 0
		.amdhsa_system_sgpr_workgroup_info 0
		.amdhsa_system_vgpr_workitem_id 0
		.amdhsa_next_free_vgpr 1
		.amdhsa_next_free_sgpr 0
		.amdhsa_accum_offset 4
		.amdhsa_reserve_vcc 0
		.amdhsa_float_round_mode_32 0
		.amdhsa_float_round_mode_16_64 0
		.amdhsa_float_denorm_mode_32 3
		.amdhsa_float_denorm_mode_16_64 3
		.amdhsa_dx10_clamp 1
		.amdhsa_ieee_mode 1
		.amdhsa_fp16_overflow 0
		.amdhsa_tg_split 0
		.amdhsa_exception_fp_ieee_invalid_op 0
		.amdhsa_exception_fp_denorm_src 0
		.amdhsa_exception_fp_ieee_div_zero 0
		.amdhsa_exception_fp_ieee_overflow 0
		.amdhsa_exception_fp_ieee_underflow 0
		.amdhsa_exception_fp_ieee_inexact 0
		.amdhsa_exception_int_div_zero 0
	.end_amdhsa_kernel
	.section	.text._ZN7rocprim17ROCPRIM_400000_NS6detail17trampoline_kernelINS0_14default_configENS1_38merge_sort_block_merge_config_selectorIlNS0_10empty_typeEEEZZNS1_27merge_sort_block_merge_implIS3_PlPS5_mZN2at6native12_GLOBAL__N_124unique_dim_cuda_templateIbEESt5tupleIJNSA_6TensorESF_SF_EERKSF_lbbbEUlllE_EE10hipError_tT0_T1_T2_jT3_P12ihipStream_tbPNSt15iterator_traitsISL_E10value_typeEPNSR_ISM_E10value_typeEPSN_NS1_7vsmem_tEENKUlT_SL_SM_SN_E_clIS8_S8_S9_S9_EESK_S10_SL_SM_SN_EUlS10_E_NS1_11comp_targetILNS1_3genE2ELNS1_11target_archE906ELNS1_3gpuE6ELNS1_3repE0EEENS1_48merge_mergepath_partition_config_static_selectorELNS0_4arch9wavefront6targetE1EEEvSM_,"axG",@progbits,_ZN7rocprim17ROCPRIM_400000_NS6detail17trampoline_kernelINS0_14default_configENS1_38merge_sort_block_merge_config_selectorIlNS0_10empty_typeEEEZZNS1_27merge_sort_block_merge_implIS3_PlPS5_mZN2at6native12_GLOBAL__N_124unique_dim_cuda_templateIbEESt5tupleIJNSA_6TensorESF_SF_EERKSF_lbbbEUlllE_EE10hipError_tT0_T1_T2_jT3_P12ihipStream_tbPNSt15iterator_traitsISL_E10value_typeEPNSR_ISM_E10value_typeEPSN_NS1_7vsmem_tEENKUlT_SL_SM_SN_E_clIS8_S8_S9_S9_EESK_S10_SL_SM_SN_EUlS10_E_NS1_11comp_targetILNS1_3genE2ELNS1_11target_archE906ELNS1_3gpuE6ELNS1_3repE0EEENS1_48merge_mergepath_partition_config_static_selectorELNS0_4arch9wavefront6targetE1EEEvSM_,comdat
.Lfunc_end1007:
	.size	_ZN7rocprim17ROCPRIM_400000_NS6detail17trampoline_kernelINS0_14default_configENS1_38merge_sort_block_merge_config_selectorIlNS0_10empty_typeEEEZZNS1_27merge_sort_block_merge_implIS3_PlPS5_mZN2at6native12_GLOBAL__N_124unique_dim_cuda_templateIbEESt5tupleIJNSA_6TensorESF_SF_EERKSF_lbbbEUlllE_EE10hipError_tT0_T1_T2_jT3_P12ihipStream_tbPNSt15iterator_traitsISL_E10value_typeEPNSR_ISM_E10value_typeEPSN_NS1_7vsmem_tEENKUlT_SL_SM_SN_E_clIS8_S8_S9_S9_EESK_S10_SL_SM_SN_EUlS10_E_NS1_11comp_targetILNS1_3genE2ELNS1_11target_archE906ELNS1_3gpuE6ELNS1_3repE0EEENS1_48merge_mergepath_partition_config_static_selectorELNS0_4arch9wavefront6targetE1EEEvSM_, .Lfunc_end1007-_ZN7rocprim17ROCPRIM_400000_NS6detail17trampoline_kernelINS0_14default_configENS1_38merge_sort_block_merge_config_selectorIlNS0_10empty_typeEEEZZNS1_27merge_sort_block_merge_implIS3_PlPS5_mZN2at6native12_GLOBAL__N_124unique_dim_cuda_templateIbEESt5tupleIJNSA_6TensorESF_SF_EERKSF_lbbbEUlllE_EE10hipError_tT0_T1_T2_jT3_P12ihipStream_tbPNSt15iterator_traitsISL_E10value_typeEPNSR_ISM_E10value_typeEPSN_NS1_7vsmem_tEENKUlT_SL_SM_SN_E_clIS8_S8_S9_S9_EESK_S10_SL_SM_SN_EUlS10_E_NS1_11comp_targetILNS1_3genE2ELNS1_11target_archE906ELNS1_3gpuE6ELNS1_3repE0EEENS1_48merge_mergepath_partition_config_static_selectorELNS0_4arch9wavefront6targetE1EEEvSM_
                                        ; -- End function
	.set _ZN7rocprim17ROCPRIM_400000_NS6detail17trampoline_kernelINS0_14default_configENS1_38merge_sort_block_merge_config_selectorIlNS0_10empty_typeEEEZZNS1_27merge_sort_block_merge_implIS3_PlPS5_mZN2at6native12_GLOBAL__N_124unique_dim_cuda_templateIbEESt5tupleIJNSA_6TensorESF_SF_EERKSF_lbbbEUlllE_EE10hipError_tT0_T1_T2_jT3_P12ihipStream_tbPNSt15iterator_traitsISL_E10value_typeEPNSR_ISM_E10value_typeEPSN_NS1_7vsmem_tEENKUlT_SL_SM_SN_E_clIS8_S8_S9_S9_EESK_S10_SL_SM_SN_EUlS10_E_NS1_11comp_targetILNS1_3genE2ELNS1_11target_archE906ELNS1_3gpuE6ELNS1_3repE0EEENS1_48merge_mergepath_partition_config_static_selectorELNS0_4arch9wavefront6targetE1EEEvSM_.num_vgpr, 0
	.set _ZN7rocprim17ROCPRIM_400000_NS6detail17trampoline_kernelINS0_14default_configENS1_38merge_sort_block_merge_config_selectorIlNS0_10empty_typeEEEZZNS1_27merge_sort_block_merge_implIS3_PlPS5_mZN2at6native12_GLOBAL__N_124unique_dim_cuda_templateIbEESt5tupleIJNSA_6TensorESF_SF_EERKSF_lbbbEUlllE_EE10hipError_tT0_T1_T2_jT3_P12ihipStream_tbPNSt15iterator_traitsISL_E10value_typeEPNSR_ISM_E10value_typeEPSN_NS1_7vsmem_tEENKUlT_SL_SM_SN_E_clIS8_S8_S9_S9_EESK_S10_SL_SM_SN_EUlS10_E_NS1_11comp_targetILNS1_3genE2ELNS1_11target_archE906ELNS1_3gpuE6ELNS1_3repE0EEENS1_48merge_mergepath_partition_config_static_selectorELNS0_4arch9wavefront6targetE1EEEvSM_.num_agpr, 0
	.set _ZN7rocprim17ROCPRIM_400000_NS6detail17trampoline_kernelINS0_14default_configENS1_38merge_sort_block_merge_config_selectorIlNS0_10empty_typeEEEZZNS1_27merge_sort_block_merge_implIS3_PlPS5_mZN2at6native12_GLOBAL__N_124unique_dim_cuda_templateIbEESt5tupleIJNSA_6TensorESF_SF_EERKSF_lbbbEUlllE_EE10hipError_tT0_T1_T2_jT3_P12ihipStream_tbPNSt15iterator_traitsISL_E10value_typeEPNSR_ISM_E10value_typeEPSN_NS1_7vsmem_tEENKUlT_SL_SM_SN_E_clIS8_S8_S9_S9_EESK_S10_SL_SM_SN_EUlS10_E_NS1_11comp_targetILNS1_3genE2ELNS1_11target_archE906ELNS1_3gpuE6ELNS1_3repE0EEENS1_48merge_mergepath_partition_config_static_selectorELNS0_4arch9wavefront6targetE1EEEvSM_.numbered_sgpr, 0
	.set _ZN7rocprim17ROCPRIM_400000_NS6detail17trampoline_kernelINS0_14default_configENS1_38merge_sort_block_merge_config_selectorIlNS0_10empty_typeEEEZZNS1_27merge_sort_block_merge_implIS3_PlPS5_mZN2at6native12_GLOBAL__N_124unique_dim_cuda_templateIbEESt5tupleIJNSA_6TensorESF_SF_EERKSF_lbbbEUlllE_EE10hipError_tT0_T1_T2_jT3_P12ihipStream_tbPNSt15iterator_traitsISL_E10value_typeEPNSR_ISM_E10value_typeEPSN_NS1_7vsmem_tEENKUlT_SL_SM_SN_E_clIS8_S8_S9_S9_EESK_S10_SL_SM_SN_EUlS10_E_NS1_11comp_targetILNS1_3genE2ELNS1_11target_archE906ELNS1_3gpuE6ELNS1_3repE0EEENS1_48merge_mergepath_partition_config_static_selectorELNS0_4arch9wavefront6targetE1EEEvSM_.num_named_barrier, 0
	.set _ZN7rocprim17ROCPRIM_400000_NS6detail17trampoline_kernelINS0_14default_configENS1_38merge_sort_block_merge_config_selectorIlNS0_10empty_typeEEEZZNS1_27merge_sort_block_merge_implIS3_PlPS5_mZN2at6native12_GLOBAL__N_124unique_dim_cuda_templateIbEESt5tupleIJNSA_6TensorESF_SF_EERKSF_lbbbEUlllE_EE10hipError_tT0_T1_T2_jT3_P12ihipStream_tbPNSt15iterator_traitsISL_E10value_typeEPNSR_ISM_E10value_typeEPSN_NS1_7vsmem_tEENKUlT_SL_SM_SN_E_clIS8_S8_S9_S9_EESK_S10_SL_SM_SN_EUlS10_E_NS1_11comp_targetILNS1_3genE2ELNS1_11target_archE906ELNS1_3gpuE6ELNS1_3repE0EEENS1_48merge_mergepath_partition_config_static_selectorELNS0_4arch9wavefront6targetE1EEEvSM_.private_seg_size, 0
	.set _ZN7rocprim17ROCPRIM_400000_NS6detail17trampoline_kernelINS0_14default_configENS1_38merge_sort_block_merge_config_selectorIlNS0_10empty_typeEEEZZNS1_27merge_sort_block_merge_implIS3_PlPS5_mZN2at6native12_GLOBAL__N_124unique_dim_cuda_templateIbEESt5tupleIJNSA_6TensorESF_SF_EERKSF_lbbbEUlllE_EE10hipError_tT0_T1_T2_jT3_P12ihipStream_tbPNSt15iterator_traitsISL_E10value_typeEPNSR_ISM_E10value_typeEPSN_NS1_7vsmem_tEENKUlT_SL_SM_SN_E_clIS8_S8_S9_S9_EESK_S10_SL_SM_SN_EUlS10_E_NS1_11comp_targetILNS1_3genE2ELNS1_11target_archE906ELNS1_3gpuE6ELNS1_3repE0EEENS1_48merge_mergepath_partition_config_static_selectorELNS0_4arch9wavefront6targetE1EEEvSM_.uses_vcc, 0
	.set _ZN7rocprim17ROCPRIM_400000_NS6detail17trampoline_kernelINS0_14default_configENS1_38merge_sort_block_merge_config_selectorIlNS0_10empty_typeEEEZZNS1_27merge_sort_block_merge_implIS3_PlPS5_mZN2at6native12_GLOBAL__N_124unique_dim_cuda_templateIbEESt5tupleIJNSA_6TensorESF_SF_EERKSF_lbbbEUlllE_EE10hipError_tT0_T1_T2_jT3_P12ihipStream_tbPNSt15iterator_traitsISL_E10value_typeEPNSR_ISM_E10value_typeEPSN_NS1_7vsmem_tEENKUlT_SL_SM_SN_E_clIS8_S8_S9_S9_EESK_S10_SL_SM_SN_EUlS10_E_NS1_11comp_targetILNS1_3genE2ELNS1_11target_archE906ELNS1_3gpuE6ELNS1_3repE0EEENS1_48merge_mergepath_partition_config_static_selectorELNS0_4arch9wavefront6targetE1EEEvSM_.uses_flat_scratch, 0
	.set _ZN7rocprim17ROCPRIM_400000_NS6detail17trampoline_kernelINS0_14default_configENS1_38merge_sort_block_merge_config_selectorIlNS0_10empty_typeEEEZZNS1_27merge_sort_block_merge_implIS3_PlPS5_mZN2at6native12_GLOBAL__N_124unique_dim_cuda_templateIbEESt5tupleIJNSA_6TensorESF_SF_EERKSF_lbbbEUlllE_EE10hipError_tT0_T1_T2_jT3_P12ihipStream_tbPNSt15iterator_traitsISL_E10value_typeEPNSR_ISM_E10value_typeEPSN_NS1_7vsmem_tEENKUlT_SL_SM_SN_E_clIS8_S8_S9_S9_EESK_S10_SL_SM_SN_EUlS10_E_NS1_11comp_targetILNS1_3genE2ELNS1_11target_archE906ELNS1_3gpuE6ELNS1_3repE0EEENS1_48merge_mergepath_partition_config_static_selectorELNS0_4arch9wavefront6targetE1EEEvSM_.has_dyn_sized_stack, 0
	.set _ZN7rocprim17ROCPRIM_400000_NS6detail17trampoline_kernelINS0_14default_configENS1_38merge_sort_block_merge_config_selectorIlNS0_10empty_typeEEEZZNS1_27merge_sort_block_merge_implIS3_PlPS5_mZN2at6native12_GLOBAL__N_124unique_dim_cuda_templateIbEESt5tupleIJNSA_6TensorESF_SF_EERKSF_lbbbEUlllE_EE10hipError_tT0_T1_T2_jT3_P12ihipStream_tbPNSt15iterator_traitsISL_E10value_typeEPNSR_ISM_E10value_typeEPSN_NS1_7vsmem_tEENKUlT_SL_SM_SN_E_clIS8_S8_S9_S9_EESK_S10_SL_SM_SN_EUlS10_E_NS1_11comp_targetILNS1_3genE2ELNS1_11target_archE906ELNS1_3gpuE6ELNS1_3repE0EEENS1_48merge_mergepath_partition_config_static_selectorELNS0_4arch9wavefront6targetE1EEEvSM_.has_recursion, 0
	.set _ZN7rocprim17ROCPRIM_400000_NS6detail17trampoline_kernelINS0_14default_configENS1_38merge_sort_block_merge_config_selectorIlNS0_10empty_typeEEEZZNS1_27merge_sort_block_merge_implIS3_PlPS5_mZN2at6native12_GLOBAL__N_124unique_dim_cuda_templateIbEESt5tupleIJNSA_6TensorESF_SF_EERKSF_lbbbEUlllE_EE10hipError_tT0_T1_T2_jT3_P12ihipStream_tbPNSt15iterator_traitsISL_E10value_typeEPNSR_ISM_E10value_typeEPSN_NS1_7vsmem_tEENKUlT_SL_SM_SN_E_clIS8_S8_S9_S9_EESK_S10_SL_SM_SN_EUlS10_E_NS1_11comp_targetILNS1_3genE2ELNS1_11target_archE906ELNS1_3gpuE6ELNS1_3repE0EEENS1_48merge_mergepath_partition_config_static_selectorELNS0_4arch9wavefront6targetE1EEEvSM_.has_indirect_call, 0
	.section	.AMDGPU.csdata,"",@progbits
; Kernel info:
; codeLenInByte = 0
; TotalNumSgprs: 6
; NumVgprs: 0
; NumAgprs: 0
; TotalNumVgprs: 0
; ScratchSize: 0
; MemoryBound: 0
; FloatMode: 240
; IeeeMode: 1
; LDSByteSize: 0 bytes/workgroup (compile time only)
; SGPRBlocks: 0
; VGPRBlocks: 0
; NumSGPRsForWavesPerEU: 6
; NumVGPRsForWavesPerEU: 1
; AccumOffset: 4
; Occupancy: 8
; WaveLimiterHint : 0
; COMPUTE_PGM_RSRC2:SCRATCH_EN: 0
; COMPUTE_PGM_RSRC2:USER_SGPR: 2
; COMPUTE_PGM_RSRC2:TRAP_HANDLER: 0
; COMPUTE_PGM_RSRC2:TGID_X_EN: 1
; COMPUTE_PGM_RSRC2:TGID_Y_EN: 0
; COMPUTE_PGM_RSRC2:TGID_Z_EN: 0
; COMPUTE_PGM_RSRC2:TIDIG_COMP_CNT: 0
; COMPUTE_PGM_RSRC3_GFX90A:ACCUM_OFFSET: 0
; COMPUTE_PGM_RSRC3_GFX90A:TG_SPLIT: 0
	.section	.text._ZN7rocprim17ROCPRIM_400000_NS6detail17trampoline_kernelINS0_14default_configENS1_38merge_sort_block_merge_config_selectorIlNS0_10empty_typeEEEZZNS1_27merge_sort_block_merge_implIS3_PlPS5_mZN2at6native12_GLOBAL__N_124unique_dim_cuda_templateIbEESt5tupleIJNSA_6TensorESF_SF_EERKSF_lbbbEUlllE_EE10hipError_tT0_T1_T2_jT3_P12ihipStream_tbPNSt15iterator_traitsISL_E10value_typeEPNSR_ISM_E10value_typeEPSN_NS1_7vsmem_tEENKUlT_SL_SM_SN_E_clIS8_S8_S9_S9_EESK_S10_SL_SM_SN_EUlS10_E_NS1_11comp_targetILNS1_3genE9ELNS1_11target_archE1100ELNS1_3gpuE3ELNS1_3repE0EEENS1_48merge_mergepath_partition_config_static_selectorELNS0_4arch9wavefront6targetE1EEEvSM_,"axG",@progbits,_ZN7rocprim17ROCPRIM_400000_NS6detail17trampoline_kernelINS0_14default_configENS1_38merge_sort_block_merge_config_selectorIlNS0_10empty_typeEEEZZNS1_27merge_sort_block_merge_implIS3_PlPS5_mZN2at6native12_GLOBAL__N_124unique_dim_cuda_templateIbEESt5tupleIJNSA_6TensorESF_SF_EERKSF_lbbbEUlllE_EE10hipError_tT0_T1_T2_jT3_P12ihipStream_tbPNSt15iterator_traitsISL_E10value_typeEPNSR_ISM_E10value_typeEPSN_NS1_7vsmem_tEENKUlT_SL_SM_SN_E_clIS8_S8_S9_S9_EESK_S10_SL_SM_SN_EUlS10_E_NS1_11comp_targetILNS1_3genE9ELNS1_11target_archE1100ELNS1_3gpuE3ELNS1_3repE0EEENS1_48merge_mergepath_partition_config_static_selectorELNS0_4arch9wavefront6targetE1EEEvSM_,comdat
	.globl	_ZN7rocprim17ROCPRIM_400000_NS6detail17trampoline_kernelINS0_14default_configENS1_38merge_sort_block_merge_config_selectorIlNS0_10empty_typeEEEZZNS1_27merge_sort_block_merge_implIS3_PlPS5_mZN2at6native12_GLOBAL__N_124unique_dim_cuda_templateIbEESt5tupleIJNSA_6TensorESF_SF_EERKSF_lbbbEUlllE_EE10hipError_tT0_T1_T2_jT3_P12ihipStream_tbPNSt15iterator_traitsISL_E10value_typeEPNSR_ISM_E10value_typeEPSN_NS1_7vsmem_tEENKUlT_SL_SM_SN_E_clIS8_S8_S9_S9_EESK_S10_SL_SM_SN_EUlS10_E_NS1_11comp_targetILNS1_3genE9ELNS1_11target_archE1100ELNS1_3gpuE3ELNS1_3repE0EEENS1_48merge_mergepath_partition_config_static_selectorELNS0_4arch9wavefront6targetE1EEEvSM_ ; -- Begin function _ZN7rocprim17ROCPRIM_400000_NS6detail17trampoline_kernelINS0_14default_configENS1_38merge_sort_block_merge_config_selectorIlNS0_10empty_typeEEEZZNS1_27merge_sort_block_merge_implIS3_PlPS5_mZN2at6native12_GLOBAL__N_124unique_dim_cuda_templateIbEESt5tupleIJNSA_6TensorESF_SF_EERKSF_lbbbEUlllE_EE10hipError_tT0_T1_T2_jT3_P12ihipStream_tbPNSt15iterator_traitsISL_E10value_typeEPNSR_ISM_E10value_typeEPSN_NS1_7vsmem_tEENKUlT_SL_SM_SN_E_clIS8_S8_S9_S9_EESK_S10_SL_SM_SN_EUlS10_E_NS1_11comp_targetILNS1_3genE9ELNS1_11target_archE1100ELNS1_3gpuE3ELNS1_3repE0EEENS1_48merge_mergepath_partition_config_static_selectorELNS0_4arch9wavefront6targetE1EEEvSM_
	.p2align	8
	.type	_ZN7rocprim17ROCPRIM_400000_NS6detail17trampoline_kernelINS0_14default_configENS1_38merge_sort_block_merge_config_selectorIlNS0_10empty_typeEEEZZNS1_27merge_sort_block_merge_implIS3_PlPS5_mZN2at6native12_GLOBAL__N_124unique_dim_cuda_templateIbEESt5tupleIJNSA_6TensorESF_SF_EERKSF_lbbbEUlllE_EE10hipError_tT0_T1_T2_jT3_P12ihipStream_tbPNSt15iterator_traitsISL_E10value_typeEPNSR_ISM_E10value_typeEPSN_NS1_7vsmem_tEENKUlT_SL_SM_SN_E_clIS8_S8_S9_S9_EESK_S10_SL_SM_SN_EUlS10_E_NS1_11comp_targetILNS1_3genE9ELNS1_11target_archE1100ELNS1_3gpuE3ELNS1_3repE0EEENS1_48merge_mergepath_partition_config_static_selectorELNS0_4arch9wavefront6targetE1EEEvSM_,@function
_ZN7rocprim17ROCPRIM_400000_NS6detail17trampoline_kernelINS0_14default_configENS1_38merge_sort_block_merge_config_selectorIlNS0_10empty_typeEEEZZNS1_27merge_sort_block_merge_implIS3_PlPS5_mZN2at6native12_GLOBAL__N_124unique_dim_cuda_templateIbEESt5tupleIJNSA_6TensorESF_SF_EERKSF_lbbbEUlllE_EE10hipError_tT0_T1_T2_jT3_P12ihipStream_tbPNSt15iterator_traitsISL_E10value_typeEPNSR_ISM_E10value_typeEPSN_NS1_7vsmem_tEENKUlT_SL_SM_SN_E_clIS8_S8_S9_S9_EESK_S10_SL_SM_SN_EUlS10_E_NS1_11comp_targetILNS1_3genE9ELNS1_11target_archE1100ELNS1_3gpuE3ELNS1_3repE0EEENS1_48merge_mergepath_partition_config_static_selectorELNS0_4arch9wavefront6targetE1EEEvSM_: ; @_ZN7rocprim17ROCPRIM_400000_NS6detail17trampoline_kernelINS0_14default_configENS1_38merge_sort_block_merge_config_selectorIlNS0_10empty_typeEEEZZNS1_27merge_sort_block_merge_implIS3_PlPS5_mZN2at6native12_GLOBAL__N_124unique_dim_cuda_templateIbEESt5tupleIJNSA_6TensorESF_SF_EERKSF_lbbbEUlllE_EE10hipError_tT0_T1_T2_jT3_P12ihipStream_tbPNSt15iterator_traitsISL_E10value_typeEPNSR_ISM_E10value_typeEPSN_NS1_7vsmem_tEENKUlT_SL_SM_SN_E_clIS8_S8_S9_S9_EESK_S10_SL_SM_SN_EUlS10_E_NS1_11comp_targetILNS1_3genE9ELNS1_11target_archE1100ELNS1_3gpuE3ELNS1_3repE0EEENS1_48merge_mergepath_partition_config_static_selectorELNS0_4arch9wavefront6targetE1EEEvSM_
; %bb.0:
	.section	.rodata,"a",@progbits
	.p2align	6, 0x0
	.amdhsa_kernel _ZN7rocprim17ROCPRIM_400000_NS6detail17trampoline_kernelINS0_14default_configENS1_38merge_sort_block_merge_config_selectorIlNS0_10empty_typeEEEZZNS1_27merge_sort_block_merge_implIS3_PlPS5_mZN2at6native12_GLOBAL__N_124unique_dim_cuda_templateIbEESt5tupleIJNSA_6TensorESF_SF_EERKSF_lbbbEUlllE_EE10hipError_tT0_T1_T2_jT3_P12ihipStream_tbPNSt15iterator_traitsISL_E10value_typeEPNSR_ISM_E10value_typeEPSN_NS1_7vsmem_tEENKUlT_SL_SM_SN_E_clIS8_S8_S9_S9_EESK_S10_SL_SM_SN_EUlS10_E_NS1_11comp_targetILNS1_3genE9ELNS1_11target_archE1100ELNS1_3gpuE3ELNS1_3repE0EEENS1_48merge_mergepath_partition_config_static_selectorELNS0_4arch9wavefront6targetE1EEEvSM_
		.amdhsa_group_segment_fixed_size 0
		.amdhsa_private_segment_fixed_size 0
		.amdhsa_kernarg_size 56
		.amdhsa_user_sgpr_count 2
		.amdhsa_user_sgpr_dispatch_ptr 0
		.amdhsa_user_sgpr_queue_ptr 0
		.amdhsa_user_sgpr_kernarg_segment_ptr 1
		.amdhsa_user_sgpr_dispatch_id 0
		.amdhsa_user_sgpr_kernarg_preload_length 0
		.amdhsa_user_sgpr_kernarg_preload_offset 0
		.amdhsa_user_sgpr_private_segment_size 0
		.amdhsa_uses_dynamic_stack 0
		.amdhsa_enable_private_segment 0
		.amdhsa_system_sgpr_workgroup_id_x 1
		.amdhsa_system_sgpr_workgroup_id_y 0
		.amdhsa_system_sgpr_workgroup_id_z 0
		.amdhsa_system_sgpr_workgroup_info 0
		.amdhsa_system_vgpr_workitem_id 0
		.amdhsa_next_free_vgpr 1
		.amdhsa_next_free_sgpr 0
		.amdhsa_accum_offset 4
		.amdhsa_reserve_vcc 0
		.amdhsa_float_round_mode_32 0
		.amdhsa_float_round_mode_16_64 0
		.amdhsa_float_denorm_mode_32 3
		.amdhsa_float_denorm_mode_16_64 3
		.amdhsa_dx10_clamp 1
		.amdhsa_ieee_mode 1
		.amdhsa_fp16_overflow 0
		.amdhsa_tg_split 0
		.amdhsa_exception_fp_ieee_invalid_op 0
		.amdhsa_exception_fp_denorm_src 0
		.amdhsa_exception_fp_ieee_div_zero 0
		.amdhsa_exception_fp_ieee_overflow 0
		.amdhsa_exception_fp_ieee_underflow 0
		.amdhsa_exception_fp_ieee_inexact 0
		.amdhsa_exception_int_div_zero 0
	.end_amdhsa_kernel
	.section	.text._ZN7rocprim17ROCPRIM_400000_NS6detail17trampoline_kernelINS0_14default_configENS1_38merge_sort_block_merge_config_selectorIlNS0_10empty_typeEEEZZNS1_27merge_sort_block_merge_implIS3_PlPS5_mZN2at6native12_GLOBAL__N_124unique_dim_cuda_templateIbEESt5tupleIJNSA_6TensorESF_SF_EERKSF_lbbbEUlllE_EE10hipError_tT0_T1_T2_jT3_P12ihipStream_tbPNSt15iterator_traitsISL_E10value_typeEPNSR_ISM_E10value_typeEPSN_NS1_7vsmem_tEENKUlT_SL_SM_SN_E_clIS8_S8_S9_S9_EESK_S10_SL_SM_SN_EUlS10_E_NS1_11comp_targetILNS1_3genE9ELNS1_11target_archE1100ELNS1_3gpuE3ELNS1_3repE0EEENS1_48merge_mergepath_partition_config_static_selectorELNS0_4arch9wavefront6targetE1EEEvSM_,"axG",@progbits,_ZN7rocprim17ROCPRIM_400000_NS6detail17trampoline_kernelINS0_14default_configENS1_38merge_sort_block_merge_config_selectorIlNS0_10empty_typeEEEZZNS1_27merge_sort_block_merge_implIS3_PlPS5_mZN2at6native12_GLOBAL__N_124unique_dim_cuda_templateIbEESt5tupleIJNSA_6TensorESF_SF_EERKSF_lbbbEUlllE_EE10hipError_tT0_T1_T2_jT3_P12ihipStream_tbPNSt15iterator_traitsISL_E10value_typeEPNSR_ISM_E10value_typeEPSN_NS1_7vsmem_tEENKUlT_SL_SM_SN_E_clIS8_S8_S9_S9_EESK_S10_SL_SM_SN_EUlS10_E_NS1_11comp_targetILNS1_3genE9ELNS1_11target_archE1100ELNS1_3gpuE3ELNS1_3repE0EEENS1_48merge_mergepath_partition_config_static_selectorELNS0_4arch9wavefront6targetE1EEEvSM_,comdat
.Lfunc_end1008:
	.size	_ZN7rocprim17ROCPRIM_400000_NS6detail17trampoline_kernelINS0_14default_configENS1_38merge_sort_block_merge_config_selectorIlNS0_10empty_typeEEEZZNS1_27merge_sort_block_merge_implIS3_PlPS5_mZN2at6native12_GLOBAL__N_124unique_dim_cuda_templateIbEESt5tupleIJNSA_6TensorESF_SF_EERKSF_lbbbEUlllE_EE10hipError_tT0_T1_T2_jT3_P12ihipStream_tbPNSt15iterator_traitsISL_E10value_typeEPNSR_ISM_E10value_typeEPSN_NS1_7vsmem_tEENKUlT_SL_SM_SN_E_clIS8_S8_S9_S9_EESK_S10_SL_SM_SN_EUlS10_E_NS1_11comp_targetILNS1_3genE9ELNS1_11target_archE1100ELNS1_3gpuE3ELNS1_3repE0EEENS1_48merge_mergepath_partition_config_static_selectorELNS0_4arch9wavefront6targetE1EEEvSM_, .Lfunc_end1008-_ZN7rocprim17ROCPRIM_400000_NS6detail17trampoline_kernelINS0_14default_configENS1_38merge_sort_block_merge_config_selectorIlNS0_10empty_typeEEEZZNS1_27merge_sort_block_merge_implIS3_PlPS5_mZN2at6native12_GLOBAL__N_124unique_dim_cuda_templateIbEESt5tupleIJNSA_6TensorESF_SF_EERKSF_lbbbEUlllE_EE10hipError_tT0_T1_T2_jT3_P12ihipStream_tbPNSt15iterator_traitsISL_E10value_typeEPNSR_ISM_E10value_typeEPSN_NS1_7vsmem_tEENKUlT_SL_SM_SN_E_clIS8_S8_S9_S9_EESK_S10_SL_SM_SN_EUlS10_E_NS1_11comp_targetILNS1_3genE9ELNS1_11target_archE1100ELNS1_3gpuE3ELNS1_3repE0EEENS1_48merge_mergepath_partition_config_static_selectorELNS0_4arch9wavefront6targetE1EEEvSM_
                                        ; -- End function
	.set _ZN7rocprim17ROCPRIM_400000_NS6detail17trampoline_kernelINS0_14default_configENS1_38merge_sort_block_merge_config_selectorIlNS0_10empty_typeEEEZZNS1_27merge_sort_block_merge_implIS3_PlPS5_mZN2at6native12_GLOBAL__N_124unique_dim_cuda_templateIbEESt5tupleIJNSA_6TensorESF_SF_EERKSF_lbbbEUlllE_EE10hipError_tT0_T1_T2_jT3_P12ihipStream_tbPNSt15iterator_traitsISL_E10value_typeEPNSR_ISM_E10value_typeEPSN_NS1_7vsmem_tEENKUlT_SL_SM_SN_E_clIS8_S8_S9_S9_EESK_S10_SL_SM_SN_EUlS10_E_NS1_11comp_targetILNS1_3genE9ELNS1_11target_archE1100ELNS1_3gpuE3ELNS1_3repE0EEENS1_48merge_mergepath_partition_config_static_selectorELNS0_4arch9wavefront6targetE1EEEvSM_.num_vgpr, 0
	.set _ZN7rocprim17ROCPRIM_400000_NS6detail17trampoline_kernelINS0_14default_configENS1_38merge_sort_block_merge_config_selectorIlNS0_10empty_typeEEEZZNS1_27merge_sort_block_merge_implIS3_PlPS5_mZN2at6native12_GLOBAL__N_124unique_dim_cuda_templateIbEESt5tupleIJNSA_6TensorESF_SF_EERKSF_lbbbEUlllE_EE10hipError_tT0_T1_T2_jT3_P12ihipStream_tbPNSt15iterator_traitsISL_E10value_typeEPNSR_ISM_E10value_typeEPSN_NS1_7vsmem_tEENKUlT_SL_SM_SN_E_clIS8_S8_S9_S9_EESK_S10_SL_SM_SN_EUlS10_E_NS1_11comp_targetILNS1_3genE9ELNS1_11target_archE1100ELNS1_3gpuE3ELNS1_3repE0EEENS1_48merge_mergepath_partition_config_static_selectorELNS0_4arch9wavefront6targetE1EEEvSM_.num_agpr, 0
	.set _ZN7rocprim17ROCPRIM_400000_NS6detail17trampoline_kernelINS0_14default_configENS1_38merge_sort_block_merge_config_selectorIlNS0_10empty_typeEEEZZNS1_27merge_sort_block_merge_implIS3_PlPS5_mZN2at6native12_GLOBAL__N_124unique_dim_cuda_templateIbEESt5tupleIJNSA_6TensorESF_SF_EERKSF_lbbbEUlllE_EE10hipError_tT0_T1_T2_jT3_P12ihipStream_tbPNSt15iterator_traitsISL_E10value_typeEPNSR_ISM_E10value_typeEPSN_NS1_7vsmem_tEENKUlT_SL_SM_SN_E_clIS8_S8_S9_S9_EESK_S10_SL_SM_SN_EUlS10_E_NS1_11comp_targetILNS1_3genE9ELNS1_11target_archE1100ELNS1_3gpuE3ELNS1_3repE0EEENS1_48merge_mergepath_partition_config_static_selectorELNS0_4arch9wavefront6targetE1EEEvSM_.numbered_sgpr, 0
	.set _ZN7rocprim17ROCPRIM_400000_NS6detail17trampoline_kernelINS0_14default_configENS1_38merge_sort_block_merge_config_selectorIlNS0_10empty_typeEEEZZNS1_27merge_sort_block_merge_implIS3_PlPS5_mZN2at6native12_GLOBAL__N_124unique_dim_cuda_templateIbEESt5tupleIJNSA_6TensorESF_SF_EERKSF_lbbbEUlllE_EE10hipError_tT0_T1_T2_jT3_P12ihipStream_tbPNSt15iterator_traitsISL_E10value_typeEPNSR_ISM_E10value_typeEPSN_NS1_7vsmem_tEENKUlT_SL_SM_SN_E_clIS8_S8_S9_S9_EESK_S10_SL_SM_SN_EUlS10_E_NS1_11comp_targetILNS1_3genE9ELNS1_11target_archE1100ELNS1_3gpuE3ELNS1_3repE0EEENS1_48merge_mergepath_partition_config_static_selectorELNS0_4arch9wavefront6targetE1EEEvSM_.num_named_barrier, 0
	.set _ZN7rocprim17ROCPRIM_400000_NS6detail17trampoline_kernelINS0_14default_configENS1_38merge_sort_block_merge_config_selectorIlNS0_10empty_typeEEEZZNS1_27merge_sort_block_merge_implIS3_PlPS5_mZN2at6native12_GLOBAL__N_124unique_dim_cuda_templateIbEESt5tupleIJNSA_6TensorESF_SF_EERKSF_lbbbEUlllE_EE10hipError_tT0_T1_T2_jT3_P12ihipStream_tbPNSt15iterator_traitsISL_E10value_typeEPNSR_ISM_E10value_typeEPSN_NS1_7vsmem_tEENKUlT_SL_SM_SN_E_clIS8_S8_S9_S9_EESK_S10_SL_SM_SN_EUlS10_E_NS1_11comp_targetILNS1_3genE9ELNS1_11target_archE1100ELNS1_3gpuE3ELNS1_3repE0EEENS1_48merge_mergepath_partition_config_static_selectorELNS0_4arch9wavefront6targetE1EEEvSM_.private_seg_size, 0
	.set _ZN7rocprim17ROCPRIM_400000_NS6detail17trampoline_kernelINS0_14default_configENS1_38merge_sort_block_merge_config_selectorIlNS0_10empty_typeEEEZZNS1_27merge_sort_block_merge_implIS3_PlPS5_mZN2at6native12_GLOBAL__N_124unique_dim_cuda_templateIbEESt5tupleIJNSA_6TensorESF_SF_EERKSF_lbbbEUlllE_EE10hipError_tT0_T1_T2_jT3_P12ihipStream_tbPNSt15iterator_traitsISL_E10value_typeEPNSR_ISM_E10value_typeEPSN_NS1_7vsmem_tEENKUlT_SL_SM_SN_E_clIS8_S8_S9_S9_EESK_S10_SL_SM_SN_EUlS10_E_NS1_11comp_targetILNS1_3genE9ELNS1_11target_archE1100ELNS1_3gpuE3ELNS1_3repE0EEENS1_48merge_mergepath_partition_config_static_selectorELNS0_4arch9wavefront6targetE1EEEvSM_.uses_vcc, 0
	.set _ZN7rocprim17ROCPRIM_400000_NS6detail17trampoline_kernelINS0_14default_configENS1_38merge_sort_block_merge_config_selectorIlNS0_10empty_typeEEEZZNS1_27merge_sort_block_merge_implIS3_PlPS5_mZN2at6native12_GLOBAL__N_124unique_dim_cuda_templateIbEESt5tupleIJNSA_6TensorESF_SF_EERKSF_lbbbEUlllE_EE10hipError_tT0_T1_T2_jT3_P12ihipStream_tbPNSt15iterator_traitsISL_E10value_typeEPNSR_ISM_E10value_typeEPSN_NS1_7vsmem_tEENKUlT_SL_SM_SN_E_clIS8_S8_S9_S9_EESK_S10_SL_SM_SN_EUlS10_E_NS1_11comp_targetILNS1_3genE9ELNS1_11target_archE1100ELNS1_3gpuE3ELNS1_3repE0EEENS1_48merge_mergepath_partition_config_static_selectorELNS0_4arch9wavefront6targetE1EEEvSM_.uses_flat_scratch, 0
	.set _ZN7rocprim17ROCPRIM_400000_NS6detail17trampoline_kernelINS0_14default_configENS1_38merge_sort_block_merge_config_selectorIlNS0_10empty_typeEEEZZNS1_27merge_sort_block_merge_implIS3_PlPS5_mZN2at6native12_GLOBAL__N_124unique_dim_cuda_templateIbEESt5tupleIJNSA_6TensorESF_SF_EERKSF_lbbbEUlllE_EE10hipError_tT0_T1_T2_jT3_P12ihipStream_tbPNSt15iterator_traitsISL_E10value_typeEPNSR_ISM_E10value_typeEPSN_NS1_7vsmem_tEENKUlT_SL_SM_SN_E_clIS8_S8_S9_S9_EESK_S10_SL_SM_SN_EUlS10_E_NS1_11comp_targetILNS1_3genE9ELNS1_11target_archE1100ELNS1_3gpuE3ELNS1_3repE0EEENS1_48merge_mergepath_partition_config_static_selectorELNS0_4arch9wavefront6targetE1EEEvSM_.has_dyn_sized_stack, 0
	.set _ZN7rocprim17ROCPRIM_400000_NS6detail17trampoline_kernelINS0_14default_configENS1_38merge_sort_block_merge_config_selectorIlNS0_10empty_typeEEEZZNS1_27merge_sort_block_merge_implIS3_PlPS5_mZN2at6native12_GLOBAL__N_124unique_dim_cuda_templateIbEESt5tupleIJNSA_6TensorESF_SF_EERKSF_lbbbEUlllE_EE10hipError_tT0_T1_T2_jT3_P12ihipStream_tbPNSt15iterator_traitsISL_E10value_typeEPNSR_ISM_E10value_typeEPSN_NS1_7vsmem_tEENKUlT_SL_SM_SN_E_clIS8_S8_S9_S9_EESK_S10_SL_SM_SN_EUlS10_E_NS1_11comp_targetILNS1_3genE9ELNS1_11target_archE1100ELNS1_3gpuE3ELNS1_3repE0EEENS1_48merge_mergepath_partition_config_static_selectorELNS0_4arch9wavefront6targetE1EEEvSM_.has_recursion, 0
	.set _ZN7rocprim17ROCPRIM_400000_NS6detail17trampoline_kernelINS0_14default_configENS1_38merge_sort_block_merge_config_selectorIlNS0_10empty_typeEEEZZNS1_27merge_sort_block_merge_implIS3_PlPS5_mZN2at6native12_GLOBAL__N_124unique_dim_cuda_templateIbEESt5tupleIJNSA_6TensorESF_SF_EERKSF_lbbbEUlllE_EE10hipError_tT0_T1_T2_jT3_P12ihipStream_tbPNSt15iterator_traitsISL_E10value_typeEPNSR_ISM_E10value_typeEPSN_NS1_7vsmem_tEENKUlT_SL_SM_SN_E_clIS8_S8_S9_S9_EESK_S10_SL_SM_SN_EUlS10_E_NS1_11comp_targetILNS1_3genE9ELNS1_11target_archE1100ELNS1_3gpuE3ELNS1_3repE0EEENS1_48merge_mergepath_partition_config_static_selectorELNS0_4arch9wavefront6targetE1EEEvSM_.has_indirect_call, 0
	.section	.AMDGPU.csdata,"",@progbits
; Kernel info:
; codeLenInByte = 0
; TotalNumSgprs: 6
; NumVgprs: 0
; NumAgprs: 0
; TotalNumVgprs: 0
; ScratchSize: 0
; MemoryBound: 0
; FloatMode: 240
; IeeeMode: 1
; LDSByteSize: 0 bytes/workgroup (compile time only)
; SGPRBlocks: 0
; VGPRBlocks: 0
; NumSGPRsForWavesPerEU: 6
; NumVGPRsForWavesPerEU: 1
; AccumOffset: 4
; Occupancy: 8
; WaveLimiterHint : 0
; COMPUTE_PGM_RSRC2:SCRATCH_EN: 0
; COMPUTE_PGM_RSRC2:USER_SGPR: 2
; COMPUTE_PGM_RSRC2:TRAP_HANDLER: 0
; COMPUTE_PGM_RSRC2:TGID_X_EN: 1
; COMPUTE_PGM_RSRC2:TGID_Y_EN: 0
; COMPUTE_PGM_RSRC2:TGID_Z_EN: 0
; COMPUTE_PGM_RSRC2:TIDIG_COMP_CNT: 0
; COMPUTE_PGM_RSRC3_GFX90A:ACCUM_OFFSET: 0
; COMPUTE_PGM_RSRC3_GFX90A:TG_SPLIT: 0
	.section	.text._ZN7rocprim17ROCPRIM_400000_NS6detail17trampoline_kernelINS0_14default_configENS1_38merge_sort_block_merge_config_selectorIlNS0_10empty_typeEEEZZNS1_27merge_sort_block_merge_implIS3_PlPS5_mZN2at6native12_GLOBAL__N_124unique_dim_cuda_templateIbEESt5tupleIJNSA_6TensorESF_SF_EERKSF_lbbbEUlllE_EE10hipError_tT0_T1_T2_jT3_P12ihipStream_tbPNSt15iterator_traitsISL_E10value_typeEPNSR_ISM_E10value_typeEPSN_NS1_7vsmem_tEENKUlT_SL_SM_SN_E_clIS8_S8_S9_S9_EESK_S10_SL_SM_SN_EUlS10_E_NS1_11comp_targetILNS1_3genE8ELNS1_11target_archE1030ELNS1_3gpuE2ELNS1_3repE0EEENS1_48merge_mergepath_partition_config_static_selectorELNS0_4arch9wavefront6targetE1EEEvSM_,"axG",@progbits,_ZN7rocprim17ROCPRIM_400000_NS6detail17trampoline_kernelINS0_14default_configENS1_38merge_sort_block_merge_config_selectorIlNS0_10empty_typeEEEZZNS1_27merge_sort_block_merge_implIS3_PlPS5_mZN2at6native12_GLOBAL__N_124unique_dim_cuda_templateIbEESt5tupleIJNSA_6TensorESF_SF_EERKSF_lbbbEUlllE_EE10hipError_tT0_T1_T2_jT3_P12ihipStream_tbPNSt15iterator_traitsISL_E10value_typeEPNSR_ISM_E10value_typeEPSN_NS1_7vsmem_tEENKUlT_SL_SM_SN_E_clIS8_S8_S9_S9_EESK_S10_SL_SM_SN_EUlS10_E_NS1_11comp_targetILNS1_3genE8ELNS1_11target_archE1030ELNS1_3gpuE2ELNS1_3repE0EEENS1_48merge_mergepath_partition_config_static_selectorELNS0_4arch9wavefront6targetE1EEEvSM_,comdat
	.globl	_ZN7rocprim17ROCPRIM_400000_NS6detail17trampoline_kernelINS0_14default_configENS1_38merge_sort_block_merge_config_selectorIlNS0_10empty_typeEEEZZNS1_27merge_sort_block_merge_implIS3_PlPS5_mZN2at6native12_GLOBAL__N_124unique_dim_cuda_templateIbEESt5tupleIJNSA_6TensorESF_SF_EERKSF_lbbbEUlllE_EE10hipError_tT0_T1_T2_jT3_P12ihipStream_tbPNSt15iterator_traitsISL_E10value_typeEPNSR_ISM_E10value_typeEPSN_NS1_7vsmem_tEENKUlT_SL_SM_SN_E_clIS8_S8_S9_S9_EESK_S10_SL_SM_SN_EUlS10_E_NS1_11comp_targetILNS1_3genE8ELNS1_11target_archE1030ELNS1_3gpuE2ELNS1_3repE0EEENS1_48merge_mergepath_partition_config_static_selectorELNS0_4arch9wavefront6targetE1EEEvSM_ ; -- Begin function _ZN7rocprim17ROCPRIM_400000_NS6detail17trampoline_kernelINS0_14default_configENS1_38merge_sort_block_merge_config_selectorIlNS0_10empty_typeEEEZZNS1_27merge_sort_block_merge_implIS3_PlPS5_mZN2at6native12_GLOBAL__N_124unique_dim_cuda_templateIbEESt5tupleIJNSA_6TensorESF_SF_EERKSF_lbbbEUlllE_EE10hipError_tT0_T1_T2_jT3_P12ihipStream_tbPNSt15iterator_traitsISL_E10value_typeEPNSR_ISM_E10value_typeEPSN_NS1_7vsmem_tEENKUlT_SL_SM_SN_E_clIS8_S8_S9_S9_EESK_S10_SL_SM_SN_EUlS10_E_NS1_11comp_targetILNS1_3genE8ELNS1_11target_archE1030ELNS1_3gpuE2ELNS1_3repE0EEENS1_48merge_mergepath_partition_config_static_selectorELNS0_4arch9wavefront6targetE1EEEvSM_
	.p2align	8
	.type	_ZN7rocprim17ROCPRIM_400000_NS6detail17trampoline_kernelINS0_14default_configENS1_38merge_sort_block_merge_config_selectorIlNS0_10empty_typeEEEZZNS1_27merge_sort_block_merge_implIS3_PlPS5_mZN2at6native12_GLOBAL__N_124unique_dim_cuda_templateIbEESt5tupleIJNSA_6TensorESF_SF_EERKSF_lbbbEUlllE_EE10hipError_tT0_T1_T2_jT3_P12ihipStream_tbPNSt15iterator_traitsISL_E10value_typeEPNSR_ISM_E10value_typeEPSN_NS1_7vsmem_tEENKUlT_SL_SM_SN_E_clIS8_S8_S9_S9_EESK_S10_SL_SM_SN_EUlS10_E_NS1_11comp_targetILNS1_3genE8ELNS1_11target_archE1030ELNS1_3gpuE2ELNS1_3repE0EEENS1_48merge_mergepath_partition_config_static_selectorELNS0_4arch9wavefront6targetE1EEEvSM_,@function
_ZN7rocprim17ROCPRIM_400000_NS6detail17trampoline_kernelINS0_14default_configENS1_38merge_sort_block_merge_config_selectorIlNS0_10empty_typeEEEZZNS1_27merge_sort_block_merge_implIS3_PlPS5_mZN2at6native12_GLOBAL__N_124unique_dim_cuda_templateIbEESt5tupleIJNSA_6TensorESF_SF_EERKSF_lbbbEUlllE_EE10hipError_tT0_T1_T2_jT3_P12ihipStream_tbPNSt15iterator_traitsISL_E10value_typeEPNSR_ISM_E10value_typeEPSN_NS1_7vsmem_tEENKUlT_SL_SM_SN_E_clIS8_S8_S9_S9_EESK_S10_SL_SM_SN_EUlS10_E_NS1_11comp_targetILNS1_3genE8ELNS1_11target_archE1030ELNS1_3gpuE2ELNS1_3repE0EEENS1_48merge_mergepath_partition_config_static_selectorELNS0_4arch9wavefront6targetE1EEEvSM_: ; @_ZN7rocprim17ROCPRIM_400000_NS6detail17trampoline_kernelINS0_14default_configENS1_38merge_sort_block_merge_config_selectorIlNS0_10empty_typeEEEZZNS1_27merge_sort_block_merge_implIS3_PlPS5_mZN2at6native12_GLOBAL__N_124unique_dim_cuda_templateIbEESt5tupleIJNSA_6TensorESF_SF_EERKSF_lbbbEUlllE_EE10hipError_tT0_T1_T2_jT3_P12ihipStream_tbPNSt15iterator_traitsISL_E10value_typeEPNSR_ISM_E10value_typeEPSN_NS1_7vsmem_tEENKUlT_SL_SM_SN_E_clIS8_S8_S9_S9_EESK_S10_SL_SM_SN_EUlS10_E_NS1_11comp_targetILNS1_3genE8ELNS1_11target_archE1030ELNS1_3gpuE2ELNS1_3repE0EEENS1_48merge_mergepath_partition_config_static_selectorELNS0_4arch9wavefront6targetE1EEEvSM_
; %bb.0:
	.section	.rodata,"a",@progbits
	.p2align	6, 0x0
	.amdhsa_kernel _ZN7rocprim17ROCPRIM_400000_NS6detail17trampoline_kernelINS0_14default_configENS1_38merge_sort_block_merge_config_selectorIlNS0_10empty_typeEEEZZNS1_27merge_sort_block_merge_implIS3_PlPS5_mZN2at6native12_GLOBAL__N_124unique_dim_cuda_templateIbEESt5tupleIJNSA_6TensorESF_SF_EERKSF_lbbbEUlllE_EE10hipError_tT0_T1_T2_jT3_P12ihipStream_tbPNSt15iterator_traitsISL_E10value_typeEPNSR_ISM_E10value_typeEPSN_NS1_7vsmem_tEENKUlT_SL_SM_SN_E_clIS8_S8_S9_S9_EESK_S10_SL_SM_SN_EUlS10_E_NS1_11comp_targetILNS1_3genE8ELNS1_11target_archE1030ELNS1_3gpuE2ELNS1_3repE0EEENS1_48merge_mergepath_partition_config_static_selectorELNS0_4arch9wavefront6targetE1EEEvSM_
		.amdhsa_group_segment_fixed_size 0
		.amdhsa_private_segment_fixed_size 0
		.amdhsa_kernarg_size 56
		.amdhsa_user_sgpr_count 2
		.amdhsa_user_sgpr_dispatch_ptr 0
		.amdhsa_user_sgpr_queue_ptr 0
		.amdhsa_user_sgpr_kernarg_segment_ptr 1
		.amdhsa_user_sgpr_dispatch_id 0
		.amdhsa_user_sgpr_kernarg_preload_length 0
		.amdhsa_user_sgpr_kernarg_preload_offset 0
		.amdhsa_user_sgpr_private_segment_size 0
		.amdhsa_uses_dynamic_stack 0
		.amdhsa_enable_private_segment 0
		.amdhsa_system_sgpr_workgroup_id_x 1
		.amdhsa_system_sgpr_workgroup_id_y 0
		.amdhsa_system_sgpr_workgroup_id_z 0
		.amdhsa_system_sgpr_workgroup_info 0
		.amdhsa_system_vgpr_workitem_id 0
		.amdhsa_next_free_vgpr 1
		.amdhsa_next_free_sgpr 0
		.amdhsa_accum_offset 4
		.amdhsa_reserve_vcc 0
		.amdhsa_float_round_mode_32 0
		.amdhsa_float_round_mode_16_64 0
		.amdhsa_float_denorm_mode_32 3
		.amdhsa_float_denorm_mode_16_64 3
		.amdhsa_dx10_clamp 1
		.amdhsa_ieee_mode 1
		.amdhsa_fp16_overflow 0
		.amdhsa_tg_split 0
		.amdhsa_exception_fp_ieee_invalid_op 0
		.amdhsa_exception_fp_denorm_src 0
		.amdhsa_exception_fp_ieee_div_zero 0
		.amdhsa_exception_fp_ieee_overflow 0
		.amdhsa_exception_fp_ieee_underflow 0
		.amdhsa_exception_fp_ieee_inexact 0
		.amdhsa_exception_int_div_zero 0
	.end_amdhsa_kernel
	.section	.text._ZN7rocprim17ROCPRIM_400000_NS6detail17trampoline_kernelINS0_14default_configENS1_38merge_sort_block_merge_config_selectorIlNS0_10empty_typeEEEZZNS1_27merge_sort_block_merge_implIS3_PlPS5_mZN2at6native12_GLOBAL__N_124unique_dim_cuda_templateIbEESt5tupleIJNSA_6TensorESF_SF_EERKSF_lbbbEUlllE_EE10hipError_tT0_T1_T2_jT3_P12ihipStream_tbPNSt15iterator_traitsISL_E10value_typeEPNSR_ISM_E10value_typeEPSN_NS1_7vsmem_tEENKUlT_SL_SM_SN_E_clIS8_S8_S9_S9_EESK_S10_SL_SM_SN_EUlS10_E_NS1_11comp_targetILNS1_3genE8ELNS1_11target_archE1030ELNS1_3gpuE2ELNS1_3repE0EEENS1_48merge_mergepath_partition_config_static_selectorELNS0_4arch9wavefront6targetE1EEEvSM_,"axG",@progbits,_ZN7rocprim17ROCPRIM_400000_NS6detail17trampoline_kernelINS0_14default_configENS1_38merge_sort_block_merge_config_selectorIlNS0_10empty_typeEEEZZNS1_27merge_sort_block_merge_implIS3_PlPS5_mZN2at6native12_GLOBAL__N_124unique_dim_cuda_templateIbEESt5tupleIJNSA_6TensorESF_SF_EERKSF_lbbbEUlllE_EE10hipError_tT0_T1_T2_jT3_P12ihipStream_tbPNSt15iterator_traitsISL_E10value_typeEPNSR_ISM_E10value_typeEPSN_NS1_7vsmem_tEENKUlT_SL_SM_SN_E_clIS8_S8_S9_S9_EESK_S10_SL_SM_SN_EUlS10_E_NS1_11comp_targetILNS1_3genE8ELNS1_11target_archE1030ELNS1_3gpuE2ELNS1_3repE0EEENS1_48merge_mergepath_partition_config_static_selectorELNS0_4arch9wavefront6targetE1EEEvSM_,comdat
.Lfunc_end1009:
	.size	_ZN7rocprim17ROCPRIM_400000_NS6detail17trampoline_kernelINS0_14default_configENS1_38merge_sort_block_merge_config_selectorIlNS0_10empty_typeEEEZZNS1_27merge_sort_block_merge_implIS3_PlPS5_mZN2at6native12_GLOBAL__N_124unique_dim_cuda_templateIbEESt5tupleIJNSA_6TensorESF_SF_EERKSF_lbbbEUlllE_EE10hipError_tT0_T1_T2_jT3_P12ihipStream_tbPNSt15iterator_traitsISL_E10value_typeEPNSR_ISM_E10value_typeEPSN_NS1_7vsmem_tEENKUlT_SL_SM_SN_E_clIS8_S8_S9_S9_EESK_S10_SL_SM_SN_EUlS10_E_NS1_11comp_targetILNS1_3genE8ELNS1_11target_archE1030ELNS1_3gpuE2ELNS1_3repE0EEENS1_48merge_mergepath_partition_config_static_selectorELNS0_4arch9wavefront6targetE1EEEvSM_, .Lfunc_end1009-_ZN7rocprim17ROCPRIM_400000_NS6detail17trampoline_kernelINS0_14default_configENS1_38merge_sort_block_merge_config_selectorIlNS0_10empty_typeEEEZZNS1_27merge_sort_block_merge_implIS3_PlPS5_mZN2at6native12_GLOBAL__N_124unique_dim_cuda_templateIbEESt5tupleIJNSA_6TensorESF_SF_EERKSF_lbbbEUlllE_EE10hipError_tT0_T1_T2_jT3_P12ihipStream_tbPNSt15iterator_traitsISL_E10value_typeEPNSR_ISM_E10value_typeEPSN_NS1_7vsmem_tEENKUlT_SL_SM_SN_E_clIS8_S8_S9_S9_EESK_S10_SL_SM_SN_EUlS10_E_NS1_11comp_targetILNS1_3genE8ELNS1_11target_archE1030ELNS1_3gpuE2ELNS1_3repE0EEENS1_48merge_mergepath_partition_config_static_selectorELNS0_4arch9wavefront6targetE1EEEvSM_
                                        ; -- End function
	.set _ZN7rocprim17ROCPRIM_400000_NS6detail17trampoline_kernelINS0_14default_configENS1_38merge_sort_block_merge_config_selectorIlNS0_10empty_typeEEEZZNS1_27merge_sort_block_merge_implIS3_PlPS5_mZN2at6native12_GLOBAL__N_124unique_dim_cuda_templateIbEESt5tupleIJNSA_6TensorESF_SF_EERKSF_lbbbEUlllE_EE10hipError_tT0_T1_T2_jT3_P12ihipStream_tbPNSt15iterator_traitsISL_E10value_typeEPNSR_ISM_E10value_typeEPSN_NS1_7vsmem_tEENKUlT_SL_SM_SN_E_clIS8_S8_S9_S9_EESK_S10_SL_SM_SN_EUlS10_E_NS1_11comp_targetILNS1_3genE8ELNS1_11target_archE1030ELNS1_3gpuE2ELNS1_3repE0EEENS1_48merge_mergepath_partition_config_static_selectorELNS0_4arch9wavefront6targetE1EEEvSM_.num_vgpr, 0
	.set _ZN7rocprim17ROCPRIM_400000_NS6detail17trampoline_kernelINS0_14default_configENS1_38merge_sort_block_merge_config_selectorIlNS0_10empty_typeEEEZZNS1_27merge_sort_block_merge_implIS3_PlPS5_mZN2at6native12_GLOBAL__N_124unique_dim_cuda_templateIbEESt5tupleIJNSA_6TensorESF_SF_EERKSF_lbbbEUlllE_EE10hipError_tT0_T1_T2_jT3_P12ihipStream_tbPNSt15iterator_traitsISL_E10value_typeEPNSR_ISM_E10value_typeEPSN_NS1_7vsmem_tEENKUlT_SL_SM_SN_E_clIS8_S8_S9_S9_EESK_S10_SL_SM_SN_EUlS10_E_NS1_11comp_targetILNS1_3genE8ELNS1_11target_archE1030ELNS1_3gpuE2ELNS1_3repE0EEENS1_48merge_mergepath_partition_config_static_selectorELNS0_4arch9wavefront6targetE1EEEvSM_.num_agpr, 0
	.set _ZN7rocprim17ROCPRIM_400000_NS6detail17trampoline_kernelINS0_14default_configENS1_38merge_sort_block_merge_config_selectorIlNS0_10empty_typeEEEZZNS1_27merge_sort_block_merge_implIS3_PlPS5_mZN2at6native12_GLOBAL__N_124unique_dim_cuda_templateIbEESt5tupleIJNSA_6TensorESF_SF_EERKSF_lbbbEUlllE_EE10hipError_tT0_T1_T2_jT3_P12ihipStream_tbPNSt15iterator_traitsISL_E10value_typeEPNSR_ISM_E10value_typeEPSN_NS1_7vsmem_tEENKUlT_SL_SM_SN_E_clIS8_S8_S9_S9_EESK_S10_SL_SM_SN_EUlS10_E_NS1_11comp_targetILNS1_3genE8ELNS1_11target_archE1030ELNS1_3gpuE2ELNS1_3repE0EEENS1_48merge_mergepath_partition_config_static_selectorELNS0_4arch9wavefront6targetE1EEEvSM_.numbered_sgpr, 0
	.set _ZN7rocprim17ROCPRIM_400000_NS6detail17trampoline_kernelINS0_14default_configENS1_38merge_sort_block_merge_config_selectorIlNS0_10empty_typeEEEZZNS1_27merge_sort_block_merge_implIS3_PlPS5_mZN2at6native12_GLOBAL__N_124unique_dim_cuda_templateIbEESt5tupleIJNSA_6TensorESF_SF_EERKSF_lbbbEUlllE_EE10hipError_tT0_T1_T2_jT3_P12ihipStream_tbPNSt15iterator_traitsISL_E10value_typeEPNSR_ISM_E10value_typeEPSN_NS1_7vsmem_tEENKUlT_SL_SM_SN_E_clIS8_S8_S9_S9_EESK_S10_SL_SM_SN_EUlS10_E_NS1_11comp_targetILNS1_3genE8ELNS1_11target_archE1030ELNS1_3gpuE2ELNS1_3repE0EEENS1_48merge_mergepath_partition_config_static_selectorELNS0_4arch9wavefront6targetE1EEEvSM_.num_named_barrier, 0
	.set _ZN7rocprim17ROCPRIM_400000_NS6detail17trampoline_kernelINS0_14default_configENS1_38merge_sort_block_merge_config_selectorIlNS0_10empty_typeEEEZZNS1_27merge_sort_block_merge_implIS3_PlPS5_mZN2at6native12_GLOBAL__N_124unique_dim_cuda_templateIbEESt5tupleIJNSA_6TensorESF_SF_EERKSF_lbbbEUlllE_EE10hipError_tT0_T1_T2_jT3_P12ihipStream_tbPNSt15iterator_traitsISL_E10value_typeEPNSR_ISM_E10value_typeEPSN_NS1_7vsmem_tEENKUlT_SL_SM_SN_E_clIS8_S8_S9_S9_EESK_S10_SL_SM_SN_EUlS10_E_NS1_11comp_targetILNS1_3genE8ELNS1_11target_archE1030ELNS1_3gpuE2ELNS1_3repE0EEENS1_48merge_mergepath_partition_config_static_selectorELNS0_4arch9wavefront6targetE1EEEvSM_.private_seg_size, 0
	.set _ZN7rocprim17ROCPRIM_400000_NS6detail17trampoline_kernelINS0_14default_configENS1_38merge_sort_block_merge_config_selectorIlNS0_10empty_typeEEEZZNS1_27merge_sort_block_merge_implIS3_PlPS5_mZN2at6native12_GLOBAL__N_124unique_dim_cuda_templateIbEESt5tupleIJNSA_6TensorESF_SF_EERKSF_lbbbEUlllE_EE10hipError_tT0_T1_T2_jT3_P12ihipStream_tbPNSt15iterator_traitsISL_E10value_typeEPNSR_ISM_E10value_typeEPSN_NS1_7vsmem_tEENKUlT_SL_SM_SN_E_clIS8_S8_S9_S9_EESK_S10_SL_SM_SN_EUlS10_E_NS1_11comp_targetILNS1_3genE8ELNS1_11target_archE1030ELNS1_3gpuE2ELNS1_3repE0EEENS1_48merge_mergepath_partition_config_static_selectorELNS0_4arch9wavefront6targetE1EEEvSM_.uses_vcc, 0
	.set _ZN7rocprim17ROCPRIM_400000_NS6detail17trampoline_kernelINS0_14default_configENS1_38merge_sort_block_merge_config_selectorIlNS0_10empty_typeEEEZZNS1_27merge_sort_block_merge_implIS3_PlPS5_mZN2at6native12_GLOBAL__N_124unique_dim_cuda_templateIbEESt5tupleIJNSA_6TensorESF_SF_EERKSF_lbbbEUlllE_EE10hipError_tT0_T1_T2_jT3_P12ihipStream_tbPNSt15iterator_traitsISL_E10value_typeEPNSR_ISM_E10value_typeEPSN_NS1_7vsmem_tEENKUlT_SL_SM_SN_E_clIS8_S8_S9_S9_EESK_S10_SL_SM_SN_EUlS10_E_NS1_11comp_targetILNS1_3genE8ELNS1_11target_archE1030ELNS1_3gpuE2ELNS1_3repE0EEENS1_48merge_mergepath_partition_config_static_selectorELNS0_4arch9wavefront6targetE1EEEvSM_.uses_flat_scratch, 0
	.set _ZN7rocprim17ROCPRIM_400000_NS6detail17trampoline_kernelINS0_14default_configENS1_38merge_sort_block_merge_config_selectorIlNS0_10empty_typeEEEZZNS1_27merge_sort_block_merge_implIS3_PlPS5_mZN2at6native12_GLOBAL__N_124unique_dim_cuda_templateIbEESt5tupleIJNSA_6TensorESF_SF_EERKSF_lbbbEUlllE_EE10hipError_tT0_T1_T2_jT3_P12ihipStream_tbPNSt15iterator_traitsISL_E10value_typeEPNSR_ISM_E10value_typeEPSN_NS1_7vsmem_tEENKUlT_SL_SM_SN_E_clIS8_S8_S9_S9_EESK_S10_SL_SM_SN_EUlS10_E_NS1_11comp_targetILNS1_3genE8ELNS1_11target_archE1030ELNS1_3gpuE2ELNS1_3repE0EEENS1_48merge_mergepath_partition_config_static_selectorELNS0_4arch9wavefront6targetE1EEEvSM_.has_dyn_sized_stack, 0
	.set _ZN7rocprim17ROCPRIM_400000_NS6detail17trampoline_kernelINS0_14default_configENS1_38merge_sort_block_merge_config_selectorIlNS0_10empty_typeEEEZZNS1_27merge_sort_block_merge_implIS3_PlPS5_mZN2at6native12_GLOBAL__N_124unique_dim_cuda_templateIbEESt5tupleIJNSA_6TensorESF_SF_EERKSF_lbbbEUlllE_EE10hipError_tT0_T1_T2_jT3_P12ihipStream_tbPNSt15iterator_traitsISL_E10value_typeEPNSR_ISM_E10value_typeEPSN_NS1_7vsmem_tEENKUlT_SL_SM_SN_E_clIS8_S8_S9_S9_EESK_S10_SL_SM_SN_EUlS10_E_NS1_11comp_targetILNS1_3genE8ELNS1_11target_archE1030ELNS1_3gpuE2ELNS1_3repE0EEENS1_48merge_mergepath_partition_config_static_selectorELNS0_4arch9wavefront6targetE1EEEvSM_.has_recursion, 0
	.set _ZN7rocprim17ROCPRIM_400000_NS6detail17trampoline_kernelINS0_14default_configENS1_38merge_sort_block_merge_config_selectorIlNS0_10empty_typeEEEZZNS1_27merge_sort_block_merge_implIS3_PlPS5_mZN2at6native12_GLOBAL__N_124unique_dim_cuda_templateIbEESt5tupleIJNSA_6TensorESF_SF_EERKSF_lbbbEUlllE_EE10hipError_tT0_T1_T2_jT3_P12ihipStream_tbPNSt15iterator_traitsISL_E10value_typeEPNSR_ISM_E10value_typeEPSN_NS1_7vsmem_tEENKUlT_SL_SM_SN_E_clIS8_S8_S9_S9_EESK_S10_SL_SM_SN_EUlS10_E_NS1_11comp_targetILNS1_3genE8ELNS1_11target_archE1030ELNS1_3gpuE2ELNS1_3repE0EEENS1_48merge_mergepath_partition_config_static_selectorELNS0_4arch9wavefront6targetE1EEEvSM_.has_indirect_call, 0
	.section	.AMDGPU.csdata,"",@progbits
; Kernel info:
; codeLenInByte = 0
; TotalNumSgprs: 6
; NumVgprs: 0
; NumAgprs: 0
; TotalNumVgprs: 0
; ScratchSize: 0
; MemoryBound: 0
; FloatMode: 240
; IeeeMode: 1
; LDSByteSize: 0 bytes/workgroup (compile time only)
; SGPRBlocks: 0
; VGPRBlocks: 0
; NumSGPRsForWavesPerEU: 6
; NumVGPRsForWavesPerEU: 1
; AccumOffset: 4
; Occupancy: 8
; WaveLimiterHint : 0
; COMPUTE_PGM_RSRC2:SCRATCH_EN: 0
; COMPUTE_PGM_RSRC2:USER_SGPR: 2
; COMPUTE_PGM_RSRC2:TRAP_HANDLER: 0
; COMPUTE_PGM_RSRC2:TGID_X_EN: 1
; COMPUTE_PGM_RSRC2:TGID_Y_EN: 0
; COMPUTE_PGM_RSRC2:TGID_Z_EN: 0
; COMPUTE_PGM_RSRC2:TIDIG_COMP_CNT: 0
; COMPUTE_PGM_RSRC3_GFX90A:ACCUM_OFFSET: 0
; COMPUTE_PGM_RSRC3_GFX90A:TG_SPLIT: 0
	.section	.text._ZN7rocprim17ROCPRIM_400000_NS6detail17trampoline_kernelINS0_14default_configENS1_38merge_sort_block_merge_config_selectorIlNS0_10empty_typeEEEZZNS1_27merge_sort_block_merge_implIS3_PlPS5_mZN2at6native12_GLOBAL__N_124unique_dim_cuda_templateIbEESt5tupleIJNSA_6TensorESF_SF_EERKSF_lbbbEUlllE_EE10hipError_tT0_T1_T2_jT3_P12ihipStream_tbPNSt15iterator_traitsISL_E10value_typeEPNSR_ISM_E10value_typeEPSN_NS1_7vsmem_tEENKUlT_SL_SM_SN_E_clIS8_S8_S9_S9_EESK_S10_SL_SM_SN_EUlS10_E0_NS1_11comp_targetILNS1_3genE0ELNS1_11target_archE4294967295ELNS1_3gpuE0ELNS1_3repE0EEENS1_38merge_mergepath_config_static_selectorELNS0_4arch9wavefront6targetE1EEEvSM_,"axG",@progbits,_ZN7rocprim17ROCPRIM_400000_NS6detail17trampoline_kernelINS0_14default_configENS1_38merge_sort_block_merge_config_selectorIlNS0_10empty_typeEEEZZNS1_27merge_sort_block_merge_implIS3_PlPS5_mZN2at6native12_GLOBAL__N_124unique_dim_cuda_templateIbEESt5tupleIJNSA_6TensorESF_SF_EERKSF_lbbbEUlllE_EE10hipError_tT0_T1_T2_jT3_P12ihipStream_tbPNSt15iterator_traitsISL_E10value_typeEPNSR_ISM_E10value_typeEPSN_NS1_7vsmem_tEENKUlT_SL_SM_SN_E_clIS8_S8_S9_S9_EESK_S10_SL_SM_SN_EUlS10_E0_NS1_11comp_targetILNS1_3genE0ELNS1_11target_archE4294967295ELNS1_3gpuE0ELNS1_3repE0EEENS1_38merge_mergepath_config_static_selectorELNS0_4arch9wavefront6targetE1EEEvSM_,comdat
	.globl	_ZN7rocprim17ROCPRIM_400000_NS6detail17trampoline_kernelINS0_14default_configENS1_38merge_sort_block_merge_config_selectorIlNS0_10empty_typeEEEZZNS1_27merge_sort_block_merge_implIS3_PlPS5_mZN2at6native12_GLOBAL__N_124unique_dim_cuda_templateIbEESt5tupleIJNSA_6TensorESF_SF_EERKSF_lbbbEUlllE_EE10hipError_tT0_T1_T2_jT3_P12ihipStream_tbPNSt15iterator_traitsISL_E10value_typeEPNSR_ISM_E10value_typeEPSN_NS1_7vsmem_tEENKUlT_SL_SM_SN_E_clIS8_S8_S9_S9_EESK_S10_SL_SM_SN_EUlS10_E0_NS1_11comp_targetILNS1_3genE0ELNS1_11target_archE4294967295ELNS1_3gpuE0ELNS1_3repE0EEENS1_38merge_mergepath_config_static_selectorELNS0_4arch9wavefront6targetE1EEEvSM_ ; -- Begin function _ZN7rocprim17ROCPRIM_400000_NS6detail17trampoline_kernelINS0_14default_configENS1_38merge_sort_block_merge_config_selectorIlNS0_10empty_typeEEEZZNS1_27merge_sort_block_merge_implIS3_PlPS5_mZN2at6native12_GLOBAL__N_124unique_dim_cuda_templateIbEESt5tupleIJNSA_6TensorESF_SF_EERKSF_lbbbEUlllE_EE10hipError_tT0_T1_T2_jT3_P12ihipStream_tbPNSt15iterator_traitsISL_E10value_typeEPNSR_ISM_E10value_typeEPSN_NS1_7vsmem_tEENKUlT_SL_SM_SN_E_clIS8_S8_S9_S9_EESK_S10_SL_SM_SN_EUlS10_E0_NS1_11comp_targetILNS1_3genE0ELNS1_11target_archE4294967295ELNS1_3gpuE0ELNS1_3repE0EEENS1_38merge_mergepath_config_static_selectorELNS0_4arch9wavefront6targetE1EEEvSM_
	.p2align	8
	.type	_ZN7rocprim17ROCPRIM_400000_NS6detail17trampoline_kernelINS0_14default_configENS1_38merge_sort_block_merge_config_selectorIlNS0_10empty_typeEEEZZNS1_27merge_sort_block_merge_implIS3_PlPS5_mZN2at6native12_GLOBAL__N_124unique_dim_cuda_templateIbEESt5tupleIJNSA_6TensorESF_SF_EERKSF_lbbbEUlllE_EE10hipError_tT0_T1_T2_jT3_P12ihipStream_tbPNSt15iterator_traitsISL_E10value_typeEPNSR_ISM_E10value_typeEPSN_NS1_7vsmem_tEENKUlT_SL_SM_SN_E_clIS8_S8_S9_S9_EESK_S10_SL_SM_SN_EUlS10_E0_NS1_11comp_targetILNS1_3genE0ELNS1_11target_archE4294967295ELNS1_3gpuE0ELNS1_3repE0EEENS1_38merge_mergepath_config_static_selectorELNS0_4arch9wavefront6targetE1EEEvSM_,@function
_ZN7rocprim17ROCPRIM_400000_NS6detail17trampoline_kernelINS0_14default_configENS1_38merge_sort_block_merge_config_selectorIlNS0_10empty_typeEEEZZNS1_27merge_sort_block_merge_implIS3_PlPS5_mZN2at6native12_GLOBAL__N_124unique_dim_cuda_templateIbEESt5tupleIJNSA_6TensorESF_SF_EERKSF_lbbbEUlllE_EE10hipError_tT0_T1_T2_jT3_P12ihipStream_tbPNSt15iterator_traitsISL_E10value_typeEPNSR_ISM_E10value_typeEPSN_NS1_7vsmem_tEENKUlT_SL_SM_SN_E_clIS8_S8_S9_S9_EESK_S10_SL_SM_SN_EUlS10_E0_NS1_11comp_targetILNS1_3genE0ELNS1_11target_archE4294967295ELNS1_3gpuE0ELNS1_3repE0EEENS1_38merge_mergepath_config_static_selectorELNS0_4arch9wavefront6targetE1EEEvSM_: ; @_ZN7rocprim17ROCPRIM_400000_NS6detail17trampoline_kernelINS0_14default_configENS1_38merge_sort_block_merge_config_selectorIlNS0_10empty_typeEEEZZNS1_27merge_sort_block_merge_implIS3_PlPS5_mZN2at6native12_GLOBAL__N_124unique_dim_cuda_templateIbEESt5tupleIJNSA_6TensorESF_SF_EERKSF_lbbbEUlllE_EE10hipError_tT0_T1_T2_jT3_P12ihipStream_tbPNSt15iterator_traitsISL_E10value_typeEPNSR_ISM_E10value_typeEPSN_NS1_7vsmem_tEENKUlT_SL_SM_SN_E_clIS8_S8_S9_S9_EESK_S10_SL_SM_SN_EUlS10_E0_NS1_11comp_targetILNS1_3genE0ELNS1_11target_archE4294967295ELNS1_3gpuE0ELNS1_3repE0EEENS1_38merge_mergepath_config_static_selectorELNS0_4arch9wavefront6targetE1EEEvSM_
; %bb.0:
	s_load_dwordx2 s[22:23], s[0:1], 0x58
	s_load_dword s5, s[0:1], 0x38
	s_add_u32 s18, s0, 0x58
	s_addc_u32 s19, s1, 0
	s_waitcnt lgkmcnt(0)
	s_mul_i32 s4, s23, s4
	s_add_i32 s3, s4, s3
	s_mul_i32 s3, s3, s22
	s_add_i32 s20, s3, s2
	s_cmp_ge_u32 s20, s5
	s_cbranch_scc1 .LBB1010_115
; %bb.1:
	s_load_dwordx2 s[12:13], s[0:1], 0x50
	s_load_dwordx4 s[8:11], s[0:1], 0x8
	s_load_dwordx4 s[4:7], s[0:1], 0x28
	s_mov_b32 s21, 0
	s_lshl_b64 s[14:15], s[20:21], 3
	s_waitcnt lgkmcnt(0)
	s_add_u32 s16, s12, s14
	s_addc_u32 s17, s13, s15
	s_load_dwordx4 s[12:15], s[16:17], 0x0
	s_lshr_b64 s[16:17], s[6:7], 9
	s_and_b32 s3, s16, -2
	s_sub_i32 s33, 0, s3
	s_and_b32 s26, s20, s33
	s_mov_b32 s27, s21
	s_lshl_b64 s[24:25], s[26:27], 10
	s_lshl_b64 s[16:17], s[20:21], 10
	s_sub_u32 s3, s16, s24
	s_subb_u32 s23, s17, s25
	s_lshl_b64 s[26:27], s[26:27], 11
	s_add_u32 s26, s26, s6
	s_addc_u32 s27, s27, s7
	s_add_u32 s3, s26, s3
	s_addc_u32 s23, s27, s23
	s_waitcnt lgkmcnt(0)
	s_sub_u32 s28, s3, s14
	s_subb_u32 s15, s23, s15
	s_add_u32 s28, s28, 0x400
	s_addc_u32 s29, s15, 0
	v_mov_b64_e32 v[2:3], s[28:29]
	v_cmp_lt_u64_e32 vcc, s[4:5], v[2:3]
	s_and_b64 s[30:31], vcc, exec
	s_cselect_b32 s15, s4, s28
	s_or_b32 s28, s20, s33
	s_cmp_lg_u32 s28, -1
	s_cbranch_scc1 .LBB1010_3
; %bb.2:
	s_sub_u32 s24, s26, s24
	s_subb_u32 s25, s27, s25
	v_mov_b64_e32 v[2:3], s[24:25]
	v_cmp_lt_u64_e32 vcc, s[4:5], v[2:3]
	s_and_b64 s[14:15], vcc, exec
	s_cselect_b32 s14, s4, s24
	s_add_u32 s6, s24, s6
	s_addc_u32 s7, s25, s7
	v_mov_b64_e32 v[2:3], s[6:7]
	v_cmp_lt_u64_e32 vcc, s[4:5], v[2:3]
	s_and_b64 s[24:25], vcc, exec
	s_cselect_b32 s15, s4, s6
.LBB1010_3:
	s_lshr_b64 s[24:25], s[4:5], 10
	s_cmp_lg_u64 s[24:25], s[20:21]
	s_cselect_b64 s[6:7], -1, 0
	s_sub_u32 s26, s3, s12
	s_subb_u32 s27, s23, s13
	v_mov_b64_e32 v[2:3], s[26:27]
	v_cmp_lt_u64_e32 vcc, s[4:5], v[2:3]
	s_and_b64 s[28:29], vcc, exec
	s_cselect_b32 s26, s4, s26
	s_cselect_b32 s27, s5, s27
	s_sub_i32 s5, s14, s12
	s_sub_i32 s23, s15, s26
	s_lshl_b64 s[12:13], s[12:13], 3
	s_add_u32 s12, s8, s12
	s_addc_u32 s13, s9, s13
	s_lshl_b64 s[14:15], s[26:27], 3
	s_add_u32 s8, s8, s14
	s_addc_u32 s9, s9, s15
	s_cmp_lt_u32 s2, s22
	v_mov_b32_e32 v19, 0
	s_cselect_b32 s2, 12, 18
	global_load_dword v1, v19, s[18:19] offset:14
	s_add_u32 s2, s18, s2
	s_addc_u32 s3, s19, 0
	global_load_ushort v2, v19, s[2:3]
	s_cmp_eq_u64 s[24:25], s[20:21]
	v_lshlrev_b32_e32 v18, 3, v0
	s_waitcnt vmcnt(1)
	v_lshrrev_b32_e32 v3, 16, v1
	v_and_b32_e32 v1, 0xffff, v1
	v_mul_lo_u32 v1, v1, v3
	s_waitcnt vmcnt(0)
	v_mul_lo_u32 v1, v1, v2
	s_cbranch_scc1 .LBB1010_5
; %bb.4:
	v_subrev_co_u32_e32 v4, vcc, s5, v0
	v_mov_b32_e32 v5, v19
	v_lshl_add_u64 v[2:3], s[12:13], 0, v[18:19]
	v_lshl_add_u64 v[4:5], v[4:5], 3, s[8:9]
	v_add_u32_e32 v6, v1, v0
	v_cndmask_b32_e32 v3, v5, v3, vcc
	v_cndmask_b32_e32 v2, v4, v2, vcc
	v_mov_b32_e32 v7, v19
	v_subrev_co_u32_e32 v8, vcc, s5, v6
	v_mov_b32_e32 v9, v19
	v_lshl_add_u64 v[4:5], v[6:7], 3, s[12:13]
	v_lshl_add_u64 v[8:9], v[8:9], 3, s[8:9]
	v_cndmask_b32_e32 v4, v8, v4, vcc
	v_add_u32_e32 v8, v6, v1
	v_cndmask_b32_e32 v5, v9, v5, vcc
	v_mov_b32_e32 v9, v19
	v_subrev_co_u32_e32 v10, vcc, s5, v8
	v_mov_b32_e32 v11, v19
	v_lshl_add_u64 v[6:7], v[8:9], 3, s[12:13]
	v_lshl_add_u64 v[10:11], v[10:11], 3, s[8:9]
	v_cndmask_b32_e32 v6, v10, v6, vcc
	v_add_u32_e32 v10, v8, v1
	;; [unrolled: 8-line block ×5, first 2 shown]
	v_cndmask_b32_e32 v13, v17, v13, vcc
	v_mov_b32_e32 v17, v19
	v_subrev_co_u32_e32 v20, vcc, s5, v16
	v_mov_b32_e32 v21, v19
	v_lshl_add_u64 v[14:15], v[16:17], 3, s[12:13]
	v_lshl_add_u64 v[20:21], v[20:21], 3, s[8:9]
	v_add_u32_e32 v16, v16, v1
	v_cndmask_b32_e32 v15, v21, v15, vcc
	v_cndmask_b32_e32 v14, v20, v14, vcc
	v_lshl_add_u64 v[20:21], v[16:17], 3, s[12:13]
	v_subrev_co_u32_e32 v16, vcc, s5, v16
	v_lshl_add_u64 v[16:17], v[16:17], 3, s[8:9]
	s_nop 0
	v_cndmask_b32_e32 v17, v17, v21, vcc
	v_cndmask_b32_e32 v16, v16, v20, vcc
	global_load_dwordx2 v[2:3], v[2:3], off
	s_add_i32 s33, s5, s23
	global_load_dwordx2 v[4:5], v[4:5], off
	s_nop 0
	global_load_dwordx2 v[6:7], v[6:7], off
	s_nop 0
	global_load_dwordx2 v[8:9], v[8:9], off
	s_nop 0
	global_load_dwordx2 v[10:11], v[10:11], off
	s_nop 0
	global_load_dwordx2 v[12:13], v[12:13], off
	s_nop 0
	global_load_dwordx2 v[14:15], v[14:15], off
	s_nop 0
	global_load_dwordx2 v[16:17], v[16:17], off
	s_cbranch_execz .LBB1010_6
	s_branch .LBB1010_23
.LBB1010_5:
                                        ; implicit-def: $vgpr2_vgpr3_vgpr4_vgpr5_vgpr6_vgpr7_vgpr8_vgpr9_vgpr10_vgpr11_vgpr12_vgpr13_vgpr14_vgpr15_vgpr16_vgpr17
                                        ; implicit-def: $sgpr33
.LBB1010_6:
	s_add_i32 s33, s5, s23
	s_waitcnt vmcnt(7)
	v_mov_b32_e32 v2, 0
	v_cmp_gt_u32_e32 vcc, s33, v0
	v_mov_b32_e32 v3, v2
	s_waitcnt vmcnt(6)
	v_mov_b32_e32 v4, v2
	v_mov_b32_e32 v5, v2
	s_waitcnt vmcnt(5)
	v_mov_b32_e32 v6, v2
	;; [unrolled: 3-line block ×7, first 2 shown]
	v_mov_b32_e32 v17, v2
	s_and_saveexec_b64 s[2:3], vcc
	s_cbranch_execz .LBB1010_8
; %bb.7:
	v_mov_b32_e32 v19, v2
	v_subrev_co_u32_e32 v6, vcc, s5, v0
	v_mov_b32_e32 v7, v2
	v_lshl_add_u64 v[4:5], s[12:13], 0, v[18:19]
	v_lshl_add_u64 v[6:7], v[6:7], 3, s[8:9]
	v_cndmask_b32_e32 v5, v7, v5, vcc
	v_cndmask_b32_e32 v4, v6, v4, vcc
	global_load_dwordx2 v[20:21], v[4:5], off
	v_mov_b32_e32 v22, v2
	v_mov_b32_e32 v23, v2
	;; [unrolled: 1-line block ×14, first 2 shown]
	s_waitcnt vmcnt(0)
	v_mov_b64_e32 v[2:3], v[20:21]
	v_mov_b64_e32 v[4:5], v[22:23]
	;; [unrolled: 1-line block ×8, first 2 shown]
.LBB1010_8:
	s_or_b64 exec, exec, s[2:3]
	v_add_u32_e32 v20, v1, v0
	v_cmp_gt_u32_e32 vcc, s33, v20
	s_and_saveexec_b64 s[2:3], vcc
	s_cbranch_execz .LBB1010_10
; %bb.9:
	v_mov_b32_e32 v21, 0
	v_subrev_co_u32_e32 v22, vcc, s5, v20
	v_mov_b32_e32 v23, v21
	v_lshl_add_u64 v[4:5], v[20:21], 3, s[12:13]
	v_lshl_add_u64 v[22:23], v[22:23], 3, s[8:9]
	v_cndmask_b32_e32 v5, v23, v5, vcc
	v_cndmask_b32_e32 v4, v22, v4, vcc
	global_load_dwordx2 v[4:5], v[4:5], off
.LBB1010_10:
	s_or_b64 exec, exec, s[2:3]
	v_add_u32_e32 v20, v20, v1
	v_cmp_gt_u32_e32 vcc, s33, v20
	s_and_saveexec_b64 s[2:3], vcc
	s_cbranch_execz .LBB1010_12
; %bb.11:
	v_mov_b32_e32 v21, 0
	v_subrev_co_u32_e32 v22, vcc, s5, v20
	v_mov_b32_e32 v23, v21
	v_lshl_add_u64 v[6:7], v[20:21], 3, s[12:13]
	v_lshl_add_u64 v[22:23], v[22:23], 3, s[8:9]
	v_cndmask_b32_e32 v7, v23, v7, vcc
	v_cndmask_b32_e32 v6, v22, v6, vcc
	global_load_dwordx2 v[6:7], v[6:7], off
.LBB1010_12:
	;; [unrolled: 15-line block ×6, first 2 shown]
	s_or_b64 exec, exec, s[2:3]
	v_add_u32_e32 v20, v20, v1
	v_cmp_gt_u32_e32 vcc, s33, v20
	s_and_saveexec_b64 s[2:3], vcc
	s_cbranch_execz .LBB1010_22
; %bb.21:
	v_mov_b32_e32 v21, 0
	v_lshl_add_u64 v[16:17], v[20:21], 3, s[12:13]
	v_subrev_co_u32_e32 v20, vcc, s5, v20
	v_lshl_add_u64 v[20:21], v[20:21], 3, s[8:9]
	s_nop 0
	v_cndmask_b32_e32 v17, v21, v17, vcc
	v_cndmask_b32_e32 v16, v20, v16, vcc
	global_load_dwordx2 v[16:17], v[16:17], off
.LBB1010_22:
	s_or_b64 exec, exec, s[2:3]
.LBB1010_23:
	s_load_dwordx4 s[12:15], s[0:1], 0x40
	v_min_u32_e32 v1, s33, v18
	v_sub_u32_e64 v24, v1, s23 clamp
	v_min_u32_e32 v19, s5, v1
	v_cmp_lt_u32_e32 vcc, v24, v19
	s_waitcnt vmcnt(0)
	ds_write2st64_b64 v18, v[2:3], v[4:5] offset1:2
	ds_write2st64_b64 v18, v[6:7], v[8:9] offset0:4 offset1:6
	ds_write2st64_b64 v18, v[10:11], v[12:13] offset0:8 offset1:10
	;; [unrolled: 1-line block ×3, first 2 shown]
	s_waitcnt lgkmcnt(0)
	s_barrier
	s_and_saveexec_b64 s[8:9], vcc
	s_cbranch_execz .LBB1010_33
; %bb.24:
	v_lshlrev_b32_e32 v20, 3, v1
	v_cmp_gt_i64_e64 s[0:1], s[12:13], 0
	v_lshl_add_u32 v25, s5, 3, v20
	s_mov_b64 s[18:19], 0
	v_cndmask_b32_e64 v20, 0, 1, s[0:1]
	v_cmp_ne_u32_e64 s[0:1], 1, v20
	s_branch .LBB1010_27
.LBB1010_25:                            ;   in Loop: Header=BB1010_27 Depth=1
	s_or_b64 exec, exec, s[22:23]
.LBB1010_26:                            ;   in Loop: Header=BB1010_27 Depth=1
	v_add_u32_e32 v20, 1, v26
	v_cndmask_b32_e64 v19, v19, v26, s[20:21]
	v_cndmask_b32_e64 v24, v20, v24, s[20:21]
	v_cmp_ge_u32_e32 vcc, v24, v19
	s_or_b64 s[18:19], vcc, s[18:19]
	s_andn2_b64 exec, exec, s[18:19]
	s_cbranch_execz .LBB1010_32
.LBB1010_27:                            ; =>This Loop Header: Depth=1
                                        ;     Child Loop BB1010_30 Depth 2
	v_add_u32_e32 v20, v19, v24
	v_lshrrev_b32_e32 v26, 1, v20
	s_and_b64 vcc, exec, s[0:1]
	s_mov_b64 s[20:21], 0
	s_cbranch_vccnz .LBB1010_26
; %bb.28:                               ;   in Loop: Header=BB1010_27 Depth=1
	v_not_b32_e32 v20, v26
	v_lshl_add_u32 v20, v20, 3, v25
	ds_read_b64 v[20:21], v20
	v_lshlrev_b32_e32 v27, 3, v26
	ds_read_b64 v[28:29], v27
	v_mov_b64_e32 v[22:23], s[14:15]
	s_mov_b64 s[22:23], 0
	s_waitcnt lgkmcnt(1)
	v_mul_lo_u32 v27, v20, s13
	v_mul_lo_u32 v30, v21, s12
	v_mad_u64_u32 v[20:21], s[2:3], v20, s12, v[22:23]
	v_add3_u32 v21, v30, v21, v27
	s_waitcnt lgkmcnt(0)
	v_mul_lo_u32 v27, v28, s13
	v_mul_lo_u32 v29, v29, s12
	v_mad_u64_u32 v[22:23], s[2:3], v28, s12, v[22:23]
	v_add3_u32 v23, v29, v23, v27
	s_mov_b64 s[26:27], s[12:13]
                                        ; implicit-def: $sgpr20_sgpr21
                                        ; implicit-def: $sgpr24_sgpr25
                                        ; implicit-def: $sgpr2_sgpr3
                                        ; implicit-def: $sgpr28_sgpr29
	s_branch .LBB1010_30
.LBB1010_29:                            ;   in Loop: Header=BB1010_30 Depth=2
	s_or_b64 exec, exec, s[34:35]
	s_and_b64 s[34:35], exec, s[24:25]
	s_or_b64 s[22:23], s[34:35], s[22:23]
	s_andn2_b64 s[28:29], s[28:29], exec
	s_and_b64 s[30:31], s[30:31], exec
	s_or_b64 s[28:29], s[28:29], s[30:31]
	s_andn2_b64 s[20:21], s[20:21], exec
	s_and_b64 s[30:31], s[2:3], exec
	s_or_b64 s[20:21], s[20:21], s[30:31]
	s_andn2_b64 exec, exec, s[22:23]
	s_cbranch_execz .LBB1010_25
.LBB1010_30:                            ;   Parent Loop BB1010_27 Depth=1
                                        ; =>  This Inner Loop Header: Depth=2
	global_load_ubyte v27, v[20:21], off
	global_load_ubyte v28, v[22:23], off
	s_andn2_b64 s[34:35], s[2:3], exec
	s_or_b64 s[24:25], s[24:25], exec
	s_waitcnt vmcnt(1)
	v_cmp_eq_u16_e32 vcc, 0, v27
	s_waitcnt vmcnt(0)
	v_cmp_ne_u16_e64 s[2:3], 0, v28
	s_or_b64 s[36:37], vcc, s[2:3]
	s_and_b64 s[30:31], vcc, s[2:3]
	s_xor_b64 s[38:39], vcc, s[2:3]
	s_and_b64 s[2:3], s[36:37], s[28:29]
	s_or_b64 s[30:31], s[30:31], s[2:3]
	s_and_b64 s[2:3], s[30:31], exec
	s_or_b64 s[2:3], s[34:35], s[2:3]
	s_and_saveexec_b64 s[34:35], s[38:39]
	s_cbranch_execz .LBB1010_29
; %bb.31:                               ;   in Loop: Header=BB1010_30 Depth=2
	s_add_u32 s26, s26, -1
	s_addc_u32 s27, s27, -1
	s_cmp_eq_u64 s[26:27], 0
	s_cselect_b64 s[28:29], -1, 0
	s_andn2_b64 s[24:25], s[24:25], exec
	s_and_b64 s[28:29], s[28:29], exec
	v_lshl_add_u64 v[20:21], v[20:21], 0, 1
	v_lshl_add_u64 v[22:23], v[22:23], 0, 1
	s_andn2_b64 s[2:3], s[2:3], exec
	s_or_b64 s[24:25], s[24:25], s[28:29]
                                        ; implicit-def: $sgpr28_sgpr29
	s_branch .LBB1010_29
.LBB1010_32:
	s_or_b64 exec, exec, s[18:19]
.LBB1010_33:
	s_or_b64 exec, exec, s[8:9]
	v_sub_u32_e32 v1, v1, v24
	v_add_u32_e32 v22, s5, v1
	v_cmp_ge_u32_e32 vcc, s5, v24
	v_cmp_ge_u32_e64 s[0:1], s33, v22
	s_or_b64 s[0:1], vcc, s[0:1]
	s_and_saveexec_b64 s[8:9], s[0:1]
	s_cbranch_execz .LBB1010_101
; %bb.34:
	v_cmp_le_u32_e32 vcc, s5, v24
	v_cmp_gt_u32_e64 s[0:1], s5, v24
                                        ; implicit-def: $vgpr2_vgpr3
	s_and_saveexec_b64 s[2:3], s[0:1]
; %bb.35:
	v_lshlrev_b32_e32 v1, 3, v24
	ds_read_b64 v[2:3], v1
; %bb.36:
	s_or_b64 exec, exec, s[2:3]
	v_cmp_le_u32_e64 s[0:1], s33, v22
	v_cmp_gt_u32_e64 s[2:3], s33, v22
                                        ; implicit-def: $vgpr16_vgpr17
	s_and_saveexec_b64 s[18:19], s[2:3]
; %bb.37:
	v_lshlrev_b32_e32 v1, 3, v22
	ds_read_b64 v[16:17], v1
; %bb.38:
	s_or_b64 exec, exec, s[18:19]
	v_cmp_lt_i64_e64 s[18:19], s[12:13], 1
	s_or_b64 s[2:3], vcc, s[0:1]
	s_nor_b64 s[22:23], s[2:3], s[18:19]
	s_xor_b64 s[2:3], vcc, -1
	s_or_b64 s[2:3], s[0:1], s[2:3]
	s_and_saveexec_b64 s[20:21], s[22:23]
	s_cbranch_execz .LBB1010_44
; %bb.39:
	v_mov_b64_e32 v[6:7], s[14:15]
	s_waitcnt lgkmcnt(0)
	v_mad_u64_u32 v[4:5], s[0:1], v16, s12, v[6:7]
	v_mul_lo_u32 v1, v16, s13
	v_mul_lo_u32 v8, v17, s12
	v_add3_u32 v5, v8, v5, v1
	v_mad_u64_u32 v[6:7], s[0:1], v2, s12, v[6:7]
	v_mul_lo_u32 v1, v2, s13
	v_mul_lo_u32 v8, v3, s12
	v_add3_u32 v7, v8, v7, v1
	s_mov_b64 s[22:23], 0
	s_mov_b64 s[28:29], s[12:13]
                                        ; implicit-def: $sgpr24_sgpr25
                                        ; implicit-def: $sgpr26_sgpr27
                                        ; implicit-def: $sgpr0_sgpr1
                                        ; implicit-def: $sgpr30_sgpr31
	s_branch .LBB1010_41
.LBB1010_40:                            ;   in Loop: Header=BB1010_41 Depth=1
	s_or_b64 exec, exec, s[36:37]
	s_and_b64 s[36:37], exec, s[26:27]
	s_or_b64 s[22:23], s[36:37], s[22:23]
	s_andn2_b64 s[30:31], s[30:31], exec
	s_and_b64 s[34:35], s[34:35], exec
	s_or_b64 s[30:31], s[30:31], s[34:35]
	s_andn2_b64 s[24:25], s[24:25], exec
	s_and_b64 s[34:35], s[0:1], exec
	s_or_b64 s[24:25], s[24:25], s[34:35]
	s_andn2_b64 exec, exec, s[22:23]
	s_cbranch_execz .LBB1010_43
.LBB1010_41:                            ; =>This Inner Loop Header: Depth=1
	global_load_ubyte v1, v[4:5], off
	global_load_ubyte v8, v[6:7], off
	s_andn2_b64 s[36:37], s[0:1], exec
	s_or_b64 s[26:27], s[26:27], exec
	s_waitcnt vmcnt(1)
	v_cmp_eq_u16_e32 vcc, 0, v1
	s_waitcnt vmcnt(0)
	v_cmp_ne_u16_e64 s[0:1], 0, v8
	s_or_b64 s[38:39], vcc, s[0:1]
	s_and_b64 s[34:35], vcc, s[0:1]
	s_xor_b64 s[40:41], vcc, s[0:1]
	s_and_b64 s[0:1], s[38:39], s[30:31]
	s_or_b64 s[34:35], s[34:35], s[0:1]
	s_and_b64 s[0:1], s[34:35], exec
	s_or_b64 s[0:1], s[36:37], s[0:1]
	s_and_saveexec_b64 s[36:37], s[40:41]
	s_cbranch_execz .LBB1010_40
; %bb.42:                               ;   in Loop: Header=BB1010_41 Depth=1
	s_add_u32 s28, s28, -1
	s_addc_u32 s29, s29, -1
	s_cmp_eq_u64 s[28:29], 0
	s_cselect_b64 s[30:31], -1, 0
	s_andn2_b64 s[26:27], s[26:27], exec
	s_and_b64 s[30:31], s[30:31], exec
	v_lshl_add_u64 v[4:5], v[4:5], 0, 1
	v_lshl_add_u64 v[6:7], v[6:7], 0, 1
	s_andn2_b64 s[0:1], s[0:1], exec
	s_or_b64 s[26:27], s[26:27], s[30:31]
                                        ; implicit-def: $sgpr30_sgpr31
	s_branch .LBB1010_40
.LBB1010_43:
	s_or_b64 exec, exec, s[22:23]
	s_xor_b64 s[0:1], s[24:25], -1
	s_andn2_b64 s[2:3], s[2:3], exec
	s_and_b64 s[0:1], s[0:1], exec
	s_or_b64 s[2:3], s[2:3], s[0:1]
.LBB1010_44:
	s_or_b64 exec, exec, s[20:21]
	v_mov_b32_e32 v4, s33
	v_mov_b32_e32 v5, s5
	v_cndmask_b32_e64 v1, v22, v24, s[2:3]
	v_cndmask_b32_e64 v4, v4, v5, s[2:3]
	v_add_u32_e32 v6, 1, v1
	v_add_u32_e32 v1, -1, v4
	v_min_u32_e32 v1, v6, v1
	v_lshlrev_b32_e32 v1, 3, v1
	ds_read_b64 v[4:5], v1
	v_cndmask_b32_e64 v8, v6, v22, s[2:3]
	v_cndmask_b32_e64 v9, v24, v6, s[2:3]
	v_cmp_gt_u32_e32 vcc, s33, v8
	s_mov_b64 s[22:23], -1
	s_waitcnt lgkmcnt(0)
	v_cndmask_b32_e64 v1, v5, v17, s[2:3]
	v_cndmask_b32_e64 v19, v4, v16, s[2:3]
	;; [unrolled: 1-line block ×4, first 2 shown]
	s_mov_b64 s[20:21], -1
	s_and_saveexec_b64 s[24:25], vcc
	s_cbranch_execz .LBB1010_52
; %bb.45:
	v_cmp_gt_u32_e64 s[20:21], s5, v9
	s_xor_b64 s[0:1], s[18:19], -1
	s_and_b64 s[0:1], s[20:21], s[0:1]
	s_and_saveexec_b64 s[26:27], s[0:1]
	s_cbranch_execz .LBB1010_51
; %bb.46:
	v_mov_b64_e32 v[6:7], s[14:15]
	v_mad_u64_u32 v[4:5], s[0:1], v19, s12, v[6:7]
	v_mul_lo_u32 v10, v19, s13
	v_mul_lo_u32 v11, v1, s12
	v_add3_u32 v5, v11, v5, v10
	v_mad_u64_u32 v[6:7], s[0:1], v21, s12, v[6:7]
	v_mul_lo_u32 v10, v21, s13
	v_mul_lo_u32 v11, v20, s12
	v_add3_u32 v7, v11, v7, v10
	s_mov_b64 s[28:29], 0
	s_mov_b64 s[36:37], s[12:13]
                                        ; implicit-def: $sgpr30_sgpr31
                                        ; implicit-def: $sgpr34_sgpr35
                                        ; implicit-def: $sgpr0_sgpr1
                                        ; implicit-def: $sgpr38_sgpr39
	s_branch .LBB1010_48
.LBB1010_47:                            ;   in Loop: Header=BB1010_48 Depth=1
	s_or_b64 exec, exec, s[42:43]
	s_and_b64 s[42:43], exec, s[34:35]
	s_or_b64 s[28:29], s[42:43], s[28:29]
	s_andn2_b64 s[38:39], s[38:39], exec
	s_and_b64 s[40:41], s[40:41], exec
	s_or_b64 s[38:39], s[38:39], s[40:41]
	s_andn2_b64 s[30:31], s[30:31], exec
	s_and_b64 s[40:41], s[0:1], exec
	s_or_b64 s[30:31], s[30:31], s[40:41]
	s_andn2_b64 exec, exec, s[28:29]
	s_cbranch_execz .LBB1010_50
.LBB1010_48:                            ; =>This Inner Loop Header: Depth=1
	global_load_ubyte v10, v[4:5], off
	global_load_ubyte v11, v[6:7], off
	s_andn2_b64 s[42:43], s[0:1], exec
	s_or_b64 s[34:35], s[34:35], exec
	s_waitcnt vmcnt(1)
	v_cmp_eq_u16_e32 vcc, 0, v10
	s_waitcnt vmcnt(0)
	v_cmp_ne_u16_e64 s[0:1], 0, v11
	s_or_b64 s[44:45], vcc, s[0:1]
	s_and_b64 s[40:41], vcc, s[0:1]
	s_xor_b64 s[46:47], vcc, s[0:1]
	s_and_b64 s[0:1], s[44:45], s[38:39]
	s_or_b64 s[40:41], s[40:41], s[0:1]
	s_and_b64 s[0:1], s[40:41], exec
	s_or_b64 s[0:1], s[42:43], s[0:1]
	s_and_saveexec_b64 s[42:43], s[46:47]
	s_cbranch_execz .LBB1010_47
; %bb.49:                               ;   in Loop: Header=BB1010_48 Depth=1
	s_add_u32 s36, s36, -1
	s_addc_u32 s37, s37, -1
	s_cmp_eq_u64 s[36:37], 0
	s_cselect_b64 s[38:39], -1, 0
	s_andn2_b64 s[34:35], s[34:35], exec
	s_and_b64 s[38:39], s[38:39], exec
	v_lshl_add_u64 v[4:5], v[4:5], 0, 1
	v_lshl_add_u64 v[6:7], v[6:7], 0, 1
	s_andn2_b64 s[0:1], s[0:1], exec
	s_or_b64 s[34:35], s[34:35], s[38:39]
                                        ; implicit-def: $sgpr38_sgpr39
	s_branch .LBB1010_47
.LBB1010_50:
	s_or_b64 exec, exec, s[28:29]
	s_xor_b64 s[0:1], s[30:31], -1
	s_andn2_b64 s[20:21], s[20:21], exec
	s_and_b64 s[0:1], s[0:1], exec
	s_or_b64 s[20:21], s[20:21], s[0:1]
.LBB1010_51:
	s_or_b64 exec, exec, s[26:27]
	s_orn2_b64 s[20:21], s[20:21], exec
.LBB1010_52:
	s_or_b64 exec, exec, s[24:25]
	v_mov_b32_e32 v5, s33
	v_mov_b32_e32 v6, s5
	v_cndmask_b32_e64 v4, v8, v9, s[20:21]
	v_cndmask_b32_e64 v5, v5, v6, s[20:21]
	v_add_u32_e32 v6, 1, v4
	v_add_u32_e32 v4, -1, v5
	v_min_u32_e32 v4, v6, v4
	v_lshlrev_b32_e32 v4, 3, v4
	ds_read_b64 v[4:5], v4
	v_cndmask_b32_e64 v10, v6, v8, s[20:21]
	v_cndmask_b32_e64 v11, v9, v6, s[20:21]
	v_cmp_gt_u32_e32 vcc, s33, v10
	s_waitcnt lgkmcnt(0)
	v_cndmask_b32_e64 v22, v5, v1, s[20:21]
	v_cndmask_b32_e64 v23, v4, v19, s[20:21]
	;; [unrolled: 1-line block ×4, first 2 shown]
	s_and_saveexec_b64 s[24:25], vcc
	s_cbranch_execz .LBB1010_60
; %bb.53:
	v_cmp_gt_u32_e64 s[22:23], s5, v11
	s_xor_b64 s[0:1], s[18:19], -1
	s_and_b64 s[0:1], s[22:23], s[0:1]
	s_and_saveexec_b64 s[26:27], s[0:1]
	s_cbranch_execz .LBB1010_59
; %bb.54:
	v_mov_b64_e32 v[6:7], s[14:15]
	v_mad_u64_u32 v[4:5], s[0:1], v23, s12, v[6:7]
	v_mul_lo_u32 v8, v23, s13
	v_mul_lo_u32 v9, v22, s12
	v_add3_u32 v5, v9, v5, v8
	v_mad_u64_u32 v[6:7], s[0:1], v25, s12, v[6:7]
	v_mul_lo_u32 v8, v25, s13
	v_mul_lo_u32 v9, v24, s12
	v_add3_u32 v7, v9, v7, v8
	s_mov_b64 s[28:29], 0
	s_mov_b64 s[36:37], s[12:13]
                                        ; implicit-def: $sgpr30_sgpr31
                                        ; implicit-def: $sgpr34_sgpr35
                                        ; implicit-def: $sgpr0_sgpr1
                                        ; implicit-def: $sgpr38_sgpr39
	s_branch .LBB1010_56
.LBB1010_55:                            ;   in Loop: Header=BB1010_56 Depth=1
	s_or_b64 exec, exec, s[42:43]
	s_and_b64 s[42:43], exec, s[34:35]
	s_or_b64 s[28:29], s[42:43], s[28:29]
	s_andn2_b64 s[38:39], s[38:39], exec
	s_and_b64 s[40:41], s[40:41], exec
	s_or_b64 s[38:39], s[38:39], s[40:41]
	s_andn2_b64 s[30:31], s[30:31], exec
	s_and_b64 s[40:41], s[0:1], exec
	s_or_b64 s[30:31], s[30:31], s[40:41]
	s_andn2_b64 exec, exec, s[28:29]
	s_cbranch_execz .LBB1010_58
.LBB1010_56:                            ; =>This Inner Loop Header: Depth=1
	global_load_ubyte v8, v[4:5], off
	global_load_ubyte v9, v[6:7], off
	s_andn2_b64 s[42:43], s[0:1], exec
	s_or_b64 s[34:35], s[34:35], exec
	s_waitcnt vmcnt(1)
	v_cmp_eq_u16_e32 vcc, 0, v8
	s_waitcnt vmcnt(0)
	v_cmp_ne_u16_e64 s[0:1], 0, v9
	s_or_b64 s[44:45], vcc, s[0:1]
	s_and_b64 s[40:41], vcc, s[0:1]
	s_xor_b64 s[46:47], vcc, s[0:1]
	s_and_b64 s[0:1], s[44:45], s[38:39]
	s_or_b64 s[40:41], s[40:41], s[0:1]
	s_and_b64 s[0:1], s[40:41], exec
	s_or_b64 s[0:1], s[42:43], s[0:1]
	s_and_saveexec_b64 s[42:43], s[46:47]
	s_cbranch_execz .LBB1010_55
; %bb.57:                               ;   in Loop: Header=BB1010_56 Depth=1
	s_add_u32 s36, s36, -1
	s_addc_u32 s37, s37, -1
	s_cmp_eq_u64 s[36:37], 0
	s_cselect_b64 s[38:39], -1, 0
	s_andn2_b64 s[34:35], s[34:35], exec
	s_and_b64 s[38:39], s[38:39], exec
	v_lshl_add_u64 v[4:5], v[4:5], 0, 1
	v_lshl_add_u64 v[6:7], v[6:7], 0, 1
	s_andn2_b64 s[0:1], s[0:1], exec
	s_or_b64 s[34:35], s[34:35], s[38:39]
                                        ; implicit-def: $sgpr38_sgpr39
	s_branch .LBB1010_55
.LBB1010_58:
	s_or_b64 exec, exec, s[28:29]
	s_xor_b64 s[0:1], s[30:31], -1
	s_andn2_b64 s[22:23], s[22:23], exec
	s_and_b64 s[0:1], s[0:1], exec
	s_or_b64 s[22:23], s[22:23], s[0:1]
.LBB1010_59:
	s_or_b64 exec, exec, s[26:27]
	s_orn2_b64 s[22:23], s[22:23], exec
.LBB1010_60:
	s_or_b64 exec, exec, s[24:25]
	v_mov_b32_e32 v5, s33
	v_mov_b32_e32 v6, s5
	v_cndmask_b32_e64 v4, v10, v11, s[22:23]
	v_cndmask_b32_e64 v5, v5, v6, s[22:23]
	v_add_u32_e32 v6, 1, v4
	v_add_u32_e32 v4, -1, v5
	v_min_u32_e32 v4, v6, v4
	v_lshlrev_b32_e32 v4, 3, v4
	ds_read_b64 v[4:5], v4
	v_cndmask_b32_e64 v12, v6, v10, s[22:23]
	v_cndmask_b32_e64 v13, v11, v6, s[22:23]
	v_cmp_gt_u32_e32 vcc, s33, v12
	s_mov_b64 s[26:27], -1
	s_waitcnt lgkmcnt(0)
	v_cndmask_b32_e64 v8, v5, v22, s[22:23]
	v_cndmask_b32_e64 v26, v4, v23, s[22:23]
	;; [unrolled: 1-line block ×4, first 2 shown]
	s_mov_b64 s[24:25], -1
	s_and_saveexec_b64 s[28:29], vcc
	s_cbranch_execz .LBB1010_68
; %bb.61:
	v_cmp_gt_u32_e64 s[24:25], s5, v13
	s_xor_b64 s[0:1], s[18:19], -1
	s_and_b64 s[0:1], s[24:25], s[0:1]
	s_and_saveexec_b64 s[30:31], s[0:1]
	s_cbranch_execz .LBB1010_67
; %bb.62:
	v_mov_b64_e32 v[6:7], s[14:15]
	v_mad_u64_u32 v[4:5], s[0:1], v26, s12, v[6:7]
	v_mul_lo_u32 v10, v26, s13
	v_mul_lo_u32 v11, v8, s12
	v_add3_u32 v5, v11, v5, v10
	v_mad_u64_u32 v[6:7], s[0:1], v27, s12, v[6:7]
	v_mul_lo_u32 v10, v27, s13
	v_mul_lo_u32 v11, v9, s12
	v_add3_u32 v7, v11, v7, v10
	s_mov_b64 s[34:35], 0
	s_mov_b64 s[40:41], s[12:13]
                                        ; implicit-def: $sgpr36_sgpr37
                                        ; implicit-def: $sgpr38_sgpr39
                                        ; implicit-def: $sgpr0_sgpr1
                                        ; implicit-def: $sgpr42_sgpr43
	s_branch .LBB1010_64
.LBB1010_63:                            ;   in Loop: Header=BB1010_64 Depth=1
	s_or_b64 exec, exec, s[46:47]
	s_and_b64 s[46:47], exec, s[38:39]
	s_or_b64 s[34:35], s[46:47], s[34:35]
	s_andn2_b64 s[42:43], s[42:43], exec
	s_and_b64 s[44:45], s[44:45], exec
	s_or_b64 s[42:43], s[42:43], s[44:45]
	s_andn2_b64 s[36:37], s[36:37], exec
	s_and_b64 s[44:45], s[0:1], exec
	s_or_b64 s[36:37], s[36:37], s[44:45]
	s_andn2_b64 exec, exec, s[34:35]
	s_cbranch_execz .LBB1010_66
.LBB1010_64:                            ; =>This Inner Loop Header: Depth=1
	global_load_ubyte v10, v[4:5], off
	global_load_ubyte v11, v[6:7], off
	s_andn2_b64 s[46:47], s[0:1], exec
	s_or_b64 s[38:39], s[38:39], exec
	s_waitcnt vmcnt(1)
	v_cmp_eq_u16_e32 vcc, 0, v10
	s_waitcnt vmcnt(0)
	v_cmp_ne_u16_e64 s[0:1], 0, v11
	s_or_b64 s[48:49], vcc, s[0:1]
	s_and_b64 s[44:45], vcc, s[0:1]
	s_xor_b64 s[50:51], vcc, s[0:1]
	s_and_b64 s[0:1], s[48:49], s[42:43]
	s_or_b64 s[44:45], s[44:45], s[0:1]
	s_and_b64 s[0:1], s[44:45], exec
	s_or_b64 s[0:1], s[46:47], s[0:1]
	s_and_saveexec_b64 s[46:47], s[50:51]
	s_cbranch_execz .LBB1010_63
; %bb.65:                               ;   in Loop: Header=BB1010_64 Depth=1
	s_add_u32 s40, s40, -1
	s_addc_u32 s41, s41, -1
	s_cmp_eq_u64 s[40:41], 0
	s_cselect_b64 s[42:43], -1, 0
	s_andn2_b64 s[38:39], s[38:39], exec
	s_and_b64 s[42:43], s[42:43], exec
	v_lshl_add_u64 v[4:5], v[4:5], 0, 1
	v_lshl_add_u64 v[6:7], v[6:7], 0, 1
	s_andn2_b64 s[0:1], s[0:1], exec
	s_or_b64 s[38:39], s[38:39], s[42:43]
                                        ; implicit-def: $sgpr42_sgpr43
	s_branch .LBB1010_63
.LBB1010_66:
	s_or_b64 exec, exec, s[34:35]
	s_xor_b64 s[0:1], s[36:37], -1
	s_andn2_b64 s[24:25], s[24:25], exec
	s_and_b64 s[0:1], s[0:1], exec
	s_or_b64 s[24:25], s[24:25], s[0:1]
.LBB1010_67:
	s_or_b64 exec, exec, s[30:31]
	s_orn2_b64 s[24:25], s[24:25], exec
.LBB1010_68:
	s_or_b64 exec, exec, s[28:29]
	v_mov_b32_e32 v5, s33
	v_mov_b32_e32 v6, s5
	v_cndmask_b32_e64 v4, v12, v13, s[24:25]
	v_cndmask_b32_e64 v5, v5, v6, s[24:25]
	v_add_u32_e32 v6, 1, v4
	v_add_u32_e32 v4, -1, v5
	v_min_u32_e32 v4, v6, v4
	v_lshlrev_b32_e32 v4, 3, v4
	ds_read_b64 v[4:5], v4
	v_cndmask_b32_e64 v14, v6, v12, s[24:25]
	v_cndmask_b32_e64 v15, v13, v6, s[24:25]
	v_cmp_gt_u32_e32 vcc, s33, v14
	s_waitcnt lgkmcnt(0)
	v_cndmask_b32_e64 v10, v5, v8, s[24:25]
	v_cndmask_b32_e64 v28, v4, v26, s[24:25]
	;; [unrolled: 1-line block ×4, first 2 shown]
	s_and_saveexec_b64 s[28:29], vcc
	s_cbranch_execz .LBB1010_76
; %bb.69:
	v_cmp_gt_u32_e64 s[26:27], s5, v15
	s_xor_b64 s[0:1], s[18:19], -1
	s_and_b64 s[0:1], s[26:27], s[0:1]
	s_and_saveexec_b64 s[30:31], s[0:1]
	s_cbranch_execz .LBB1010_75
; %bb.70:
	v_mov_b64_e32 v[6:7], s[14:15]
	v_mad_u64_u32 v[4:5], s[0:1], v28, s12, v[6:7]
	v_mul_lo_u32 v12, v28, s13
	v_mul_lo_u32 v13, v10, s12
	v_add3_u32 v5, v13, v5, v12
	v_mad_u64_u32 v[6:7], s[0:1], v29, s12, v[6:7]
	v_mul_lo_u32 v12, v29, s13
	v_mul_lo_u32 v13, v11, s12
	v_add3_u32 v7, v13, v7, v12
	s_mov_b64 s[34:35], 0
	s_mov_b64 s[40:41], s[12:13]
                                        ; implicit-def: $sgpr36_sgpr37
                                        ; implicit-def: $sgpr38_sgpr39
                                        ; implicit-def: $sgpr0_sgpr1
                                        ; implicit-def: $sgpr42_sgpr43
	s_branch .LBB1010_72
.LBB1010_71:                            ;   in Loop: Header=BB1010_72 Depth=1
	s_or_b64 exec, exec, s[46:47]
	s_and_b64 s[46:47], exec, s[38:39]
	s_or_b64 s[34:35], s[46:47], s[34:35]
	s_andn2_b64 s[42:43], s[42:43], exec
	s_and_b64 s[44:45], s[44:45], exec
	s_or_b64 s[42:43], s[42:43], s[44:45]
	s_andn2_b64 s[36:37], s[36:37], exec
	s_and_b64 s[44:45], s[0:1], exec
	s_or_b64 s[36:37], s[36:37], s[44:45]
	s_andn2_b64 exec, exec, s[34:35]
	s_cbranch_execz .LBB1010_74
.LBB1010_72:                            ; =>This Inner Loop Header: Depth=1
	global_load_ubyte v12, v[4:5], off
	global_load_ubyte v13, v[6:7], off
	s_andn2_b64 s[46:47], s[0:1], exec
	s_or_b64 s[38:39], s[38:39], exec
	s_waitcnt vmcnt(1)
	v_cmp_eq_u16_e32 vcc, 0, v12
	s_waitcnt vmcnt(0)
	v_cmp_ne_u16_e64 s[0:1], 0, v13
	s_or_b64 s[48:49], vcc, s[0:1]
	s_and_b64 s[44:45], vcc, s[0:1]
	s_xor_b64 s[50:51], vcc, s[0:1]
	s_and_b64 s[0:1], s[48:49], s[42:43]
	s_or_b64 s[44:45], s[44:45], s[0:1]
	s_and_b64 s[0:1], s[44:45], exec
	s_or_b64 s[0:1], s[46:47], s[0:1]
	s_and_saveexec_b64 s[46:47], s[50:51]
	s_cbranch_execz .LBB1010_71
; %bb.73:                               ;   in Loop: Header=BB1010_72 Depth=1
	s_add_u32 s40, s40, -1
	s_addc_u32 s41, s41, -1
	s_cmp_eq_u64 s[40:41], 0
	s_cselect_b64 s[42:43], -1, 0
	s_andn2_b64 s[38:39], s[38:39], exec
	s_and_b64 s[42:43], s[42:43], exec
	v_lshl_add_u64 v[4:5], v[4:5], 0, 1
	v_lshl_add_u64 v[6:7], v[6:7], 0, 1
	s_andn2_b64 s[0:1], s[0:1], exec
	s_or_b64 s[38:39], s[38:39], s[42:43]
                                        ; implicit-def: $sgpr42_sgpr43
	s_branch .LBB1010_71
.LBB1010_74:
	s_or_b64 exec, exec, s[34:35]
	s_xor_b64 s[0:1], s[36:37], -1
	s_andn2_b64 s[26:27], s[26:27], exec
	s_and_b64 s[0:1], s[0:1], exec
	s_or_b64 s[26:27], s[26:27], s[0:1]
.LBB1010_75:
	s_or_b64 exec, exec, s[30:31]
	s_orn2_b64 s[26:27], s[26:27], exec
.LBB1010_76:
	s_or_b64 exec, exec, s[28:29]
	v_mov_b32_e32 v5, s33
	v_mov_b32_e32 v6, s5
	v_cndmask_b32_e64 v4, v14, v15, s[26:27]
	v_cndmask_b32_e64 v5, v5, v6, s[26:27]
	v_add_u32_e32 v6, 1, v4
	v_add_u32_e32 v4, -1, v5
	v_min_u32_e32 v4, v6, v4
	v_lshlrev_b32_e32 v4, 3, v4
	ds_read_b64 v[4:5], v4
	v_cndmask_b32_e64 v34, v6, v14, s[26:27]
	v_cndmask_b32_e64 v35, v15, v6, s[26:27]
	v_cmp_gt_u32_e32 vcc, s33, v34
	s_mov_b64 s[30:31], -1
	s_waitcnt lgkmcnt(0)
	v_cndmask_b32_e64 v12, v5, v10, s[26:27]
	v_cndmask_b32_e64 v30, v4, v28, s[26:27]
	;; [unrolled: 1-line block ×4, first 2 shown]
	s_mov_b64 s[28:29], -1
	s_and_saveexec_b64 s[34:35], vcc
	s_cbranch_execz .LBB1010_84
; %bb.77:
	v_cmp_gt_u32_e64 s[28:29], s5, v35
	s_xor_b64 s[0:1], s[18:19], -1
	s_and_b64 s[0:1], s[28:29], s[0:1]
	s_and_saveexec_b64 s[36:37], s[0:1]
	s_cbranch_execz .LBB1010_83
; %bb.78:
	v_mov_b64_e32 v[6:7], s[14:15]
	v_mad_u64_u32 v[4:5], s[0:1], v30, s12, v[6:7]
	v_mul_lo_u32 v14, v30, s13
	v_mul_lo_u32 v15, v12, s12
	v_add3_u32 v5, v15, v5, v14
	v_mad_u64_u32 v[6:7], s[0:1], v31, s12, v[6:7]
	v_mul_lo_u32 v14, v31, s13
	v_mul_lo_u32 v15, v13, s12
	v_add3_u32 v7, v15, v7, v14
	s_mov_b64 s[38:39], 0
	s_mov_b64 s[44:45], s[12:13]
                                        ; implicit-def: $sgpr40_sgpr41
                                        ; implicit-def: $sgpr42_sgpr43
                                        ; implicit-def: $sgpr0_sgpr1
                                        ; implicit-def: $sgpr46_sgpr47
	s_branch .LBB1010_80
.LBB1010_79:                            ;   in Loop: Header=BB1010_80 Depth=1
	s_or_b64 exec, exec, s[50:51]
	s_and_b64 s[50:51], exec, s[42:43]
	s_or_b64 s[38:39], s[50:51], s[38:39]
	s_andn2_b64 s[46:47], s[46:47], exec
	s_and_b64 s[48:49], s[48:49], exec
	s_or_b64 s[46:47], s[46:47], s[48:49]
	s_andn2_b64 s[40:41], s[40:41], exec
	s_and_b64 s[48:49], s[0:1], exec
	s_or_b64 s[40:41], s[40:41], s[48:49]
	s_andn2_b64 exec, exec, s[38:39]
	s_cbranch_execz .LBB1010_82
.LBB1010_80:                            ; =>This Inner Loop Header: Depth=1
	global_load_ubyte v14, v[4:5], off
	global_load_ubyte v15, v[6:7], off
	s_andn2_b64 s[50:51], s[0:1], exec
	s_or_b64 s[42:43], s[42:43], exec
	s_waitcnt vmcnt(1)
	v_cmp_eq_u16_e32 vcc, 0, v14
	s_waitcnt vmcnt(0)
	v_cmp_ne_u16_e64 s[0:1], 0, v15
	s_or_b64 s[52:53], vcc, s[0:1]
	s_and_b64 s[48:49], vcc, s[0:1]
	s_xor_b64 s[54:55], vcc, s[0:1]
	s_and_b64 s[0:1], s[52:53], s[46:47]
	s_or_b64 s[48:49], s[48:49], s[0:1]
	s_and_b64 s[0:1], s[48:49], exec
	s_or_b64 s[0:1], s[50:51], s[0:1]
	s_and_saveexec_b64 s[50:51], s[54:55]
	s_cbranch_execz .LBB1010_79
; %bb.81:                               ;   in Loop: Header=BB1010_80 Depth=1
	s_add_u32 s44, s44, -1
	s_addc_u32 s45, s45, -1
	s_cmp_eq_u64 s[44:45], 0
	s_cselect_b64 s[46:47], -1, 0
	s_andn2_b64 s[42:43], s[42:43], exec
	s_and_b64 s[46:47], s[46:47], exec
	v_lshl_add_u64 v[4:5], v[4:5], 0, 1
	v_lshl_add_u64 v[6:7], v[6:7], 0, 1
	s_andn2_b64 s[0:1], s[0:1], exec
	s_or_b64 s[42:43], s[42:43], s[46:47]
                                        ; implicit-def: $sgpr46_sgpr47
	s_branch .LBB1010_79
.LBB1010_82:
	s_or_b64 exec, exec, s[38:39]
	s_xor_b64 s[0:1], s[40:41], -1
	s_andn2_b64 s[28:29], s[28:29], exec
	s_and_b64 s[0:1], s[0:1], exec
	s_or_b64 s[28:29], s[28:29], s[0:1]
.LBB1010_83:
	s_or_b64 exec, exec, s[36:37]
	s_orn2_b64 s[28:29], s[28:29], exec
.LBB1010_84:
	s_or_b64 exec, exec, s[34:35]
	v_mov_b32_e32 v5, s33
	v_mov_b32_e32 v6, s5
	v_cndmask_b32_e64 v4, v34, v35, s[28:29]
	v_cndmask_b32_e64 v5, v5, v6, s[28:29]
	v_add_u32_e32 v6, 1, v4
	v_add_u32_e32 v4, -1, v5
	v_min_u32_e32 v4, v6, v4
	v_lshlrev_b32_e32 v4, 3, v4
	ds_read_b64 v[4:5], v4
	v_cndmask_b32_e64 v39, v6, v34, s[28:29]
	v_cndmask_b32_e64 v38, v35, v6, s[28:29]
	v_cmp_gt_u32_e32 vcc, s33, v39
	s_waitcnt lgkmcnt(0)
	v_cndmask_b32_e64 v14, v5, v12, s[28:29]
	v_cndmask_b32_e64 v32, v4, v30, s[28:29]
	;; [unrolled: 1-line block ×4, first 2 shown]
	s_and_saveexec_b64 s[34:35], vcc
	s_cbranch_execz .LBB1010_92
; %bb.85:
	v_cmp_gt_u32_e64 s[30:31], s5, v38
	s_xor_b64 s[0:1], s[18:19], -1
	s_and_b64 s[0:1], s[30:31], s[0:1]
	s_and_saveexec_b64 s[36:37], s[0:1]
	s_cbranch_execz .LBB1010_91
; %bb.86:
	v_mov_b64_e32 v[6:7], s[14:15]
	v_mad_u64_u32 v[4:5], s[0:1], v32, s12, v[6:7]
	v_mul_lo_u32 v34, v32, s13
	v_mul_lo_u32 v35, v14, s12
	v_add3_u32 v5, v35, v5, v34
	v_mad_u64_u32 v[6:7], s[0:1], v33, s12, v[6:7]
	v_mul_lo_u32 v34, v33, s13
	v_mul_lo_u32 v35, v15, s12
	v_add3_u32 v7, v35, v7, v34
	s_mov_b64 s[38:39], 0
	s_mov_b64 s[44:45], s[12:13]
                                        ; implicit-def: $sgpr40_sgpr41
                                        ; implicit-def: $sgpr42_sgpr43
                                        ; implicit-def: $sgpr0_sgpr1
                                        ; implicit-def: $sgpr46_sgpr47
	s_branch .LBB1010_88
.LBB1010_87:                            ;   in Loop: Header=BB1010_88 Depth=1
	s_or_b64 exec, exec, s[50:51]
	s_and_b64 s[50:51], exec, s[42:43]
	s_or_b64 s[38:39], s[50:51], s[38:39]
	s_andn2_b64 s[46:47], s[46:47], exec
	s_and_b64 s[48:49], s[48:49], exec
	s_or_b64 s[46:47], s[46:47], s[48:49]
	s_andn2_b64 s[40:41], s[40:41], exec
	s_and_b64 s[48:49], s[0:1], exec
	s_or_b64 s[40:41], s[40:41], s[48:49]
	s_andn2_b64 exec, exec, s[38:39]
	s_cbranch_execz .LBB1010_90
.LBB1010_88:                            ; =>This Inner Loop Header: Depth=1
	global_load_ubyte v34, v[4:5], off
	global_load_ubyte v35, v[6:7], off
	s_andn2_b64 s[50:51], s[0:1], exec
	s_or_b64 s[42:43], s[42:43], exec
	s_waitcnt vmcnt(1)
	v_cmp_eq_u16_e32 vcc, 0, v34
	s_waitcnt vmcnt(0)
	v_cmp_ne_u16_e64 s[0:1], 0, v35
	s_or_b64 s[52:53], vcc, s[0:1]
	s_and_b64 s[48:49], vcc, s[0:1]
	s_xor_b64 s[54:55], vcc, s[0:1]
	s_and_b64 s[0:1], s[52:53], s[46:47]
	s_or_b64 s[48:49], s[48:49], s[0:1]
	s_and_b64 s[0:1], s[48:49], exec
	s_or_b64 s[0:1], s[50:51], s[0:1]
	s_and_saveexec_b64 s[50:51], s[54:55]
	s_cbranch_execz .LBB1010_87
; %bb.89:                               ;   in Loop: Header=BB1010_88 Depth=1
	s_add_u32 s44, s44, -1
	s_addc_u32 s45, s45, -1
	s_cmp_eq_u64 s[44:45], 0
	s_cselect_b64 s[46:47], -1, 0
	s_andn2_b64 s[42:43], s[42:43], exec
	s_and_b64 s[46:47], s[46:47], exec
	v_lshl_add_u64 v[4:5], v[4:5], 0, 1
	v_lshl_add_u64 v[6:7], v[6:7], 0, 1
	s_andn2_b64 s[0:1], s[0:1], exec
	s_or_b64 s[42:43], s[42:43], s[46:47]
                                        ; implicit-def: $sgpr46_sgpr47
	s_branch .LBB1010_87
.LBB1010_90:
	s_or_b64 exec, exec, s[38:39]
	s_xor_b64 s[0:1], s[40:41], -1
	s_andn2_b64 s[30:31], s[30:31], exec
	s_and_b64 s[0:1], s[0:1], exec
	s_or_b64 s[30:31], s[30:31], s[0:1]
.LBB1010_91:
	s_or_b64 exec, exec, s[36:37]
	s_orn2_b64 s[30:31], s[30:31], exec
.LBB1010_92:
	s_or_b64 exec, exec, s[34:35]
	v_mov_b32_e32 v5, s33
	v_mov_b32_e32 v6, s5
	v_cndmask_b32_e64 v4, v39, v38, s[30:31]
	v_cndmask_b32_e64 v5, v5, v6, s[30:31]
	v_add_u32_e32 v4, 1, v4
	v_add_u32_e32 v5, -1, v5
	v_min_u32_e32 v5, v4, v5
	v_lshlrev_b32_e32 v5, 3, v5
	ds_read_b64 v[6:7], v5
	v_cndmask_b32_e64 v5, v4, v39, s[30:31]
	v_cmp_gt_u32_e32 vcc, s33, v5
	s_mov_b64 s[0:1], -1
	s_waitcnt lgkmcnt(0)
	v_cndmask_b32_e64 v34, v7, v14, s[30:31]
	v_cndmask_b32_e64 v35, v6, v32, s[30:31]
	v_cndmask_b32_e64 v36, v15, v7, s[30:31]
	v_cndmask_b32_e64 v37, v33, v6, s[30:31]
	s_and_saveexec_b64 s[34:35], vcc
	s_cbranch_execz .LBB1010_100
; %bb.93:
	v_cndmask_b32_e64 v4, v38, v4, s[30:31]
	v_cmp_gt_u32_e64 s[36:37], s5, v4
	s_xor_b64 s[0:1], s[18:19], -1
	s_and_b64 s[0:1], s[36:37], s[0:1]
	s_and_saveexec_b64 s[18:19], s[0:1]
	s_cbranch_execz .LBB1010_99
; %bb.94:
	v_mov_b64_e32 v[6:7], s[14:15]
	v_mad_u64_u32 v[4:5], s[0:1], v35, s12, v[6:7]
	v_mul_lo_u32 v38, v35, s13
	v_mul_lo_u32 v39, v34, s12
	v_add3_u32 v5, v39, v5, v38
	v_mad_u64_u32 v[6:7], s[0:1], v37, s12, v[6:7]
	v_mul_lo_u32 v38, v37, s13
	v_mul_lo_u32 v39, v36, s12
	v_add3_u32 v7, v39, v7, v38
	s_mov_b64 s[14:15], 0
                                        ; implicit-def: $sgpr38_sgpr39
                                        ; implicit-def: $sgpr40_sgpr41
                                        ; implicit-def: $sgpr0_sgpr1
                                        ; implicit-def: $sgpr42_sgpr43
	s_branch .LBB1010_96
.LBB1010_95:                            ;   in Loop: Header=BB1010_96 Depth=1
	s_or_b64 exec, exec, s[46:47]
	s_and_b64 s[46:47], exec, s[40:41]
	s_or_b64 s[14:15], s[46:47], s[14:15]
	s_andn2_b64 s[42:43], s[42:43], exec
	s_and_b64 s[44:45], s[44:45], exec
	s_or_b64 s[42:43], s[42:43], s[44:45]
	s_andn2_b64 s[38:39], s[38:39], exec
	s_and_b64 s[44:45], s[0:1], exec
	s_or_b64 s[38:39], s[38:39], s[44:45]
	s_andn2_b64 exec, exec, s[14:15]
	s_cbranch_execz .LBB1010_98
.LBB1010_96:                            ; =>This Inner Loop Header: Depth=1
	global_load_ubyte v38, v[4:5], off
	global_load_ubyte v39, v[6:7], off
	s_andn2_b64 s[46:47], s[0:1], exec
	s_or_b64 s[40:41], s[40:41], exec
	s_waitcnt vmcnt(1)
	v_cmp_eq_u16_e32 vcc, 0, v38
	s_waitcnt vmcnt(0)
	v_cmp_ne_u16_e64 s[0:1], 0, v39
	s_or_b64 s[48:49], vcc, s[0:1]
	s_and_b64 s[44:45], vcc, s[0:1]
	s_xor_b64 s[50:51], vcc, s[0:1]
	s_and_b64 s[0:1], s[48:49], s[42:43]
	s_or_b64 s[44:45], s[44:45], s[0:1]
	s_and_b64 s[0:1], s[44:45], exec
	s_or_b64 s[0:1], s[46:47], s[0:1]
	s_and_saveexec_b64 s[46:47], s[50:51]
	s_cbranch_execz .LBB1010_95
; %bb.97:                               ;   in Loop: Header=BB1010_96 Depth=1
	s_add_u32 s12, s12, -1
	s_addc_u32 s13, s13, -1
	s_cmp_eq_u64 s[12:13], 0
	s_cselect_b64 s[42:43], -1, 0
	s_andn2_b64 s[40:41], s[40:41], exec
	s_and_b64 s[42:43], s[42:43], exec
	v_lshl_add_u64 v[4:5], v[4:5], 0, 1
	v_lshl_add_u64 v[6:7], v[6:7], 0, 1
	s_andn2_b64 s[0:1], s[0:1], exec
	s_or_b64 s[40:41], s[40:41], s[42:43]
                                        ; implicit-def: $sgpr42_sgpr43
	s_branch .LBB1010_95
.LBB1010_98:
	s_or_b64 exec, exec, s[14:15]
	s_xor_b64 s[0:1], s[38:39], -1
	s_andn2_b64 s[12:13], s[36:37], exec
	s_and_b64 s[0:1], s[0:1], exec
	s_or_b64 s[36:37], s[12:13], s[0:1]
.LBB1010_99:
	s_or_b64 exec, exec, s[18:19]
	s_orn2_b64 s[0:1], s[36:37], exec
.LBB1010_100:
	s_or_b64 exec, exec, s[34:35]
	v_cndmask_b32_e64 v15, v14, v15, s[30:31]
	v_cndmask_b32_e64 v14, v32, v33, s[30:31]
	;; [unrolled: 1-line block ×16, first 2 shown]
.LBB1010_101:
	s_or_b64 exec, exec, s[8:9]
	v_lshrrev_b32_e32 v1, 2, v0
	v_lshlrev_b32_e32 v19, 3, v18
	v_lshl_add_u32 v19, v1, 3, v19
	v_and_b32_e32 v1, 24, v1
	v_or_b32_e32 v23, 0x80, v0
	v_add_u32_e32 v24, v1, v18
	v_lshrrev_b32_e32 v1, 2, v23
	v_and_b32_e32 v1, 56, v1
	v_or_b32_e32 v22, 0x100, v0
	s_barrier
	s_barrier
	ds_write2_b64 v19, v[2:3], v[4:5] offset1:1
	ds_write2_b64 v19, v[6:7], v[8:9] offset0:2 offset1:3
	ds_write2_b64 v19, v[10:11], v[12:13] offset0:4 offset1:5
	;; [unrolled: 1-line block ×3, first 2 shown]
	v_add_u32_e32 v4, v1, v18
	v_lshrrev_b32_e32 v1, 2, v22
	v_and_b32_e32 v1, 0x58, v1
	v_or_b32_e32 v21, 0x180, v0
	v_add_u32_e32 v5, v1, v18
	v_lshrrev_b32_e32 v1, 2, v21
	v_and_b32_e32 v1, 0x78, v1
	v_or_b32_e32 v20, 0x200, v0
	v_add_u32_e32 v6, v1, v18
	v_lshrrev_b32_e32 v1, 2, v20
	v_and_b32_e32 v1, 0x98, v1
	v_or_b32_e32 v17, 0x280, v0
	v_add_u32_e32 v7, v1, v18
	v_lshrrev_b32_e32 v1, 2, v17
	v_and_b32_e32 v1, 0xb8, v1
	v_or_b32_e32 v16, 0x300, v0
	v_add_u32_e32 v25, v1, v18
	v_lshrrev_b32_e32 v1, 2, v16
	v_and_b32_e32 v1, 0xd8, v1
	s_lshl_b64 s[0:1], s[16:17], 3
	v_add_u32_e32 v26, v1, v18
	v_or_b32_e32 v1, 0x380, v0
	s_add_u32 s0, s10, s0
	v_lshrrev_b32_e32 v2, 2, v1
	s_addc_u32 s1, s11, s1
	v_and_b32_e32 v2, 0xf8, v2
	v_mov_b32_e32 v19, 0
	v_add_u32_e32 v27, v2, v18
	v_lshl_add_u64 v[2:3], s[0:1], 0, v[18:19]
	s_and_b64 vcc, exec, s[6:7]
	s_waitcnt lgkmcnt(0)
	s_cbranch_vccz .LBB1010_103
; %bb.102:
	s_barrier
	ds_read_b64 v[8:9], v24
	ds_read_b64 v[10:11], v4 offset:1024
	ds_read_b64 v[12:13], v5 offset:2048
	;; [unrolled: 1-line block ×7, first 2 shown]
	s_waitcnt lgkmcnt(7)
	global_store_dwordx2 v[2:3], v[8:9], off
	s_waitcnt lgkmcnt(6)
	global_store_dwordx2 v[2:3], v[10:11], off offset:1024
	s_waitcnt lgkmcnt(5)
	global_store_dwordx2 v[2:3], v[12:13], off offset:2048
	s_waitcnt lgkmcnt(4)
	global_store_dwordx2 v[2:3], v[14:15], off offset:3072
	v_add_co_u32_e32 v8, vcc, 0x1000, v2
	s_nop 1
	v_addc_co_u32_e32 v9, vcc, 0, v3, vcc
	s_waitcnt lgkmcnt(3)
	global_store_dwordx2 v[8:9], v[28:29], off
	s_waitcnt lgkmcnt(2)
	global_store_dwordx2 v[8:9], v[30:31], off offset:1024
	s_waitcnt lgkmcnt(1)
	global_store_dwordx2 v[8:9], v[32:33], off offset:2048
	s_mov_b64 s[0:1], -1
	s_cbranch_execz .LBB1010_104
	s_branch .LBB1010_113
.LBB1010_103:
	s_mov_b64 s[0:1], 0
                                        ; implicit-def: $vgpr18_vgpr19
.LBB1010_104:
	s_barrier
	s_waitcnt lgkmcnt(0)
	ds_read_b64 v[14:15], v4 offset:1024
	ds_read_b64 v[12:13], v5 offset:2048
	;; [unrolled: 1-line block ×7, first 2 shown]
	s_sub_i32 s2, s4, s16
	v_cmp_gt_u32_e32 vcc, s2, v0
	s_and_saveexec_b64 s[0:1], vcc
	s_cbranch_execnz .LBB1010_116
; %bb.105:
	s_or_b64 exec, exec, s[0:1]
	v_cmp_gt_u32_e32 vcc, s2, v23
	s_and_saveexec_b64 s[0:1], vcc
	s_cbranch_execnz .LBB1010_117
.LBB1010_106:
	s_or_b64 exec, exec, s[0:1]
	v_cmp_gt_u32_e32 vcc, s2, v22
	s_and_saveexec_b64 s[0:1], vcc
	s_cbranch_execnz .LBB1010_118
.LBB1010_107:
	s_or_b64 exec, exec, s[0:1]
	v_cmp_gt_u32_e32 vcc, s2, v21
	s_and_saveexec_b64 s[0:1], vcc
	s_cbranch_execnz .LBB1010_119
.LBB1010_108:
	s_or_b64 exec, exec, s[0:1]
	v_cmp_gt_u32_e32 vcc, s2, v20
	s_and_saveexec_b64 s[0:1], vcc
	s_cbranch_execnz .LBB1010_120
.LBB1010_109:
	s_or_b64 exec, exec, s[0:1]
	v_cmp_gt_u32_e32 vcc, s2, v17
	s_and_saveexec_b64 s[0:1], vcc
	s_cbranch_execnz .LBB1010_121
.LBB1010_110:
	s_or_b64 exec, exec, s[0:1]
	v_cmp_gt_u32_e32 vcc, s2, v16
	s_and_saveexec_b64 s[0:1], vcc
	s_cbranch_execz .LBB1010_112
.LBB1010_111:
	s_waitcnt lgkmcnt(2)
	v_add_co_u32_e32 v6, vcc, 0x1000, v2
	s_nop 1
	v_addc_co_u32_e32 v7, vcc, 0, v3, vcc
	s_waitcnt lgkmcnt(1)
	global_store_dwordx2 v[6:7], v[4:5], off offset:2048
.LBB1010_112:
	s_or_b64 exec, exec, s[0:1]
	v_cmp_gt_u32_e64 s[0:1], s2, v1
.LBB1010_113:
	s_and_saveexec_b64 s[2:3], s[0:1]
	s_cbranch_execz .LBB1010_115
; %bb.114:
	v_add_co_u32_e32 v0, vcc, 0x1000, v2
	s_nop 1
	v_addc_co_u32_e32 v1, vcc, 0, v3, vcc
	s_waitcnt lgkmcnt(0)
	global_store_dwordx2 v[0:1], v[18:19], off offset:3072
.LBB1010_115:
	s_endpgm
.LBB1010_116:
	ds_read_b64 v[24:25], v24
	s_waitcnt lgkmcnt(0)
	global_store_dwordx2 v[2:3], v[24:25], off
	s_or_b64 exec, exec, s[0:1]
	v_cmp_gt_u32_e32 vcc, s2, v23
	s_and_saveexec_b64 s[0:1], vcc
	s_cbranch_execz .LBB1010_106
.LBB1010_117:
	s_waitcnt lgkmcnt(6)
	global_store_dwordx2 v[2:3], v[14:15], off offset:1024
	s_or_b64 exec, exec, s[0:1]
	v_cmp_gt_u32_e32 vcc, s2, v22
	s_and_saveexec_b64 s[0:1], vcc
	s_cbranch_execz .LBB1010_107
.LBB1010_118:
	s_waitcnt lgkmcnt(5)
	global_store_dwordx2 v[2:3], v[12:13], off offset:2048
	s_or_b64 exec, exec, s[0:1]
	v_cmp_gt_u32_e32 vcc, s2, v21
	s_and_saveexec_b64 s[0:1], vcc
	s_cbranch_execz .LBB1010_108
.LBB1010_119:
	s_waitcnt lgkmcnt(4)
	global_store_dwordx2 v[2:3], v[10:11], off offset:3072
	s_or_b64 exec, exec, s[0:1]
	v_cmp_gt_u32_e32 vcc, s2, v20
	s_and_saveexec_b64 s[0:1], vcc
	s_cbranch_execz .LBB1010_109
.LBB1010_120:
	s_waitcnt lgkmcnt(4)
	v_add_co_u32_e32 v10, vcc, 0x1000, v2
	s_nop 1
	v_addc_co_u32_e32 v11, vcc, 0, v3, vcc
	s_waitcnt lgkmcnt(3)
	global_store_dwordx2 v[10:11], v[8:9], off
	s_or_b64 exec, exec, s[0:1]
	v_cmp_gt_u32_e32 vcc, s2, v17
	s_and_saveexec_b64 s[0:1], vcc
	s_cbranch_execz .LBB1010_110
.LBB1010_121:
	s_waitcnt lgkmcnt(3)
	v_add_co_u32_e32 v8, vcc, 0x1000, v2
	s_nop 1
	v_addc_co_u32_e32 v9, vcc, 0, v3, vcc
	s_waitcnt lgkmcnt(2)
	global_store_dwordx2 v[8:9], v[6:7], off offset:1024
	s_or_b64 exec, exec, s[0:1]
	v_cmp_gt_u32_e32 vcc, s2, v16
	s_and_saveexec_b64 s[0:1], vcc
	s_cbranch_execnz .LBB1010_111
	s_branch .LBB1010_112
	.section	.rodata,"a",@progbits
	.p2align	6, 0x0
	.amdhsa_kernel _ZN7rocprim17ROCPRIM_400000_NS6detail17trampoline_kernelINS0_14default_configENS1_38merge_sort_block_merge_config_selectorIlNS0_10empty_typeEEEZZNS1_27merge_sort_block_merge_implIS3_PlPS5_mZN2at6native12_GLOBAL__N_124unique_dim_cuda_templateIbEESt5tupleIJNSA_6TensorESF_SF_EERKSF_lbbbEUlllE_EE10hipError_tT0_T1_T2_jT3_P12ihipStream_tbPNSt15iterator_traitsISL_E10value_typeEPNSR_ISM_E10value_typeEPSN_NS1_7vsmem_tEENKUlT_SL_SM_SN_E_clIS8_S8_S9_S9_EESK_S10_SL_SM_SN_EUlS10_E0_NS1_11comp_targetILNS1_3genE0ELNS1_11target_archE4294967295ELNS1_3gpuE0ELNS1_3repE0EEENS1_38merge_mergepath_config_static_selectorELNS0_4arch9wavefront6targetE1EEEvSM_
		.amdhsa_group_segment_fixed_size 8448
		.amdhsa_private_segment_fixed_size 0
		.amdhsa_kernarg_size 344
		.amdhsa_user_sgpr_count 2
		.amdhsa_user_sgpr_dispatch_ptr 0
		.amdhsa_user_sgpr_queue_ptr 0
		.amdhsa_user_sgpr_kernarg_segment_ptr 1
		.amdhsa_user_sgpr_dispatch_id 0
		.amdhsa_user_sgpr_kernarg_preload_length 0
		.amdhsa_user_sgpr_kernarg_preload_offset 0
		.amdhsa_user_sgpr_private_segment_size 0
		.amdhsa_uses_dynamic_stack 0
		.amdhsa_enable_private_segment 0
		.amdhsa_system_sgpr_workgroup_id_x 1
		.amdhsa_system_sgpr_workgroup_id_y 1
		.amdhsa_system_sgpr_workgroup_id_z 1
		.amdhsa_system_sgpr_workgroup_info 0
		.amdhsa_system_vgpr_workitem_id 0
		.amdhsa_next_free_vgpr 40
		.amdhsa_next_free_sgpr 56
		.amdhsa_accum_offset 40
		.amdhsa_reserve_vcc 1
		.amdhsa_float_round_mode_32 0
		.amdhsa_float_round_mode_16_64 0
		.amdhsa_float_denorm_mode_32 3
		.amdhsa_float_denorm_mode_16_64 3
		.amdhsa_dx10_clamp 1
		.amdhsa_ieee_mode 1
		.amdhsa_fp16_overflow 0
		.amdhsa_tg_split 0
		.amdhsa_exception_fp_ieee_invalid_op 0
		.amdhsa_exception_fp_denorm_src 0
		.amdhsa_exception_fp_ieee_div_zero 0
		.amdhsa_exception_fp_ieee_overflow 0
		.amdhsa_exception_fp_ieee_underflow 0
		.amdhsa_exception_fp_ieee_inexact 0
		.amdhsa_exception_int_div_zero 0
	.end_amdhsa_kernel
	.section	.text._ZN7rocprim17ROCPRIM_400000_NS6detail17trampoline_kernelINS0_14default_configENS1_38merge_sort_block_merge_config_selectorIlNS0_10empty_typeEEEZZNS1_27merge_sort_block_merge_implIS3_PlPS5_mZN2at6native12_GLOBAL__N_124unique_dim_cuda_templateIbEESt5tupleIJNSA_6TensorESF_SF_EERKSF_lbbbEUlllE_EE10hipError_tT0_T1_T2_jT3_P12ihipStream_tbPNSt15iterator_traitsISL_E10value_typeEPNSR_ISM_E10value_typeEPSN_NS1_7vsmem_tEENKUlT_SL_SM_SN_E_clIS8_S8_S9_S9_EESK_S10_SL_SM_SN_EUlS10_E0_NS1_11comp_targetILNS1_3genE0ELNS1_11target_archE4294967295ELNS1_3gpuE0ELNS1_3repE0EEENS1_38merge_mergepath_config_static_selectorELNS0_4arch9wavefront6targetE1EEEvSM_,"axG",@progbits,_ZN7rocprim17ROCPRIM_400000_NS6detail17trampoline_kernelINS0_14default_configENS1_38merge_sort_block_merge_config_selectorIlNS0_10empty_typeEEEZZNS1_27merge_sort_block_merge_implIS3_PlPS5_mZN2at6native12_GLOBAL__N_124unique_dim_cuda_templateIbEESt5tupleIJNSA_6TensorESF_SF_EERKSF_lbbbEUlllE_EE10hipError_tT0_T1_T2_jT3_P12ihipStream_tbPNSt15iterator_traitsISL_E10value_typeEPNSR_ISM_E10value_typeEPSN_NS1_7vsmem_tEENKUlT_SL_SM_SN_E_clIS8_S8_S9_S9_EESK_S10_SL_SM_SN_EUlS10_E0_NS1_11comp_targetILNS1_3genE0ELNS1_11target_archE4294967295ELNS1_3gpuE0ELNS1_3repE0EEENS1_38merge_mergepath_config_static_selectorELNS0_4arch9wavefront6targetE1EEEvSM_,comdat
.Lfunc_end1010:
	.size	_ZN7rocprim17ROCPRIM_400000_NS6detail17trampoline_kernelINS0_14default_configENS1_38merge_sort_block_merge_config_selectorIlNS0_10empty_typeEEEZZNS1_27merge_sort_block_merge_implIS3_PlPS5_mZN2at6native12_GLOBAL__N_124unique_dim_cuda_templateIbEESt5tupleIJNSA_6TensorESF_SF_EERKSF_lbbbEUlllE_EE10hipError_tT0_T1_T2_jT3_P12ihipStream_tbPNSt15iterator_traitsISL_E10value_typeEPNSR_ISM_E10value_typeEPSN_NS1_7vsmem_tEENKUlT_SL_SM_SN_E_clIS8_S8_S9_S9_EESK_S10_SL_SM_SN_EUlS10_E0_NS1_11comp_targetILNS1_3genE0ELNS1_11target_archE4294967295ELNS1_3gpuE0ELNS1_3repE0EEENS1_38merge_mergepath_config_static_selectorELNS0_4arch9wavefront6targetE1EEEvSM_, .Lfunc_end1010-_ZN7rocprim17ROCPRIM_400000_NS6detail17trampoline_kernelINS0_14default_configENS1_38merge_sort_block_merge_config_selectorIlNS0_10empty_typeEEEZZNS1_27merge_sort_block_merge_implIS3_PlPS5_mZN2at6native12_GLOBAL__N_124unique_dim_cuda_templateIbEESt5tupleIJNSA_6TensorESF_SF_EERKSF_lbbbEUlllE_EE10hipError_tT0_T1_T2_jT3_P12ihipStream_tbPNSt15iterator_traitsISL_E10value_typeEPNSR_ISM_E10value_typeEPSN_NS1_7vsmem_tEENKUlT_SL_SM_SN_E_clIS8_S8_S9_S9_EESK_S10_SL_SM_SN_EUlS10_E0_NS1_11comp_targetILNS1_3genE0ELNS1_11target_archE4294967295ELNS1_3gpuE0ELNS1_3repE0EEENS1_38merge_mergepath_config_static_selectorELNS0_4arch9wavefront6targetE1EEEvSM_
                                        ; -- End function
	.set _ZN7rocprim17ROCPRIM_400000_NS6detail17trampoline_kernelINS0_14default_configENS1_38merge_sort_block_merge_config_selectorIlNS0_10empty_typeEEEZZNS1_27merge_sort_block_merge_implIS3_PlPS5_mZN2at6native12_GLOBAL__N_124unique_dim_cuda_templateIbEESt5tupleIJNSA_6TensorESF_SF_EERKSF_lbbbEUlllE_EE10hipError_tT0_T1_T2_jT3_P12ihipStream_tbPNSt15iterator_traitsISL_E10value_typeEPNSR_ISM_E10value_typeEPSN_NS1_7vsmem_tEENKUlT_SL_SM_SN_E_clIS8_S8_S9_S9_EESK_S10_SL_SM_SN_EUlS10_E0_NS1_11comp_targetILNS1_3genE0ELNS1_11target_archE4294967295ELNS1_3gpuE0ELNS1_3repE0EEENS1_38merge_mergepath_config_static_selectorELNS0_4arch9wavefront6targetE1EEEvSM_.num_vgpr, 40
	.set _ZN7rocprim17ROCPRIM_400000_NS6detail17trampoline_kernelINS0_14default_configENS1_38merge_sort_block_merge_config_selectorIlNS0_10empty_typeEEEZZNS1_27merge_sort_block_merge_implIS3_PlPS5_mZN2at6native12_GLOBAL__N_124unique_dim_cuda_templateIbEESt5tupleIJNSA_6TensorESF_SF_EERKSF_lbbbEUlllE_EE10hipError_tT0_T1_T2_jT3_P12ihipStream_tbPNSt15iterator_traitsISL_E10value_typeEPNSR_ISM_E10value_typeEPSN_NS1_7vsmem_tEENKUlT_SL_SM_SN_E_clIS8_S8_S9_S9_EESK_S10_SL_SM_SN_EUlS10_E0_NS1_11comp_targetILNS1_3genE0ELNS1_11target_archE4294967295ELNS1_3gpuE0ELNS1_3repE0EEENS1_38merge_mergepath_config_static_selectorELNS0_4arch9wavefront6targetE1EEEvSM_.num_agpr, 0
	.set _ZN7rocprim17ROCPRIM_400000_NS6detail17trampoline_kernelINS0_14default_configENS1_38merge_sort_block_merge_config_selectorIlNS0_10empty_typeEEEZZNS1_27merge_sort_block_merge_implIS3_PlPS5_mZN2at6native12_GLOBAL__N_124unique_dim_cuda_templateIbEESt5tupleIJNSA_6TensorESF_SF_EERKSF_lbbbEUlllE_EE10hipError_tT0_T1_T2_jT3_P12ihipStream_tbPNSt15iterator_traitsISL_E10value_typeEPNSR_ISM_E10value_typeEPSN_NS1_7vsmem_tEENKUlT_SL_SM_SN_E_clIS8_S8_S9_S9_EESK_S10_SL_SM_SN_EUlS10_E0_NS1_11comp_targetILNS1_3genE0ELNS1_11target_archE4294967295ELNS1_3gpuE0ELNS1_3repE0EEENS1_38merge_mergepath_config_static_selectorELNS0_4arch9wavefront6targetE1EEEvSM_.numbered_sgpr, 56
	.set _ZN7rocprim17ROCPRIM_400000_NS6detail17trampoline_kernelINS0_14default_configENS1_38merge_sort_block_merge_config_selectorIlNS0_10empty_typeEEEZZNS1_27merge_sort_block_merge_implIS3_PlPS5_mZN2at6native12_GLOBAL__N_124unique_dim_cuda_templateIbEESt5tupleIJNSA_6TensorESF_SF_EERKSF_lbbbEUlllE_EE10hipError_tT0_T1_T2_jT3_P12ihipStream_tbPNSt15iterator_traitsISL_E10value_typeEPNSR_ISM_E10value_typeEPSN_NS1_7vsmem_tEENKUlT_SL_SM_SN_E_clIS8_S8_S9_S9_EESK_S10_SL_SM_SN_EUlS10_E0_NS1_11comp_targetILNS1_3genE0ELNS1_11target_archE4294967295ELNS1_3gpuE0ELNS1_3repE0EEENS1_38merge_mergepath_config_static_selectorELNS0_4arch9wavefront6targetE1EEEvSM_.num_named_barrier, 0
	.set _ZN7rocprim17ROCPRIM_400000_NS6detail17trampoline_kernelINS0_14default_configENS1_38merge_sort_block_merge_config_selectorIlNS0_10empty_typeEEEZZNS1_27merge_sort_block_merge_implIS3_PlPS5_mZN2at6native12_GLOBAL__N_124unique_dim_cuda_templateIbEESt5tupleIJNSA_6TensorESF_SF_EERKSF_lbbbEUlllE_EE10hipError_tT0_T1_T2_jT3_P12ihipStream_tbPNSt15iterator_traitsISL_E10value_typeEPNSR_ISM_E10value_typeEPSN_NS1_7vsmem_tEENKUlT_SL_SM_SN_E_clIS8_S8_S9_S9_EESK_S10_SL_SM_SN_EUlS10_E0_NS1_11comp_targetILNS1_3genE0ELNS1_11target_archE4294967295ELNS1_3gpuE0ELNS1_3repE0EEENS1_38merge_mergepath_config_static_selectorELNS0_4arch9wavefront6targetE1EEEvSM_.private_seg_size, 0
	.set _ZN7rocprim17ROCPRIM_400000_NS6detail17trampoline_kernelINS0_14default_configENS1_38merge_sort_block_merge_config_selectorIlNS0_10empty_typeEEEZZNS1_27merge_sort_block_merge_implIS3_PlPS5_mZN2at6native12_GLOBAL__N_124unique_dim_cuda_templateIbEESt5tupleIJNSA_6TensorESF_SF_EERKSF_lbbbEUlllE_EE10hipError_tT0_T1_T2_jT3_P12ihipStream_tbPNSt15iterator_traitsISL_E10value_typeEPNSR_ISM_E10value_typeEPSN_NS1_7vsmem_tEENKUlT_SL_SM_SN_E_clIS8_S8_S9_S9_EESK_S10_SL_SM_SN_EUlS10_E0_NS1_11comp_targetILNS1_3genE0ELNS1_11target_archE4294967295ELNS1_3gpuE0ELNS1_3repE0EEENS1_38merge_mergepath_config_static_selectorELNS0_4arch9wavefront6targetE1EEEvSM_.uses_vcc, 1
	.set _ZN7rocprim17ROCPRIM_400000_NS6detail17trampoline_kernelINS0_14default_configENS1_38merge_sort_block_merge_config_selectorIlNS0_10empty_typeEEEZZNS1_27merge_sort_block_merge_implIS3_PlPS5_mZN2at6native12_GLOBAL__N_124unique_dim_cuda_templateIbEESt5tupleIJNSA_6TensorESF_SF_EERKSF_lbbbEUlllE_EE10hipError_tT0_T1_T2_jT3_P12ihipStream_tbPNSt15iterator_traitsISL_E10value_typeEPNSR_ISM_E10value_typeEPSN_NS1_7vsmem_tEENKUlT_SL_SM_SN_E_clIS8_S8_S9_S9_EESK_S10_SL_SM_SN_EUlS10_E0_NS1_11comp_targetILNS1_3genE0ELNS1_11target_archE4294967295ELNS1_3gpuE0ELNS1_3repE0EEENS1_38merge_mergepath_config_static_selectorELNS0_4arch9wavefront6targetE1EEEvSM_.uses_flat_scratch, 0
	.set _ZN7rocprim17ROCPRIM_400000_NS6detail17trampoline_kernelINS0_14default_configENS1_38merge_sort_block_merge_config_selectorIlNS0_10empty_typeEEEZZNS1_27merge_sort_block_merge_implIS3_PlPS5_mZN2at6native12_GLOBAL__N_124unique_dim_cuda_templateIbEESt5tupleIJNSA_6TensorESF_SF_EERKSF_lbbbEUlllE_EE10hipError_tT0_T1_T2_jT3_P12ihipStream_tbPNSt15iterator_traitsISL_E10value_typeEPNSR_ISM_E10value_typeEPSN_NS1_7vsmem_tEENKUlT_SL_SM_SN_E_clIS8_S8_S9_S9_EESK_S10_SL_SM_SN_EUlS10_E0_NS1_11comp_targetILNS1_3genE0ELNS1_11target_archE4294967295ELNS1_3gpuE0ELNS1_3repE0EEENS1_38merge_mergepath_config_static_selectorELNS0_4arch9wavefront6targetE1EEEvSM_.has_dyn_sized_stack, 0
	.set _ZN7rocprim17ROCPRIM_400000_NS6detail17trampoline_kernelINS0_14default_configENS1_38merge_sort_block_merge_config_selectorIlNS0_10empty_typeEEEZZNS1_27merge_sort_block_merge_implIS3_PlPS5_mZN2at6native12_GLOBAL__N_124unique_dim_cuda_templateIbEESt5tupleIJNSA_6TensorESF_SF_EERKSF_lbbbEUlllE_EE10hipError_tT0_T1_T2_jT3_P12ihipStream_tbPNSt15iterator_traitsISL_E10value_typeEPNSR_ISM_E10value_typeEPSN_NS1_7vsmem_tEENKUlT_SL_SM_SN_E_clIS8_S8_S9_S9_EESK_S10_SL_SM_SN_EUlS10_E0_NS1_11comp_targetILNS1_3genE0ELNS1_11target_archE4294967295ELNS1_3gpuE0ELNS1_3repE0EEENS1_38merge_mergepath_config_static_selectorELNS0_4arch9wavefront6targetE1EEEvSM_.has_recursion, 0
	.set _ZN7rocprim17ROCPRIM_400000_NS6detail17trampoline_kernelINS0_14default_configENS1_38merge_sort_block_merge_config_selectorIlNS0_10empty_typeEEEZZNS1_27merge_sort_block_merge_implIS3_PlPS5_mZN2at6native12_GLOBAL__N_124unique_dim_cuda_templateIbEESt5tupleIJNSA_6TensorESF_SF_EERKSF_lbbbEUlllE_EE10hipError_tT0_T1_T2_jT3_P12ihipStream_tbPNSt15iterator_traitsISL_E10value_typeEPNSR_ISM_E10value_typeEPSN_NS1_7vsmem_tEENKUlT_SL_SM_SN_E_clIS8_S8_S9_S9_EESK_S10_SL_SM_SN_EUlS10_E0_NS1_11comp_targetILNS1_3genE0ELNS1_11target_archE4294967295ELNS1_3gpuE0ELNS1_3repE0EEENS1_38merge_mergepath_config_static_selectorELNS0_4arch9wavefront6targetE1EEEvSM_.has_indirect_call, 0
	.section	.AMDGPU.csdata,"",@progbits
; Kernel info:
; codeLenInByte = 6484
; TotalNumSgprs: 62
; NumVgprs: 40
; NumAgprs: 0
; TotalNumVgprs: 40
; ScratchSize: 0
; MemoryBound: 0
; FloatMode: 240
; IeeeMode: 1
; LDSByteSize: 8448 bytes/workgroup (compile time only)
; SGPRBlocks: 7
; VGPRBlocks: 4
; NumSGPRsForWavesPerEU: 62
; NumVGPRsForWavesPerEU: 40
; AccumOffset: 40
; Occupancy: 8
; WaveLimiterHint : 1
; COMPUTE_PGM_RSRC2:SCRATCH_EN: 0
; COMPUTE_PGM_RSRC2:USER_SGPR: 2
; COMPUTE_PGM_RSRC2:TRAP_HANDLER: 0
; COMPUTE_PGM_RSRC2:TGID_X_EN: 1
; COMPUTE_PGM_RSRC2:TGID_Y_EN: 1
; COMPUTE_PGM_RSRC2:TGID_Z_EN: 1
; COMPUTE_PGM_RSRC2:TIDIG_COMP_CNT: 0
; COMPUTE_PGM_RSRC3_GFX90A:ACCUM_OFFSET: 9
; COMPUTE_PGM_RSRC3_GFX90A:TG_SPLIT: 0
	.section	.text._ZN7rocprim17ROCPRIM_400000_NS6detail17trampoline_kernelINS0_14default_configENS1_38merge_sort_block_merge_config_selectorIlNS0_10empty_typeEEEZZNS1_27merge_sort_block_merge_implIS3_PlPS5_mZN2at6native12_GLOBAL__N_124unique_dim_cuda_templateIbEESt5tupleIJNSA_6TensorESF_SF_EERKSF_lbbbEUlllE_EE10hipError_tT0_T1_T2_jT3_P12ihipStream_tbPNSt15iterator_traitsISL_E10value_typeEPNSR_ISM_E10value_typeEPSN_NS1_7vsmem_tEENKUlT_SL_SM_SN_E_clIS8_S8_S9_S9_EESK_S10_SL_SM_SN_EUlS10_E0_NS1_11comp_targetILNS1_3genE10ELNS1_11target_archE1201ELNS1_3gpuE5ELNS1_3repE0EEENS1_38merge_mergepath_config_static_selectorELNS0_4arch9wavefront6targetE1EEEvSM_,"axG",@progbits,_ZN7rocprim17ROCPRIM_400000_NS6detail17trampoline_kernelINS0_14default_configENS1_38merge_sort_block_merge_config_selectorIlNS0_10empty_typeEEEZZNS1_27merge_sort_block_merge_implIS3_PlPS5_mZN2at6native12_GLOBAL__N_124unique_dim_cuda_templateIbEESt5tupleIJNSA_6TensorESF_SF_EERKSF_lbbbEUlllE_EE10hipError_tT0_T1_T2_jT3_P12ihipStream_tbPNSt15iterator_traitsISL_E10value_typeEPNSR_ISM_E10value_typeEPSN_NS1_7vsmem_tEENKUlT_SL_SM_SN_E_clIS8_S8_S9_S9_EESK_S10_SL_SM_SN_EUlS10_E0_NS1_11comp_targetILNS1_3genE10ELNS1_11target_archE1201ELNS1_3gpuE5ELNS1_3repE0EEENS1_38merge_mergepath_config_static_selectorELNS0_4arch9wavefront6targetE1EEEvSM_,comdat
	.globl	_ZN7rocprim17ROCPRIM_400000_NS6detail17trampoline_kernelINS0_14default_configENS1_38merge_sort_block_merge_config_selectorIlNS0_10empty_typeEEEZZNS1_27merge_sort_block_merge_implIS3_PlPS5_mZN2at6native12_GLOBAL__N_124unique_dim_cuda_templateIbEESt5tupleIJNSA_6TensorESF_SF_EERKSF_lbbbEUlllE_EE10hipError_tT0_T1_T2_jT3_P12ihipStream_tbPNSt15iterator_traitsISL_E10value_typeEPNSR_ISM_E10value_typeEPSN_NS1_7vsmem_tEENKUlT_SL_SM_SN_E_clIS8_S8_S9_S9_EESK_S10_SL_SM_SN_EUlS10_E0_NS1_11comp_targetILNS1_3genE10ELNS1_11target_archE1201ELNS1_3gpuE5ELNS1_3repE0EEENS1_38merge_mergepath_config_static_selectorELNS0_4arch9wavefront6targetE1EEEvSM_ ; -- Begin function _ZN7rocprim17ROCPRIM_400000_NS6detail17trampoline_kernelINS0_14default_configENS1_38merge_sort_block_merge_config_selectorIlNS0_10empty_typeEEEZZNS1_27merge_sort_block_merge_implIS3_PlPS5_mZN2at6native12_GLOBAL__N_124unique_dim_cuda_templateIbEESt5tupleIJNSA_6TensorESF_SF_EERKSF_lbbbEUlllE_EE10hipError_tT0_T1_T2_jT3_P12ihipStream_tbPNSt15iterator_traitsISL_E10value_typeEPNSR_ISM_E10value_typeEPSN_NS1_7vsmem_tEENKUlT_SL_SM_SN_E_clIS8_S8_S9_S9_EESK_S10_SL_SM_SN_EUlS10_E0_NS1_11comp_targetILNS1_3genE10ELNS1_11target_archE1201ELNS1_3gpuE5ELNS1_3repE0EEENS1_38merge_mergepath_config_static_selectorELNS0_4arch9wavefront6targetE1EEEvSM_
	.p2align	8
	.type	_ZN7rocprim17ROCPRIM_400000_NS6detail17trampoline_kernelINS0_14default_configENS1_38merge_sort_block_merge_config_selectorIlNS0_10empty_typeEEEZZNS1_27merge_sort_block_merge_implIS3_PlPS5_mZN2at6native12_GLOBAL__N_124unique_dim_cuda_templateIbEESt5tupleIJNSA_6TensorESF_SF_EERKSF_lbbbEUlllE_EE10hipError_tT0_T1_T2_jT3_P12ihipStream_tbPNSt15iterator_traitsISL_E10value_typeEPNSR_ISM_E10value_typeEPSN_NS1_7vsmem_tEENKUlT_SL_SM_SN_E_clIS8_S8_S9_S9_EESK_S10_SL_SM_SN_EUlS10_E0_NS1_11comp_targetILNS1_3genE10ELNS1_11target_archE1201ELNS1_3gpuE5ELNS1_3repE0EEENS1_38merge_mergepath_config_static_selectorELNS0_4arch9wavefront6targetE1EEEvSM_,@function
_ZN7rocprim17ROCPRIM_400000_NS6detail17trampoline_kernelINS0_14default_configENS1_38merge_sort_block_merge_config_selectorIlNS0_10empty_typeEEEZZNS1_27merge_sort_block_merge_implIS3_PlPS5_mZN2at6native12_GLOBAL__N_124unique_dim_cuda_templateIbEESt5tupleIJNSA_6TensorESF_SF_EERKSF_lbbbEUlllE_EE10hipError_tT0_T1_T2_jT3_P12ihipStream_tbPNSt15iterator_traitsISL_E10value_typeEPNSR_ISM_E10value_typeEPSN_NS1_7vsmem_tEENKUlT_SL_SM_SN_E_clIS8_S8_S9_S9_EESK_S10_SL_SM_SN_EUlS10_E0_NS1_11comp_targetILNS1_3genE10ELNS1_11target_archE1201ELNS1_3gpuE5ELNS1_3repE0EEENS1_38merge_mergepath_config_static_selectorELNS0_4arch9wavefront6targetE1EEEvSM_: ; @_ZN7rocprim17ROCPRIM_400000_NS6detail17trampoline_kernelINS0_14default_configENS1_38merge_sort_block_merge_config_selectorIlNS0_10empty_typeEEEZZNS1_27merge_sort_block_merge_implIS3_PlPS5_mZN2at6native12_GLOBAL__N_124unique_dim_cuda_templateIbEESt5tupleIJNSA_6TensorESF_SF_EERKSF_lbbbEUlllE_EE10hipError_tT0_T1_T2_jT3_P12ihipStream_tbPNSt15iterator_traitsISL_E10value_typeEPNSR_ISM_E10value_typeEPSN_NS1_7vsmem_tEENKUlT_SL_SM_SN_E_clIS8_S8_S9_S9_EESK_S10_SL_SM_SN_EUlS10_E0_NS1_11comp_targetILNS1_3genE10ELNS1_11target_archE1201ELNS1_3gpuE5ELNS1_3repE0EEENS1_38merge_mergepath_config_static_selectorELNS0_4arch9wavefront6targetE1EEEvSM_
; %bb.0:
	.section	.rodata,"a",@progbits
	.p2align	6, 0x0
	.amdhsa_kernel _ZN7rocprim17ROCPRIM_400000_NS6detail17trampoline_kernelINS0_14default_configENS1_38merge_sort_block_merge_config_selectorIlNS0_10empty_typeEEEZZNS1_27merge_sort_block_merge_implIS3_PlPS5_mZN2at6native12_GLOBAL__N_124unique_dim_cuda_templateIbEESt5tupleIJNSA_6TensorESF_SF_EERKSF_lbbbEUlllE_EE10hipError_tT0_T1_T2_jT3_P12ihipStream_tbPNSt15iterator_traitsISL_E10value_typeEPNSR_ISM_E10value_typeEPSN_NS1_7vsmem_tEENKUlT_SL_SM_SN_E_clIS8_S8_S9_S9_EESK_S10_SL_SM_SN_EUlS10_E0_NS1_11comp_targetILNS1_3genE10ELNS1_11target_archE1201ELNS1_3gpuE5ELNS1_3repE0EEENS1_38merge_mergepath_config_static_selectorELNS0_4arch9wavefront6targetE1EEEvSM_
		.amdhsa_group_segment_fixed_size 0
		.amdhsa_private_segment_fixed_size 0
		.amdhsa_kernarg_size 88
		.amdhsa_user_sgpr_count 2
		.amdhsa_user_sgpr_dispatch_ptr 0
		.amdhsa_user_sgpr_queue_ptr 0
		.amdhsa_user_sgpr_kernarg_segment_ptr 1
		.amdhsa_user_sgpr_dispatch_id 0
		.amdhsa_user_sgpr_kernarg_preload_length 0
		.amdhsa_user_sgpr_kernarg_preload_offset 0
		.amdhsa_user_sgpr_private_segment_size 0
		.amdhsa_uses_dynamic_stack 0
		.amdhsa_enable_private_segment 0
		.amdhsa_system_sgpr_workgroup_id_x 1
		.amdhsa_system_sgpr_workgroup_id_y 0
		.amdhsa_system_sgpr_workgroup_id_z 0
		.amdhsa_system_sgpr_workgroup_info 0
		.amdhsa_system_vgpr_workitem_id 0
		.amdhsa_next_free_vgpr 1
		.amdhsa_next_free_sgpr 0
		.amdhsa_accum_offset 4
		.amdhsa_reserve_vcc 0
		.amdhsa_float_round_mode_32 0
		.amdhsa_float_round_mode_16_64 0
		.amdhsa_float_denorm_mode_32 3
		.amdhsa_float_denorm_mode_16_64 3
		.amdhsa_dx10_clamp 1
		.amdhsa_ieee_mode 1
		.amdhsa_fp16_overflow 0
		.amdhsa_tg_split 0
		.amdhsa_exception_fp_ieee_invalid_op 0
		.amdhsa_exception_fp_denorm_src 0
		.amdhsa_exception_fp_ieee_div_zero 0
		.amdhsa_exception_fp_ieee_overflow 0
		.amdhsa_exception_fp_ieee_underflow 0
		.amdhsa_exception_fp_ieee_inexact 0
		.amdhsa_exception_int_div_zero 0
	.end_amdhsa_kernel
	.section	.text._ZN7rocprim17ROCPRIM_400000_NS6detail17trampoline_kernelINS0_14default_configENS1_38merge_sort_block_merge_config_selectorIlNS0_10empty_typeEEEZZNS1_27merge_sort_block_merge_implIS3_PlPS5_mZN2at6native12_GLOBAL__N_124unique_dim_cuda_templateIbEESt5tupleIJNSA_6TensorESF_SF_EERKSF_lbbbEUlllE_EE10hipError_tT0_T1_T2_jT3_P12ihipStream_tbPNSt15iterator_traitsISL_E10value_typeEPNSR_ISM_E10value_typeEPSN_NS1_7vsmem_tEENKUlT_SL_SM_SN_E_clIS8_S8_S9_S9_EESK_S10_SL_SM_SN_EUlS10_E0_NS1_11comp_targetILNS1_3genE10ELNS1_11target_archE1201ELNS1_3gpuE5ELNS1_3repE0EEENS1_38merge_mergepath_config_static_selectorELNS0_4arch9wavefront6targetE1EEEvSM_,"axG",@progbits,_ZN7rocprim17ROCPRIM_400000_NS6detail17trampoline_kernelINS0_14default_configENS1_38merge_sort_block_merge_config_selectorIlNS0_10empty_typeEEEZZNS1_27merge_sort_block_merge_implIS3_PlPS5_mZN2at6native12_GLOBAL__N_124unique_dim_cuda_templateIbEESt5tupleIJNSA_6TensorESF_SF_EERKSF_lbbbEUlllE_EE10hipError_tT0_T1_T2_jT3_P12ihipStream_tbPNSt15iterator_traitsISL_E10value_typeEPNSR_ISM_E10value_typeEPSN_NS1_7vsmem_tEENKUlT_SL_SM_SN_E_clIS8_S8_S9_S9_EESK_S10_SL_SM_SN_EUlS10_E0_NS1_11comp_targetILNS1_3genE10ELNS1_11target_archE1201ELNS1_3gpuE5ELNS1_3repE0EEENS1_38merge_mergepath_config_static_selectorELNS0_4arch9wavefront6targetE1EEEvSM_,comdat
.Lfunc_end1011:
	.size	_ZN7rocprim17ROCPRIM_400000_NS6detail17trampoline_kernelINS0_14default_configENS1_38merge_sort_block_merge_config_selectorIlNS0_10empty_typeEEEZZNS1_27merge_sort_block_merge_implIS3_PlPS5_mZN2at6native12_GLOBAL__N_124unique_dim_cuda_templateIbEESt5tupleIJNSA_6TensorESF_SF_EERKSF_lbbbEUlllE_EE10hipError_tT0_T1_T2_jT3_P12ihipStream_tbPNSt15iterator_traitsISL_E10value_typeEPNSR_ISM_E10value_typeEPSN_NS1_7vsmem_tEENKUlT_SL_SM_SN_E_clIS8_S8_S9_S9_EESK_S10_SL_SM_SN_EUlS10_E0_NS1_11comp_targetILNS1_3genE10ELNS1_11target_archE1201ELNS1_3gpuE5ELNS1_3repE0EEENS1_38merge_mergepath_config_static_selectorELNS0_4arch9wavefront6targetE1EEEvSM_, .Lfunc_end1011-_ZN7rocprim17ROCPRIM_400000_NS6detail17trampoline_kernelINS0_14default_configENS1_38merge_sort_block_merge_config_selectorIlNS0_10empty_typeEEEZZNS1_27merge_sort_block_merge_implIS3_PlPS5_mZN2at6native12_GLOBAL__N_124unique_dim_cuda_templateIbEESt5tupleIJNSA_6TensorESF_SF_EERKSF_lbbbEUlllE_EE10hipError_tT0_T1_T2_jT3_P12ihipStream_tbPNSt15iterator_traitsISL_E10value_typeEPNSR_ISM_E10value_typeEPSN_NS1_7vsmem_tEENKUlT_SL_SM_SN_E_clIS8_S8_S9_S9_EESK_S10_SL_SM_SN_EUlS10_E0_NS1_11comp_targetILNS1_3genE10ELNS1_11target_archE1201ELNS1_3gpuE5ELNS1_3repE0EEENS1_38merge_mergepath_config_static_selectorELNS0_4arch9wavefront6targetE1EEEvSM_
                                        ; -- End function
	.set _ZN7rocprim17ROCPRIM_400000_NS6detail17trampoline_kernelINS0_14default_configENS1_38merge_sort_block_merge_config_selectorIlNS0_10empty_typeEEEZZNS1_27merge_sort_block_merge_implIS3_PlPS5_mZN2at6native12_GLOBAL__N_124unique_dim_cuda_templateIbEESt5tupleIJNSA_6TensorESF_SF_EERKSF_lbbbEUlllE_EE10hipError_tT0_T1_T2_jT3_P12ihipStream_tbPNSt15iterator_traitsISL_E10value_typeEPNSR_ISM_E10value_typeEPSN_NS1_7vsmem_tEENKUlT_SL_SM_SN_E_clIS8_S8_S9_S9_EESK_S10_SL_SM_SN_EUlS10_E0_NS1_11comp_targetILNS1_3genE10ELNS1_11target_archE1201ELNS1_3gpuE5ELNS1_3repE0EEENS1_38merge_mergepath_config_static_selectorELNS0_4arch9wavefront6targetE1EEEvSM_.num_vgpr, 0
	.set _ZN7rocprim17ROCPRIM_400000_NS6detail17trampoline_kernelINS0_14default_configENS1_38merge_sort_block_merge_config_selectorIlNS0_10empty_typeEEEZZNS1_27merge_sort_block_merge_implIS3_PlPS5_mZN2at6native12_GLOBAL__N_124unique_dim_cuda_templateIbEESt5tupleIJNSA_6TensorESF_SF_EERKSF_lbbbEUlllE_EE10hipError_tT0_T1_T2_jT3_P12ihipStream_tbPNSt15iterator_traitsISL_E10value_typeEPNSR_ISM_E10value_typeEPSN_NS1_7vsmem_tEENKUlT_SL_SM_SN_E_clIS8_S8_S9_S9_EESK_S10_SL_SM_SN_EUlS10_E0_NS1_11comp_targetILNS1_3genE10ELNS1_11target_archE1201ELNS1_3gpuE5ELNS1_3repE0EEENS1_38merge_mergepath_config_static_selectorELNS0_4arch9wavefront6targetE1EEEvSM_.num_agpr, 0
	.set _ZN7rocprim17ROCPRIM_400000_NS6detail17trampoline_kernelINS0_14default_configENS1_38merge_sort_block_merge_config_selectorIlNS0_10empty_typeEEEZZNS1_27merge_sort_block_merge_implIS3_PlPS5_mZN2at6native12_GLOBAL__N_124unique_dim_cuda_templateIbEESt5tupleIJNSA_6TensorESF_SF_EERKSF_lbbbEUlllE_EE10hipError_tT0_T1_T2_jT3_P12ihipStream_tbPNSt15iterator_traitsISL_E10value_typeEPNSR_ISM_E10value_typeEPSN_NS1_7vsmem_tEENKUlT_SL_SM_SN_E_clIS8_S8_S9_S9_EESK_S10_SL_SM_SN_EUlS10_E0_NS1_11comp_targetILNS1_3genE10ELNS1_11target_archE1201ELNS1_3gpuE5ELNS1_3repE0EEENS1_38merge_mergepath_config_static_selectorELNS0_4arch9wavefront6targetE1EEEvSM_.numbered_sgpr, 0
	.set _ZN7rocprim17ROCPRIM_400000_NS6detail17trampoline_kernelINS0_14default_configENS1_38merge_sort_block_merge_config_selectorIlNS0_10empty_typeEEEZZNS1_27merge_sort_block_merge_implIS3_PlPS5_mZN2at6native12_GLOBAL__N_124unique_dim_cuda_templateIbEESt5tupleIJNSA_6TensorESF_SF_EERKSF_lbbbEUlllE_EE10hipError_tT0_T1_T2_jT3_P12ihipStream_tbPNSt15iterator_traitsISL_E10value_typeEPNSR_ISM_E10value_typeEPSN_NS1_7vsmem_tEENKUlT_SL_SM_SN_E_clIS8_S8_S9_S9_EESK_S10_SL_SM_SN_EUlS10_E0_NS1_11comp_targetILNS1_3genE10ELNS1_11target_archE1201ELNS1_3gpuE5ELNS1_3repE0EEENS1_38merge_mergepath_config_static_selectorELNS0_4arch9wavefront6targetE1EEEvSM_.num_named_barrier, 0
	.set _ZN7rocprim17ROCPRIM_400000_NS6detail17trampoline_kernelINS0_14default_configENS1_38merge_sort_block_merge_config_selectorIlNS0_10empty_typeEEEZZNS1_27merge_sort_block_merge_implIS3_PlPS5_mZN2at6native12_GLOBAL__N_124unique_dim_cuda_templateIbEESt5tupleIJNSA_6TensorESF_SF_EERKSF_lbbbEUlllE_EE10hipError_tT0_T1_T2_jT3_P12ihipStream_tbPNSt15iterator_traitsISL_E10value_typeEPNSR_ISM_E10value_typeEPSN_NS1_7vsmem_tEENKUlT_SL_SM_SN_E_clIS8_S8_S9_S9_EESK_S10_SL_SM_SN_EUlS10_E0_NS1_11comp_targetILNS1_3genE10ELNS1_11target_archE1201ELNS1_3gpuE5ELNS1_3repE0EEENS1_38merge_mergepath_config_static_selectorELNS0_4arch9wavefront6targetE1EEEvSM_.private_seg_size, 0
	.set _ZN7rocprim17ROCPRIM_400000_NS6detail17trampoline_kernelINS0_14default_configENS1_38merge_sort_block_merge_config_selectorIlNS0_10empty_typeEEEZZNS1_27merge_sort_block_merge_implIS3_PlPS5_mZN2at6native12_GLOBAL__N_124unique_dim_cuda_templateIbEESt5tupleIJNSA_6TensorESF_SF_EERKSF_lbbbEUlllE_EE10hipError_tT0_T1_T2_jT3_P12ihipStream_tbPNSt15iterator_traitsISL_E10value_typeEPNSR_ISM_E10value_typeEPSN_NS1_7vsmem_tEENKUlT_SL_SM_SN_E_clIS8_S8_S9_S9_EESK_S10_SL_SM_SN_EUlS10_E0_NS1_11comp_targetILNS1_3genE10ELNS1_11target_archE1201ELNS1_3gpuE5ELNS1_3repE0EEENS1_38merge_mergepath_config_static_selectorELNS0_4arch9wavefront6targetE1EEEvSM_.uses_vcc, 0
	.set _ZN7rocprim17ROCPRIM_400000_NS6detail17trampoline_kernelINS0_14default_configENS1_38merge_sort_block_merge_config_selectorIlNS0_10empty_typeEEEZZNS1_27merge_sort_block_merge_implIS3_PlPS5_mZN2at6native12_GLOBAL__N_124unique_dim_cuda_templateIbEESt5tupleIJNSA_6TensorESF_SF_EERKSF_lbbbEUlllE_EE10hipError_tT0_T1_T2_jT3_P12ihipStream_tbPNSt15iterator_traitsISL_E10value_typeEPNSR_ISM_E10value_typeEPSN_NS1_7vsmem_tEENKUlT_SL_SM_SN_E_clIS8_S8_S9_S9_EESK_S10_SL_SM_SN_EUlS10_E0_NS1_11comp_targetILNS1_3genE10ELNS1_11target_archE1201ELNS1_3gpuE5ELNS1_3repE0EEENS1_38merge_mergepath_config_static_selectorELNS0_4arch9wavefront6targetE1EEEvSM_.uses_flat_scratch, 0
	.set _ZN7rocprim17ROCPRIM_400000_NS6detail17trampoline_kernelINS0_14default_configENS1_38merge_sort_block_merge_config_selectorIlNS0_10empty_typeEEEZZNS1_27merge_sort_block_merge_implIS3_PlPS5_mZN2at6native12_GLOBAL__N_124unique_dim_cuda_templateIbEESt5tupleIJNSA_6TensorESF_SF_EERKSF_lbbbEUlllE_EE10hipError_tT0_T1_T2_jT3_P12ihipStream_tbPNSt15iterator_traitsISL_E10value_typeEPNSR_ISM_E10value_typeEPSN_NS1_7vsmem_tEENKUlT_SL_SM_SN_E_clIS8_S8_S9_S9_EESK_S10_SL_SM_SN_EUlS10_E0_NS1_11comp_targetILNS1_3genE10ELNS1_11target_archE1201ELNS1_3gpuE5ELNS1_3repE0EEENS1_38merge_mergepath_config_static_selectorELNS0_4arch9wavefront6targetE1EEEvSM_.has_dyn_sized_stack, 0
	.set _ZN7rocprim17ROCPRIM_400000_NS6detail17trampoline_kernelINS0_14default_configENS1_38merge_sort_block_merge_config_selectorIlNS0_10empty_typeEEEZZNS1_27merge_sort_block_merge_implIS3_PlPS5_mZN2at6native12_GLOBAL__N_124unique_dim_cuda_templateIbEESt5tupleIJNSA_6TensorESF_SF_EERKSF_lbbbEUlllE_EE10hipError_tT0_T1_T2_jT3_P12ihipStream_tbPNSt15iterator_traitsISL_E10value_typeEPNSR_ISM_E10value_typeEPSN_NS1_7vsmem_tEENKUlT_SL_SM_SN_E_clIS8_S8_S9_S9_EESK_S10_SL_SM_SN_EUlS10_E0_NS1_11comp_targetILNS1_3genE10ELNS1_11target_archE1201ELNS1_3gpuE5ELNS1_3repE0EEENS1_38merge_mergepath_config_static_selectorELNS0_4arch9wavefront6targetE1EEEvSM_.has_recursion, 0
	.set _ZN7rocprim17ROCPRIM_400000_NS6detail17trampoline_kernelINS0_14default_configENS1_38merge_sort_block_merge_config_selectorIlNS0_10empty_typeEEEZZNS1_27merge_sort_block_merge_implIS3_PlPS5_mZN2at6native12_GLOBAL__N_124unique_dim_cuda_templateIbEESt5tupleIJNSA_6TensorESF_SF_EERKSF_lbbbEUlllE_EE10hipError_tT0_T1_T2_jT3_P12ihipStream_tbPNSt15iterator_traitsISL_E10value_typeEPNSR_ISM_E10value_typeEPSN_NS1_7vsmem_tEENKUlT_SL_SM_SN_E_clIS8_S8_S9_S9_EESK_S10_SL_SM_SN_EUlS10_E0_NS1_11comp_targetILNS1_3genE10ELNS1_11target_archE1201ELNS1_3gpuE5ELNS1_3repE0EEENS1_38merge_mergepath_config_static_selectorELNS0_4arch9wavefront6targetE1EEEvSM_.has_indirect_call, 0
	.section	.AMDGPU.csdata,"",@progbits
; Kernel info:
; codeLenInByte = 0
; TotalNumSgprs: 6
; NumVgprs: 0
; NumAgprs: 0
; TotalNumVgprs: 0
; ScratchSize: 0
; MemoryBound: 0
; FloatMode: 240
; IeeeMode: 1
; LDSByteSize: 0 bytes/workgroup (compile time only)
; SGPRBlocks: 0
; VGPRBlocks: 0
; NumSGPRsForWavesPerEU: 6
; NumVGPRsForWavesPerEU: 1
; AccumOffset: 4
; Occupancy: 8
; WaveLimiterHint : 0
; COMPUTE_PGM_RSRC2:SCRATCH_EN: 0
; COMPUTE_PGM_RSRC2:USER_SGPR: 2
; COMPUTE_PGM_RSRC2:TRAP_HANDLER: 0
; COMPUTE_PGM_RSRC2:TGID_X_EN: 1
; COMPUTE_PGM_RSRC2:TGID_Y_EN: 0
; COMPUTE_PGM_RSRC2:TGID_Z_EN: 0
; COMPUTE_PGM_RSRC2:TIDIG_COMP_CNT: 0
; COMPUTE_PGM_RSRC3_GFX90A:ACCUM_OFFSET: 0
; COMPUTE_PGM_RSRC3_GFX90A:TG_SPLIT: 0
	.section	.text._ZN7rocprim17ROCPRIM_400000_NS6detail17trampoline_kernelINS0_14default_configENS1_38merge_sort_block_merge_config_selectorIlNS0_10empty_typeEEEZZNS1_27merge_sort_block_merge_implIS3_PlPS5_mZN2at6native12_GLOBAL__N_124unique_dim_cuda_templateIbEESt5tupleIJNSA_6TensorESF_SF_EERKSF_lbbbEUlllE_EE10hipError_tT0_T1_T2_jT3_P12ihipStream_tbPNSt15iterator_traitsISL_E10value_typeEPNSR_ISM_E10value_typeEPSN_NS1_7vsmem_tEENKUlT_SL_SM_SN_E_clIS8_S8_S9_S9_EESK_S10_SL_SM_SN_EUlS10_E0_NS1_11comp_targetILNS1_3genE5ELNS1_11target_archE942ELNS1_3gpuE9ELNS1_3repE0EEENS1_38merge_mergepath_config_static_selectorELNS0_4arch9wavefront6targetE1EEEvSM_,"axG",@progbits,_ZN7rocprim17ROCPRIM_400000_NS6detail17trampoline_kernelINS0_14default_configENS1_38merge_sort_block_merge_config_selectorIlNS0_10empty_typeEEEZZNS1_27merge_sort_block_merge_implIS3_PlPS5_mZN2at6native12_GLOBAL__N_124unique_dim_cuda_templateIbEESt5tupleIJNSA_6TensorESF_SF_EERKSF_lbbbEUlllE_EE10hipError_tT0_T1_T2_jT3_P12ihipStream_tbPNSt15iterator_traitsISL_E10value_typeEPNSR_ISM_E10value_typeEPSN_NS1_7vsmem_tEENKUlT_SL_SM_SN_E_clIS8_S8_S9_S9_EESK_S10_SL_SM_SN_EUlS10_E0_NS1_11comp_targetILNS1_3genE5ELNS1_11target_archE942ELNS1_3gpuE9ELNS1_3repE0EEENS1_38merge_mergepath_config_static_selectorELNS0_4arch9wavefront6targetE1EEEvSM_,comdat
	.globl	_ZN7rocprim17ROCPRIM_400000_NS6detail17trampoline_kernelINS0_14default_configENS1_38merge_sort_block_merge_config_selectorIlNS0_10empty_typeEEEZZNS1_27merge_sort_block_merge_implIS3_PlPS5_mZN2at6native12_GLOBAL__N_124unique_dim_cuda_templateIbEESt5tupleIJNSA_6TensorESF_SF_EERKSF_lbbbEUlllE_EE10hipError_tT0_T1_T2_jT3_P12ihipStream_tbPNSt15iterator_traitsISL_E10value_typeEPNSR_ISM_E10value_typeEPSN_NS1_7vsmem_tEENKUlT_SL_SM_SN_E_clIS8_S8_S9_S9_EESK_S10_SL_SM_SN_EUlS10_E0_NS1_11comp_targetILNS1_3genE5ELNS1_11target_archE942ELNS1_3gpuE9ELNS1_3repE0EEENS1_38merge_mergepath_config_static_selectorELNS0_4arch9wavefront6targetE1EEEvSM_ ; -- Begin function _ZN7rocprim17ROCPRIM_400000_NS6detail17trampoline_kernelINS0_14default_configENS1_38merge_sort_block_merge_config_selectorIlNS0_10empty_typeEEEZZNS1_27merge_sort_block_merge_implIS3_PlPS5_mZN2at6native12_GLOBAL__N_124unique_dim_cuda_templateIbEESt5tupleIJNSA_6TensorESF_SF_EERKSF_lbbbEUlllE_EE10hipError_tT0_T1_T2_jT3_P12ihipStream_tbPNSt15iterator_traitsISL_E10value_typeEPNSR_ISM_E10value_typeEPSN_NS1_7vsmem_tEENKUlT_SL_SM_SN_E_clIS8_S8_S9_S9_EESK_S10_SL_SM_SN_EUlS10_E0_NS1_11comp_targetILNS1_3genE5ELNS1_11target_archE942ELNS1_3gpuE9ELNS1_3repE0EEENS1_38merge_mergepath_config_static_selectorELNS0_4arch9wavefront6targetE1EEEvSM_
	.p2align	8
	.type	_ZN7rocprim17ROCPRIM_400000_NS6detail17trampoline_kernelINS0_14default_configENS1_38merge_sort_block_merge_config_selectorIlNS0_10empty_typeEEEZZNS1_27merge_sort_block_merge_implIS3_PlPS5_mZN2at6native12_GLOBAL__N_124unique_dim_cuda_templateIbEESt5tupleIJNSA_6TensorESF_SF_EERKSF_lbbbEUlllE_EE10hipError_tT0_T1_T2_jT3_P12ihipStream_tbPNSt15iterator_traitsISL_E10value_typeEPNSR_ISM_E10value_typeEPSN_NS1_7vsmem_tEENKUlT_SL_SM_SN_E_clIS8_S8_S9_S9_EESK_S10_SL_SM_SN_EUlS10_E0_NS1_11comp_targetILNS1_3genE5ELNS1_11target_archE942ELNS1_3gpuE9ELNS1_3repE0EEENS1_38merge_mergepath_config_static_selectorELNS0_4arch9wavefront6targetE1EEEvSM_,@function
_ZN7rocprim17ROCPRIM_400000_NS6detail17trampoline_kernelINS0_14default_configENS1_38merge_sort_block_merge_config_selectorIlNS0_10empty_typeEEEZZNS1_27merge_sort_block_merge_implIS3_PlPS5_mZN2at6native12_GLOBAL__N_124unique_dim_cuda_templateIbEESt5tupleIJNSA_6TensorESF_SF_EERKSF_lbbbEUlllE_EE10hipError_tT0_T1_T2_jT3_P12ihipStream_tbPNSt15iterator_traitsISL_E10value_typeEPNSR_ISM_E10value_typeEPSN_NS1_7vsmem_tEENKUlT_SL_SM_SN_E_clIS8_S8_S9_S9_EESK_S10_SL_SM_SN_EUlS10_E0_NS1_11comp_targetILNS1_3genE5ELNS1_11target_archE942ELNS1_3gpuE9ELNS1_3repE0EEENS1_38merge_mergepath_config_static_selectorELNS0_4arch9wavefront6targetE1EEEvSM_: ; @_ZN7rocprim17ROCPRIM_400000_NS6detail17trampoline_kernelINS0_14default_configENS1_38merge_sort_block_merge_config_selectorIlNS0_10empty_typeEEEZZNS1_27merge_sort_block_merge_implIS3_PlPS5_mZN2at6native12_GLOBAL__N_124unique_dim_cuda_templateIbEESt5tupleIJNSA_6TensorESF_SF_EERKSF_lbbbEUlllE_EE10hipError_tT0_T1_T2_jT3_P12ihipStream_tbPNSt15iterator_traitsISL_E10value_typeEPNSR_ISM_E10value_typeEPSN_NS1_7vsmem_tEENKUlT_SL_SM_SN_E_clIS8_S8_S9_S9_EESK_S10_SL_SM_SN_EUlS10_E0_NS1_11comp_targetILNS1_3genE5ELNS1_11target_archE942ELNS1_3gpuE9ELNS1_3repE0EEENS1_38merge_mergepath_config_static_selectorELNS0_4arch9wavefront6targetE1EEEvSM_
; %bb.0:
	.section	.rodata,"a",@progbits
	.p2align	6, 0x0
	.amdhsa_kernel _ZN7rocprim17ROCPRIM_400000_NS6detail17trampoline_kernelINS0_14default_configENS1_38merge_sort_block_merge_config_selectorIlNS0_10empty_typeEEEZZNS1_27merge_sort_block_merge_implIS3_PlPS5_mZN2at6native12_GLOBAL__N_124unique_dim_cuda_templateIbEESt5tupleIJNSA_6TensorESF_SF_EERKSF_lbbbEUlllE_EE10hipError_tT0_T1_T2_jT3_P12ihipStream_tbPNSt15iterator_traitsISL_E10value_typeEPNSR_ISM_E10value_typeEPSN_NS1_7vsmem_tEENKUlT_SL_SM_SN_E_clIS8_S8_S9_S9_EESK_S10_SL_SM_SN_EUlS10_E0_NS1_11comp_targetILNS1_3genE5ELNS1_11target_archE942ELNS1_3gpuE9ELNS1_3repE0EEENS1_38merge_mergepath_config_static_selectorELNS0_4arch9wavefront6targetE1EEEvSM_
		.amdhsa_group_segment_fixed_size 0
		.amdhsa_private_segment_fixed_size 0
		.amdhsa_kernarg_size 88
		.amdhsa_user_sgpr_count 2
		.amdhsa_user_sgpr_dispatch_ptr 0
		.amdhsa_user_sgpr_queue_ptr 0
		.amdhsa_user_sgpr_kernarg_segment_ptr 1
		.amdhsa_user_sgpr_dispatch_id 0
		.amdhsa_user_sgpr_kernarg_preload_length 0
		.amdhsa_user_sgpr_kernarg_preload_offset 0
		.amdhsa_user_sgpr_private_segment_size 0
		.amdhsa_uses_dynamic_stack 0
		.amdhsa_enable_private_segment 0
		.amdhsa_system_sgpr_workgroup_id_x 1
		.amdhsa_system_sgpr_workgroup_id_y 0
		.amdhsa_system_sgpr_workgroup_id_z 0
		.amdhsa_system_sgpr_workgroup_info 0
		.amdhsa_system_vgpr_workitem_id 0
		.amdhsa_next_free_vgpr 1
		.amdhsa_next_free_sgpr 0
		.amdhsa_accum_offset 4
		.amdhsa_reserve_vcc 0
		.amdhsa_float_round_mode_32 0
		.amdhsa_float_round_mode_16_64 0
		.amdhsa_float_denorm_mode_32 3
		.amdhsa_float_denorm_mode_16_64 3
		.amdhsa_dx10_clamp 1
		.amdhsa_ieee_mode 1
		.amdhsa_fp16_overflow 0
		.amdhsa_tg_split 0
		.amdhsa_exception_fp_ieee_invalid_op 0
		.amdhsa_exception_fp_denorm_src 0
		.amdhsa_exception_fp_ieee_div_zero 0
		.amdhsa_exception_fp_ieee_overflow 0
		.amdhsa_exception_fp_ieee_underflow 0
		.amdhsa_exception_fp_ieee_inexact 0
		.amdhsa_exception_int_div_zero 0
	.end_amdhsa_kernel
	.section	.text._ZN7rocprim17ROCPRIM_400000_NS6detail17trampoline_kernelINS0_14default_configENS1_38merge_sort_block_merge_config_selectorIlNS0_10empty_typeEEEZZNS1_27merge_sort_block_merge_implIS3_PlPS5_mZN2at6native12_GLOBAL__N_124unique_dim_cuda_templateIbEESt5tupleIJNSA_6TensorESF_SF_EERKSF_lbbbEUlllE_EE10hipError_tT0_T1_T2_jT3_P12ihipStream_tbPNSt15iterator_traitsISL_E10value_typeEPNSR_ISM_E10value_typeEPSN_NS1_7vsmem_tEENKUlT_SL_SM_SN_E_clIS8_S8_S9_S9_EESK_S10_SL_SM_SN_EUlS10_E0_NS1_11comp_targetILNS1_3genE5ELNS1_11target_archE942ELNS1_3gpuE9ELNS1_3repE0EEENS1_38merge_mergepath_config_static_selectorELNS0_4arch9wavefront6targetE1EEEvSM_,"axG",@progbits,_ZN7rocprim17ROCPRIM_400000_NS6detail17trampoline_kernelINS0_14default_configENS1_38merge_sort_block_merge_config_selectorIlNS0_10empty_typeEEEZZNS1_27merge_sort_block_merge_implIS3_PlPS5_mZN2at6native12_GLOBAL__N_124unique_dim_cuda_templateIbEESt5tupleIJNSA_6TensorESF_SF_EERKSF_lbbbEUlllE_EE10hipError_tT0_T1_T2_jT3_P12ihipStream_tbPNSt15iterator_traitsISL_E10value_typeEPNSR_ISM_E10value_typeEPSN_NS1_7vsmem_tEENKUlT_SL_SM_SN_E_clIS8_S8_S9_S9_EESK_S10_SL_SM_SN_EUlS10_E0_NS1_11comp_targetILNS1_3genE5ELNS1_11target_archE942ELNS1_3gpuE9ELNS1_3repE0EEENS1_38merge_mergepath_config_static_selectorELNS0_4arch9wavefront6targetE1EEEvSM_,comdat
.Lfunc_end1012:
	.size	_ZN7rocprim17ROCPRIM_400000_NS6detail17trampoline_kernelINS0_14default_configENS1_38merge_sort_block_merge_config_selectorIlNS0_10empty_typeEEEZZNS1_27merge_sort_block_merge_implIS3_PlPS5_mZN2at6native12_GLOBAL__N_124unique_dim_cuda_templateIbEESt5tupleIJNSA_6TensorESF_SF_EERKSF_lbbbEUlllE_EE10hipError_tT0_T1_T2_jT3_P12ihipStream_tbPNSt15iterator_traitsISL_E10value_typeEPNSR_ISM_E10value_typeEPSN_NS1_7vsmem_tEENKUlT_SL_SM_SN_E_clIS8_S8_S9_S9_EESK_S10_SL_SM_SN_EUlS10_E0_NS1_11comp_targetILNS1_3genE5ELNS1_11target_archE942ELNS1_3gpuE9ELNS1_3repE0EEENS1_38merge_mergepath_config_static_selectorELNS0_4arch9wavefront6targetE1EEEvSM_, .Lfunc_end1012-_ZN7rocprim17ROCPRIM_400000_NS6detail17trampoline_kernelINS0_14default_configENS1_38merge_sort_block_merge_config_selectorIlNS0_10empty_typeEEEZZNS1_27merge_sort_block_merge_implIS3_PlPS5_mZN2at6native12_GLOBAL__N_124unique_dim_cuda_templateIbEESt5tupleIJNSA_6TensorESF_SF_EERKSF_lbbbEUlllE_EE10hipError_tT0_T1_T2_jT3_P12ihipStream_tbPNSt15iterator_traitsISL_E10value_typeEPNSR_ISM_E10value_typeEPSN_NS1_7vsmem_tEENKUlT_SL_SM_SN_E_clIS8_S8_S9_S9_EESK_S10_SL_SM_SN_EUlS10_E0_NS1_11comp_targetILNS1_3genE5ELNS1_11target_archE942ELNS1_3gpuE9ELNS1_3repE0EEENS1_38merge_mergepath_config_static_selectorELNS0_4arch9wavefront6targetE1EEEvSM_
                                        ; -- End function
	.set _ZN7rocprim17ROCPRIM_400000_NS6detail17trampoline_kernelINS0_14default_configENS1_38merge_sort_block_merge_config_selectorIlNS0_10empty_typeEEEZZNS1_27merge_sort_block_merge_implIS3_PlPS5_mZN2at6native12_GLOBAL__N_124unique_dim_cuda_templateIbEESt5tupleIJNSA_6TensorESF_SF_EERKSF_lbbbEUlllE_EE10hipError_tT0_T1_T2_jT3_P12ihipStream_tbPNSt15iterator_traitsISL_E10value_typeEPNSR_ISM_E10value_typeEPSN_NS1_7vsmem_tEENKUlT_SL_SM_SN_E_clIS8_S8_S9_S9_EESK_S10_SL_SM_SN_EUlS10_E0_NS1_11comp_targetILNS1_3genE5ELNS1_11target_archE942ELNS1_3gpuE9ELNS1_3repE0EEENS1_38merge_mergepath_config_static_selectorELNS0_4arch9wavefront6targetE1EEEvSM_.num_vgpr, 0
	.set _ZN7rocprim17ROCPRIM_400000_NS6detail17trampoline_kernelINS0_14default_configENS1_38merge_sort_block_merge_config_selectorIlNS0_10empty_typeEEEZZNS1_27merge_sort_block_merge_implIS3_PlPS5_mZN2at6native12_GLOBAL__N_124unique_dim_cuda_templateIbEESt5tupleIJNSA_6TensorESF_SF_EERKSF_lbbbEUlllE_EE10hipError_tT0_T1_T2_jT3_P12ihipStream_tbPNSt15iterator_traitsISL_E10value_typeEPNSR_ISM_E10value_typeEPSN_NS1_7vsmem_tEENKUlT_SL_SM_SN_E_clIS8_S8_S9_S9_EESK_S10_SL_SM_SN_EUlS10_E0_NS1_11comp_targetILNS1_3genE5ELNS1_11target_archE942ELNS1_3gpuE9ELNS1_3repE0EEENS1_38merge_mergepath_config_static_selectorELNS0_4arch9wavefront6targetE1EEEvSM_.num_agpr, 0
	.set _ZN7rocprim17ROCPRIM_400000_NS6detail17trampoline_kernelINS0_14default_configENS1_38merge_sort_block_merge_config_selectorIlNS0_10empty_typeEEEZZNS1_27merge_sort_block_merge_implIS3_PlPS5_mZN2at6native12_GLOBAL__N_124unique_dim_cuda_templateIbEESt5tupleIJNSA_6TensorESF_SF_EERKSF_lbbbEUlllE_EE10hipError_tT0_T1_T2_jT3_P12ihipStream_tbPNSt15iterator_traitsISL_E10value_typeEPNSR_ISM_E10value_typeEPSN_NS1_7vsmem_tEENKUlT_SL_SM_SN_E_clIS8_S8_S9_S9_EESK_S10_SL_SM_SN_EUlS10_E0_NS1_11comp_targetILNS1_3genE5ELNS1_11target_archE942ELNS1_3gpuE9ELNS1_3repE0EEENS1_38merge_mergepath_config_static_selectorELNS0_4arch9wavefront6targetE1EEEvSM_.numbered_sgpr, 0
	.set _ZN7rocprim17ROCPRIM_400000_NS6detail17trampoline_kernelINS0_14default_configENS1_38merge_sort_block_merge_config_selectorIlNS0_10empty_typeEEEZZNS1_27merge_sort_block_merge_implIS3_PlPS5_mZN2at6native12_GLOBAL__N_124unique_dim_cuda_templateIbEESt5tupleIJNSA_6TensorESF_SF_EERKSF_lbbbEUlllE_EE10hipError_tT0_T1_T2_jT3_P12ihipStream_tbPNSt15iterator_traitsISL_E10value_typeEPNSR_ISM_E10value_typeEPSN_NS1_7vsmem_tEENKUlT_SL_SM_SN_E_clIS8_S8_S9_S9_EESK_S10_SL_SM_SN_EUlS10_E0_NS1_11comp_targetILNS1_3genE5ELNS1_11target_archE942ELNS1_3gpuE9ELNS1_3repE0EEENS1_38merge_mergepath_config_static_selectorELNS0_4arch9wavefront6targetE1EEEvSM_.num_named_barrier, 0
	.set _ZN7rocprim17ROCPRIM_400000_NS6detail17trampoline_kernelINS0_14default_configENS1_38merge_sort_block_merge_config_selectorIlNS0_10empty_typeEEEZZNS1_27merge_sort_block_merge_implIS3_PlPS5_mZN2at6native12_GLOBAL__N_124unique_dim_cuda_templateIbEESt5tupleIJNSA_6TensorESF_SF_EERKSF_lbbbEUlllE_EE10hipError_tT0_T1_T2_jT3_P12ihipStream_tbPNSt15iterator_traitsISL_E10value_typeEPNSR_ISM_E10value_typeEPSN_NS1_7vsmem_tEENKUlT_SL_SM_SN_E_clIS8_S8_S9_S9_EESK_S10_SL_SM_SN_EUlS10_E0_NS1_11comp_targetILNS1_3genE5ELNS1_11target_archE942ELNS1_3gpuE9ELNS1_3repE0EEENS1_38merge_mergepath_config_static_selectorELNS0_4arch9wavefront6targetE1EEEvSM_.private_seg_size, 0
	.set _ZN7rocprim17ROCPRIM_400000_NS6detail17trampoline_kernelINS0_14default_configENS1_38merge_sort_block_merge_config_selectorIlNS0_10empty_typeEEEZZNS1_27merge_sort_block_merge_implIS3_PlPS5_mZN2at6native12_GLOBAL__N_124unique_dim_cuda_templateIbEESt5tupleIJNSA_6TensorESF_SF_EERKSF_lbbbEUlllE_EE10hipError_tT0_T1_T2_jT3_P12ihipStream_tbPNSt15iterator_traitsISL_E10value_typeEPNSR_ISM_E10value_typeEPSN_NS1_7vsmem_tEENKUlT_SL_SM_SN_E_clIS8_S8_S9_S9_EESK_S10_SL_SM_SN_EUlS10_E0_NS1_11comp_targetILNS1_3genE5ELNS1_11target_archE942ELNS1_3gpuE9ELNS1_3repE0EEENS1_38merge_mergepath_config_static_selectorELNS0_4arch9wavefront6targetE1EEEvSM_.uses_vcc, 0
	.set _ZN7rocprim17ROCPRIM_400000_NS6detail17trampoline_kernelINS0_14default_configENS1_38merge_sort_block_merge_config_selectorIlNS0_10empty_typeEEEZZNS1_27merge_sort_block_merge_implIS3_PlPS5_mZN2at6native12_GLOBAL__N_124unique_dim_cuda_templateIbEESt5tupleIJNSA_6TensorESF_SF_EERKSF_lbbbEUlllE_EE10hipError_tT0_T1_T2_jT3_P12ihipStream_tbPNSt15iterator_traitsISL_E10value_typeEPNSR_ISM_E10value_typeEPSN_NS1_7vsmem_tEENKUlT_SL_SM_SN_E_clIS8_S8_S9_S9_EESK_S10_SL_SM_SN_EUlS10_E0_NS1_11comp_targetILNS1_3genE5ELNS1_11target_archE942ELNS1_3gpuE9ELNS1_3repE0EEENS1_38merge_mergepath_config_static_selectorELNS0_4arch9wavefront6targetE1EEEvSM_.uses_flat_scratch, 0
	.set _ZN7rocprim17ROCPRIM_400000_NS6detail17trampoline_kernelINS0_14default_configENS1_38merge_sort_block_merge_config_selectorIlNS0_10empty_typeEEEZZNS1_27merge_sort_block_merge_implIS3_PlPS5_mZN2at6native12_GLOBAL__N_124unique_dim_cuda_templateIbEESt5tupleIJNSA_6TensorESF_SF_EERKSF_lbbbEUlllE_EE10hipError_tT0_T1_T2_jT3_P12ihipStream_tbPNSt15iterator_traitsISL_E10value_typeEPNSR_ISM_E10value_typeEPSN_NS1_7vsmem_tEENKUlT_SL_SM_SN_E_clIS8_S8_S9_S9_EESK_S10_SL_SM_SN_EUlS10_E0_NS1_11comp_targetILNS1_3genE5ELNS1_11target_archE942ELNS1_3gpuE9ELNS1_3repE0EEENS1_38merge_mergepath_config_static_selectorELNS0_4arch9wavefront6targetE1EEEvSM_.has_dyn_sized_stack, 0
	.set _ZN7rocprim17ROCPRIM_400000_NS6detail17trampoline_kernelINS0_14default_configENS1_38merge_sort_block_merge_config_selectorIlNS0_10empty_typeEEEZZNS1_27merge_sort_block_merge_implIS3_PlPS5_mZN2at6native12_GLOBAL__N_124unique_dim_cuda_templateIbEESt5tupleIJNSA_6TensorESF_SF_EERKSF_lbbbEUlllE_EE10hipError_tT0_T1_T2_jT3_P12ihipStream_tbPNSt15iterator_traitsISL_E10value_typeEPNSR_ISM_E10value_typeEPSN_NS1_7vsmem_tEENKUlT_SL_SM_SN_E_clIS8_S8_S9_S9_EESK_S10_SL_SM_SN_EUlS10_E0_NS1_11comp_targetILNS1_3genE5ELNS1_11target_archE942ELNS1_3gpuE9ELNS1_3repE0EEENS1_38merge_mergepath_config_static_selectorELNS0_4arch9wavefront6targetE1EEEvSM_.has_recursion, 0
	.set _ZN7rocprim17ROCPRIM_400000_NS6detail17trampoline_kernelINS0_14default_configENS1_38merge_sort_block_merge_config_selectorIlNS0_10empty_typeEEEZZNS1_27merge_sort_block_merge_implIS3_PlPS5_mZN2at6native12_GLOBAL__N_124unique_dim_cuda_templateIbEESt5tupleIJNSA_6TensorESF_SF_EERKSF_lbbbEUlllE_EE10hipError_tT0_T1_T2_jT3_P12ihipStream_tbPNSt15iterator_traitsISL_E10value_typeEPNSR_ISM_E10value_typeEPSN_NS1_7vsmem_tEENKUlT_SL_SM_SN_E_clIS8_S8_S9_S9_EESK_S10_SL_SM_SN_EUlS10_E0_NS1_11comp_targetILNS1_3genE5ELNS1_11target_archE942ELNS1_3gpuE9ELNS1_3repE0EEENS1_38merge_mergepath_config_static_selectorELNS0_4arch9wavefront6targetE1EEEvSM_.has_indirect_call, 0
	.section	.AMDGPU.csdata,"",@progbits
; Kernel info:
; codeLenInByte = 0
; TotalNumSgprs: 6
; NumVgprs: 0
; NumAgprs: 0
; TotalNumVgprs: 0
; ScratchSize: 0
; MemoryBound: 0
; FloatMode: 240
; IeeeMode: 1
; LDSByteSize: 0 bytes/workgroup (compile time only)
; SGPRBlocks: 0
; VGPRBlocks: 0
; NumSGPRsForWavesPerEU: 6
; NumVGPRsForWavesPerEU: 1
; AccumOffset: 4
; Occupancy: 8
; WaveLimiterHint : 0
; COMPUTE_PGM_RSRC2:SCRATCH_EN: 0
; COMPUTE_PGM_RSRC2:USER_SGPR: 2
; COMPUTE_PGM_RSRC2:TRAP_HANDLER: 0
; COMPUTE_PGM_RSRC2:TGID_X_EN: 1
; COMPUTE_PGM_RSRC2:TGID_Y_EN: 0
; COMPUTE_PGM_RSRC2:TGID_Z_EN: 0
; COMPUTE_PGM_RSRC2:TIDIG_COMP_CNT: 0
; COMPUTE_PGM_RSRC3_GFX90A:ACCUM_OFFSET: 0
; COMPUTE_PGM_RSRC3_GFX90A:TG_SPLIT: 0
	.section	.text._ZN7rocprim17ROCPRIM_400000_NS6detail17trampoline_kernelINS0_14default_configENS1_38merge_sort_block_merge_config_selectorIlNS0_10empty_typeEEEZZNS1_27merge_sort_block_merge_implIS3_PlPS5_mZN2at6native12_GLOBAL__N_124unique_dim_cuda_templateIbEESt5tupleIJNSA_6TensorESF_SF_EERKSF_lbbbEUlllE_EE10hipError_tT0_T1_T2_jT3_P12ihipStream_tbPNSt15iterator_traitsISL_E10value_typeEPNSR_ISM_E10value_typeEPSN_NS1_7vsmem_tEENKUlT_SL_SM_SN_E_clIS8_S8_S9_S9_EESK_S10_SL_SM_SN_EUlS10_E0_NS1_11comp_targetILNS1_3genE4ELNS1_11target_archE910ELNS1_3gpuE8ELNS1_3repE0EEENS1_38merge_mergepath_config_static_selectorELNS0_4arch9wavefront6targetE1EEEvSM_,"axG",@progbits,_ZN7rocprim17ROCPRIM_400000_NS6detail17trampoline_kernelINS0_14default_configENS1_38merge_sort_block_merge_config_selectorIlNS0_10empty_typeEEEZZNS1_27merge_sort_block_merge_implIS3_PlPS5_mZN2at6native12_GLOBAL__N_124unique_dim_cuda_templateIbEESt5tupleIJNSA_6TensorESF_SF_EERKSF_lbbbEUlllE_EE10hipError_tT0_T1_T2_jT3_P12ihipStream_tbPNSt15iterator_traitsISL_E10value_typeEPNSR_ISM_E10value_typeEPSN_NS1_7vsmem_tEENKUlT_SL_SM_SN_E_clIS8_S8_S9_S9_EESK_S10_SL_SM_SN_EUlS10_E0_NS1_11comp_targetILNS1_3genE4ELNS1_11target_archE910ELNS1_3gpuE8ELNS1_3repE0EEENS1_38merge_mergepath_config_static_selectorELNS0_4arch9wavefront6targetE1EEEvSM_,comdat
	.globl	_ZN7rocprim17ROCPRIM_400000_NS6detail17trampoline_kernelINS0_14default_configENS1_38merge_sort_block_merge_config_selectorIlNS0_10empty_typeEEEZZNS1_27merge_sort_block_merge_implIS3_PlPS5_mZN2at6native12_GLOBAL__N_124unique_dim_cuda_templateIbEESt5tupleIJNSA_6TensorESF_SF_EERKSF_lbbbEUlllE_EE10hipError_tT0_T1_T2_jT3_P12ihipStream_tbPNSt15iterator_traitsISL_E10value_typeEPNSR_ISM_E10value_typeEPSN_NS1_7vsmem_tEENKUlT_SL_SM_SN_E_clIS8_S8_S9_S9_EESK_S10_SL_SM_SN_EUlS10_E0_NS1_11comp_targetILNS1_3genE4ELNS1_11target_archE910ELNS1_3gpuE8ELNS1_3repE0EEENS1_38merge_mergepath_config_static_selectorELNS0_4arch9wavefront6targetE1EEEvSM_ ; -- Begin function _ZN7rocprim17ROCPRIM_400000_NS6detail17trampoline_kernelINS0_14default_configENS1_38merge_sort_block_merge_config_selectorIlNS0_10empty_typeEEEZZNS1_27merge_sort_block_merge_implIS3_PlPS5_mZN2at6native12_GLOBAL__N_124unique_dim_cuda_templateIbEESt5tupleIJNSA_6TensorESF_SF_EERKSF_lbbbEUlllE_EE10hipError_tT0_T1_T2_jT3_P12ihipStream_tbPNSt15iterator_traitsISL_E10value_typeEPNSR_ISM_E10value_typeEPSN_NS1_7vsmem_tEENKUlT_SL_SM_SN_E_clIS8_S8_S9_S9_EESK_S10_SL_SM_SN_EUlS10_E0_NS1_11comp_targetILNS1_3genE4ELNS1_11target_archE910ELNS1_3gpuE8ELNS1_3repE0EEENS1_38merge_mergepath_config_static_selectorELNS0_4arch9wavefront6targetE1EEEvSM_
	.p2align	8
	.type	_ZN7rocprim17ROCPRIM_400000_NS6detail17trampoline_kernelINS0_14default_configENS1_38merge_sort_block_merge_config_selectorIlNS0_10empty_typeEEEZZNS1_27merge_sort_block_merge_implIS3_PlPS5_mZN2at6native12_GLOBAL__N_124unique_dim_cuda_templateIbEESt5tupleIJNSA_6TensorESF_SF_EERKSF_lbbbEUlllE_EE10hipError_tT0_T1_T2_jT3_P12ihipStream_tbPNSt15iterator_traitsISL_E10value_typeEPNSR_ISM_E10value_typeEPSN_NS1_7vsmem_tEENKUlT_SL_SM_SN_E_clIS8_S8_S9_S9_EESK_S10_SL_SM_SN_EUlS10_E0_NS1_11comp_targetILNS1_3genE4ELNS1_11target_archE910ELNS1_3gpuE8ELNS1_3repE0EEENS1_38merge_mergepath_config_static_selectorELNS0_4arch9wavefront6targetE1EEEvSM_,@function
_ZN7rocprim17ROCPRIM_400000_NS6detail17trampoline_kernelINS0_14default_configENS1_38merge_sort_block_merge_config_selectorIlNS0_10empty_typeEEEZZNS1_27merge_sort_block_merge_implIS3_PlPS5_mZN2at6native12_GLOBAL__N_124unique_dim_cuda_templateIbEESt5tupleIJNSA_6TensorESF_SF_EERKSF_lbbbEUlllE_EE10hipError_tT0_T1_T2_jT3_P12ihipStream_tbPNSt15iterator_traitsISL_E10value_typeEPNSR_ISM_E10value_typeEPSN_NS1_7vsmem_tEENKUlT_SL_SM_SN_E_clIS8_S8_S9_S9_EESK_S10_SL_SM_SN_EUlS10_E0_NS1_11comp_targetILNS1_3genE4ELNS1_11target_archE910ELNS1_3gpuE8ELNS1_3repE0EEENS1_38merge_mergepath_config_static_selectorELNS0_4arch9wavefront6targetE1EEEvSM_: ; @_ZN7rocprim17ROCPRIM_400000_NS6detail17trampoline_kernelINS0_14default_configENS1_38merge_sort_block_merge_config_selectorIlNS0_10empty_typeEEEZZNS1_27merge_sort_block_merge_implIS3_PlPS5_mZN2at6native12_GLOBAL__N_124unique_dim_cuda_templateIbEESt5tupleIJNSA_6TensorESF_SF_EERKSF_lbbbEUlllE_EE10hipError_tT0_T1_T2_jT3_P12ihipStream_tbPNSt15iterator_traitsISL_E10value_typeEPNSR_ISM_E10value_typeEPSN_NS1_7vsmem_tEENKUlT_SL_SM_SN_E_clIS8_S8_S9_S9_EESK_S10_SL_SM_SN_EUlS10_E0_NS1_11comp_targetILNS1_3genE4ELNS1_11target_archE910ELNS1_3gpuE8ELNS1_3repE0EEENS1_38merge_mergepath_config_static_selectorELNS0_4arch9wavefront6targetE1EEEvSM_
; %bb.0:
	.section	.rodata,"a",@progbits
	.p2align	6, 0x0
	.amdhsa_kernel _ZN7rocprim17ROCPRIM_400000_NS6detail17trampoline_kernelINS0_14default_configENS1_38merge_sort_block_merge_config_selectorIlNS0_10empty_typeEEEZZNS1_27merge_sort_block_merge_implIS3_PlPS5_mZN2at6native12_GLOBAL__N_124unique_dim_cuda_templateIbEESt5tupleIJNSA_6TensorESF_SF_EERKSF_lbbbEUlllE_EE10hipError_tT0_T1_T2_jT3_P12ihipStream_tbPNSt15iterator_traitsISL_E10value_typeEPNSR_ISM_E10value_typeEPSN_NS1_7vsmem_tEENKUlT_SL_SM_SN_E_clIS8_S8_S9_S9_EESK_S10_SL_SM_SN_EUlS10_E0_NS1_11comp_targetILNS1_3genE4ELNS1_11target_archE910ELNS1_3gpuE8ELNS1_3repE0EEENS1_38merge_mergepath_config_static_selectorELNS0_4arch9wavefront6targetE1EEEvSM_
		.amdhsa_group_segment_fixed_size 0
		.amdhsa_private_segment_fixed_size 0
		.amdhsa_kernarg_size 88
		.amdhsa_user_sgpr_count 2
		.amdhsa_user_sgpr_dispatch_ptr 0
		.amdhsa_user_sgpr_queue_ptr 0
		.amdhsa_user_sgpr_kernarg_segment_ptr 1
		.amdhsa_user_sgpr_dispatch_id 0
		.amdhsa_user_sgpr_kernarg_preload_length 0
		.amdhsa_user_sgpr_kernarg_preload_offset 0
		.amdhsa_user_sgpr_private_segment_size 0
		.amdhsa_uses_dynamic_stack 0
		.amdhsa_enable_private_segment 0
		.amdhsa_system_sgpr_workgroup_id_x 1
		.amdhsa_system_sgpr_workgroup_id_y 0
		.amdhsa_system_sgpr_workgroup_id_z 0
		.amdhsa_system_sgpr_workgroup_info 0
		.amdhsa_system_vgpr_workitem_id 0
		.amdhsa_next_free_vgpr 1
		.amdhsa_next_free_sgpr 0
		.amdhsa_accum_offset 4
		.amdhsa_reserve_vcc 0
		.amdhsa_float_round_mode_32 0
		.amdhsa_float_round_mode_16_64 0
		.amdhsa_float_denorm_mode_32 3
		.amdhsa_float_denorm_mode_16_64 3
		.amdhsa_dx10_clamp 1
		.amdhsa_ieee_mode 1
		.amdhsa_fp16_overflow 0
		.amdhsa_tg_split 0
		.amdhsa_exception_fp_ieee_invalid_op 0
		.amdhsa_exception_fp_denorm_src 0
		.amdhsa_exception_fp_ieee_div_zero 0
		.amdhsa_exception_fp_ieee_overflow 0
		.amdhsa_exception_fp_ieee_underflow 0
		.amdhsa_exception_fp_ieee_inexact 0
		.amdhsa_exception_int_div_zero 0
	.end_amdhsa_kernel
	.section	.text._ZN7rocprim17ROCPRIM_400000_NS6detail17trampoline_kernelINS0_14default_configENS1_38merge_sort_block_merge_config_selectorIlNS0_10empty_typeEEEZZNS1_27merge_sort_block_merge_implIS3_PlPS5_mZN2at6native12_GLOBAL__N_124unique_dim_cuda_templateIbEESt5tupleIJNSA_6TensorESF_SF_EERKSF_lbbbEUlllE_EE10hipError_tT0_T1_T2_jT3_P12ihipStream_tbPNSt15iterator_traitsISL_E10value_typeEPNSR_ISM_E10value_typeEPSN_NS1_7vsmem_tEENKUlT_SL_SM_SN_E_clIS8_S8_S9_S9_EESK_S10_SL_SM_SN_EUlS10_E0_NS1_11comp_targetILNS1_3genE4ELNS1_11target_archE910ELNS1_3gpuE8ELNS1_3repE0EEENS1_38merge_mergepath_config_static_selectorELNS0_4arch9wavefront6targetE1EEEvSM_,"axG",@progbits,_ZN7rocprim17ROCPRIM_400000_NS6detail17trampoline_kernelINS0_14default_configENS1_38merge_sort_block_merge_config_selectorIlNS0_10empty_typeEEEZZNS1_27merge_sort_block_merge_implIS3_PlPS5_mZN2at6native12_GLOBAL__N_124unique_dim_cuda_templateIbEESt5tupleIJNSA_6TensorESF_SF_EERKSF_lbbbEUlllE_EE10hipError_tT0_T1_T2_jT3_P12ihipStream_tbPNSt15iterator_traitsISL_E10value_typeEPNSR_ISM_E10value_typeEPSN_NS1_7vsmem_tEENKUlT_SL_SM_SN_E_clIS8_S8_S9_S9_EESK_S10_SL_SM_SN_EUlS10_E0_NS1_11comp_targetILNS1_3genE4ELNS1_11target_archE910ELNS1_3gpuE8ELNS1_3repE0EEENS1_38merge_mergepath_config_static_selectorELNS0_4arch9wavefront6targetE1EEEvSM_,comdat
.Lfunc_end1013:
	.size	_ZN7rocprim17ROCPRIM_400000_NS6detail17trampoline_kernelINS0_14default_configENS1_38merge_sort_block_merge_config_selectorIlNS0_10empty_typeEEEZZNS1_27merge_sort_block_merge_implIS3_PlPS5_mZN2at6native12_GLOBAL__N_124unique_dim_cuda_templateIbEESt5tupleIJNSA_6TensorESF_SF_EERKSF_lbbbEUlllE_EE10hipError_tT0_T1_T2_jT3_P12ihipStream_tbPNSt15iterator_traitsISL_E10value_typeEPNSR_ISM_E10value_typeEPSN_NS1_7vsmem_tEENKUlT_SL_SM_SN_E_clIS8_S8_S9_S9_EESK_S10_SL_SM_SN_EUlS10_E0_NS1_11comp_targetILNS1_3genE4ELNS1_11target_archE910ELNS1_3gpuE8ELNS1_3repE0EEENS1_38merge_mergepath_config_static_selectorELNS0_4arch9wavefront6targetE1EEEvSM_, .Lfunc_end1013-_ZN7rocprim17ROCPRIM_400000_NS6detail17trampoline_kernelINS0_14default_configENS1_38merge_sort_block_merge_config_selectorIlNS0_10empty_typeEEEZZNS1_27merge_sort_block_merge_implIS3_PlPS5_mZN2at6native12_GLOBAL__N_124unique_dim_cuda_templateIbEESt5tupleIJNSA_6TensorESF_SF_EERKSF_lbbbEUlllE_EE10hipError_tT0_T1_T2_jT3_P12ihipStream_tbPNSt15iterator_traitsISL_E10value_typeEPNSR_ISM_E10value_typeEPSN_NS1_7vsmem_tEENKUlT_SL_SM_SN_E_clIS8_S8_S9_S9_EESK_S10_SL_SM_SN_EUlS10_E0_NS1_11comp_targetILNS1_3genE4ELNS1_11target_archE910ELNS1_3gpuE8ELNS1_3repE0EEENS1_38merge_mergepath_config_static_selectorELNS0_4arch9wavefront6targetE1EEEvSM_
                                        ; -- End function
	.set _ZN7rocprim17ROCPRIM_400000_NS6detail17trampoline_kernelINS0_14default_configENS1_38merge_sort_block_merge_config_selectorIlNS0_10empty_typeEEEZZNS1_27merge_sort_block_merge_implIS3_PlPS5_mZN2at6native12_GLOBAL__N_124unique_dim_cuda_templateIbEESt5tupleIJNSA_6TensorESF_SF_EERKSF_lbbbEUlllE_EE10hipError_tT0_T1_T2_jT3_P12ihipStream_tbPNSt15iterator_traitsISL_E10value_typeEPNSR_ISM_E10value_typeEPSN_NS1_7vsmem_tEENKUlT_SL_SM_SN_E_clIS8_S8_S9_S9_EESK_S10_SL_SM_SN_EUlS10_E0_NS1_11comp_targetILNS1_3genE4ELNS1_11target_archE910ELNS1_3gpuE8ELNS1_3repE0EEENS1_38merge_mergepath_config_static_selectorELNS0_4arch9wavefront6targetE1EEEvSM_.num_vgpr, 0
	.set _ZN7rocprim17ROCPRIM_400000_NS6detail17trampoline_kernelINS0_14default_configENS1_38merge_sort_block_merge_config_selectorIlNS0_10empty_typeEEEZZNS1_27merge_sort_block_merge_implIS3_PlPS5_mZN2at6native12_GLOBAL__N_124unique_dim_cuda_templateIbEESt5tupleIJNSA_6TensorESF_SF_EERKSF_lbbbEUlllE_EE10hipError_tT0_T1_T2_jT3_P12ihipStream_tbPNSt15iterator_traitsISL_E10value_typeEPNSR_ISM_E10value_typeEPSN_NS1_7vsmem_tEENKUlT_SL_SM_SN_E_clIS8_S8_S9_S9_EESK_S10_SL_SM_SN_EUlS10_E0_NS1_11comp_targetILNS1_3genE4ELNS1_11target_archE910ELNS1_3gpuE8ELNS1_3repE0EEENS1_38merge_mergepath_config_static_selectorELNS0_4arch9wavefront6targetE1EEEvSM_.num_agpr, 0
	.set _ZN7rocprim17ROCPRIM_400000_NS6detail17trampoline_kernelINS0_14default_configENS1_38merge_sort_block_merge_config_selectorIlNS0_10empty_typeEEEZZNS1_27merge_sort_block_merge_implIS3_PlPS5_mZN2at6native12_GLOBAL__N_124unique_dim_cuda_templateIbEESt5tupleIJNSA_6TensorESF_SF_EERKSF_lbbbEUlllE_EE10hipError_tT0_T1_T2_jT3_P12ihipStream_tbPNSt15iterator_traitsISL_E10value_typeEPNSR_ISM_E10value_typeEPSN_NS1_7vsmem_tEENKUlT_SL_SM_SN_E_clIS8_S8_S9_S9_EESK_S10_SL_SM_SN_EUlS10_E0_NS1_11comp_targetILNS1_3genE4ELNS1_11target_archE910ELNS1_3gpuE8ELNS1_3repE0EEENS1_38merge_mergepath_config_static_selectorELNS0_4arch9wavefront6targetE1EEEvSM_.numbered_sgpr, 0
	.set _ZN7rocprim17ROCPRIM_400000_NS6detail17trampoline_kernelINS0_14default_configENS1_38merge_sort_block_merge_config_selectorIlNS0_10empty_typeEEEZZNS1_27merge_sort_block_merge_implIS3_PlPS5_mZN2at6native12_GLOBAL__N_124unique_dim_cuda_templateIbEESt5tupleIJNSA_6TensorESF_SF_EERKSF_lbbbEUlllE_EE10hipError_tT0_T1_T2_jT3_P12ihipStream_tbPNSt15iterator_traitsISL_E10value_typeEPNSR_ISM_E10value_typeEPSN_NS1_7vsmem_tEENKUlT_SL_SM_SN_E_clIS8_S8_S9_S9_EESK_S10_SL_SM_SN_EUlS10_E0_NS1_11comp_targetILNS1_3genE4ELNS1_11target_archE910ELNS1_3gpuE8ELNS1_3repE0EEENS1_38merge_mergepath_config_static_selectorELNS0_4arch9wavefront6targetE1EEEvSM_.num_named_barrier, 0
	.set _ZN7rocprim17ROCPRIM_400000_NS6detail17trampoline_kernelINS0_14default_configENS1_38merge_sort_block_merge_config_selectorIlNS0_10empty_typeEEEZZNS1_27merge_sort_block_merge_implIS3_PlPS5_mZN2at6native12_GLOBAL__N_124unique_dim_cuda_templateIbEESt5tupleIJNSA_6TensorESF_SF_EERKSF_lbbbEUlllE_EE10hipError_tT0_T1_T2_jT3_P12ihipStream_tbPNSt15iterator_traitsISL_E10value_typeEPNSR_ISM_E10value_typeEPSN_NS1_7vsmem_tEENKUlT_SL_SM_SN_E_clIS8_S8_S9_S9_EESK_S10_SL_SM_SN_EUlS10_E0_NS1_11comp_targetILNS1_3genE4ELNS1_11target_archE910ELNS1_3gpuE8ELNS1_3repE0EEENS1_38merge_mergepath_config_static_selectorELNS0_4arch9wavefront6targetE1EEEvSM_.private_seg_size, 0
	.set _ZN7rocprim17ROCPRIM_400000_NS6detail17trampoline_kernelINS0_14default_configENS1_38merge_sort_block_merge_config_selectorIlNS0_10empty_typeEEEZZNS1_27merge_sort_block_merge_implIS3_PlPS5_mZN2at6native12_GLOBAL__N_124unique_dim_cuda_templateIbEESt5tupleIJNSA_6TensorESF_SF_EERKSF_lbbbEUlllE_EE10hipError_tT0_T1_T2_jT3_P12ihipStream_tbPNSt15iterator_traitsISL_E10value_typeEPNSR_ISM_E10value_typeEPSN_NS1_7vsmem_tEENKUlT_SL_SM_SN_E_clIS8_S8_S9_S9_EESK_S10_SL_SM_SN_EUlS10_E0_NS1_11comp_targetILNS1_3genE4ELNS1_11target_archE910ELNS1_3gpuE8ELNS1_3repE0EEENS1_38merge_mergepath_config_static_selectorELNS0_4arch9wavefront6targetE1EEEvSM_.uses_vcc, 0
	.set _ZN7rocprim17ROCPRIM_400000_NS6detail17trampoline_kernelINS0_14default_configENS1_38merge_sort_block_merge_config_selectorIlNS0_10empty_typeEEEZZNS1_27merge_sort_block_merge_implIS3_PlPS5_mZN2at6native12_GLOBAL__N_124unique_dim_cuda_templateIbEESt5tupleIJNSA_6TensorESF_SF_EERKSF_lbbbEUlllE_EE10hipError_tT0_T1_T2_jT3_P12ihipStream_tbPNSt15iterator_traitsISL_E10value_typeEPNSR_ISM_E10value_typeEPSN_NS1_7vsmem_tEENKUlT_SL_SM_SN_E_clIS8_S8_S9_S9_EESK_S10_SL_SM_SN_EUlS10_E0_NS1_11comp_targetILNS1_3genE4ELNS1_11target_archE910ELNS1_3gpuE8ELNS1_3repE0EEENS1_38merge_mergepath_config_static_selectorELNS0_4arch9wavefront6targetE1EEEvSM_.uses_flat_scratch, 0
	.set _ZN7rocprim17ROCPRIM_400000_NS6detail17trampoline_kernelINS0_14default_configENS1_38merge_sort_block_merge_config_selectorIlNS0_10empty_typeEEEZZNS1_27merge_sort_block_merge_implIS3_PlPS5_mZN2at6native12_GLOBAL__N_124unique_dim_cuda_templateIbEESt5tupleIJNSA_6TensorESF_SF_EERKSF_lbbbEUlllE_EE10hipError_tT0_T1_T2_jT3_P12ihipStream_tbPNSt15iterator_traitsISL_E10value_typeEPNSR_ISM_E10value_typeEPSN_NS1_7vsmem_tEENKUlT_SL_SM_SN_E_clIS8_S8_S9_S9_EESK_S10_SL_SM_SN_EUlS10_E0_NS1_11comp_targetILNS1_3genE4ELNS1_11target_archE910ELNS1_3gpuE8ELNS1_3repE0EEENS1_38merge_mergepath_config_static_selectorELNS0_4arch9wavefront6targetE1EEEvSM_.has_dyn_sized_stack, 0
	.set _ZN7rocprim17ROCPRIM_400000_NS6detail17trampoline_kernelINS0_14default_configENS1_38merge_sort_block_merge_config_selectorIlNS0_10empty_typeEEEZZNS1_27merge_sort_block_merge_implIS3_PlPS5_mZN2at6native12_GLOBAL__N_124unique_dim_cuda_templateIbEESt5tupleIJNSA_6TensorESF_SF_EERKSF_lbbbEUlllE_EE10hipError_tT0_T1_T2_jT3_P12ihipStream_tbPNSt15iterator_traitsISL_E10value_typeEPNSR_ISM_E10value_typeEPSN_NS1_7vsmem_tEENKUlT_SL_SM_SN_E_clIS8_S8_S9_S9_EESK_S10_SL_SM_SN_EUlS10_E0_NS1_11comp_targetILNS1_3genE4ELNS1_11target_archE910ELNS1_3gpuE8ELNS1_3repE0EEENS1_38merge_mergepath_config_static_selectorELNS0_4arch9wavefront6targetE1EEEvSM_.has_recursion, 0
	.set _ZN7rocprim17ROCPRIM_400000_NS6detail17trampoline_kernelINS0_14default_configENS1_38merge_sort_block_merge_config_selectorIlNS0_10empty_typeEEEZZNS1_27merge_sort_block_merge_implIS3_PlPS5_mZN2at6native12_GLOBAL__N_124unique_dim_cuda_templateIbEESt5tupleIJNSA_6TensorESF_SF_EERKSF_lbbbEUlllE_EE10hipError_tT0_T1_T2_jT3_P12ihipStream_tbPNSt15iterator_traitsISL_E10value_typeEPNSR_ISM_E10value_typeEPSN_NS1_7vsmem_tEENKUlT_SL_SM_SN_E_clIS8_S8_S9_S9_EESK_S10_SL_SM_SN_EUlS10_E0_NS1_11comp_targetILNS1_3genE4ELNS1_11target_archE910ELNS1_3gpuE8ELNS1_3repE0EEENS1_38merge_mergepath_config_static_selectorELNS0_4arch9wavefront6targetE1EEEvSM_.has_indirect_call, 0
	.section	.AMDGPU.csdata,"",@progbits
; Kernel info:
; codeLenInByte = 0
; TotalNumSgprs: 6
; NumVgprs: 0
; NumAgprs: 0
; TotalNumVgprs: 0
; ScratchSize: 0
; MemoryBound: 0
; FloatMode: 240
; IeeeMode: 1
; LDSByteSize: 0 bytes/workgroup (compile time only)
; SGPRBlocks: 0
; VGPRBlocks: 0
; NumSGPRsForWavesPerEU: 6
; NumVGPRsForWavesPerEU: 1
; AccumOffset: 4
; Occupancy: 8
; WaveLimiterHint : 0
; COMPUTE_PGM_RSRC2:SCRATCH_EN: 0
; COMPUTE_PGM_RSRC2:USER_SGPR: 2
; COMPUTE_PGM_RSRC2:TRAP_HANDLER: 0
; COMPUTE_PGM_RSRC2:TGID_X_EN: 1
; COMPUTE_PGM_RSRC2:TGID_Y_EN: 0
; COMPUTE_PGM_RSRC2:TGID_Z_EN: 0
; COMPUTE_PGM_RSRC2:TIDIG_COMP_CNT: 0
; COMPUTE_PGM_RSRC3_GFX90A:ACCUM_OFFSET: 0
; COMPUTE_PGM_RSRC3_GFX90A:TG_SPLIT: 0
	.section	.text._ZN7rocprim17ROCPRIM_400000_NS6detail17trampoline_kernelINS0_14default_configENS1_38merge_sort_block_merge_config_selectorIlNS0_10empty_typeEEEZZNS1_27merge_sort_block_merge_implIS3_PlPS5_mZN2at6native12_GLOBAL__N_124unique_dim_cuda_templateIbEESt5tupleIJNSA_6TensorESF_SF_EERKSF_lbbbEUlllE_EE10hipError_tT0_T1_T2_jT3_P12ihipStream_tbPNSt15iterator_traitsISL_E10value_typeEPNSR_ISM_E10value_typeEPSN_NS1_7vsmem_tEENKUlT_SL_SM_SN_E_clIS8_S8_S9_S9_EESK_S10_SL_SM_SN_EUlS10_E0_NS1_11comp_targetILNS1_3genE3ELNS1_11target_archE908ELNS1_3gpuE7ELNS1_3repE0EEENS1_38merge_mergepath_config_static_selectorELNS0_4arch9wavefront6targetE1EEEvSM_,"axG",@progbits,_ZN7rocprim17ROCPRIM_400000_NS6detail17trampoline_kernelINS0_14default_configENS1_38merge_sort_block_merge_config_selectorIlNS0_10empty_typeEEEZZNS1_27merge_sort_block_merge_implIS3_PlPS5_mZN2at6native12_GLOBAL__N_124unique_dim_cuda_templateIbEESt5tupleIJNSA_6TensorESF_SF_EERKSF_lbbbEUlllE_EE10hipError_tT0_T1_T2_jT3_P12ihipStream_tbPNSt15iterator_traitsISL_E10value_typeEPNSR_ISM_E10value_typeEPSN_NS1_7vsmem_tEENKUlT_SL_SM_SN_E_clIS8_S8_S9_S9_EESK_S10_SL_SM_SN_EUlS10_E0_NS1_11comp_targetILNS1_3genE3ELNS1_11target_archE908ELNS1_3gpuE7ELNS1_3repE0EEENS1_38merge_mergepath_config_static_selectorELNS0_4arch9wavefront6targetE1EEEvSM_,comdat
	.globl	_ZN7rocprim17ROCPRIM_400000_NS6detail17trampoline_kernelINS0_14default_configENS1_38merge_sort_block_merge_config_selectorIlNS0_10empty_typeEEEZZNS1_27merge_sort_block_merge_implIS3_PlPS5_mZN2at6native12_GLOBAL__N_124unique_dim_cuda_templateIbEESt5tupleIJNSA_6TensorESF_SF_EERKSF_lbbbEUlllE_EE10hipError_tT0_T1_T2_jT3_P12ihipStream_tbPNSt15iterator_traitsISL_E10value_typeEPNSR_ISM_E10value_typeEPSN_NS1_7vsmem_tEENKUlT_SL_SM_SN_E_clIS8_S8_S9_S9_EESK_S10_SL_SM_SN_EUlS10_E0_NS1_11comp_targetILNS1_3genE3ELNS1_11target_archE908ELNS1_3gpuE7ELNS1_3repE0EEENS1_38merge_mergepath_config_static_selectorELNS0_4arch9wavefront6targetE1EEEvSM_ ; -- Begin function _ZN7rocprim17ROCPRIM_400000_NS6detail17trampoline_kernelINS0_14default_configENS1_38merge_sort_block_merge_config_selectorIlNS0_10empty_typeEEEZZNS1_27merge_sort_block_merge_implIS3_PlPS5_mZN2at6native12_GLOBAL__N_124unique_dim_cuda_templateIbEESt5tupleIJNSA_6TensorESF_SF_EERKSF_lbbbEUlllE_EE10hipError_tT0_T1_T2_jT3_P12ihipStream_tbPNSt15iterator_traitsISL_E10value_typeEPNSR_ISM_E10value_typeEPSN_NS1_7vsmem_tEENKUlT_SL_SM_SN_E_clIS8_S8_S9_S9_EESK_S10_SL_SM_SN_EUlS10_E0_NS1_11comp_targetILNS1_3genE3ELNS1_11target_archE908ELNS1_3gpuE7ELNS1_3repE0EEENS1_38merge_mergepath_config_static_selectorELNS0_4arch9wavefront6targetE1EEEvSM_
	.p2align	8
	.type	_ZN7rocprim17ROCPRIM_400000_NS6detail17trampoline_kernelINS0_14default_configENS1_38merge_sort_block_merge_config_selectorIlNS0_10empty_typeEEEZZNS1_27merge_sort_block_merge_implIS3_PlPS5_mZN2at6native12_GLOBAL__N_124unique_dim_cuda_templateIbEESt5tupleIJNSA_6TensorESF_SF_EERKSF_lbbbEUlllE_EE10hipError_tT0_T1_T2_jT3_P12ihipStream_tbPNSt15iterator_traitsISL_E10value_typeEPNSR_ISM_E10value_typeEPSN_NS1_7vsmem_tEENKUlT_SL_SM_SN_E_clIS8_S8_S9_S9_EESK_S10_SL_SM_SN_EUlS10_E0_NS1_11comp_targetILNS1_3genE3ELNS1_11target_archE908ELNS1_3gpuE7ELNS1_3repE0EEENS1_38merge_mergepath_config_static_selectorELNS0_4arch9wavefront6targetE1EEEvSM_,@function
_ZN7rocprim17ROCPRIM_400000_NS6detail17trampoline_kernelINS0_14default_configENS1_38merge_sort_block_merge_config_selectorIlNS0_10empty_typeEEEZZNS1_27merge_sort_block_merge_implIS3_PlPS5_mZN2at6native12_GLOBAL__N_124unique_dim_cuda_templateIbEESt5tupleIJNSA_6TensorESF_SF_EERKSF_lbbbEUlllE_EE10hipError_tT0_T1_T2_jT3_P12ihipStream_tbPNSt15iterator_traitsISL_E10value_typeEPNSR_ISM_E10value_typeEPSN_NS1_7vsmem_tEENKUlT_SL_SM_SN_E_clIS8_S8_S9_S9_EESK_S10_SL_SM_SN_EUlS10_E0_NS1_11comp_targetILNS1_3genE3ELNS1_11target_archE908ELNS1_3gpuE7ELNS1_3repE0EEENS1_38merge_mergepath_config_static_selectorELNS0_4arch9wavefront6targetE1EEEvSM_: ; @_ZN7rocprim17ROCPRIM_400000_NS6detail17trampoline_kernelINS0_14default_configENS1_38merge_sort_block_merge_config_selectorIlNS0_10empty_typeEEEZZNS1_27merge_sort_block_merge_implIS3_PlPS5_mZN2at6native12_GLOBAL__N_124unique_dim_cuda_templateIbEESt5tupleIJNSA_6TensorESF_SF_EERKSF_lbbbEUlllE_EE10hipError_tT0_T1_T2_jT3_P12ihipStream_tbPNSt15iterator_traitsISL_E10value_typeEPNSR_ISM_E10value_typeEPSN_NS1_7vsmem_tEENKUlT_SL_SM_SN_E_clIS8_S8_S9_S9_EESK_S10_SL_SM_SN_EUlS10_E0_NS1_11comp_targetILNS1_3genE3ELNS1_11target_archE908ELNS1_3gpuE7ELNS1_3repE0EEENS1_38merge_mergepath_config_static_selectorELNS0_4arch9wavefront6targetE1EEEvSM_
; %bb.0:
	.section	.rodata,"a",@progbits
	.p2align	6, 0x0
	.amdhsa_kernel _ZN7rocprim17ROCPRIM_400000_NS6detail17trampoline_kernelINS0_14default_configENS1_38merge_sort_block_merge_config_selectorIlNS0_10empty_typeEEEZZNS1_27merge_sort_block_merge_implIS3_PlPS5_mZN2at6native12_GLOBAL__N_124unique_dim_cuda_templateIbEESt5tupleIJNSA_6TensorESF_SF_EERKSF_lbbbEUlllE_EE10hipError_tT0_T1_T2_jT3_P12ihipStream_tbPNSt15iterator_traitsISL_E10value_typeEPNSR_ISM_E10value_typeEPSN_NS1_7vsmem_tEENKUlT_SL_SM_SN_E_clIS8_S8_S9_S9_EESK_S10_SL_SM_SN_EUlS10_E0_NS1_11comp_targetILNS1_3genE3ELNS1_11target_archE908ELNS1_3gpuE7ELNS1_3repE0EEENS1_38merge_mergepath_config_static_selectorELNS0_4arch9wavefront6targetE1EEEvSM_
		.amdhsa_group_segment_fixed_size 0
		.amdhsa_private_segment_fixed_size 0
		.amdhsa_kernarg_size 88
		.amdhsa_user_sgpr_count 2
		.amdhsa_user_sgpr_dispatch_ptr 0
		.amdhsa_user_sgpr_queue_ptr 0
		.amdhsa_user_sgpr_kernarg_segment_ptr 1
		.amdhsa_user_sgpr_dispatch_id 0
		.amdhsa_user_sgpr_kernarg_preload_length 0
		.amdhsa_user_sgpr_kernarg_preload_offset 0
		.amdhsa_user_sgpr_private_segment_size 0
		.amdhsa_uses_dynamic_stack 0
		.amdhsa_enable_private_segment 0
		.amdhsa_system_sgpr_workgroup_id_x 1
		.amdhsa_system_sgpr_workgroup_id_y 0
		.amdhsa_system_sgpr_workgroup_id_z 0
		.amdhsa_system_sgpr_workgroup_info 0
		.amdhsa_system_vgpr_workitem_id 0
		.amdhsa_next_free_vgpr 1
		.amdhsa_next_free_sgpr 0
		.amdhsa_accum_offset 4
		.amdhsa_reserve_vcc 0
		.amdhsa_float_round_mode_32 0
		.amdhsa_float_round_mode_16_64 0
		.amdhsa_float_denorm_mode_32 3
		.amdhsa_float_denorm_mode_16_64 3
		.amdhsa_dx10_clamp 1
		.amdhsa_ieee_mode 1
		.amdhsa_fp16_overflow 0
		.amdhsa_tg_split 0
		.amdhsa_exception_fp_ieee_invalid_op 0
		.amdhsa_exception_fp_denorm_src 0
		.amdhsa_exception_fp_ieee_div_zero 0
		.amdhsa_exception_fp_ieee_overflow 0
		.amdhsa_exception_fp_ieee_underflow 0
		.amdhsa_exception_fp_ieee_inexact 0
		.amdhsa_exception_int_div_zero 0
	.end_amdhsa_kernel
	.section	.text._ZN7rocprim17ROCPRIM_400000_NS6detail17trampoline_kernelINS0_14default_configENS1_38merge_sort_block_merge_config_selectorIlNS0_10empty_typeEEEZZNS1_27merge_sort_block_merge_implIS3_PlPS5_mZN2at6native12_GLOBAL__N_124unique_dim_cuda_templateIbEESt5tupleIJNSA_6TensorESF_SF_EERKSF_lbbbEUlllE_EE10hipError_tT0_T1_T2_jT3_P12ihipStream_tbPNSt15iterator_traitsISL_E10value_typeEPNSR_ISM_E10value_typeEPSN_NS1_7vsmem_tEENKUlT_SL_SM_SN_E_clIS8_S8_S9_S9_EESK_S10_SL_SM_SN_EUlS10_E0_NS1_11comp_targetILNS1_3genE3ELNS1_11target_archE908ELNS1_3gpuE7ELNS1_3repE0EEENS1_38merge_mergepath_config_static_selectorELNS0_4arch9wavefront6targetE1EEEvSM_,"axG",@progbits,_ZN7rocprim17ROCPRIM_400000_NS6detail17trampoline_kernelINS0_14default_configENS1_38merge_sort_block_merge_config_selectorIlNS0_10empty_typeEEEZZNS1_27merge_sort_block_merge_implIS3_PlPS5_mZN2at6native12_GLOBAL__N_124unique_dim_cuda_templateIbEESt5tupleIJNSA_6TensorESF_SF_EERKSF_lbbbEUlllE_EE10hipError_tT0_T1_T2_jT3_P12ihipStream_tbPNSt15iterator_traitsISL_E10value_typeEPNSR_ISM_E10value_typeEPSN_NS1_7vsmem_tEENKUlT_SL_SM_SN_E_clIS8_S8_S9_S9_EESK_S10_SL_SM_SN_EUlS10_E0_NS1_11comp_targetILNS1_3genE3ELNS1_11target_archE908ELNS1_3gpuE7ELNS1_3repE0EEENS1_38merge_mergepath_config_static_selectorELNS0_4arch9wavefront6targetE1EEEvSM_,comdat
.Lfunc_end1014:
	.size	_ZN7rocprim17ROCPRIM_400000_NS6detail17trampoline_kernelINS0_14default_configENS1_38merge_sort_block_merge_config_selectorIlNS0_10empty_typeEEEZZNS1_27merge_sort_block_merge_implIS3_PlPS5_mZN2at6native12_GLOBAL__N_124unique_dim_cuda_templateIbEESt5tupleIJNSA_6TensorESF_SF_EERKSF_lbbbEUlllE_EE10hipError_tT0_T1_T2_jT3_P12ihipStream_tbPNSt15iterator_traitsISL_E10value_typeEPNSR_ISM_E10value_typeEPSN_NS1_7vsmem_tEENKUlT_SL_SM_SN_E_clIS8_S8_S9_S9_EESK_S10_SL_SM_SN_EUlS10_E0_NS1_11comp_targetILNS1_3genE3ELNS1_11target_archE908ELNS1_3gpuE7ELNS1_3repE0EEENS1_38merge_mergepath_config_static_selectorELNS0_4arch9wavefront6targetE1EEEvSM_, .Lfunc_end1014-_ZN7rocprim17ROCPRIM_400000_NS6detail17trampoline_kernelINS0_14default_configENS1_38merge_sort_block_merge_config_selectorIlNS0_10empty_typeEEEZZNS1_27merge_sort_block_merge_implIS3_PlPS5_mZN2at6native12_GLOBAL__N_124unique_dim_cuda_templateIbEESt5tupleIJNSA_6TensorESF_SF_EERKSF_lbbbEUlllE_EE10hipError_tT0_T1_T2_jT3_P12ihipStream_tbPNSt15iterator_traitsISL_E10value_typeEPNSR_ISM_E10value_typeEPSN_NS1_7vsmem_tEENKUlT_SL_SM_SN_E_clIS8_S8_S9_S9_EESK_S10_SL_SM_SN_EUlS10_E0_NS1_11comp_targetILNS1_3genE3ELNS1_11target_archE908ELNS1_3gpuE7ELNS1_3repE0EEENS1_38merge_mergepath_config_static_selectorELNS0_4arch9wavefront6targetE1EEEvSM_
                                        ; -- End function
	.set _ZN7rocprim17ROCPRIM_400000_NS6detail17trampoline_kernelINS0_14default_configENS1_38merge_sort_block_merge_config_selectorIlNS0_10empty_typeEEEZZNS1_27merge_sort_block_merge_implIS3_PlPS5_mZN2at6native12_GLOBAL__N_124unique_dim_cuda_templateIbEESt5tupleIJNSA_6TensorESF_SF_EERKSF_lbbbEUlllE_EE10hipError_tT0_T1_T2_jT3_P12ihipStream_tbPNSt15iterator_traitsISL_E10value_typeEPNSR_ISM_E10value_typeEPSN_NS1_7vsmem_tEENKUlT_SL_SM_SN_E_clIS8_S8_S9_S9_EESK_S10_SL_SM_SN_EUlS10_E0_NS1_11comp_targetILNS1_3genE3ELNS1_11target_archE908ELNS1_3gpuE7ELNS1_3repE0EEENS1_38merge_mergepath_config_static_selectorELNS0_4arch9wavefront6targetE1EEEvSM_.num_vgpr, 0
	.set _ZN7rocprim17ROCPRIM_400000_NS6detail17trampoline_kernelINS0_14default_configENS1_38merge_sort_block_merge_config_selectorIlNS0_10empty_typeEEEZZNS1_27merge_sort_block_merge_implIS3_PlPS5_mZN2at6native12_GLOBAL__N_124unique_dim_cuda_templateIbEESt5tupleIJNSA_6TensorESF_SF_EERKSF_lbbbEUlllE_EE10hipError_tT0_T1_T2_jT3_P12ihipStream_tbPNSt15iterator_traitsISL_E10value_typeEPNSR_ISM_E10value_typeEPSN_NS1_7vsmem_tEENKUlT_SL_SM_SN_E_clIS8_S8_S9_S9_EESK_S10_SL_SM_SN_EUlS10_E0_NS1_11comp_targetILNS1_3genE3ELNS1_11target_archE908ELNS1_3gpuE7ELNS1_3repE0EEENS1_38merge_mergepath_config_static_selectorELNS0_4arch9wavefront6targetE1EEEvSM_.num_agpr, 0
	.set _ZN7rocprim17ROCPRIM_400000_NS6detail17trampoline_kernelINS0_14default_configENS1_38merge_sort_block_merge_config_selectorIlNS0_10empty_typeEEEZZNS1_27merge_sort_block_merge_implIS3_PlPS5_mZN2at6native12_GLOBAL__N_124unique_dim_cuda_templateIbEESt5tupleIJNSA_6TensorESF_SF_EERKSF_lbbbEUlllE_EE10hipError_tT0_T1_T2_jT3_P12ihipStream_tbPNSt15iterator_traitsISL_E10value_typeEPNSR_ISM_E10value_typeEPSN_NS1_7vsmem_tEENKUlT_SL_SM_SN_E_clIS8_S8_S9_S9_EESK_S10_SL_SM_SN_EUlS10_E0_NS1_11comp_targetILNS1_3genE3ELNS1_11target_archE908ELNS1_3gpuE7ELNS1_3repE0EEENS1_38merge_mergepath_config_static_selectorELNS0_4arch9wavefront6targetE1EEEvSM_.numbered_sgpr, 0
	.set _ZN7rocprim17ROCPRIM_400000_NS6detail17trampoline_kernelINS0_14default_configENS1_38merge_sort_block_merge_config_selectorIlNS0_10empty_typeEEEZZNS1_27merge_sort_block_merge_implIS3_PlPS5_mZN2at6native12_GLOBAL__N_124unique_dim_cuda_templateIbEESt5tupleIJNSA_6TensorESF_SF_EERKSF_lbbbEUlllE_EE10hipError_tT0_T1_T2_jT3_P12ihipStream_tbPNSt15iterator_traitsISL_E10value_typeEPNSR_ISM_E10value_typeEPSN_NS1_7vsmem_tEENKUlT_SL_SM_SN_E_clIS8_S8_S9_S9_EESK_S10_SL_SM_SN_EUlS10_E0_NS1_11comp_targetILNS1_3genE3ELNS1_11target_archE908ELNS1_3gpuE7ELNS1_3repE0EEENS1_38merge_mergepath_config_static_selectorELNS0_4arch9wavefront6targetE1EEEvSM_.num_named_barrier, 0
	.set _ZN7rocprim17ROCPRIM_400000_NS6detail17trampoline_kernelINS0_14default_configENS1_38merge_sort_block_merge_config_selectorIlNS0_10empty_typeEEEZZNS1_27merge_sort_block_merge_implIS3_PlPS5_mZN2at6native12_GLOBAL__N_124unique_dim_cuda_templateIbEESt5tupleIJNSA_6TensorESF_SF_EERKSF_lbbbEUlllE_EE10hipError_tT0_T1_T2_jT3_P12ihipStream_tbPNSt15iterator_traitsISL_E10value_typeEPNSR_ISM_E10value_typeEPSN_NS1_7vsmem_tEENKUlT_SL_SM_SN_E_clIS8_S8_S9_S9_EESK_S10_SL_SM_SN_EUlS10_E0_NS1_11comp_targetILNS1_3genE3ELNS1_11target_archE908ELNS1_3gpuE7ELNS1_3repE0EEENS1_38merge_mergepath_config_static_selectorELNS0_4arch9wavefront6targetE1EEEvSM_.private_seg_size, 0
	.set _ZN7rocprim17ROCPRIM_400000_NS6detail17trampoline_kernelINS0_14default_configENS1_38merge_sort_block_merge_config_selectorIlNS0_10empty_typeEEEZZNS1_27merge_sort_block_merge_implIS3_PlPS5_mZN2at6native12_GLOBAL__N_124unique_dim_cuda_templateIbEESt5tupleIJNSA_6TensorESF_SF_EERKSF_lbbbEUlllE_EE10hipError_tT0_T1_T2_jT3_P12ihipStream_tbPNSt15iterator_traitsISL_E10value_typeEPNSR_ISM_E10value_typeEPSN_NS1_7vsmem_tEENKUlT_SL_SM_SN_E_clIS8_S8_S9_S9_EESK_S10_SL_SM_SN_EUlS10_E0_NS1_11comp_targetILNS1_3genE3ELNS1_11target_archE908ELNS1_3gpuE7ELNS1_3repE0EEENS1_38merge_mergepath_config_static_selectorELNS0_4arch9wavefront6targetE1EEEvSM_.uses_vcc, 0
	.set _ZN7rocprim17ROCPRIM_400000_NS6detail17trampoline_kernelINS0_14default_configENS1_38merge_sort_block_merge_config_selectorIlNS0_10empty_typeEEEZZNS1_27merge_sort_block_merge_implIS3_PlPS5_mZN2at6native12_GLOBAL__N_124unique_dim_cuda_templateIbEESt5tupleIJNSA_6TensorESF_SF_EERKSF_lbbbEUlllE_EE10hipError_tT0_T1_T2_jT3_P12ihipStream_tbPNSt15iterator_traitsISL_E10value_typeEPNSR_ISM_E10value_typeEPSN_NS1_7vsmem_tEENKUlT_SL_SM_SN_E_clIS8_S8_S9_S9_EESK_S10_SL_SM_SN_EUlS10_E0_NS1_11comp_targetILNS1_3genE3ELNS1_11target_archE908ELNS1_3gpuE7ELNS1_3repE0EEENS1_38merge_mergepath_config_static_selectorELNS0_4arch9wavefront6targetE1EEEvSM_.uses_flat_scratch, 0
	.set _ZN7rocprim17ROCPRIM_400000_NS6detail17trampoline_kernelINS0_14default_configENS1_38merge_sort_block_merge_config_selectorIlNS0_10empty_typeEEEZZNS1_27merge_sort_block_merge_implIS3_PlPS5_mZN2at6native12_GLOBAL__N_124unique_dim_cuda_templateIbEESt5tupleIJNSA_6TensorESF_SF_EERKSF_lbbbEUlllE_EE10hipError_tT0_T1_T2_jT3_P12ihipStream_tbPNSt15iterator_traitsISL_E10value_typeEPNSR_ISM_E10value_typeEPSN_NS1_7vsmem_tEENKUlT_SL_SM_SN_E_clIS8_S8_S9_S9_EESK_S10_SL_SM_SN_EUlS10_E0_NS1_11comp_targetILNS1_3genE3ELNS1_11target_archE908ELNS1_3gpuE7ELNS1_3repE0EEENS1_38merge_mergepath_config_static_selectorELNS0_4arch9wavefront6targetE1EEEvSM_.has_dyn_sized_stack, 0
	.set _ZN7rocprim17ROCPRIM_400000_NS6detail17trampoline_kernelINS0_14default_configENS1_38merge_sort_block_merge_config_selectorIlNS0_10empty_typeEEEZZNS1_27merge_sort_block_merge_implIS3_PlPS5_mZN2at6native12_GLOBAL__N_124unique_dim_cuda_templateIbEESt5tupleIJNSA_6TensorESF_SF_EERKSF_lbbbEUlllE_EE10hipError_tT0_T1_T2_jT3_P12ihipStream_tbPNSt15iterator_traitsISL_E10value_typeEPNSR_ISM_E10value_typeEPSN_NS1_7vsmem_tEENKUlT_SL_SM_SN_E_clIS8_S8_S9_S9_EESK_S10_SL_SM_SN_EUlS10_E0_NS1_11comp_targetILNS1_3genE3ELNS1_11target_archE908ELNS1_3gpuE7ELNS1_3repE0EEENS1_38merge_mergepath_config_static_selectorELNS0_4arch9wavefront6targetE1EEEvSM_.has_recursion, 0
	.set _ZN7rocprim17ROCPRIM_400000_NS6detail17trampoline_kernelINS0_14default_configENS1_38merge_sort_block_merge_config_selectorIlNS0_10empty_typeEEEZZNS1_27merge_sort_block_merge_implIS3_PlPS5_mZN2at6native12_GLOBAL__N_124unique_dim_cuda_templateIbEESt5tupleIJNSA_6TensorESF_SF_EERKSF_lbbbEUlllE_EE10hipError_tT0_T1_T2_jT3_P12ihipStream_tbPNSt15iterator_traitsISL_E10value_typeEPNSR_ISM_E10value_typeEPSN_NS1_7vsmem_tEENKUlT_SL_SM_SN_E_clIS8_S8_S9_S9_EESK_S10_SL_SM_SN_EUlS10_E0_NS1_11comp_targetILNS1_3genE3ELNS1_11target_archE908ELNS1_3gpuE7ELNS1_3repE0EEENS1_38merge_mergepath_config_static_selectorELNS0_4arch9wavefront6targetE1EEEvSM_.has_indirect_call, 0
	.section	.AMDGPU.csdata,"",@progbits
; Kernel info:
; codeLenInByte = 0
; TotalNumSgprs: 6
; NumVgprs: 0
; NumAgprs: 0
; TotalNumVgprs: 0
; ScratchSize: 0
; MemoryBound: 0
; FloatMode: 240
; IeeeMode: 1
; LDSByteSize: 0 bytes/workgroup (compile time only)
; SGPRBlocks: 0
; VGPRBlocks: 0
; NumSGPRsForWavesPerEU: 6
; NumVGPRsForWavesPerEU: 1
; AccumOffset: 4
; Occupancy: 8
; WaveLimiterHint : 0
; COMPUTE_PGM_RSRC2:SCRATCH_EN: 0
; COMPUTE_PGM_RSRC2:USER_SGPR: 2
; COMPUTE_PGM_RSRC2:TRAP_HANDLER: 0
; COMPUTE_PGM_RSRC2:TGID_X_EN: 1
; COMPUTE_PGM_RSRC2:TGID_Y_EN: 0
; COMPUTE_PGM_RSRC2:TGID_Z_EN: 0
; COMPUTE_PGM_RSRC2:TIDIG_COMP_CNT: 0
; COMPUTE_PGM_RSRC3_GFX90A:ACCUM_OFFSET: 0
; COMPUTE_PGM_RSRC3_GFX90A:TG_SPLIT: 0
	.section	.text._ZN7rocprim17ROCPRIM_400000_NS6detail17trampoline_kernelINS0_14default_configENS1_38merge_sort_block_merge_config_selectorIlNS0_10empty_typeEEEZZNS1_27merge_sort_block_merge_implIS3_PlPS5_mZN2at6native12_GLOBAL__N_124unique_dim_cuda_templateIbEESt5tupleIJNSA_6TensorESF_SF_EERKSF_lbbbEUlllE_EE10hipError_tT0_T1_T2_jT3_P12ihipStream_tbPNSt15iterator_traitsISL_E10value_typeEPNSR_ISM_E10value_typeEPSN_NS1_7vsmem_tEENKUlT_SL_SM_SN_E_clIS8_S8_S9_S9_EESK_S10_SL_SM_SN_EUlS10_E0_NS1_11comp_targetILNS1_3genE2ELNS1_11target_archE906ELNS1_3gpuE6ELNS1_3repE0EEENS1_38merge_mergepath_config_static_selectorELNS0_4arch9wavefront6targetE1EEEvSM_,"axG",@progbits,_ZN7rocprim17ROCPRIM_400000_NS6detail17trampoline_kernelINS0_14default_configENS1_38merge_sort_block_merge_config_selectorIlNS0_10empty_typeEEEZZNS1_27merge_sort_block_merge_implIS3_PlPS5_mZN2at6native12_GLOBAL__N_124unique_dim_cuda_templateIbEESt5tupleIJNSA_6TensorESF_SF_EERKSF_lbbbEUlllE_EE10hipError_tT0_T1_T2_jT3_P12ihipStream_tbPNSt15iterator_traitsISL_E10value_typeEPNSR_ISM_E10value_typeEPSN_NS1_7vsmem_tEENKUlT_SL_SM_SN_E_clIS8_S8_S9_S9_EESK_S10_SL_SM_SN_EUlS10_E0_NS1_11comp_targetILNS1_3genE2ELNS1_11target_archE906ELNS1_3gpuE6ELNS1_3repE0EEENS1_38merge_mergepath_config_static_selectorELNS0_4arch9wavefront6targetE1EEEvSM_,comdat
	.globl	_ZN7rocprim17ROCPRIM_400000_NS6detail17trampoline_kernelINS0_14default_configENS1_38merge_sort_block_merge_config_selectorIlNS0_10empty_typeEEEZZNS1_27merge_sort_block_merge_implIS3_PlPS5_mZN2at6native12_GLOBAL__N_124unique_dim_cuda_templateIbEESt5tupleIJNSA_6TensorESF_SF_EERKSF_lbbbEUlllE_EE10hipError_tT0_T1_T2_jT3_P12ihipStream_tbPNSt15iterator_traitsISL_E10value_typeEPNSR_ISM_E10value_typeEPSN_NS1_7vsmem_tEENKUlT_SL_SM_SN_E_clIS8_S8_S9_S9_EESK_S10_SL_SM_SN_EUlS10_E0_NS1_11comp_targetILNS1_3genE2ELNS1_11target_archE906ELNS1_3gpuE6ELNS1_3repE0EEENS1_38merge_mergepath_config_static_selectorELNS0_4arch9wavefront6targetE1EEEvSM_ ; -- Begin function _ZN7rocprim17ROCPRIM_400000_NS6detail17trampoline_kernelINS0_14default_configENS1_38merge_sort_block_merge_config_selectorIlNS0_10empty_typeEEEZZNS1_27merge_sort_block_merge_implIS3_PlPS5_mZN2at6native12_GLOBAL__N_124unique_dim_cuda_templateIbEESt5tupleIJNSA_6TensorESF_SF_EERKSF_lbbbEUlllE_EE10hipError_tT0_T1_T2_jT3_P12ihipStream_tbPNSt15iterator_traitsISL_E10value_typeEPNSR_ISM_E10value_typeEPSN_NS1_7vsmem_tEENKUlT_SL_SM_SN_E_clIS8_S8_S9_S9_EESK_S10_SL_SM_SN_EUlS10_E0_NS1_11comp_targetILNS1_3genE2ELNS1_11target_archE906ELNS1_3gpuE6ELNS1_3repE0EEENS1_38merge_mergepath_config_static_selectorELNS0_4arch9wavefront6targetE1EEEvSM_
	.p2align	8
	.type	_ZN7rocprim17ROCPRIM_400000_NS6detail17trampoline_kernelINS0_14default_configENS1_38merge_sort_block_merge_config_selectorIlNS0_10empty_typeEEEZZNS1_27merge_sort_block_merge_implIS3_PlPS5_mZN2at6native12_GLOBAL__N_124unique_dim_cuda_templateIbEESt5tupleIJNSA_6TensorESF_SF_EERKSF_lbbbEUlllE_EE10hipError_tT0_T1_T2_jT3_P12ihipStream_tbPNSt15iterator_traitsISL_E10value_typeEPNSR_ISM_E10value_typeEPSN_NS1_7vsmem_tEENKUlT_SL_SM_SN_E_clIS8_S8_S9_S9_EESK_S10_SL_SM_SN_EUlS10_E0_NS1_11comp_targetILNS1_3genE2ELNS1_11target_archE906ELNS1_3gpuE6ELNS1_3repE0EEENS1_38merge_mergepath_config_static_selectorELNS0_4arch9wavefront6targetE1EEEvSM_,@function
_ZN7rocprim17ROCPRIM_400000_NS6detail17trampoline_kernelINS0_14default_configENS1_38merge_sort_block_merge_config_selectorIlNS0_10empty_typeEEEZZNS1_27merge_sort_block_merge_implIS3_PlPS5_mZN2at6native12_GLOBAL__N_124unique_dim_cuda_templateIbEESt5tupleIJNSA_6TensorESF_SF_EERKSF_lbbbEUlllE_EE10hipError_tT0_T1_T2_jT3_P12ihipStream_tbPNSt15iterator_traitsISL_E10value_typeEPNSR_ISM_E10value_typeEPSN_NS1_7vsmem_tEENKUlT_SL_SM_SN_E_clIS8_S8_S9_S9_EESK_S10_SL_SM_SN_EUlS10_E0_NS1_11comp_targetILNS1_3genE2ELNS1_11target_archE906ELNS1_3gpuE6ELNS1_3repE0EEENS1_38merge_mergepath_config_static_selectorELNS0_4arch9wavefront6targetE1EEEvSM_: ; @_ZN7rocprim17ROCPRIM_400000_NS6detail17trampoline_kernelINS0_14default_configENS1_38merge_sort_block_merge_config_selectorIlNS0_10empty_typeEEEZZNS1_27merge_sort_block_merge_implIS3_PlPS5_mZN2at6native12_GLOBAL__N_124unique_dim_cuda_templateIbEESt5tupleIJNSA_6TensorESF_SF_EERKSF_lbbbEUlllE_EE10hipError_tT0_T1_T2_jT3_P12ihipStream_tbPNSt15iterator_traitsISL_E10value_typeEPNSR_ISM_E10value_typeEPSN_NS1_7vsmem_tEENKUlT_SL_SM_SN_E_clIS8_S8_S9_S9_EESK_S10_SL_SM_SN_EUlS10_E0_NS1_11comp_targetILNS1_3genE2ELNS1_11target_archE906ELNS1_3gpuE6ELNS1_3repE0EEENS1_38merge_mergepath_config_static_selectorELNS0_4arch9wavefront6targetE1EEEvSM_
; %bb.0:
	.section	.rodata,"a",@progbits
	.p2align	6, 0x0
	.amdhsa_kernel _ZN7rocprim17ROCPRIM_400000_NS6detail17trampoline_kernelINS0_14default_configENS1_38merge_sort_block_merge_config_selectorIlNS0_10empty_typeEEEZZNS1_27merge_sort_block_merge_implIS3_PlPS5_mZN2at6native12_GLOBAL__N_124unique_dim_cuda_templateIbEESt5tupleIJNSA_6TensorESF_SF_EERKSF_lbbbEUlllE_EE10hipError_tT0_T1_T2_jT3_P12ihipStream_tbPNSt15iterator_traitsISL_E10value_typeEPNSR_ISM_E10value_typeEPSN_NS1_7vsmem_tEENKUlT_SL_SM_SN_E_clIS8_S8_S9_S9_EESK_S10_SL_SM_SN_EUlS10_E0_NS1_11comp_targetILNS1_3genE2ELNS1_11target_archE906ELNS1_3gpuE6ELNS1_3repE0EEENS1_38merge_mergepath_config_static_selectorELNS0_4arch9wavefront6targetE1EEEvSM_
		.amdhsa_group_segment_fixed_size 0
		.amdhsa_private_segment_fixed_size 0
		.amdhsa_kernarg_size 88
		.amdhsa_user_sgpr_count 2
		.amdhsa_user_sgpr_dispatch_ptr 0
		.amdhsa_user_sgpr_queue_ptr 0
		.amdhsa_user_sgpr_kernarg_segment_ptr 1
		.amdhsa_user_sgpr_dispatch_id 0
		.amdhsa_user_sgpr_kernarg_preload_length 0
		.amdhsa_user_sgpr_kernarg_preload_offset 0
		.amdhsa_user_sgpr_private_segment_size 0
		.amdhsa_uses_dynamic_stack 0
		.amdhsa_enable_private_segment 0
		.amdhsa_system_sgpr_workgroup_id_x 1
		.amdhsa_system_sgpr_workgroup_id_y 0
		.amdhsa_system_sgpr_workgroup_id_z 0
		.amdhsa_system_sgpr_workgroup_info 0
		.amdhsa_system_vgpr_workitem_id 0
		.amdhsa_next_free_vgpr 1
		.amdhsa_next_free_sgpr 0
		.amdhsa_accum_offset 4
		.amdhsa_reserve_vcc 0
		.amdhsa_float_round_mode_32 0
		.amdhsa_float_round_mode_16_64 0
		.amdhsa_float_denorm_mode_32 3
		.amdhsa_float_denorm_mode_16_64 3
		.amdhsa_dx10_clamp 1
		.amdhsa_ieee_mode 1
		.amdhsa_fp16_overflow 0
		.amdhsa_tg_split 0
		.amdhsa_exception_fp_ieee_invalid_op 0
		.amdhsa_exception_fp_denorm_src 0
		.amdhsa_exception_fp_ieee_div_zero 0
		.amdhsa_exception_fp_ieee_overflow 0
		.amdhsa_exception_fp_ieee_underflow 0
		.amdhsa_exception_fp_ieee_inexact 0
		.amdhsa_exception_int_div_zero 0
	.end_amdhsa_kernel
	.section	.text._ZN7rocprim17ROCPRIM_400000_NS6detail17trampoline_kernelINS0_14default_configENS1_38merge_sort_block_merge_config_selectorIlNS0_10empty_typeEEEZZNS1_27merge_sort_block_merge_implIS3_PlPS5_mZN2at6native12_GLOBAL__N_124unique_dim_cuda_templateIbEESt5tupleIJNSA_6TensorESF_SF_EERKSF_lbbbEUlllE_EE10hipError_tT0_T1_T2_jT3_P12ihipStream_tbPNSt15iterator_traitsISL_E10value_typeEPNSR_ISM_E10value_typeEPSN_NS1_7vsmem_tEENKUlT_SL_SM_SN_E_clIS8_S8_S9_S9_EESK_S10_SL_SM_SN_EUlS10_E0_NS1_11comp_targetILNS1_3genE2ELNS1_11target_archE906ELNS1_3gpuE6ELNS1_3repE0EEENS1_38merge_mergepath_config_static_selectorELNS0_4arch9wavefront6targetE1EEEvSM_,"axG",@progbits,_ZN7rocprim17ROCPRIM_400000_NS6detail17trampoline_kernelINS0_14default_configENS1_38merge_sort_block_merge_config_selectorIlNS0_10empty_typeEEEZZNS1_27merge_sort_block_merge_implIS3_PlPS5_mZN2at6native12_GLOBAL__N_124unique_dim_cuda_templateIbEESt5tupleIJNSA_6TensorESF_SF_EERKSF_lbbbEUlllE_EE10hipError_tT0_T1_T2_jT3_P12ihipStream_tbPNSt15iterator_traitsISL_E10value_typeEPNSR_ISM_E10value_typeEPSN_NS1_7vsmem_tEENKUlT_SL_SM_SN_E_clIS8_S8_S9_S9_EESK_S10_SL_SM_SN_EUlS10_E0_NS1_11comp_targetILNS1_3genE2ELNS1_11target_archE906ELNS1_3gpuE6ELNS1_3repE0EEENS1_38merge_mergepath_config_static_selectorELNS0_4arch9wavefront6targetE1EEEvSM_,comdat
.Lfunc_end1015:
	.size	_ZN7rocprim17ROCPRIM_400000_NS6detail17trampoline_kernelINS0_14default_configENS1_38merge_sort_block_merge_config_selectorIlNS0_10empty_typeEEEZZNS1_27merge_sort_block_merge_implIS3_PlPS5_mZN2at6native12_GLOBAL__N_124unique_dim_cuda_templateIbEESt5tupleIJNSA_6TensorESF_SF_EERKSF_lbbbEUlllE_EE10hipError_tT0_T1_T2_jT3_P12ihipStream_tbPNSt15iterator_traitsISL_E10value_typeEPNSR_ISM_E10value_typeEPSN_NS1_7vsmem_tEENKUlT_SL_SM_SN_E_clIS8_S8_S9_S9_EESK_S10_SL_SM_SN_EUlS10_E0_NS1_11comp_targetILNS1_3genE2ELNS1_11target_archE906ELNS1_3gpuE6ELNS1_3repE0EEENS1_38merge_mergepath_config_static_selectorELNS0_4arch9wavefront6targetE1EEEvSM_, .Lfunc_end1015-_ZN7rocprim17ROCPRIM_400000_NS6detail17trampoline_kernelINS0_14default_configENS1_38merge_sort_block_merge_config_selectorIlNS0_10empty_typeEEEZZNS1_27merge_sort_block_merge_implIS3_PlPS5_mZN2at6native12_GLOBAL__N_124unique_dim_cuda_templateIbEESt5tupleIJNSA_6TensorESF_SF_EERKSF_lbbbEUlllE_EE10hipError_tT0_T1_T2_jT3_P12ihipStream_tbPNSt15iterator_traitsISL_E10value_typeEPNSR_ISM_E10value_typeEPSN_NS1_7vsmem_tEENKUlT_SL_SM_SN_E_clIS8_S8_S9_S9_EESK_S10_SL_SM_SN_EUlS10_E0_NS1_11comp_targetILNS1_3genE2ELNS1_11target_archE906ELNS1_3gpuE6ELNS1_3repE0EEENS1_38merge_mergepath_config_static_selectorELNS0_4arch9wavefront6targetE1EEEvSM_
                                        ; -- End function
	.set _ZN7rocprim17ROCPRIM_400000_NS6detail17trampoline_kernelINS0_14default_configENS1_38merge_sort_block_merge_config_selectorIlNS0_10empty_typeEEEZZNS1_27merge_sort_block_merge_implIS3_PlPS5_mZN2at6native12_GLOBAL__N_124unique_dim_cuda_templateIbEESt5tupleIJNSA_6TensorESF_SF_EERKSF_lbbbEUlllE_EE10hipError_tT0_T1_T2_jT3_P12ihipStream_tbPNSt15iterator_traitsISL_E10value_typeEPNSR_ISM_E10value_typeEPSN_NS1_7vsmem_tEENKUlT_SL_SM_SN_E_clIS8_S8_S9_S9_EESK_S10_SL_SM_SN_EUlS10_E0_NS1_11comp_targetILNS1_3genE2ELNS1_11target_archE906ELNS1_3gpuE6ELNS1_3repE0EEENS1_38merge_mergepath_config_static_selectorELNS0_4arch9wavefront6targetE1EEEvSM_.num_vgpr, 0
	.set _ZN7rocprim17ROCPRIM_400000_NS6detail17trampoline_kernelINS0_14default_configENS1_38merge_sort_block_merge_config_selectorIlNS0_10empty_typeEEEZZNS1_27merge_sort_block_merge_implIS3_PlPS5_mZN2at6native12_GLOBAL__N_124unique_dim_cuda_templateIbEESt5tupleIJNSA_6TensorESF_SF_EERKSF_lbbbEUlllE_EE10hipError_tT0_T1_T2_jT3_P12ihipStream_tbPNSt15iterator_traitsISL_E10value_typeEPNSR_ISM_E10value_typeEPSN_NS1_7vsmem_tEENKUlT_SL_SM_SN_E_clIS8_S8_S9_S9_EESK_S10_SL_SM_SN_EUlS10_E0_NS1_11comp_targetILNS1_3genE2ELNS1_11target_archE906ELNS1_3gpuE6ELNS1_3repE0EEENS1_38merge_mergepath_config_static_selectorELNS0_4arch9wavefront6targetE1EEEvSM_.num_agpr, 0
	.set _ZN7rocprim17ROCPRIM_400000_NS6detail17trampoline_kernelINS0_14default_configENS1_38merge_sort_block_merge_config_selectorIlNS0_10empty_typeEEEZZNS1_27merge_sort_block_merge_implIS3_PlPS5_mZN2at6native12_GLOBAL__N_124unique_dim_cuda_templateIbEESt5tupleIJNSA_6TensorESF_SF_EERKSF_lbbbEUlllE_EE10hipError_tT0_T1_T2_jT3_P12ihipStream_tbPNSt15iterator_traitsISL_E10value_typeEPNSR_ISM_E10value_typeEPSN_NS1_7vsmem_tEENKUlT_SL_SM_SN_E_clIS8_S8_S9_S9_EESK_S10_SL_SM_SN_EUlS10_E0_NS1_11comp_targetILNS1_3genE2ELNS1_11target_archE906ELNS1_3gpuE6ELNS1_3repE0EEENS1_38merge_mergepath_config_static_selectorELNS0_4arch9wavefront6targetE1EEEvSM_.numbered_sgpr, 0
	.set _ZN7rocprim17ROCPRIM_400000_NS6detail17trampoline_kernelINS0_14default_configENS1_38merge_sort_block_merge_config_selectorIlNS0_10empty_typeEEEZZNS1_27merge_sort_block_merge_implIS3_PlPS5_mZN2at6native12_GLOBAL__N_124unique_dim_cuda_templateIbEESt5tupleIJNSA_6TensorESF_SF_EERKSF_lbbbEUlllE_EE10hipError_tT0_T1_T2_jT3_P12ihipStream_tbPNSt15iterator_traitsISL_E10value_typeEPNSR_ISM_E10value_typeEPSN_NS1_7vsmem_tEENKUlT_SL_SM_SN_E_clIS8_S8_S9_S9_EESK_S10_SL_SM_SN_EUlS10_E0_NS1_11comp_targetILNS1_3genE2ELNS1_11target_archE906ELNS1_3gpuE6ELNS1_3repE0EEENS1_38merge_mergepath_config_static_selectorELNS0_4arch9wavefront6targetE1EEEvSM_.num_named_barrier, 0
	.set _ZN7rocprim17ROCPRIM_400000_NS6detail17trampoline_kernelINS0_14default_configENS1_38merge_sort_block_merge_config_selectorIlNS0_10empty_typeEEEZZNS1_27merge_sort_block_merge_implIS3_PlPS5_mZN2at6native12_GLOBAL__N_124unique_dim_cuda_templateIbEESt5tupleIJNSA_6TensorESF_SF_EERKSF_lbbbEUlllE_EE10hipError_tT0_T1_T2_jT3_P12ihipStream_tbPNSt15iterator_traitsISL_E10value_typeEPNSR_ISM_E10value_typeEPSN_NS1_7vsmem_tEENKUlT_SL_SM_SN_E_clIS8_S8_S9_S9_EESK_S10_SL_SM_SN_EUlS10_E0_NS1_11comp_targetILNS1_3genE2ELNS1_11target_archE906ELNS1_3gpuE6ELNS1_3repE0EEENS1_38merge_mergepath_config_static_selectorELNS0_4arch9wavefront6targetE1EEEvSM_.private_seg_size, 0
	.set _ZN7rocprim17ROCPRIM_400000_NS6detail17trampoline_kernelINS0_14default_configENS1_38merge_sort_block_merge_config_selectorIlNS0_10empty_typeEEEZZNS1_27merge_sort_block_merge_implIS3_PlPS5_mZN2at6native12_GLOBAL__N_124unique_dim_cuda_templateIbEESt5tupleIJNSA_6TensorESF_SF_EERKSF_lbbbEUlllE_EE10hipError_tT0_T1_T2_jT3_P12ihipStream_tbPNSt15iterator_traitsISL_E10value_typeEPNSR_ISM_E10value_typeEPSN_NS1_7vsmem_tEENKUlT_SL_SM_SN_E_clIS8_S8_S9_S9_EESK_S10_SL_SM_SN_EUlS10_E0_NS1_11comp_targetILNS1_3genE2ELNS1_11target_archE906ELNS1_3gpuE6ELNS1_3repE0EEENS1_38merge_mergepath_config_static_selectorELNS0_4arch9wavefront6targetE1EEEvSM_.uses_vcc, 0
	.set _ZN7rocprim17ROCPRIM_400000_NS6detail17trampoline_kernelINS0_14default_configENS1_38merge_sort_block_merge_config_selectorIlNS0_10empty_typeEEEZZNS1_27merge_sort_block_merge_implIS3_PlPS5_mZN2at6native12_GLOBAL__N_124unique_dim_cuda_templateIbEESt5tupleIJNSA_6TensorESF_SF_EERKSF_lbbbEUlllE_EE10hipError_tT0_T1_T2_jT3_P12ihipStream_tbPNSt15iterator_traitsISL_E10value_typeEPNSR_ISM_E10value_typeEPSN_NS1_7vsmem_tEENKUlT_SL_SM_SN_E_clIS8_S8_S9_S9_EESK_S10_SL_SM_SN_EUlS10_E0_NS1_11comp_targetILNS1_3genE2ELNS1_11target_archE906ELNS1_3gpuE6ELNS1_3repE0EEENS1_38merge_mergepath_config_static_selectorELNS0_4arch9wavefront6targetE1EEEvSM_.uses_flat_scratch, 0
	.set _ZN7rocprim17ROCPRIM_400000_NS6detail17trampoline_kernelINS0_14default_configENS1_38merge_sort_block_merge_config_selectorIlNS0_10empty_typeEEEZZNS1_27merge_sort_block_merge_implIS3_PlPS5_mZN2at6native12_GLOBAL__N_124unique_dim_cuda_templateIbEESt5tupleIJNSA_6TensorESF_SF_EERKSF_lbbbEUlllE_EE10hipError_tT0_T1_T2_jT3_P12ihipStream_tbPNSt15iterator_traitsISL_E10value_typeEPNSR_ISM_E10value_typeEPSN_NS1_7vsmem_tEENKUlT_SL_SM_SN_E_clIS8_S8_S9_S9_EESK_S10_SL_SM_SN_EUlS10_E0_NS1_11comp_targetILNS1_3genE2ELNS1_11target_archE906ELNS1_3gpuE6ELNS1_3repE0EEENS1_38merge_mergepath_config_static_selectorELNS0_4arch9wavefront6targetE1EEEvSM_.has_dyn_sized_stack, 0
	.set _ZN7rocprim17ROCPRIM_400000_NS6detail17trampoline_kernelINS0_14default_configENS1_38merge_sort_block_merge_config_selectorIlNS0_10empty_typeEEEZZNS1_27merge_sort_block_merge_implIS3_PlPS5_mZN2at6native12_GLOBAL__N_124unique_dim_cuda_templateIbEESt5tupleIJNSA_6TensorESF_SF_EERKSF_lbbbEUlllE_EE10hipError_tT0_T1_T2_jT3_P12ihipStream_tbPNSt15iterator_traitsISL_E10value_typeEPNSR_ISM_E10value_typeEPSN_NS1_7vsmem_tEENKUlT_SL_SM_SN_E_clIS8_S8_S9_S9_EESK_S10_SL_SM_SN_EUlS10_E0_NS1_11comp_targetILNS1_3genE2ELNS1_11target_archE906ELNS1_3gpuE6ELNS1_3repE0EEENS1_38merge_mergepath_config_static_selectorELNS0_4arch9wavefront6targetE1EEEvSM_.has_recursion, 0
	.set _ZN7rocprim17ROCPRIM_400000_NS6detail17trampoline_kernelINS0_14default_configENS1_38merge_sort_block_merge_config_selectorIlNS0_10empty_typeEEEZZNS1_27merge_sort_block_merge_implIS3_PlPS5_mZN2at6native12_GLOBAL__N_124unique_dim_cuda_templateIbEESt5tupleIJNSA_6TensorESF_SF_EERKSF_lbbbEUlllE_EE10hipError_tT0_T1_T2_jT3_P12ihipStream_tbPNSt15iterator_traitsISL_E10value_typeEPNSR_ISM_E10value_typeEPSN_NS1_7vsmem_tEENKUlT_SL_SM_SN_E_clIS8_S8_S9_S9_EESK_S10_SL_SM_SN_EUlS10_E0_NS1_11comp_targetILNS1_3genE2ELNS1_11target_archE906ELNS1_3gpuE6ELNS1_3repE0EEENS1_38merge_mergepath_config_static_selectorELNS0_4arch9wavefront6targetE1EEEvSM_.has_indirect_call, 0
	.section	.AMDGPU.csdata,"",@progbits
; Kernel info:
; codeLenInByte = 0
; TotalNumSgprs: 6
; NumVgprs: 0
; NumAgprs: 0
; TotalNumVgprs: 0
; ScratchSize: 0
; MemoryBound: 0
; FloatMode: 240
; IeeeMode: 1
; LDSByteSize: 0 bytes/workgroup (compile time only)
; SGPRBlocks: 0
; VGPRBlocks: 0
; NumSGPRsForWavesPerEU: 6
; NumVGPRsForWavesPerEU: 1
; AccumOffset: 4
; Occupancy: 8
; WaveLimiterHint : 0
; COMPUTE_PGM_RSRC2:SCRATCH_EN: 0
; COMPUTE_PGM_RSRC2:USER_SGPR: 2
; COMPUTE_PGM_RSRC2:TRAP_HANDLER: 0
; COMPUTE_PGM_RSRC2:TGID_X_EN: 1
; COMPUTE_PGM_RSRC2:TGID_Y_EN: 0
; COMPUTE_PGM_RSRC2:TGID_Z_EN: 0
; COMPUTE_PGM_RSRC2:TIDIG_COMP_CNT: 0
; COMPUTE_PGM_RSRC3_GFX90A:ACCUM_OFFSET: 0
; COMPUTE_PGM_RSRC3_GFX90A:TG_SPLIT: 0
	.section	.text._ZN7rocprim17ROCPRIM_400000_NS6detail17trampoline_kernelINS0_14default_configENS1_38merge_sort_block_merge_config_selectorIlNS0_10empty_typeEEEZZNS1_27merge_sort_block_merge_implIS3_PlPS5_mZN2at6native12_GLOBAL__N_124unique_dim_cuda_templateIbEESt5tupleIJNSA_6TensorESF_SF_EERKSF_lbbbEUlllE_EE10hipError_tT0_T1_T2_jT3_P12ihipStream_tbPNSt15iterator_traitsISL_E10value_typeEPNSR_ISM_E10value_typeEPSN_NS1_7vsmem_tEENKUlT_SL_SM_SN_E_clIS8_S8_S9_S9_EESK_S10_SL_SM_SN_EUlS10_E0_NS1_11comp_targetILNS1_3genE9ELNS1_11target_archE1100ELNS1_3gpuE3ELNS1_3repE0EEENS1_38merge_mergepath_config_static_selectorELNS0_4arch9wavefront6targetE1EEEvSM_,"axG",@progbits,_ZN7rocprim17ROCPRIM_400000_NS6detail17trampoline_kernelINS0_14default_configENS1_38merge_sort_block_merge_config_selectorIlNS0_10empty_typeEEEZZNS1_27merge_sort_block_merge_implIS3_PlPS5_mZN2at6native12_GLOBAL__N_124unique_dim_cuda_templateIbEESt5tupleIJNSA_6TensorESF_SF_EERKSF_lbbbEUlllE_EE10hipError_tT0_T1_T2_jT3_P12ihipStream_tbPNSt15iterator_traitsISL_E10value_typeEPNSR_ISM_E10value_typeEPSN_NS1_7vsmem_tEENKUlT_SL_SM_SN_E_clIS8_S8_S9_S9_EESK_S10_SL_SM_SN_EUlS10_E0_NS1_11comp_targetILNS1_3genE9ELNS1_11target_archE1100ELNS1_3gpuE3ELNS1_3repE0EEENS1_38merge_mergepath_config_static_selectorELNS0_4arch9wavefront6targetE1EEEvSM_,comdat
	.globl	_ZN7rocprim17ROCPRIM_400000_NS6detail17trampoline_kernelINS0_14default_configENS1_38merge_sort_block_merge_config_selectorIlNS0_10empty_typeEEEZZNS1_27merge_sort_block_merge_implIS3_PlPS5_mZN2at6native12_GLOBAL__N_124unique_dim_cuda_templateIbEESt5tupleIJNSA_6TensorESF_SF_EERKSF_lbbbEUlllE_EE10hipError_tT0_T1_T2_jT3_P12ihipStream_tbPNSt15iterator_traitsISL_E10value_typeEPNSR_ISM_E10value_typeEPSN_NS1_7vsmem_tEENKUlT_SL_SM_SN_E_clIS8_S8_S9_S9_EESK_S10_SL_SM_SN_EUlS10_E0_NS1_11comp_targetILNS1_3genE9ELNS1_11target_archE1100ELNS1_3gpuE3ELNS1_3repE0EEENS1_38merge_mergepath_config_static_selectorELNS0_4arch9wavefront6targetE1EEEvSM_ ; -- Begin function _ZN7rocprim17ROCPRIM_400000_NS6detail17trampoline_kernelINS0_14default_configENS1_38merge_sort_block_merge_config_selectorIlNS0_10empty_typeEEEZZNS1_27merge_sort_block_merge_implIS3_PlPS5_mZN2at6native12_GLOBAL__N_124unique_dim_cuda_templateIbEESt5tupleIJNSA_6TensorESF_SF_EERKSF_lbbbEUlllE_EE10hipError_tT0_T1_T2_jT3_P12ihipStream_tbPNSt15iterator_traitsISL_E10value_typeEPNSR_ISM_E10value_typeEPSN_NS1_7vsmem_tEENKUlT_SL_SM_SN_E_clIS8_S8_S9_S9_EESK_S10_SL_SM_SN_EUlS10_E0_NS1_11comp_targetILNS1_3genE9ELNS1_11target_archE1100ELNS1_3gpuE3ELNS1_3repE0EEENS1_38merge_mergepath_config_static_selectorELNS0_4arch9wavefront6targetE1EEEvSM_
	.p2align	8
	.type	_ZN7rocprim17ROCPRIM_400000_NS6detail17trampoline_kernelINS0_14default_configENS1_38merge_sort_block_merge_config_selectorIlNS0_10empty_typeEEEZZNS1_27merge_sort_block_merge_implIS3_PlPS5_mZN2at6native12_GLOBAL__N_124unique_dim_cuda_templateIbEESt5tupleIJNSA_6TensorESF_SF_EERKSF_lbbbEUlllE_EE10hipError_tT0_T1_T2_jT3_P12ihipStream_tbPNSt15iterator_traitsISL_E10value_typeEPNSR_ISM_E10value_typeEPSN_NS1_7vsmem_tEENKUlT_SL_SM_SN_E_clIS8_S8_S9_S9_EESK_S10_SL_SM_SN_EUlS10_E0_NS1_11comp_targetILNS1_3genE9ELNS1_11target_archE1100ELNS1_3gpuE3ELNS1_3repE0EEENS1_38merge_mergepath_config_static_selectorELNS0_4arch9wavefront6targetE1EEEvSM_,@function
_ZN7rocprim17ROCPRIM_400000_NS6detail17trampoline_kernelINS0_14default_configENS1_38merge_sort_block_merge_config_selectorIlNS0_10empty_typeEEEZZNS1_27merge_sort_block_merge_implIS3_PlPS5_mZN2at6native12_GLOBAL__N_124unique_dim_cuda_templateIbEESt5tupleIJNSA_6TensorESF_SF_EERKSF_lbbbEUlllE_EE10hipError_tT0_T1_T2_jT3_P12ihipStream_tbPNSt15iterator_traitsISL_E10value_typeEPNSR_ISM_E10value_typeEPSN_NS1_7vsmem_tEENKUlT_SL_SM_SN_E_clIS8_S8_S9_S9_EESK_S10_SL_SM_SN_EUlS10_E0_NS1_11comp_targetILNS1_3genE9ELNS1_11target_archE1100ELNS1_3gpuE3ELNS1_3repE0EEENS1_38merge_mergepath_config_static_selectorELNS0_4arch9wavefront6targetE1EEEvSM_: ; @_ZN7rocprim17ROCPRIM_400000_NS6detail17trampoline_kernelINS0_14default_configENS1_38merge_sort_block_merge_config_selectorIlNS0_10empty_typeEEEZZNS1_27merge_sort_block_merge_implIS3_PlPS5_mZN2at6native12_GLOBAL__N_124unique_dim_cuda_templateIbEESt5tupleIJNSA_6TensorESF_SF_EERKSF_lbbbEUlllE_EE10hipError_tT0_T1_T2_jT3_P12ihipStream_tbPNSt15iterator_traitsISL_E10value_typeEPNSR_ISM_E10value_typeEPSN_NS1_7vsmem_tEENKUlT_SL_SM_SN_E_clIS8_S8_S9_S9_EESK_S10_SL_SM_SN_EUlS10_E0_NS1_11comp_targetILNS1_3genE9ELNS1_11target_archE1100ELNS1_3gpuE3ELNS1_3repE0EEENS1_38merge_mergepath_config_static_selectorELNS0_4arch9wavefront6targetE1EEEvSM_
; %bb.0:
	.section	.rodata,"a",@progbits
	.p2align	6, 0x0
	.amdhsa_kernel _ZN7rocprim17ROCPRIM_400000_NS6detail17trampoline_kernelINS0_14default_configENS1_38merge_sort_block_merge_config_selectorIlNS0_10empty_typeEEEZZNS1_27merge_sort_block_merge_implIS3_PlPS5_mZN2at6native12_GLOBAL__N_124unique_dim_cuda_templateIbEESt5tupleIJNSA_6TensorESF_SF_EERKSF_lbbbEUlllE_EE10hipError_tT0_T1_T2_jT3_P12ihipStream_tbPNSt15iterator_traitsISL_E10value_typeEPNSR_ISM_E10value_typeEPSN_NS1_7vsmem_tEENKUlT_SL_SM_SN_E_clIS8_S8_S9_S9_EESK_S10_SL_SM_SN_EUlS10_E0_NS1_11comp_targetILNS1_3genE9ELNS1_11target_archE1100ELNS1_3gpuE3ELNS1_3repE0EEENS1_38merge_mergepath_config_static_selectorELNS0_4arch9wavefront6targetE1EEEvSM_
		.amdhsa_group_segment_fixed_size 0
		.amdhsa_private_segment_fixed_size 0
		.amdhsa_kernarg_size 88
		.amdhsa_user_sgpr_count 2
		.amdhsa_user_sgpr_dispatch_ptr 0
		.amdhsa_user_sgpr_queue_ptr 0
		.amdhsa_user_sgpr_kernarg_segment_ptr 1
		.amdhsa_user_sgpr_dispatch_id 0
		.amdhsa_user_sgpr_kernarg_preload_length 0
		.amdhsa_user_sgpr_kernarg_preload_offset 0
		.amdhsa_user_sgpr_private_segment_size 0
		.amdhsa_uses_dynamic_stack 0
		.amdhsa_enable_private_segment 0
		.amdhsa_system_sgpr_workgroup_id_x 1
		.amdhsa_system_sgpr_workgroup_id_y 0
		.amdhsa_system_sgpr_workgroup_id_z 0
		.amdhsa_system_sgpr_workgroup_info 0
		.amdhsa_system_vgpr_workitem_id 0
		.amdhsa_next_free_vgpr 1
		.amdhsa_next_free_sgpr 0
		.amdhsa_accum_offset 4
		.amdhsa_reserve_vcc 0
		.amdhsa_float_round_mode_32 0
		.amdhsa_float_round_mode_16_64 0
		.amdhsa_float_denorm_mode_32 3
		.amdhsa_float_denorm_mode_16_64 3
		.amdhsa_dx10_clamp 1
		.amdhsa_ieee_mode 1
		.amdhsa_fp16_overflow 0
		.amdhsa_tg_split 0
		.amdhsa_exception_fp_ieee_invalid_op 0
		.amdhsa_exception_fp_denorm_src 0
		.amdhsa_exception_fp_ieee_div_zero 0
		.amdhsa_exception_fp_ieee_overflow 0
		.amdhsa_exception_fp_ieee_underflow 0
		.amdhsa_exception_fp_ieee_inexact 0
		.amdhsa_exception_int_div_zero 0
	.end_amdhsa_kernel
	.section	.text._ZN7rocprim17ROCPRIM_400000_NS6detail17trampoline_kernelINS0_14default_configENS1_38merge_sort_block_merge_config_selectorIlNS0_10empty_typeEEEZZNS1_27merge_sort_block_merge_implIS3_PlPS5_mZN2at6native12_GLOBAL__N_124unique_dim_cuda_templateIbEESt5tupleIJNSA_6TensorESF_SF_EERKSF_lbbbEUlllE_EE10hipError_tT0_T1_T2_jT3_P12ihipStream_tbPNSt15iterator_traitsISL_E10value_typeEPNSR_ISM_E10value_typeEPSN_NS1_7vsmem_tEENKUlT_SL_SM_SN_E_clIS8_S8_S9_S9_EESK_S10_SL_SM_SN_EUlS10_E0_NS1_11comp_targetILNS1_3genE9ELNS1_11target_archE1100ELNS1_3gpuE3ELNS1_3repE0EEENS1_38merge_mergepath_config_static_selectorELNS0_4arch9wavefront6targetE1EEEvSM_,"axG",@progbits,_ZN7rocprim17ROCPRIM_400000_NS6detail17trampoline_kernelINS0_14default_configENS1_38merge_sort_block_merge_config_selectorIlNS0_10empty_typeEEEZZNS1_27merge_sort_block_merge_implIS3_PlPS5_mZN2at6native12_GLOBAL__N_124unique_dim_cuda_templateIbEESt5tupleIJNSA_6TensorESF_SF_EERKSF_lbbbEUlllE_EE10hipError_tT0_T1_T2_jT3_P12ihipStream_tbPNSt15iterator_traitsISL_E10value_typeEPNSR_ISM_E10value_typeEPSN_NS1_7vsmem_tEENKUlT_SL_SM_SN_E_clIS8_S8_S9_S9_EESK_S10_SL_SM_SN_EUlS10_E0_NS1_11comp_targetILNS1_3genE9ELNS1_11target_archE1100ELNS1_3gpuE3ELNS1_3repE0EEENS1_38merge_mergepath_config_static_selectorELNS0_4arch9wavefront6targetE1EEEvSM_,comdat
.Lfunc_end1016:
	.size	_ZN7rocprim17ROCPRIM_400000_NS6detail17trampoline_kernelINS0_14default_configENS1_38merge_sort_block_merge_config_selectorIlNS0_10empty_typeEEEZZNS1_27merge_sort_block_merge_implIS3_PlPS5_mZN2at6native12_GLOBAL__N_124unique_dim_cuda_templateIbEESt5tupleIJNSA_6TensorESF_SF_EERKSF_lbbbEUlllE_EE10hipError_tT0_T1_T2_jT3_P12ihipStream_tbPNSt15iterator_traitsISL_E10value_typeEPNSR_ISM_E10value_typeEPSN_NS1_7vsmem_tEENKUlT_SL_SM_SN_E_clIS8_S8_S9_S9_EESK_S10_SL_SM_SN_EUlS10_E0_NS1_11comp_targetILNS1_3genE9ELNS1_11target_archE1100ELNS1_3gpuE3ELNS1_3repE0EEENS1_38merge_mergepath_config_static_selectorELNS0_4arch9wavefront6targetE1EEEvSM_, .Lfunc_end1016-_ZN7rocprim17ROCPRIM_400000_NS6detail17trampoline_kernelINS0_14default_configENS1_38merge_sort_block_merge_config_selectorIlNS0_10empty_typeEEEZZNS1_27merge_sort_block_merge_implIS3_PlPS5_mZN2at6native12_GLOBAL__N_124unique_dim_cuda_templateIbEESt5tupleIJNSA_6TensorESF_SF_EERKSF_lbbbEUlllE_EE10hipError_tT0_T1_T2_jT3_P12ihipStream_tbPNSt15iterator_traitsISL_E10value_typeEPNSR_ISM_E10value_typeEPSN_NS1_7vsmem_tEENKUlT_SL_SM_SN_E_clIS8_S8_S9_S9_EESK_S10_SL_SM_SN_EUlS10_E0_NS1_11comp_targetILNS1_3genE9ELNS1_11target_archE1100ELNS1_3gpuE3ELNS1_3repE0EEENS1_38merge_mergepath_config_static_selectorELNS0_4arch9wavefront6targetE1EEEvSM_
                                        ; -- End function
	.set _ZN7rocprim17ROCPRIM_400000_NS6detail17trampoline_kernelINS0_14default_configENS1_38merge_sort_block_merge_config_selectorIlNS0_10empty_typeEEEZZNS1_27merge_sort_block_merge_implIS3_PlPS5_mZN2at6native12_GLOBAL__N_124unique_dim_cuda_templateIbEESt5tupleIJNSA_6TensorESF_SF_EERKSF_lbbbEUlllE_EE10hipError_tT0_T1_T2_jT3_P12ihipStream_tbPNSt15iterator_traitsISL_E10value_typeEPNSR_ISM_E10value_typeEPSN_NS1_7vsmem_tEENKUlT_SL_SM_SN_E_clIS8_S8_S9_S9_EESK_S10_SL_SM_SN_EUlS10_E0_NS1_11comp_targetILNS1_3genE9ELNS1_11target_archE1100ELNS1_3gpuE3ELNS1_3repE0EEENS1_38merge_mergepath_config_static_selectorELNS0_4arch9wavefront6targetE1EEEvSM_.num_vgpr, 0
	.set _ZN7rocprim17ROCPRIM_400000_NS6detail17trampoline_kernelINS0_14default_configENS1_38merge_sort_block_merge_config_selectorIlNS0_10empty_typeEEEZZNS1_27merge_sort_block_merge_implIS3_PlPS5_mZN2at6native12_GLOBAL__N_124unique_dim_cuda_templateIbEESt5tupleIJNSA_6TensorESF_SF_EERKSF_lbbbEUlllE_EE10hipError_tT0_T1_T2_jT3_P12ihipStream_tbPNSt15iterator_traitsISL_E10value_typeEPNSR_ISM_E10value_typeEPSN_NS1_7vsmem_tEENKUlT_SL_SM_SN_E_clIS8_S8_S9_S9_EESK_S10_SL_SM_SN_EUlS10_E0_NS1_11comp_targetILNS1_3genE9ELNS1_11target_archE1100ELNS1_3gpuE3ELNS1_3repE0EEENS1_38merge_mergepath_config_static_selectorELNS0_4arch9wavefront6targetE1EEEvSM_.num_agpr, 0
	.set _ZN7rocprim17ROCPRIM_400000_NS6detail17trampoline_kernelINS0_14default_configENS1_38merge_sort_block_merge_config_selectorIlNS0_10empty_typeEEEZZNS1_27merge_sort_block_merge_implIS3_PlPS5_mZN2at6native12_GLOBAL__N_124unique_dim_cuda_templateIbEESt5tupleIJNSA_6TensorESF_SF_EERKSF_lbbbEUlllE_EE10hipError_tT0_T1_T2_jT3_P12ihipStream_tbPNSt15iterator_traitsISL_E10value_typeEPNSR_ISM_E10value_typeEPSN_NS1_7vsmem_tEENKUlT_SL_SM_SN_E_clIS8_S8_S9_S9_EESK_S10_SL_SM_SN_EUlS10_E0_NS1_11comp_targetILNS1_3genE9ELNS1_11target_archE1100ELNS1_3gpuE3ELNS1_3repE0EEENS1_38merge_mergepath_config_static_selectorELNS0_4arch9wavefront6targetE1EEEvSM_.numbered_sgpr, 0
	.set _ZN7rocprim17ROCPRIM_400000_NS6detail17trampoline_kernelINS0_14default_configENS1_38merge_sort_block_merge_config_selectorIlNS0_10empty_typeEEEZZNS1_27merge_sort_block_merge_implIS3_PlPS5_mZN2at6native12_GLOBAL__N_124unique_dim_cuda_templateIbEESt5tupleIJNSA_6TensorESF_SF_EERKSF_lbbbEUlllE_EE10hipError_tT0_T1_T2_jT3_P12ihipStream_tbPNSt15iterator_traitsISL_E10value_typeEPNSR_ISM_E10value_typeEPSN_NS1_7vsmem_tEENKUlT_SL_SM_SN_E_clIS8_S8_S9_S9_EESK_S10_SL_SM_SN_EUlS10_E0_NS1_11comp_targetILNS1_3genE9ELNS1_11target_archE1100ELNS1_3gpuE3ELNS1_3repE0EEENS1_38merge_mergepath_config_static_selectorELNS0_4arch9wavefront6targetE1EEEvSM_.num_named_barrier, 0
	.set _ZN7rocprim17ROCPRIM_400000_NS6detail17trampoline_kernelINS0_14default_configENS1_38merge_sort_block_merge_config_selectorIlNS0_10empty_typeEEEZZNS1_27merge_sort_block_merge_implIS3_PlPS5_mZN2at6native12_GLOBAL__N_124unique_dim_cuda_templateIbEESt5tupleIJNSA_6TensorESF_SF_EERKSF_lbbbEUlllE_EE10hipError_tT0_T1_T2_jT3_P12ihipStream_tbPNSt15iterator_traitsISL_E10value_typeEPNSR_ISM_E10value_typeEPSN_NS1_7vsmem_tEENKUlT_SL_SM_SN_E_clIS8_S8_S9_S9_EESK_S10_SL_SM_SN_EUlS10_E0_NS1_11comp_targetILNS1_3genE9ELNS1_11target_archE1100ELNS1_3gpuE3ELNS1_3repE0EEENS1_38merge_mergepath_config_static_selectorELNS0_4arch9wavefront6targetE1EEEvSM_.private_seg_size, 0
	.set _ZN7rocprim17ROCPRIM_400000_NS6detail17trampoline_kernelINS0_14default_configENS1_38merge_sort_block_merge_config_selectorIlNS0_10empty_typeEEEZZNS1_27merge_sort_block_merge_implIS3_PlPS5_mZN2at6native12_GLOBAL__N_124unique_dim_cuda_templateIbEESt5tupleIJNSA_6TensorESF_SF_EERKSF_lbbbEUlllE_EE10hipError_tT0_T1_T2_jT3_P12ihipStream_tbPNSt15iterator_traitsISL_E10value_typeEPNSR_ISM_E10value_typeEPSN_NS1_7vsmem_tEENKUlT_SL_SM_SN_E_clIS8_S8_S9_S9_EESK_S10_SL_SM_SN_EUlS10_E0_NS1_11comp_targetILNS1_3genE9ELNS1_11target_archE1100ELNS1_3gpuE3ELNS1_3repE0EEENS1_38merge_mergepath_config_static_selectorELNS0_4arch9wavefront6targetE1EEEvSM_.uses_vcc, 0
	.set _ZN7rocprim17ROCPRIM_400000_NS6detail17trampoline_kernelINS0_14default_configENS1_38merge_sort_block_merge_config_selectorIlNS0_10empty_typeEEEZZNS1_27merge_sort_block_merge_implIS3_PlPS5_mZN2at6native12_GLOBAL__N_124unique_dim_cuda_templateIbEESt5tupleIJNSA_6TensorESF_SF_EERKSF_lbbbEUlllE_EE10hipError_tT0_T1_T2_jT3_P12ihipStream_tbPNSt15iterator_traitsISL_E10value_typeEPNSR_ISM_E10value_typeEPSN_NS1_7vsmem_tEENKUlT_SL_SM_SN_E_clIS8_S8_S9_S9_EESK_S10_SL_SM_SN_EUlS10_E0_NS1_11comp_targetILNS1_3genE9ELNS1_11target_archE1100ELNS1_3gpuE3ELNS1_3repE0EEENS1_38merge_mergepath_config_static_selectorELNS0_4arch9wavefront6targetE1EEEvSM_.uses_flat_scratch, 0
	.set _ZN7rocprim17ROCPRIM_400000_NS6detail17trampoline_kernelINS0_14default_configENS1_38merge_sort_block_merge_config_selectorIlNS0_10empty_typeEEEZZNS1_27merge_sort_block_merge_implIS3_PlPS5_mZN2at6native12_GLOBAL__N_124unique_dim_cuda_templateIbEESt5tupleIJNSA_6TensorESF_SF_EERKSF_lbbbEUlllE_EE10hipError_tT0_T1_T2_jT3_P12ihipStream_tbPNSt15iterator_traitsISL_E10value_typeEPNSR_ISM_E10value_typeEPSN_NS1_7vsmem_tEENKUlT_SL_SM_SN_E_clIS8_S8_S9_S9_EESK_S10_SL_SM_SN_EUlS10_E0_NS1_11comp_targetILNS1_3genE9ELNS1_11target_archE1100ELNS1_3gpuE3ELNS1_3repE0EEENS1_38merge_mergepath_config_static_selectorELNS0_4arch9wavefront6targetE1EEEvSM_.has_dyn_sized_stack, 0
	.set _ZN7rocprim17ROCPRIM_400000_NS6detail17trampoline_kernelINS0_14default_configENS1_38merge_sort_block_merge_config_selectorIlNS0_10empty_typeEEEZZNS1_27merge_sort_block_merge_implIS3_PlPS5_mZN2at6native12_GLOBAL__N_124unique_dim_cuda_templateIbEESt5tupleIJNSA_6TensorESF_SF_EERKSF_lbbbEUlllE_EE10hipError_tT0_T1_T2_jT3_P12ihipStream_tbPNSt15iterator_traitsISL_E10value_typeEPNSR_ISM_E10value_typeEPSN_NS1_7vsmem_tEENKUlT_SL_SM_SN_E_clIS8_S8_S9_S9_EESK_S10_SL_SM_SN_EUlS10_E0_NS1_11comp_targetILNS1_3genE9ELNS1_11target_archE1100ELNS1_3gpuE3ELNS1_3repE0EEENS1_38merge_mergepath_config_static_selectorELNS0_4arch9wavefront6targetE1EEEvSM_.has_recursion, 0
	.set _ZN7rocprim17ROCPRIM_400000_NS6detail17trampoline_kernelINS0_14default_configENS1_38merge_sort_block_merge_config_selectorIlNS0_10empty_typeEEEZZNS1_27merge_sort_block_merge_implIS3_PlPS5_mZN2at6native12_GLOBAL__N_124unique_dim_cuda_templateIbEESt5tupleIJNSA_6TensorESF_SF_EERKSF_lbbbEUlllE_EE10hipError_tT0_T1_T2_jT3_P12ihipStream_tbPNSt15iterator_traitsISL_E10value_typeEPNSR_ISM_E10value_typeEPSN_NS1_7vsmem_tEENKUlT_SL_SM_SN_E_clIS8_S8_S9_S9_EESK_S10_SL_SM_SN_EUlS10_E0_NS1_11comp_targetILNS1_3genE9ELNS1_11target_archE1100ELNS1_3gpuE3ELNS1_3repE0EEENS1_38merge_mergepath_config_static_selectorELNS0_4arch9wavefront6targetE1EEEvSM_.has_indirect_call, 0
	.section	.AMDGPU.csdata,"",@progbits
; Kernel info:
; codeLenInByte = 0
; TotalNumSgprs: 6
; NumVgprs: 0
; NumAgprs: 0
; TotalNumVgprs: 0
; ScratchSize: 0
; MemoryBound: 0
; FloatMode: 240
; IeeeMode: 1
; LDSByteSize: 0 bytes/workgroup (compile time only)
; SGPRBlocks: 0
; VGPRBlocks: 0
; NumSGPRsForWavesPerEU: 6
; NumVGPRsForWavesPerEU: 1
; AccumOffset: 4
; Occupancy: 8
; WaveLimiterHint : 0
; COMPUTE_PGM_RSRC2:SCRATCH_EN: 0
; COMPUTE_PGM_RSRC2:USER_SGPR: 2
; COMPUTE_PGM_RSRC2:TRAP_HANDLER: 0
; COMPUTE_PGM_RSRC2:TGID_X_EN: 1
; COMPUTE_PGM_RSRC2:TGID_Y_EN: 0
; COMPUTE_PGM_RSRC2:TGID_Z_EN: 0
; COMPUTE_PGM_RSRC2:TIDIG_COMP_CNT: 0
; COMPUTE_PGM_RSRC3_GFX90A:ACCUM_OFFSET: 0
; COMPUTE_PGM_RSRC3_GFX90A:TG_SPLIT: 0
	.section	.text._ZN7rocprim17ROCPRIM_400000_NS6detail17trampoline_kernelINS0_14default_configENS1_38merge_sort_block_merge_config_selectorIlNS0_10empty_typeEEEZZNS1_27merge_sort_block_merge_implIS3_PlPS5_mZN2at6native12_GLOBAL__N_124unique_dim_cuda_templateIbEESt5tupleIJNSA_6TensorESF_SF_EERKSF_lbbbEUlllE_EE10hipError_tT0_T1_T2_jT3_P12ihipStream_tbPNSt15iterator_traitsISL_E10value_typeEPNSR_ISM_E10value_typeEPSN_NS1_7vsmem_tEENKUlT_SL_SM_SN_E_clIS8_S8_S9_S9_EESK_S10_SL_SM_SN_EUlS10_E0_NS1_11comp_targetILNS1_3genE8ELNS1_11target_archE1030ELNS1_3gpuE2ELNS1_3repE0EEENS1_38merge_mergepath_config_static_selectorELNS0_4arch9wavefront6targetE1EEEvSM_,"axG",@progbits,_ZN7rocprim17ROCPRIM_400000_NS6detail17trampoline_kernelINS0_14default_configENS1_38merge_sort_block_merge_config_selectorIlNS0_10empty_typeEEEZZNS1_27merge_sort_block_merge_implIS3_PlPS5_mZN2at6native12_GLOBAL__N_124unique_dim_cuda_templateIbEESt5tupleIJNSA_6TensorESF_SF_EERKSF_lbbbEUlllE_EE10hipError_tT0_T1_T2_jT3_P12ihipStream_tbPNSt15iterator_traitsISL_E10value_typeEPNSR_ISM_E10value_typeEPSN_NS1_7vsmem_tEENKUlT_SL_SM_SN_E_clIS8_S8_S9_S9_EESK_S10_SL_SM_SN_EUlS10_E0_NS1_11comp_targetILNS1_3genE8ELNS1_11target_archE1030ELNS1_3gpuE2ELNS1_3repE0EEENS1_38merge_mergepath_config_static_selectorELNS0_4arch9wavefront6targetE1EEEvSM_,comdat
	.globl	_ZN7rocprim17ROCPRIM_400000_NS6detail17trampoline_kernelINS0_14default_configENS1_38merge_sort_block_merge_config_selectorIlNS0_10empty_typeEEEZZNS1_27merge_sort_block_merge_implIS3_PlPS5_mZN2at6native12_GLOBAL__N_124unique_dim_cuda_templateIbEESt5tupleIJNSA_6TensorESF_SF_EERKSF_lbbbEUlllE_EE10hipError_tT0_T1_T2_jT3_P12ihipStream_tbPNSt15iterator_traitsISL_E10value_typeEPNSR_ISM_E10value_typeEPSN_NS1_7vsmem_tEENKUlT_SL_SM_SN_E_clIS8_S8_S9_S9_EESK_S10_SL_SM_SN_EUlS10_E0_NS1_11comp_targetILNS1_3genE8ELNS1_11target_archE1030ELNS1_3gpuE2ELNS1_3repE0EEENS1_38merge_mergepath_config_static_selectorELNS0_4arch9wavefront6targetE1EEEvSM_ ; -- Begin function _ZN7rocprim17ROCPRIM_400000_NS6detail17trampoline_kernelINS0_14default_configENS1_38merge_sort_block_merge_config_selectorIlNS0_10empty_typeEEEZZNS1_27merge_sort_block_merge_implIS3_PlPS5_mZN2at6native12_GLOBAL__N_124unique_dim_cuda_templateIbEESt5tupleIJNSA_6TensorESF_SF_EERKSF_lbbbEUlllE_EE10hipError_tT0_T1_T2_jT3_P12ihipStream_tbPNSt15iterator_traitsISL_E10value_typeEPNSR_ISM_E10value_typeEPSN_NS1_7vsmem_tEENKUlT_SL_SM_SN_E_clIS8_S8_S9_S9_EESK_S10_SL_SM_SN_EUlS10_E0_NS1_11comp_targetILNS1_3genE8ELNS1_11target_archE1030ELNS1_3gpuE2ELNS1_3repE0EEENS1_38merge_mergepath_config_static_selectorELNS0_4arch9wavefront6targetE1EEEvSM_
	.p2align	8
	.type	_ZN7rocprim17ROCPRIM_400000_NS6detail17trampoline_kernelINS0_14default_configENS1_38merge_sort_block_merge_config_selectorIlNS0_10empty_typeEEEZZNS1_27merge_sort_block_merge_implIS3_PlPS5_mZN2at6native12_GLOBAL__N_124unique_dim_cuda_templateIbEESt5tupleIJNSA_6TensorESF_SF_EERKSF_lbbbEUlllE_EE10hipError_tT0_T1_T2_jT3_P12ihipStream_tbPNSt15iterator_traitsISL_E10value_typeEPNSR_ISM_E10value_typeEPSN_NS1_7vsmem_tEENKUlT_SL_SM_SN_E_clIS8_S8_S9_S9_EESK_S10_SL_SM_SN_EUlS10_E0_NS1_11comp_targetILNS1_3genE8ELNS1_11target_archE1030ELNS1_3gpuE2ELNS1_3repE0EEENS1_38merge_mergepath_config_static_selectorELNS0_4arch9wavefront6targetE1EEEvSM_,@function
_ZN7rocprim17ROCPRIM_400000_NS6detail17trampoline_kernelINS0_14default_configENS1_38merge_sort_block_merge_config_selectorIlNS0_10empty_typeEEEZZNS1_27merge_sort_block_merge_implIS3_PlPS5_mZN2at6native12_GLOBAL__N_124unique_dim_cuda_templateIbEESt5tupleIJNSA_6TensorESF_SF_EERKSF_lbbbEUlllE_EE10hipError_tT0_T1_T2_jT3_P12ihipStream_tbPNSt15iterator_traitsISL_E10value_typeEPNSR_ISM_E10value_typeEPSN_NS1_7vsmem_tEENKUlT_SL_SM_SN_E_clIS8_S8_S9_S9_EESK_S10_SL_SM_SN_EUlS10_E0_NS1_11comp_targetILNS1_3genE8ELNS1_11target_archE1030ELNS1_3gpuE2ELNS1_3repE0EEENS1_38merge_mergepath_config_static_selectorELNS0_4arch9wavefront6targetE1EEEvSM_: ; @_ZN7rocprim17ROCPRIM_400000_NS6detail17trampoline_kernelINS0_14default_configENS1_38merge_sort_block_merge_config_selectorIlNS0_10empty_typeEEEZZNS1_27merge_sort_block_merge_implIS3_PlPS5_mZN2at6native12_GLOBAL__N_124unique_dim_cuda_templateIbEESt5tupleIJNSA_6TensorESF_SF_EERKSF_lbbbEUlllE_EE10hipError_tT0_T1_T2_jT3_P12ihipStream_tbPNSt15iterator_traitsISL_E10value_typeEPNSR_ISM_E10value_typeEPSN_NS1_7vsmem_tEENKUlT_SL_SM_SN_E_clIS8_S8_S9_S9_EESK_S10_SL_SM_SN_EUlS10_E0_NS1_11comp_targetILNS1_3genE8ELNS1_11target_archE1030ELNS1_3gpuE2ELNS1_3repE0EEENS1_38merge_mergepath_config_static_selectorELNS0_4arch9wavefront6targetE1EEEvSM_
; %bb.0:
	.section	.rodata,"a",@progbits
	.p2align	6, 0x0
	.amdhsa_kernel _ZN7rocprim17ROCPRIM_400000_NS6detail17trampoline_kernelINS0_14default_configENS1_38merge_sort_block_merge_config_selectorIlNS0_10empty_typeEEEZZNS1_27merge_sort_block_merge_implIS3_PlPS5_mZN2at6native12_GLOBAL__N_124unique_dim_cuda_templateIbEESt5tupleIJNSA_6TensorESF_SF_EERKSF_lbbbEUlllE_EE10hipError_tT0_T1_T2_jT3_P12ihipStream_tbPNSt15iterator_traitsISL_E10value_typeEPNSR_ISM_E10value_typeEPSN_NS1_7vsmem_tEENKUlT_SL_SM_SN_E_clIS8_S8_S9_S9_EESK_S10_SL_SM_SN_EUlS10_E0_NS1_11comp_targetILNS1_3genE8ELNS1_11target_archE1030ELNS1_3gpuE2ELNS1_3repE0EEENS1_38merge_mergepath_config_static_selectorELNS0_4arch9wavefront6targetE1EEEvSM_
		.amdhsa_group_segment_fixed_size 0
		.amdhsa_private_segment_fixed_size 0
		.amdhsa_kernarg_size 88
		.amdhsa_user_sgpr_count 2
		.amdhsa_user_sgpr_dispatch_ptr 0
		.amdhsa_user_sgpr_queue_ptr 0
		.amdhsa_user_sgpr_kernarg_segment_ptr 1
		.amdhsa_user_sgpr_dispatch_id 0
		.amdhsa_user_sgpr_kernarg_preload_length 0
		.amdhsa_user_sgpr_kernarg_preload_offset 0
		.amdhsa_user_sgpr_private_segment_size 0
		.amdhsa_uses_dynamic_stack 0
		.amdhsa_enable_private_segment 0
		.amdhsa_system_sgpr_workgroup_id_x 1
		.amdhsa_system_sgpr_workgroup_id_y 0
		.amdhsa_system_sgpr_workgroup_id_z 0
		.amdhsa_system_sgpr_workgroup_info 0
		.amdhsa_system_vgpr_workitem_id 0
		.amdhsa_next_free_vgpr 1
		.amdhsa_next_free_sgpr 0
		.amdhsa_accum_offset 4
		.amdhsa_reserve_vcc 0
		.amdhsa_float_round_mode_32 0
		.amdhsa_float_round_mode_16_64 0
		.amdhsa_float_denorm_mode_32 3
		.amdhsa_float_denorm_mode_16_64 3
		.amdhsa_dx10_clamp 1
		.amdhsa_ieee_mode 1
		.amdhsa_fp16_overflow 0
		.amdhsa_tg_split 0
		.amdhsa_exception_fp_ieee_invalid_op 0
		.amdhsa_exception_fp_denorm_src 0
		.amdhsa_exception_fp_ieee_div_zero 0
		.amdhsa_exception_fp_ieee_overflow 0
		.amdhsa_exception_fp_ieee_underflow 0
		.amdhsa_exception_fp_ieee_inexact 0
		.amdhsa_exception_int_div_zero 0
	.end_amdhsa_kernel
	.section	.text._ZN7rocprim17ROCPRIM_400000_NS6detail17trampoline_kernelINS0_14default_configENS1_38merge_sort_block_merge_config_selectorIlNS0_10empty_typeEEEZZNS1_27merge_sort_block_merge_implIS3_PlPS5_mZN2at6native12_GLOBAL__N_124unique_dim_cuda_templateIbEESt5tupleIJNSA_6TensorESF_SF_EERKSF_lbbbEUlllE_EE10hipError_tT0_T1_T2_jT3_P12ihipStream_tbPNSt15iterator_traitsISL_E10value_typeEPNSR_ISM_E10value_typeEPSN_NS1_7vsmem_tEENKUlT_SL_SM_SN_E_clIS8_S8_S9_S9_EESK_S10_SL_SM_SN_EUlS10_E0_NS1_11comp_targetILNS1_3genE8ELNS1_11target_archE1030ELNS1_3gpuE2ELNS1_3repE0EEENS1_38merge_mergepath_config_static_selectorELNS0_4arch9wavefront6targetE1EEEvSM_,"axG",@progbits,_ZN7rocprim17ROCPRIM_400000_NS6detail17trampoline_kernelINS0_14default_configENS1_38merge_sort_block_merge_config_selectorIlNS0_10empty_typeEEEZZNS1_27merge_sort_block_merge_implIS3_PlPS5_mZN2at6native12_GLOBAL__N_124unique_dim_cuda_templateIbEESt5tupleIJNSA_6TensorESF_SF_EERKSF_lbbbEUlllE_EE10hipError_tT0_T1_T2_jT3_P12ihipStream_tbPNSt15iterator_traitsISL_E10value_typeEPNSR_ISM_E10value_typeEPSN_NS1_7vsmem_tEENKUlT_SL_SM_SN_E_clIS8_S8_S9_S9_EESK_S10_SL_SM_SN_EUlS10_E0_NS1_11comp_targetILNS1_3genE8ELNS1_11target_archE1030ELNS1_3gpuE2ELNS1_3repE0EEENS1_38merge_mergepath_config_static_selectorELNS0_4arch9wavefront6targetE1EEEvSM_,comdat
.Lfunc_end1017:
	.size	_ZN7rocprim17ROCPRIM_400000_NS6detail17trampoline_kernelINS0_14default_configENS1_38merge_sort_block_merge_config_selectorIlNS0_10empty_typeEEEZZNS1_27merge_sort_block_merge_implIS3_PlPS5_mZN2at6native12_GLOBAL__N_124unique_dim_cuda_templateIbEESt5tupleIJNSA_6TensorESF_SF_EERKSF_lbbbEUlllE_EE10hipError_tT0_T1_T2_jT3_P12ihipStream_tbPNSt15iterator_traitsISL_E10value_typeEPNSR_ISM_E10value_typeEPSN_NS1_7vsmem_tEENKUlT_SL_SM_SN_E_clIS8_S8_S9_S9_EESK_S10_SL_SM_SN_EUlS10_E0_NS1_11comp_targetILNS1_3genE8ELNS1_11target_archE1030ELNS1_3gpuE2ELNS1_3repE0EEENS1_38merge_mergepath_config_static_selectorELNS0_4arch9wavefront6targetE1EEEvSM_, .Lfunc_end1017-_ZN7rocprim17ROCPRIM_400000_NS6detail17trampoline_kernelINS0_14default_configENS1_38merge_sort_block_merge_config_selectorIlNS0_10empty_typeEEEZZNS1_27merge_sort_block_merge_implIS3_PlPS5_mZN2at6native12_GLOBAL__N_124unique_dim_cuda_templateIbEESt5tupleIJNSA_6TensorESF_SF_EERKSF_lbbbEUlllE_EE10hipError_tT0_T1_T2_jT3_P12ihipStream_tbPNSt15iterator_traitsISL_E10value_typeEPNSR_ISM_E10value_typeEPSN_NS1_7vsmem_tEENKUlT_SL_SM_SN_E_clIS8_S8_S9_S9_EESK_S10_SL_SM_SN_EUlS10_E0_NS1_11comp_targetILNS1_3genE8ELNS1_11target_archE1030ELNS1_3gpuE2ELNS1_3repE0EEENS1_38merge_mergepath_config_static_selectorELNS0_4arch9wavefront6targetE1EEEvSM_
                                        ; -- End function
	.set _ZN7rocprim17ROCPRIM_400000_NS6detail17trampoline_kernelINS0_14default_configENS1_38merge_sort_block_merge_config_selectorIlNS0_10empty_typeEEEZZNS1_27merge_sort_block_merge_implIS3_PlPS5_mZN2at6native12_GLOBAL__N_124unique_dim_cuda_templateIbEESt5tupleIJNSA_6TensorESF_SF_EERKSF_lbbbEUlllE_EE10hipError_tT0_T1_T2_jT3_P12ihipStream_tbPNSt15iterator_traitsISL_E10value_typeEPNSR_ISM_E10value_typeEPSN_NS1_7vsmem_tEENKUlT_SL_SM_SN_E_clIS8_S8_S9_S9_EESK_S10_SL_SM_SN_EUlS10_E0_NS1_11comp_targetILNS1_3genE8ELNS1_11target_archE1030ELNS1_3gpuE2ELNS1_3repE0EEENS1_38merge_mergepath_config_static_selectorELNS0_4arch9wavefront6targetE1EEEvSM_.num_vgpr, 0
	.set _ZN7rocprim17ROCPRIM_400000_NS6detail17trampoline_kernelINS0_14default_configENS1_38merge_sort_block_merge_config_selectorIlNS0_10empty_typeEEEZZNS1_27merge_sort_block_merge_implIS3_PlPS5_mZN2at6native12_GLOBAL__N_124unique_dim_cuda_templateIbEESt5tupleIJNSA_6TensorESF_SF_EERKSF_lbbbEUlllE_EE10hipError_tT0_T1_T2_jT3_P12ihipStream_tbPNSt15iterator_traitsISL_E10value_typeEPNSR_ISM_E10value_typeEPSN_NS1_7vsmem_tEENKUlT_SL_SM_SN_E_clIS8_S8_S9_S9_EESK_S10_SL_SM_SN_EUlS10_E0_NS1_11comp_targetILNS1_3genE8ELNS1_11target_archE1030ELNS1_3gpuE2ELNS1_3repE0EEENS1_38merge_mergepath_config_static_selectorELNS0_4arch9wavefront6targetE1EEEvSM_.num_agpr, 0
	.set _ZN7rocprim17ROCPRIM_400000_NS6detail17trampoline_kernelINS0_14default_configENS1_38merge_sort_block_merge_config_selectorIlNS0_10empty_typeEEEZZNS1_27merge_sort_block_merge_implIS3_PlPS5_mZN2at6native12_GLOBAL__N_124unique_dim_cuda_templateIbEESt5tupleIJNSA_6TensorESF_SF_EERKSF_lbbbEUlllE_EE10hipError_tT0_T1_T2_jT3_P12ihipStream_tbPNSt15iterator_traitsISL_E10value_typeEPNSR_ISM_E10value_typeEPSN_NS1_7vsmem_tEENKUlT_SL_SM_SN_E_clIS8_S8_S9_S9_EESK_S10_SL_SM_SN_EUlS10_E0_NS1_11comp_targetILNS1_3genE8ELNS1_11target_archE1030ELNS1_3gpuE2ELNS1_3repE0EEENS1_38merge_mergepath_config_static_selectorELNS0_4arch9wavefront6targetE1EEEvSM_.numbered_sgpr, 0
	.set _ZN7rocprim17ROCPRIM_400000_NS6detail17trampoline_kernelINS0_14default_configENS1_38merge_sort_block_merge_config_selectorIlNS0_10empty_typeEEEZZNS1_27merge_sort_block_merge_implIS3_PlPS5_mZN2at6native12_GLOBAL__N_124unique_dim_cuda_templateIbEESt5tupleIJNSA_6TensorESF_SF_EERKSF_lbbbEUlllE_EE10hipError_tT0_T1_T2_jT3_P12ihipStream_tbPNSt15iterator_traitsISL_E10value_typeEPNSR_ISM_E10value_typeEPSN_NS1_7vsmem_tEENKUlT_SL_SM_SN_E_clIS8_S8_S9_S9_EESK_S10_SL_SM_SN_EUlS10_E0_NS1_11comp_targetILNS1_3genE8ELNS1_11target_archE1030ELNS1_3gpuE2ELNS1_3repE0EEENS1_38merge_mergepath_config_static_selectorELNS0_4arch9wavefront6targetE1EEEvSM_.num_named_barrier, 0
	.set _ZN7rocprim17ROCPRIM_400000_NS6detail17trampoline_kernelINS0_14default_configENS1_38merge_sort_block_merge_config_selectorIlNS0_10empty_typeEEEZZNS1_27merge_sort_block_merge_implIS3_PlPS5_mZN2at6native12_GLOBAL__N_124unique_dim_cuda_templateIbEESt5tupleIJNSA_6TensorESF_SF_EERKSF_lbbbEUlllE_EE10hipError_tT0_T1_T2_jT3_P12ihipStream_tbPNSt15iterator_traitsISL_E10value_typeEPNSR_ISM_E10value_typeEPSN_NS1_7vsmem_tEENKUlT_SL_SM_SN_E_clIS8_S8_S9_S9_EESK_S10_SL_SM_SN_EUlS10_E0_NS1_11comp_targetILNS1_3genE8ELNS1_11target_archE1030ELNS1_3gpuE2ELNS1_3repE0EEENS1_38merge_mergepath_config_static_selectorELNS0_4arch9wavefront6targetE1EEEvSM_.private_seg_size, 0
	.set _ZN7rocprim17ROCPRIM_400000_NS6detail17trampoline_kernelINS0_14default_configENS1_38merge_sort_block_merge_config_selectorIlNS0_10empty_typeEEEZZNS1_27merge_sort_block_merge_implIS3_PlPS5_mZN2at6native12_GLOBAL__N_124unique_dim_cuda_templateIbEESt5tupleIJNSA_6TensorESF_SF_EERKSF_lbbbEUlllE_EE10hipError_tT0_T1_T2_jT3_P12ihipStream_tbPNSt15iterator_traitsISL_E10value_typeEPNSR_ISM_E10value_typeEPSN_NS1_7vsmem_tEENKUlT_SL_SM_SN_E_clIS8_S8_S9_S9_EESK_S10_SL_SM_SN_EUlS10_E0_NS1_11comp_targetILNS1_3genE8ELNS1_11target_archE1030ELNS1_3gpuE2ELNS1_3repE0EEENS1_38merge_mergepath_config_static_selectorELNS0_4arch9wavefront6targetE1EEEvSM_.uses_vcc, 0
	.set _ZN7rocprim17ROCPRIM_400000_NS6detail17trampoline_kernelINS0_14default_configENS1_38merge_sort_block_merge_config_selectorIlNS0_10empty_typeEEEZZNS1_27merge_sort_block_merge_implIS3_PlPS5_mZN2at6native12_GLOBAL__N_124unique_dim_cuda_templateIbEESt5tupleIJNSA_6TensorESF_SF_EERKSF_lbbbEUlllE_EE10hipError_tT0_T1_T2_jT3_P12ihipStream_tbPNSt15iterator_traitsISL_E10value_typeEPNSR_ISM_E10value_typeEPSN_NS1_7vsmem_tEENKUlT_SL_SM_SN_E_clIS8_S8_S9_S9_EESK_S10_SL_SM_SN_EUlS10_E0_NS1_11comp_targetILNS1_3genE8ELNS1_11target_archE1030ELNS1_3gpuE2ELNS1_3repE0EEENS1_38merge_mergepath_config_static_selectorELNS0_4arch9wavefront6targetE1EEEvSM_.uses_flat_scratch, 0
	.set _ZN7rocprim17ROCPRIM_400000_NS6detail17trampoline_kernelINS0_14default_configENS1_38merge_sort_block_merge_config_selectorIlNS0_10empty_typeEEEZZNS1_27merge_sort_block_merge_implIS3_PlPS5_mZN2at6native12_GLOBAL__N_124unique_dim_cuda_templateIbEESt5tupleIJNSA_6TensorESF_SF_EERKSF_lbbbEUlllE_EE10hipError_tT0_T1_T2_jT3_P12ihipStream_tbPNSt15iterator_traitsISL_E10value_typeEPNSR_ISM_E10value_typeEPSN_NS1_7vsmem_tEENKUlT_SL_SM_SN_E_clIS8_S8_S9_S9_EESK_S10_SL_SM_SN_EUlS10_E0_NS1_11comp_targetILNS1_3genE8ELNS1_11target_archE1030ELNS1_3gpuE2ELNS1_3repE0EEENS1_38merge_mergepath_config_static_selectorELNS0_4arch9wavefront6targetE1EEEvSM_.has_dyn_sized_stack, 0
	.set _ZN7rocprim17ROCPRIM_400000_NS6detail17trampoline_kernelINS0_14default_configENS1_38merge_sort_block_merge_config_selectorIlNS0_10empty_typeEEEZZNS1_27merge_sort_block_merge_implIS3_PlPS5_mZN2at6native12_GLOBAL__N_124unique_dim_cuda_templateIbEESt5tupleIJNSA_6TensorESF_SF_EERKSF_lbbbEUlllE_EE10hipError_tT0_T1_T2_jT3_P12ihipStream_tbPNSt15iterator_traitsISL_E10value_typeEPNSR_ISM_E10value_typeEPSN_NS1_7vsmem_tEENKUlT_SL_SM_SN_E_clIS8_S8_S9_S9_EESK_S10_SL_SM_SN_EUlS10_E0_NS1_11comp_targetILNS1_3genE8ELNS1_11target_archE1030ELNS1_3gpuE2ELNS1_3repE0EEENS1_38merge_mergepath_config_static_selectorELNS0_4arch9wavefront6targetE1EEEvSM_.has_recursion, 0
	.set _ZN7rocprim17ROCPRIM_400000_NS6detail17trampoline_kernelINS0_14default_configENS1_38merge_sort_block_merge_config_selectorIlNS0_10empty_typeEEEZZNS1_27merge_sort_block_merge_implIS3_PlPS5_mZN2at6native12_GLOBAL__N_124unique_dim_cuda_templateIbEESt5tupleIJNSA_6TensorESF_SF_EERKSF_lbbbEUlllE_EE10hipError_tT0_T1_T2_jT3_P12ihipStream_tbPNSt15iterator_traitsISL_E10value_typeEPNSR_ISM_E10value_typeEPSN_NS1_7vsmem_tEENKUlT_SL_SM_SN_E_clIS8_S8_S9_S9_EESK_S10_SL_SM_SN_EUlS10_E0_NS1_11comp_targetILNS1_3genE8ELNS1_11target_archE1030ELNS1_3gpuE2ELNS1_3repE0EEENS1_38merge_mergepath_config_static_selectorELNS0_4arch9wavefront6targetE1EEEvSM_.has_indirect_call, 0
	.section	.AMDGPU.csdata,"",@progbits
; Kernel info:
; codeLenInByte = 0
; TotalNumSgprs: 6
; NumVgprs: 0
; NumAgprs: 0
; TotalNumVgprs: 0
; ScratchSize: 0
; MemoryBound: 0
; FloatMode: 240
; IeeeMode: 1
; LDSByteSize: 0 bytes/workgroup (compile time only)
; SGPRBlocks: 0
; VGPRBlocks: 0
; NumSGPRsForWavesPerEU: 6
; NumVGPRsForWavesPerEU: 1
; AccumOffset: 4
; Occupancy: 8
; WaveLimiterHint : 0
; COMPUTE_PGM_RSRC2:SCRATCH_EN: 0
; COMPUTE_PGM_RSRC2:USER_SGPR: 2
; COMPUTE_PGM_RSRC2:TRAP_HANDLER: 0
; COMPUTE_PGM_RSRC2:TGID_X_EN: 1
; COMPUTE_PGM_RSRC2:TGID_Y_EN: 0
; COMPUTE_PGM_RSRC2:TGID_Z_EN: 0
; COMPUTE_PGM_RSRC2:TIDIG_COMP_CNT: 0
; COMPUTE_PGM_RSRC3_GFX90A:ACCUM_OFFSET: 0
; COMPUTE_PGM_RSRC3_GFX90A:TG_SPLIT: 0
	.section	.text._ZN7rocprim17ROCPRIM_400000_NS6detail17trampoline_kernelINS0_14default_configENS1_38merge_sort_block_merge_config_selectorIlNS0_10empty_typeEEEZZNS1_27merge_sort_block_merge_implIS3_PlPS5_mZN2at6native12_GLOBAL__N_124unique_dim_cuda_templateIbEESt5tupleIJNSA_6TensorESF_SF_EERKSF_lbbbEUlllE_EE10hipError_tT0_T1_T2_jT3_P12ihipStream_tbPNSt15iterator_traitsISL_E10value_typeEPNSR_ISM_E10value_typeEPSN_NS1_7vsmem_tEENKUlT_SL_SM_SN_E_clIS8_S8_S9_S9_EESK_S10_SL_SM_SN_EUlS10_E1_NS1_11comp_targetILNS1_3genE0ELNS1_11target_archE4294967295ELNS1_3gpuE0ELNS1_3repE0EEENS1_36merge_oddeven_config_static_selectorELNS0_4arch9wavefront6targetE1EEEvSM_,"axG",@progbits,_ZN7rocprim17ROCPRIM_400000_NS6detail17trampoline_kernelINS0_14default_configENS1_38merge_sort_block_merge_config_selectorIlNS0_10empty_typeEEEZZNS1_27merge_sort_block_merge_implIS3_PlPS5_mZN2at6native12_GLOBAL__N_124unique_dim_cuda_templateIbEESt5tupleIJNSA_6TensorESF_SF_EERKSF_lbbbEUlllE_EE10hipError_tT0_T1_T2_jT3_P12ihipStream_tbPNSt15iterator_traitsISL_E10value_typeEPNSR_ISM_E10value_typeEPSN_NS1_7vsmem_tEENKUlT_SL_SM_SN_E_clIS8_S8_S9_S9_EESK_S10_SL_SM_SN_EUlS10_E1_NS1_11comp_targetILNS1_3genE0ELNS1_11target_archE4294967295ELNS1_3gpuE0ELNS1_3repE0EEENS1_36merge_oddeven_config_static_selectorELNS0_4arch9wavefront6targetE1EEEvSM_,comdat
	.globl	_ZN7rocprim17ROCPRIM_400000_NS6detail17trampoline_kernelINS0_14default_configENS1_38merge_sort_block_merge_config_selectorIlNS0_10empty_typeEEEZZNS1_27merge_sort_block_merge_implIS3_PlPS5_mZN2at6native12_GLOBAL__N_124unique_dim_cuda_templateIbEESt5tupleIJNSA_6TensorESF_SF_EERKSF_lbbbEUlllE_EE10hipError_tT0_T1_T2_jT3_P12ihipStream_tbPNSt15iterator_traitsISL_E10value_typeEPNSR_ISM_E10value_typeEPSN_NS1_7vsmem_tEENKUlT_SL_SM_SN_E_clIS8_S8_S9_S9_EESK_S10_SL_SM_SN_EUlS10_E1_NS1_11comp_targetILNS1_3genE0ELNS1_11target_archE4294967295ELNS1_3gpuE0ELNS1_3repE0EEENS1_36merge_oddeven_config_static_selectorELNS0_4arch9wavefront6targetE1EEEvSM_ ; -- Begin function _ZN7rocprim17ROCPRIM_400000_NS6detail17trampoline_kernelINS0_14default_configENS1_38merge_sort_block_merge_config_selectorIlNS0_10empty_typeEEEZZNS1_27merge_sort_block_merge_implIS3_PlPS5_mZN2at6native12_GLOBAL__N_124unique_dim_cuda_templateIbEESt5tupleIJNSA_6TensorESF_SF_EERKSF_lbbbEUlllE_EE10hipError_tT0_T1_T2_jT3_P12ihipStream_tbPNSt15iterator_traitsISL_E10value_typeEPNSR_ISM_E10value_typeEPSN_NS1_7vsmem_tEENKUlT_SL_SM_SN_E_clIS8_S8_S9_S9_EESK_S10_SL_SM_SN_EUlS10_E1_NS1_11comp_targetILNS1_3genE0ELNS1_11target_archE4294967295ELNS1_3gpuE0ELNS1_3repE0EEENS1_36merge_oddeven_config_static_selectorELNS0_4arch9wavefront6targetE1EEEvSM_
	.p2align	8
	.type	_ZN7rocprim17ROCPRIM_400000_NS6detail17trampoline_kernelINS0_14default_configENS1_38merge_sort_block_merge_config_selectorIlNS0_10empty_typeEEEZZNS1_27merge_sort_block_merge_implIS3_PlPS5_mZN2at6native12_GLOBAL__N_124unique_dim_cuda_templateIbEESt5tupleIJNSA_6TensorESF_SF_EERKSF_lbbbEUlllE_EE10hipError_tT0_T1_T2_jT3_P12ihipStream_tbPNSt15iterator_traitsISL_E10value_typeEPNSR_ISM_E10value_typeEPSN_NS1_7vsmem_tEENKUlT_SL_SM_SN_E_clIS8_S8_S9_S9_EESK_S10_SL_SM_SN_EUlS10_E1_NS1_11comp_targetILNS1_3genE0ELNS1_11target_archE4294967295ELNS1_3gpuE0ELNS1_3repE0EEENS1_36merge_oddeven_config_static_selectorELNS0_4arch9wavefront6targetE1EEEvSM_,@function
_ZN7rocprim17ROCPRIM_400000_NS6detail17trampoline_kernelINS0_14default_configENS1_38merge_sort_block_merge_config_selectorIlNS0_10empty_typeEEEZZNS1_27merge_sort_block_merge_implIS3_PlPS5_mZN2at6native12_GLOBAL__N_124unique_dim_cuda_templateIbEESt5tupleIJNSA_6TensorESF_SF_EERKSF_lbbbEUlllE_EE10hipError_tT0_T1_T2_jT3_P12ihipStream_tbPNSt15iterator_traitsISL_E10value_typeEPNSR_ISM_E10value_typeEPSN_NS1_7vsmem_tEENKUlT_SL_SM_SN_E_clIS8_S8_S9_S9_EESK_S10_SL_SM_SN_EUlS10_E1_NS1_11comp_targetILNS1_3genE0ELNS1_11target_archE4294967295ELNS1_3gpuE0ELNS1_3repE0EEENS1_36merge_oddeven_config_static_selectorELNS0_4arch9wavefront6targetE1EEEvSM_: ; @_ZN7rocprim17ROCPRIM_400000_NS6detail17trampoline_kernelINS0_14default_configENS1_38merge_sort_block_merge_config_selectorIlNS0_10empty_typeEEEZZNS1_27merge_sort_block_merge_implIS3_PlPS5_mZN2at6native12_GLOBAL__N_124unique_dim_cuda_templateIbEESt5tupleIJNSA_6TensorESF_SF_EERKSF_lbbbEUlllE_EE10hipError_tT0_T1_T2_jT3_P12ihipStream_tbPNSt15iterator_traitsISL_E10value_typeEPNSR_ISM_E10value_typeEPSN_NS1_7vsmem_tEENKUlT_SL_SM_SN_E_clIS8_S8_S9_S9_EESK_S10_SL_SM_SN_EUlS10_E1_NS1_11comp_targetILNS1_3genE0ELNS1_11target_archE4294967295ELNS1_3gpuE0ELNS1_3repE0EEENS1_36merge_oddeven_config_static_selectorELNS0_4arch9wavefront6targetE1EEEvSM_
; %bb.0:
	s_load_dword s22, s[0:1], 0x20
	s_waitcnt lgkmcnt(0)
	s_lshr_b32 s3, s22, 8
	s_cmp_lg_u32 s2, s3
	s_cselect_b64 s[12:13], -1, 0
	s_cmp_eq_u32 s2, s3
	s_cselect_b64 s[20:21], -1, 0
	s_lshl_b32 s18, s2, 8
	s_sub_i32 s3, s22, s18
	v_cmp_gt_u32_e64 s[4:5], s3, v0
	s_or_b64 s[6:7], s[12:13], s[4:5]
	s_and_saveexec_b64 s[8:9], s[6:7]
	s_cbranch_execz .LBB1018_54
; %bb.1:
	s_load_dwordx4 s[8:11], s[0:1], 0x0
	s_load_dword s23, s[0:1], 0x28
	s_mov_b32 s19, 0
	s_lshl_b64 s[6:7], s[18:19], 3
	v_lshlrev_b32_e32 v1, 3, v0
	s_waitcnt lgkmcnt(0)
	s_add_u32 s6, s8, s6
	s_addc_u32 s7, s9, s7
	global_load_dwordx2 v[2:3], v1, s[6:7]
	s_lshr_b32 s3, s23, 8
	s_sub_i32 s6, 0, s3
	s_and_b32 s2, s2, s6
	s_and_b32 s3, s2, s3
	s_cmp_lg_u32 s3, 0
	s_cselect_b64 s[6:7], -1, 0
	s_lshl_b32 s19, s2, 8
	s_sub_i32 s2, 0, s23
	s_cmp_eq_u32 s3, 0
	s_cselect_b32 s33, s23, s2
	s_add_i32 s33, s33, s19
	s_cmp_lt_u32 s33, s22
	s_cbranch_scc1 .LBB1018_3
; %bb.2:
	v_add_u32_e32 v4, s18, v0
	v_cmp_gt_u32_e32 vcc, s22, v4
	s_or_b64 s[12:13], vcc, s[12:13]
	s_and_b64 s[16:17], s[12:13], exec
	s_cbranch_execz .LBB1018_4
	s_branch .LBB1018_52
.LBB1018_3:
	s_mov_b64 s[16:17], 0
                                        ; implicit-def: $vgpr4
.LBB1018_4:
	s_load_dwordx4 s[12:15], s[0:1], 0x30
	s_min_u32 s40, s33, s22
	s_add_i32 s0, s40, s23
	s_min_u32 s41, s0, s22
	s_min_u32 s0, s19, s40
	v_add_u32_e32 v0, s18, v0
	s_add_i32 s19, s19, s40
	v_subrev_u32_e32 v0, s19, v0
	v_add_u32_e32 v14, s0, v0
	s_waitcnt vmcnt(0) lgkmcnt(0)
	v_mul_lo_u32 v4, v3, s12
	v_mul_lo_u32 v5, v2, s13
	v_mad_u64_u32 v[0:1], s[0:1], v2, s12, 0
	v_cmp_gt_i64_e64 s[18:19], s[12:13], 0
	v_add3_u32 v1, v1, v5, v4
	s_and_b64 vcc, exec, s[20:21]
	s_cbranch_vccz .LBB1018_26
; %bb.5:
                                        ; implicit-def: $vgpr4
	s_and_saveexec_b64 s[20:21], s[4:5]
	s_cbranch_execz .LBB1018_29
; %bb.6:
	s_cmp_ge_u32 s33, s41
	v_mov_b32_e32 v15, s40
	s_cbranch_scc1 .LBB1018_28
; %bb.7:
	v_cndmask_b32_e64 v6, 0, 1, s[6:7]
	v_cmp_ne_u32_e64 s[0:1], 1, v6
	v_cndmask_b32_e64 v6, 0, 1, s[18:19]
	v_lshl_add_u64 v[4:5], s[14:15], 0, v[0:1]
	s_mov_b64 s[22:23], 0
	v_mov_b32_e32 v16, s41
	v_mov_b32_e32 v15, s40
	;; [unrolled: 1-line block ×3, first 2 shown]
	v_cmp_ne_u32_e64 s[2:3], 1, v6
	s_branch .LBB1018_10
.LBB1018_8:                             ;   in Loop: Header=BB1018_10 Depth=1
	s_or_b64 exec, exec, s[26:27]
.LBB1018_9:                             ;   in Loop: Header=BB1018_10 Depth=1
	s_waitcnt vmcnt(0)
	v_add_u32_e32 v8, 1, v6
	v_cndmask_b32_e64 v16, v6, v16, s[24:25]
	v_cndmask_b32_e64 v15, v15, v8, s[24:25]
	v_cmp_ge_u32_e32 vcc, v15, v16
	s_or_b64 s[22:23], vcc, s[22:23]
	s_andn2_b64 exec, exec, s[22:23]
	s_cbranch_execz .LBB1018_27
.LBB1018_10:                            ; =>This Loop Header: Depth=1
                                        ;     Child Loop BB1018_14 Depth 2
                                        ;     Child Loop BB1018_23 Depth 2
	v_add_u32_e32 v6, v15, v16
	v_lshrrev_b32_e32 v6, 1, v6
	v_lshl_add_u64 v[8:9], v[6:7], 3, s[8:9]
	global_load_dwordx2 v[8:9], v[8:9], off
	s_and_b64 vcc, exec, s[0:1]
	s_mov_b64 s[4:5], -1
                                        ; implicit-def: $sgpr24_sgpr25
	s_cbranch_vccnz .LBB1018_19
; %bb.11:                               ;   in Loop: Header=BB1018_10 Depth=1
	s_and_b64 vcc, exec, s[2:3]
	s_cbranch_vccnz .LBB1018_17
; %bb.12:                               ;   in Loop: Header=BB1018_10 Depth=1
	v_mov_b64_e32 v[10:11], s[14:15]
	s_waitcnt vmcnt(0)
	v_mad_u64_u32 v[10:11], s[4:5], v8, s12, v[10:11]
	v_mul_lo_u32 v12, v8, s13
	v_mul_lo_u32 v13, v9, s12
	v_add3_u32 v11, v13, v11, v12
	s_mov_b64 s[24:25], 0
	s_mov_b64 s[30:31], s[12:13]
	v_mov_b64_e32 v[12:13], v[4:5]
                                        ; implicit-def: $sgpr26_sgpr27
                                        ; implicit-def: $sgpr28_sgpr29
                                        ; implicit-def: $sgpr4_sgpr5
                                        ; implicit-def: $sgpr34_sgpr35
	s_branch .LBB1018_14
.LBB1018_13:                            ;   in Loop: Header=BB1018_14 Depth=2
	s_or_b64 exec, exec, s[38:39]
	s_and_b64 s[38:39], exec, s[28:29]
	s_or_b64 s[24:25], s[38:39], s[24:25]
	s_andn2_b64 s[34:35], s[34:35], exec
	s_and_b64 s[36:37], s[36:37], exec
	s_or_b64 s[34:35], s[34:35], s[36:37]
	s_andn2_b64 s[26:27], s[26:27], exec
	s_and_b64 s[36:37], s[4:5], exec
	s_or_b64 s[26:27], s[26:27], s[36:37]
	s_andn2_b64 exec, exec, s[24:25]
	s_cbranch_execz .LBB1018_16
.LBB1018_14:                            ;   Parent Loop BB1018_10 Depth=1
                                        ; =>  This Inner Loop Header: Depth=2
	global_load_ubyte v17, v[12:13], off
	global_load_ubyte v18, v[10:11], off
	s_andn2_b64 s[38:39], s[4:5], exec
	s_or_b64 s[28:29], s[28:29], exec
	s_waitcnt vmcnt(1)
	v_cmp_eq_u16_e32 vcc, 0, v17
	s_waitcnt vmcnt(0)
	v_cmp_ne_u16_e64 s[4:5], 0, v18
	s_or_b64 s[42:43], vcc, s[4:5]
	s_and_b64 s[36:37], vcc, s[4:5]
	s_xor_b64 s[44:45], vcc, s[4:5]
	s_and_b64 s[4:5], s[42:43], s[34:35]
	s_or_b64 s[36:37], s[36:37], s[4:5]
	s_and_b64 s[4:5], s[36:37], exec
	s_or_b64 s[4:5], s[38:39], s[4:5]
	s_and_saveexec_b64 s[38:39], s[44:45]
	s_cbranch_execz .LBB1018_13
; %bb.15:                               ;   in Loop: Header=BB1018_14 Depth=2
	s_add_u32 s30, s30, -1
	s_addc_u32 s31, s31, -1
	s_cmp_eq_u64 s[30:31], 0
	s_cselect_b64 s[34:35], -1, 0
	s_andn2_b64 s[28:29], s[28:29], exec
	s_and_b64 s[34:35], s[34:35], exec
	v_lshl_add_u64 v[12:13], v[12:13], 0, 1
	v_lshl_add_u64 v[10:11], v[10:11], 0, 1
	s_andn2_b64 s[4:5], s[4:5], exec
	s_or_b64 s[28:29], s[28:29], s[34:35]
                                        ; implicit-def: $sgpr34_sgpr35
	s_branch .LBB1018_13
.LBB1018_16:                            ;   in Loop: Header=BB1018_10 Depth=1
	s_or_b64 exec, exec, s[24:25]
	s_xor_b64 s[24:25], s[26:27], -1
	s_branch .LBB1018_18
.LBB1018_17:                            ;   in Loop: Header=BB1018_10 Depth=1
	s_mov_b64 s[24:25], -1
.LBB1018_18:                            ;   in Loop: Header=BB1018_10 Depth=1
	s_mov_b64 s[4:5], 0
.LBB1018_19:                            ;   in Loop: Header=BB1018_10 Depth=1
	s_andn2_b64 vcc, exec, s[4:5]
	s_cbranch_vccnz .LBB1018_9
; %bb.20:                               ;   in Loop: Header=BB1018_10 Depth=1
	s_and_b64 vcc, exec, s[2:3]
	s_cbranch_vccnz .LBB1018_25
; %bb.21:                               ;   in Loop: Header=BB1018_10 Depth=1
	v_mov_b64_e32 v[10:11], s[14:15]
	s_waitcnt vmcnt(0)
	v_mad_u64_u32 v[10:11], s[4:5], v8, s12, v[10:11]
	v_mul_lo_u32 v8, v8, s13
	v_mul_lo_u32 v9, v9, s12
	v_add3_u32 v11, v9, v11, v8
	s_mov_b64 s[26:27], 0
	s_mov_b64 s[30:31], s[12:13]
	v_mov_b64_e32 v[8:9], v[4:5]
                                        ; implicit-def: $sgpr24_sgpr25
                                        ; implicit-def: $sgpr28_sgpr29
                                        ; implicit-def: $sgpr4_sgpr5
                                        ; implicit-def: $sgpr34_sgpr35
	s_branch .LBB1018_23
.LBB1018_22:                            ;   in Loop: Header=BB1018_23 Depth=2
	s_or_b64 exec, exec, s[38:39]
	s_and_b64 s[38:39], exec, s[28:29]
	s_or_b64 s[26:27], s[38:39], s[26:27]
	s_andn2_b64 s[34:35], s[34:35], exec
	s_and_b64 s[36:37], s[36:37], exec
	s_or_b64 s[34:35], s[34:35], s[36:37]
	s_andn2_b64 s[24:25], s[24:25], exec
	s_and_b64 s[36:37], s[4:5], exec
	s_or_b64 s[24:25], s[24:25], s[36:37]
	s_andn2_b64 exec, exec, s[26:27]
	s_cbranch_execz .LBB1018_8
.LBB1018_23:                            ;   Parent Loop BB1018_10 Depth=1
                                        ; =>  This Inner Loop Header: Depth=2
	global_load_ubyte v12, v[10:11], off
	global_load_ubyte v13, v[8:9], off
	s_andn2_b64 s[38:39], s[4:5], exec
	s_or_b64 s[28:29], s[28:29], exec
	s_waitcnt vmcnt(1)
	v_cmp_eq_u16_e32 vcc, 0, v12
	s_waitcnt vmcnt(0)
	v_cmp_ne_u16_e64 s[4:5], 0, v13
	s_or_b64 s[42:43], vcc, s[4:5]
	s_and_b64 s[36:37], vcc, s[4:5]
	s_xor_b64 s[44:45], vcc, s[4:5]
	s_and_b64 s[4:5], s[42:43], s[34:35]
	s_or_b64 s[36:37], s[36:37], s[4:5]
	s_and_b64 s[4:5], s[36:37], exec
	s_or_b64 s[4:5], s[38:39], s[4:5]
	s_and_saveexec_b64 s[38:39], s[44:45]
	s_cbranch_execz .LBB1018_22
; %bb.24:                               ;   in Loop: Header=BB1018_23 Depth=2
	s_add_u32 s30, s30, -1
	s_addc_u32 s31, s31, -1
	s_cmp_eq_u64 s[30:31], 0
	s_cselect_b64 s[34:35], -1, 0
	s_andn2_b64 s[28:29], s[28:29], exec
	s_and_b64 s[34:35], s[34:35], exec
	v_lshl_add_u64 v[10:11], v[10:11], 0, 1
	v_lshl_add_u64 v[8:9], v[8:9], 0, 1
	s_andn2_b64 s[4:5], s[4:5], exec
	s_or_b64 s[28:29], s[28:29], s[34:35]
                                        ; implicit-def: $sgpr34_sgpr35
	s_branch .LBB1018_22
.LBB1018_25:                            ;   in Loop: Header=BB1018_10 Depth=1
	s_mov_b64 s[24:25], 0
	s_branch .LBB1018_9
.LBB1018_26:
                                        ; implicit-def: $vgpr4
	s_cbranch_execnz .LBB1018_30
	s_branch .LBB1018_52
.LBB1018_27:
	s_or_b64 exec, exec, s[22:23]
.LBB1018_28:
	v_add_u32_e32 v4, v15, v14
	s_or_b64 s[16:17], s[16:17], exec
.LBB1018_29:
	s_or_b64 exec, exec, s[20:21]
	s_branch .LBB1018_52
.LBB1018_30:
	s_cmp_ge_u32 s33, s41
	v_mov_b32_e32 v12, s40
	s_cbranch_scc1 .LBB1018_51
; %bb.31:
	v_cndmask_b32_e64 v4, 0, 1, s[6:7]
	v_cmp_ne_u32_e64 s[0:1], 1, v4
	v_cndmask_b32_e64 v4, 0, 1, s[18:19]
	v_lshl_add_u64 v[0:1], s[14:15], 0, v[0:1]
	s_mov_b64 s[16:17], 0
	v_mov_b32_e32 v13, s41
	v_mov_b32_e32 v12, s40
	;; [unrolled: 1-line block ×3, first 2 shown]
	v_cmp_ne_u32_e64 s[2:3], 1, v4
	s_branch .LBB1018_34
.LBB1018_32:                            ;   in Loop: Header=BB1018_34 Depth=1
	s_or_b64 exec, exec, s[18:19]
.LBB1018_33:                            ;   in Loop: Header=BB1018_34 Depth=1
	s_waitcnt vmcnt(0)
	v_add_u32_e32 v6, 1, v4
	v_cndmask_b32_e64 v13, v4, v13, s[6:7]
	v_cndmask_b32_e64 v12, v12, v6, s[6:7]
	v_cmp_ge_u32_e32 vcc, v12, v13
	s_or_b64 s[16:17], vcc, s[16:17]
	s_andn2_b64 exec, exec, s[16:17]
	s_cbranch_execz .LBB1018_50
.LBB1018_34:                            ; =>This Loop Header: Depth=1
                                        ;     Child Loop BB1018_38 Depth 2
                                        ;     Child Loop BB1018_47 Depth 2
	v_add_u32_e32 v4, v12, v13
	v_lshrrev_b32_e32 v4, 1, v4
	v_lshl_add_u64 v[6:7], v[4:5], 3, s[8:9]
	global_load_dwordx2 v[6:7], v[6:7], off
	s_and_b64 vcc, exec, s[0:1]
	s_mov_b64 s[4:5], -1
                                        ; implicit-def: $sgpr6_sgpr7
	s_cbranch_vccnz .LBB1018_43
; %bb.35:                               ;   in Loop: Header=BB1018_34 Depth=1
	s_and_b64 vcc, exec, s[2:3]
	s_cbranch_vccnz .LBB1018_41
; %bb.36:                               ;   in Loop: Header=BB1018_34 Depth=1
	v_mov_b64_e32 v[8:9], s[14:15]
	s_waitcnt vmcnt(0)
	v_mad_u64_u32 v[8:9], s[4:5], v6, s12, v[8:9]
	v_mul_lo_u32 v10, v6, s13
	v_mul_lo_u32 v11, v7, s12
	v_add3_u32 v9, v11, v9, v10
	s_mov_b64 s[6:7], 0
	s_mov_b64 s[22:23], s[12:13]
	v_mov_b64_e32 v[10:11], v[0:1]
                                        ; implicit-def: $sgpr18_sgpr19
                                        ; implicit-def: $sgpr20_sgpr21
                                        ; implicit-def: $sgpr4_sgpr5
                                        ; implicit-def: $sgpr24_sgpr25
	s_branch .LBB1018_38
.LBB1018_37:                            ;   in Loop: Header=BB1018_38 Depth=2
	s_or_b64 exec, exec, s[28:29]
	s_and_b64 s[28:29], exec, s[20:21]
	s_or_b64 s[6:7], s[28:29], s[6:7]
	s_andn2_b64 s[24:25], s[24:25], exec
	s_and_b64 s[26:27], s[26:27], exec
	s_or_b64 s[24:25], s[24:25], s[26:27]
	s_andn2_b64 s[18:19], s[18:19], exec
	s_and_b64 s[26:27], s[4:5], exec
	s_or_b64 s[18:19], s[18:19], s[26:27]
	s_andn2_b64 exec, exec, s[6:7]
	s_cbranch_execz .LBB1018_40
.LBB1018_38:                            ;   Parent Loop BB1018_34 Depth=1
                                        ; =>  This Inner Loop Header: Depth=2
	global_load_ubyte v15, v[10:11], off
	global_load_ubyte v16, v[8:9], off
	s_andn2_b64 s[28:29], s[4:5], exec
	s_or_b64 s[20:21], s[20:21], exec
	s_waitcnt vmcnt(1)
	v_cmp_eq_u16_e32 vcc, 0, v15
	s_waitcnt vmcnt(0)
	v_cmp_ne_u16_e64 s[4:5], 0, v16
	s_or_b64 s[30:31], vcc, s[4:5]
	s_and_b64 s[26:27], vcc, s[4:5]
	s_xor_b64 s[34:35], vcc, s[4:5]
	s_and_b64 s[4:5], s[30:31], s[24:25]
	s_or_b64 s[26:27], s[26:27], s[4:5]
	s_and_b64 s[4:5], s[26:27], exec
	s_or_b64 s[4:5], s[28:29], s[4:5]
	s_and_saveexec_b64 s[28:29], s[34:35]
	s_cbranch_execz .LBB1018_37
; %bb.39:                               ;   in Loop: Header=BB1018_38 Depth=2
	s_add_u32 s22, s22, -1
	s_addc_u32 s23, s23, -1
	s_cmp_eq_u64 s[22:23], 0
	s_cselect_b64 s[24:25], -1, 0
	s_andn2_b64 s[20:21], s[20:21], exec
	s_and_b64 s[24:25], s[24:25], exec
	v_lshl_add_u64 v[10:11], v[10:11], 0, 1
	v_lshl_add_u64 v[8:9], v[8:9], 0, 1
	s_andn2_b64 s[4:5], s[4:5], exec
	s_or_b64 s[20:21], s[20:21], s[24:25]
                                        ; implicit-def: $sgpr24_sgpr25
	s_branch .LBB1018_37
.LBB1018_40:                            ;   in Loop: Header=BB1018_34 Depth=1
	s_or_b64 exec, exec, s[6:7]
	s_xor_b64 s[6:7], s[18:19], -1
	s_branch .LBB1018_42
.LBB1018_41:                            ;   in Loop: Header=BB1018_34 Depth=1
	s_mov_b64 s[6:7], -1
.LBB1018_42:                            ;   in Loop: Header=BB1018_34 Depth=1
	s_mov_b64 s[4:5], 0
.LBB1018_43:                            ;   in Loop: Header=BB1018_34 Depth=1
	s_andn2_b64 vcc, exec, s[4:5]
	s_cbranch_vccnz .LBB1018_33
; %bb.44:                               ;   in Loop: Header=BB1018_34 Depth=1
	s_and_b64 vcc, exec, s[2:3]
	s_cbranch_vccnz .LBB1018_49
; %bb.45:                               ;   in Loop: Header=BB1018_34 Depth=1
	v_mov_b64_e32 v[8:9], s[14:15]
	s_waitcnt vmcnt(0)
	v_mad_u64_u32 v[8:9], s[4:5], v6, s12, v[8:9]
	v_mul_lo_u32 v6, v6, s13
	v_mul_lo_u32 v7, v7, s12
	v_add3_u32 v9, v7, v9, v6
	s_mov_b64 s[18:19], 0
	s_mov_b64 s[22:23], s[12:13]
	v_mov_b64_e32 v[6:7], v[0:1]
                                        ; implicit-def: $sgpr6_sgpr7
                                        ; implicit-def: $sgpr20_sgpr21
                                        ; implicit-def: $sgpr4_sgpr5
                                        ; implicit-def: $sgpr24_sgpr25
	s_branch .LBB1018_47
.LBB1018_46:                            ;   in Loop: Header=BB1018_47 Depth=2
	s_or_b64 exec, exec, s[28:29]
	s_and_b64 s[28:29], exec, s[20:21]
	s_or_b64 s[18:19], s[28:29], s[18:19]
	s_andn2_b64 s[24:25], s[24:25], exec
	s_and_b64 s[26:27], s[26:27], exec
	s_or_b64 s[24:25], s[24:25], s[26:27]
	s_andn2_b64 s[6:7], s[6:7], exec
	s_and_b64 s[26:27], s[4:5], exec
	s_or_b64 s[6:7], s[6:7], s[26:27]
	s_andn2_b64 exec, exec, s[18:19]
	s_cbranch_execz .LBB1018_32
.LBB1018_47:                            ;   Parent Loop BB1018_34 Depth=1
                                        ; =>  This Inner Loop Header: Depth=2
	global_load_ubyte v10, v[8:9], off
	global_load_ubyte v11, v[6:7], off
	s_andn2_b64 s[28:29], s[4:5], exec
	s_or_b64 s[20:21], s[20:21], exec
	s_waitcnt vmcnt(1)
	v_cmp_eq_u16_e32 vcc, 0, v10
	s_waitcnt vmcnt(0)
	v_cmp_ne_u16_e64 s[4:5], 0, v11
	s_or_b64 s[30:31], vcc, s[4:5]
	s_and_b64 s[26:27], vcc, s[4:5]
	s_xor_b64 s[34:35], vcc, s[4:5]
	s_and_b64 s[4:5], s[30:31], s[24:25]
	s_or_b64 s[26:27], s[26:27], s[4:5]
	s_and_b64 s[4:5], s[26:27], exec
	s_or_b64 s[4:5], s[28:29], s[4:5]
	s_and_saveexec_b64 s[28:29], s[34:35]
	s_cbranch_execz .LBB1018_46
; %bb.48:                               ;   in Loop: Header=BB1018_47 Depth=2
	s_add_u32 s22, s22, -1
	s_addc_u32 s23, s23, -1
	s_cmp_eq_u64 s[22:23], 0
	s_cselect_b64 s[24:25], -1, 0
	s_andn2_b64 s[20:21], s[20:21], exec
	s_and_b64 s[24:25], s[24:25], exec
	v_lshl_add_u64 v[8:9], v[8:9], 0, 1
	v_lshl_add_u64 v[6:7], v[6:7], 0, 1
	s_andn2_b64 s[4:5], s[4:5], exec
	s_or_b64 s[20:21], s[20:21], s[24:25]
                                        ; implicit-def: $sgpr24_sgpr25
	s_branch .LBB1018_46
.LBB1018_49:                            ;   in Loop: Header=BB1018_34 Depth=1
	s_mov_b64 s[6:7], 0
	s_branch .LBB1018_33
.LBB1018_50:
	s_or_b64 exec, exec, s[16:17]
.LBB1018_51:
	v_add_u32_e32 v4, v12, v14
	s_mov_b64 s[16:17], -1
.LBB1018_52:
	s_and_b64 exec, exec, s[16:17]
	s_cbranch_execz .LBB1018_54
; %bb.53:
	v_mov_b32_e32 v0, s10
	v_mov_b32_e32 v1, s11
	;; [unrolled: 1-line block ×3, first 2 shown]
	v_lshl_add_u64 v[0:1], v[4:5], 3, v[0:1]
	s_waitcnt vmcnt(0)
	global_store_dwordx2 v[0:1], v[2:3], off
.LBB1018_54:
	s_endpgm
	.section	.rodata,"a",@progbits
	.p2align	6, 0x0
	.amdhsa_kernel _ZN7rocprim17ROCPRIM_400000_NS6detail17trampoline_kernelINS0_14default_configENS1_38merge_sort_block_merge_config_selectorIlNS0_10empty_typeEEEZZNS1_27merge_sort_block_merge_implIS3_PlPS5_mZN2at6native12_GLOBAL__N_124unique_dim_cuda_templateIbEESt5tupleIJNSA_6TensorESF_SF_EERKSF_lbbbEUlllE_EE10hipError_tT0_T1_T2_jT3_P12ihipStream_tbPNSt15iterator_traitsISL_E10value_typeEPNSR_ISM_E10value_typeEPSN_NS1_7vsmem_tEENKUlT_SL_SM_SN_E_clIS8_S8_S9_S9_EESK_S10_SL_SM_SN_EUlS10_E1_NS1_11comp_targetILNS1_3genE0ELNS1_11target_archE4294967295ELNS1_3gpuE0ELNS1_3repE0EEENS1_36merge_oddeven_config_static_selectorELNS0_4arch9wavefront6targetE1EEEvSM_
		.amdhsa_group_segment_fixed_size 0
		.amdhsa_private_segment_fixed_size 0
		.amdhsa_kernarg_size 64
		.amdhsa_user_sgpr_count 2
		.amdhsa_user_sgpr_dispatch_ptr 0
		.amdhsa_user_sgpr_queue_ptr 0
		.amdhsa_user_sgpr_kernarg_segment_ptr 1
		.amdhsa_user_sgpr_dispatch_id 0
		.amdhsa_user_sgpr_kernarg_preload_length 0
		.amdhsa_user_sgpr_kernarg_preload_offset 0
		.amdhsa_user_sgpr_private_segment_size 0
		.amdhsa_uses_dynamic_stack 0
		.amdhsa_enable_private_segment 0
		.amdhsa_system_sgpr_workgroup_id_x 1
		.amdhsa_system_sgpr_workgroup_id_y 0
		.amdhsa_system_sgpr_workgroup_id_z 0
		.amdhsa_system_sgpr_workgroup_info 0
		.amdhsa_system_vgpr_workitem_id 0
		.amdhsa_next_free_vgpr 19
		.amdhsa_next_free_sgpr 46
		.amdhsa_accum_offset 20
		.amdhsa_reserve_vcc 1
		.amdhsa_float_round_mode_32 0
		.amdhsa_float_round_mode_16_64 0
		.amdhsa_float_denorm_mode_32 3
		.amdhsa_float_denorm_mode_16_64 3
		.amdhsa_dx10_clamp 1
		.amdhsa_ieee_mode 1
		.amdhsa_fp16_overflow 0
		.amdhsa_tg_split 0
		.amdhsa_exception_fp_ieee_invalid_op 0
		.amdhsa_exception_fp_denorm_src 0
		.amdhsa_exception_fp_ieee_div_zero 0
		.amdhsa_exception_fp_ieee_overflow 0
		.amdhsa_exception_fp_ieee_underflow 0
		.amdhsa_exception_fp_ieee_inexact 0
		.amdhsa_exception_int_div_zero 0
	.end_amdhsa_kernel
	.section	.text._ZN7rocprim17ROCPRIM_400000_NS6detail17trampoline_kernelINS0_14default_configENS1_38merge_sort_block_merge_config_selectorIlNS0_10empty_typeEEEZZNS1_27merge_sort_block_merge_implIS3_PlPS5_mZN2at6native12_GLOBAL__N_124unique_dim_cuda_templateIbEESt5tupleIJNSA_6TensorESF_SF_EERKSF_lbbbEUlllE_EE10hipError_tT0_T1_T2_jT3_P12ihipStream_tbPNSt15iterator_traitsISL_E10value_typeEPNSR_ISM_E10value_typeEPSN_NS1_7vsmem_tEENKUlT_SL_SM_SN_E_clIS8_S8_S9_S9_EESK_S10_SL_SM_SN_EUlS10_E1_NS1_11comp_targetILNS1_3genE0ELNS1_11target_archE4294967295ELNS1_3gpuE0ELNS1_3repE0EEENS1_36merge_oddeven_config_static_selectorELNS0_4arch9wavefront6targetE1EEEvSM_,"axG",@progbits,_ZN7rocprim17ROCPRIM_400000_NS6detail17trampoline_kernelINS0_14default_configENS1_38merge_sort_block_merge_config_selectorIlNS0_10empty_typeEEEZZNS1_27merge_sort_block_merge_implIS3_PlPS5_mZN2at6native12_GLOBAL__N_124unique_dim_cuda_templateIbEESt5tupleIJNSA_6TensorESF_SF_EERKSF_lbbbEUlllE_EE10hipError_tT0_T1_T2_jT3_P12ihipStream_tbPNSt15iterator_traitsISL_E10value_typeEPNSR_ISM_E10value_typeEPSN_NS1_7vsmem_tEENKUlT_SL_SM_SN_E_clIS8_S8_S9_S9_EESK_S10_SL_SM_SN_EUlS10_E1_NS1_11comp_targetILNS1_3genE0ELNS1_11target_archE4294967295ELNS1_3gpuE0ELNS1_3repE0EEENS1_36merge_oddeven_config_static_selectorELNS0_4arch9wavefront6targetE1EEEvSM_,comdat
.Lfunc_end1018:
	.size	_ZN7rocprim17ROCPRIM_400000_NS6detail17trampoline_kernelINS0_14default_configENS1_38merge_sort_block_merge_config_selectorIlNS0_10empty_typeEEEZZNS1_27merge_sort_block_merge_implIS3_PlPS5_mZN2at6native12_GLOBAL__N_124unique_dim_cuda_templateIbEESt5tupleIJNSA_6TensorESF_SF_EERKSF_lbbbEUlllE_EE10hipError_tT0_T1_T2_jT3_P12ihipStream_tbPNSt15iterator_traitsISL_E10value_typeEPNSR_ISM_E10value_typeEPSN_NS1_7vsmem_tEENKUlT_SL_SM_SN_E_clIS8_S8_S9_S9_EESK_S10_SL_SM_SN_EUlS10_E1_NS1_11comp_targetILNS1_3genE0ELNS1_11target_archE4294967295ELNS1_3gpuE0ELNS1_3repE0EEENS1_36merge_oddeven_config_static_selectorELNS0_4arch9wavefront6targetE1EEEvSM_, .Lfunc_end1018-_ZN7rocprim17ROCPRIM_400000_NS6detail17trampoline_kernelINS0_14default_configENS1_38merge_sort_block_merge_config_selectorIlNS0_10empty_typeEEEZZNS1_27merge_sort_block_merge_implIS3_PlPS5_mZN2at6native12_GLOBAL__N_124unique_dim_cuda_templateIbEESt5tupleIJNSA_6TensorESF_SF_EERKSF_lbbbEUlllE_EE10hipError_tT0_T1_T2_jT3_P12ihipStream_tbPNSt15iterator_traitsISL_E10value_typeEPNSR_ISM_E10value_typeEPSN_NS1_7vsmem_tEENKUlT_SL_SM_SN_E_clIS8_S8_S9_S9_EESK_S10_SL_SM_SN_EUlS10_E1_NS1_11comp_targetILNS1_3genE0ELNS1_11target_archE4294967295ELNS1_3gpuE0ELNS1_3repE0EEENS1_36merge_oddeven_config_static_selectorELNS0_4arch9wavefront6targetE1EEEvSM_
                                        ; -- End function
	.set _ZN7rocprim17ROCPRIM_400000_NS6detail17trampoline_kernelINS0_14default_configENS1_38merge_sort_block_merge_config_selectorIlNS0_10empty_typeEEEZZNS1_27merge_sort_block_merge_implIS3_PlPS5_mZN2at6native12_GLOBAL__N_124unique_dim_cuda_templateIbEESt5tupleIJNSA_6TensorESF_SF_EERKSF_lbbbEUlllE_EE10hipError_tT0_T1_T2_jT3_P12ihipStream_tbPNSt15iterator_traitsISL_E10value_typeEPNSR_ISM_E10value_typeEPSN_NS1_7vsmem_tEENKUlT_SL_SM_SN_E_clIS8_S8_S9_S9_EESK_S10_SL_SM_SN_EUlS10_E1_NS1_11comp_targetILNS1_3genE0ELNS1_11target_archE4294967295ELNS1_3gpuE0ELNS1_3repE0EEENS1_36merge_oddeven_config_static_selectorELNS0_4arch9wavefront6targetE1EEEvSM_.num_vgpr, 19
	.set _ZN7rocprim17ROCPRIM_400000_NS6detail17trampoline_kernelINS0_14default_configENS1_38merge_sort_block_merge_config_selectorIlNS0_10empty_typeEEEZZNS1_27merge_sort_block_merge_implIS3_PlPS5_mZN2at6native12_GLOBAL__N_124unique_dim_cuda_templateIbEESt5tupleIJNSA_6TensorESF_SF_EERKSF_lbbbEUlllE_EE10hipError_tT0_T1_T2_jT3_P12ihipStream_tbPNSt15iterator_traitsISL_E10value_typeEPNSR_ISM_E10value_typeEPSN_NS1_7vsmem_tEENKUlT_SL_SM_SN_E_clIS8_S8_S9_S9_EESK_S10_SL_SM_SN_EUlS10_E1_NS1_11comp_targetILNS1_3genE0ELNS1_11target_archE4294967295ELNS1_3gpuE0ELNS1_3repE0EEENS1_36merge_oddeven_config_static_selectorELNS0_4arch9wavefront6targetE1EEEvSM_.num_agpr, 0
	.set _ZN7rocprim17ROCPRIM_400000_NS6detail17trampoline_kernelINS0_14default_configENS1_38merge_sort_block_merge_config_selectorIlNS0_10empty_typeEEEZZNS1_27merge_sort_block_merge_implIS3_PlPS5_mZN2at6native12_GLOBAL__N_124unique_dim_cuda_templateIbEESt5tupleIJNSA_6TensorESF_SF_EERKSF_lbbbEUlllE_EE10hipError_tT0_T1_T2_jT3_P12ihipStream_tbPNSt15iterator_traitsISL_E10value_typeEPNSR_ISM_E10value_typeEPSN_NS1_7vsmem_tEENKUlT_SL_SM_SN_E_clIS8_S8_S9_S9_EESK_S10_SL_SM_SN_EUlS10_E1_NS1_11comp_targetILNS1_3genE0ELNS1_11target_archE4294967295ELNS1_3gpuE0ELNS1_3repE0EEENS1_36merge_oddeven_config_static_selectorELNS0_4arch9wavefront6targetE1EEEvSM_.numbered_sgpr, 46
	.set _ZN7rocprim17ROCPRIM_400000_NS6detail17trampoline_kernelINS0_14default_configENS1_38merge_sort_block_merge_config_selectorIlNS0_10empty_typeEEEZZNS1_27merge_sort_block_merge_implIS3_PlPS5_mZN2at6native12_GLOBAL__N_124unique_dim_cuda_templateIbEESt5tupleIJNSA_6TensorESF_SF_EERKSF_lbbbEUlllE_EE10hipError_tT0_T1_T2_jT3_P12ihipStream_tbPNSt15iterator_traitsISL_E10value_typeEPNSR_ISM_E10value_typeEPSN_NS1_7vsmem_tEENKUlT_SL_SM_SN_E_clIS8_S8_S9_S9_EESK_S10_SL_SM_SN_EUlS10_E1_NS1_11comp_targetILNS1_3genE0ELNS1_11target_archE4294967295ELNS1_3gpuE0ELNS1_3repE0EEENS1_36merge_oddeven_config_static_selectorELNS0_4arch9wavefront6targetE1EEEvSM_.num_named_barrier, 0
	.set _ZN7rocprim17ROCPRIM_400000_NS6detail17trampoline_kernelINS0_14default_configENS1_38merge_sort_block_merge_config_selectorIlNS0_10empty_typeEEEZZNS1_27merge_sort_block_merge_implIS3_PlPS5_mZN2at6native12_GLOBAL__N_124unique_dim_cuda_templateIbEESt5tupleIJNSA_6TensorESF_SF_EERKSF_lbbbEUlllE_EE10hipError_tT0_T1_T2_jT3_P12ihipStream_tbPNSt15iterator_traitsISL_E10value_typeEPNSR_ISM_E10value_typeEPSN_NS1_7vsmem_tEENKUlT_SL_SM_SN_E_clIS8_S8_S9_S9_EESK_S10_SL_SM_SN_EUlS10_E1_NS1_11comp_targetILNS1_3genE0ELNS1_11target_archE4294967295ELNS1_3gpuE0ELNS1_3repE0EEENS1_36merge_oddeven_config_static_selectorELNS0_4arch9wavefront6targetE1EEEvSM_.private_seg_size, 0
	.set _ZN7rocprim17ROCPRIM_400000_NS6detail17trampoline_kernelINS0_14default_configENS1_38merge_sort_block_merge_config_selectorIlNS0_10empty_typeEEEZZNS1_27merge_sort_block_merge_implIS3_PlPS5_mZN2at6native12_GLOBAL__N_124unique_dim_cuda_templateIbEESt5tupleIJNSA_6TensorESF_SF_EERKSF_lbbbEUlllE_EE10hipError_tT0_T1_T2_jT3_P12ihipStream_tbPNSt15iterator_traitsISL_E10value_typeEPNSR_ISM_E10value_typeEPSN_NS1_7vsmem_tEENKUlT_SL_SM_SN_E_clIS8_S8_S9_S9_EESK_S10_SL_SM_SN_EUlS10_E1_NS1_11comp_targetILNS1_3genE0ELNS1_11target_archE4294967295ELNS1_3gpuE0ELNS1_3repE0EEENS1_36merge_oddeven_config_static_selectorELNS0_4arch9wavefront6targetE1EEEvSM_.uses_vcc, 1
	.set _ZN7rocprim17ROCPRIM_400000_NS6detail17trampoline_kernelINS0_14default_configENS1_38merge_sort_block_merge_config_selectorIlNS0_10empty_typeEEEZZNS1_27merge_sort_block_merge_implIS3_PlPS5_mZN2at6native12_GLOBAL__N_124unique_dim_cuda_templateIbEESt5tupleIJNSA_6TensorESF_SF_EERKSF_lbbbEUlllE_EE10hipError_tT0_T1_T2_jT3_P12ihipStream_tbPNSt15iterator_traitsISL_E10value_typeEPNSR_ISM_E10value_typeEPSN_NS1_7vsmem_tEENKUlT_SL_SM_SN_E_clIS8_S8_S9_S9_EESK_S10_SL_SM_SN_EUlS10_E1_NS1_11comp_targetILNS1_3genE0ELNS1_11target_archE4294967295ELNS1_3gpuE0ELNS1_3repE0EEENS1_36merge_oddeven_config_static_selectorELNS0_4arch9wavefront6targetE1EEEvSM_.uses_flat_scratch, 0
	.set _ZN7rocprim17ROCPRIM_400000_NS6detail17trampoline_kernelINS0_14default_configENS1_38merge_sort_block_merge_config_selectorIlNS0_10empty_typeEEEZZNS1_27merge_sort_block_merge_implIS3_PlPS5_mZN2at6native12_GLOBAL__N_124unique_dim_cuda_templateIbEESt5tupleIJNSA_6TensorESF_SF_EERKSF_lbbbEUlllE_EE10hipError_tT0_T1_T2_jT3_P12ihipStream_tbPNSt15iterator_traitsISL_E10value_typeEPNSR_ISM_E10value_typeEPSN_NS1_7vsmem_tEENKUlT_SL_SM_SN_E_clIS8_S8_S9_S9_EESK_S10_SL_SM_SN_EUlS10_E1_NS1_11comp_targetILNS1_3genE0ELNS1_11target_archE4294967295ELNS1_3gpuE0ELNS1_3repE0EEENS1_36merge_oddeven_config_static_selectorELNS0_4arch9wavefront6targetE1EEEvSM_.has_dyn_sized_stack, 0
	.set _ZN7rocprim17ROCPRIM_400000_NS6detail17trampoline_kernelINS0_14default_configENS1_38merge_sort_block_merge_config_selectorIlNS0_10empty_typeEEEZZNS1_27merge_sort_block_merge_implIS3_PlPS5_mZN2at6native12_GLOBAL__N_124unique_dim_cuda_templateIbEESt5tupleIJNSA_6TensorESF_SF_EERKSF_lbbbEUlllE_EE10hipError_tT0_T1_T2_jT3_P12ihipStream_tbPNSt15iterator_traitsISL_E10value_typeEPNSR_ISM_E10value_typeEPSN_NS1_7vsmem_tEENKUlT_SL_SM_SN_E_clIS8_S8_S9_S9_EESK_S10_SL_SM_SN_EUlS10_E1_NS1_11comp_targetILNS1_3genE0ELNS1_11target_archE4294967295ELNS1_3gpuE0ELNS1_3repE0EEENS1_36merge_oddeven_config_static_selectorELNS0_4arch9wavefront6targetE1EEEvSM_.has_recursion, 0
	.set _ZN7rocprim17ROCPRIM_400000_NS6detail17trampoline_kernelINS0_14default_configENS1_38merge_sort_block_merge_config_selectorIlNS0_10empty_typeEEEZZNS1_27merge_sort_block_merge_implIS3_PlPS5_mZN2at6native12_GLOBAL__N_124unique_dim_cuda_templateIbEESt5tupleIJNSA_6TensorESF_SF_EERKSF_lbbbEUlllE_EE10hipError_tT0_T1_T2_jT3_P12ihipStream_tbPNSt15iterator_traitsISL_E10value_typeEPNSR_ISM_E10value_typeEPSN_NS1_7vsmem_tEENKUlT_SL_SM_SN_E_clIS8_S8_S9_S9_EESK_S10_SL_SM_SN_EUlS10_E1_NS1_11comp_targetILNS1_3genE0ELNS1_11target_archE4294967295ELNS1_3gpuE0ELNS1_3repE0EEENS1_36merge_oddeven_config_static_selectorELNS0_4arch9wavefront6targetE1EEEvSM_.has_indirect_call, 0
	.section	.AMDGPU.csdata,"",@progbits
; Kernel info:
; codeLenInByte = 1708
; TotalNumSgprs: 52
; NumVgprs: 19
; NumAgprs: 0
; TotalNumVgprs: 19
; ScratchSize: 0
; MemoryBound: 0
; FloatMode: 240
; IeeeMode: 1
; LDSByteSize: 0 bytes/workgroup (compile time only)
; SGPRBlocks: 6
; VGPRBlocks: 2
; NumSGPRsForWavesPerEU: 52
; NumVGPRsForWavesPerEU: 19
; AccumOffset: 20
; Occupancy: 8
; WaveLimiterHint : 0
; COMPUTE_PGM_RSRC2:SCRATCH_EN: 0
; COMPUTE_PGM_RSRC2:USER_SGPR: 2
; COMPUTE_PGM_RSRC2:TRAP_HANDLER: 0
; COMPUTE_PGM_RSRC2:TGID_X_EN: 1
; COMPUTE_PGM_RSRC2:TGID_Y_EN: 0
; COMPUTE_PGM_RSRC2:TGID_Z_EN: 0
; COMPUTE_PGM_RSRC2:TIDIG_COMP_CNT: 0
; COMPUTE_PGM_RSRC3_GFX90A:ACCUM_OFFSET: 4
; COMPUTE_PGM_RSRC3_GFX90A:TG_SPLIT: 0
	.section	.text._ZN7rocprim17ROCPRIM_400000_NS6detail17trampoline_kernelINS0_14default_configENS1_38merge_sort_block_merge_config_selectorIlNS0_10empty_typeEEEZZNS1_27merge_sort_block_merge_implIS3_PlPS5_mZN2at6native12_GLOBAL__N_124unique_dim_cuda_templateIbEESt5tupleIJNSA_6TensorESF_SF_EERKSF_lbbbEUlllE_EE10hipError_tT0_T1_T2_jT3_P12ihipStream_tbPNSt15iterator_traitsISL_E10value_typeEPNSR_ISM_E10value_typeEPSN_NS1_7vsmem_tEENKUlT_SL_SM_SN_E_clIS8_S8_S9_S9_EESK_S10_SL_SM_SN_EUlS10_E1_NS1_11comp_targetILNS1_3genE10ELNS1_11target_archE1201ELNS1_3gpuE5ELNS1_3repE0EEENS1_36merge_oddeven_config_static_selectorELNS0_4arch9wavefront6targetE1EEEvSM_,"axG",@progbits,_ZN7rocprim17ROCPRIM_400000_NS6detail17trampoline_kernelINS0_14default_configENS1_38merge_sort_block_merge_config_selectorIlNS0_10empty_typeEEEZZNS1_27merge_sort_block_merge_implIS3_PlPS5_mZN2at6native12_GLOBAL__N_124unique_dim_cuda_templateIbEESt5tupleIJNSA_6TensorESF_SF_EERKSF_lbbbEUlllE_EE10hipError_tT0_T1_T2_jT3_P12ihipStream_tbPNSt15iterator_traitsISL_E10value_typeEPNSR_ISM_E10value_typeEPSN_NS1_7vsmem_tEENKUlT_SL_SM_SN_E_clIS8_S8_S9_S9_EESK_S10_SL_SM_SN_EUlS10_E1_NS1_11comp_targetILNS1_3genE10ELNS1_11target_archE1201ELNS1_3gpuE5ELNS1_3repE0EEENS1_36merge_oddeven_config_static_selectorELNS0_4arch9wavefront6targetE1EEEvSM_,comdat
	.globl	_ZN7rocprim17ROCPRIM_400000_NS6detail17trampoline_kernelINS0_14default_configENS1_38merge_sort_block_merge_config_selectorIlNS0_10empty_typeEEEZZNS1_27merge_sort_block_merge_implIS3_PlPS5_mZN2at6native12_GLOBAL__N_124unique_dim_cuda_templateIbEESt5tupleIJNSA_6TensorESF_SF_EERKSF_lbbbEUlllE_EE10hipError_tT0_T1_T2_jT3_P12ihipStream_tbPNSt15iterator_traitsISL_E10value_typeEPNSR_ISM_E10value_typeEPSN_NS1_7vsmem_tEENKUlT_SL_SM_SN_E_clIS8_S8_S9_S9_EESK_S10_SL_SM_SN_EUlS10_E1_NS1_11comp_targetILNS1_3genE10ELNS1_11target_archE1201ELNS1_3gpuE5ELNS1_3repE0EEENS1_36merge_oddeven_config_static_selectorELNS0_4arch9wavefront6targetE1EEEvSM_ ; -- Begin function _ZN7rocprim17ROCPRIM_400000_NS6detail17trampoline_kernelINS0_14default_configENS1_38merge_sort_block_merge_config_selectorIlNS0_10empty_typeEEEZZNS1_27merge_sort_block_merge_implIS3_PlPS5_mZN2at6native12_GLOBAL__N_124unique_dim_cuda_templateIbEESt5tupleIJNSA_6TensorESF_SF_EERKSF_lbbbEUlllE_EE10hipError_tT0_T1_T2_jT3_P12ihipStream_tbPNSt15iterator_traitsISL_E10value_typeEPNSR_ISM_E10value_typeEPSN_NS1_7vsmem_tEENKUlT_SL_SM_SN_E_clIS8_S8_S9_S9_EESK_S10_SL_SM_SN_EUlS10_E1_NS1_11comp_targetILNS1_3genE10ELNS1_11target_archE1201ELNS1_3gpuE5ELNS1_3repE0EEENS1_36merge_oddeven_config_static_selectorELNS0_4arch9wavefront6targetE1EEEvSM_
	.p2align	8
	.type	_ZN7rocprim17ROCPRIM_400000_NS6detail17trampoline_kernelINS0_14default_configENS1_38merge_sort_block_merge_config_selectorIlNS0_10empty_typeEEEZZNS1_27merge_sort_block_merge_implIS3_PlPS5_mZN2at6native12_GLOBAL__N_124unique_dim_cuda_templateIbEESt5tupleIJNSA_6TensorESF_SF_EERKSF_lbbbEUlllE_EE10hipError_tT0_T1_T2_jT3_P12ihipStream_tbPNSt15iterator_traitsISL_E10value_typeEPNSR_ISM_E10value_typeEPSN_NS1_7vsmem_tEENKUlT_SL_SM_SN_E_clIS8_S8_S9_S9_EESK_S10_SL_SM_SN_EUlS10_E1_NS1_11comp_targetILNS1_3genE10ELNS1_11target_archE1201ELNS1_3gpuE5ELNS1_3repE0EEENS1_36merge_oddeven_config_static_selectorELNS0_4arch9wavefront6targetE1EEEvSM_,@function
_ZN7rocprim17ROCPRIM_400000_NS6detail17trampoline_kernelINS0_14default_configENS1_38merge_sort_block_merge_config_selectorIlNS0_10empty_typeEEEZZNS1_27merge_sort_block_merge_implIS3_PlPS5_mZN2at6native12_GLOBAL__N_124unique_dim_cuda_templateIbEESt5tupleIJNSA_6TensorESF_SF_EERKSF_lbbbEUlllE_EE10hipError_tT0_T1_T2_jT3_P12ihipStream_tbPNSt15iterator_traitsISL_E10value_typeEPNSR_ISM_E10value_typeEPSN_NS1_7vsmem_tEENKUlT_SL_SM_SN_E_clIS8_S8_S9_S9_EESK_S10_SL_SM_SN_EUlS10_E1_NS1_11comp_targetILNS1_3genE10ELNS1_11target_archE1201ELNS1_3gpuE5ELNS1_3repE0EEENS1_36merge_oddeven_config_static_selectorELNS0_4arch9wavefront6targetE1EEEvSM_: ; @_ZN7rocprim17ROCPRIM_400000_NS6detail17trampoline_kernelINS0_14default_configENS1_38merge_sort_block_merge_config_selectorIlNS0_10empty_typeEEEZZNS1_27merge_sort_block_merge_implIS3_PlPS5_mZN2at6native12_GLOBAL__N_124unique_dim_cuda_templateIbEESt5tupleIJNSA_6TensorESF_SF_EERKSF_lbbbEUlllE_EE10hipError_tT0_T1_T2_jT3_P12ihipStream_tbPNSt15iterator_traitsISL_E10value_typeEPNSR_ISM_E10value_typeEPSN_NS1_7vsmem_tEENKUlT_SL_SM_SN_E_clIS8_S8_S9_S9_EESK_S10_SL_SM_SN_EUlS10_E1_NS1_11comp_targetILNS1_3genE10ELNS1_11target_archE1201ELNS1_3gpuE5ELNS1_3repE0EEENS1_36merge_oddeven_config_static_selectorELNS0_4arch9wavefront6targetE1EEEvSM_
; %bb.0:
	.section	.rodata,"a",@progbits
	.p2align	6, 0x0
	.amdhsa_kernel _ZN7rocprim17ROCPRIM_400000_NS6detail17trampoline_kernelINS0_14default_configENS1_38merge_sort_block_merge_config_selectorIlNS0_10empty_typeEEEZZNS1_27merge_sort_block_merge_implIS3_PlPS5_mZN2at6native12_GLOBAL__N_124unique_dim_cuda_templateIbEESt5tupleIJNSA_6TensorESF_SF_EERKSF_lbbbEUlllE_EE10hipError_tT0_T1_T2_jT3_P12ihipStream_tbPNSt15iterator_traitsISL_E10value_typeEPNSR_ISM_E10value_typeEPSN_NS1_7vsmem_tEENKUlT_SL_SM_SN_E_clIS8_S8_S9_S9_EESK_S10_SL_SM_SN_EUlS10_E1_NS1_11comp_targetILNS1_3genE10ELNS1_11target_archE1201ELNS1_3gpuE5ELNS1_3repE0EEENS1_36merge_oddeven_config_static_selectorELNS0_4arch9wavefront6targetE1EEEvSM_
		.amdhsa_group_segment_fixed_size 0
		.amdhsa_private_segment_fixed_size 0
		.amdhsa_kernarg_size 64
		.amdhsa_user_sgpr_count 2
		.amdhsa_user_sgpr_dispatch_ptr 0
		.amdhsa_user_sgpr_queue_ptr 0
		.amdhsa_user_sgpr_kernarg_segment_ptr 1
		.amdhsa_user_sgpr_dispatch_id 0
		.amdhsa_user_sgpr_kernarg_preload_length 0
		.amdhsa_user_sgpr_kernarg_preload_offset 0
		.amdhsa_user_sgpr_private_segment_size 0
		.amdhsa_uses_dynamic_stack 0
		.amdhsa_enable_private_segment 0
		.amdhsa_system_sgpr_workgroup_id_x 1
		.amdhsa_system_sgpr_workgroup_id_y 0
		.amdhsa_system_sgpr_workgroup_id_z 0
		.amdhsa_system_sgpr_workgroup_info 0
		.amdhsa_system_vgpr_workitem_id 0
		.amdhsa_next_free_vgpr 1
		.amdhsa_next_free_sgpr 0
		.amdhsa_accum_offset 4
		.amdhsa_reserve_vcc 0
		.amdhsa_float_round_mode_32 0
		.amdhsa_float_round_mode_16_64 0
		.amdhsa_float_denorm_mode_32 3
		.amdhsa_float_denorm_mode_16_64 3
		.amdhsa_dx10_clamp 1
		.amdhsa_ieee_mode 1
		.amdhsa_fp16_overflow 0
		.amdhsa_tg_split 0
		.amdhsa_exception_fp_ieee_invalid_op 0
		.amdhsa_exception_fp_denorm_src 0
		.amdhsa_exception_fp_ieee_div_zero 0
		.amdhsa_exception_fp_ieee_overflow 0
		.amdhsa_exception_fp_ieee_underflow 0
		.amdhsa_exception_fp_ieee_inexact 0
		.amdhsa_exception_int_div_zero 0
	.end_amdhsa_kernel
	.section	.text._ZN7rocprim17ROCPRIM_400000_NS6detail17trampoline_kernelINS0_14default_configENS1_38merge_sort_block_merge_config_selectorIlNS0_10empty_typeEEEZZNS1_27merge_sort_block_merge_implIS3_PlPS5_mZN2at6native12_GLOBAL__N_124unique_dim_cuda_templateIbEESt5tupleIJNSA_6TensorESF_SF_EERKSF_lbbbEUlllE_EE10hipError_tT0_T1_T2_jT3_P12ihipStream_tbPNSt15iterator_traitsISL_E10value_typeEPNSR_ISM_E10value_typeEPSN_NS1_7vsmem_tEENKUlT_SL_SM_SN_E_clIS8_S8_S9_S9_EESK_S10_SL_SM_SN_EUlS10_E1_NS1_11comp_targetILNS1_3genE10ELNS1_11target_archE1201ELNS1_3gpuE5ELNS1_3repE0EEENS1_36merge_oddeven_config_static_selectorELNS0_4arch9wavefront6targetE1EEEvSM_,"axG",@progbits,_ZN7rocprim17ROCPRIM_400000_NS6detail17trampoline_kernelINS0_14default_configENS1_38merge_sort_block_merge_config_selectorIlNS0_10empty_typeEEEZZNS1_27merge_sort_block_merge_implIS3_PlPS5_mZN2at6native12_GLOBAL__N_124unique_dim_cuda_templateIbEESt5tupleIJNSA_6TensorESF_SF_EERKSF_lbbbEUlllE_EE10hipError_tT0_T1_T2_jT3_P12ihipStream_tbPNSt15iterator_traitsISL_E10value_typeEPNSR_ISM_E10value_typeEPSN_NS1_7vsmem_tEENKUlT_SL_SM_SN_E_clIS8_S8_S9_S9_EESK_S10_SL_SM_SN_EUlS10_E1_NS1_11comp_targetILNS1_3genE10ELNS1_11target_archE1201ELNS1_3gpuE5ELNS1_3repE0EEENS1_36merge_oddeven_config_static_selectorELNS0_4arch9wavefront6targetE1EEEvSM_,comdat
.Lfunc_end1019:
	.size	_ZN7rocprim17ROCPRIM_400000_NS6detail17trampoline_kernelINS0_14default_configENS1_38merge_sort_block_merge_config_selectorIlNS0_10empty_typeEEEZZNS1_27merge_sort_block_merge_implIS3_PlPS5_mZN2at6native12_GLOBAL__N_124unique_dim_cuda_templateIbEESt5tupleIJNSA_6TensorESF_SF_EERKSF_lbbbEUlllE_EE10hipError_tT0_T1_T2_jT3_P12ihipStream_tbPNSt15iterator_traitsISL_E10value_typeEPNSR_ISM_E10value_typeEPSN_NS1_7vsmem_tEENKUlT_SL_SM_SN_E_clIS8_S8_S9_S9_EESK_S10_SL_SM_SN_EUlS10_E1_NS1_11comp_targetILNS1_3genE10ELNS1_11target_archE1201ELNS1_3gpuE5ELNS1_3repE0EEENS1_36merge_oddeven_config_static_selectorELNS0_4arch9wavefront6targetE1EEEvSM_, .Lfunc_end1019-_ZN7rocprim17ROCPRIM_400000_NS6detail17trampoline_kernelINS0_14default_configENS1_38merge_sort_block_merge_config_selectorIlNS0_10empty_typeEEEZZNS1_27merge_sort_block_merge_implIS3_PlPS5_mZN2at6native12_GLOBAL__N_124unique_dim_cuda_templateIbEESt5tupleIJNSA_6TensorESF_SF_EERKSF_lbbbEUlllE_EE10hipError_tT0_T1_T2_jT3_P12ihipStream_tbPNSt15iterator_traitsISL_E10value_typeEPNSR_ISM_E10value_typeEPSN_NS1_7vsmem_tEENKUlT_SL_SM_SN_E_clIS8_S8_S9_S9_EESK_S10_SL_SM_SN_EUlS10_E1_NS1_11comp_targetILNS1_3genE10ELNS1_11target_archE1201ELNS1_3gpuE5ELNS1_3repE0EEENS1_36merge_oddeven_config_static_selectorELNS0_4arch9wavefront6targetE1EEEvSM_
                                        ; -- End function
	.set _ZN7rocprim17ROCPRIM_400000_NS6detail17trampoline_kernelINS0_14default_configENS1_38merge_sort_block_merge_config_selectorIlNS0_10empty_typeEEEZZNS1_27merge_sort_block_merge_implIS3_PlPS5_mZN2at6native12_GLOBAL__N_124unique_dim_cuda_templateIbEESt5tupleIJNSA_6TensorESF_SF_EERKSF_lbbbEUlllE_EE10hipError_tT0_T1_T2_jT3_P12ihipStream_tbPNSt15iterator_traitsISL_E10value_typeEPNSR_ISM_E10value_typeEPSN_NS1_7vsmem_tEENKUlT_SL_SM_SN_E_clIS8_S8_S9_S9_EESK_S10_SL_SM_SN_EUlS10_E1_NS1_11comp_targetILNS1_3genE10ELNS1_11target_archE1201ELNS1_3gpuE5ELNS1_3repE0EEENS1_36merge_oddeven_config_static_selectorELNS0_4arch9wavefront6targetE1EEEvSM_.num_vgpr, 0
	.set _ZN7rocprim17ROCPRIM_400000_NS6detail17trampoline_kernelINS0_14default_configENS1_38merge_sort_block_merge_config_selectorIlNS0_10empty_typeEEEZZNS1_27merge_sort_block_merge_implIS3_PlPS5_mZN2at6native12_GLOBAL__N_124unique_dim_cuda_templateIbEESt5tupleIJNSA_6TensorESF_SF_EERKSF_lbbbEUlllE_EE10hipError_tT0_T1_T2_jT3_P12ihipStream_tbPNSt15iterator_traitsISL_E10value_typeEPNSR_ISM_E10value_typeEPSN_NS1_7vsmem_tEENKUlT_SL_SM_SN_E_clIS8_S8_S9_S9_EESK_S10_SL_SM_SN_EUlS10_E1_NS1_11comp_targetILNS1_3genE10ELNS1_11target_archE1201ELNS1_3gpuE5ELNS1_3repE0EEENS1_36merge_oddeven_config_static_selectorELNS0_4arch9wavefront6targetE1EEEvSM_.num_agpr, 0
	.set _ZN7rocprim17ROCPRIM_400000_NS6detail17trampoline_kernelINS0_14default_configENS1_38merge_sort_block_merge_config_selectorIlNS0_10empty_typeEEEZZNS1_27merge_sort_block_merge_implIS3_PlPS5_mZN2at6native12_GLOBAL__N_124unique_dim_cuda_templateIbEESt5tupleIJNSA_6TensorESF_SF_EERKSF_lbbbEUlllE_EE10hipError_tT0_T1_T2_jT3_P12ihipStream_tbPNSt15iterator_traitsISL_E10value_typeEPNSR_ISM_E10value_typeEPSN_NS1_7vsmem_tEENKUlT_SL_SM_SN_E_clIS8_S8_S9_S9_EESK_S10_SL_SM_SN_EUlS10_E1_NS1_11comp_targetILNS1_3genE10ELNS1_11target_archE1201ELNS1_3gpuE5ELNS1_3repE0EEENS1_36merge_oddeven_config_static_selectorELNS0_4arch9wavefront6targetE1EEEvSM_.numbered_sgpr, 0
	.set _ZN7rocprim17ROCPRIM_400000_NS6detail17trampoline_kernelINS0_14default_configENS1_38merge_sort_block_merge_config_selectorIlNS0_10empty_typeEEEZZNS1_27merge_sort_block_merge_implIS3_PlPS5_mZN2at6native12_GLOBAL__N_124unique_dim_cuda_templateIbEESt5tupleIJNSA_6TensorESF_SF_EERKSF_lbbbEUlllE_EE10hipError_tT0_T1_T2_jT3_P12ihipStream_tbPNSt15iterator_traitsISL_E10value_typeEPNSR_ISM_E10value_typeEPSN_NS1_7vsmem_tEENKUlT_SL_SM_SN_E_clIS8_S8_S9_S9_EESK_S10_SL_SM_SN_EUlS10_E1_NS1_11comp_targetILNS1_3genE10ELNS1_11target_archE1201ELNS1_3gpuE5ELNS1_3repE0EEENS1_36merge_oddeven_config_static_selectorELNS0_4arch9wavefront6targetE1EEEvSM_.num_named_barrier, 0
	.set _ZN7rocprim17ROCPRIM_400000_NS6detail17trampoline_kernelINS0_14default_configENS1_38merge_sort_block_merge_config_selectorIlNS0_10empty_typeEEEZZNS1_27merge_sort_block_merge_implIS3_PlPS5_mZN2at6native12_GLOBAL__N_124unique_dim_cuda_templateIbEESt5tupleIJNSA_6TensorESF_SF_EERKSF_lbbbEUlllE_EE10hipError_tT0_T1_T2_jT3_P12ihipStream_tbPNSt15iterator_traitsISL_E10value_typeEPNSR_ISM_E10value_typeEPSN_NS1_7vsmem_tEENKUlT_SL_SM_SN_E_clIS8_S8_S9_S9_EESK_S10_SL_SM_SN_EUlS10_E1_NS1_11comp_targetILNS1_3genE10ELNS1_11target_archE1201ELNS1_3gpuE5ELNS1_3repE0EEENS1_36merge_oddeven_config_static_selectorELNS0_4arch9wavefront6targetE1EEEvSM_.private_seg_size, 0
	.set _ZN7rocprim17ROCPRIM_400000_NS6detail17trampoline_kernelINS0_14default_configENS1_38merge_sort_block_merge_config_selectorIlNS0_10empty_typeEEEZZNS1_27merge_sort_block_merge_implIS3_PlPS5_mZN2at6native12_GLOBAL__N_124unique_dim_cuda_templateIbEESt5tupleIJNSA_6TensorESF_SF_EERKSF_lbbbEUlllE_EE10hipError_tT0_T1_T2_jT3_P12ihipStream_tbPNSt15iterator_traitsISL_E10value_typeEPNSR_ISM_E10value_typeEPSN_NS1_7vsmem_tEENKUlT_SL_SM_SN_E_clIS8_S8_S9_S9_EESK_S10_SL_SM_SN_EUlS10_E1_NS1_11comp_targetILNS1_3genE10ELNS1_11target_archE1201ELNS1_3gpuE5ELNS1_3repE0EEENS1_36merge_oddeven_config_static_selectorELNS0_4arch9wavefront6targetE1EEEvSM_.uses_vcc, 0
	.set _ZN7rocprim17ROCPRIM_400000_NS6detail17trampoline_kernelINS0_14default_configENS1_38merge_sort_block_merge_config_selectorIlNS0_10empty_typeEEEZZNS1_27merge_sort_block_merge_implIS3_PlPS5_mZN2at6native12_GLOBAL__N_124unique_dim_cuda_templateIbEESt5tupleIJNSA_6TensorESF_SF_EERKSF_lbbbEUlllE_EE10hipError_tT0_T1_T2_jT3_P12ihipStream_tbPNSt15iterator_traitsISL_E10value_typeEPNSR_ISM_E10value_typeEPSN_NS1_7vsmem_tEENKUlT_SL_SM_SN_E_clIS8_S8_S9_S9_EESK_S10_SL_SM_SN_EUlS10_E1_NS1_11comp_targetILNS1_3genE10ELNS1_11target_archE1201ELNS1_3gpuE5ELNS1_3repE0EEENS1_36merge_oddeven_config_static_selectorELNS0_4arch9wavefront6targetE1EEEvSM_.uses_flat_scratch, 0
	.set _ZN7rocprim17ROCPRIM_400000_NS6detail17trampoline_kernelINS0_14default_configENS1_38merge_sort_block_merge_config_selectorIlNS0_10empty_typeEEEZZNS1_27merge_sort_block_merge_implIS3_PlPS5_mZN2at6native12_GLOBAL__N_124unique_dim_cuda_templateIbEESt5tupleIJNSA_6TensorESF_SF_EERKSF_lbbbEUlllE_EE10hipError_tT0_T1_T2_jT3_P12ihipStream_tbPNSt15iterator_traitsISL_E10value_typeEPNSR_ISM_E10value_typeEPSN_NS1_7vsmem_tEENKUlT_SL_SM_SN_E_clIS8_S8_S9_S9_EESK_S10_SL_SM_SN_EUlS10_E1_NS1_11comp_targetILNS1_3genE10ELNS1_11target_archE1201ELNS1_3gpuE5ELNS1_3repE0EEENS1_36merge_oddeven_config_static_selectorELNS0_4arch9wavefront6targetE1EEEvSM_.has_dyn_sized_stack, 0
	.set _ZN7rocprim17ROCPRIM_400000_NS6detail17trampoline_kernelINS0_14default_configENS1_38merge_sort_block_merge_config_selectorIlNS0_10empty_typeEEEZZNS1_27merge_sort_block_merge_implIS3_PlPS5_mZN2at6native12_GLOBAL__N_124unique_dim_cuda_templateIbEESt5tupleIJNSA_6TensorESF_SF_EERKSF_lbbbEUlllE_EE10hipError_tT0_T1_T2_jT3_P12ihipStream_tbPNSt15iterator_traitsISL_E10value_typeEPNSR_ISM_E10value_typeEPSN_NS1_7vsmem_tEENKUlT_SL_SM_SN_E_clIS8_S8_S9_S9_EESK_S10_SL_SM_SN_EUlS10_E1_NS1_11comp_targetILNS1_3genE10ELNS1_11target_archE1201ELNS1_3gpuE5ELNS1_3repE0EEENS1_36merge_oddeven_config_static_selectorELNS0_4arch9wavefront6targetE1EEEvSM_.has_recursion, 0
	.set _ZN7rocprim17ROCPRIM_400000_NS6detail17trampoline_kernelINS0_14default_configENS1_38merge_sort_block_merge_config_selectorIlNS0_10empty_typeEEEZZNS1_27merge_sort_block_merge_implIS3_PlPS5_mZN2at6native12_GLOBAL__N_124unique_dim_cuda_templateIbEESt5tupleIJNSA_6TensorESF_SF_EERKSF_lbbbEUlllE_EE10hipError_tT0_T1_T2_jT3_P12ihipStream_tbPNSt15iterator_traitsISL_E10value_typeEPNSR_ISM_E10value_typeEPSN_NS1_7vsmem_tEENKUlT_SL_SM_SN_E_clIS8_S8_S9_S9_EESK_S10_SL_SM_SN_EUlS10_E1_NS1_11comp_targetILNS1_3genE10ELNS1_11target_archE1201ELNS1_3gpuE5ELNS1_3repE0EEENS1_36merge_oddeven_config_static_selectorELNS0_4arch9wavefront6targetE1EEEvSM_.has_indirect_call, 0
	.section	.AMDGPU.csdata,"",@progbits
; Kernel info:
; codeLenInByte = 0
; TotalNumSgprs: 6
; NumVgprs: 0
; NumAgprs: 0
; TotalNumVgprs: 0
; ScratchSize: 0
; MemoryBound: 0
; FloatMode: 240
; IeeeMode: 1
; LDSByteSize: 0 bytes/workgroup (compile time only)
; SGPRBlocks: 0
; VGPRBlocks: 0
; NumSGPRsForWavesPerEU: 6
; NumVGPRsForWavesPerEU: 1
; AccumOffset: 4
; Occupancy: 8
; WaveLimiterHint : 0
; COMPUTE_PGM_RSRC2:SCRATCH_EN: 0
; COMPUTE_PGM_RSRC2:USER_SGPR: 2
; COMPUTE_PGM_RSRC2:TRAP_HANDLER: 0
; COMPUTE_PGM_RSRC2:TGID_X_EN: 1
; COMPUTE_PGM_RSRC2:TGID_Y_EN: 0
; COMPUTE_PGM_RSRC2:TGID_Z_EN: 0
; COMPUTE_PGM_RSRC2:TIDIG_COMP_CNT: 0
; COMPUTE_PGM_RSRC3_GFX90A:ACCUM_OFFSET: 0
; COMPUTE_PGM_RSRC3_GFX90A:TG_SPLIT: 0
	.section	.text._ZN7rocprim17ROCPRIM_400000_NS6detail17trampoline_kernelINS0_14default_configENS1_38merge_sort_block_merge_config_selectorIlNS0_10empty_typeEEEZZNS1_27merge_sort_block_merge_implIS3_PlPS5_mZN2at6native12_GLOBAL__N_124unique_dim_cuda_templateIbEESt5tupleIJNSA_6TensorESF_SF_EERKSF_lbbbEUlllE_EE10hipError_tT0_T1_T2_jT3_P12ihipStream_tbPNSt15iterator_traitsISL_E10value_typeEPNSR_ISM_E10value_typeEPSN_NS1_7vsmem_tEENKUlT_SL_SM_SN_E_clIS8_S8_S9_S9_EESK_S10_SL_SM_SN_EUlS10_E1_NS1_11comp_targetILNS1_3genE5ELNS1_11target_archE942ELNS1_3gpuE9ELNS1_3repE0EEENS1_36merge_oddeven_config_static_selectorELNS0_4arch9wavefront6targetE1EEEvSM_,"axG",@progbits,_ZN7rocprim17ROCPRIM_400000_NS6detail17trampoline_kernelINS0_14default_configENS1_38merge_sort_block_merge_config_selectorIlNS0_10empty_typeEEEZZNS1_27merge_sort_block_merge_implIS3_PlPS5_mZN2at6native12_GLOBAL__N_124unique_dim_cuda_templateIbEESt5tupleIJNSA_6TensorESF_SF_EERKSF_lbbbEUlllE_EE10hipError_tT0_T1_T2_jT3_P12ihipStream_tbPNSt15iterator_traitsISL_E10value_typeEPNSR_ISM_E10value_typeEPSN_NS1_7vsmem_tEENKUlT_SL_SM_SN_E_clIS8_S8_S9_S9_EESK_S10_SL_SM_SN_EUlS10_E1_NS1_11comp_targetILNS1_3genE5ELNS1_11target_archE942ELNS1_3gpuE9ELNS1_3repE0EEENS1_36merge_oddeven_config_static_selectorELNS0_4arch9wavefront6targetE1EEEvSM_,comdat
	.globl	_ZN7rocprim17ROCPRIM_400000_NS6detail17trampoline_kernelINS0_14default_configENS1_38merge_sort_block_merge_config_selectorIlNS0_10empty_typeEEEZZNS1_27merge_sort_block_merge_implIS3_PlPS5_mZN2at6native12_GLOBAL__N_124unique_dim_cuda_templateIbEESt5tupleIJNSA_6TensorESF_SF_EERKSF_lbbbEUlllE_EE10hipError_tT0_T1_T2_jT3_P12ihipStream_tbPNSt15iterator_traitsISL_E10value_typeEPNSR_ISM_E10value_typeEPSN_NS1_7vsmem_tEENKUlT_SL_SM_SN_E_clIS8_S8_S9_S9_EESK_S10_SL_SM_SN_EUlS10_E1_NS1_11comp_targetILNS1_3genE5ELNS1_11target_archE942ELNS1_3gpuE9ELNS1_3repE0EEENS1_36merge_oddeven_config_static_selectorELNS0_4arch9wavefront6targetE1EEEvSM_ ; -- Begin function _ZN7rocprim17ROCPRIM_400000_NS6detail17trampoline_kernelINS0_14default_configENS1_38merge_sort_block_merge_config_selectorIlNS0_10empty_typeEEEZZNS1_27merge_sort_block_merge_implIS3_PlPS5_mZN2at6native12_GLOBAL__N_124unique_dim_cuda_templateIbEESt5tupleIJNSA_6TensorESF_SF_EERKSF_lbbbEUlllE_EE10hipError_tT0_T1_T2_jT3_P12ihipStream_tbPNSt15iterator_traitsISL_E10value_typeEPNSR_ISM_E10value_typeEPSN_NS1_7vsmem_tEENKUlT_SL_SM_SN_E_clIS8_S8_S9_S9_EESK_S10_SL_SM_SN_EUlS10_E1_NS1_11comp_targetILNS1_3genE5ELNS1_11target_archE942ELNS1_3gpuE9ELNS1_3repE0EEENS1_36merge_oddeven_config_static_selectorELNS0_4arch9wavefront6targetE1EEEvSM_
	.p2align	8
	.type	_ZN7rocprim17ROCPRIM_400000_NS6detail17trampoline_kernelINS0_14default_configENS1_38merge_sort_block_merge_config_selectorIlNS0_10empty_typeEEEZZNS1_27merge_sort_block_merge_implIS3_PlPS5_mZN2at6native12_GLOBAL__N_124unique_dim_cuda_templateIbEESt5tupleIJNSA_6TensorESF_SF_EERKSF_lbbbEUlllE_EE10hipError_tT0_T1_T2_jT3_P12ihipStream_tbPNSt15iterator_traitsISL_E10value_typeEPNSR_ISM_E10value_typeEPSN_NS1_7vsmem_tEENKUlT_SL_SM_SN_E_clIS8_S8_S9_S9_EESK_S10_SL_SM_SN_EUlS10_E1_NS1_11comp_targetILNS1_3genE5ELNS1_11target_archE942ELNS1_3gpuE9ELNS1_3repE0EEENS1_36merge_oddeven_config_static_selectorELNS0_4arch9wavefront6targetE1EEEvSM_,@function
_ZN7rocprim17ROCPRIM_400000_NS6detail17trampoline_kernelINS0_14default_configENS1_38merge_sort_block_merge_config_selectorIlNS0_10empty_typeEEEZZNS1_27merge_sort_block_merge_implIS3_PlPS5_mZN2at6native12_GLOBAL__N_124unique_dim_cuda_templateIbEESt5tupleIJNSA_6TensorESF_SF_EERKSF_lbbbEUlllE_EE10hipError_tT0_T1_T2_jT3_P12ihipStream_tbPNSt15iterator_traitsISL_E10value_typeEPNSR_ISM_E10value_typeEPSN_NS1_7vsmem_tEENKUlT_SL_SM_SN_E_clIS8_S8_S9_S9_EESK_S10_SL_SM_SN_EUlS10_E1_NS1_11comp_targetILNS1_3genE5ELNS1_11target_archE942ELNS1_3gpuE9ELNS1_3repE0EEENS1_36merge_oddeven_config_static_selectorELNS0_4arch9wavefront6targetE1EEEvSM_: ; @_ZN7rocprim17ROCPRIM_400000_NS6detail17trampoline_kernelINS0_14default_configENS1_38merge_sort_block_merge_config_selectorIlNS0_10empty_typeEEEZZNS1_27merge_sort_block_merge_implIS3_PlPS5_mZN2at6native12_GLOBAL__N_124unique_dim_cuda_templateIbEESt5tupleIJNSA_6TensorESF_SF_EERKSF_lbbbEUlllE_EE10hipError_tT0_T1_T2_jT3_P12ihipStream_tbPNSt15iterator_traitsISL_E10value_typeEPNSR_ISM_E10value_typeEPSN_NS1_7vsmem_tEENKUlT_SL_SM_SN_E_clIS8_S8_S9_S9_EESK_S10_SL_SM_SN_EUlS10_E1_NS1_11comp_targetILNS1_3genE5ELNS1_11target_archE942ELNS1_3gpuE9ELNS1_3repE0EEENS1_36merge_oddeven_config_static_selectorELNS0_4arch9wavefront6targetE1EEEvSM_
; %bb.0:
	.section	.rodata,"a",@progbits
	.p2align	6, 0x0
	.amdhsa_kernel _ZN7rocprim17ROCPRIM_400000_NS6detail17trampoline_kernelINS0_14default_configENS1_38merge_sort_block_merge_config_selectorIlNS0_10empty_typeEEEZZNS1_27merge_sort_block_merge_implIS3_PlPS5_mZN2at6native12_GLOBAL__N_124unique_dim_cuda_templateIbEESt5tupleIJNSA_6TensorESF_SF_EERKSF_lbbbEUlllE_EE10hipError_tT0_T1_T2_jT3_P12ihipStream_tbPNSt15iterator_traitsISL_E10value_typeEPNSR_ISM_E10value_typeEPSN_NS1_7vsmem_tEENKUlT_SL_SM_SN_E_clIS8_S8_S9_S9_EESK_S10_SL_SM_SN_EUlS10_E1_NS1_11comp_targetILNS1_3genE5ELNS1_11target_archE942ELNS1_3gpuE9ELNS1_3repE0EEENS1_36merge_oddeven_config_static_selectorELNS0_4arch9wavefront6targetE1EEEvSM_
		.amdhsa_group_segment_fixed_size 0
		.amdhsa_private_segment_fixed_size 0
		.amdhsa_kernarg_size 64
		.amdhsa_user_sgpr_count 2
		.amdhsa_user_sgpr_dispatch_ptr 0
		.amdhsa_user_sgpr_queue_ptr 0
		.amdhsa_user_sgpr_kernarg_segment_ptr 1
		.amdhsa_user_sgpr_dispatch_id 0
		.amdhsa_user_sgpr_kernarg_preload_length 0
		.amdhsa_user_sgpr_kernarg_preload_offset 0
		.amdhsa_user_sgpr_private_segment_size 0
		.amdhsa_uses_dynamic_stack 0
		.amdhsa_enable_private_segment 0
		.amdhsa_system_sgpr_workgroup_id_x 1
		.amdhsa_system_sgpr_workgroup_id_y 0
		.amdhsa_system_sgpr_workgroup_id_z 0
		.amdhsa_system_sgpr_workgroup_info 0
		.amdhsa_system_vgpr_workitem_id 0
		.amdhsa_next_free_vgpr 1
		.amdhsa_next_free_sgpr 0
		.amdhsa_accum_offset 4
		.amdhsa_reserve_vcc 0
		.amdhsa_float_round_mode_32 0
		.amdhsa_float_round_mode_16_64 0
		.amdhsa_float_denorm_mode_32 3
		.amdhsa_float_denorm_mode_16_64 3
		.amdhsa_dx10_clamp 1
		.amdhsa_ieee_mode 1
		.amdhsa_fp16_overflow 0
		.amdhsa_tg_split 0
		.amdhsa_exception_fp_ieee_invalid_op 0
		.amdhsa_exception_fp_denorm_src 0
		.amdhsa_exception_fp_ieee_div_zero 0
		.amdhsa_exception_fp_ieee_overflow 0
		.amdhsa_exception_fp_ieee_underflow 0
		.amdhsa_exception_fp_ieee_inexact 0
		.amdhsa_exception_int_div_zero 0
	.end_amdhsa_kernel
	.section	.text._ZN7rocprim17ROCPRIM_400000_NS6detail17trampoline_kernelINS0_14default_configENS1_38merge_sort_block_merge_config_selectorIlNS0_10empty_typeEEEZZNS1_27merge_sort_block_merge_implIS3_PlPS5_mZN2at6native12_GLOBAL__N_124unique_dim_cuda_templateIbEESt5tupleIJNSA_6TensorESF_SF_EERKSF_lbbbEUlllE_EE10hipError_tT0_T1_T2_jT3_P12ihipStream_tbPNSt15iterator_traitsISL_E10value_typeEPNSR_ISM_E10value_typeEPSN_NS1_7vsmem_tEENKUlT_SL_SM_SN_E_clIS8_S8_S9_S9_EESK_S10_SL_SM_SN_EUlS10_E1_NS1_11comp_targetILNS1_3genE5ELNS1_11target_archE942ELNS1_3gpuE9ELNS1_3repE0EEENS1_36merge_oddeven_config_static_selectorELNS0_4arch9wavefront6targetE1EEEvSM_,"axG",@progbits,_ZN7rocprim17ROCPRIM_400000_NS6detail17trampoline_kernelINS0_14default_configENS1_38merge_sort_block_merge_config_selectorIlNS0_10empty_typeEEEZZNS1_27merge_sort_block_merge_implIS3_PlPS5_mZN2at6native12_GLOBAL__N_124unique_dim_cuda_templateIbEESt5tupleIJNSA_6TensorESF_SF_EERKSF_lbbbEUlllE_EE10hipError_tT0_T1_T2_jT3_P12ihipStream_tbPNSt15iterator_traitsISL_E10value_typeEPNSR_ISM_E10value_typeEPSN_NS1_7vsmem_tEENKUlT_SL_SM_SN_E_clIS8_S8_S9_S9_EESK_S10_SL_SM_SN_EUlS10_E1_NS1_11comp_targetILNS1_3genE5ELNS1_11target_archE942ELNS1_3gpuE9ELNS1_3repE0EEENS1_36merge_oddeven_config_static_selectorELNS0_4arch9wavefront6targetE1EEEvSM_,comdat
.Lfunc_end1020:
	.size	_ZN7rocprim17ROCPRIM_400000_NS6detail17trampoline_kernelINS0_14default_configENS1_38merge_sort_block_merge_config_selectorIlNS0_10empty_typeEEEZZNS1_27merge_sort_block_merge_implIS3_PlPS5_mZN2at6native12_GLOBAL__N_124unique_dim_cuda_templateIbEESt5tupleIJNSA_6TensorESF_SF_EERKSF_lbbbEUlllE_EE10hipError_tT0_T1_T2_jT3_P12ihipStream_tbPNSt15iterator_traitsISL_E10value_typeEPNSR_ISM_E10value_typeEPSN_NS1_7vsmem_tEENKUlT_SL_SM_SN_E_clIS8_S8_S9_S9_EESK_S10_SL_SM_SN_EUlS10_E1_NS1_11comp_targetILNS1_3genE5ELNS1_11target_archE942ELNS1_3gpuE9ELNS1_3repE0EEENS1_36merge_oddeven_config_static_selectorELNS0_4arch9wavefront6targetE1EEEvSM_, .Lfunc_end1020-_ZN7rocprim17ROCPRIM_400000_NS6detail17trampoline_kernelINS0_14default_configENS1_38merge_sort_block_merge_config_selectorIlNS0_10empty_typeEEEZZNS1_27merge_sort_block_merge_implIS3_PlPS5_mZN2at6native12_GLOBAL__N_124unique_dim_cuda_templateIbEESt5tupleIJNSA_6TensorESF_SF_EERKSF_lbbbEUlllE_EE10hipError_tT0_T1_T2_jT3_P12ihipStream_tbPNSt15iterator_traitsISL_E10value_typeEPNSR_ISM_E10value_typeEPSN_NS1_7vsmem_tEENKUlT_SL_SM_SN_E_clIS8_S8_S9_S9_EESK_S10_SL_SM_SN_EUlS10_E1_NS1_11comp_targetILNS1_3genE5ELNS1_11target_archE942ELNS1_3gpuE9ELNS1_3repE0EEENS1_36merge_oddeven_config_static_selectorELNS0_4arch9wavefront6targetE1EEEvSM_
                                        ; -- End function
	.set _ZN7rocprim17ROCPRIM_400000_NS6detail17trampoline_kernelINS0_14default_configENS1_38merge_sort_block_merge_config_selectorIlNS0_10empty_typeEEEZZNS1_27merge_sort_block_merge_implIS3_PlPS5_mZN2at6native12_GLOBAL__N_124unique_dim_cuda_templateIbEESt5tupleIJNSA_6TensorESF_SF_EERKSF_lbbbEUlllE_EE10hipError_tT0_T1_T2_jT3_P12ihipStream_tbPNSt15iterator_traitsISL_E10value_typeEPNSR_ISM_E10value_typeEPSN_NS1_7vsmem_tEENKUlT_SL_SM_SN_E_clIS8_S8_S9_S9_EESK_S10_SL_SM_SN_EUlS10_E1_NS1_11comp_targetILNS1_3genE5ELNS1_11target_archE942ELNS1_3gpuE9ELNS1_3repE0EEENS1_36merge_oddeven_config_static_selectorELNS0_4arch9wavefront6targetE1EEEvSM_.num_vgpr, 0
	.set _ZN7rocprim17ROCPRIM_400000_NS6detail17trampoline_kernelINS0_14default_configENS1_38merge_sort_block_merge_config_selectorIlNS0_10empty_typeEEEZZNS1_27merge_sort_block_merge_implIS3_PlPS5_mZN2at6native12_GLOBAL__N_124unique_dim_cuda_templateIbEESt5tupleIJNSA_6TensorESF_SF_EERKSF_lbbbEUlllE_EE10hipError_tT0_T1_T2_jT3_P12ihipStream_tbPNSt15iterator_traitsISL_E10value_typeEPNSR_ISM_E10value_typeEPSN_NS1_7vsmem_tEENKUlT_SL_SM_SN_E_clIS8_S8_S9_S9_EESK_S10_SL_SM_SN_EUlS10_E1_NS1_11comp_targetILNS1_3genE5ELNS1_11target_archE942ELNS1_3gpuE9ELNS1_3repE0EEENS1_36merge_oddeven_config_static_selectorELNS0_4arch9wavefront6targetE1EEEvSM_.num_agpr, 0
	.set _ZN7rocprim17ROCPRIM_400000_NS6detail17trampoline_kernelINS0_14default_configENS1_38merge_sort_block_merge_config_selectorIlNS0_10empty_typeEEEZZNS1_27merge_sort_block_merge_implIS3_PlPS5_mZN2at6native12_GLOBAL__N_124unique_dim_cuda_templateIbEESt5tupleIJNSA_6TensorESF_SF_EERKSF_lbbbEUlllE_EE10hipError_tT0_T1_T2_jT3_P12ihipStream_tbPNSt15iterator_traitsISL_E10value_typeEPNSR_ISM_E10value_typeEPSN_NS1_7vsmem_tEENKUlT_SL_SM_SN_E_clIS8_S8_S9_S9_EESK_S10_SL_SM_SN_EUlS10_E1_NS1_11comp_targetILNS1_3genE5ELNS1_11target_archE942ELNS1_3gpuE9ELNS1_3repE0EEENS1_36merge_oddeven_config_static_selectorELNS0_4arch9wavefront6targetE1EEEvSM_.numbered_sgpr, 0
	.set _ZN7rocprim17ROCPRIM_400000_NS6detail17trampoline_kernelINS0_14default_configENS1_38merge_sort_block_merge_config_selectorIlNS0_10empty_typeEEEZZNS1_27merge_sort_block_merge_implIS3_PlPS5_mZN2at6native12_GLOBAL__N_124unique_dim_cuda_templateIbEESt5tupleIJNSA_6TensorESF_SF_EERKSF_lbbbEUlllE_EE10hipError_tT0_T1_T2_jT3_P12ihipStream_tbPNSt15iterator_traitsISL_E10value_typeEPNSR_ISM_E10value_typeEPSN_NS1_7vsmem_tEENKUlT_SL_SM_SN_E_clIS8_S8_S9_S9_EESK_S10_SL_SM_SN_EUlS10_E1_NS1_11comp_targetILNS1_3genE5ELNS1_11target_archE942ELNS1_3gpuE9ELNS1_3repE0EEENS1_36merge_oddeven_config_static_selectorELNS0_4arch9wavefront6targetE1EEEvSM_.num_named_barrier, 0
	.set _ZN7rocprim17ROCPRIM_400000_NS6detail17trampoline_kernelINS0_14default_configENS1_38merge_sort_block_merge_config_selectorIlNS0_10empty_typeEEEZZNS1_27merge_sort_block_merge_implIS3_PlPS5_mZN2at6native12_GLOBAL__N_124unique_dim_cuda_templateIbEESt5tupleIJNSA_6TensorESF_SF_EERKSF_lbbbEUlllE_EE10hipError_tT0_T1_T2_jT3_P12ihipStream_tbPNSt15iterator_traitsISL_E10value_typeEPNSR_ISM_E10value_typeEPSN_NS1_7vsmem_tEENKUlT_SL_SM_SN_E_clIS8_S8_S9_S9_EESK_S10_SL_SM_SN_EUlS10_E1_NS1_11comp_targetILNS1_3genE5ELNS1_11target_archE942ELNS1_3gpuE9ELNS1_3repE0EEENS1_36merge_oddeven_config_static_selectorELNS0_4arch9wavefront6targetE1EEEvSM_.private_seg_size, 0
	.set _ZN7rocprim17ROCPRIM_400000_NS6detail17trampoline_kernelINS0_14default_configENS1_38merge_sort_block_merge_config_selectorIlNS0_10empty_typeEEEZZNS1_27merge_sort_block_merge_implIS3_PlPS5_mZN2at6native12_GLOBAL__N_124unique_dim_cuda_templateIbEESt5tupleIJNSA_6TensorESF_SF_EERKSF_lbbbEUlllE_EE10hipError_tT0_T1_T2_jT3_P12ihipStream_tbPNSt15iterator_traitsISL_E10value_typeEPNSR_ISM_E10value_typeEPSN_NS1_7vsmem_tEENKUlT_SL_SM_SN_E_clIS8_S8_S9_S9_EESK_S10_SL_SM_SN_EUlS10_E1_NS1_11comp_targetILNS1_3genE5ELNS1_11target_archE942ELNS1_3gpuE9ELNS1_3repE0EEENS1_36merge_oddeven_config_static_selectorELNS0_4arch9wavefront6targetE1EEEvSM_.uses_vcc, 0
	.set _ZN7rocprim17ROCPRIM_400000_NS6detail17trampoline_kernelINS0_14default_configENS1_38merge_sort_block_merge_config_selectorIlNS0_10empty_typeEEEZZNS1_27merge_sort_block_merge_implIS3_PlPS5_mZN2at6native12_GLOBAL__N_124unique_dim_cuda_templateIbEESt5tupleIJNSA_6TensorESF_SF_EERKSF_lbbbEUlllE_EE10hipError_tT0_T1_T2_jT3_P12ihipStream_tbPNSt15iterator_traitsISL_E10value_typeEPNSR_ISM_E10value_typeEPSN_NS1_7vsmem_tEENKUlT_SL_SM_SN_E_clIS8_S8_S9_S9_EESK_S10_SL_SM_SN_EUlS10_E1_NS1_11comp_targetILNS1_3genE5ELNS1_11target_archE942ELNS1_3gpuE9ELNS1_3repE0EEENS1_36merge_oddeven_config_static_selectorELNS0_4arch9wavefront6targetE1EEEvSM_.uses_flat_scratch, 0
	.set _ZN7rocprim17ROCPRIM_400000_NS6detail17trampoline_kernelINS0_14default_configENS1_38merge_sort_block_merge_config_selectorIlNS0_10empty_typeEEEZZNS1_27merge_sort_block_merge_implIS3_PlPS5_mZN2at6native12_GLOBAL__N_124unique_dim_cuda_templateIbEESt5tupleIJNSA_6TensorESF_SF_EERKSF_lbbbEUlllE_EE10hipError_tT0_T1_T2_jT3_P12ihipStream_tbPNSt15iterator_traitsISL_E10value_typeEPNSR_ISM_E10value_typeEPSN_NS1_7vsmem_tEENKUlT_SL_SM_SN_E_clIS8_S8_S9_S9_EESK_S10_SL_SM_SN_EUlS10_E1_NS1_11comp_targetILNS1_3genE5ELNS1_11target_archE942ELNS1_3gpuE9ELNS1_3repE0EEENS1_36merge_oddeven_config_static_selectorELNS0_4arch9wavefront6targetE1EEEvSM_.has_dyn_sized_stack, 0
	.set _ZN7rocprim17ROCPRIM_400000_NS6detail17trampoline_kernelINS0_14default_configENS1_38merge_sort_block_merge_config_selectorIlNS0_10empty_typeEEEZZNS1_27merge_sort_block_merge_implIS3_PlPS5_mZN2at6native12_GLOBAL__N_124unique_dim_cuda_templateIbEESt5tupleIJNSA_6TensorESF_SF_EERKSF_lbbbEUlllE_EE10hipError_tT0_T1_T2_jT3_P12ihipStream_tbPNSt15iterator_traitsISL_E10value_typeEPNSR_ISM_E10value_typeEPSN_NS1_7vsmem_tEENKUlT_SL_SM_SN_E_clIS8_S8_S9_S9_EESK_S10_SL_SM_SN_EUlS10_E1_NS1_11comp_targetILNS1_3genE5ELNS1_11target_archE942ELNS1_3gpuE9ELNS1_3repE0EEENS1_36merge_oddeven_config_static_selectorELNS0_4arch9wavefront6targetE1EEEvSM_.has_recursion, 0
	.set _ZN7rocprim17ROCPRIM_400000_NS6detail17trampoline_kernelINS0_14default_configENS1_38merge_sort_block_merge_config_selectorIlNS0_10empty_typeEEEZZNS1_27merge_sort_block_merge_implIS3_PlPS5_mZN2at6native12_GLOBAL__N_124unique_dim_cuda_templateIbEESt5tupleIJNSA_6TensorESF_SF_EERKSF_lbbbEUlllE_EE10hipError_tT0_T1_T2_jT3_P12ihipStream_tbPNSt15iterator_traitsISL_E10value_typeEPNSR_ISM_E10value_typeEPSN_NS1_7vsmem_tEENKUlT_SL_SM_SN_E_clIS8_S8_S9_S9_EESK_S10_SL_SM_SN_EUlS10_E1_NS1_11comp_targetILNS1_3genE5ELNS1_11target_archE942ELNS1_3gpuE9ELNS1_3repE0EEENS1_36merge_oddeven_config_static_selectorELNS0_4arch9wavefront6targetE1EEEvSM_.has_indirect_call, 0
	.section	.AMDGPU.csdata,"",@progbits
; Kernel info:
; codeLenInByte = 0
; TotalNumSgprs: 6
; NumVgprs: 0
; NumAgprs: 0
; TotalNumVgprs: 0
; ScratchSize: 0
; MemoryBound: 0
; FloatMode: 240
; IeeeMode: 1
; LDSByteSize: 0 bytes/workgroup (compile time only)
; SGPRBlocks: 0
; VGPRBlocks: 0
; NumSGPRsForWavesPerEU: 6
; NumVGPRsForWavesPerEU: 1
; AccumOffset: 4
; Occupancy: 8
; WaveLimiterHint : 0
; COMPUTE_PGM_RSRC2:SCRATCH_EN: 0
; COMPUTE_PGM_RSRC2:USER_SGPR: 2
; COMPUTE_PGM_RSRC2:TRAP_HANDLER: 0
; COMPUTE_PGM_RSRC2:TGID_X_EN: 1
; COMPUTE_PGM_RSRC2:TGID_Y_EN: 0
; COMPUTE_PGM_RSRC2:TGID_Z_EN: 0
; COMPUTE_PGM_RSRC2:TIDIG_COMP_CNT: 0
; COMPUTE_PGM_RSRC3_GFX90A:ACCUM_OFFSET: 0
; COMPUTE_PGM_RSRC3_GFX90A:TG_SPLIT: 0
	.section	.text._ZN7rocprim17ROCPRIM_400000_NS6detail17trampoline_kernelINS0_14default_configENS1_38merge_sort_block_merge_config_selectorIlNS0_10empty_typeEEEZZNS1_27merge_sort_block_merge_implIS3_PlPS5_mZN2at6native12_GLOBAL__N_124unique_dim_cuda_templateIbEESt5tupleIJNSA_6TensorESF_SF_EERKSF_lbbbEUlllE_EE10hipError_tT0_T1_T2_jT3_P12ihipStream_tbPNSt15iterator_traitsISL_E10value_typeEPNSR_ISM_E10value_typeEPSN_NS1_7vsmem_tEENKUlT_SL_SM_SN_E_clIS8_S8_S9_S9_EESK_S10_SL_SM_SN_EUlS10_E1_NS1_11comp_targetILNS1_3genE4ELNS1_11target_archE910ELNS1_3gpuE8ELNS1_3repE0EEENS1_36merge_oddeven_config_static_selectorELNS0_4arch9wavefront6targetE1EEEvSM_,"axG",@progbits,_ZN7rocprim17ROCPRIM_400000_NS6detail17trampoline_kernelINS0_14default_configENS1_38merge_sort_block_merge_config_selectorIlNS0_10empty_typeEEEZZNS1_27merge_sort_block_merge_implIS3_PlPS5_mZN2at6native12_GLOBAL__N_124unique_dim_cuda_templateIbEESt5tupleIJNSA_6TensorESF_SF_EERKSF_lbbbEUlllE_EE10hipError_tT0_T1_T2_jT3_P12ihipStream_tbPNSt15iterator_traitsISL_E10value_typeEPNSR_ISM_E10value_typeEPSN_NS1_7vsmem_tEENKUlT_SL_SM_SN_E_clIS8_S8_S9_S9_EESK_S10_SL_SM_SN_EUlS10_E1_NS1_11comp_targetILNS1_3genE4ELNS1_11target_archE910ELNS1_3gpuE8ELNS1_3repE0EEENS1_36merge_oddeven_config_static_selectorELNS0_4arch9wavefront6targetE1EEEvSM_,comdat
	.globl	_ZN7rocprim17ROCPRIM_400000_NS6detail17trampoline_kernelINS0_14default_configENS1_38merge_sort_block_merge_config_selectorIlNS0_10empty_typeEEEZZNS1_27merge_sort_block_merge_implIS3_PlPS5_mZN2at6native12_GLOBAL__N_124unique_dim_cuda_templateIbEESt5tupleIJNSA_6TensorESF_SF_EERKSF_lbbbEUlllE_EE10hipError_tT0_T1_T2_jT3_P12ihipStream_tbPNSt15iterator_traitsISL_E10value_typeEPNSR_ISM_E10value_typeEPSN_NS1_7vsmem_tEENKUlT_SL_SM_SN_E_clIS8_S8_S9_S9_EESK_S10_SL_SM_SN_EUlS10_E1_NS1_11comp_targetILNS1_3genE4ELNS1_11target_archE910ELNS1_3gpuE8ELNS1_3repE0EEENS1_36merge_oddeven_config_static_selectorELNS0_4arch9wavefront6targetE1EEEvSM_ ; -- Begin function _ZN7rocprim17ROCPRIM_400000_NS6detail17trampoline_kernelINS0_14default_configENS1_38merge_sort_block_merge_config_selectorIlNS0_10empty_typeEEEZZNS1_27merge_sort_block_merge_implIS3_PlPS5_mZN2at6native12_GLOBAL__N_124unique_dim_cuda_templateIbEESt5tupleIJNSA_6TensorESF_SF_EERKSF_lbbbEUlllE_EE10hipError_tT0_T1_T2_jT3_P12ihipStream_tbPNSt15iterator_traitsISL_E10value_typeEPNSR_ISM_E10value_typeEPSN_NS1_7vsmem_tEENKUlT_SL_SM_SN_E_clIS8_S8_S9_S9_EESK_S10_SL_SM_SN_EUlS10_E1_NS1_11comp_targetILNS1_3genE4ELNS1_11target_archE910ELNS1_3gpuE8ELNS1_3repE0EEENS1_36merge_oddeven_config_static_selectorELNS0_4arch9wavefront6targetE1EEEvSM_
	.p2align	8
	.type	_ZN7rocprim17ROCPRIM_400000_NS6detail17trampoline_kernelINS0_14default_configENS1_38merge_sort_block_merge_config_selectorIlNS0_10empty_typeEEEZZNS1_27merge_sort_block_merge_implIS3_PlPS5_mZN2at6native12_GLOBAL__N_124unique_dim_cuda_templateIbEESt5tupleIJNSA_6TensorESF_SF_EERKSF_lbbbEUlllE_EE10hipError_tT0_T1_T2_jT3_P12ihipStream_tbPNSt15iterator_traitsISL_E10value_typeEPNSR_ISM_E10value_typeEPSN_NS1_7vsmem_tEENKUlT_SL_SM_SN_E_clIS8_S8_S9_S9_EESK_S10_SL_SM_SN_EUlS10_E1_NS1_11comp_targetILNS1_3genE4ELNS1_11target_archE910ELNS1_3gpuE8ELNS1_3repE0EEENS1_36merge_oddeven_config_static_selectorELNS0_4arch9wavefront6targetE1EEEvSM_,@function
_ZN7rocprim17ROCPRIM_400000_NS6detail17trampoline_kernelINS0_14default_configENS1_38merge_sort_block_merge_config_selectorIlNS0_10empty_typeEEEZZNS1_27merge_sort_block_merge_implIS3_PlPS5_mZN2at6native12_GLOBAL__N_124unique_dim_cuda_templateIbEESt5tupleIJNSA_6TensorESF_SF_EERKSF_lbbbEUlllE_EE10hipError_tT0_T1_T2_jT3_P12ihipStream_tbPNSt15iterator_traitsISL_E10value_typeEPNSR_ISM_E10value_typeEPSN_NS1_7vsmem_tEENKUlT_SL_SM_SN_E_clIS8_S8_S9_S9_EESK_S10_SL_SM_SN_EUlS10_E1_NS1_11comp_targetILNS1_3genE4ELNS1_11target_archE910ELNS1_3gpuE8ELNS1_3repE0EEENS1_36merge_oddeven_config_static_selectorELNS0_4arch9wavefront6targetE1EEEvSM_: ; @_ZN7rocprim17ROCPRIM_400000_NS6detail17trampoline_kernelINS0_14default_configENS1_38merge_sort_block_merge_config_selectorIlNS0_10empty_typeEEEZZNS1_27merge_sort_block_merge_implIS3_PlPS5_mZN2at6native12_GLOBAL__N_124unique_dim_cuda_templateIbEESt5tupleIJNSA_6TensorESF_SF_EERKSF_lbbbEUlllE_EE10hipError_tT0_T1_T2_jT3_P12ihipStream_tbPNSt15iterator_traitsISL_E10value_typeEPNSR_ISM_E10value_typeEPSN_NS1_7vsmem_tEENKUlT_SL_SM_SN_E_clIS8_S8_S9_S9_EESK_S10_SL_SM_SN_EUlS10_E1_NS1_11comp_targetILNS1_3genE4ELNS1_11target_archE910ELNS1_3gpuE8ELNS1_3repE0EEENS1_36merge_oddeven_config_static_selectorELNS0_4arch9wavefront6targetE1EEEvSM_
; %bb.0:
	.section	.rodata,"a",@progbits
	.p2align	6, 0x0
	.amdhsa_kernel _ZN7rocprim17ROCPRIM_400000_NS6detail17trampoline_kernelINS0_14default_configENS1_38merge_sort_block_merge_config_selectorIlNS0_10empty_typeEEEZZNS1_27merge_sort_block_merge_implIS3_PlPS5_mZN2at6native12_GLOBAL__N_124unique_dim_cuda_templateIbEESt5tupleIJNSA_6TensorESF_SF_EERKSF_lbbbEUlllE_EE10hipError_tT0_T1_T2_jT3_P12ihipStream_tbPNSt15iterator_traitsISL_E10value_typeEPNSR_ISM_E10value_typeEPSN_NS1_7vsmem_tEENKUlT_SL_SM_SN_E_clIS8_S8_S9_S9_EESK_S10_SL_SM_SN_EUlS10_E1_NS1_11comp_targetILNS1_3genE4ELNS1_11target_archE910ELNS1_3gpuE8ELNS1_3repE0EEENS1_36merge_oddeven_config_static_selectorELNS0_4arch9wavefront6targetE1EEEvSM_
		.amdhsa_group_segment_fixed_size 0
		.amdhsa_private_segment_fixed_size 0
		.amdhsa_kernarg_size 64
		.amdhsa_user_sgpr_count 2
		.amdhsa_user_sgpr_dispatch_ptr 0
		.amdhsa_user_sgpr_queue_ptr 0
		.amdhsa_user_sgpr_kernarg_segment_ptr 1
		.amdhsa_user_sgpr_dispatch_id 0
		.amdhsa_user_sgpr_kernarg_preload_length 0
		.amdhsa_user_sgpr_kernarg_preload_offset 0
		.amdhsa_user_sgpr_private_segment_size 0
		.amdhsa_uses_dynamic_stack 0
		.amdhsa_enable_private_segment 0
		.amdhsa_system_sgpr_workgroup_id_x 1
		.amdhsa_system_sgpr_workgroup_id_y 0
		.amdhsa_system_sgpr_workgroup_id_z 0
		.amdhsa_system_sgpr_workgroup_info 0
		.amdhsa_system_vgpr_workitem_id 0
		.amdhsa_next_free_vgpr 1
		.amdhsa_next_free_sgpr 0
		.amdhsa_accum_offset 4
		.amdhsa_reserve_vcc 0
		.amdhsa_float_round_mode_32 0
		.amdhsa_float_round_mode_16_64 0
		.amdhsa_float_denorm_mode_32 3
		.amdhsa_float_denorm_mode_16_64 3
		.amdhsa_dx10_clamp 1
		.amdhsa_ieee_mode 1
		.amdhsa_fp16_overflow 0
		.amdhsa_tg_split 0
		.amdhsa_exception_fp_ieee_invalid_op 0
		.amdhsa_exception_fp_denorm_src 0
		.amdhsa_exception_fp_ieee_div_zero 0
		.amdhsa_exception_fp_ieee_overflow 0
		.amdhsa_exception_fp_ieee_underflow 0
		.amdhsa_exception_fp_ieee_inexact 0
		.amdhsa_exception_int_div_zero 0
	.end_amdhsa_kernel
	.section	.text._ZN7rocprim17ROCPRIM_400000_NS6detail17trampoline_kernelINS0_14default_configENS1_38merge_sort_block_merge_config_selectorIlNS0_10empty_typeEEEZZNS1_27merge_sort_block_merge_implIS3_PlPS5_mZN2at6native12_GLOBAL__N_124unique_dim_cuda_templateIbEESt5tupleIJNSA_6TensorESF_SF_EERKSF_lbbbEUlllE_EE10hipError_tT0_T1_T2_jT3_P12ihipStream_tbPNSt15iterator_traitsISL_E10value_typeEPNSR_ISM_E10value_typeEPSN_NS1_7vsmem_tEENKUlT_SL_SM_SN_E_clIS8_S8_S9_S9_EESK_S10_SL_SM_SN_EUlS10_E1_NS1_11comp_targetILNS1_3genE4ELNS1_11target_archE910ELNS1_3gpuE8ELNS1_3repE0EEENS1_36merge_oddeven_config_static_selectorELNS0_4arch9wavefront6targetE1EEEvSM_,"axG",@progbits,_ZN7rocprim17ROCPRIM_400000_NS6detail17trampoline_kernelINS0_14default_configENS1_38merge_sort_block_merge_config_selectorIlNS0_10empty_typeEEEZZNS1_27merge_sort_block_merge_implIS3_PlPS5_mZN2at6native12_GLOBAL__N_124unique_dim_cuda_templateIbEESt5tupleIJNSA_6TensorESF_SF_EERKSF_lbbbEUlllE_EE10hipError_tT0_T1_T2_jT3_P12ihipStream_tbPNSt15iterator_traitsISL_E10value_typeEPNSR_ISM_E10value_typeEPSN_NS1_7vsmem_tEENKUlT_SL_SM_SN_E_clIS8_S8_S9_S9_EESK_S10_SL_SM_SN_EUlS10_E1_NS1_11comp_targetILNS1_3genE4ELNS1_11target_archE910ELNS1_3gpuE8ELNS1_3repE0EEENS1_36merge_oddeven_config_static_selectorELNS0_4arch9wavefront6targetE1EEEvSM_,comdat
.Lfunc_end1021:
	.size	_ZN7rocprim17ROCPRIM_400000_NS6detail17trampoline_kernelINS0_14default_configENS1_38merge_sort_block_merge_config_selectorIlNS0_10empty_typeEEEZZNS1_27merge_sort_block_merge_implIS3_PlPS5_mZN2at6native12_GLOBAL__N_124unique_dim_cuda_templateIbEESt5tupleIJNSA_6TensorESF_SF_EERKSF_lbbbEUlllE_EE10hipError_tT0_T1_T2_jT3_P12ihipStream_tbPNSt15iterator_traitsISL_E10value_typeEPNSR_ISM_E10value_typeEPSN_NS1_7vsmem_tEENKUlT_SL_SM_SN_E_clIS8_S8_S9_S9_EESK_S10_SL_SM_SN_EUlS10_E1_NS1_11comp_targetILNS1_3genE4ELNS1_11target_archE910ELNS1_3gpuE8ELNS1_3repE0EEENS1_36merge_oddeven_config_static_selectorELNS0_4arch9wavefront6targetE1EEEvSM_, .Lfunc_end1021-_ZN7rocprim17ROCPRIM_400000_NS6detail17trampoline_kernelINS0_14default_configENS1_38merge_sort_block_merge_config_selectorIlNS0_10empty_typeEEEZZNS1_27merge_sort_block_merge_implIS3_PlPS5_mZN2at6native12_GLOBAL__N_124unique_dim_cuda_templateIbEESt5tupleIJNSA_6TensorESF_SF_EERKSF_lbbbEUlllE_EE10hipError_tT0_T1_T2_jT3_P12ihipStream_tbPNSt15iterator_traitsISL_E10value_typeEPNSR_ISM_E10value_typeEPSN_NS1_7vsmem_tEENKUlT_SL_SM_SN_E_clIS8_S8_S9_S9_EESK_S10_SL_SM_SN_EUlS10_E1_NS1_11comp_targetILNS1_3genE4ELNS1_11target_archE910ELNS1_3gpuE8ELNS1_3repE0EEENS1_36merge_oddeven_config_static_selectorELNS0_4arch9wavefront6targetE1EEEvSM_
                                        ; -- End function
	.set _ZN7rocprim17ROCPRIM_400000_NS6detail17trampoline_kernelINS0_14default_configENS1_38merge_sort_block_merge_config_selectorIlNS0_10empty_typeEEEZZNS1_27merge_sort_block_merge_implIS3_PlPS5_mZN2at6native12_GLOBAL__N_124unique_dim_cuda_templateIbEESt5tupleIJNSA_6TensorESF_SF_EERKSF_lbbbEUlllE_EE10hipError_tT0_T1_T2_jT3_P12ihipStream_tbPNSt15iterator_traitsISL_E10value_typeEPNSR_ISM_E10value_typeEPSN_NS1_7vsmem_tEENKUlT_SL_SM_SN_E_clIS8_S8_S9_S9_EESK_S10_SL_SM_SN_EUlS10_E1_NS1_11comp_targetILNS1_3genE4ELNS1_11target_archE910ELNS1_3gpuE8ELNS1_3repE0EEENS1_36merge_oddeven_config_static_selectorELNS0_4arch9wavefront6targetE1EEEvSM_.num_vgpr, 0
	.set _ZN7rocprim17ROCPRIM_400000_NS6detail17trampoline_kernelINS0_14default_configENS1_38merge_sort_block_merge_config_selectorIlNS0_10empty_typeEEEZZNS1_27merge_sort_block_merge_implIS3_PlPS5_mZN2at6native12_GLOBAL__N_124unique_dim_cuda_templateIbEESt5tupleIJNSA_6TensorESF_SF_EERKSF_lbbbEUlllE_EE10hipError_tT0_T1_T2_jT3_P12ihipStream_tbPNSt15iterator_traitsISL_E10value_typeEPNSR_ISM_E10value_typeEPSN_NS1_7vsmem_tEENKUlT_SL_SM_SN_E_clIS8_S8_S9_S9_EESK_S10_SL_SM_SN_EUlS10_E1_NS1_11comp_targetILNS1_3genE4ELNS1_11target_archE910ELNS1_3gpuE8ELNS1_3repE0EEENS1_36merge_oddeven_config_static_selectorELNS0_4arch9wavefront6targetE1EEEvSM_.num_agpr, 0
	.set _ZN7rocprim17ROCPRIM_400000_NS6detail17trampoline_kernelINS0_14default_configENS1_38merge_sort_block_merge_config_selectorIlNS0_10empty_typeEEEZZNS1_27merge_sort_block_merge_implIS3_PlPS5_mZN2at6native12_GLOBAL__N_124unique_dim_cuda_templateIbEESt5tupleIJNSA_6TensorESF_SF_EERKSF_lbbbEUlllE_EE10hipError_tT0_T1_T2_jT3_P12ihipStream_tbPNSt15iterator_traitsISL_E10value_typeEPNSR_ISM_E10value_typeEPSN_NS1_7vsmem_tEENKUlT_SL_SM_SN_E_clIS8_S8_S9_S9_EESK_S10_SL_SM_SN_EUlS10_E1_NS1_11comp_targetILNS1_3genE4ELNS1_11target_archE910ELNS1_3gpuE8ELNS1_3repE0EEENS1_36merge_oddeven_config_static_selectorELNS0_4arch9wavefront6targetE1EEEvSM_.numbered_sgpr, 0
	.set _ZN7rocprim17ROCPRIM_400000_NS6detail17trampoline_kernelINS0_14default_configENS1_38merge_sort_block_merge_config_selectorIlNS0_10empty_typeEEEZZNS1_27merge_sort_block_merge_implIS3_PlPS5_mZN2at6native12_GLOBAL__N_124unique_dim_cuda_templateIbEESt5tupleIJNSA_6TensorESF_SF_EERKSF_lbbbEUlllE_EE10hipError_tT0_T1_T2_jT3_P12ihipStream_tbPNSt15iterator_traitsISL_E10value_typeEPNSR_ISM_E10value_typeEPSN_NS1_7vsmem_tEENKUlT_SL_SM_SN_E_clIS8_S8_S9_S9_EESK_S10_SL_SM_SN_EUlS10_E1_NS1_11comp_targetILNS1_3genE4ELNS1_11target_archE910ELNS1_3gpuE8ELNS1_3repE0EEENS1_36merge_oddeven_config_static_selectorELNS0_4arch9wavefront6targetE1EEEvSM_.num_named_barrier, 0
	.set _ZN7rocprim17ROCPRIM_400000_NS6detail17trampoline_kernelINS0_14default_configENS1_38merge_sort_block_merge_config_selectorIlNS0_10empty_typeEEEZZNS1_27merge_sort_block_merge_implIS3_PlPS5_mZN2at6native12_GLOBAL__N_124unique_dim_cuda_templateIbEESt5tupleIJNSA_6TensorESF_SF_EERKSF_lbbbEUlllE_EE10hipError_tT0_T1_T2_jT3_P12ihipStream_tbPNSt15iterator_traitsISL_E10value_typeEPNSR_ISM_E10value_typeEPSN_NS1_7vsmem_tEENKUlT_SL_SM_SN_E_clIS8_S8_S9_S9_EESK_S10_SL_SM_SN_EUlS10_E1_NS1_11comp_targetILNS1_3genE4ELNS1_11target_archE910ELNS1_3gpuE8ELNS1_3repE0EEENS1_36merge_oddeven_config_static_selectorELNS0_4arch9wavefront6targetE1EEEvSM_.private_seg_size, 0
	.set _ZN7rocprim17ROCPRIM_400000_NS6detail17trampoline_kernelINS0_14default_configENS1_38merge_sort_block_merge_config_selectorIlNS0_10empty_typeEEEZZNS1_27merge_sort_block_merge_implIS3_PlPS5_mZN2at6native12_GLOBAL__N_124unique_dim_cuda_templateIbEESt5tupleIJNSA_6TensorESF_SF_EERKSF_lbbbEUlllE_EE10hipError_tT0_T1_T2_jT3_P12ihipStream_tbPNSt15iterator_traitsISL_E10value_typeEPNSR_ISM_E10value_typeEPSN_NS1_7vsmem_tEENKUlT_SL_SM_SN_E_clIS8_S8_S9_S9_EESK_S10_SL_SM_SN_EUlS10_E1_NS1_11comp_targetILNS1_3genE4ELNS1_11target_archE910ELNS1_3gpuE8ELNS1_3repE0EEENS1_36merge_oddeven_config_static_selectorELNS0_4arch9wavefront6targetE1EEEvSM_.uses_vcc, 0
	.set _ZN7rocprim17ROCPRIM_400000_NS6detail17trampoline_kernelINS0_14default_configENS1_38merge_sort_block_merge_config_selectorIlNS0_10empty_typeEEEZZNS1_27merge_sort_block_merge_implIS3_PlPS5_mZN2at6native12_GLOBAL__N_124unique_dim_cuda_templateIbEESt5tupleIJNSA_6TensorESF_SF_EERKSF_lbbbEUlllE_EE10hipError_tT0_T1_T2_jT3_P12ihipStream_tbPNSt15iterator_traitsISL_E10value_typeEPNSR_ISM_E10value_typeEPSN_NS1_7vsmem_tEENKUlT_SL_SM_SN_E_clIS8_S8_S9_S9_EESK_S10_SL_SM_SN_EUlS10_E1_NS1_11comp_targetILNS1_3genE4ELNS1_11target_archE910ELNS1_3gpuE8ELNS1_3repE0EEENS1_36merge_oddeven_config_static_selectorELNS0_4arch9wavefront6targetE1EEEvSM_.uses_flat_scratch, 0
	.set _ZN7rocprim17ROCPRIM_400000_NS6detail17trampoline_kernelINS0_14default_configENS1_38merge_sort_block_merge_config_selectorIlNS0_10empty_typeEEEZZNS1_27merge_sort_block_merge_implIS3_PlPS5_mZN2at6native12_GLOBAL__N_124unique_dim_cuda_templateIbEESt5tupleIJNSA_6TensorESF_SF_EERKSF_lbbbEUlllE_EE10hipError_tT0_T1_T2_jT3_P12ihipStream_tbPNSt15iterator_traitsISL_E10value_typeEPNSR_ISM_E10value_typeEPSN_NS1_7vsmem_tEENKUlT_SL_SM_SN_E_clIS8_S8_S9_S9_EESK_S10_SL_SM_SN_EUlS10_E1_NS1_11comp_targetILNS1_3genE4ELNS1_11target_archE910ELNS1_3gpuE8ELNS1_3repE0EEENS1_36merge_oddeven_config_static_selectorELNS0_4arch9wavefront6targetE1EEEvSM_.has_dyn_sized_stack, 0
	.set _ZN7rocprim17ROCPRIM_400000_NS6detail17trampoline_kernelINS0_14default_configENS1_38merge_sort_block_merge_config_selectorIlNS0_10empty_typeEEEZZNS1_27merge_sort_block_merge_implIS3_PlPS5_mZN2at6native12_GLOBAL__N_124unique_dim_cuda_templateIbEESt5tupleIJNSA_6TensorESF_SF_EERKSF_lbbbEUlllE_EE10hipError_tT0_T1_T2_jT3_P12ihipStream_tbPNSt15iterator_traitsISL_E10value_typeEPNSR_ISM_E10value_typeEPSN_NS1_7vsmem_tEENKUlT_SL_SM_SN_E_clIS8_S8_S9_S9_EESK_S10_SL_SM_SN_EUlS10_E1_NS1_11comp_targetILNS1_3genE4ELNS1_11target_archE910ELNS1_3gpuE8ELNS1_3repE0EEENS1_36merge_oddeven_config_static_selectorELNS0_4arch9wavefront6targetE1EEEvSM_.has_recursion, 0
	.set _ZN7rocprim17ROCPRIM_400000_NS6detail17trampoline_kernelINS0_14default_configENS1_38merge_sort_block_merge_config_selectorIlNS0_10empty_typeEEEZZNS1_27merge_sort_block_merge_implIS3_PlPS5_mZN2at6native12_GLOBAL__N_124unique_dim_cuda_templateIbEESt5tupleIJNSA_6TensorESF_SF_EERKSF_lbbbEUlllE_EE10hipError_tT0_T1_T2_jT3_P12ihipStream_tbPNSt15iterator_traitsISL_E10value_typeEPNSR_ISM_E10value_typeEPSN_NS1_7vsmem_tEENKUlT_SL_SM_SN_E_clIS8_S8_S9_S9_EESK_S10_SL_SM_SN_EUlS10_E1_NS1_11comp_targetILNS1_3genE4ELNS1_11target_archE910ELNS1_3gpuE8ELNS1_3repE0EEENS1_36merge_oddeven_config_static_selectorELNS0_4arch9wavefront6targetE1EEEvSM_.has_indirect_call, 0
	.section	.AMDGPU.csdata,"",@progbits
; Kernel info:
; codeLenInByte = 0
; TotalNumSgprs: 6
; NumVgprs: 0
; NumAgprs: 0
; TotalNumVgprs: 0
; ScratchSize: 0
; MemoryBound: 0
; FloatMode: 240
; IeeeMode: 1
; LDSByteSize: 0 bytes/workgroup (compile time only)
; SGPRBlocks: 0
; VGPRBlocks: 0
; NumSGPRsForWavesPerEU: 6
; NumVGPRsForWavesPerEU: 1
; AccumOffset: 4
; Occupancy: 8
; WaveLimiterHint : 0
; COMPUTE_PGM_RSRC2:SCRATCH_EN: 0
; COMPUTE_PGM_RSRC2:USER_SGPR: 2
; COMPUTE_PGM_RSRC2:TRAP_HANDLER: 0
; COMPUTE_PGM_RSRC2:TGID_X_EN: 1
; COMPUTE_PGM_RSRC2:TGID_Y_EN: 0
; COMPUTE_PGM_RSRC2:TGID_Z_EN: 0
; COMPUTE_PGM_RSRC2:TIDIG_COMP_CNT: 0
; COMPUTE_PGM_RSRC3_GFX90A:ACCUM_OFFSET: 0
; COMPUTE_PGM_RSRC3_GFX90A:TG_SPLIT: 0
	.section	.text._ZN7rocprim17ROCPRIM_400000_NS6detail17trampoline_kernelINS0_14default_configENS1_38merge_sort_block_merge_config_selectorIlNS0_10empty_typeEEEZZNS1_27merge_sort_block_merge_implIS3_PlPS5_mZN2at6native12_GLOBAL__N_124unique_dim_cuda_templateIbEESt5tupleIJNSA_6TensorESF_SF_EERKSF_lbbbEUlllE_EE10hipError_tT0_T1_T2_jT3_P12ihipStream_tbPNSt15iterator_traitsISL_E10value_typeEPNSR_ISM_E10value_typeEPSN_NS1_7vsmem_tEENKUlT_SL_SM_SN_E_clIS8_S8_S9_S9_EESK_S10_SL_SM_SN_EUlS10_E1_NS1_11comp_targetILNS1_3genE3ELNS1_11target_archE908ELNS1_3gpuE7ELNS1_3repE0EEENS1_36merge_oddeven_config_static_selectorELNS0_4arch9wavefront6targetE1EEEvSM_,"axG",@progbits,_ZN7rocprim17ROCPRIM_400000_NS6detail17trampoline_kernelINS0_14default_configENS1_38merge_sort_block_merge_config_selectorIlNS0_10empty_typeEEEZZNS1_27merge_sort_block_merge_implIS3_PlPS5_mZN2at6native12_GLOBAL__N_124unique_dim_cuda_templateIbEESt5tupleIJNSA_6TensorESF_SF_EERKSF_lbbbEUlllE_EE10hipError_tT0_T1_T2_jT3_P12ihipStream_tbPNSt15iterator_traitsISL_E10value_typeEPNSR_ISM_E10value_typeEPSN_NS1_7vsmem_tEENKUlT_SL_SM_SN_E_clIS8_S8_S9_S9_EESK_S10_SL_SM_SN_EUlS10_E1_NS1_11comp_targetILNS1_3genE3ELNS1_11target_archE908ELNS1_3gpuE7ELNS1_3repE0EEENS1_36merge_oddeven_config_static_selectorELNS0_4arch9wavefront6targetE1EEEvSM_,comdat
	.globl	_ZN7rocprim17ROCPRIM_400000_NS6detail17trampoline_kernelINS0_14default_configENS1_38merge_sort_block_merge_config_selectorIlNS0_10empty_typeEEEZZNS1_27merge_sort_block_merge_implIS3_PlPS5_mZN2at6native12_GLOBAL__N_124unique_dim_cuda_templateIbEESt5tupleIJNSA_6TensorESF_SF_EERKSF_lbbbEUlllE_EE10hipError_tT0_T1_T2_jT3_P12ihipStream_tbPNSt15iterator_traitsISL_E10value_typeEPNSR_ISM_E10value_typeEPSN_NS1_7vsmem_tEENKUlT_SL_SM_SN_E_clIS8_S8_S9_S9_EESK_S10_SL_SM_SN_EUlS10_E1_NS1_11comp_targetILNS1_3genE3ELNS1_11target_archE908ELNS1_3gpuE7ELNS1_3repE0EEENS1_36merge_oddeven_config_static_selectorELNS0_4arch9wavefront6targetE1EEEvSM_ ; -- Begin function _ZN7rocprim17ROCPRIM_400000_NS6detail17trampoline_kernelINS0_14default_configENS1_38merge_sort_block_merge_config_selectorIlNS0_10empty_typeEEEZZNS1_27merge_sort_block_merge_implIS3_PlPS5_mZN2at6native12_GLOBAL__N_124unique_dim_cuda_templateIbEESt5tupleIJNSA_6TensorESF_SF_EERKSF_lbbbEUlllE_EE10hipError_tT0_T1_T2_jT3_P12ihipStream_tbPNSt15iterator_traitsISL_E10value_typeEPNSR_ISM_E10value_typeEPSN_NS1_7vsmem_tEENKUlT_SL_SM_SN_E_clIS8_S8_S9_S9_EESK_S10_SL_SM_SN_EUlS10_E1_NS1_11comp_targetILNS1_3genE3ELNS1_11target_archE908ELNS1_3gpuE7ELNS1_3repE0EEENS1_36merge_oddeven_config_static_selectorELNS0_4arch9wavefront6targetE1EEEvSM_
	.p2align	8
	.type	_ZN7rocprim17ROCPRIM_400000_NS6detail17trampoline_kernelINS0_14default_configENS1_38merge_sort_block_merge_config_selectorIlNS0_10empty_typeEEEZZNS1_27merge_sort_block_merge_implIS3_PlPS5_mZN2at6native12_GLOBAL__N_124unique_dim_cuda_templateIbEESt5tupleIJNSA_6TensorESF_SF_EERKSF_lbbbEUlllE_EE10hipError_tT0_T1_T2_jT3_P12ihipStream_tbPNSt15iterator_traitsISL_E10value_typeEPNSR_ISM_E10value_typeEPSN_NS1_7vsmem_tEENKUlT_SL_SM_SN_E_clIS8_S8_S9_S9_EESK_S10_SL_SM_SN_EUlS10_E1_NS1_11comp_targetILNS1_3genE3ELNS1_11target_archE908ELNS1_3gpuE7ELNS1_3repE0EEENS1_36merge_oddeven_config_static_selectorELNS0_4arch9wavefront6targetE1EEEvSM_,@function
_ZN7rocprim17ROCPRIM_400000_NS6detail17trampoline_kernelINS0_14default_configENS1_38merge_sort_block_merge_config_selectorIlNS0_10empty_typeEEEZZNS1_27merge_sort_block_merge_implIS3_PlPS5_mZN2at6native12_GLOBAL__N_124unique_dim_cuda_templateIbEESt5tupleIJNSA_6TensorESF_SF_EERKSF_lbbbEUlllE_EE10hipError_tT0_T1_T2_jT3_P12ihipStream_tbPNSt15iterator_traitsISL_E10value_typeEPNSR_ISM_E10value_typeEPSN_NS1_7vsmem_tEENKUlT_SL_SM_SN_E_clIS8_S8_S9_S9_EESK_S10_SL_SM_SN_EUlS10_E1_NS1_11comp_targetILNS1_3genE3ELNS1_11target_archE908ELNS1_3gpuE7ELNS1_3repE0EEENS1_36merge_oddeven_config_static_selectorELNS0_4arch9wavefront6targetE1EEEvSM_: ; @_ZN7rocprim17ROCPRIM_400000_NS6detail17trampoline_kernelINS0_14default_configENS1_38merge_sort_block_merge_config_selectorIlNS0_10empty_typeEEEZZNS1_27merge_sort_block_merge_implIS3_PlPS5_mZN2at6native12_GLOBAL__N_124unique_dim_cuda_templateIbEESt5tupleIJNSA_6TensorESF_SF_EERKSF_lbbbEUlllE_EE10hipError_tT0_T1_T2_jT3_P12ihipStream_tbPNSt15iterator_traitsISL_E10value_typeEPNSR_ISM_E10value_typeEPSN_NS1_7vsmem_tEENKUlT_SL_SM_SN_E_clIS8_S8_S9_S9_EESK_S10_SL_SM_SN_EUlS10_E1_NS1_11comp_targetILNS1_3genE3ELNS1_11target_archE908ELNS1_3gpuE7ELNS1_3repE0EEENS1_36merge_oddeven_config_static_selectorELNS0_4arch9wavefront6targetE1EEEvSM_
; %bb.0:
	.section	.rodata,"a",@progbits
	.p2align	6, 0x0
	.amdhsa_kernel _ZN7rocprim17ROCPRIM_400000_NS6detail17trampoline_kernelINS0_14default_configENS1_38merge_sort_block_merge_config_selectorIlNS0_10empty_typeEEEZZNS1_27merge_sort_block_merge_implIS3_PlPS5_mZN2at6native12_GLOBAL__N_124unique_dim_cuda_templateIbEESt5tupleIJNSA_6TensorESF_SF_EERKSF_lbbbEUlllE_EE10hipError_tT0_T1_T2_jT3_P12ihipStream_tbPNSt15iterator_traitsISL_E10value_typeEPNSR_ISM_E10value_typeEPSN_NS1_7vsmem_tEENKUlT_SL_SM_SN_E_clIS8_S8_S9_S9_EESK_S10_SL_SM_SN_EUlS10_E1_NS1_11comp_targetILNS1_3genE3ELNS1_11target_archE908ELNS1_3gpuE7ELNS1_3repE0EEENS1_36merge_oddeven_config_static_selectorELNS0_4arch9wavefront6targetE1EEEvSM_
		.amdhsa_group_segment_fixed_size 0
		.amdhsa_private_segment_fixed_size 0
		.amdhsa_kernarg_size 64
		.amdhsa_user_sgpr_count 2
		.amdhsa_user_sgpr_dispatch_ptr 0
		.amdhsa_user_sgpr_queue_ptr 0
		.amdhsa_user_sgpr_kernarg_segment_ptr 1
		.amdhsa_user_sgpr_dispatch_id 0
		.amdhsa_user_sgpr_kernarg_preload_length 0
		.amdhsa_user_sgpr_kernarg_preload_offset 0
		.amdhsa_user_sgpr_private_segment_size 0
		.amdhsa_uses_dynamic_stack 0
		.amdhsa_enable_private_segment 0
		.amdhsa_system_sgpr_workgroup_id_x 1
		.amdhsa_system_sgpr_workgroup_id_y 0
		.amdhsa_system_sgpr_workgroup_id_z 0
		.amdhsa_system_sgpr_workgroup_info 0
		.amdhsa_system_vgpr_workitem_id 0
		.amdhsa_next_free_vgpr 1
		.amdhsa_next_free_sgpr 0
		.amdhsa_accum_offset 4
		.amdhsa_reserve_vcc 0
		.amdhsa_float_round_mode_32 0
		.amdhsa_float_round_mode_16_64 0
		.amdhsa_float_denorm_mode_32 3
		.amdhsa_float_denorm_mode_16_64 3
		.amdhsa_dx10_clamp 1
		.amdhsa_ieee_mode 1
		.amdhsa_fp16_overflow 0
		.amdhsa_tg_split 0
		.amdhsa_exception_fp_ieee_invalid_op 0
		.amdhsa_exception_fp_denorm_src 0
		.amdhsa_exception_fp_ieee_div_zero 0
		.amdhsa_exception_fp_ieee_overflow 0
		.amdhsa_exception_fp_ieee_underflow 0
		.amdhsa_exception_fp_ieee_inexact 0
		.amdhsa_exception_int_div_zero 0
	.end_amdhsa_kernel
	.section	.text._ZN7rocprim17ROCPRIM_400000_NS6detail17trampoline_kernelINS0_14default_configENS1_38merge_sort_block_merge_config_selectorIlNS0_10empty_typeEEEZZNS1_27merge_sort_block_merge_implIS3_PlPS5_mZN2at6native12_GLOBAL__N_124unique_dim_cuda_templateIbEESt5tupleIJNSA_6TensorESF_SF_EERKSF_lbbbEUlllE_EE10hipError_tT0_T1_T2_jT3_P12ihipStream_tbPNSt15iterator_traitsISL_E10value_typeEPNSR_ISM_E10value_typeEPSN_NS1_7vsmem_tEENKUlT_SL_SM_SN_E_clIS8_S8_S9_S9_EESK_S10_SL_SM_SN_EUlS10_E1_NS1_11comp_targetILNS1_3genE3ELNS1_11target_archE908ELNS1_3gpuE7ELNS1_3repE0EEENS1_36merge_oddeven_config_static_selectorELNS0_4arch9wavefront6targetE1EEEvSM_,"axG",@progbits,_ZN7rocprim17ROCPRIM_400000_NS6detail17trampoline_kernelINS0_14default_configENS1_38merge_sort_block_merge_config_selectorIlNS0_10empty_typeEEEZZNS1_27merge_sort_block_merge_implIS3_PlPS5_mZN2at6native12_GLOBAL__N_124unique_dim_cuda_templateIbEESt5tupleIJNSA_6TensorESF_SF_EERKSF_lbbbEUlllE_EE10hipError_tT0_T1_T2_jT3_P12ihipStream_tbPNSt15iterator_traitsISL_E10value_typeEPNSR_ISM_E10value_typeEPSN_NS1_7vsmem_tEENKUlT_SL_SM_SN_E_clIS8_S8_S9_S9_EESK_S10_SL_SM_SN_EUlS10_E1_NS1_11comp_targetILNS1_3genE3ELNS1_11target_archE908ELNS1_3gpuE7ELNS1_3repE0EEENS1_36merge_oddeven_config_static_selectorELNS0_4arch9wavefront6targetE1EEEvSM_,comdat
.Lfunc_end1022:
	.size	_ZN7rocprim17ROCPRIM_400000_NS6detail17trampoline_kernelINS0_14default_configENS1_38merge_sort_block_merge_config_selectorIlNS0_10empty_typeEEEZZNS1_27merge_sort_block_merge_implIS3_PlPS5_mZN2at6native12_GLOBAL__N_124unique_dim_cuda_templateIbEESt5tupleIJNSA_6TensorESF_SF_EERKSF_lbbbEUlllE_EE10hipError_tT0_T1_T2_jT3_P12ihipStream_tbPNSt15iterator_traitsISL_E10value_typeEPNSR_ISM_E10value_typeEPSN_NS1_7vsmem_tEENKUlT_SL_SM_SN_E_clIS8_S8_S9_S9_EESK_S10_SL_SM_SN_EUlS10_E1_NS1_11comp_targetILNS1_3genE3ELNS1_11target_archE908ELNS1_3gpuE7ELNS1_3repE0EEENS1_36merge_oddeven_config_static_selectorELNS0_4arch9wavefront6targetE1EEEvSM_, .Lfunc_end1022-_ZN7rocprim17ROCPRIM_400000_NS6detail17trampoline_kernelINS0_14default_configENS1_38merge_sort_block_merge_config_selectorIlNS0_10empty_typeEEEZZNS1_27merge_sort_block_merge_implIS3_PlPS5_mZN2at6native12_GLOBAL__N_124unique_dim_cuda_templateIbEESt5tupleIJNSA_6TensorESF_SF_EERKSF_lbbbEUlllE_EE10hipError_tT0_T1_T2_jT3_P12ihipStream_tbPNSt15iterator_traitsISL_E10value_typeEPNSR_ISM_E10value_typeEPSN_NS1_7vsmem_tEENKUlT_SL_SM_SN_E_clIS8_S8_S9_S9_EESK_S10_SL_SM_SN_EUlS10_E1_NS1_11comp_targetILNS1_3genE3ELNS1_11target_archE908ELNS1_3gpuE7ELNS1_3repE0EEENS1_36merge_oddeven_config_static_selectorELNS0_4arch9wavefront6targetE1EEEvSM_
                                        ; -- End function
	.set _ZN7rocprim17ROCPRIM_400000_NS6detail17trampoline_kernelINS0_14default_configENS1_38merge_sort_block_merge_config_selectorIlNS0_10empty_typeEEEZZNS1_27merge_sort_block_merge_implIS3_PlPS5_mZN2at6native12_GLOBAL__N_124unique_dim_cuda_templateIbEESt5tupleIJNSA_6TensorESF_SF_EERKSF_lbbbEUlllE_EE10hipError_tT0_T1_T2_jT3_P12ihipStream_tbPNSt15iterator_traitsISL_E10value_typeEPNSR_ISM_E10value_typeEPSN_NS1_7vsmem_tEENKUlT_SL_SM_SN_E_clIS8_S8_S9_S9_EESK_S10_SL_SM_SN_EUlS10_E1_NS1_11comp_targetILNS1_3genE3ELNS1_11target_archE908ELNS1_3gpuE7ELNS1_3repE0EEENS1_36merge_oddeven_config_static_selectorELNS0_4arch9wavefront6targetE1EEEvSM_.num_vgpr, 0
	.set _ZN7rocprim17ROCPRIM_400000_NS6detail17trampoline_kernelINS0_14default_configENS1_38merge_sort_block_merge_config_selectorIlNS0_10empty_typeEEEZZNS1_27merge_sort_block_merge_implIS3_PlPS5_mZN2at6native12_GLOBAL__N_124unique_dim_cuda_templateIbEESt5tupleIJNSA_6TensorESF_SF_EERKSF_lbbbEUlllE_EE10hipError_tT0_T1_T2_jT3_P12ihipStream_tbPNSt15iterator_traitsISL_E10value_typeEPNSR_ISM_E10value_typeEPSN_NS1_7vsmem_tEENKUlT_SL_SM_SN_E_clIS8_S8_S9_S9_EESK_S10_SL_SM_SN_EUlS10_E1_NS1_11comp_targetILNS1_3genE3ELNS1_11target_archE908ELNS1_3gpuE7ELNS1_3repE0EEENS1_36merge_oddeven_config_static_selectorELNS0_4arch9wavefront6targetE1EEEvSM_.num_agpr, 0
	.set _ZN7rocprim17ROCPRIM_400000_NS6detail17trampoline_kernelINS0_14default_configENS1_38merge_sort_block_merge_config_selectorIlNS0_10empty_typeEEEZZNS1_27merge_sort_block_merge_implIS3_PlPS5_mZN2at6native12_GLOBAL__N_124unique_dim_cuda_templateIbEESt5tupleIJNSA_6TensorESF_SF_EERKSF_lbbbEUlllE_EE10hipError_tT0_T1_T2_jT3_P12ihipStream_tbPNSt15iterator_traitsISL_E10value_typeEPNSR_ISM_E10value_typeEPSN_NS1_7vsmem_tEENKUlT_SL_SM_SN_E_clIS8_S8_S9_S9_EESK_S10_SL_SM_SN_EUlS10_E1_NS1_11comp_targetILNS1_3genE3ELNS1_11target_archE908ELNS1_3gpuE7ELNS1_3repE0EEENS1_36merge_oddeven_config_static_selectorELNS0_4arch9wavefront6targetE1EEEvSM_.numbered_sgpr, 0
	.set _ZN7rocprim17ROCPRIM_400000_NS6detail17trampoline_kernelINS0_14default_configENS1_38merge_sort_block_merge_config_selectorIlNS0_10empty_typeEEEZZNS1_27merge_sort_block_merge_implIS3_PlPS5_mZN2at6native12_GLOBAL__N_124unique_dim_cuda_templateIbEESt5tupleIJNSA_6TensorESF_SF_EERKSF_lbbbEUlllE_EE10hipError_tT0_T1_T2_jT3_P12ihipStream_tbPNSt15iterator_traitsISL_E10value_typeEPNSR_ISM_E10value_typeEPSN_NS1_7vsmem_tEENKUlT_SL_SM_SN_E_clIS8_S8_S9_S9_EESK_S10_SL_SM_SN_EUlS10_E1_NS1_11comp_targetILNS1_3genE3ELNS1_11target_archE908ELNS1_3gpuE7ELNS1_3repE0EEENS1_36merge_oddeven_config_static_selectorELNS0_4arch9wavefront6targetE1EEEvSM_.num_named_barrier, 0
	.set _ZN7rocprim17ROCPRIM_400000_NS6detail17trampoline_kernelINS0_14default_configENS1_38merge_sort_block_merge_config_selectorIlNS0_10empty_typeEEEZZNS1_27merge_sort_block_merge_implIS3_PlPS5_mZN2at6native12_GLOBAL__N_124unique_dim_cuda_templateIbEESt5tupleIJNSA_6TensorESF_SF_EERKSF_lbbbEUlllE_EE10hipError_tT0_T1_T2_jT3_P12ihipStream_tbPNSt15iterator_traitsISL_E10value_typeEPNSR_ISM_E10value_typeEPSN_NS1_7vsmem_tEENKUlT_SL_SM_SN_E_clIS8_S8_S9_S9_EESK_S10_SL_SM_SN_EUlS10_E1_NS1_11comp_targetILNS1_3genE3ELNS1_11target_archE908ELNS1_3gpuE7ELNS1_3repE0EEENS1_36merge_oddeven_config_static_selectorELNS0_4arch9wavefront6targetE1EEEvSM_.private_seg_size, 0
	.set _ZN7rocprim17ROCPRIM_400000_NS6detail17trampoline_kernelINS0_14default_configENS1_38merge_sort_block_merge_config_selectorIlNS0_10empty_typeEEEZZNS1_27merge_sort_block_merge_implIS3_PlPS5_mZN2at6native12_GLOBAL__N_124unique_dim_cuda_templateIbEESt5tupleIJNSA_6TensorESF_SF_EERKSF_lbbbEUlllE_EE10hipError_tT0_T1_T2_jT3_P12ihipStream_tbPNSt15iterator_traitsISL_E10value_typeEPNSR_ISM_E10value_typeEPSN_NS1_7vsmem_tEENKUlT_SL_SM_SN_E_clIS8_S8_S9_S9_EESK_S10_SL_SM_SN_EUlS10_E1_NS1_11comp_targetILNS1_3genE3ELNS1_11target_archE908ELNS1_3gpuE7ELNS1_3repE0EEENS1_36merge_oddeven_config_static_selectorELNS0_4arch9wavefront6targetE1EEEvSM_.uses_vcc, 0
	.set _ZN7rocprim17ROCPRIM_400000_NS6detail17trampoline_kernelINS0_14default_configENS1_38merge_sort_block_merge_config_selectorIlNS0_10empty_typeEEEZZNS1_27merge_sort_block_merge_implIS3_PlPS5_mZN2at6native12_GLOBAL__N_124unique_dim_cuda_templateIbEESt5tupleIJNSA_6TensorESF_SF_EERKSF_lbbbEUlllE_EE10hipError_tT0_T1_T2_jT3_P12ihipStream_tbPNSt15iterator_traitsISL_E10value_typeEPNSR_ISM_E10value_typeEPSN_NS1_7vsmem_tEENKUlT_SL_SM_SN_E_clIS8_S8_S9_S9_EESK_S10_SL_SM_SN_EUlS10_E1_NS1_11comp_targetILNS1_3genE3ELNS1_11target_archE908ELNS1_3gpuE7ELNS1_3repE0EEENS1_36merge_oddeven_config_static_selectorELNS0_4arch9wavefront6targetE1EEEvSM_.uses_flat_scratch, 0
	.set _ZN7rocprim17ROCPRIM_400000_NS6detail17trampoline_kernelINS0_14default_configENS1_38merge_sort_block_merge_config_selectorIlNS0_10empty_typeEEEZZNS1_27merge_sort_block_merge_implIS3_PlPS5_mZN2at6native12_GLOBAL__N_124unique_dim_cuda_templateIbEESt5tupleIJNSA_6TensorESF_SF_EERKSF_lbbbEUlllE_EE10hipError_tT0_T1_T2_jT3_P12ihipStream_tbPNSt15iterator_traitsISL_E10value_typeEPNSR_ISM_E10value_typeEPSN_NS1_7vsmem_tEENKUlT_SL_SM_SN_E_clIS8_S8_S9_S9_EESK_S10_SL_SM_SN_EUlS10_E1_NS1_11comp_targetILNS1_3genE3ELNS1_11target_archE908ELNS1_3gpuE7ELNS1_3repE0EEENS1_36merge_oddeven_config_static_selectorELNS0_4arch9wavefront6targetE1EEEvSM_.has_dyn_sized_stack, 0
	.set _ZN7rocprim17ROCPRIM_400000_NS6detail17trampoline_kernelINS0_14default_configENS1_38merge_sort_block_merge_config_selectorIlNS0_10empty_typeEEEZZNS1_27merge_sort_block_merge_implIS3_PlPS5_mZN2at6native12_GLOBAL__N_124unique_dim_cuda_templateIbEESt5tupleIJNSA_6TensorESF_SF_EERKSF_lbbbEUlllE_EE10hipError_tT0_T1_T2_jT3_P12ihipStream_tbPNSt15iterator_traitsISL_E10value_typeEPNSR_ISM_E10value_typeEPSN_NS1_7vsmem_tEENKUlT_SL_SM_SN_E_clIS8_S8_S9_S9_EESK_S10_SL_SM_SN_EUlS10_E1_NS1_11comp_targetILNS1_3genE3ELNS1_11target_archE908ELNS1_3gpuE7ELNS1_3repE0EEENS1_36merge_oddeven_config_static_selectorELNS0_4arch9wavefront6targetE1EEEvSM_.has_recursion, 0
	.set _ZN7rocprim17ROCPRIM_400000_NS6detail17trampoline_kernelINS0_14default_configENS1_38merge_sort_block_merge_config_selectorIlNS0_10empty_typeEEEZZNS1_27merge_sort_block_merge_implIS3_PlPS5_mZN2at6native12_GLOBAL__N_124unique_dim_cuda_templateIbEESt5tupleIJNSA_6TensorESF_SF_EERKSF_lbbbEUlllE_EE10hipError_tT0_T1_T2_jT3_P12ihipStream_tbPNSt15iterator_traitsISL_E10value_typeEPNSR_ISM_E10value_typeEPSN_NS1_7vsmem_tEENKUlT_SL_SM_SN_E_clIS8_S8_S9_S9_EESK_S10_SL_SM_SN_EUlS10_E1_NS1_11comp_targetILNS1_3genE3ELNS1_11target_archE908ELNS1_3gpuE7ELNS1_3repE0EEENS1_36merge_oddeven_config_static_selectorELNS0_4arch9wavefront6targetE1EEEvSM_.has_indirect_call, 0
	.section	.AMDGPU.csdata,"",@progbits
; Kernel info:
; codeLenInByte = 0
; TotalNumSgprs: 6
; NumVgprs: 0
; NumAgprs: 0
; TotalNumVgprs: 0
; ScratchSize: 0
; MemoryBound: 0
; FloatMode: 240
; IeeeMode: 1
; LDSByteSize: 0 bytes/workgroup (compile time only)
; SGPRBlocks: 0
; VGPRBlocks: 0
; NumSGPRsForWavesPerEU: 6
; NumVGPRsForWavesPerEU: 1
; AccumOffset: 4
; Occupancy: 8
; WaveLimiterHint : 0
; COMPUTE_PGM_RSRC2:SCRATCH_EN: 0
; COMPUTE_PGM_RSRC2:USER_SGPR: 2
; COMPUTE_PGM_RSRC2:TRAP_HANDLER: 0
; COMPUTE_PGM_RSRC2:TGID_X_EN: 1
; COMPUTE_PGM_RSRC2:TGID_Y_EN: 0
; COMPUTE_PGM_RSRC2:TGID_Z_EN: 0
; COMPUTE_PGM_RSRC2:TIDIG_COMP_CNT: 0
; COMPUTE_PGM_RSRC3_GFX90A:ACCUM_OFFSET: 0
; COMPUTE_PGM_RSRC3_GFX90A:TG_SPLIT: 0
	.section	.text._ZN7rocprim17ROCPRIM_400000_NS6detail17trampoline_kernelINS0_14default_configENS1_38merge_sort_block_merge_config_selectorIlNS0_10empty_typeEEEZZNS1_27merge_sort_block_merge_implIS3_PlPS5_mZN2at6native12_GLOBAL__N_124unique_dim_cuda_templateIbEESt5tupleIJNSA_6TensorESF_SF_EERKSF_lbbbEUlllE_EE10hipError_tT0_T1_T2_jT3_P12ihipStream_tbPNSt15iterator_traitsISL_E10value_typeEPNSR_ISM_E10value_typeEPSN_NS1_7vsmem_tEENKUlT_SL_SM_SN_E_clIS8_S8_S9_S9_EESK_S10_SL_SM_SN_EUlS10_E1_NS1_11comp_targetILNS1_3genE2ELNS1_11target_archE906ELNS1_3gpuE6ELNS1_3repE0EEENS1_36merge_oddeven_config_static_selectorELNS0_4arch9wavefront6targetE1EEEvSM_,"axG",@progbits,_ZN7rocprim17ROCPRIM_400000_NS6detail17trampoline_kernelINS0_14default_configENS1_38merge_sort_block_merge_config_selectorIlNS0_10empty_typeEEEZZNS1_27merge_sort_block_merge_implIS3_PlPS5_mZN2at6native12_GLOBAL__N_124unique_dim_cuda_templateIbEESt5tupleIJNSA_6TensorESF_SF_EERKSF_lbbbEUlllE_EE10hipError_tT0_T1_T2_jT3_P12ihipStream_tbPNSt15iterator_traitsISL_E10value_typeEPNSR_ISM_E10value_typeEPSN_NS1_7vsmem_tEENKUlT_SL_SM_SN_E_clIS8_S8_S9_S9_EESK_S10_SL_SM_SN_EUlS10_E1_NS1_11comp_targetILNS1_3genE2ELNS1_11target_archE906ELNS1_3gpuE6ELNS1_3repE0EEENS1_36merge_oddeven_config_static_selectorELNS0_4arch9wavefront6targetE1EEEvSM_,comdat
	.globl	_ZN7rocprim17ROCPRIM_400000_NS6detail17trampoline_kernelINS0_14default_configENS1_38merge_sort_block_merge_config_selectorIlNS0_10empty_typeEEEZZNS1_27merge_sort_block_merge_implIS3_PlPS5_mZN2at6native12_GLOBAL__N_124unique_dim_cuda_templateIbEESt5tupleIJNSA_6TensorESF_SF_EERKSF_lbbbEUlllE_EE10hipError_tT0_T1_T2_jT3_P12ihipStream_tbPNSt15iterator_traitsISL_E10value_typeEPNSR_ISM_E10value_typeEPSN_NS1_7vsmem_tEENKUlT_SL_SM_SN_E_clIS8_S8_S9_S9_EESK_S10_SL_SM_SN_EUlS10_E1_NS1_11comp_targetILNS1_3genE2ELNS1_11target_archE906ELNS1_3gpuE6ELNS1_3repE0EEENS1_36merge_oddeven_config_static_selectorELNS0_4arch9wavefront6targetE1EEEvSM_ ; -- Begin function _ZN7rocprim17ROCPRIM_400000_NS6detail17trampoline_kernelINS0_14default_configENS1_38merge_sort_block_merge_config_selectorIlNS0_10empty_typeEEEZZNS1_27merge_sort_block_merge_implIS3_PlPS5_mZN2at6native12_GLOBAL__N_124unique_dim_cuda_templateIbEESt5tupleIJNSA_6TensorESF_SF_EERKSF_lbbbEUlllE_EE10hipError_tT0_T1_T2_jT3_P12ihipStream_tbPNSt15iterator_traitsISL_E10value_typeEPNSR_ISM_E10value_typeEPSN_NS1_7vsmem_tEENKUlT_SL_SM_SN_E_clIS8_S8_S9_S9_EESK_S10_SL_SM_SN_EUlS10_E1_NS1_11comp_targetILNS1_3genE2ELNS1_11target_archE906ELNS1_3gpuE6ELNS1_3repE0EEENS1_36merge_oddeven_config_static_selectorELNS0_4arch9wavefront6targetE1EEEvSM_
	.p2align	8
	.type	_ZN7rocprim17ROCPRIM_400000_NS6detail17trampoline_kernelINS0_14default_configENS1_38merge_sort_block_merge_config_selectorIlNS0_10empty_typeEEEZZNS1_27merge_sort_block_merge_implIS3_PlPS5_mZN2at6native12_GLOBAL__N_124unique_dim_cuda_templateIbEESt5tupleIJNSA_6TensorESF_SF_EERKSF_lbbbEUlllE_EE10hipError_tT0_T1_T2_jT3_P12ihipStream_tbPNSt15iterator_traitsISL_E10value_typeEPNSR_ISM_E10value_typeEPSN_NS1_7vsmem_tEENKUlT_SL_SM_SN_E_clIS8_S8_S9_S9_EESK_S10_SL_SM_SN_EUlS10_E1_NS1_11comp_targetILNS1_3genE2ELNS1_11target_archE906ELNS1_3gpuE6ELNS1_3repE0EEENS1_36merge_oddeven_config_static_selectorELNS0_4arch9wavefront6targetE1EEEvSM_,@function
_ZN7rocprim17ROCPRIM_400000_NS6detail17trampoline_kernelINS0_14default_configENS1_38merge_sort_block_merge_config_selectorIlNS0_10empty_typeEEEZZNS1_27merge_sort_block_merge_implIS3_PlPS5_mZN2at6native12_GLOBAL__N_124unique_dim_cuda_templateIbEESt5tupleIJNSA_6TensorESF_SF_EERKSF_lbbbEUlllE_EE10hipError_tT0_T1_T2_jT3_P12ihipStream_tbPNSt15iterator_traitsISL_E10value_typeEPNSR_ISM_E10value_typeEPSN_NS1_7vsmem_tEENKUlT_SL_SM_SN_E_clIS8_S8_S9_S9_EESK_S10_SL_SM_SN_EUlS10_E1_NS1_11comp_targetILNS1_3genE2ELNS1_11target_archE906ELNS1_3gpuE6ELNS1_3repE0EEENS1_36merge_oddeven_config_static_selectorELNS0_4arch9wavefront6targetE1EEEvSM_: ; @_ZN7rocprim17ROCPRIM_400000_NS6detail17trampoline_kernelINS0_14default_configENS1_38merge_sort_block_merge_config_selectorIlNS0_10empty_typeEEEZZNS1_27merge_sort_block_merge_implIS3_PlPS5_mZN2at6native12_GLOBAL__N_124unique_dim_cuda_templateIbEESt5tupleIJNSA_6TensorESF_SF_EERKSF_lbbbEUlllE_EE10hipError_tT0_T1_T2_jT3_P12ihipStream_tbPNSt15iterator_traitsISL_E10value_typeEPNSR_ISM_E10value_typeEPSN_NS1_7vsmem_tEENKUlT_SL_SM_SN_E_clIS8_S8_S9_S9_EESK_S10_SL_SM_SN_EUlS10_E1_NS1_11comp_targetILNS1_3genE2ELNS1_11target_archE906ELNS1_3gpuE6ELNS1_3repE0EEENS1_36merge_oddeven_config_static_selectorELNS0_4arch9wavefront6targetE1EEEvSM_
; %bb.0:
	.section	.rodata,"a",@progbits
	.p2align	6, 0x0
	.amdhsa_kernel _ZN7rocprim17ROCPRIM_400000_NS6detail17trampoline_kernelINS0_14default_configENS1_38merge_sort_block_merge_config_selectorIlNS0_10empty_typeEEEZZNS1_27merge_sort_block_merge_implIS3_PlPS5_mZN2at6native12_GLOBAL__N_124unique_dim_cuda_templateIbEESt5tupleIJNSA_6TensorESF_SF_EERKSF_lbbbEUlllE_EE10hipError_tT0_T1_T2_jT3_P12ihipStream_tbPNSt15iterator_traitsISL_E10value_typeEPNSR_ISM_E10value_typeEPSN_NS1_7vsmem_tEENKUlT_SL_SM_SN_E_clIS8_S8_S9_S9_EESK_S10_SL_SM_SN_EUlS10_E1_NS1_11comp_targetILNS1_3genE2ELNS1_11target_archE906ELNS1_3gpuE6ELNS1_3repE0EEENS1_36merge_oddeven_config_static_selectorELNS0_4arch9wavefront6targetE1EEEvSM_
		.amdhsa_group_segment_fixed_size 0
		.amdhsa_private_segment_fixed_size 0
		.amdhsa_kernarg_size 64
		.amdhsa_user_sgpr_count 2
		.amdhsa_user_sgpr_dispatch_ptr 0
		.amdhsa_user_sgpr_queue_ptr 0
		.amdhsa_user_sgpr_kernarg_segment_ptr 1
		.amdhsa_user_sgpr_dispatch_id 0
		.amdhsa_user_sgpr_kernarg_preload_length 0
		.amdhsa_user_sgpr_kernarg_preload_offset 0
		.amdhsa_user_sgpr_private_segment_size 0
		.amdhsa_uses_dynamic_stack 0
		.amdhsa_enable_private_segment 0
		.amdhsa_system_sgpr_workgroup_id_x 1
		.amdhsa_system_sgpr_workgroup_id_y 0
		.amdhsa_system_sgpr_workgroup_id_z 0
		.amdhsa_system_sgpr_workgroup_info 0
		.amdhsa_system_vgpr_workitem_id 0
		.amdhsa_next_free_vgpr 1
		.amdhsa_next_free_sgpr 0
		.amdhsa_accum_offset 4
		.amdhsa_reserve_vcc 0
		.amdhsa_float_round_mode_32 0
		.amdhsa_float_round_mode_16_64 0
		.amdhsa_float_denorm_mode_32 3
		.amdhsa_float_denorm_mode_16_64 3
		.amdhsa_dx10_clamp 1
		.amdhsa_ieee_mode 1
		.amdhsa_fp16_overflow 0
		.amdhsa_tg_split 0
		.amdhsa_exception_fp_ieee_invalid_op 0
		.amdhsa_exception_fp_denorm_src 0
		.amdhsa_exception_fp_ieee_div_zero 0
		.amdhsa_exception_fp_ieee_overflow 0
		.amdhsa_exception_fp_ieee_underflow 0
		.amdhsa_exception_fp_ieee_inexact 0
		.amdhsa_exception_int_div_zero 0
	.end_amdhsa_kernel
	.section	.text._ZN7rocprim17ROCPRIM_400000_NS6detail17trampoline_kernelINS0_14default_configENS1_38merge_sort_block_merge_config_selectorIlNS0_10empty_typeEEEZZNS1_27merge_sort_block_merge_implIS3_PlPS5_mZN2at6native12_GLOBAL__N_124unique_dim_cuda_templateIbEESt5tupleIJNSA_6TensorESF_SF_EERKSF_lbbbEUlllE_EE10hipError_tT0_T1_T2_jT3_P12ihipStream_tbPNSt15iterator_traitsISL_E10value_typeEPNSR_ISM_E10value_typeEPSN_NS1_7vsmem_tEENKUlT_SL_SM_SN_E_clIS8_S8_S9_S9_EESK_S10_SL_SM_SN_EUlS10_E1_NS1_11comp_targetILNS1_3genE2ELNS1_11target_archE906ELNS1_3gpuE6ELNS1_3repE0EEENS1_36merge_oddeven_config_static_selectorELNS0_4arch9wavefront6targetE1EEEvSM_,"axG",@progbits,_ZN7rocprim17ROCPRIM_400000_NS6detail17trampoline_kernelINS0_14default_configENS1_38merge_sort_block_merge_config_selectorIlNS0_10empty_typeEEEZZNS1_27merge_sort_block_merge_implIS3_PlPS5_mZN2at6native12_GLOBAL__N_124unique_dim_cuda_templateIbEESt5tupleIJNSA_6TensorESF_SF_EERKSF_lbbbEUlllE_EE10hipError_tT0_T1_T2_jT3_P12ihipStream_tbPNSt15iterator_traitsISL_E10value_typeEPNSR_ISM_E10value_typeEPSN_NS1_7vsmem_tEENKUlT_SL_SM_SN_E_clIS8_S8_S9_S9_EESK_S10_SL_SM_SN_EUlS10_E1_NS1_11comp_targetILNS1_3genE2ELNS1_11target_archE906ELNS1_3gpuE6ELNS1_3repE0EEENS1_36merge_oddeven_config_static_selectorELNS0_4arch9wavefront6targetE1EEEvSM_,comdat
.Lfunc_end1023:
	.size	_ZN7rocprim17ROCPRIM_400000_NS6detail17trampoline_kernelINS0_14default_configENS1_38merge_sort_block_merge_config_selectorIlNS0_10empty_typeEEEZZNS1_27merge_sort_block_merge_implIS3_PlPS5_mZN2at6native12_GLOBAL__N_124unique_dim_cuda_templateIbEESt5tupleIJNSA_6TensorESF_SF_EERKSF_lbbbEUlllE_EE10hipError_tT0_T1_T2_jT3_P12ihipStream_tbPNSt15iterator_traitsISL_E10value_typeEPNSR_ISM_E10value_typeEPSN_NS1_7vsmem_tEENKUlT_SL_SM_SN_E_clIS8_S8_S9_S9_EESK_S10_SL_SM_SN_EUlS10_E1_NS1_11comp_targetILNS1_3genE2ELNS1_11target_archE906ELNS1_3gpuE6ELNS1_3repE0EEENS1_36merge_oddeven_config_static_selectorELNS0_4arch9wavefront6targetE1EEEvSM_, .Lfunc_end1023-_ZN7rocprim17ROCPRIM_400000_NS6detail17trampoline_kernelINS0_14default_configENS1_38merge_sort_block_merge_config_selectorIlNS0_10empty_typeEEEZZNS1_27merge_sort_block_merge_implIS3_PlPS5_mZN2at6native12_GLOBAL__N_124unique_dim_cuda_templateIbEESt5tupleIJNSA_6TensorESF_SF_EERKSF_lbbbEUlllE_EE10hipError_tT0_T1_T2_jT3_P12ihipStream_tbPNSt15iterator_traitsISL_E10value_typeEPNSR_ISM_E10value_typeEPSN_NS1_7vsmem_tEENKUlT_SL_SM_SN_E_clIS8_S8_S9_S9_EESK_S10_SL_SM_SN_EUlS10_E1_NS1_11comp_targetILNS1_3genE2ELNS1_11target_archE906ELNS1_3gpuE6ELNS1_3repE0EEENS1_36merge_oddeven_config_static_selectorELNS0_4arch9wavefront6targetE1EEEvSM_
                                        ; -- End function
	.set _ZN7rocprim17ROCPRIM_400000_NS6detail17trampoline_kernelINS0_14default_configENS1_38merge_sort_block_merge_config_selectorIlNS0_10empty_typeEEEZZNS1_27merge_sort_block_merge_implIS3_PlPS5_mZN2at6native12_GLOBAL__N_124unique_dim_cuda_templateIbEESt5tupleIJNSA_6TensorESF_SF_EERKSF_lbbbEUlllE_EE10hipError_tT0_T1_T2_jT3_P12ihipStream_tbPNSt15iterator_traitsISL_E10value_typeEPNSR_ISM_E10value_typeEPSN_NS1_7vsmem_tEENKUlT_SL_SM_SN_E_clIS8_S8_S9_S9_EESK_S10_SL_SM_SN_EUlS10_E1_NS1_11comp_targetILNS1_3genE2ELNS1_11target_archE906ELNS1_3gpuE6ELNS1_3repE0EEENS1_36merge_oddeven_config_static_selectorELNS0_4arch9wavefront6targetE1EEEvSM_.num_vgpr, 0
	.set _ZN7rocprim17ROCPRIM_400000_NS6detail17trampoline_kernelINS0_14default_configENS1_38merge_sort_block_merge_config_selectorIlNS0_10empty_typeEEEZZNS1_27merge_sort_block_merge_implIS3_PlPS5_mZN2at6native12_GLOBAL__N_124unique_dim_cuda_templateIbEESt5tupleIJNSA_6TensorESF_SF_EERKSF_lbbbEUlllE_EE10hipError_tT0_T1_T2_jT3_P12ihipStream_tbPNSt15iterator_traitsISL_E10value_typeEPNSR_ISM_E10value_typeEPSN_NS1_7vsmem_tEENKUlT_SL_SM_SN_E_clIS8_S8_S9_S9_EESK_S10_SL_SM_SN_EUlS10_E1_NS1_11comp_targetILNS1_3genE2ELNS1_11target_archE906ELNS1_3gpuE6ELNS1_3repE0EEENS1_36merge_oddeven_config_static_selectorELNS0_4arch9wavefront6targetE1EEEvSM_.num_agpr, 0
	.set _ZN7rocprim17ROCPRIM_400000_NS6detail17trampoline_kernelINS0_14default_configENS1_38merge_sort_block_merge_config_selectorIlNS0_10empty_typeEEEZZNS1_27merge_sort_block_merge_implIS3_PlPS5_mZN2at6native12_GLOBAL__N_124unique_dim_cuda_templateIbEESt5tupleIJNSA_6TensorESF_SF_EERKSF_lbbbEUlllE_EE10hipError_tT0_T1_T2_jT3_P12ihipStream_tbPNSt15iterator_traitsISL_E10value_typeEPNSR_ISM_E10value_typeEPSN_NS1_7vsmem_tEENKUlT_SL_SM_SN_E_clIS8_S8_S9_S9_EESK_S10_SL_SM_SN_EUlS10_E1_NS1_11comp_targetILNS1_3genE2ELNS1_11target_archE906ELNS1_3gpuE6ELNS1_3repE0EEENS1_36merge_oddeven_config_static_selectorELNS0_4arch9wavefront6targetE1EEEvSM_.numbered_sgpr, 0
	.set _ZN7rocprim17ROCPRIM_400000_NS6detail17trampoline_kernelINS0_14default_configENS1_38merge_sort_block_merge_config_selectorIlNS0_10empty_typeEEEZZNS1_27merge_sort_block_merge_implIS3_PlPS5_mZN2at6native12_GLOBAL__N_124unique_dim_cuda_templateIbEESt5tupleIJNSA_6TensorESF_SF_EERKSF_lbbbEUlllE_EE10hipError_tT0_T1_T2_jT3_P12ihipStream_tbPNSt15iterator_traitsISL_E10value_typeEPNSR_ISM_E10value_typeEPSN_NS1_7vsmem_tEENKUlT_SL_SM_SN_E_clIS8_S8_S9_S9_EESK_S10_SL_SM_SN_EUlS10_E1_NS1_11comp_targetILNS1_3genE2ELNS1_11target_archE906ELNS1_3gpuE6ELNS1_3repE0EEENS1_36merge_oddeven_config_static_selectorELNS0_4arch9wavefront6targetE1EEEvSM_.num_named_barrier, 0
	.set _ZN7rocprim17ROCPRIM_400000_NS6detail17trampoline_kernelINS0_14default_configENS1_38merge_sort_block_merge_config_selectorIlNS0_10empty_typeEEEZZNS1_27merge_sort_block_merge_implIS3_PlPS5_mZN2at6native12_GLOBAL__N_124unique_dim_cuda_templateIbEESt5tupleIJNSA_6TensorESF_SF_EERKSF_lbbbEUlllE_EE10hipError_tT0_T1_T2_jT3_P12ihipStream_tbPNSt15iterator_traitsISL_E10value_typeEPNSR_ISM_E10value_typeEPSN_NS1_7vsmem_tEENKUlT_SL_SM_SN_E_clIS8_S8_S9_S9_EESK_S10_SL_SM_SN_EUlS10_E1_NS1_11comp_targetILNS1_3genE2ELNS1_11target_archE906ELNS1_3gpuE6ELNS1_3repE0EEENS1_36merge_oddeven_config_static_selectorELNS0_4arch9wavefront6targetE1EEEvSM_.private_seg_size, 0
	.set _ZN7rocprim17ROCPRIM_400000_NS6detail17trampoline_kernelINS0_14default_configENS1_38merge_sort_block_merge_config_selectorIlNS0_10empty_typeEEEZZNS1_27merge_sort_block_merge_implIS3_PlPS5_mZN2at6native12_GLOBAL__N_124unique_dim_cuda_templateIbEESt5tupleIJNSA_6TensorESF_SF_EERKSF_lbbbEUlllE_EE10hipError_tT0_T1_T2_jT3_P12ihipStream_tbPNSt15iterator_traitsISL_E10value_typeEPNSR_ISM_E10value_typeEPSN_NS1_7vsmem_tEENKUlT_SL_SM_SN_E_clIS8_S8_S9_S9_EESK_S10_SL_SM_SN_EUlS10_E1_NS1_11comp_targetILNS1_3genE2ELNS1_11target_archE906ELNS1_3gpuE6ELNS1_3repE0EEENS1_36merge_oddeven_config_static_selectorELNS0_4arch9wavefront6targetE1EEEvSM_.uses_vcc, 0
	.set _ZN7rocprim17ROCPRIM_400000_NS6detail17trampoline_kernelINS0_14default_configENS1_38merge_sort_block_merge_config_selectorIlNS0_10empty_typeEEEZZNS1_27merge_sort_block_merge_implIS3_PlPS5_mZN2at6native12_GLOBAL__N_124unique_dim_cuda_templateIbEESt5tupleIJNSA_6TensorESF_SF_EERKSF_lbbbEUlllE_EE10hipError_tT0_T1_T2_jT3_P12ihipStream_tbPNSt15iterator_traitsISL_E10value_typeEPNSR_ISM_E10value_typeEPSN_NS1_7vsmem_tEENKUlT_SL_SM_SN_E_clIS8_S8_S9_S9_EESK_S10_SL_SM_SN_EUlS10_E1_NS1_11comp_targetILNS1_3genE2ELNS1_11target_archE906ELNS1_3gpuE6ELNS1_3repE0EEENS1_36merge_oddeven_config_static_selectorELNS0_4arch9wavefront6targetE1EEEvSM_.uses_flat_scratch, 0
	.set _ZN7rocprim17ROCPRIM_400000_NS6detail17trampoline_kernelINS0_14default_configENS1_38merge_sort_block_merge_config_selectorIlNS0_10empty_typeEEEZZNS1_27merge_sort_block_merge_implIS3_PlPS5_mZN2at6native12_GLOBAL__N_124unique_dim_cuda_templateIbEESt5tupleIJNSA_6TensorESF_SF_EERKSF_lbbbEUlllE_EE10hipError_tT0_T1_T2_jT3_P12ihipStream_tbPNSt15iterator_traitsISL_E10value_typeEPNSR_ISM_E10value_typeEPSN_NS1_7vsmem_tEENKUlT_SL_SM_SN_E_clIS8_S8_S9_S9_EESK_S10_SL_SM_SN_EUlS10_E1_NS1_11comp_targetILNS1_3genE2ELNS1_11target_archE906ELNS1_3gpuE6ELNS1_3repE0EEENS1_36merge_oddeven_config_static_selectorELNS0_4arch9wavefront6targetE1EEEvSM_.has_dyn_sized_stack, 0
	.set _ZN7rocprim17ROCPRIM_400000_NS6detail17trampoline_kernelINS0_14default_configENS1_38merge_sort_block_merge_config_selectorIlNS0_10empty_typeEEEZZNS1_27merge_sort_block_merge_implIS3_PlPS5_mZN2at6native12_GLOBAL__N_124unique_dim_cuda_templateIbEESt5tupleIJNSA_6TensorESF_SF_EERKSF_lbbbEUlllE_EE10hipError_tT0_T1_T2_jT3_P12ihipStream_tbPNSt15iterator_traitsISL_E10value_typeEPNSR_ISM_E10value_typeEPSN_NS1_7vsmem_tEENKUlT_SL_SM_SN_E_clIS8_S8_S9_S9_EESK_S10_SL_SM_SN_EUlS10_E1_NS1_11comp_targetILNS1_3genE2ELNS1_11target_archE906ELNS1_3gpuE6ELNS1_3repE0EEENS1_36merge_oddeven_config_static_selectorELNS0_4arch9wavefront6targetE1EEEvSM_.has_recursion, 0
	.set _ZN7rocprim17ROCPRIM_400000_NS6detail17trampoline_kernelINS0_14default_configENS1_38merge_sort_block_merge_config_selectorIlNS0_10empty_typeEEEZZNS1_27merge_sort_block_merge_implIS3_PlPS5_mZN2at6native12_GLOBAL__N_124unique_dim_cuda_templateIbEESt5tupleIJNSA_6TensorESF_SF_EERKSF_lbbbEUlllE_EE10hipError_tT0_T1_T2_jT3_P12ihipStream_tbPNSt15iterator_traitsISL_E10value_typeEPNSR_ISM_E10value_typeEPSN_NS1_7vsmem_tEENKUlT_SL_SM_SN_E_clIS8_S8_S9_S9_EESK_S10_SL_SM_SN_EUlS10_E1_NS1_11comp_targetILNS1_3genE2ELNS1_11target_archE906ELNS1_3gpuE6ELNS1_3repE0EEENS1_36merge_oddeven_config_static_selectorELNS0_4arch9wavefront6targetE1EEEvSM_.has_indirect_call, 0
	.section	.AMDGPU.csdata,"",@progbits
; Kernel info:
; codeLenInByte = 0
; TotalNumSgprs: 6
; NumVgprs: 0
; NumAgprs: 0
; TotalNumVgprs: 0
; ScratchSize: 0
; MemoryBound: 0
; FloatMode: 240
; IeeeMode: 1
; LDSByteSize: 0 bytes/workgroup (compile time only)
; SGPRBlocks: 0
; VGPRBlocks: 0
; NumSGPRsForWavesPerEU: 6
; NumVGPRsForWavesPerEU: 1
; AccumOffset: 4
; Occupancy: 8
; WaveLimiterHint : 0
; COMPUTE_PGM_RSRC2:SCRATCH_EN: 0
; COMPUTE_PGM_RSRC2:USER_SGPR: 2
; COMPUTE_PGM_RSRC2:TRAP_HANDLER: 0
; COMPUTE_PGM_RSRC2:TGID_X_EN: 1
; COMPUTE_PGM_RSRC2:TGID_Y_EN: 0
; COMPUTE_PGM_RSRC2:TGID_Z_EN: 0
; COMPUTE_PGM_RSRC2:TIDIG_COMP_CNT: 0
; COMPUTE_PGM_RSRC3_GFX90A:ACCUM_OFFSET: 0
; COMPUTE_PGM_RSRC3_GFX90A:TG_SPLIT: 0
	.section	.text._ZN7rocprim17ROCPRIM_400000_NS6detail17trampoline_kernelINS0_14default_configENS1_38merge_sort_block_merge_config_selectorIlNS0_10empty_typeEEEZZNS1_27merge_sort_block_merge_implIS3_PlPS5_mZN2at6native12_GLOBAL__N_124unique_dim_cuda_templateIbEESt5tupleIJNSA_6TensorESF_SF_EERKSF_lbbbEUlllE_EE10hipError_tT0_T1_T2_jT3_P12ihipStream_tbPNSt15iterator_traitsISL_E10value_typeEPNSR_ISM_E10value_typeEPSN_NS1_7vsmem_tEENKUlT_SL_SM_SN_E_clIS8_S8_S9_S9_EESK_S10_SL_SM_SN_EUlS10_E1_NS1_11comp_targetILNS1_3genE9ELNS1_11target_archE1100ELNS1_3gpuE3ELNS1_3repE0EEENS1_36merge_oddeven_config_static_selectorELNS0_4arch9wavefront6targetE1EEEvSM_,"axG",@progbits,_ZN7rocprim17ROCPRIM_400000_NS6detail17trampoline_kernelINS0_14default_configENS1_38merge_sort_block_merge_config_selectorIlNS0_10empty_typeEEEZZNS1_27merge_sort_block_merge_implIS3_PlPS5_mZN2at6native12_GLOBAL__N_124unique_dim_cuda_templateIbEESt5tupleIJNSA_6TensorESF_SF_EERKSF_lbbbEUlllE_EE10hipError_tT0_T1_T2_jT3_P12ihipStream_tbPNSt15iterator_traitsISL_E10value_typeEPNSR_ISM_E10value_typeEPSN_NS1_7vsmem_tEENKUlT_SL_SM_SN_E_clIS8_S8_S9_S9_EESK_S10_SL_SM_SN_EUlS10_E1_NS1_11comp_targetILNS1_3genE9ELNS1_11target_archE1100ELNS1_3gpuE3ELNS1_3repE0EEENS1_36merge_oddeven_config_static_selectorELNS0_4arch9wavefront6targetE1EEEvSM_,comdat
	.globl	_ZN7rocprim17ROCPRIM_400000_NS6detail17trampoline_kernelINS0_14default_configENS1_38merge_sort_block_merge_config_selectorIlNS0_10empty_typeEEEZZNS1_27merge_sort_block_merge_implIS3_PlPS5_mZN2at6native12_GLOBAL__N_124unique_dim_cuda_templateIbEESt5tupleIJNSA_6TensorESF_SF_EERKSF_lbbbEUlllE_EE10hipError_tT0_T1_T2_jT3_P12ihipStream_tbPNSt15iterator_traitsISL_E10value_typeEPNSR_ISM_E10value_typeEPSN_NS1_7vsmem_tEENKUlT_SL_SM_SN_E_clIS8_S8_S9_S9_EESK_S10_SL_SM_SN_EUlS10_E1_NS1_11comp_targetILNS1_3genE9ELNS1_11target_archE1100ELNS1_3gpuE3ELNS1_3repE0EEENS1_36merge_oddeven_config_static_selectorELNS0_4arch9wavefront6targetE1EEEvSM_ ; -- Begin function _ZN7rocprim17ROCPRIM_400000_NS6detail17trampoline_kernelINS0_14default_configENS1_38merge_sort_block_merge_config_selectorIlNS0_10empty_typeEEEZZNS1_27merge_sort_block_merge_implIS3_PlPS5_mZN2at6native12_GLOBAL__N_124unique_dim_cuda_templateIbEESt5tupleIJNSA_6TensorESF_SF_EERKSF_lbbbEUlllE_EE10hipError_tT0_T1_T2_jT3_P12ihipStream_tbPNSt15iterator_traitsISL_E10value_typeEPNSR_ISM_E10value_typeEPSN_NS1_7vsmem_tEENKUlT_SL_SM_SN_E_clIS8_S8_S9_S9_EESK_S10_SL_SM_SN_EUlS10_E1_NS1_11comp_targetILNS1_3genE9ELNS1_11target_archE1100ELNS1_3gpuE3ELNS1_3repE0EEENS1_36merge_oddeven_config_static_selectorELNS0_4arch9wavefront6targetE1EEEvSM_
	.p2align	8
	.type	_ZN7rocprim17ROCPRIM_400000_NS6detail17trampoline_kernelINS0_14default_configENS1_38merge_sort_block_merge_config_selectorIlNS0_10empty_typeEEEZZNS1_27merge_sort_block_merge_implIS3_PlPS5_mZN2at6native12_GLOBAL__N_124unique_dim_cuda_templateIbEESt5tupleIJNSA_6TensorESF_SF_EERKSF_lbbbEUlllE_EE10hipError_tT0_T1_T2_jT3_P12ihipStream_tbPNSt15iterator_traitsISL_E10value_typeEPNSR_ISM_E10value_typeEPSN_NS1_7vsmem_tEENKUlT_SL_SM_SN_E_clIS8_S8_S9_S9_EESK_S10_SL_SM_SN_EUlS10_E1_NS1_11comp_targetILNS1_3genE9ELNS1_11target_archE1100ELNS1_3gpuE3ELNS1_3repE0EEENS1_36merge_oddeven_config_static_selectorELNS0_4arch9wavefront6targetE1EEEvSM_,@function
_ZN7rocprim17ROCPRIM_400000_NS6detail17trampoline_kernelINS0_14default_configENS1_38merge_sort_block_merge_config_selectorIlNS0_10empty_typeEEEZZNS1_27merge_sort_block_merge_implIS3_PlPS5_mZN2at6native12_GLOBAL__N_124unique_dim_cuda_templateIbEESt5tupleIJNSA_6TensorESF_SF_EERKSF_lbbbEUlllE_EE10hipError_tT0_T1_T2_jT3_P12ihipStream_tbPNSt15iterator_traitsISL_E10value_typeEPNSR_ISM_E10value_typeEPSN_NS1_7vsmem_tEENKUlT_SL_SM_SN_E_clIS8_S8_S9_S9_EESK_S10_SL_SM_SN_EUlS10_E1_NS1_11comp_targetILNS1_3genE9ELNS1_11target_archE1100ELNS1_3gpuE3ELNS1_3repE0EEENS1_36merge_oddeven_config_static_selectorELNS0_4arch9wavefront6targetE1EEEvSM_: ; @_ZN7rocprim17ROCPRIM_400000_NS6detail17trampoline_kernelINS0_14default_configENS1_38merge_sort_block_merge_config_selectorIlNS0_10empty_typeEEEZZNS1_27merge_sort_block_merge_implIS3_PlPS5_mZN2at6native12_GLOBAL__N_124unique_dim_cuda_templateIbEESt5tupleIJNSA_6TensorESF_SF_EERKSF_lbbbEUlllE_EE10hipError_tT0_T1_T2_jT3_P12ihipStream_tbPNSt15iterator_traitsISL_E10value_typeEPNSR_ISM_E10value_typeEPSN_NS1_7vsmem_tEENKUlT_SL_SM_SN_E_clIS8_S8_S9_S9_EESK_S10_SL_SM_SN_EUlS10_E1_NS1_11comp_targetILNS1_3genE9ELNS1_11target_archE1100ELNS1_3gpuE3ELNS1_3repE0EEENS1_36merge_oddeven_config_static_selectorELNS0_4arch9wavefront6targetE1EEEvSM_
; %bb.0:
	.section	.rodata,"a",@progbits
	.p2align	6, 0x0
	.amdhsa_kernel _ZN7rocprim17ROCPRIM_400000_NS6detail17trampoline_kernelINS0_14default_configENS1_38merge_sort_block_merge_config_selectorIlNS0_10empty_typeEEEZZNS1_27merge_sort_block_merge_implIS3_PlPS5_mZN2at6native12_GLOBAL__N_124unique_dim_cuda_templateIbEESt5tupleIJNSA_6TensorESF_SF_EERKSF_lbbbEUlllE_EE10hipError_tT0_T1_T2_jT3_P12ihipStream_tbPNSt15iterator_traitsISL_E10value_typeEPNSR_ISM_E10value_typeEPSN_NS1_7vsmem_tEENKUlT_SL_SM_SN_E_clIS8_S8_S9_S9_EESK_S10_SL_SM_SN_EUlS10_E1_NS1_11comp_targetILNS1_3genE9ELNS1_11target_archE1100ELNS1_3gpuE3ELNS1_3repE0EEENS1_36merge_oddeven_config_static_selectorELNS0_4arch9wavefront6targetE1EEEvSM_
		.amdhsa_group_segment_fixed_size 0
		.amdhsa_private_segment_fixed_size 0
		.amdhsa_kernarg_size 64
		.amdhsa_user_sgpr_count 2
		.amdhsa_user_sgpr_dispatch_ptr 0
		.amdhsa_user_sgpr_queue_ptr 0
		.amdhsa_user_sgpr_kernarg_segment_ptr 1
		.amdhsa_user_sgpr_dispatch_id 0
		.amdhsa_user_sgpr_kernarg_preload_length 0
		.amdhsa_user_sgpr_kernarg_preload_offset 0
		.amdhsa_user_sgpr_private_segment_size 0
		.amdhsa_uses_dynamic_stack 0
		.amdhsa_enable_private_segment 0
		.amdhsa_system_sgpr_workgroup_id_x 1
		.amdhsa_system_sgpr_workgroup_id_y 0
		.amdhsa_system_sgpr_workgroup_id_z 0
		.amdhsa_system_sgpr_workgroup_info 0
		.amdhsa_system_vgpr_workitem_id 0
		.amdhsa_next_free_vgpr 1
		.amdhsa_next_free_sgpr 0
		.amdhsa_accum_offset 4
		.amdhsa_reserve_vcc 0
		.amdhsa_float_round_mode_32 0
		.amdhsa_float_round_mode_16_64 0
		.amdhsa_float_denorm_mode_32 3
		.amdhsa_float_denorm_mode_16_64 3
		.amdhsa_dx10_clamp 1
		.amdhsa_ieee_mode 1
		.amdhsa_fp16_overflow 0
		.amdhsa_tg_split 0
		.amdhsa_exception_fp_ieee_invalid_op 0
		.amdhsa_exception_fp_denorm_src 0
		.amdhsa_exception_fp_ieee_div_zero 0
		.amdhsa_exception_fp_ieee_overflow 0
		.amdhsa_exception_fp_ieee_underflow 0
		.amdhsa_exception_fp_ieee_inexact 0
		.amdhsa_exception_int_div_zero 0
	.end_amdhsa_kernel
	.section	.text._ZN7rocprim17ROCPRIM_400000_NS6detail17trampoline_kernelINS0_14default_configENS1_38merge_sort_block_merge_config_selectorIlNS0_10empty_typeEEEZZNS1_27merge_sort_block_merge_implIS3_PlPS5_mZN2at6native12_GLOBAL__N_124unique_dim_cuda_templateIbEESt5tupleIJNSA_6TensorESF_SF_EERKSF_lbbbEUlllE_EE10hipError_tT0_T1_T2_jT3_P12ihipStream_tbPNSt15iterator_traitsISL_E10value_typeEPNSR_ISM_E10value_typeEPSN_NS1_7vsmem_tEENKUlT_SL_SM_SN_E_clIS8_S8_S9_S9_EESK_S10_SL_SM_SN_EUlS10_E1_NS1_11comp_targetILNS1_3genE9ELNS1_11target_archE1100ELNS1_3gpuE3ELNS1_3repE0EEENS1_36merge_oddeven_config_static_selectorELNS0_4arch9wavefront6targetE1EEEvSM_,"axG",@progbits,_ZN7rocprim17ROCPRIM_400000_NS6detail17trampoline_kernelINS0_14default_configENS1_38merge_sort_block_merge_config_selectorIlNS0_10empty_typeEEEZZNS1_27merge_sort_block_merge_implIS3_PlPS5_mZN2at6native12_GLOBAL__N_124unique_dim_cuda_templateIbEESt5tupleIJNSA_6TensorESF_SF_EERKSF_lbbbEUlllE_EE10hipError_tT0_T1_T2_jT3_P12ihipStream_tbPNSt15iterator_traitsISL_E10value_typeEPNSR_ISM_E10value_typeEPSN_NS1_7vsmem_tEENKUlT_SL_SM_SN_E_clIS8_S8_S9_S9_EESK_S10_SL_SM_SN_EUlS10_E1_NS1_11comp_targetILNS1_3genE9ELNS1_11target_archE1100ELNS1_3gpuE3ELNS1_3repE0EEENS1_36merge_oddeven_config_static_selectorELNS0_4arch9wavefront6targetE1EEEvSM_,comdat
.Lfunc_end1024:
	.size	_ZN7rocprim17ROCPRIM_400000_NS6detail17trampoline_kernelINS0_14default_configENS1_38merge_sort_block_merge_config_selectorIlNS0_10empty_typeEEEZZNS1_27merge_sort_block_merge_implIS3_PlPS5_mZN2at6native12_GLOBAL__N_124unique_dim_cuda_templateIbEESt5tupleIJNSA_6TensorESF_SF_EERKSF_lbbbEUlllE_EE10hipError_tT0_T1_T2_jT3_P12ihipStream_tbPNSt15iterator_traitsISL_E10value_typeEPNSR_ISM_E10value_typeEPSN_NS1_7vsmem_tEENKUlT_SL_SM_SN_E_clIS8_S8_S9_S9_EESK_S10_SL_SM_SN_EUlS10_E1_NS1_11comp_targetILNS1_3genE9ELNS1_11target_archE1100ELNS1_3gpuE3ELNS1_3repE0EEENS1_36merge_oddeven_config_static_selectorELNS0_4arch9wavefront6targetE1EEEvSM_, .Lfunc_end1024-_ZN7rocprim17ROCPRIM_400000_NS6detail17trampoline_kernelINS0_14default_configENS1_38merge_sort_block_merge_config_selectorIlNS0_10empty_typeEEEZZNS1_27merge_sort_block_merge_implIS3_PlPS5_mZN2at6native12_GLOBAL__N_124unique_dim_cuda_templateIbEESt5tupleIJNSA_6TensorESF_SF_EERKSF_lbbbEUlllE_EE10hipError_tT0_T1_T2_jT3_P12ihipStream_tbPNSt15iterator_traitsISL_E10value_typeEPNSR_ISM_E10value_typeEPSN_NS1_7vsmem_tEENKUlT_SL_SM_SN_E_clIS8_S8_S9_S9_EESK_S10_SL_SM_SN_EUlS10_E1_NS1_11comp_targetILNS1_3genE9ELNS1_11target_archE1100ELNS1_3gpuE3ELNS1_3repE0EEENS1_36merge_oddeven_config_static_selectorELNS0_4arch9wavefront6targetE1EEEvSM_
                                        ; -- End function
	.set _ZN7rocprim17ROCPRIM_400000_NS6detail17trampoline_kernelINS0_14default_configENS1_38merge_sort_block_merge_config_selectorIlNS0_10empty_typeEEEZZNS1_27merge_sort_block_merge_implIS3_PlPS5_mZN2at6native12_GLOBAL__N_124unique_dim_cuda_templateIbEESt5tupleIJNSA_6TensorESF_SF_EERKSF_lbbbEUlllE_EE10hipError_tT0_T1_T2_jT3_P12ihipStream_tbPNSt15iterator_traitsISL_E10value_typeEPNSR_ISM_E10value_typeEPSN_NS1_7vsmem_tEENKUlT_SL_SM_SN_E_clIS8_S8_S9_S9_EESK_S10_SL_SM_SN_EUlS10_E1_NS1_11comp_targetILNS1_3genE9ELNS1_11target_archE1100ELNS1_3gpuE3ELNS1_3repE0EEENS1_36merge_oddeven_config_static_selectorELNS0_4arch9wavefront6targetE1EEEvSM_.num_vgpr, 0
	.set _ZN7rocprim17ROCPRIM_400000_NS6detail17trampoline_kernelINS0_14default_configENS1_38merge_sort_block_merge_config_selectorIlNS0_10empty_typeEEEZZNS1_27merge_sort_block_merge_implIS3_PlPS5_mZN2at6native12_GLOBAL__N_124unique_dim_cuda_templateIbEESt5tupleIJNSA_6TensorESF_SF_EERKSF_lbbbEUlllE_EE10hipError_tT0_T1_T2_jT3_P12ihipStream_tbPNSt15iterator_traitsISL_E10value_typeEPNSR_ISM_E10value_typeEPSN_NS1_7vsmem_tEENKUlT_SL_SM_SN_E_clIS8_S8_S9_S9_EESK_S10_SL_SM_SN_EUlS10_E1_NS1_11comp_targetILNS1_3genE9ELNS1_11target_archE1100ELNS1_3gpuE3ELNS1_3repE0EEENS1_36merge_oddeven_config_static_selectorELNS0_4arch9wavefront6targetE1EEEvSM_.num_agpr, 0
	.set _ZN7rocprim17ROCPRIM_400000_NS6detail17trampoline_kernelINS0_14default_configENS1_38merge_sort_block_merge_config_selectorIlNS0_10empty_typeEEEZZNS1_27merge_sort_block_merge_implIS3_PlPS5_mZN2at6native12_GLOBAL__N_124unique_dim_cuda_templateIbEESt5tupleIJNSA_6TensorESF_SF_EERKSF_lbbbEUlllE_EE10hipError_tT0_T1_T2_jT3_P12ihipStream_tbPNSt15iterator_traitsISL_E10value_typeEPNSR_ISM_E10value_typeEPSN_NS1_7vsmem_tEENKUlT_SL_SM_SN_E_clIS8_S8_S9_S9_EESK_S10_SL_SM_SN_EUlS10_E1_NS1_11comp_targetILNS1_3genE9ELNS1_11target_archE1100ELNS1_3gpuE3ELNS1_3repE0EEENS1_36merge_oddeven_config_static_selectorELNS0_4arch9wavefront6targetE1EEEvSM_.numbered_sgpr, 0
	.set _ZN7rocprim17ROCPRIM_400000_NS6detail17trampoline_kernelINS0_14default_configENS1_38merge_sort_block_merge_config_selectorIlNS0_10empty_typeEEEZZNS1_27merge_sort_block_merge_implIS3_PlPS5_mZN2at6native12_GLOBAL__N_124unique_dim_cuda_templateIbEESt5tupleIJNSA_6TensorESF_SF_EERKSF_lbbbEUlllE_EE10hipError_tT0_T1_T2_jT3_P12ihipStream_tbPNSt15iterator_traitsISL_E10value_typeEPNSR_ISM_E10value_typeEPSN_NS1_7vsmem_tEENKUlT_SL_SM_SN_E_clIS8_S8_S9_S9_EESK_S10_SL_SM_SN_EUlS10_E1_NS1_11comp_targetILNS1_3genE9ELNS1_11target_archE1100ELNS1_3gpuE3ELNS1_3repE0EEENS1_36merge_oddeven_config_static_selectorELNS0_4arch9wavefront6targetE1EEEvSM_.num_named_barrier, 0
	.set _ZN7rocprim17ROCPRIM_400000_NS6detail17trampoline_kernelINS0_14default_configENS1_38merge_sort_block_merge_config_selectorIlNS0_10empty_typeEEEZZNS1_27merge_sort_block_merge_implIS3_PlPS5_mZN2at6native12_GLOBAL__N_124unique_dim_cuda_templateIbEESt5tupleIJNSA_6TensorESF_SF_EERKSF_lbbbEUlllE_EE10hipError_tT0_T1_T2_jT3_P12ihipStream_tbPNSt15iterator_traitsISL_E10value_typeEPNSR_ISM_E10value_typeEPSN_NS1_7vsmem_tEENKUlT_SL_SM_SN_E_clIS8_S8_S9_S9_EESK_S10_SL_SM_SN_EUlS10_E1_NS1_11comp_targetILNS1_3genE9ELNS1_11target_archE1100ELNS1_3gpuE3ELNS1_3repE0EEENS1_36merge_oddeven_config_static_selectorELNS0_4arch9wavefront6targetE1EEEvSM_.private_seg_size, 0
	.set _ZN7rocprim17ROCPRIM_400000_NS6detail17trampoline_kernelINS0_14default_configENS1_38merge_sort_block_merge_config_selectorIlNS0_10empty_typeEEEZZNS1_27merge_sort_block_merge_implIS3_PlPS5_mZN2at6native12_GLOBAL__N_124unique_dim_cuda_templateIbEESt5tupleIJNSA_6TensorESF_SF_EERKSF_lbbbEUlllE_EE10hipError_tT0_T1_T2_jT3_P12ihipStream_tbPNSt15iterator_traitsISL_E10value_typeEPNSR_ISM_E10value_typeEPSN_NS1_7vsmem_tEENKUlT_SL_SM_SN_E_clIS8_S8_S9_S9_EESK_S10_SL_SM_SN_EUlS10_E1_NS1_11comp_targetILNS1_3genE9ELNS1_11target_archE1100ELNS1_3gpuE3ELNS1_3repE0EEENS1_36merge_oddeven_config_static_selectorELNS0_4arch9wavefront6targetE1EEEvSM_.uses_vcc, 0
	.set _ZN7rocprim17ROCPRIM_400000_NS6detail17trampoline_kernelINS0_14default_configENS1_38merge_sort_block_merge_config_selectorIlNS0_10empty_typeEEEZZNS1_27merge_sort_block_merge_implIS3_PlPS5_mZN2at6native12_GLOBAL__N_124unique_dim_cuda_templateIbEESt5tupleIJNSA_6TensorESF_SF_EERKSF_lbbbEUlllE_EE10hipError_tT0_T1_T2_jT3_P12ihipStream_tbPNSt15iterator_traitsISL_E10value_typeEPNSR_ISM_E10value_typeEPSN_NS1_7vsmem_tEENKUlT_SL_SM_SN_E_clIS8_S8_S9_S9_EESK_S10_SL_SM_SN_EUlS10_E1_NS1_11comp_targetILNS1_3genE9ELNS1_11target_archE1100ELNS1_3gpuE3ELNS1_3repE0EEENS1_36merge_oddeven_config_static_selectorELNS0_4arch9wavefront6targetE1EEEvSM_.uses_flat_scratch, 0
	.set _ZN7rocprim17ROCPRIM_400000_NS6detail17trampoline_kernelINS0_14default_configENS1_38merge_sort_block_merge_config_selectorIlNS0_10empty_typeEEEZZNS1_27merge_sort_block_merge_implIS3_PlPS5_mZN2at6native12_GLOBAL__N_124unique_dim_cuda_templateIbEESt5tupleIJNSA_6TensorESF_SF_EERKSF_lbbbEUlllE_EE10hipError_tT0_T1_T2_jT3_P12ihipStream_tbPNSt15iterator_traitsISL_E10value_typeEPNSR_ISM_E10value_typeEPSN_NS1_7vsmem_tEENKUlT_SL_SM_SN_E_clIS8_S8_S9_S9_EESK_S10_SL_SM_SN_EUlS10_E1_NS1_11comp_targetILNS1_3genE9ELNS1_11target_archE1100ELNS1_3gpuE3ELNS1_3repE0EEENS1_36merge_oddeven_config_static_selectorELNS0_4arch9wavefront6targetE1EEEvSM_.has_dyn_sized_stack, 0
	.set _ZN7rocprim17ROCPRIM_400000_NS6detail17trampoline_kernelINS0_14default_configENS1_38merge_sort_block_merge_config_selectorIlNS0_10empty_typeEEEZZNS1_27merge_sort_block_merge_implIS3_PlPS5_mZN2at6native12_GLOBAL__N_124unique_dim_cuda_templateIbEESt5tupleIJNSA_6TensorESF_SF_EERKSF_lbbbEUlllE_EE10hipError_tT0_T1_T2_jT3_P12ihipStream_tbPNSt15iterator_traitsISL_E10value_typeEPNSR_ISM_E10value_typeEPSN_NS1_7vsmem_tEENKUlT_SL_SM_SN_E_clIS8_S8_S9_S9_EESK_S10_SL_SM_SN_EUlS10_E1_NS1_11comp_targetILNS1_3genE9ELNS1_11target_archE1100ELNS1_3gpuE3ELNS1_3repE0EEENS1_36merge_oddeven_config_static_selectorELNS0_4arch9wavefront6targetE1EEEvSM_.has_recursion, 0
	.set _ZN7rocprim17ROCPRIM_400000_NS6detail17trampoline_kernelINS0_14default_configENS1_38merge_sort_block_merge_config_selectorIlNS0_10empty_typeEEEZZNS1_27merge_sort_block_merge_implIS3_PlPS5_mZN2at6native12_GLOBAL__N_124unique_dim_cuda_templateIbEESt5tupleIJNSA_6TensorESF_SF_EERKSF_lbbbEUlllE_EE10hipError_tT0_T1_T2_jT3_P12ihipStream_tbPNSt15iterator_traitsISL_E10value_typeEPNSR_ISM_E10value_typeEPSN_NS1_7vsmem_tEENKUlT_SL_SM_SN_E_clIS8_S8_S9_S9_EESK_S10_SL_SM_SN_EUlS10_E1_NS1_11comp_targetILNS1_3genE9ELNS1_11target_archE1100ELNS1_3gpuE3ELNS1_3repE0EEENS1_36merge_oddeven_config_static_selectorELNS0_4arch9wavefront6targetE1EEEvSM_.has_indirect_call, 0
	.section	.AMDGPU.csdata,"",@progbits
; Kernel info:
; codeLenInByte = 0
; TotalNumSgprs: 6
; NumVgprs: 0
; NumAgprs: 0
; TotalNumVgprs: 0
; ScratchSize: 0
; MemoryBound: 0
; FloatMode: 240
; IeeeMode: 1
; LDSByteSize: 0 bytes/workgroup (compile time only)
; SGPRBlocks: 0
; VGPRBlocks: 0
; NumSGPRsForWavesPerEU: 6
; NumVGPRsForWavesPerEU: 1
; AccumOffset: 4
; Occupancy: 8
; WaveLimiterHint : 0
; COMPUTE_PGM_RSRC2:SCRATCH_EN: 0
; COMPUTE_PGM_RSRC2:USER_SGPR: 2
; COMPUTE_PGM_RSRC2:TRAP_HANDLER: 0
; COMPUTE_PGM_RSRC2:TGID_X_EN: 1
; COMPUTE_PGM_RSRC2:TGID_Y_EN: 0
; COMPUTE_PGM_RSRC2:TGID_Z_EN: 0
; COMPUTE_PGM_RSRC2:TIDIG_COMP_CNT: 0
; COMPUTE_PGM_RSRC3_GFX90A:ACCUM_OFFSET: 0
; COMPUTE_PGM_RSRC3_GFX90A:TG_SPLIT: 0
	.section	.text._ZN7rocprim17ROCPRIM_400000_NS6detail17trampoline_kernelINS0_14default_configENS1_38merge_sort_block_merge_config_selectorIlNS0_10empty_typeEEEZZNS1_27merge_sort_block_merge_implIS3_PlPS5_mZN2at6native12_GLOBAL__N_124unique_dim_cuda_templateIbEESt5tupleIJNSA_6TensorESF_SF_EERKSF_lbbbEUlllE_EE10hipError_tT0_T1_T2_jT3_P12ihipStream_tbPNSt15iterator_traitsISL_E10value_typeEPNSR_ISM_E10value_typeEPSN_NS1_7vsmem_tEENKUlT_SL_SM_SN_E_clIS8_S8_S9_S9_EESK_S10_SL_SM_SN_EUlS10_E1_NS1_11comp_targetILNS1_3genE8ELNS1_11target_archE1030ELNS1_3gpuE2ELNS1_3repE0EEENS1_36merge_oddeven_config_static_selectorELNS0_4arch9wavefront6targetE1EEEvSM_,"axG",@progbits,_ZN7rocprim17ROCPRIM_400000_NS6detail17trampoline_kernelINS0_14default_configENS1_38merge_sort_block_merge_config_selectorIlNS0_10empty_typeEEEZZNS1_27merge_sort_block_merge_implIS3_PlPS5_mZN2at6native12_GLOBAL__N_124unique_dim_cuda_templateIbEESt5tupleIJNSA_6TensorESF_SF_EERKSF_lbbbEUlllE_EE10hipError_tT0_T1_T2_jT3_P12ihipStream_tbPNSt15iterator_traitsISL_E10value_typeEPNSR_ISM_E10value_typeEPSN_NS1_7vsmem_tEENKUlT_SL_SM_SN_E_clIS8_S8_S9_S9_EESK_S10_SL_SM_SN_EUlS10_E1_NS1_11comp_targetILNS1_3genE8ELNS1_11target_archE1030ELNS1_3gpuE2ELNS1_3repE0EEENS1_36merge_oddeven_config_static_selectorELNS0_4arch9wavefront6targetE1EEEvSM_,comdat
	.globl	_ZN7rocprim17ROCPRIM_400000_NS6detail17trampoline_kernelINS0_14default_configENS1_38merge_sort_block_merge_config_selectorIlNS0_10empty_typeEEEZZNS1_27merge_sort_block_merge_implIS3_PlPS5_mZN2at6native12_GLOBAL__N_124unique_dim_cuda_templateIbEESt5tupleIJNSA_6TensorESF_SF_EERKSF_lbbbEUlllE_EE10hipError_tT0_T1_T2_jT3_P12ihipStream_tbPNSt15iterator_traitsISL_E10value_typeEPNSR_ISM_E10value_typeEPSN_NS1_7vsmem_tEENKUlT_SL_SM_SN_E_clIS8_S8_S9_S9_EESK_S10_SL_SM_SN_EUlS10_E1_NS1_11comp_targetILNS1_3genE8ELNS1_11target_archE1030ELNS1_3gpuE2ELNS1_3repE0EEENS1_36merge_oddeven_config_static_selectorELNS0_4arch9wavefront6targetE1EEEvSM_ ; -- Begin function _ZN7rocprim17ROCPRIM_400000_NS6detail17trampoline_kernelINS0_14default_configENS1_38merge_sort_block_merge_config_selectorIlNS0_10empty_typeEEEZZNS1_27merge_sort_block_merge_implIS3_PlPS5_mZN2at6native12_GLOBAL__N_124unique_dim_cuda_templateIbEESt5tupleIJNSA_6TensorESF_SF_EERKSF_lbbbEUlllE_EE10hipError_tT0_T1_T2_jT3_P12ihipStream_tbPNSt15iterator_traitsISL_E10value_typeEPNSR_ISM_E10value_typeEPSN_NS1_7vsmem_tEENKUlT_SL_SM_SN_E_clIS8_S8_S9_S9_EESK_S10_SL_SM_SN_EUlS10_E1_NS1_11comp_targetILNS1_3genE8ELNS1_11target_archE1030ELNS1_3gpuE2ELNS1_3repE0EEENS1_36merge_oddeven_config_static_selectorELNS0_4arch9wavefront6targetE1EEEvSM_
	.p2align	8
	.type	_ZN7rocprim17ROCPRIM_400000_NS6detail17trampoline_kernelINS0_14default_configENS1_38merge_sort_block_merge_config_selectorIlNS0_10empty_typeEEEZZNS1_27merge_sort_block_merge_implIS3_PlPS5_mZN2at6native12_GLOBAL__N_124unique_dim_cuda_templateIbEESt5tupleIJNSA_6TensorESF_SF_EERKSF_lbbbEUlllE_EE10hipError_tT0_T1_T2_jT3_P12ihipStream_tbPNSt15iterator_traitsISL_E10value_typeEPNSR_ISM_E10value_typeEPSN_NS1_7vsmem_tEENKUlT_SL_SM_SN_E_clIS8_S8_S9_S9_EESK_S10_SL_SM_SN_EUlS10_E1_NS1_11comp_targetILNS1_3genE8ELNS1_11target_archE1030ELNS1_3gpuE2ELNS1_3repE0EEENS1_36merge_oddeven_config_static_selectorELNS0_4arch9wavefront6targetE1EEEvSM_,@function
_ZN7rocprim17ROCPRIM_400000_NS6detail17trampoline_kernelINS0_14default_configENS1_38merge_sort_block_merge_config_selectorIlNS0_10empty_typeEEEZZNS1_27merge_sort_block_merge_implIS3_PlPS5_mZN2at6native12_GLOBAL__N_124unique_dim_cuda_templateIbEESt5tupleIJNSA_6TensorESF_SF_EERKSF_lbbbEUlllE_EE10hipError_tT0_T1_T2_jT3_P12ihipStream_tbPNSt15iterator_traitsISL_E10value_typeEPNSR_ISM_E10value_typeEPSN_NS1_7vsmem_tEENKUlT_SL_SM_SN_E_clIS8_S8_S9_S9_EESK_S10_SL_SM_SN_EUlS10_E1_NS1_11comp_targetILNS1_3genE8ELNS1_11target_archE1030ELNS1_3gpuE2ELNS1_3repE0EEENS1_36merge_oddeven_config_static_selectorELNS0_4arch9wavefront6targetE1EEEvSM_: ; @_ZN7rocprim17ROCPRIM_400000_NS6detail17trampoline_kernelINS0_14default_configENS1_38merge_sort_block_merge_config_selectorIlNS0_10empty_typeEEEZZNS1_27merge_sort_block_merge_implIS3_PlPS5_mZN2at6native12_GLOBAL__N_124unique_dim_cuda_templateIbEESt5tupleIJNSA_6TensorESF_SF_EERKSF_lbbbEUlllE_EE10hipError_tT0_T1_T2_jT3_P12ihipStream_tbPNSt15iterator_traitsISL_E10value_typeEPNSR_ISM_E10value_typeEPSN_NS1_7vsmem_tEENKUlT_SL_SM_SN_E_clIS8_S8_S9_S9_EESK_S10_SL_SM_SN_EUlS10_E1_NS1_11comp_targetILNS1_3genE8ELNS1_11target_archE1030ELNS1_3gpuE2ELNS1_3repE0EEENS1_36merge_oddeven_config_static_selectorELNS0_4arch9wavefront6targetE1EEEvSM_
; %bb.0:
	.section	.rodata,"a",@progbits
	.p2align	6, 0x0
	.amdhsa_kernel _ZN7rocprim17ROCPRIM_400000_NS6detail17trampoline_kernelINS0_14default_configENS1_38merge_sort_block_merge_config_selectorIlNS0_10empty_typeEEEZZNS1_27merge_sort_block_merge_implIS3_PlPS5_mZN2at6native12_GLOBAL__N_124unique_dim_cuda_templateIbEESt5tupleIJNSA_6TensorESF_SF_EERKSF_lbbbEUlllE_EE10hipError_tT0_T1_T2_jT3_P12ihipStream_tbPNSt15iterator_traitsISL_E10value_typeEPNSR_ISM_E10value_typeEPSN_NS1_7vsmem_tEENKUlT_SL_SM_SN_E_clIS8_S8_S9_S9_EESK_S10_SL_SM_SN_EUlS10_E1_NS1_11comp_targetILNS1_3genE8ELNS1_11target_archE1030ELNS1_3gpuE2ELNS1_3repE0EEENS1_36merge_oddeven_config_static_selectorELNS0_4arch9wavefront6targetE1EEEvSM_
		.amdhsa_group_segment_fixed_size 0
		.amdhsa_private_segment_fixed_size 0
		.amdhsa_kernarg_size 64
		.amdhsa_user_sgpr_count 2
		.amdhsa_user_sgpr_dispatch_ptr 0
		.amdhsa_user_sgpr_queue_ptr 0
		.amdhsa_user_sgpr_kernarg_segment_ptr 1
		.amdhsa_user_sgpr_dispatch_id 0
		.amdhsa_user_sgpr_kernarg_preload_length 0
		.amdhsa_user_sgpr_kernarg_preload_offset 0
		.amdhsa_user_sgpr_private_segment_size 0
		.amdhsa_uses_dynamic_stack 0
		.amdhsa_enable_private_segment 0
		.amdhsa_system_sgpr_workgroup_id_x 1
		.amdhsa_system_sgpr_workgroup_id_y 0
		.amdhsa_system_sgpr_workgroup_id_z 0
		.amdhsa_system_sgpr_workgroup_info 0
		.amdhsa_system_vgpr_workitem_id 0
		.amdhsa_next_free_vgpr 1
		.amdhsa_next_free_sgpr 0
		.amdhsa_accum_offset 4
		.amdhsa_reserve_vcc 0
		.amdhsa_float_round_mode_32 0
		.amdhsa_float_round_mode_16_64 0
		.amdhsa_float_denorm_mode_32 3
		.amdhsa_float_denorm_mode_16_64 3
		.amdhsa_dx10_clamp 1
		.amdhsa_ieee_mode 1
		.amdhsa_fp16_overflow 0
		.amdhsa_tg_split 0
		.amdhsa_exception_fp_ieee_invalid_op 0
		.amdhsa_exception_fp_denorm_src 0
		.amdhsa_exception_fp_ieee_div_zero 0
		.amdhsa_exception_fp_ieee_overflow 0
		.amdhsa_exception_fp_ieee_underflow 0
		.amdhsa_exception_fp_ieee_inexact 0
		.amdhsa_exception_int_div_zero 0
	.end_amdhsa_kernel
	.section	.text._ZN7rocprim17ROCPRIM_400000_NS6detail17trampoline_kernelINS0_14default_configENS1_38merge_sort_block_merge_config_selectorIlNS0_10empty_typeEEEZZNS1_27merge_sort_block_merge_implIS3_PlPS5_mZN2at6native12_GLOBAL__N_124unique_dim_cuda_templateIbEESt5tupleIJNSA_6TensorESF_SF_EERKSF_lbbbEUlllE_EE10hipError_tT0_T1_T2_jT3_P12ihipStream_tbPNSt15iterator_traitsISL_E10value_typeEPNSR_ISM_E10value_typeEPSN_NS1_7vsmem_tEENKUlT_SL_SM_SN_E_clIS8_S8_S9_S9_EESK_S10_SL_SM_SN_EUlS10_E1_NS1_11comp_targetILNS1_3genE8ELNS1_11target_archE1030ELNS1_3gpuE2ELNS1_3repE0EEENS1_36merge_oddeven_config_static_selectorELNS0_4arch9wavefront6targetE1EEEvSM_,"axG",@progbits,_ZN7rocprim17ROCPRIM_400000_NS6detail17trampoline_kernelINS0_14default_configENS1_38merge_sort_block_merge_config_selectorIlNS0_10empty_typeEEEZZNS1_27merge_sort_block_merge_implIS3_PlPS5_mZN2at6native12_GLOBAL__N_124unique_dim_cuda_templateIbEESt5tupleIJNSA_6TensorESF_SF_EERKSF_lbbbEUlllE_EE10hipError_tT0_T1_T2_jT3_P12ihipStream_tbPNSt15iterator_traitsISL_E10value_typeEPNSR_ISM_E10value_typeEPSN_NS1_7vsmem_tEENKUlT_SL_SM_SN_E_clIS8_S8_S9_S9_EESK_S10_SL_SM_SN_EUlS10_E1_NS1_11comp_targetILNS1_3genE8ELNS1_11target_archE1030ELNS1_3gpuE2ELNS1_3repE0EEENS1_36merge_oddeven_config_static_selectorELNS0_4arch9wavefront6targetE1EEEvSM_,comdat
.Lfunc_end1025:
	.size	_ZN7rocprim17ROCPRIM_400000_NS6detail17trampoline_kernelINS0_14default_configENS1_38merge_sort_block_merge_config_selectorIlNS0_10empty_typeEEEZZNS1_27merge_sort_block_merge_implIS3_PlPS5_mZN2at6native12_GLOBAL__N_124unique_dim_cuda_templateIbEESt5tupleIJNSA_6TensorESF_SF_EERKSF_lbbbEUlllE_EE10hipError_tT0_T1_T2_jT3_P12ihipStream_tbPNSt15iterator_traitsISL_E10value_typeEPNSR_ISM_E10value_typeEPSN_NS1_7vsmem_tEENKUlT_SL_SM_SN_E_clIS8_S8_S9_S9_EESK_S10_SL_SM_SN_EUlS10_E1_NS1_11comp_targetILNS1_3genE8ELNS1_11target_archE1030ELNS1_3gpuE2ELNS1_3repE0EEENS1_36merge_oddeven_config_static_selectorELNS0_4arch9wavefront6targetE1EEEvSM_, .Lfunc_end1025-_ZN7rocprim17ROCPRIM_400000_NS6detail17trampoline_kernelINS0_14default_configENS1_38merge_sort_block_merge_config_selectorIlNS0_10empty_typeEEEZZNS1_27merge_sort_block_merge_implIS3_PlPS5_mZN2at6native12_GLOBAL__N_124unique_dim_cuda_templateIbEESt5tupleIJNSA_6TensorESF_SF_EERKSF_lbbbEUlllE_EE10hipError_tT0_T1_T2_jT3_P12ihipStream_tbPNSt15iterator_traitsISL_E10value_typeEPNSR_ISM_E10value_typeEPSN_NS1_7vsmem_tEENKUlT_SL_SM_SN_E_clIS8_S8_S9_S9_EESK_S10_SL_SM_SN_EUlS10_E1_NS1_11comp_targetILNS1_3genE8ELNS1_11target_archE1030ELNS1_3gpuE2ELNS1_3repE0EEENS1_36merge_oddeven_config_static_selectorELNS0_4arch9wavefront6targetE1EEEvSM_
                                        ; -- End function
	.set _ZN7rocprim17ROCPRIM_400000_NS6detail17trampoline_kernelINS0_14default_configENS1_38merge_sort_block_merge_config_selectorIlNS0_10empty_typeEEEZZNS1_27merge_sort_block_merge_implIS3_PlPS5_mZN2at6native12_GLOBAL__N_124unique_dim_cuda_templateIbEESt5tupleIJNSA_6TensorESF_SF_EERKSF_lbbbEUlllE_EE10hipError_tT0_T1_T2_jT3_P12ihipStream_tbPNSt15iterator_traitsISL_E10value_typeEPNSR_ISM_E10value_typeEPSN_NS1_7vsmem_tEENKUlT_SL_SM_SN_E_clIS8_S8_S9_S9_EESK_S10_SL_SM_SN_EUlS10_E1_NS1_11comp_targetILNS1_3genE8ELNS1_11target_archE1030ELNS1_3gpuE2ELNS1_3repE0EEENS1_36merge_oddeven_config_static_selectorELNS0_4arch9wavefront6targetE1EEEvSM_.num_vgpr, 0
	.set _ZN7rocprim17ROCPRIM_400000_NS6detail17trampoline_kernelINS0_14default_configENS1_38merge_sort_block_merge_config_selectorIlNS0_10empty_typeEEEZZNS1_27merge_sort_block_merge_implIS3_PlPS5_mZN2at6native12_GLOBAL__N_124unique_dim_cuda_templateIbEESt5tupleIJNSA_6TensorESF_SF_EERKSF_lbbbEUlllE_EE10hipError_tT0_T1_T2_jT3_P12ihipStream_tbPNSt15iterator_traitsISL_E10value_typeEPNSR_ISM_E10value_typeEPSN_NS1_7vsmem_tEENKUlT_SL_SM_SN_E_clIS8_S8_S9_S9_EESK_S10_SL_SM_SN_EUlS10_E1_NS1_11comp_targetILNS1_3genE8ELNS1_11target_archE1030ELNS1_3gpuE2ELNS1_3repE0EEENS1_36merge_oddeven_config_static_selectorELNS0_4arch9wavefront6targetE1EEEvSM_.num_agpr, 0
	.set _ZN7rocprim17ROCPRIM_400000_NS6detail17trampoline_kernelINS0_14default_configENS1_38merge_sort_block_merge_config_selectorIlNS0_10empty_typeEEEZZNS1_27merge_sort_block_merge_implIS3_PlPS5_mZN2at6native12_GLOBAL__N_124unique_dim_cuda_templateIbEESt5tupleIJNSA_6TensorESF_SF_EERKSF_lbbbEUlllE_EE10hipError_tT0_T1_T2_jT3_P12ihipStream_tbPNSt15iterator_traitsISL_E10value_typeEPNSR_ISM_E10value_typeEPSN_NS1_7vsmem_tEENKUlT_SL_SM_SN_E_clIS8_S8_S9_S9_EESK_S10_SL_SM_SN_EUlS10_E1_NS1_11comp_targetILNS1_3genE8ELNS1_11target_archE1030ELNS1_3gpuE2ELNS1_3repE0EEENS1_36merge_oddeven_config_static_selectorELNS0_4arch9wavefront6targetE1EEEvSM_.numbered_sgpr, 0
	.set _ZN7rocprim17ROCPRIM_400000_NS6detail17trampoline_kernelINS0_14default_configENS1_38merge_sort_block_merge_config_selectorIlNS0_10empty_typeEEEZZNS1_27merge_sort_block_merge_implIS3_PlPS5_mZN2at6native12_GLOBAL__N_124unique_dim_cuda_templateIbEESt5tupleIJNSA_6TensorESF_SF_EERKSF_lbbbEUlllE_EE10hipError_tT0_T1_T2_jT3_P12ihipStream_tbPNSt15iterator_traitsISL_E10value_typeEPNSR_ISM_E10value_typeEPSN_NS1_7vsmem_tEENKUlT_SL_SM_SN_E_clIS8_S8_S9_S9_EESK_S10_SL_SM_SN_EUlS10_E1_NS1_11comp_targetILNS1_3genE8ELNS1_11target_archE1030ELNS1_3gpuE2ELNS1_3repE0EEENS1_36merge_oddeven_config_static_selectorELNS0_4arch9wavefront6targetE1EEEvSM_.num_named_barrier, 0
	.set _ZN7rocprim17ROCPRIM_400000_NS6detail17trampoline_kernelINS0_14default_configENS1_38merge_sort_block_merge_config_selectorIlNS0_10empty_typeEEEZZNS1_27merge_sort_block_merge_implIS3_PlPS5_mZN2at6native12_GLOBAL__N_124unique_dim_cuda_templateIbEESt5tupleIJNSA_6TensorESF_SF_EERKSF_lbbbEUlllE_EE10hipError_tT0_T1_T2_jT3_P12ihipStream_tbPNSt15iterator_traitsISL_E10value_typeEPNSR_ISM_E10value_typeEPSN_NS1_7vsmem_tEENKUlT_SL_SM_SN_E_clIS8_S8_S9_S9_EESK_S10_SL_SM_SN_EUlS10_E1_NS1_11comp_targetILNS1_3genE8ELNS1_11target_archE1030ELNS1_3gpuE2ELNS1_3repE0EEENS1_36merge_oddeven_config_static_selectorELNS0_4arch9wavefront6targetE1EEEvSM_.private_seg_size, 0
	.set _ZN7rocprim17ROCPRIM_400000_NS6detail17trampoline_kernelINS0_14default_configENS1_38merge_sort_block_merge_config_selectorIlNS0_10empty_typeEEEZZNS1_27merge_sort_block_merge_implIS3_PlPS5_mZN2at6native12_GLOBAL__N_124unique_dim_cuda_templateIbEESt5tupleIJNSA_6TensorESF_SF_EERKSF_lbbbEUlllE_EE10hipError_tT0_T1_T2_jT3_P12ihipStream_tbPNSt15iterator_traitsISL_E10value_typeEPNSR_ISM_E10value_typeEPSN_NS1_7vsmem_tEENKUlT_SL_SM_SN_E_clIS8_S8_S9_S9_EESK_S10_SL_SM_SN_EUlS10_E1_NS1_11comp_targetILNS1_3genE8ELNS1_11target_archE1030ELNS1_3gpuE2ELNS1_3repE0EEENS1_36merge_oddeven_config_static_selectorELNS0_4arch9wavefront6targetE1EEEvSM_.uses_vcc, 0
	.set _ZN7rocprim17ROCPRIM_400000_NS6detail17trampoline_kernelINS0_14default_configENS1_38merge_sort_block_merge_config_selectorIlNS0_10empty_typeEEEZZNS1_27merge_sort_block_merge_implIS3_PlPS5_mZN2at6native12_GLOBAL__N_124unique_dim_cuda_templateIbEESt5tupleIJNSA_6TensorESF_SF_EERKSF_lbbbEUlllE_EE10hipError_tT0_T1_T2_jT3_P12ihipStream_tbPNSt15iterator_traitsISL_E10value_typeEPNSR_ISM_E10value_typeEPSN_NS1_7vsmem_tEENKUlT_SL_SM_SN_E_clIS8_S8_S9_S9_EESK_S10_SL_SM_SN_EUlS10_E1_NS1_11comp_targetILNS1_3genE8ELNS1_11target_archE1030ELNS1_3gpuE2ELNS1_3repE0EEENS1_36merge_oddeven_config_static_selectorELNS0_4arch9wavefront6targetE1EEEvSM_.uses_flat_scratch, 0
	.set _ZN7rocprim17ROCPRIM_400000_NS6detail17trampoline_kernelINS0_14default_configENS1_38merge_sort_block_merge_config_selectorIlNS0_10empty_typeEEEZZNS1_27merge_sort_block_merge_implIS3_PlPS5_mZN2at6native12_GLOBAL__N_124unique_dim_cuda_templateIbEESt5tupleIJNSA_6TensorESF_SF_EERKSF_lbbbEUlllE_EE10hipError_tT0_T1_T2_jT3_P12ihipStream_tbPNSt15iterator_traitsISL_E10value_typeEPNSR_ISM_E10value_typeEPSN_NS1_7vsmem_tEENKUlT_SL_SM_SN_E_clIS8_S8_S9_S9_EESK_S10_SL_SM_SN_EUlS10_E1_NS1_11comp_targetILNS1_3genE8ELNS1_11target_archE1030ELNS1_3gpuE2ELNS1_3repE0EEENS1_36merge_oddeven_config_static_selectorELNS0_4arch9wavefront6targetE1EEEvSM_.has_dyn_sized_stack, 0
	.set _ZN7rocprim17ROCPRIM_400000_NS6detail17trampoline_kernelINS0_14default_configENS1_38merge_sort_block_merge_config_selectorIlNS0_10empty_typeEEEZZNS1_27merge_sort_block_merge_implIS3_PlPS5_mZN2at6native12_GLOBAL__N_124unique_dim_cuda_templateIbEESt5tupleIJNSA_6TensorESF_SF_EERKSF_lbbbEUlllE_EE10hipError_tT0_T1_T2_jT3_P12ihipStream_tbPNSt15iterator_traitsISL_E10value_typeEPNSR_ISM_E10value_typeEPSN_NS1_7vsmem_tEENKUlT_SL_SM_SN_E_clIS8_S8_S9_S9_EESK_S10_SL_SM_SN_EUlS10_E1_NS1_11comp_targetILNS1_3genE8ELNS1_11target_archE1030ELNS1_3gpuE2ELNS1_3repE0EEENS1_36merge_oddeven_config_static_selectorELNS0_4arch9wavefront6targetE1EEEvSM_.has_recursion, 0
	.set _ZN7rocprim17ROCPRIM_400000_NS6detail17trampoline_kernelINS0_14default_configENS1_38merge_sort_block_merge_config_selectorIlNS0_10empty_typeEEEZZNS1_27merge_sort_block_merge_implIS3_PlPS5_mZN2at6native12_GLOBAL__N_124unique_dim_cuda_templateIbEESt5tupleIJNSA_6TensorESF_SF_EERKSF_lbbbEUlllE_EE10hipError_tT0_T1_T2_jT3_P12ihipStream_tbPNSt15iterator_traitsISL_E10value_typeEPNSR_ISM_E10value_typeEPSN_NS1_7vsmem_tEENKUlT_SL_SM_SN_E_clIS8_S8_S9_S9_EESK_S10_SL_SM_SN_EUlS10_E1_NS1_11comp_targetILNS1_3genE8ELNS1_11target_archE1030ELNS1_3gpuE2ELNS1_3repE0EEENS1_36merge_oddeven_config_static_selectorELNS0_4arch9wavefront6targetE1EEEvSM_.has_indirect_call, 0
	.section	.AMDGPU.csdata,"",@progbits
; Kernel info:
; codeLenInByte = 0
; TotalNumSgprs: 6
; NumVgprs: 0
; NumAgprs: 0
; TotalNumVgprs: 0
; ScratchSize: 0
; MemoryBound: 0
; FloatMode: 240
; IeeeMode: 1
; LDSByteSize: 0 bytes/workgroup (compile time only)
; SGPRBlocks: 0
; VGPRBlocks: 0
; NumSGPRsForWavesPerEU: 6
; NumVGPRsForWavesPerEU: 1
; AccumOffset: 4
; Occupancy: 8
; WaveLimiterHint : 0
; COMPUTE_PGM_RSRC2:SCRATCH_EN: 0
; COMPUTE_PGM_RSRC2:USER_SGPR: 2
; COMPUTE_PGM_RSRC2:TRAP_HANDLER: 0
; COMPUTE_PGM_RSRC2:TGID_X_EN: 1
; COMPUTE_PGM_RSRC2:TGID_Y_EN: 0
; COMPUTE_PGM_RSRC2:TGID_Z_EN: 0
; COMPUTE_PGM_RSRC2:TIDIG_COMP_CNT: 0
; COMPUTE_PGM_RSRC3_GFX90A:ACCUM_OFFSET: 0
; COMPUTE_PGM_RSRC3_GFX90A:TG_SPLIT: 0
	.section	.text._ZN7rocprim17ROCPRIM_400000_NS6detail17trampoline_kernelINS0_14default_configENS1_35adjacent_difference_config_selectorILb0ElEEZNS1_24adjacent_difference_implIS3_Lb0ELb0EPlS7_ZN2at6native12_GLOBAL__N_124unique_dim_cuda_templateIbEESt5tupleIJNS8_6TensorESD_SD_EERKSD_lbbbEUlllE1_EE10hipError_tPvRmT2_T3_mT4_P12ihipStream_tbEUlT_E_NS1_11comp_targetILNS1_3genE0ELNS1_11target_archE4294967295ELNS1_3gpuE0ELNS1_3repE0EEENS1_30default_config_static_selectorELNS0_4arch9wavefront6targetE1EEEvT1_,"axG",@progbits,_ZN7rocprim17ROCPRIM_400000_NS6detail17trampoline_kernelINS0_14default_configENS1_35adjacent_difference_config_selectorILb0ElEEZNS1_24adjacent_difference_implIS3_Lb0ELb0EPlS7_ZN2at6native12_GLOBAL__N_124unique_dim_cuda_templateIbEESt5tupleIJNS8_6TensorESD_SD_EERKSD_lbbbEUlllE1_EE10hipError_tPvRmT2_T3_mT4_P12ihipStream_tbEUlT_E_NS1_11comp_targetILNS1_3genE0ELNS1_11target_archE4294967295ELNS1_3gpuE0ELNS1_3repE0EEENS1_30default_config_static_selectorELNS0_4arch9wavefront6targetE1EEEvT1_,comdat
	.globl	_ZN7rocprim17ROCPRIM_400000_NS6detail17trampoline_kernelINS0_14default_configENS1_35adjacent_difference_config_selectorILb0ElEEZNS1_24adjacent_difference_implIS3_Lb0ELb0EPlS7_ZN2at6native12_GLOBAL__N_124unique_dim_cuda_templateIbEESt5tupleIJNS8_6TensorESD_SD_EERKSD_lbbbEUlllE1_EE10hipError_tPvRmT2_T3_mT4_P12ihipStream_tbEUlT_E_NS1_11comp_targetILNS1_3genE0ELNS1_11target_archE4294967295ELNS1_3gpuE0ELNS1_3repE0EEENS1_30default_config_static_selectorELNS0_4arch9wavefront6targetE1EEEvT1_ ; -- Begin function _ZN7rocprim17ROCPRIM_400000_NS6detail17trampoline_kernelINS0_14default_configENS1_35adjacent_difference_config_selectorILb0ElEEZNS1_24adjacent_difference_implIS3_Lb0ELb0EPlS7_ZN2at6native12_GLOBAL__N_124unique_dim_cuda_templateIbEESt5tupleIJNS8_6TensorESD_SD_EERKSD_lbbbEUlllE1_EE10hipError_tPvRmT2_T3_mT4_P12ihipStream_tbEUlT_E_NS1_11comp_targetILNS1_3genE0ELNS1_11target_archE4294967295ELNS1_3gpuE0ELNS1_3repE0EEENS1_30default_config_static_selectorELNS0_4arch9wavefront6targetE1EEEvT1_
	.p2align	8
	.type	_ZN7rocprim17ROCPRIM_400000_NS6detail17trampoline_kernelINS0_14default_configENS1_35adjacent_difference_config_selectorILb0ElEEZNS1_24adjacent_difference_implIS3_Lb0ELb0EPlS7_ZN2at6native12_GLOBAL__N_124unique_dim_cuda_templateIbEESt5tupleIJNS8_6TensorESD_SD_EERKSD_lbbbEUlllE1_EE10hipError_tPvRmT2_T3_mT4_P12ihipStream_tbEUlT_E_NS1_11comp_targetILNS1_3genE0ELNS1_11target_archE4294967295ELNS1_3gpuE0ELNS1_3repE0EEENS1_30default_config_static_selectorELNS0_4arch9wavefront6targetE1EEEvT1_,@function
_ZN7rocprim17ROCPRIM_400000_NS6detail17trampoline_kernelINS0_14default_configENS1_35adjacent_difference_config_selectorILb0ElEEZNS1_24adjacent_difference_implIS3_Lb0ELb0EPlS7_ZN2at6native12_GLOBAL__N_124unique_dim_cuda_templateIbEESt5tupleIJNS8_6TensorESD_SD_EERKSD_lbbbEUlllE1_EE10hipError_tPvRmT2_T3_mT4_P12ihipStream_tbEUlT_E_NS1_11comp_targetILNS1_3genE0ELNS1_11target_archE4294967295ELNS1_3gpuE0ELNS1_3repE0EEENS1_30default_config_static_selectorELNS0_4arch9wavefront6targetE1EEEvT1_: ; @_ZN7rocprim17ROCPRIM_400000_NS6detail17trampoline_kernelINS0_14default_configENS1_35adjacent_difference_config_selectorILb0ElEEZNS1_24adjacent_difference_implIS3_Lb0ELb0EPlS7_ZN2at6native12_GLOBAL__N_124unique_dim_cuda_templateIbEESt5tupleIJNS8_6TensorESD_SD_EERKSD_lbbbEUlllE1_EE10hipError_tPvRmT2_T3_mT4_P12ihipStream_tbEUlT_E_NS1_11comp_targetILNS1_3genE0ELNS1_11target_archE4294967295ELNS1_3gpuE0ELNS1_3repE0EEENS1_30default_config_static_selectorELNS0_4arch9wavefront6targetE1EEEvT1_
; %bb.0:
	s_load_dwordx8 s[4:11], s[0:1], 0x0
	s_load_dwordx4 s[12:15], s[0:1], 0x20
	s_load_dwordx2 s[16:17], s[0:1], 0x38
	s_mov_b32 s19, 0
	s_waitcnt lgkmcnt(0)
	s_lshl_b64 s[6:7], s[6:7], 3
	s_add_u32 s22, s4, s6
	s_addc_u32 s23, s5, s7
	s_lshl_b32 s4, s2, 7
	s_lshr_b64 s[0:1], s[10:11], 7
	s_and_b32 s18, s10, 0x7f
	s_cmp_lg_u64 s[18:19], 0
	s_cselect_b64 s[18:19], -1, 0
	v_cndmask_b32_e64 v1, 0, 1, s[18:19]
	s_nop 0
	v_readfirstlane_b32 s3, v1
	s_add_u32 s18, s0, s3
	s_addc_u32 s19, s1, 0
	s_add_u32 s20, s16, s2
	s_addc_u32 s21, s17, 0
	s_add_u32 s16, s18, -1
	s_addc_u32 s17, s19, -1
	v_mov_b64_e32 v[2:3], s[16:17]
	v_cmp_ge_u64_e64 s[0:1], s[20:21], v[2:3]
	s_mov_b64 s[2:3], -1
	s_and_b64 vcc, exec, s[0:1]
                                        ; implicit-def: $vgpr1
	s_cbranch_vccz .LBB1026_4
; %bb.1:
	s_lshl_b32 s2, s16, 7
	s_sub_i32 s2, s10, s2
	v_cmp_gt_u32_e32 vcc, s2, v0
                                        ; implicit-def: $vgpr2_vgpr3
	s_and_saveexec_b64 s[2:3], vcc
	s_cbranch_execz .LBB1026_3
; %bb.2:
	s_mov_b32 s5, 0
	s_lshl_b64 s[24:25], s[4:5], 3
	s_add_u32 s24, s22, s24
	s_addc_u32 s25, s23, s25
	v_lshlrev_b32_e32 v1, 3, v0
	global_load_dwordx2 v[2:3], v1, s[24:25]
.LBB1026_3:
	s_or_b64 exec, exec, s[2:3]
	v_lshlrev_b32_e32 v1, 3, v0
	s_mov_b64 s[2:3], 0
	s_waitcnt vmcnt(0)
	ds_write_b64 v1, v[2:3]
	s_waitcnt lgkmcnt(0)
	s_barrier
.LBB1026_4:
	s_and_b64 vcc, exec, s[2:3]
	s_cbranch_vccz .LBB1026_6
; %bb.5:
	s_mov_b32 s5, 0
	s_lshl_b64 s[2:3], s[4:5], 3
	s_add_u32 s2, s22, s2
	s_addc_u32 s3, s23, s3
	v_lshlrev_b32_e32 v1, 3, v0
	global_load_dwordx2 v[2:3], v1, s[2:3]
	s_waitcnt vmcnt(0)
	ds_write_b64 v1, v[2:3]
	s_waitcnt lgkmcnt(0)
	s_barrier
.LBB1026_6:
	ds_read_b64 v[2:3], v1
	s_cmp_eq_u64 s[20:21], 0
	s_waitcnt lgkmcnt(0)
	s_barrier
	s_cbranch_scc1 .LBB1026_15
; %bb.7:
	s_mov_b32 s5, 0
	s_lshl_b64 s[2:3], s[4:5], 3
	s_add_u32 s2, s22, s2
	s_addc_u32 s3, s23, s3
	s_add_u32 s2, s2, -8
	s_addc_u32 s3, s3, -1
	s_load_dwordx2 s[22:23], s[2:3], 0x0
	s_cmp_eq_u64 s[20:21], s[16:17]
	s_cbranch_scc1 .LBB1026_16
; %bb.8:
	v_lshlrev_b32_e32 v1, 3, v0
	v_cmp_ne_u32_e32 vcc, 0, v0
	s_waitcnt lgkmcnt(0)
	v_mov_b64_e32 v[8:9], s[22:23]
	ds_write_b64 v1, v[2:3]
	s_waitcnt lgkmcnt(0)
	s_barrier
	s_and_saveexec_b64 s[2:3], vcc
; %bb.9:
	v_add_u32_e32 v1, -8, v1
	ds_read_b64 v[8:9], v1
; %bb.10:
	s_or_b64 exec, exec, s[2:3]
	v_cmp_lt_i64_e64 s[2:3], s[12:13], 1
	s_and_b64 vcc, exec, s[2:3]
	s_cbranch_vccnz .LBB1026_18
; %bb.11:
	v_mov_b64_e32 v[6:7], s[14:15]
	v_mad_u64_u32 v[4:5], s[2:3], v2, s12, v[6:7]
	v_mul_lo_u32 v1, v2, s13
	v_mul_lo_u32 v10, v3, s12
	v_add3_u32 v5, v10, v5, v1
	s_waitcnt lgkmcnt(0)
	v_mad_u64_u32 v[6:7], s[2:3], v8, s12, v[6:7]
	v_mul_lo_u32 v1, v8, s13
	v_mul_lo_u32 v8, v9, s12
	v_add3_u32 v7, v8, v7, v1
	s_mov_b64 s[24:25], 0
	s_mov_b64 s[26:27], s[12:13]
                                        ; implicit-def: $sgpr28_sgpr29
	s_branch .LBB1026_13
.LBB1026_12:                            ;   in Loop: Header=BB1026_13 Depth=1
	s_or_b64 exec, exec, s[2:3]
	s_and_b64 s[2:3], exec, s[28:29]
	s_or_b64 s[24:25], s[2:3], s[24:25]
	s_andn2_b64 exec, exec, s[24:25]
	s_cbranch_execz .LBB1026_17
.LBB1026_13:                            ; =>This Inner Loop Header: Depth=1
	global_load_ubyte v1, v[4:5], off
	global_load_ubyte v8, v[6:7], off
	v_mov_b64_e32 v[10:11], 1
	s_or_b64 s[28:29], s[28:29], exec
	s_waitcnt vmcnt(1)
	v_cmp_ne_u16_e32 vcc, 0, v1
	s_waitcnt vmcnt(0)
	v_cmp_ne_u16_e64 s[2:3], 0, v8
	s_xor_b64 s[2:3], vcc, s[2:3]
	s_xor_b64 s[30:31], s[2:3], -1
	s_and_saveexec_b64 s[2:3], s[30:31]
	s_cbranch_execz .LBB1026_12
; %bb.14:                               ;   in Loop: Header=BB1026_13 Depth=1
	s_add_u32 s26, s26, -1
	s_addc_u32 s27, s27, -1
	s_cmp_eq_u64 s[26:27], 0
	s_cselect_b64 s[30:31], -1, 0
	s_andn2_b64 s[28:29], s[28:29], exec
	s_and_b64 s[30:31], s[30:31], exec
	v_lshl_add_u64 v[4:5], v[4:5], 0, 1
	v_lshl_add_u64 v[6:7], v[6:7], 0, 1
	v_mov_b64_e32 v[10:11], 0
	s_or_b64 s[28:29], s[28:29], s[30:31]
	s_branch .LBB1026_12
.LBB1026_15:
                                        ; implicit-def: $vgpr10_vgpr11
	s_branch .LBB1026_31
.LBB1026_16:
                                        ; implicit-def: $vgpr10_vgpr11
	s_cbranch_execnz .LBB1026_19
	s_branch .LBB1026_30
.LBB1026_17:
	s_or_b64 exec, exec, s[24:25]
	s_branch .LBB1026_30
.LBB1026_18:
	v_mov_b64_e32 v[10:11], 0
	s_branch .LBB1026_30
.LBB1026_19:
	v_lshlrev_b32_e32 v1, 3, v0
	v_cmp_ne_u32_e32 vcc, 0, v0
	s_waitcnt lgkmcnt(0)
	v_mov_b64_e32 v[8:9], s[22:23]
	ds_write_b64 v1, v[2:3]
	s_waitcnt lgkmcnt(0)
	s_barrier
	s_and_saveexec_b64 s[2:3], vcc
; %bb.20:
	v_add_u32_e32 v1, -8, v1
	ds_read_b64 v[8:9], v1
; %bb.21:
	s_or_b64 exec, exec, s[2:3]
	s_lshl_b32 s2, s20, 7
	s_sub_i32 s2, s10, s2
	v_cmp_gt_u32_e32 vcc, s2, v0
	v_mov_b64_e32 v[10:11], v[2:3]
	s_and_saveexec_b64 s[20:21], vcc
	s_cbranch_execz .LBB1026_29
; %bb.22:
	v_cmp_lt_i64_e64 s[2:3], s[12:13], 1
	s_and_b64 vcc, exec, s[2:3]
	s_cbranch_vccnz .LBB1026_28
; %bb.23:
	v_mov_b64_e32 v[6:7], s[14:15]
	v_mad_u64_u32 v[4:5], s[2:3], v2, s12, v[6:7]
	v_mul_lo_u32 v1, v2, s13
	v_mul_lo_u32 v10, v3, s12
	v_add3_u32 v5, v10, v5, v1
	s_waitcnt lgkmcnt(0)
	v_mad_u64_u32 v[6:7], s[2:3], v8, s12, v[6:7]
	v_mul_lo_u32 v1, v8, s13
	v_mul_lo_u32 v8, v9, s12
	v_add3_u32 v7, v8, v7, v1
	s_mov_b64 s[22:23], 0
	s_mov_b64 s[24:25], s[12:13]
                                        ; implicit-def: $sgpr26_sgpr27
	s_branch .LBB1026_25
.LBB1026_24:                            ;   in Loop: Header=BB1026_25 Depth=1
	s_or_b64 exec, exec, s[2:3]
	s_and_b64 s[2:3], exec, s[26:27]
	s_or_b64 s[22:23], s[2:3], s[22:23]
	s_andn2_b64 exec, exec, s[22:23]
	s_cbranch_execz .LBB1026_27
.LBB1026_25:                            ; =>This Inner Loop Header: Depth=1
	global_load_ubyte v1, v[4:5], off
	global_load_ubyte v8, v[6:7], off
	v_mov_b64_e32 v[10:11], 1
	s_or_b64 s[26:27], s[26:27], exec
	s_waitcnt vmcnt(1)
	v_cmp_ne_u16_e32 vcc, 0, v1
	s_waitcnt vmcnt(0)
	v_cmp_ne_u16_e64 s[2:3], 0, v8
	s_xor_b64 s[2:3], vcc, s[2:3]
	s_xor_b64 s[28:29], s[2:3], -1
	s_and_saveexec_b64 s[2:3], s[28:29]
	s_cbranch_execz .LBB1026_24
; %bb.26:                               ;   in Loop: Header=BB1026_25 Depth=1
	s_add_u32 s24, s24, -1
	s_addc_u32 s25, s25, -1
	s_cmp_eq_u64 s[24:25], 0
	s_cselect_b64 s[28:29], -1, 0
	s_andn2_b64 s[26:27], s[26:27], exec
	s_and_b64 s[28:29], s[28:29], exec
	v_lshl_add_u64 v[4:5], v[4:5], 0, 1
	v_lshl_add_u64 v[6:7], v[6:7], 0, 1
	v_mov_b64_e32 v[10:11], 0
	s_or_b64 s[26:27], s[26:27], s[28:29]
	s_branch .LBB1026_24
.LBB1026_27:
	s_or_b64 exec, exec, s[22:23]
	s_branch .LBB1026_29
.LBB1026_28:
	v_mov_b64_e32 v[10:11], 0
.LBB1026_29:
	s_or_b64 exec, exec, s[20:21]
.LBB1026_30:
	s_cbranch_execnz .LBB1026_51
.LBB1026_31:
	s_cmp_eq_u64 s[18:19], 1
	v_cmp_ne_u32_e32 vcc, 0, v0
	s_cbranch_scc1 .LBB1026_38
; %bb.32:
	v_lshlrev_b32_e32 v1, 3, v0
	v_mov_b64_e32 v[10:11], v[2:3]
	ds_write_b64 v1, v[2:3]
	s_waitcnt lgkmcnt(0)
	s_barrier
	s_and_saveexec_b64 s[18:19], vcc
	s_cbranch_execz .LBB1026_41
; %bb.33:
	v_cmp_lt_i64_e64 s[2:3], s[12:13], 1
	s_and_b64 vcc, exec, s[2:3]
	s_cbranch_vccnz .LBB1026_40
; %bb.34:
	v_add_u32_e32 v1, -8, v1
	ds_read_b64 v[6:7], v1
	v_mov_b64_e32 v[8:9], s[14:15]
	v_mad_u64_u32 v[4:5], s[2:3], v2, s12, v[8:9]
	v_mul_lo_u32 v1, v2, s13
	v_mul_lo_u32 v10, v3, s12
	v_add3_u32 v5, v10, v5, v1
	s_waitcnt lgkmcnt(0)
	v_mul_lo_u32 v1, v6, s13
	v_mul_lo_u32 v10, v7, s12
	v_mad_u64_u32 v[6:7], s[2:3], v6, s12, v[8:9]
	v_add3_u32 v7, v10, v7, v1
	s_mov_b64 s[20:21], 0
	s_mov_b64 s[22:23], s[12:13]
                                        ; implicit-def: $sgpr24_sgpr25
	s_branch .LBB1026_36
.LBB1026_35:                            ;   in Loop: Header=BB1026_36 Depth=1
	s_or_b64 exec, exec, s[2:3]
	s_and_b64 s[2:3], exec, s[24:25]
	s_or_b64 s[20:21], s[2:3], s[20:21]
	s_andn2_b64 exec, exec, s[20:21]
	s_cbranch_execz .LBB1026_39
.LBB1026_36:                            ; =>This Inner Loop Header: Depth=1
	global_load_ubyte v1, v[4:5], off
	global_load_ubyte v8, v[6:7], off
	v_mov_b64_e32 v[10:11], 1
	s_or_b64 s[24:25], s[24:25], exec
	s_waitcnt vmcnt(1)
	v_cmp_ne_u16_e32 vcc, 0, v1
	s_waitcnt vmcnt(0)
	v_cmp_ne_u16_e64 s[2:3], 0, v8
	s_xor_b64 s[2:3], vcc, s[2:3]
	s_xor_b64 s[26:27], s[2:3], -1
	s_and_saveexec_b64 s[2:3], s[26:27]
	s_cbranch_execz .LBB1026_35
; %bb.37:                               ;   in Loop: Header=BB1026_36 Depth=1
	s_add_u32 s22, s22, -1
	s_addc_u32 s23, s23, -1
	s_cmp_eq_u64 s[22:23], 0
	s_cselect_b64 s[26:27], -1, 0
	s_andn2_b64 s[24:25], s[24:25], exec
	s_and_b64 s[26:27], s[26:27], exec
	v_lshl_add_u64 v[4:5], v[4:5], 0, 1
	v_lshl_add_u64 v[6:7], v[6:7], 0, 1
	v_mov_b64_e32 v[10:11], 0
	s_or_b64 s[24:25], s[24:25], s[26:27]
	s_branch .LBB1026_35
.LBB1026_38:
                                        ; implicit-def: $vgpr10_vgpr11
	s_branch .LBB1026_42
.LBB1026_39:
	s_or_b64 exec, exec, s[20:21]
	s_branch .LBB1026_41
.LBB1026_40:
	v_mov_b64_e32 v[10:11], 0
.LBB1026_41:
	s_or_b64 exec, exec, s[18:19]
	s_cbranch_execnz .LBB1026_51
.LBB1026_42:
	v_cmp_ne_u32_e32 vcc, 0, v0
	v_cmp_gt_u32_e64 s[2:3], s10, v0
	v_lshlrev_b32_e32 v1, 3, v0
	s_and_b64 s[2:3], vcc, s[2:3]
	ds_write_b64 v1, v[2:3]
	s_waitcnt lgkmcnt(0)
	s_barrier
	s_and_saveexec_b64 s[18:19], s[2:3]
	s_cbranch_execz .LBB1026_50
; %bb.43:
	v_cmp_lt_i64_e64 s[2:3], s[12:13], 1
	s_and_b64 vcc, exec, s[2:3]
	s_cbranch_vccnz .LBB1026_49
; %bb.44:
	v_add_u32_e32 v1, -8, v1
	ds_read_b64 v[6:7], v1
	v_mov_b64_e32 v[8:9], s[14:15]
	v_mad_u64_u32 v[4:5], s[2:3], v2, s12, v[8:9]
	v_mul_lo_u32 v1, v2, s13
	v_mul_lo_u32 v2, v3, s12
	v_add3_u32 v5, v2, v5, v1
	s_waitcnt lgkmcnt(0)
	v_mul_lo_u32 v1, v6, s13
	v_mul_lo_u32 v2, v7, s12
	v_mad_u64_u32 v[6:7], s[2:3], v6, s12, v[8:9]
	v_add3_u32 v7, v2, v7, v1
	s_mov_b64 s[14:15], 0
                                        ; implicit-def: $sgpr20_sgpr21
	s_branch .LBB1026_46
.LBB1026_45:                            ;   in Loop: Header=BB1026_46 Depth=1
	s_or_b64 exec, exec, s[2:3]
	s_and_b64 s[2:3], exec, s[20:21]
	s_or_b64 s[14:15], s[2:3], s[14:15]
	s_andn2_b64 exec, exec, s[14:15]
	s_cbranch_execz .LBB1026_48
.LBB1026_46:                            ; =>This Inner Loop Header: Depth=1
	global_load_ubyte v1, v[4:5], off
	global_load_ubyte v8, v[6:7], off
	v_mov_b64_e32 v[2:3], 1
	s_or_b64 s[20:21], s[20:21], exec
	s_waitcnt vmcnt(1)
	v_cmp_ne_u16_e32 vcc, 0, v1
	s_waitcnt vmcnt(0)
	v_cmp_ne_u16_e64 s[2:3], 0, v8
	s_xor_b64 s[2:3], vcc, s[2:3]
	s_xor_b64 s[22:23], s[2:3], -1
	s_and_saveexec_b64 s[2:3], s[22:23]
	s_cbranch_execz .LBB1026_45
; %bb.47:                               ;   in Loop: Header=BB1026_46 Depth=1
	s_add_u32 s12, s12, -1
	s_addc_u32 s13, s13, -1
	s_cmp_eq_u64 s[12:13], 0
	s_cselect_b64 s[22:23], -1, 0
	s_andn2_b64 s[20:21], s[20:21], exec
	s_and_b64 s[22:23], s[22:23], exec
	v_lshl_add_u64 v[4:5], v[4:5], 0, 1
	v_lshl_add_u64 v[6:7], v[6:7], 0, 1
	v_mov_b64_e32 v[2:3], 0
	s_or_b64 s[20:21], s[20:21], s[22:23]
	s_branch .LBB1026_45
.LBB1026_48:
	s_or_b64 exec, exec, s[14:15]
	s_branch .LBB1026_50
.LBB1026_49:
	v_mov_b64_e32 v[2:3], 0
.LBB1026_50:
	s_or_b64 exec, exec, s[18:19]
	v_mov_b64_e32 v[10:11], v[2:3]
.LBB1026_51:
	s_add_u32 s6, s8, s6
	s_addc_u32 s7, s9, s7
	s_mov_b64 s[2:3], -1
	s_and_b64 vcc, exec, s[0:1]
	s_waitcnt lgkmcnt(0)
	s_barrier
	s_cbranch_vccnz .LBB1026_54
; %bb.52:
	s_andn2_b64 vcc, exec, s[2:3]
	s_cbranch_vccz .LBB1026_57
.LBB1026_53:
	s_endpgm
.LBB1026_54:
	s_lshl_b32 s0, s16, 7
	s_sub_i32 s0, s10, s0
	v_lshlrev_b32_e32 v1, 3, v0
	v_cmp_gt_u32_e32 vcc, s0, v0
	ds_write_b64 v1, v[10:11]
	s_waitcnt lgkmcnt(0)
	s_barrier
	s_and_saveexec_b64 s[0:1], vcc
	s_cbranch_execz .LBB1026_56
; %bb.55:
	ds_read_b64 v[2:3], v1
	s_mov_b32 s5, 0
	s_lshl_b64 s[2:3], s[4:5], 3
	s_add_u32 s2, s6, s2
	s_addc_u32 s3, s7, s3
	s_waitcnt lgkmcnt(0)
	global_store_dwordx2 v1, v[2:3], s[2:3]
.LBB1026_56:
	s_or_b64 exec, exec, s[0:1]
	s_cbranch_execnz .LBB1026_53
.LBB1026_57:
	v_lshlrev_b32_e32 v2, 3, v0
	ds_write_b64 v2, v[10:11]
	s_waitcnt lgkmcnt(0)
	s_barrier
	ds_read_b64 v[0:1], v2
	s_mov_b32 s5, 0
	s_lshl_b64 s[0:1], s[4:5], 3
	s_add_u32 s0, s6, s0
	s_addc_u32 s1, s7, s1
	s_waitcnt lgkmcnt(0)
	global_store_dwordx2 v2, v[0:1], s[0:1]
	s_endpgm
	.section	.rodata,"a",@progbits
	.p2align	6, 0x0
	.amdhsa_kernel _ZN7rocprim17ROCPRIM_400000_NS6detail17trampoline_kernelINS0_14default_configENS1_35adjacent_difference_config_selectorILb0ElEEZNS1_24adjacent_difference_implIS3_Lb0ELb0EPlS7_ZN2at6native12_GLOBAL__N_124unique_dim_cuda_templateIbEESt5tupleIJNS8_6TensorESD_SD_EERKSD_lbbbEUlllE1_EE10hipError_tPvRmT2_T3_mT4_P12ihipStream_tbEUlT_E_NS1_11comp_targetILNS1_3genE0ELNS1_11target_archE4294967295ELNS1_3gpuE0ELNS1_3repE0EEENS1_30default_config_static_selectorELNS0_4arch9wavefront6targetE1EEEvT1_
		.amdhsa_group_segment_fixed_size 2048
		.amdhsa_private_segment_fixed_size 0
		.amdhsa_kernarg_size 64
		.amdhsa_user_sgpr_count 2
		.amdhsa_user_sgpr_dispatch_ptr 0
		.amdhsa_user_sgpr_queue_ptr 0
		.amdhsa_user_sgpr_kernarg_segment_ptr 1
		.amdhsa_user_sgpr_dispatch_id 0
		.amdhsa_user_sgpr_kernarg_preload_length 0
		.amdhsa_user_sgpr_kernarg_preload_offset 0
		.amdhsa_user_sgpr_private_segment_size 0
		.amdhsa_uses_dynamic_stack 0
		.amdhsa_enable_private_segment 0
		.amdhsa_system_sgpr_workgroup_id_x 1
		.amdhsa_system_sgpr_workgroup_id_y 0
		.amdhsa_system_sgpr_workgroup_id_z 0
		.amdhsa_system_sgpr_workgroup_info 0
		.amdhsa_system_vgpr_workitem_id 0
		.amdhsa_next_free_vgpr 12
		.amdhsa_next_free_sgpr 32
		.amdhsa_accum_offset 12
		.amdhsa_reserve_vcc 1
		.amdhsa_float_round_mode_32 0
		.amdhsa_float_round_mode_16_64 0
		.amdhsa_float_denorm_mode_32 3
		.amdhsa_float_denorm_mode_16_64 3
		.amdhsa_dx10_clamp 1
		.amdhsa_ieee_mode 1
		.amdhsa_fp16_overflow 0
		.amdhsa_tg_split 0
		.amdhsa_exception_fp_ieee_invalid_op 0
		.amdhsa_exception_fp_denorm_src 0
		.amdhsa_exception_fp_ieee_div_zero 0
		.amdhsa_exception_fp_ieee_overflow 0
		.amdhsa_exception_fp_ieee_underflow 0
		.amdhsa_exception_fp_ieee_inexact 0
		.amdhsa_exception_int_div_zero 0
	.end_amdhsa_kernel
	.section	.text._ZN7rocprim17ROCPRIM_400000_NS6detail17trampoline_kernelINS0_14default_configENS1_35adjacent_difference_config_selectorILb0ElEEZNS1_24adjacent_difference_implIS3_Lb0ELb0EPlS7_ZN2at6native12_GLOBAL__N_124unique_dim_cuda_templateIbEESt5tupleIJNS8_6TensorESD_SD_EERKSD_lbbbEUlllE1_EE10hipError_tPvRmT2_T3_mT4_P12ihipStream_tbEUlT_E_NS1_11comp_targetILNS1_3genE0ELNS1_11target_archE4294967295ELNS1_3gpuE0ELNS1_3repE0EEENS1_30default_config_static_selectorELNS0_4arch9wavefront6targetE1EEEvT1_,"axG",@progbits,_ZN7rocprim17ROCPRIM_400000_NS6detail17trampoline_kernelINS0_14default_configENS1_35adjacent_difference_config_selectorILb0ElEEZNS1_24adjacent_difference_implIS3_Lb0ELb0EPlS7_ZN2at6native12_GLOBAL__N_124unique_dim_cuda_templateIbEESt5tupleIJNS8_6TensorESD_SD_EERKSD_lbbbEUlllE1_EE10hipError_tPvRmT2_T3_mT4_P12ihipStream_tbEUlT_E_NS1_11comp_targetILNS1_3genE0ELNS1_11target_archE4294967295ELNS1_3gpuE0ELNS1_3repE0EEENS1_30default_config_static_selectorELNS0_4arch9wavefront6targetE1EEEvT1_,comdat
.Lfunc_end1026:
	.size	_ZN7rocprim17ROCPRIM_400000_NS6detail17trampoline_kernelINS0_14default_configENS1_35adjacent_difference_config_selectorILb0ElEEZNS1_24adjacent_difference_implIS3_Lb0ELb0EPlS7_ZN2at6native12_GLOBAL__N_124unique_dim_cuda_templateIbEESt5tupleIJNS8_6TensorESD_SD_EERKSD_lbbbEUlllE1_EE10hipError_tPvRmT2_T3_mT4_P12ihipStream_tbEUlT_E_NS1_11comp_targetILNS1_3genE0ELNS1_11target_archE4294967295ELNS1_3gpuE0ELNS1_3repE0EEENS1_30default_config_static_selectorELNS0_4arch9wavefront6targetE1EEEvT1_, .Lfunc_end1026-_ZN7rocprim17ROCPRIM_400000_NS6detail17trampoline_kernelINS0_14default_configENS1_35adjacent_difference_config_selectorILb0ElEEZNS1_24adjacent_difference_implIS3_Lb0ELb0EPlS7_ZN2at6native12_GLOBAL__N_124unique_dim_cuda_templateIbEESt5tupleIJNS8_6TensorESD_SD_EERKSD_lbbbEUlllE1_EE10hipError_tPvRmT2_T3_mT4_P12ihipStream_tbEUlT_E_NS1_11comp_targetILNS1_3genE0ELNS1_11target_archE4294967295ELNS1_3gpuE0ELNS1_3repE0EEENS1_30default_config_static_selectorELNS0_4arch9wavefront6targetE1EEEvT1_
                                        ; -- End function
	.set _ZN7rocprim17ROCPRIM_400000_NS6detail17trampoline_kernelINS0_14default_configENS1_35adjacent_difference_config_selectorILb0ElEEZNS1_24adjacent_difference_implIS3_Lb0ELb0EPlS7_ZN2at6native12_GLOBAL__N_124unique_dim_cuda_templateIbEESt5tupleIJNS8_6TensorESD_SD_EERKSD_lbbbEUlllE1_EE10hipError_tPvRmT2_T3_mT4_P12ihipStream_tbEUlT_E_NS1_11comp_targetILNS1_3genE0ELNS1_11target_archE4294967295ELNS1_3gpuE0ELNS1_3repE0EEENS1_30default_config_static_selectorELNS0_4arch9wavefront6targetE1EEEvT1_.num_vgpr, 12
	.set _ZN7rocprim17ROCPRIM_400000_NS6detail17trampoline_kernelINS0_14default_configENS1_35adjacent_difference_config_selectorILb0ElEEZNS1_24adjacent_difference_implIS3_Lb0ELb0EPlS7_ZN2at6native12_GLOBAL__N_124unique_dim_cuda_templateIbEESt5tupleIJNS8_6TensorESD_SD_EERKSD_lbbbEUlllE1_EE10hipError_tPvRmT2_T3_mT4_P12ihipStream_tbEUlT_E_NS1_11comp_targetILNS1_3genE0ELNS1_11target_archE4294967295ELNS1_3gpuE0ELNS1_3repE0EEENS1_30default_config_static_selectorELNS0_4arch9wavefront6targetE1EEEvT1_.num_agpr, 0
	.set _ZN7rocprim17ROCPRIM_400000_NS6detail17trampoline_kernelINS0_14default_configENS1_35adjacent_difference_config_selectorILb0ElEEZNS1_24adjacent_difference_implIS3_Lb0ELb0EPlS7_ZN2at6native12_GLOBAL__N_124unique_dim_cuda_templateIbEESt5tupleIJNS8_6TensorESD_SD_EERKSD_lbbbEUlllE1_EE10hipError_tPvRmT2_T3_mT4_P12ihipStream_tbEUlT_E_NS1_11comp_targetILNS1_3genE0ELNS1_11target_archE4294967295ELNS1_3gpuE0ELNS1_3repE0EEENS1_30default_config_static_selectorELNS0_4arch9wavefront6targetE1EEEvT1_.numbered_sgpr, 32
	.set _ZN7rocprim17ROCPRIM_400000_NS6detail17trampoline_kernelINS0_14default_configENS1_35adjacent_difference_config_selectorILb0ElEEZNS1_24adjacent_difference_implIS3_Lb0ELb0EPlS7_ZN2at6native12_GLOBAL__N_124unique_dim_cuda_templateIbEESt5tupleIJNS8_6TensorESD_SD_EERKSD_lbbbEUlllE1_EE10hipError_tPvRmT2_T3_mT4_P12ihipStream_tbEUlT_E_NS1_11comp_targetILNS1_3genE0ELNS1_11target_archE4294967295ELNS1_3gpuE0ELNS1_3repE0EEENS1_30default_config_static_selectorELNS0_4arch9wavefront6targetE1EEEvT1_.num_named_barrier, 0
	.set _ZN7rocprim17ROCPRIM_400000_NS6detail17trampoline_kernelINS0_14default_configENS1_35adjacent_difference_config_selectorILb0ElEEZNS1_24adjacent_difference_implIS3_Lb0ELb0EPlS7_ZN2at6native12_GLOBAL__N_124unique_dim_cuda_templateIbEESt5tupleIJNS8_6TensorESD_SD_EERKSD_lbbbEUlllE1_EE10hipError_tPvRmT2_T3_mT4_P12ihipStream_tbEUlT_E_NS1_11comp_targetILNS1_3genE0ELNS1_11target_archE4294967295ELNS1_3gpuE0ELNS1_3repE0EEENS1_30default_config_static_selectorELNS0_4arch9wavefront6targetE1EEEvT1_.private_seg_size, 0
	.set _ZN7rocprim17ROCPRIM_400000_NS6detail17trampoline_kernelINS0_14default_configENS1_35adjacent_difference_config_selectorILb0ElEEZNS1_24adjacent_difference_implIS3_Lb0ELb0EPlS7_ZN2at6native12_GLOBAL__N_124unique_dim_cuda_templateIbEESt5tupleIJNS8_6TensorESD_SD_EERKSD_lbbbEUlllE1_EE10hipError_tPvRmT2_T3_mT4_P12ihipStream_tbEUlT_E_NS1_11comp_targetILNS1_3genE0ELNS1_11target_archE4294967295ELNS1_3gpuE0ELNS1_3repE0EEENS1_30default_config_static_selectorELNS0_4arch9wavefront6targetE1EEEvT1_.uses_vcc, 1
	.set _ZN7rocprim17ROCPRIM_400000_NS6detail17trampoline_kernelINS0_14default_configENS1_35adjacent_difference_config_selectorILb0ElEEZNS1_24adjacent_difference_implIS3_Lb0ELb0EPlS7_ZN2at6native12_GLOBAL__N_124unique_dim_cuda_templateIbEESt5tupleIJNS8_6TensorESD_SD_EERKSD_lbbbEUlllE1_EE10hipError_tPvRmT2_T3_mT4_P12ihipStream_tbEUlT_E_NS1_11comp_targetILNS1_3genE0ELNS1_11target_archE4294967295ELNS1_3gpuE0ELNS1_3repE0EEENS1_30default_config_static_selectorELNS0_4arch9wavefront6targetE1EEEvT1_.uses_flat_scratch, 0
	.set _ZN7rocprim17ROCPRIM_400000_NS6detail17trampoline_kernelINS0_14default_configENS1_35adjacent_difference_config_selectorILb0ElEEZNS1_24adjacent_difference_implIS3_Lb0ELb0EPlS7_ZN2at6native12_GLOBAL__N_124unique_dim_cuda_templateIbEESt5tupleIJNS8_6TensorESD_SD_EERKSD_lbbbEUlllE1_EE10hipError_tPvRmT2_T3_mT4_P12ihipStream_tbEUlT_E_NS1_11comp_targetILNS1_3genE0ELNS1_11target_archE4294967295ELNS1_3gpuE0ELNS1_3repE0EEENS1_30default_config_static_selectorELNS0_4arch9wavefront6targetE1EEEvT1_.has_dyn_sized_stack, 0
	.set _ZN7rocprim17ROCPRIM_400000_NS6detail17trampoline_kernelINS0_14default_configENS1_35adjacent_difference_config_selectorILb0ElEEZNS1_24adjacent_difference_implIS3_Lb0ELb0EPlS7_ZN2at6native12_GLOBAL__N_124unique_dim_cuda_templateIbEESt5tupleIJNS8_6TensorESD_SD_EERKSD_lbbbEUlllE1_EE10hipError_tPvRmT2_T3_mT4_P12ihipStream_tbEUlT_E_NS1_11comp_targetILNS1_3genE0ELNS1_11target_archE4294967295ELNS1_3gpuE0ELNS1_3repE0EEENS1_30default_config_static_selectorELNS0_4arch9wavefront6targetE1EEEvT1_.has_recursion, 0
	.set _ZN7rocprim17ROCPRIM_400000_NS6detail17trampoline_kernelINS0_14default_configENS1_35adjacent_difference_config_selectorILb0ElEEZNS1_24adjacent_difference_implIS3_Lb0ELb0EPlS7_ZN2at6native12_GLOBAL__N_124unique_dim_cuda_templateIbEESt5tupleIJNS8_6TensorESD_SD_EERKSD_lbbbEUlllE1_EE10hipError_tPvRmT2_T3_mT4_P12ihipStream_tbEUlT_E_NS1_11comp_targetILNS1_3genE0ELNS1_11target_archE4294967295ELNS1_3gpuE0ELNS1_3repE0EEENS1_30default_config_static_selectorELNS0_4arch9wavefront6targetE1EEEvT1_.has_indirect_call, 0
	.section	.AMDGPU.csdata,"",@progbits
; Kernel info:
; codeLenInByte = 1772
; TotalNumSgprs: 38
; NumVgprs: 12
; NumAgprs: 0
; TotalNumVgprs: 12
; ScratchSize: 0
; MemoryBound: 0
; FloatMode: 240
; IeeeMode: 1
; LDSByteSize: 2048 bytes/workgroup (compile time only)
; SGPRBlocks: 4
; VGPRBlocks: 1
; NumSGPRsForWavesPerEU: 38
; NumVGPRsForWavesPerEU: 12
; AccumOffset: 12
; Occupancy: 8
; WaveLimiterHint : 0
; COMPUTE_PGM_RSRC2:SCRATCH_EN: 0
; COMPUTE_PGM_RSRC2:USER_SGPR: 2
; COMPUTE_PGM_RSRC2:TRAP_HANDLER: 0
; COMPUTE_PGM_RSRC2:TGID_X_EN: 1
; COMPUTE_PGM_RSRC2:TGID_Y_EN: 0
; COMPUTE_PGM_RSRC2:TGID_Z_EN: 0
; COMPUTE_PGM_RSRC2:TIDIG_COMP_CNT: 0
; COMPUTE_PGM_RSRC3_GFX90A:ACCUM_OFFSET: 2
; COMPUTE_PGM_RSRC3_GFX90A:TG_SPLIT: 0
	.section	.text._ZN7rocprim17ROCPRIM_400000_NS6detail17trampoline_kernelINS0_14default_configENS1_35adjacent_difference_config_selectorILb0ElEEZNS1_24adjacent_difference_implIS3_Lb0ELb0EPlS7_ZN2at6native12_GLOBAL__N_124unique_dim_cuda_templateIbEESt5tupleIJNS8_6TensorESD_SD_EERKSD_lbbbEUlllE1_EE10hipError_tPvRmT2_T3_mT4_P12ihipStream_tbEUlT_E_NS1_11comp_targetILNS1_3genE10ELNS1_11target_archE1201ELNS1_3gpuE5ELNS1_3repE0EEENS1_30default_config_static_selectorELNS0_4arch9wavefront6targetE1EEEvT1_,"axG",@progbits,_ZN7rocprim17ROCPRIM_400000_NS6detail17trampoline_kernelINS0_14default_configENS1_35adjacent_difference_config_selectorILb0ElEEZNS1_24adjacent_difference_implIS3_Lb0ELb0EPlS7_ZN2at6native12_GLOBAL__N_124unique_dim_cuda_templateIbEESt5tupleIJNS8_6TensorESD_SD_EERKSD_lbbbEUlllE1_EE10hipError_tPvRmT2_T3_mT4_P12ihipStream_tbEUlT_E_NS1_11comp_targetILNS1_3genE10ELNS1_11target_archE1201ELNS1_3gpuE5ELNS1_3repE0EEENS1_30default_config_static_selectorELNS0_4arch9wavefront6targetE1EEEvT1_,comdat
	.globl	_ZN7rocprim17ROCPRIM_400000_NS6detail17trampoline_kernelINS0_14default_configENS1_35adjacent_difference_config_selectorILb0ElEEZNS1_24adjacent_difference_implIS3_Lb0ELb0EPlS7_ZN2at6native12_GLOBAL__N_124unique_dim_cuda_templateIbEESt5tupleIJNS8_6TensorESD_SD_EERKSD_lbbbEUlllE1_EE10hipError_tPvRmT2_T3_mT4_P12ihipStream_tbEUlT_E_NS1_11comp_targetILNS1_3genE10ELNS1_11target_archE1201ELNS1_3gpuE5ELNS1_3repE0EEENS1_30default_config_static_selectorELNS0_4arch9wavefront6targetE1EEEvT1_ ; -- Begin function _ZN7rocprim17ROCPRIM_400000_NS6detail17trampoline_kernelINS0_14default_configENS1_35adjacent_difference_config_selectorILb0ElEEZNS1_24adjacent_difference_implIS3_Lb0ELb0EPlS7_ZN2at6native12_GLOBAL__N_124unique_dim_cuda_templateIbEESt5tupleIJNS8_6TensorESD_SD_EERKSD_lbbbEUlllE1_EE10hipError_tPvRmT2_T3_mT4_P12ihipStream_tbEUlT_E_NS1_11comp_targetILNS1_3genE10ELNS1_11target_archE1201ELNS1_3gpuE5ELNS1_3repE0EEENS1_30default_config_static_selectorELNS0_4arch9wavefront6targetE1EEEvT1_
	.p2align	8
	.type	_ZN7rocprim17ROCPRIM_400000_NS6detail17trampoline_kernelINS0_14default_configENS1_35adjacent_difference_config_selectorILb0ElEEZNS1_24adjacent_difference_implIS3_Lb0ELb0EPlS7_ZN2at6native12_GLOBAL__N_124unique_dim_cuda_templateIbEESt5tupleIJNS8_6TensorESD_SD_EERKSD_lbbbEUlllE1_EE10hipError_tPvRmT2_T3_mT4_P12ihipStream_tbEUlT_E_NS1_11comp_targetILNS1_3genE10ELNS1_11target_archE1201ELNS1_3gpuE5ELNS1_3repE0EEENS1_30default_config_static_selectorELNS0_4arch9wavefront6targetE1EEEvT1_,@function
_ZN7rocprim17ROCPRIM_400000_NS6detail17trampoline_kernelINS0_14default_configENS1_35adjacent_difference_config_selectorILb0ElEEZNS1_24adjacent_difference_implIS3_Lb0ELb0EPlS7_ZN2at6native12_GLOBAL__N_124unique_dim_cuda_templateIbEESt5tupleIJNS8_6TensorESD_SD_EERKSD_lbbbEUlllE1_EE10hipError_tPvRmT2_T3_mT4_P12ihipStream_tbEUlT_E_NS1_11comp_targetILNS1_3genE10ELNS1_11target_archE1201ELNS1_3gpuE5ELNS1_3repE0EEENS1_30default_config_static_selectorELNS0_4arch9wavefront6targetE1EEEvT1_: ; @_ZN7rocprim17ROCPRIM_400000_NS6detail17trampoline_kernelINS0_14default_configENS1_35adjacent_difference_config_selectorILb0ElEEZNS1_24adjacent_difference_implIS3_Lb0ELb0EPlS7_ZN2at6native12_GLOBAL__N_124unique_dim_cuda_templateIbEESt5tupleIJNS8_6TensorESD_SD_EERKSD_lbbbEUlllE1_EE10hipError_tPvRmT2_T3_mT4_P12ihipStream_tbEUlT_E_NS1_11comp_targetILNS1_3genE10ELNS1_11target_archE1201ELNS1_3gpuE5ELNS1_3repE0EEENS1_30default_config_static_selectorELNS0_4arch9wavefront6targetE1EEEvT1_
; %bb.0:
	.section	.rodata,"a",@progbits
	.p2align	6, 0x0
	.amdhsa_kernel _ZN7rocprim17ROCPRIM_400000_NS6detail17trampoline_kernelINS0_14default_configENS1_35adjacent_difference_config_selectorILb0ElEEZNS1_24adjacent_difference_implIS3_Lb0ELb0EPlS7_ZN2at6native12_GLOBAL__N_124unique_dim_cuda_templateIbEESt5tupleIJNS8_6TensorESD_SD_EERKSD_lbbbEUlllE1_EE10hipError_tPvRmT2_T3_mT4_P12ihipStream_tbEUlT_E_NS1_11comp_targetILNS1_3genE10ELNS1_11target_archE1201ELNS1_3gpuE5ELNS1_3repE0EEENS1_30default_config_static_selectorELNS0_4arch9wavefront6targetE1EEEvT1_
		.amdhsa_group_segment_fixed_size 0
		.amdhsa_private_segment_fixed_size 0
		.amdhsa_kernarg_size 64
		.amdhsa_user_sgpr_count 2
		.amdhsa_user_sgpr_dispatch_ptr 0
		.amdhsa_user_sgpr_queue_ptr 0
		.amdhsa_user_sgpr_kernarg_segment_ptr 1
		.amdhsa_user_sgpr_dispatch_id 0
		.amdhsa_user_sgpr_kernarg_preload_length 0
		.amdhsa_user_sgpr_kernarg_preload_offset 0
		.amdhsa_user_sgpr_private_segment_size 0
		.amdhsa_uses_dynamic_stack 0
		.amdhsa_enable_private_segment 0
		.amdhsa_system_sgpr_workgroup_id_x 1
		.amdhsa_system_sgpr_workgroup_id_y 0
		.amdhsa_system_sgpr_workgroup_id_z 0
		.amdhsa_system_sgpr_workgroup_info 0
		.amdhsa_system_vgpr_workitem_id 0
		.amdhsa_next_free_vgpr 1
		.amdhsa_next_free_sgpr 0
		.amdhsa_accum_offset 4
		.amdhsa_reserve_vcc 0
		.amdhsa_float_round_mode_32 0
		.amdhsa_float_round_mode_16_64 0
		.amdhsa_float_denorm_mode_32 3
		.amdhsa_float_denorm_mode_16_64 3
		.amdhsa_dx10_clamp 1
		.amdhsa_ieee_mode 1
		.amdhsa_fp16_overflow 0
		.amdhsa_tg_split 0
		.amdhsa_exception_fp_ieee_invalid_op 0
		.amdhsa_exception_fp_denorm_src 0
		.amdhsa_exception_fp_ieee_div_zero 0
		.amdhsa_exception_fp_ieee_overflow 0
		.amdhsa_exception_fp_ieee_underflow 0
		.amdhsa_exception_fp_ieee_inexact 0
		.amdhsa_exception_int_div_zero 0
	.end_amdhsa_kernel
	.section	.text._ZN7rocprim17ROCPRIM_400000_NS6detail17trampoline_kernelINS0_14default_configENS1_35adjacent_difference_config_selectorILb0ElEEZNS1_24adjacent_difference_implIS3_Lb0ELb0EPlS7_ZN2at6native12_GLOBAL__N_124unique_dim_cuda_templateIbEESt5tupleIJNS8_6TensorESD_SD_EERKSD_lbbbEUlllE1_EE10hipError_tPvRmT2_T3_mT4_P12ihipStream_tbEUlT_E_NS1_11comp_targetILNS1_3genE10ELNS1_11target_archE1201ELNS1_3gpuE5ELNS1_3repE0EEENS1_30default_config_static_selectorELNS0_4arch9wavefront6targetE1EEEvT1_,"axG",@progbits,_ZN7rocprim17ROCPRIM_400000_NS6detail17trampoline_kernelINS0_14default_configENS1_35adjacent_difference_config_selectorILb0ElEEZNS1_24adjacent_difference_implIS3_Lb0ELb0EPlS7_ZN2at6native12_GLOBAL__N_124unique_dim_cuda_templateIbEESt5tupleIJNS8_6TensorESD_SD_EERKSD_lbbbEUlllE1_EE10hipError_tPvRmT2_T3_mT4_P12ihipStream_tbEUlT_E_NS1_11comp_targetILNS1_3genE10ELNS1_11target_archE1201ELNS1_3gpuE5ELNS1_3repE0EEENS1_30default_config_static_selectorELNS0_4arch9wavefront6targetE1EEEvT1_,comdat
.Lfunc_end1027:
	.size	_ZN7rocprim17ROCPRIM_400000_NS6detail17trampoline_kernelINS0_14default_configENS1_35adjacent_difference_config_selectorILb0ElEEZNS1_24adjacent_difference_implIS3_Lb0ELb0EPlS7_ZN2at6native12_GLOBAL__N_124unique_dim_cuda_templateIbEESt5tupleIJNS8_6TensorESD_SD_EERKSD_lbbbEUlllE1_EE10hipError_tPvRmT2_T3_mT4_P12ihipStream_tbEUlT_E_NS1_11comp_targetILNS1_3genE10ELNS1_11target_archE1201ELNS1_3gpuE5ELNS1_3repE0EEENS1_30default_config_static_selectorELNS0_4arch9wavefront6targetE1EEEvT1_, .Lfunc_end1027-_ZN7rocprim17ROCPRIM_400000_NS6detail17trampoline_kernelINS0_14default_configENS1_35adjacent_difference_config_selectorILb0ElEEZNS1_24adjacent_difference_implIS3_Lb0ELb0EPlS7_ZN2at6native12_GLOBAL__N_124unique_dim_cuda_templateIbEESt5tupleIJNS8_6TensorESD_SD_EERKSD_lbbbEUlllE1_EE10hipError_tPvRmT2_T3_mT4_P12ihipStream_tbEUlT_E_NS1_11comp_targetILNS1_3genE10ELNS1_11target_archE1201ELNS1_3gpuE5ELNS1_3repE0EEENS1_30default_config_static_selectorELNS0_4arch9wavefront6targetE1EEEvT1_
                                        ; -- End function
	.set _ZN7rocprim17ROCPRIM_400000_NS6detail17trampoline_kernelINS0_14default_configENS1_35adjacent_difference_config_selectorILb0ElEEZNS1_24adjacent_difference_implIS3_Lb0ELb0EPlS7_ZN2at6native12_GLOBAL__N_124unique_dim_cuda_templateIbEESt5tupleIJNS8_6TensorESD_SD_EERKSD_lbbbEUlllE1_EE10hipError_tPvRmT2_T3_mT4_P12ihipStream_tbEUlT_E_NS1_11comp_targetILNS1_3genE10ELNS1_11target_archE1201ELNS1_3gpuE5ELNS1_3repE0EEENS1_30default_config_static_selectorELNS0_4arch9wavefront6targetE1EEEvT1_.num_vgpr, 0
	.set _ZN7rocprim17ROCPRIM_400000_NS6detail17trampoline_kernelINS0_14default_configENS1_35adjacent_difference_config_selectorILb0ElEEZNS1_24adjacent_difference_implIS3_Lb0ELb0EPlS7_ZN2at6native12_GLOBAL__N_124unique_dim_cuda_templateIbEESt5tupleIJNS8_6TensorESD_SD_EERKSD_lbbbEUlllE1_EE10hipError_tPvRmT2_T3_mT4_P12ihipStream_tbEUlT_E_NS1_11comp_targetILNS1_3genE10ELNS1_11target_archE1201ELNS1_3gpuE5ELNS1_3repE0EEENS1_30default_config_static_selectorELNS0_4arch9wavefront6targetE1EEEvT1_.num_agpr, 0
	.set _ZN7rocprim17ROCPRIM_400000_NS6detail17trampoline_kernelINS0_14default_configENS1_35adjacent_difference_config_selectorILb0ElEEZNS1_24adjacent_difference_implIS3_Lb0ELb0EPlS7_ZN2at6native12_GLOBAL__N_124unique_dim_cuda_templateIbEESt5tupleIJNS8_6TensorESD_SD_EERKSD_lbbbEUlllE1_EE10hipError_tPvRmT2_T3_mT4_P12ihipStream_tbEUlT_E_NS1_11comp_targetILNS1_3genE10ELNS1_11target_archE1201ELNS1_3gpuE5ELNS1_3repE0EEENS1_30default_config_static_selectorELNS0_4arch9wavefront6targetE1EEEvT1_.numbered_sgpr, 0
	.set _ZN7rocprim17ROCPRIM_400000_NS6detail17trampoline_kernelINS0_14default_configENS1_35adjacent_difference_config_selectorILb0ElEEZNS1_24adjacent_difference_implIS3_Lb0ELb0EPlS7_ZN2at6native12_GLOBAL__N_124unique_dim_cuda_templateIbEESt5tupleIJNS8_6TensorESD_SD_EERKSD_lbbbEUlllE1_EE10hipError_tPvRmT2_T3_mT4_P12ihipStream_tbEUlT_E_NS1_11comp_targetILNS1_3genE10ELNS1_11target_archE1201ELNS1_3gpuE5ELNS1_3repE0EEENS1_30default_config_static_selectorELNS0_4arch9wavefront6targetE1EEEvT1_.num_named_barrier, 0
	.set _ZN7rocprim17ROCPRIM_400000_NS6detail17trampoline_kernelINS0_14default_configENS1_35adjacent_difference_config_selectorILb0ElEEZNS1_24adjacent_difference_implIS3_Lb0ELb0EPlS7_ZN2at6native12_GLOBAL__N_124unique_dim_cuda_templateIbEESt5tupleIJNS8_6TensorESD_SD_EERKSD_lbbbEUlllE1_EE10hipError_tPvRmT2_T3_mT4_P12ihipStream_tbEUlT_E_NS1_11comp_targetILNS1_3genE10ELNS1_11target_archE1201ELNS1_3gpuE5ELNS1_3repE0EEENS1_30default_config_static_selectorELNS0_4arch9wavefront6targetE1EEEvT1_.private_seg_size, 0
	.set _ZN7rocprim17ROCPRIM_400000_NS6detail17trampoline_kernelINS0_14default_configENS1_35adjacent_difference_config_selectorILb0ElEEZNS1_24adjacent_difference_implIS3_Lb0ELb0EPlS7_ZN2at6native12_GLOBAL__N_124unique_dim_cuda_templateIbEESt5tupleIJNS8_6TensorESD_SD_EERKSD_lbbbEUlllE1_EE10hipError_tPvRmT2_T3_mT4_P12ihipStream_tbEUlT_E_NS1_11comp_targetILNS1_3genE10ELNS1_11target_archE1201ELNS1_3gpuE5ELNS1_3repE0EEENS1_30default_config_static_selectorELNS0_4arch9wavefront6targetE1EEEvT1_.uses_vcc, 0
	.set _ZN7rocprim17ROCPRIM_400000_NS6detail17trampoline_kernelINS0_14default_configENS1_35adjacent_difference_config_selectorILb0ElEEZNS1_24adjacent_difference_implIS3_Lb0ELb0EPlS7_ZN2at6native12_GLOBAL__N_124unique_dim_cuda_templateIbEESt5tupleIJNS8_6TensorESD_SD_EERKSD_lbbbEUlllE1_EE10hipError_tPvRmT2_T3_mT4_P12ihipStream_tbEUlT_E_NS1_11comp_targetILNS1_3genE10ELNS1_11target_archE1201ELNS1_3gpuE5ELNS1_3repE0EEENS1_30default_config_static_selectorELNS0_4arch9wavefront6targetE1EEEvT1_.uses_flat_scratch, 0
	.set _ZN7rocprim17ROCPRIM_400000_NS6detail17trampoline_kernelINS0_14default_configENS1_35adjacent_difference_config_selectorILb0ElEEZNS1_24adjacent_difference_implIS3_Lb0ELb0EPlS7_ZN2at6native12_GLOBAL__N_124unique_dim_cuda_templateIbEESt5tupleIJNS8_6TensorESD_SD_EERKSD_lbbbEUlllE1_EE10hipError_tPvRmT2_T3_mT4_P12ihipStream_tbEUlT_E_NS1_11comp_targetILNS1_3genE10ELNS1_11target_archE1201ELNS1_3gpuE5ELNS1_3repE0EEENS1_30default_config_static_selectorELNS0_4arch9wavefront6targetE1EEEvT1_.has_dyn_sized_stack, 0
	.set _ZN7rocprim17ROCPRIM_400000_NS6detail17trampoline_kernelINS0_14default_configENS1_35adjacent_difference_config_selectorILb0ElEEZNS1_24adjacent_difference_implIS3_Lb0ELb0EPlS7_ZN2at6native12_GLOBAL__N_124unique_dim_cuda_templateIbEESt5tupleIJNS8_6TensorESD_SD_EERKSD_lbbbEUlllE1_EE10hipError_tPvRmT2_T3_mT4_P12ihipStream_tbEUlT_E_NS1_11comp_targetILNS1_3genE10ELNS1_11target_archE1201ELNS1_3gpuE5ELNS1_3repE0EEENS1_30default_config_static_selectorELNS0_4arch9wavefront6targetE1EEEvT1_.has_recursion, 0
	.set _ZN7rocprim17ROCPRIM_400000_NS6detail17trampoline_kernelINS0_14default_configENS1_35adjacent_difference_config_selectorILb0ElEEZNS1_24adjacent_difference_implIS3_Lb0ELb0EPlS7_ZN2at6native12_GLOBAL__N_124unique_dim_cuda_templateIbEESt5tupleIJNS8_6TensorESD_SD_EERKSD_lbbbEUlllE1_EE10hipError_tPvRmT2_T3_mT4_P12ihipStream_tbEUlT_E_NS1_11comp_targetILNS1_3genE10ELNS1_11target_archE1201ELNS1_3gpuE5ELNS1_3repE0EEENS1_30default_config_static_selectorELNS0_4arch9wavefront6targetE1EEEvT1_.has_indirect_call, 0
	.section	.AMDGPU.csdata,"",@progbits
; Kernel info:
; codeLenInByte = 0
; TotalNumSgprs: 6
; NumVgprs: 0
; NumAgprs: 0
; TotalNumVgprs: 0
; ScratchSize: 0
; MemoryBound: 0
; FloatMode: 240
; IeeeMode: 1
; LDSByteSize: 0 bytes/workgroup (compile time only)
; SGPRBlocks: 0
; VGPRBlocks: 0
; NumSGPRsForWavesPerEU: 6
; NumVGPRsForWavesPerEU: 1
; AccumOffset: 4
; Occupancy: 8
; WaveLimiterHint : 0
; COMPUTE_PGM_RSRC2:SCRATCH_EN: 0
; COMPUTE_PGM_RSRC2:USER_SGPR: 2
; COMPUTE_PGM_RSRC2:TRAP_HANDLER: 0
; COMPUTE_PGM_RSRC2:TGID_X_EN: 1
; COMPUTE_PGM_RSRC2:TGID_Y_EN: 0
; COMPUTE_PGM_RSRC2:TGID_Z_EN: 0
; COMPUTE_PGM_RSRC2:TIDIG_COMP_CNT: 0
; COMPUTE_PGM_RSRC3_GFX90A:ACCUM_OFFSET: 0
; COMPUTE_PGM_RSRC3_GFX90A:TG_SPLIT: 0
	.section	.text._ZN7rocprim17ROCPRIM_400000_NS6detail17trampoline_kernelINS0_14default_configENS1_35adjacent_difference_config_selectorILb0ElEEZNS1_24adjacent_difference_implIS3_Lb0ELb0EPlS7_ZN2at6native12_GLOBAL__N_124unique_dim_cuda_templateIbEESt5tupleIJNS8_6TensorESD_SD_EERKSD_lbbbEUlllE1_EE10hipError_tPvRmT2_T3_mT4_P12ihipStream_tbEUlT_E_NS1_11comp_targetILNS1_3genE5ELNS1_11target_archE942ELNS1_3gpuE9ELNS1_3repE0EEENS1_30default_config_static_selectorELNS0_4arch9wavefront6targetE1EEEvT1_,"axG",@progbits,_ZN7rocprim17ROCPRIM_400000_NS6detail17trampoline_kernelINS0_14default_configENS1_35adjacent_difference_config_selectorILb0ElEEZNS1_24adjacent_difference_implIS3_Lb0ELb0EPlS7_ZN2at6native12_GLOBAL__N_124unique_dim_cuda_templateIbEESt5tupleIJNS8_6TensorESD_SD_EERKSD_lbbbEUlllE1_EE10hipError_tPvRmT2_T3_mT4_P12ihipStream_tbEUlT_E_NS1_11comp_targetILNS1_3genE5ELNS1_11target_archE942ELNS1_3gpuE9ELNS1_3repE0EEENS1_30default_config_static_selectorELNS0_4arch9wavefront6targetE1EEEvT1_,comdat
	.globl	_ZN7rocprim17ROCPRIM_400000_NS6detail17trampoline_kernelINS0_14default_configENS1_35adjacent_difference_config_selectorILb0ElEEZNS1_24adjacent_difference_implIS3_Lb0ELb0EPlS7_ZN2at6native12_GLOBAL__N_124unique_dim_cuda_templateIbEESt5tupleIJNS8_6TensorESD_SD_EERKSD_lbbbEUlllE1_EE10hipError_tPvRmT2_T3_mT4_P12ihipStream_tbEUlT_E_NS1_11comp_targetILNS1_3genE5ELNS1_11target_archE942ELNS1_3gpuE9ELNS1_3repE0EEENS1_30default_config_static_selectorELNS0_4arch9wavefront6targetE1EEEvT1_ ; -- Begin function _ZN7rocprim17ROCPRIM_400000_NS6detail17trampoline_kernelINS0_14default_configENS1_35adjacent_difference_config_selectorILb0ElEEZNS1_24adjacent_difference_implIS3_Lb0ELb0EPlS7_ZN2at6native12_GLOBAL__N_124unique_dim_cuda_templateIbEESt5tupleIJNS8_6TensorESD_SD_EERKSD_lbbbEUlllE1_EE10hipError_tPvRmT2_T3_mT4_P12ihipStream_tbEUlT_E_NS1_11comp_targetILNS1_3genE5ELNS1_11target_archE942ELNS1_3gpuE9ELNS1_3repE0EEENS1_30default_config_static_selectorELNS0_4arch9wavefront6targetE1EEEvT1_
	.p2align	8
	.type	_ZN7rocprim17ROCPRIM_400000_NS6detail17trampoline_kernelINS0_14default_configENS1_35adjacent_difference_config_selectorILb0ElEEZNS1_24adjacent_difference_implIS3_Lb0ELb0EPlS7_ZN2at6native12_GLOBAL__N_124unique_dim_cuda_templateIbEESt5tupleIJNS8_6TensorESD_SD_EERKSD_lbbbEUlllE1_EE10hipError_tPvRmT2_T3_mT4_P12ihipStream_tbEUlT_E_NS1_11comp_targetILNS1_3genE5ELNS1_11target_archE942ELNS1_3gpuE9ELNS1_3repE0EEENS1_30default_config_static_selectorELNS0_4arch9wavefront6targetE1EEEvT1_,@function
_ZN7rocprim17ROCPRIM_400000_NS6detail17trampoline_kernelINS0_14default_configENS1_35adjacent_difference_config_selectorILb0ElEEZNS1_24adjacent_difference_implIS3_Lb0ELb0EPlS7_ZN2at6native12_GLOBAL__N_124unique_dim_cuda_templateIbEESt5tupleIJNS8_6TensorESD_SD_EERKSD_lbbbEUlllE1_EE10hipError_tPvRmT2_T3_mT4_P12ihipStream_tbEUlT_E_NS1_11comp_targetILNS1_3genE5ELNS1_11target_archE942ELNS1_3gpuE9ELNS1_3repE0EEENS1_30default_config_static_selectorELNS0_4arch9wavefront6targetE1EEEvT1_: ; @_ZN7rocprim17ROCPRIM_400000_NS6detail17trampoline_kernelINS0_14default_configENS1_35adjacent_difference_config_selectorILb0ElEEZNS1_24adjacent_difference_implIS3_Lb0ELb0EPlS7_ZN2at6native12_GLOBAL__N_124unique_dim_cuda_templateIbEESt5tupleIJNS8_6TensorESD_SD_EERKSD_lbbbEUlllE1_EE10hipError_tPvRmT2_T3_mT4_P12ihipStream_tbEUlT_E_NS1_11comp_targetILNS1_3genE5ELNS1_11target_archE942ELNS1_3gpuE9ELNS1_3repE0EEENS1_30default_config_static_selectorELNS0_4arch9wavefront6targetE1EEEvT1_
; %bb.0:
	.section	.rodata,"a",@progbits
	.p2align	6, 0x0
	.amdhsa_kernel _ZN7rocprim17ROCPRIM_400000_NS6detail17trampoline_kernelINS0_14default_configENS1_35adjacent_difference_config_selectorILb0ElEEZNS1_24adjacent_difference_implIS3_Lb0ELb0EPlS7_ZN2at6native12_GLOBAL__N_124unique_dim_cuda_templateIbEESt5tupleIJNS8_6TensorESD_SD_EERKSD_lbbbEUlllE1_EE10hipError_tPvRmT2_T3_mT4_P12ihipStream_tbEUlT_E_NS1_11comp_targetILNS1_3genE5ELNS1_11target_archE942ELNS1_3gpuE9ELNS1_3repE0EEENS1_30default_config_static_selectorELNS0_4arch9wavefront6targetE1EEEvT1_
		.amdhsa_group_segment_fixed_size 0
		.amdhsa_private_segment_fixed_size 0
		.amdhsa_kernarg_size 64
		.amdhsa_user_sgpr_count 2
		.amdhsa_user_sgpr_dispatch_ptr 0
		.amdhsa_user_sgpr_queue_ptr 0
		.amdhsa_user_sgpr_kernarg_segment_ptr 1
		.amdhsa_user_sgpr_dispatch_id 0
		.amdhsa_user_sgpr_kernarg_preload_length 0
		.amdhsa_user_sgpr_kernarg_preload_offset 0
		.amdhsa_user_sgpr_private_segment_size 0
		.amdhsa_uses_dynamic_stack 0
		.amdhsa_enable_private_segment 0
		.amdhsa_system_sgpr_workgroup_id_x 1
		.amdhsa_system_sgpr_workgroup_id_y 0
		.amdhsa_system_sgpr_workgroup_id_z 0
		.amdhsa_system_sgpr_workgroup_info 0
		.amdhsa_system_vgpr_workitem_id 0
		.amdhsa_next_free_vgpr 1
		.amdhsa_next_free_sgpr 0
		.amdhsa_accum_offset 4
		.amdhsa_reserve_vcc 0
		.amdhsa_float_round_mode_32 0
		.amdhsa_float_round_mode_16_64 0
		.amdhsa_float_denorm_mode_32 3
		.amdhsa_float_denorm_mode_16_64 3
		.amdhsa_dx10_clamp 1
		.amdhsa_ieee_mode 1
		.amdhsa_fp16_overflow 0
		.amdhsa_tg_split 0
		.amdhsa_exception_fp_ieee_invalid_op 0
		.amdhsa_exception_fp_denorm_src 0
		.amdhsa_exception_fp_ieee_div_zero 0
		.amdhsa_exception_fp_ieee_overflow 0
		.amdhsa_exception_fp_ieee_underflow 0
		.amdhsa_exception_fp_ieee_inexact 0
		.amdhsa_exception_int_div_zero 0
	.end_amdhsa_kernel
	.section	.text._ZN7rocprim17ROCPRIM_400000_NS6detail17trampoline_kernelINS0_14default_configENS1_35adjacent_difference_config_selectorILb0ElEEZNS1_24adjacent_difference_implIS3_Lb0ELb0EPlS7_ZN2at6native12_GLOBAL__N_124unique_dim_cuda_templateIbEESt5tupleIJNS8_6TensorESD_SD_EERKSD_lbbbEUlllE1_EE10hipError_tPvRmT2_T3_mT4_P12ihipStream_tbEUlT_E_NS1_11comp_targetILNS1_3genE5ELNS1_11target_archE942ELNS1_3gpuE9ELNS1_3repE0EEENS1_30default_config_static_selectorELNS0_4arch9wavefront6targetE1EEEvT1_,"axG",@progbits,_ZN7rocprim17ROCPRIM_400000_NS6detail17trampoline_kernelINS0_14default_configENS1_35adjacent_difference_config_selectorILb0ElEEZNS1_24adjacent_difference_implIS3_Lb0ELb0EPlS7_ZN2at6native12_GLOBAL__N_124unique_dim_cuda_templateIbEESt5tupleIJNS8_6TensorESD_SD_EERKSD_lbbbEUlllE1_EE10hipError_tPvRmT2_T3_mT4_P12ihipStream_tbEUlT_E_NS1_11comp_targetILNS1_3genE5ELNS1_11target_archE942ELNS1_3gpuE9ELNS1_3repE0EEENS1_30default_config_static_selectorELNS0_4arch9wavefront6targetE1EEEvT1_,comdat
.Lfunc_end1028:
	.size	_ZN7rocprim17ROCPRIM_400000_NS6detail17trampoline_kernelINS0_14default_configENS1_35adjacent_difference_config_selectorILb0ElEEZNS1_24adjacent_difference_implIS3_Lb0ELb0EPlS7_ZN2at6native12_GLOBAL__N_124unique_dim_cuda_templateIbEESt5tupleIJNS8_6TensorESD_SD_EERKSD_lbbbEUlllE1_EE10hipError_tPvRmT2_T3_mT4_P12ihipStream_tbEUlT_E_NS1_11comp_targetILNS1_3genE5ELNS1_11target_archE942ELNS1_3gpuE9ELNS1_3repE0EEENS1_30default_config_static_selectorELNS0_4arch9wavefront6targetE1EEEvT1_, .Lfunc_end1028-_ZN7rocprim17ROCPRIM_400000_NS6detail17trampoline_kernelINS0_14default_configENS1_35adjacent_difference_config_selectorILb0ElEEZNS1_24adjacent_difference_implIS3_Lb0ELb0EPlS7_ZN2at6native12_GLOBAL__N_124unique_dim_cuda_templateIbEESt5tupleIJNS8_6TensorESD_SD_EERKSD_lbbbEUlllE1_EE10hipError_tPvRmT2_T3_mT4_P12ihipStream_tbEUlT_E_NS1_11comp_targetILNS1_3genE5ELNS1_11target_archE942ELNS1_3gpuE9ELNS1_3repE0EEENS1_30default_config_static_selectorELNS0_4arch9wavefront6targetE1EEEvT1_
                                        ; -- End function
	.set _ZN7rocprim17ROCPRIM_400000_NS6detail17trampoline_kernelINS0_14default_configENS1_35adjacent_difference_config_selectorILb0ElEEZNS1_24adjacent_difference_implIS3_Lb0ELb0EPlS7_ZN2at6native12_GLOBAL__N_124unique_dim_cuda_templateIbEESt5tupleIJNS8_6TensorESD_SD_EERKSD_lbbbEUlllE1_EE10hipError_tPvRmT2_T3_mT4_P12ihipStream_tbEUlT_E_NS1_11comp_targetILNS1_3genE5ELNS1_11target_archE942ELNS1_3gpuE9ELNS1_3repE0EEENS1_30default_config_static_selectorELNS0_4arch9wavefront6targetE1EEEvT1_.num_vgpr, 0
	.set _ZN7rocprim17ROCPRIM_400000_NS6detail17trampoline_kernelINS0_14default_configENS1_35adjacent_difference_config_selectorILb0ElEEZNS1_24adjacent_difference_implIS3_Lb0ELb0EPlS7_ZN2at6native12_GLOBAL__N_124unique_dim_cuda_templateIbEESt5tupleIJNS8_6TensorESD_SD_EERKSD_lbbbEUlllE1_EE10hipError_tPvRmT2_T3_mT4_P12ihipStream_tbEUlT_E_NS1_11comp_targetILNS1_3genE5ELNS1_11target_archE942ELNS1_3gpuE9ELNS1_3repE0EEENS1_30default_config_static_selectorELNS0_4arch9wavefront6targetE1EEEvT1_.num_agpr, 0
	.set _ZN7rocprim17ROCPRIM_400000_NS6detail17trampoline_kernelINS0_14default_configENS1_35adjacent_difference_config_selectorILb0ElEEZNS1_24adjacent_difference_implIS3_Lb0ELb0EPlS7_ZN2at6native12_GLOBAL__N_124unique_dim_cuda_templateIbEESt5tupleIJNS8_6TensorESD_SD_EERKSD_lbbbEUlllE1_EE10hipError_tPvRmT2_T3_mT4_P12ihipStream_tbEUlT_E_NS1_11comp_targetILNS1_3genE5ELNS1_11target_archE942ELNS1_3gpuE9ELNS1_3repE0EEENS1_30default_config_static_selectorELNS0_4arch9wavefront6targetE1EEEvT1_.numbered_sgpr, 0
	.set _ZN7rocprim17ROCPRIM_400000_NS6detail17trampoline_kernelINS0_14default_configENS1_35adjacent_difference_config_selectorILb0ElEEZNS1_24adjacent_difference_implIS3_Lb0ELb0EPlS7_ZN2at6native12_GLOBAL__N_124unique_dim_cuda_templateIbEESt5tupleIJNS8_6TensorESD_SD_EERKSD_lbbbEUlllE1_EE10hipError_tPvRmT2_T3_mT4_P12ihipStream_tbEUlT_E_NS1_11comp_targetILNS1_3genE5ELNS1_11target_archE942ELNS1_3gpuE9ELNS1_3repE0EEENS1_30default_config_static_selectorELNS0_4arch9wavefront6targetE1EEEvT1_.num_named_barrier, 0
	.set _ZN7rocprim17ROCPRIM_400000_NS6detail17trampoline_kernelINS0_14default_configENS1_35adjacent_difference_config_selectorILb0ElEEZNS1_24adjacent_difference_implIS3_Lb0ELb0EPlS7_ZN2at6native12_GLOBAL__N_124unique_dim_cuda_templateIbEESt5tupleIJNS8_6TensorESD_SD_EERKSD_lbbbEUlllE1_EE10hipError_tPvRmT2_T3_mT4_P12ihipStream_tbEUlT_E_NS1_11comp_targetILNS1_3genE5ELNS1_11target_archE942ELNS1_3gpuE9ELNS1_3repE0EEENS1_30default_config_static_selectorELNS0_4arch9wavefront6targetE1EEEvT1_.private_seg_size, 0
	.set _ZN7rocprim17ROCPRIM_400000_NS6detail17trampoline_kernelINS0_14default_configENS1_35adjacent_difference_config_selectorILb0ElEEZNS1_24adjacent_difference_implIS3_Lb0ELb0EPlS7_ZN2at6native12_GLOBAL__N_124unique_dim_cuda_templateIbEESt5tupleIJNS8_6TensorESD_SD_EERKSD_lbbbEUlllE1_EE10hipError_tPvRmT2_T3_mT4_P12ihipStream_tbEUlT_E_NS1_11comp_targetILNS1_3genE5ELNS1_11target_archE942ELNS1_3gpuE9ELNS1_3repE0EEENS1_30default_config_static_selectorELNS0_4arch9wavefront6targetE1EEEvT1_.uses_vcc, 0
	.set _ZN7rocprim17ROCPRIM_400000_NS6detail17trampoline_kernelINS0_14default_configENS1_35adjacent_difference_config_selectorILb0ElEEZNS1_24adjacent_difference_implIS3_Lb0ELb0EPlS7_ZN2at6native12_GLOBAL__N_124unique_dim_cuda_templateIbEESt5tupleIJNS8_6TensorESD_SD_EERKSD_lbbbEUlllE1_EE10hipError_tPvRmT2_T3_mT4_P12ihipStream_tbEUlT_E_NS1_11comp_targetILNS1_3genE5ELNS1_11target_archE942ELNS1_3gpuE9ELNS1_3repE0EEENS1_30default_config_static_selectorELNS0_4arch9wavefront6targetE1EEEvT1_.uses_flat_scratch, 0
	.set _ZN7rocprim17ROCPRIM_400000_NS6detail17trampoline_kernelINS0_14default_configENS1_35adjacent_difference_config_selectorILb0ElEEZNS1_24adjacent_difference_implIS3_Lb0ELb0EPlS7_ZN2at6native12_GLOBAL__N_124unique_dim_cuda_templateIbEESt5tupleIJNS8_6TensorESD_SD_EERKSD_lbbbEUlllE1_EE10hipError_tPvRmT2_T3_mT4_P12ihipStream_tbEUlT_E_NS1_11comp_targetILNS1_3genE5ELNS1_11target_archE942ELNS1_3gpuE9ELNS1_3repE0EEENS1_30default_config_static_selectorELNS0_4arch9wavefront6targetE1EEEvT1_.has_dyn_sized_stack, 0
	.set _ZN7rocprim17ROCPRIM_400000_NS6detail17trampoline_kernelINS0_14default_configENS1_35adjacent_difference_config_selectorILb0ElEEZNS1_24adjacent_difference_implIS3_Lb0ELb0EPlS7_ZN2at6native12_GLOBAL__N_124unique_dim_cuda_templateIbEESt5tupleIJNS8_6TensorESD_SD_EERKSD_lbbbEUlllE1_EE10hipError_tPvRmT2_T3_mT4_P12ihipStream_tbEUlT_E_NS1_11comp_targetILNS1_3genE5ELNS1_11target_archE942ELNS1_3gpuE9ELNS1_3repE0EEENS1_30default_config_static_selectorELNS0_4arch9wavefront6targetE1EEEvT1_.has_recursion, 0
	.set _ZN7rocprim17ROCPRIM_400000_NS6detail17trampoline_kernelINS0_14default_configENS1_35adjacent_difference_config_selectorILb0ElEEZNS1_24adjacent_difference_implIS3_Lb0ELb0EPlS7_ZN2at6native12_GLOBAL__N_124unique_dim_cuda_templateIbEESt5tupleIJNS8_6TensorESD_SD_EERKSD_lbbbEUlllE1_EE10hipError_tPvRmT2_T3_mT4_P12ihipStream_tbEUlT_E_NS1_11comp_targetILNS1_3genE5ELNS1_11target_archE942ELNS1_3gpuE9ELNS1_3repE0EEENS1_30default_config_static_selectorELNS0_4arch9wavefront6targetE1EEEvT1_.has_indirect_call, 0
	.section	.AMDGPU.csdata,"",@progbits
; Kernel info:
; codeLenInByte = 0
; TotalNumSgprs: 6
; NumVgprs: 0
; NumAgprs: 0
; TotalNumVgprs: 0
; ScratchSize: 0
; MemoryBound: 0
; FloatMode: 240
; IeeeMode: 1
; LDSByteSize: 0 bytes/workgroup (compile time only)
; SGPRBlocks: 0
; VGPRBlocks: 0
; NumSGPRsForWavesPerEU: 6
; NumVGPRsForWavesPerEU: 1
; AccumOffset: 4
; Occupancy: 8
; WaveLimiterHint : 0
; COMPUTE_PGM_RSRC2:SCRATCH_EN: 0
; COMPUTE_PGM_RSRC2:USER_SGPR: 2
; COMPUTE_PGM_RSRC2:TRAP_HANDLER: 0
; COMPUTE_PGM_RSRC2:TGID_X_EN: 1
; COMPUTE_PGM_RSRC2:TGID_Y_EN: 0
; COMPUTE_PGM_RSRC2:TGID_Z_EN: 0
; COMPUTE_PGM_RSRC2:TIDIG_COMP_CNT: 0
; COMPUTE_PGM_RSRC3_GFX90A:ACCUM_OFFSET: 0
; COMPUTE_PGM_RSRC3_GFX90A:TG_SPLIT: 0
	.section	.text._ZN7rocprim17ROCPRIM_400000_NS6detail17trampoline_kernelINS0_14default_configENS1_35adjacent_difference_config_selectorILb0ElEEZNS1_24adjacent_difference_implIS3_Lb0ELb0EPlS7_ZN2at6native12_GLOBAL__N_124unique_dim_cuda_templateIbEESt5tupleIJNS8_6TensorESD_SD_EERKSD_lbbbEUlllE1_EE10hipError_tPvRmT2_T3_mT4_P12ihipStream_tbEUlT_E_NS1_11comp_targetILNS1_3genE4ELNS1_11target_archE910ELNS1_3gpuE8ELNS1_3repE0EEENS1_30default_config_static_selectorELNS0_4arch9wavefront6targetE1EEEvT1_,"axG",@progbits,_ZN7rocprim17ROCPRIM_400000_NS6detail17trampoline_kernelINS0_14default_configENS1_35adjacent_difference_config_selectorILb0ElEEZNS1_24adjacent_difference_implIS3_Lb0ELb0EPlS7_ZN2at6native12_GLOBAL__N_124unique_dim_cuda_templateIbEESt5tupleIJNS8_6TensorESD_SD_EERKSD_lbbbEUlllE1_EE10hipError_tPvRmT2_T3_mT4_P12ihipStream_tbEUlT_E_NS1_11comp_targetILNS1_3genE4ELNS1_11target_archE910ELNS1_3gpuE8ELNS1_3repE0EEENS1_30default_config_static_selectorELNS0_4arch9wavefront6targetE1EEEvT1_,comdat
	.globl	_ZN7rocprim17ROCPRIM_400000_NS6detail17trampoline_kernelINS0_14default_configENS1_35adjacent_difference_config_selectorILb0ElEEZNS1_24adjacent_difference_implIS3_Lb0ELb0EPlS7_ZN2at6native12_GLOBAL__N_124unique_dim_cuda_templateIbEESt5tupleIJNS8_6TensorESD_SD_EERKSD_lbbbEUlllE1_EE10hipError_tPvRmT2_T3_mT4_P12ihipStream_tbEUlT_E_NS1_11comp_targetILNS1_3genE4ELNS1_11target_archE910ELNS1_3gpuE8ELNS1_3repE0EEENS1_30default_config_static_selectorELNS0_4arch9wavefront6targetE1EEEvT1_ ; -- Begin function _ZN7rocprim17ROCPRIM_400000_NS6detail17trampoline_kernelINS0_14default_configENS1_35adjacent_difference_config_selectorILb0ElEEZNS1_24adjacent_difference_implIS3_Lb0ELb0EPlS7_ZN2at6native12_GLOBAL__N_124unique_dim_cuda_templateIbEESt5tupleIJNS8_6TensorESD_SD_EERKSD_lbbbEUlllE1_EE10hipError_tPvRmT2_T3_mT4_P12ihipStream_tbEUlT_E_NS1_11comp_targetILNS1_3genE4ELNS1_11target_archE910ELNS1_3gpuE8ELNS1_3repE0EEENS1_30default_config_static_selectorELNS0_4arch9wavefront6targetE1EEEvT1_
	.p2align	8
	.type	_ZN7rocprim17ROCPRIM_400000_NS6detail17trampoline_kernelINS0_14default_configENS1_35adjacent_difference_config_selectorILb0ElEEZNS1_24adjacent_difference_implIS3_Lb0ELb0EPlS7_ZN2at6native12_GLOBAL__N_124unique_dim_cuda_templateIbEESt5tupleIJNS8_6TensorESD_SD_EERKSD_lbbbEUlllE1_EE10hipError_tPvRmT2_T3_mT4_P12ihipStream_tbEUlT_E_NS1_11comp_targetILNS1_3genE4ELNS1_11target_archE910ELNS1_3gpuE8ELNS1_3repE0EEENS1_30default_config_static_selectorELNS0_4arch9wavefront6targetE1EEEvT1_,@function
_ZN7rocprim17ROCPRIM_400000_NS6detail17trampoline_kernelINS0_14default_configENS1_35adjacent_difference_config_selectorILb0ElEEZNS1_24adjacent_difference_implIS3_Lb0ELb0EPlS7_ZN2at6native12_GLOBAL__N_124unique_dim_cuda_templateIbEESt5tupleIJNS8_6TensorESD_SD_EERKSD_lbbbEUlllE1_EE10hipError_tPvRmT2_T3_mT4_P12ihipStream_tbEUlT_E_NS1_11comp_targetILNS1_3genE4ELNS1_11target_archE910ELNS1_3gpuE8ELNS1_3repE0EEENS1_30default_config_static_selectorELNS0_4arch9wavefront6targetE1EEEvT1_: ; @_ZN7rocprim17ROCPRIM_400000_NS6detail17trampoline_kernelINS0_14default_configENS1_35adjacent_difference_config_selectorILb0ElEEZNS1_24adjacent_difference_implIS3_Lb0ELb0EPlS7_ZN2at6native12_GLOBAL__N_124unique_dim_cuda_templateIbEESt5tupleIJNS8_6TensorESD_SD_EERKSD_lbbbEUlllE1_EE10hipError_tPvRmT2_T3_mT4_P12ihipStream_tbEUlT_E_NS1_11comp_targetILNS1_3genE4ELNS1_11target_archE910ELNS1_3gpuE8ELNS1_3repE0EEENS1_30default_config_static_selectorELNS0_4arch9wavefront6targetE1EEEvT1_
; %bb.0:
	.section	.rodata,"a",@progbits
	.p2align	6, 0x0
	.amdhsa_kernel _ZN7rocprim17ROCPRIM_400000_NS6detail17trampoline_kernelINS0_14default_configENS1_35adjacent_difference_config_selectorILb0ElEEZNS1_24adjacent_difference_implIS3_Lb0ELb0EPlS7_ZN2at6native12_GLOBAL__N_124unique_dim_cuda_templateIbEESt5tupleIJNS8_6TensorESD_SD_EERKSD_lbbbEUlllE1_EE10hipError_tPvRmT2_T3_mT4_P12ihipStream_tbEUlT_E_NS1_11comp_targetILNS1_3genE4ELNS1_11target_archE910ELNS1_3gpuE8ELNS1_3repE0EEENS1_30default_config_static_selectorELNS0_4arch9wavefront6targetE1EEEvT1_
		.amdhsa_group_segment_fixed_size 0
		.amdhsa_private_segment_fixed_size 0
		.amdhsa_kernarg_size 64
		.amdhsa_user_sgpr_count 2
		.amdhsa_user_sgpr_dispatch_ptr 0
		.amdhsa_user_sgpr_queue_ptr 0
		.amdhsa_user_sgpr_kernarg_segment_ptr 1
		.amdhsa_user_sgpr_dispatch_id 0
		.amdhsa_user_sgpr_kernarg_preload_length 0
		.amdhsa_user_sgpr_kernarg_preload_offset 0
		.amdhsa_user_sgpr_private_segment_size 0
		.amdhsa_uses_dynamic_stack 0
		.amdhsa_enable_private_segment 0
		.amdhsa_system_sgpr_workgroup_id_x 1
		.amdhsa_system_sgpr_workgroup_id_y 0
		.amdhsa_system_sgpr_workgroup_id_z 0
		.amdhsa_system_sgpr_workgroup_info 0
		.amdhsa_system_vgpr_workitem_id 0
		.amdhsa_next_free_vgpr 1
		.amdhsa_next_free_sgpr 0
		.amdhsa_accum_offset 4
		.amdhsa_reserve_vcc 0
		.amdhsa_float_round_mode_32 0
		.amdhsa_float_round_mode_16_64 0
		.amdhsa_float_denorm_mode_32 3
		.amdhsa_float_denorm_mode_16_64 3
		.amdhsa_dx10_clamp 1
		.amdhsa_ieee_mode 1
		.amdhsa_fp16_overflow 0
		.amdhsa_tg_split 0
		.amdhsa_exception_fp_ieee_invalid_op 0
		.amdhsa_exception_fp_denorm_src 0
		.amdhsa_exception_fp_ieee_div_zero 0
		.amdhsa_exception_fp_ieee_overflow 0
		.amdhsa_exception_fp_ieee_underflow 0
		.amdhsa_exception_fp_ieee_inexact 0
		.amdhsa_exception_int_div_zero 0
	.end_amdhsa_kernel
	.section	.text._ZN7rocprim17ROCPRIM_400000_NS6detail17trampoline_kernelINS0_14default_configENS1_35adjacent_difference_config_selectorILb0ElEEZNS1_24adjacent_difference_implIS3_Lb0ELb0EPlS7_ZN2at6native12_GLOBAL__N_124unique_dim_cuda_templateIbEESt5tupleIJNS8_6TensorESD_SD_EERKSD_lbbbEUlllE1_EE10hipError_tPvRmT2_T3_mT4_P12ihipStream_tbEUlT_E_NS1_11comp_targetILNS1_3genE4ELNS1_11target_archE910ELNS1_3gpuE8ELNS1_3repE0EEENS1_30default_config_static_selectorELNS0_4arch9wavefront6targetE1EEEvT1_,"axG",@progbits,_ZN7rocprim17ROCPRIM_400000_NS6detail17trampoline_kernelINS0_14default_configENS1_35adjacent_difference_config_selectorILb0ElEEZNS1_24adjacent_difference_implIS3_Lb0ELb0EPlS7_ZN2at6native12_GLOBAL__N_124unique_dim_cuda_templateIbEESt5tupleIJNS8_6TensorESD_SD_EERKSD_lbbbEUlllE1_EE10hipError_tPvRmT2_T3_mT4_P12ihipStream_tbEUlT_E_NS1_11comp_targetILNS1_3genE4ELNS1_11target_archE910ELNS1_3gpuE8ELNS1_3repE0EEENS1_30default_config_static_selectorELNS0_4arch9wavefront6targetE1EEEvT1_,comdat
.Lfunc_end1029:
	.size	_ZN7rocprim17ROCPRIM_400000_NS6detail17trampoline_kernelINS0_14default_configENS1_35adjacent_difference_config_selectorILb0ElEEZNS1_24adjacent_difference_implIS3_Lb0ELb0EPlS7_ZN2at6native12_GLOBAL__N_124unique_dim_cuda_templateIbEESt5tupleIJNS8_6TensorESD_SD_EERKSD_lbbbEUlllE1_EE10hipError_tPvRmT2_T3_mT4_P12ihipStream_tbEUlT_E_NS1_11comp_targetILNS1_3genE4ELNS1_11target_archE910ELNS1_3gpuE8ELNS1_3repE0EEENS1_30default_config_static_selectorELNS0_4arch9wavefront6targetE1EEEvT1_, .Lfunc_end1029-_ZN7rocprim17ROCPRIM_400000_NS6detail17trampoline_kernelINS0_14default_configENS1_35adjacent_difference_config_selectorILb0ElEEZNS1_24adjacent_difference_implIS3_Lb0ELb0EPlS7_ZN2at6native12_GLOBAL__N_124unique_dim_cuda_templateIbEESt5tupleIJNS8_6TensorESD_SD_EERKSD_lbbbEUlllE1_EE10hipError_tPvRmT2_T3_mT4_P12ihipStream_tbEUlT_E_NS1_11comp_targetILNS1_3genE4ELNS1_11target_archE910ELNS1_3gpuE8ELNS1_3repE0EEENS1_30default_config_static_selectorELNS0_4arch9wavefront6targetE1EEEvT1_
                                        ; -- End function
	.set _ZN7rocprim17ROCPRIM_400000_NS6detail17trampoline_kernelINS0_14default_configENS1_35adjacent_difference_config_selectorILb0ElEEZNS1_24adjacent_difference_implIS3_Lb0ELb0EPlS7_ZN2at6native12_GLOBAL__N_124unique_dim_cuda_templateIbEESt5tupleIJNS8_6TensorESD_SD_EERKSD_lbbbEUlllE1_EE10hipError_tPvRmT2_T3_mT4_P12ihipStream_tbEUlT_E_NS1_11comp_targetILNS1_3genE4ELNS1_11target_archE910ELNS1_3gpuE8ELNS1_3repE0EEENS1_30default_config_static_selectorELNS0_4arch9wavefront6targetE1EEEvT1_.num_vgpr, 0
	.set _ZN7rocprim17ROCPRIM_400000_NS6detail17trampoline_kernelINS0_14default_configENS1_35adjacent_difference_config_selectorILb0ElEEZNS1_24adjacent_difference_implIS3_Lb0ELb0EPlS7_ZN2at6native12_GLOBAL__N_124unique_dim_cuda_templateIbEESt5tupleIJNS8_6TensorESD_SD_EERKSD_lbbbEUlllE1_EE10hipError_tPvRmT2_T3_mT4_P12ihipStream_tbEUlT_E_NS1_11comp_targetILNS1_3genE4ELNS1_11target_archE910ELNS1_3gpuE8ELNS1_3repE0EEENS1_30default_config_static_selectorELNS0_4arch9wavefront6targetE1EEEvT1_.num_agpr, 0
	.set _ZN7rocprim17ROCPRIM_400000_NS6detail17trampoline_kernelINS0_14default_configENS1_35adjacent_difference_config_selectorILb0ElEEZNS1_24adjacent_difference_implIS3_Lb0ELb0EPlS7_ZN2at6native12_GLOBAL__N_124unique_dim_cuda_templateIbEESt5tupleIJNS8_6TensorESD_SD_EERKSD_lbbbEUlllE1_EE10hipError_tPvRmT2_T3_mT4_P12ihipStream_tbEUlT_E_NS1_11comp_targetILNS1_3genE4ELNS1_11target_archE910ELNS1_3gpuE8ELNS1_3repE0EEENS1_30default_config_static_selectorELNS0_4arch9wavefront6targetE1EEEvT1_.numbered_sgpr, 0
	.set _ZN7rocprim17ROCPRIM_400000_NS6detail17trampoline_kernelINS0_14default_configENS1_35adjacent_difference_config_selectorILb0ElEEZNS1_24adjacent_difference_implIS3_Lb0ELb0EPlS7_ZN2at6native12_GLOBAL__N_124unique_dim_cuda_templateIbEESt5tupleIJNS8_6TensorESD_SD_EERKSD_lbbbEUlllE1_EE10hipError_tPvRmT2_T3_mT4_P12ihipStream_tbEUlT_E_NS1_11comp_targetILNS1_3genE4ELNS1_11target_archE910ELNS1_3gpuE8ELNS1_3repE0EEENS1_30default_config_static_selectorELNS0_4arch9wavefront6targetE1EEEvT1_.num_named_barrier, 0
	.set _ZN7rocprim17ROCPRIM_400000_NS6detail17trampoline_kernelINS0_14default_configENS1_35adjacent_difference_config_selectorILb0ElEEZNS1_24adjacent_difference_implIS3_Lb0ELb0EPlS7_ZN2at6native12_GLOBAL__N_124unique_dim_cuda_templateIbEESt5tupleIJNS8_6TensorESD_SD_EERKSD_lbbbEUlllE1_EE10hipError_tPvRmT2_T3_mT4_P12ihipStream_tbEUlT_E_NS1_11comp_targetILNS1_3genE4ELNS1_11target_archE910ELNS1_3gpuE8ELNS1_3repE0EEENS1_30default_config_static_selectorELNS0_4arch9wavefront6targetE1EEEvT1_.private_seg_size, 0
	.set _ZN7rocprim17ROCPRIM_400000_NS6detail17trampoline_kernelINS0_14default_configENS1_35adjacent_difference_config_selectorILb0ElEEZNS1_24adjacent_difference_implIS3_Lb0ELb0EPlS7_ZN2at6native12_GLOBAL__N_124unique_dim_cuda_templateIbEESt5tupleIJNS8_6TensorESD_SD_EERKSD_lbbbEUlllE1_EE10hipError_tPvRmT2_T3_mT4_P12ihipStream_tbEUlT_E_NS1_11comp_targetILNS1_3genE4ELNS1_11target_archE910ELNS1_3gpuE8ELNS1_3repE0EEENS1_30default_config_static_selectorELNS0_4arch9wavefront6targetE1EEEvT1_.uses_vcc, 0
	.set _ZN7rocprim17ROCPRIM_400000_NS6detail17trampoline_kernelINS0_14default_configENS1_35adjacent_difference_config_selectorILb0ElEEZNS1_24adjacent_difference_implIS3_Lb0ELb0EPlS7_ZN2at6native12_GLOBAL__N_124unique_dim_cuda_templateIbEESt5tupleIJNS8_6TensorESD_SD_EERKSD_lbbbEUlllE1_EE10hipError_tPvRmT2_T3_mT4_P12ihipStream_tbEUlT_E_NS1_11comp_targetILNS1_3genE4ELNS1_11target_archE910ELNS1_3gpuE8ELNS1_3repE0EEENS1_30default_config_static_selectorELNS0_4arch9wavefront6targetE1EEEvT1_.uses_flat_scratch, 0
	.set _ZN7rocprim17ROCPRIM_400000_NS6detail17trampoline_kernelINS0_14default_configENS1_35adjacent_difference_config_selectorILb0ElEEZNS1_24adjacent_difference_implIS3_Lb0ELb0EPlS7_ZN2at6native12_GLOBAL__N_124unique_dim_cuda_templateIbEESt5tupleIJNS8_6TensorESD_SD_EERKSD_lbbbEUlllE1_EE10hipError_tPvRmT2_T3_mT4_P12ihipStream_tbEUlT_E_NS1_11comp_targetILNS1_3genE4ELNS1_11target_archE910ELNS1_3gpuE8ELNS1_3repE0EEENS1_30default_config_static_selectorELNS0_4arch9wavefront6targetE1EEEvT1_.has_dyn_sized_stack, 0
	.set _ZN7rocprim17ROCPRIM_400000_NS6detail17trampoline_kernelINS0_14default_configENS1_35adjacent_difference_config_selectorILb0ElEEZNS1_24adjacent_difference_implIS3_Lb0ELb0EPlS7_ZN2at6native12_GLOBAL__N_124unique_dim_cuda_templateIbEESt5tupleIJNS8_6TensorESD_SD_EERKSD_lbbbEUlllE1_EE10hipError_tPvRmT2_T3_mT4_P12ihipStream_tbEUlT_E_NS1_11comp_targetILNS1_3genE4ELNS1_11target_archE910ELNS1_3gpuE8ELNS1_3repE0EEENS1_30default_config_static_selectorELNS0_4arch9wavefront6targetE1EEEvT1_.has_recursion, 0
	.set _ZN7rocprim17ROCPRIM_400000_NS6detail17trampoline_kernelINS0_14default_configENS1_35adjacent_difference_config_selectorILb0ElEEZNS1_24adjacent_difference_implIS3_Lb0ELb0EPlS7_ZN2at6native12_GLOBAL__N_124unique_dim_cuda_templateIbEESt5tupleIJNS8_6TensorESD_SD_EERKSD_lbbbEUlllE1_EE10hipError_tPvRmT2_T3_mT4_P12ihipStream_tbEUlT_E_NS1_11comp_targetILNS1_3genE4ELNS1_11target_archE910ELNS1_3gpuE8ELNS1_3repE0EEENS1_30default_config_static_selectorELNS0_4arch9wavefront6targetE1EEEvT1_.has_indirect_call, 0
	.section	.AMDGPU.csdata,"",@progbits
; Kernel info:
; codeLenInByte = 0
; TotalNumSgprs: 6
; NumVgprs: 0
; NumAgprs: 0
; TotalNumVgprs: 0
; ScratchSize: 0
; MemoryBound: 0
; FloatMode: 240
; IeeeMode: 1
; LDSByteSize: 0 bytes/workgroup (compile time only)
; SGPRBlocks: 0
; VGPRBlocks: 0
; NumSGPRsForWavesPerEU: 6
; NumVGPRsForWavesPerEU: 1
; AccumOffset: 4
; Occupancy: 8
; WaveLimiterHint : 0
; COMPUTE_PGM_RSRC2:SCRATCH_EN: 0
; COMPUTE_PGM_RSRC2:USER_SGPR: 2
; COMPUTE_PGM_RSRC2:TRAP_HANDLER: 0
; COMPUTE_PGM_RSRC2:TGID_X_EN: 1
; COMPUTE_PGM_RSRC2:TGID_Y_EN: 0
; COMPUTE_PGM_RSRC2:TGID_Z_EN: 0
; COMPUTE_PGM_RSRC2:TIDIG_COMP_CNT: 0
; COMPUTE_PGM_RSRC3_GFX90A:ACCUM_OFFSET: 0
; COMPUTE_PGM_RSRC3_GFX90A:TG_SPLIT: 0
	.section	.text._ZN7rocprim17ROCPRIM_400000_NS6detail17trampoline_kernelINS0_14default_configENS1_35adjacent_difference_config_selectorILb0ElEEZNS1_24adjacent_difference_implIS3_Lb0ELb0EPlS7_ZN2at6native12_GLOBAL__N_124unique_dim_cuda_templateIbEESt5tupleIJNS8_6TensorESD_SD_EERKSD_lbbbEUlllE1_EE10hipError_tPvRmT2_T3_mT4_P12ihipStream_tbEUlT_E_NS1_11comp_targetILNS1_3genE3ELNS1_11target_archE908ELNS1_3gpuE7ELNS1_3repE0EEENS1_30default_config_static_selectorELNS0_4arch9wavefront6targetE1EEEvT1_,"axG",@progbits,_ZN7rocprim17ROCPRIM_400000_NS6detail17trampoline_kernelINS0_14default_configENS1_35adjacent_difference_config_selectorILb0ElEEZNS1_24adjacent_difference_implIS3_Lb0ELb0EPlS7_ZN2at6native12_GLOBAL__N_124unique_dim_cuda_templateIbEESt5tupleIJNS8_6TensorESD_SD_EERKSD_lbbbEUlllE1_EE10hipError_tPvRmT2_T3_mT4_P12ihipStream_tbEUlT_E_NS1_11comp_targetILNS1_3genE3ELNS1_11target_archE908ELNS1_3gpuE7ELNS1_3repE0EEENS1_30default_config_static_selectorELNS0_4arch9wavefront6targetE1EEEvT1_,comdat
	.globl	_ZN7rocprim17ROCPRIM_400000_NS6detail17trampoline_kernelINS0_14default_configENS1_35adjacent_difference_config_selectorILb0ElEEZNS1_24adjacent_difference_implIS3_Lb0ELb0EPlS7_ZN2at6native12_GLOBAL__N_124unique_dim_cuda_templateIbEESt5tupleIJNS8_6TensorESD_SD_EERKSD_lbbbEUlllE1_EE10hipError_tPvRmT2_T3_mT4_P12ihipStream_tbEUlT_E_NS1_11comp_targetILNS1_3genE3ELNS1_11target_archE908ELNS1_3gpuE7ELNS1_3repE0EEENS1_30default_config_static_selectorELNS0_4arch9wavefront6targetE1EEEvT1_ ; -- Begin function _ZN7rocprim17ROCPRIM_400000_NS6detail17trampoline_kernelINS0_14default_configENS1_35adjacent_difference_config_selectorILb0ElEEZNS1_24adjacent_difference_implIS3_Lb0ELb0EPlS7_ZN2at6native12_GLOBAL__N_124unique_dim_cuda_templateIbEESt5tupleIJNS8_6TensorESD_SD_EERKSD_lbbbEUlllE1_EE10hipError_tPvRmT2_T3_mT4_P12ihipStream_tbEUlT_E_NS1_11comp_targetILNS1_3genE3ELNS1_11target_archE908ELNS1_3gpuE7ELNS1_3repE0EEENS1_30default_config_static_selectorELNS0_4arch9wavefront6targetE1EEEvT1_
	.p2align	8
	.type	_ZN7rocprim17ROCPRIM_400000_NS6detail17trampoline_kernelINS0_14default_configENS1_35adjacent_difference_config_selectorILb0ElEEZNS1_24adjacent_difference_implIS3_Lb0ELb0EPlS7_ZN2at6native12_GLOBAL__N_124unique_dim_cuda_templateIbEESt5tupleIJNS8_6TensorESD_SD_EERKSD_lbbbEUlllE1_EE10hipError_tPvRmT2_T3_mT4_P12ihipStream_tbEUlT_E_NS1_11comp_targetILNS1_3genE3ELNS1_11target_archE908ELNS1_3gpuE7ELNS1_3repE0EEENS1_30default_config_static_selectorELNS0_4arch9wavefront6targetE1EEEvT1_,@function
_ZN7rocprim17ROCPRIM_400000_NS6detail17trampoline_kernelINS0_14default_configENS1_35adjacent_difference_config_selectorILb0ElEEZNS1_24adjacent_difference_implIS3_Lb0ELb0EPlS7_ZN2at6native12_GLOBAL__N_124unique_dim_cuda_templateIbEESt5tupleIJNS8_6TensorESD_SD_EERKSD_lbbbEUlllE1_EE10hipError_tPvRmT2_T3_mT4_P12ihipStream_tbEUlT_E_NS1_11comp_targetILNS1_3genE3ELNS1_11target_archE908ELNS1_3gpuE7ELNS1_3repE0EEENS1_30default_config_static_selectorELNS0_4arch9wavefront6targetE1EEEvT1_: ; @_ZN7rocprim17ROCPRIM_400000_NS6detail17trampoline_kernelINS0_14default_configENS1_35adjacent_difference_config_selectorILb0ElEEZNS1_24adjacent_difference_implIS3_Lb0ELb0EPlS7_ZN2at6native12_GLOBAL__N_124unique_dim_cuda_templateIbEESt5tupleIJNS8_6TensorESD_SD_EERKSD_lbbbEUlllE1_EE10hipError_tPvRmT2_T3_mT4_P12ihipStream_tbEUlT_E_NS1_11comp_targetILNS1_3genE3ELNS1_11target_archE908ELNS1_3gpuE7ELNS1_3repE0EEENS1_30default_config_static_selectorELNS0_4arch9wavefront6targetE1EEEvT1_
; %bb.0:
	.section	.rodata,"a",@progbits
	.p2align	6, 0x0
	.amdhsa_kernel _ZN7rocprim17ROCPRIM_400000_NS6detail17trampoline_kernelINS0_14default_configENS1_35adjacent_difference_config_selectorILb0ElEEZNS1_24adjacent_difference_implIS3_Lb0ELb0EPlS7_ZN2at6native12_GLOBAL__N_124unique_dim_cuda_templateIbEESt5tupleIJNS8_6TensorESD_SD_EERKSD_lbbbEUlllE1_EE10hipError_tPvRmT2_T3_mT4_P12ihipStream_tbEUlT_E_NS1_11comp_targetILNS1_3genE3ELNS1_11target_archE908ELNS1_3gpuE7ELNS1_3repE0EEENS1_30default_config_static_selectorELNS0_4arch9wavefront6targetE1EEEvT1_
		.amdhsa_group_segment_fixed_size 0
		.amdhsa_private_segment_fixed_size 0
		.amdhsa_kernarg_size 64
		.amdhsa_user_sgpr_count 2
		.amdhsa_user_sgpr_dispatch_ptr 0
		.amdhsa_user_sgpr_queue_ptr 0
		.amdhsa_user_sgpr_kernarg_segment_ptr 1
		.amdhsa_user_sgpr_dispatch_id 0
		.amdhsa_user_sgpr_kernarg_preload_length 0
		.amdhsa_user_sgpr_kernarg_preload_offset 0
		.amdhsa_user_sgpr_private_segment_size 0
		.amdhsa_uses_dynamic_stack 0
		.amdhsa_enable_private_segment 0
		.amdhsa_system_sgpr_workgroup_id_x 1
		.amdhsa_system_sgpr_workgroup_id_y 0
		.amdhsa_system_sgpr_workgroup_id_z 0
		.amdhsa_system_sgpr_workgroup_info 0
		.amdhsa_system_vgpr_workitem_id 0
		.amdhsa_next_free_vgpr 1
		.amdhsa_next_free_sgpr 0
		.amdhsa_accum_offset 4
		.amdhsa_reserve_vcc 0
		.amdhsa_float_round_mode_32 0
		.amdhsa_float_round_mode_16_64 0
		.amdhsa_float_denorm_mode_32 3
		.amdhsa_float_denorm_mode_16_64 3
		.amdhsa_dx10_clamp 1
		.amdhsa_ieee_mode 1
		.amdhsa_fp16_overflow 0
		.amdhsa_tg_split 0
		.amdhsa_exception_fp_ieee_invalid_op 0
		.amdhsa_exception_fp_denorm_src 0
		.amdhsa_exception_fp_ieee_div_zero 0
		.amdhsa_exception_fp_ieee_overflow 0
		.amdhsa_exception_fp_ieee_underflow 0
		.amdhsa_exception_fp_ieee_inexact 0
		.amdhsa_exception_int_div_zero 0
	.end_amdhsa_kernel
	.section	.text._ZN7rocprim17ROCPRIM_400000_NS6detail17trampoline_kernelINS0_14default_configENS1_35adjacent_difference_config_selectorILb0ElEEZNS1_24adjacent_difference_implIS3_Lb0ELb0EPlS7_ZN2at6native12_GLOBAL__N_124unique_dim_cuda_templateIbEESt5tupleIJNS8_6TensorESD_SD_EERKSD_lbbbEUlllE1_EE10hipError_tPvRmT2_T3_mT4_P12ihipStream_tbEUlT_E_NS1_11comp_targetILNS1_3genE3ELNS1_11target_archE908ELNS1_3gpuE7ELNS1_3repE0EEENS1_30default_config_static_selectorELNS0_4arch9wavefront6targetE1EEEvT1_,"axG",@progbits,_ZN7rocprim17ROCPRIM_400000_NS6detail17trampoline_kernelINS0_14default_configENS1_35adjacent_difference_config_selectorILb0ElEEZNS1_24adjacent_difference_implIS3_Lb0ELb0EPlS7_ZN2at6native12_GLOBAL__N_124unique_dim_cuda_templateIbEESt5tupleIJNS8_6TensorESD_SD_EERKSD_lbbbEUlllE1_EE10hipError_tPvRmT2_T3_mT4_P12ihipStream_tbEUlT_E_NS1_11comp_targetILNS1_3genE3ELNS1_11target_archE908ELNS1_3gpuE7ELNS1_3repE0EEENS1_30default_config_static_selectorELNS0_4arch9wavefront6targetE1EEEvT1_,comdat
.Lfunc_end1030:
	.size	_ZN7rocprim17ROCPRIM_400000_NS6detail17trampoline_kernelINS0_14default_configENS1_35adjacent_difference_config_selectorILb0ElEEZNS1_24adjacent_difference_implIS3_Lb0ELb0EPlS7_ZN2at6native12_GLOBAL__N_124unique_dim_cuda_templateIbEESt5tupleIJNS8_6TensorESD_SD_EERKSD_lbbbEUlllE1_EE10hipError_tPvRmT2_T3_mT4_P12ihipStream_tbEUlT_E_NS1_11comp_targetILNS1_3genE3ELNS1_11target_archE908ELNS1_3gpuE7ELNS1_3repE0EEENS1_30default_config_static_selectorELNS0_4arch9wavefront6targetE1EEEvT1_, .Lfunc_end1030-_ZN7rocprim17ROCPRIM_400000_NS6detail17trampoline_kernelINS0_14default_configENS1_35adjacent_difference_config_selectorILb0ElEEZNS1_24adjacent_difference_implIS3_Lb0ELb0EPlS7_ZN2at6native12_GLOBAL__N_124unique_dim_cuda_templateIbEESt5tupleIJNS8_6TensorESD_SD_EERKSD_lbbbEUlllE1_EE10hipError_tPvRmT2_T3_mT4_P12ihipStream_tbEUlT_E_NS1_11comp_targetILNS1_3genE3ELNS1_11target_archE908ELNS1_3gpuE7ELNS1_3repE0EEENS1_30default_config_static_selectorELNS0_4arch9wavefront6targetE1EEEvT1_
                                        ; -- End function
	.set _ZN7rocprim17ROCPRIM_400000_NS6detail17trampoline_kernelINS0_14default_configENS1_35adjacent_difference_config_selectorILb0ElEEZNS1_24adjacent_difference_implIS3_Lb0ELb0EPlS7_ZN2at6native12_GLOBAL__N_124unique_dim_cuda_templateIbEESt5tupleIJNS8_6TensorESD_SD_EERKSD_lbbbEUlllE1_EE10hipError_tPvRmT2_T3_mT4_P12ihipStream_tbEUlT_E_NS1_11comp_targetILNS1_3genE3ELNS1_11target_archE908ELNS1_3gpuE7ELNS1_3repE0EEENS1_30default_config_static_selectorELNS0_4arch9wavefront6targetE1EEEvT1_.num_vgpr, 0
	.set _ZN7rocprim17ROCPRIM_400000_NS6detail17trampoline_kernelINS0_14default_configENS1_35adjacent_difference_config_selectorILb0ElEEZNS1_24adjacent_difference_implIS3_Lb0ELb0EPlS7_ZN2at6native12_GLOBAL__N_124unique_dim_cuda_templateIbEESt5tupleIJNS8_6TensorESD_SD_EERKSD_lbbbEUlllE1_EE10hipError_tPvRmT2_T3_mT4_P12ihipStream_tbEUlT_E_NS1_11comp_targetILNS1_3genE3ELNS1_11target_archE908ELNS1_3gpuE7ELNS1_3repE0EEENS1_30default_config_static_selectorELNS0_4arch9wavefront6targetE1EEEvT1_.num_agpr, 0
	.set _ZN7rocprim17ROCPRIM_400000_NS6detail17trampoline_kernelINS0_14default_configENS1_35adjacent_difference_config_selectorILb0ElEEZNS1_24adjacent_difference_implIS3_Lb0ELb0EPlS7_ZN2at6native12_GLOBAL__N_124unique_dim_cuda_templateIbEESt5tupleIJNS8_6TensorESD_SD_EERKSD_lbbbEUlllE1_EE10hipError_tPvRmT2_T3_mT4_P12ihipStream_tbEUlT_E_NS1_11comp_targetILNS1_3genE3ELNS1_11target_archE908ELNS1_3gpuE7ELNS1_3repE0EEENS1_30default_config_static_selectorELNS0_4arch9wavefront6targetE1EEEvT1_.numbered_sgpr, 0
	.set _ZN7rocprim17ROCPRIM_400000_NS6detail17trampoline_kernelINS0_14default_configENS1_35adjacent_difference_config_selectorILb0ElEEZNS1_24adjacent_difference_implIS3_Lb0ELb0EPlS7_ZN2at6native12_GLOBAL__N_124unique_dim_cuda_templateIbEESt5tupleIJNS8_6TensorESD_SD_EERKSD_lbbbEUlllE1_EE10hipError_tPvRmT2_T3_mT4_P12ihipStream_tbEUlT_E_NS1_11comp_targetILNS1_3genE3ELNS1_11target_archE908ELNS1_3gpuE7ELNS1_3repE0EEENS1_30default_config_static_selectorELNS0_4arch9wavefront6targetE1EEEvT1_.num_named_barrier, 0
	.set _ZN7rocprim17ROCPRIM_400000_NS6detail17trampoline_kernelINS0_14default_configENS1_35adjacent_difference_config_selectorILb0ElEEZNS1_24adjacent_difference_implIS3_Lb0ELb0EPlS7_ZN2at6native12_GLOBAL__N_124unique_dim_cuda_templateIbEESt5tupleIJNS8_6TensorESD_SD_EERKSD_lbbbEUlllE1_EE10hipError_tPvRmT2_T3_mT4_P12ihipStream_tbEUlT_E_NS1_11comp_targetILNS1_3genE3ELNS1_11target_archE908ELNS1_3gpuE7ELNS1_3repE0EEENS1_30default_config_static_selectorELNS0_4arch9wavefront6targetE1EEEvT1_.private_seg_size, 0
	.set _ZN7rocprim17ROCPRIM_400000_NS6detail17trampoline_kernelINS0_14default_configENS1_35adjacent_difference_config_selectorILb0ElEEZNS1_24adjacent_difference_implIS3_Lb0ELb0EPlS7_ZN2at6native12_GLOBAL__N_124unique_dim_cuda_templateIbEESt5tupleIJNS8_6TensorESD_SD_EERKSD_lbbbEUlllE1_EE10hipError_tPvRmT2_T3_mT4_P12ihipStream_tbEUlT_E_NS1_11comp_targetILNS1_3genE3ELNS1_11target_archE908ELNS1_3gpuE7ELNS1_3repE0EEENS1_30default_config_static_selectorELNS0_4arch9wavefront6targetE1EEEvT1_.uses_vcc, 0
	.set _ZN7rocprim17ROCPRIM_400000_NS6detail17trampoline_kernelINS0_14default_configENS1_35adjacent_difference_config_selectorILb0ElEEZNS1_24adjacent_difference_implIS3_Lb0ELb0EPlS7_ZN2at6native12_GLOBAL__N_124unique_dim_cuda_templateIbEESt5tupleIJNS8_6TensorESD_SD_EERKSD_lbbbEUlllE1_EE10hipError_tPvRmT2_T3_mT4_P12ihipStream_tbEUlT_E_NS1_11comp_targetILNS1_3genE3ELNS1_11target_archE908ELNS1_3gpuE7ELNS1_3repE0EEENS1_30default_config_static_selectorELNS0_4arch9wavefront6targetE1EEEvT1_.uses_flat_scratch, 0
	.set _ZN7rocprim17ROCPRIM_400000_NS6detail17trampoline_kernelINS0_14default_configENS1_35adjacent_difference_config_selectorILb0ElEEZNS1_24adjacent_difference_implIS3_Lb0ELb0EPlS7_ZN2at6native12_GLOBAL__N_124unique_dim_cuda_templateIbEESt5tupleIJNS8_6TensorESD_SD_EERKSD_lbbbEUlllE1_EE10hipError_tPvRmT2_T3_mT4_P12ihipStream_tbEUlT_E_NS1_11comp_targetILNS1_3genE3ELNS1_11target_archE908ELNS1_3gpuE7ELNS1_3repE0EEENS1_30default_config_static_selectorELNS0_4arch9wavefront6targetE1EEEvT1_.has_dyn_sized_stack, 0
	.set _ZN7rocprim17ROCPRIM_400000_NS6detail17trampoline_kernelINS0_14default_configENS1_35adjacent_difference_config_selectorILb0ElEEZNS1_24adjacent_difference_implIS3_Lb0ELb0EPlS7_ZN2at6native12_GLOBAL__N_124unique_dim_cuda_templateIbEESt5tupleIJNS8_6TensorESD_SD_EERKSD_lbbbEUlllE1_EE10hipError_tPvRmT2_T3_mT4_P12ihipStream_tbEUlT_E_NS1_11comp_targetILNS1_3genE3ELNS1_11target_archE908ELNS1_3gpuE7ELNS1_3repE0EEENS1_30default_config_static_selectorELNS0_4arch9wavefront6targetE1EEEvT1_.has_recursion, 0
	.set _ZN7rocprim17ROCPRIM_400000_NS6detail17trampoline_kernelINS0_14default_configENS1_35adjacent_difference_config_selectorILb0ElEEZNS1_24adjacent_difference_implIS3_Lb0ELb0EPlS7_ZN2at6native12_GLOBAL__N_124unique_dim_cuda_templateIbEESt5tupleIJNS8_6TensorESD_SD_EERKSD_lbbbEUlllE1_EE10hipError_tPvRmT2_T3_mT4_P12ihipStream_tbEUlT_E_NS1_11comp_targetILNS1_3genE3ELNS1_11target_archE908ELNS1_3gpuE7ELNS1_3repE0EEENS1_30default_config_static_selectorELNS0_4arch9wavefront6targetE1EEEvT1_.has_indirect_call, 0
	.section	.AMDGPU.csdata,"",@progbits
; Kernel info:
; codeLenInByte = 0
; TotalNumSgprs: 6
; NumVgprs: 0
; NumAgprs: 0
; TotalNumVgprs: 0
; ScratchSize: 0
; MemoryBound: 0
; FloatMode: 240
; IeeeMode: 1
; LDSByteSize: 0 bytes/workgroup (compile time only)
; SGPRBlocks: 0
; VGPRBlocks: 0
; NumSGPRsForWavesPerEU: 6
; NumVGPRsForWavesPerEU: 1
; AccumOffset: 4
; Occupancy: 8
; WaveLimiterHint : 0
; COMPUTE_PGM_RSRC2:SCRATCH_EN: 0
; COMPUTE_PGM_RSRC2:USER_SGPR: 2
; COMPUTE_PGM_RSRC2:TRAP_HANDLER: 0
; COMPUTE_PGM_RSRC2:TGID_X_EN: 1
; COMPUTE_PGM_RSRC2:TGID_Y_EN: 0
; COMPUTE_PGM_RSRC2:TGID_Z_EN: 0
; COMPUTE_PGM_RSRC2:TIDIG_COMP_CNT: 0
; COMPUTE_PGM_RSRC3_GFX90A:ACCUM_OFFSET: 0
; COMPUTE_PGM_RSRC3_GFX90A:TG_SPLIT: 0
	.section	.text._ZN7rocprim17ROCPRIM_400000_NS6detail17trampoline_kernelINS0_14default_configENS1_35adjacent_difference_config_selectorILb0ElEEZNS1_24adjacent_difference_implIS3_Lb0ELb0EPlS7_ZN2at6native12_GLOBAL__N_124unique_dim_cuda_templateIbEESt5tupleIJNS8_6TensorESD_SD_EERKSD_lbbbEUlllE1_EE10hipError_tPvRmT2_T3_mT4_P12ihipStream_tbEUlT_E_NS1_11comp_targetILNS1_3genE2ELNS1_11target_archE906ELNS1_3gpuE6ELNS1_3repE0EEENS1_30default_config_static_selectorELNS0_4arch9wavefront6targetE1EEEvT1_,"axG",@progbits,_ZN7rocprim17ROCPRIM_400000_NS6detail17trampoline_kernelINS0_14default_configENS1_35adjacent_difference_config_selectorILb0ElEEZNS1_24adjacent_difference_implIS3_Lb0ELb0EPlS7_ZN2at6native12_GLOBAL__N_124unique_dim_cuda_templateIbEESt5tupleIJNS8_6TensorESD_SD_EERKSD_lbbbEUlllE1_EE10hipError_tPvRmT2_T3_mT4_P12ihipStream_tbEUlT_E_NS1_11comp_targetILNS1_3genE2ELNS1_11target_archE906ELNS1_3gpuE6ELNS1_3repE0EEENS1_30default_config_static_selectorELNS0_4arch9wavefront6targetE1EEEvT1_,comdat
	.globl	_ZN7rocprim17ROCPRIM_400000_NS6detail17trampoline_kernelINS0_14default_configENS1_35adjacent_difference_config_selectorILb0ElEEZNS1_24adjacent_difference_implIS3_Lb0ELb0EPlS7_ZN2at6native12_GLOBAL__N_124unique_dim_cuda_templateIbEESt5tupleIJNS8_6TensorESD_SD_EERKSD_lbbbEUlllE1_EE10hipError_tPvRmT2_T3_mT4_P12ihipStream_tbEUlT_E_NS1_11comp_targetILNS1_3genE2ELNS1_11target_archE906ELNS1_3gpuE6ELNS1_3repE0EEENS1_30default_config_static_selectorELNS0_4arch9wavefront6targetE1EEEvT1_ ; -- Begin function _ZN7rocprim17ROCPRIM_400000_NS6detail17trampoline_kernelINS0_14default_configENS1_35adjacent_difference_config_selectorILb0ElEEZNS1_24adjacent_difference_implIS3_Lb0ELb0EPlS7_ZN2at6native12_GLOBAL__N_124unique_dim_cuda_templateIbEESt5tupleIJNS8_6TensorESD_SD_EERKSD_lbbbEUlllE1_EE10hipError_tPvRmT2_T3_mT4_P12ihipStream_tbEUlT_E_NS1_11comp_targetILNS1_3genE2ELNS1_11target_archE906ELNS1_3gpuE6ELNS1_3repE0EEENS1_30default_config_static_selectorELNS0_4arch9wavefront6targetE1EEEvT1_
	.p2align	8
	.type	_ZN7rocprim17ROCPRIM_400000_NS6detail17trampoline_kernelINS0_14default_configENS1_35adjacent_difference_config_selectorILb0ElEEZNS1_24adjacent_difference_implIS3_Lb0ELb0EPlS7_ZN2at6native12_GLOBAL__N_124unique_dim_cuda_templateIbEESt5tupleIJNS8_6TensorESD_SD_EERKSD_lbbbEUlllE1_EE10hipError_tPvRmT2_T3_mT4_P12ihipStream_tbEUlT_E_NS1_11comp_targetILNS1_3genE2ELNS1_11target_archE906ELNS1_3gpuE6ELNS1_3repE0EEENS1_30default_config_static_selectorELNS0_4arch9wavefront6targetE1EEEvT1_,@function
_ZN7rocprim17ROCPRIM_400000_NS6detail17trampoline_kernelINS0_14default_configENS1_35adjacent_difference_config_selectorILb0ElEEZNS1_24adjacent_difference_implIS3_Lb0ELb0EPlS7_ZN2at6native12_GLOBAL__N_124unique_dim_cuda_templateIbEESt5tupleIJNS8_6TensorESD_SD_EERKSD_lbbbEUlllE1_EE10hipError_tPvRmT2_T3_mT4_P12ihipStream_tbEUlT_E_NS1_11comp_targetILNS1_3genE2ELNS1_11target_archE906ELNS1_3gpuE6ELNS1_3repE0EEENS1_30default_config_static_selectorELNS0_4arch9wavefront6targetE1EEEvT1_: ; @_ZN7rocprim17ROCPRIM_400000_NS6detail17trampoline_kernelINS0_14default_configENS1_35adjacent_difference_config_selectorILb0ElEEZNS1_24adjacent_difference_implIS3_Lb0ELb0EPlS7_ZN2at6native12_GLOBAL__N_124unique_dim_cuda_templateIbEESt5tupleIJNS8_6TensorESD_SD_EERKSD_lbbbEUlllE1_EE10hipError_tPvRmT2_T3_mT4_P12ihipStream_tbEUlT_E_NS1_11comp_targetILNS1_3genE2ELNS1_11target_archE906ELNS1_3gpuE6ELNS1_3repE0EEENS1_30default_config_static_selectorELNS0_4arch9wavefront6targetE1EEEvT1_
; %bb.0:
	.section	.rodata,"a",@progbits
	.p2align	6, 0x0
	.amdhsa_kernel _ZN7rocprim17ROCPRIM_400000_NS6detail17trampoline_kernelINS0_14default_configENS1_35adjacent_difference_config_selectorILb0ElEEZNS1_24adjacent_difference_implIS3_Lb0ELb0EPlS7_ZN2at6native12_GLOBAL__N_124unique_dim_cuda_templateIbEESt5tupleIJNS8_6TensorESD_SD_EERKSD_lbbbEUlllE1_EE10hipError_tPvRmT2_T3_mT4_P12ihipStream_tbEUlT_E_NS1_11comp_targetILNS1_3genE2ELNS1_11target_archE906ELNS1_3gpuE6ELNS1_3repE0EEENS1_30default_config_static_selectorELNS0_4arch9wavefront6targetE1EEEvT1_
		.amdhsa_group_segment_fixed_size 0
		.amdhsa_private_segment_fixed_size 0
		.amdhsa_kernarg_size 64
		.amdhsa_user_sgpr_count 2
		.amdhsa_user_sgpr_dispatch_ptr 0
		.amdhsa_user_sgpr_queue_ptr 0
		.amdhsa_user_sgpr_kernarg_segment_ptr 1
		.amdhsa_user_sgpr_dispatch_id 0
		.amdhsa_user_sgpr_kernarg_preload_length 0
		.amdhsa_user_sgpr_kernarg_preload_offset 0
		.amdhsa_user_sgpr_private_segment_size 0
		.amdhsa_uses_dynamic_stack 0
		.amdhsa_enable_private_segment 0
		.amdhsa_system_sgpr_workgroup_id_x 1
		.amdhsa_system_sgpr_workgroup_id_y 0
		.amdhsa_system_sgpr_workgroup_id_z 0
		.amdhsa_system_sgpr_workgroup_info 0
		.amdhsa_system_vgpr_workitem_id 0
		.amdhsa_next_free_vgpr 1
		.amdhsa_next_free_sgpr 0
		.amdhsa_accum_offset 4
		.amdhsa_reserve_vcc 0
		.amdhsa_float_round_mode_32 0
		.amdhsa_float_round_mode_16_64 0
		.amdhsa_float_denorm_mode_32 3
		.amdhsa_float_denorm_mode_16_64 3
		.amdhsa_dx10_clamp 1
		.amdhsa_ieee_mode 1
		.amdhsa_fp16_overflow 0
		.amdhsa_tg_split 0
		.amdhsa_exception_fp_ieee_invalid_op 0
		.amdhsa_exception_fp_denorm_src 0
		.amdhsa_exception_fp_ieee_div_zero 0
		.amdhsa_exception_fp_ieee_overflow 0
		.amdhsa_exception_fp_ieee_underflow 0
		.amdhsa_exception_fp_ieee_inexact 0
		.amdhsa_exception_int_div_zero 0
	.end_amdhsa_kernel
	.section	.text._ZN7rocprim17ROCPRIM_400000_NS6detail17trampoline_kernelINS0_14default_configENS1_35adjacent_difference_config_selectorILb0ElEEZNS1_24adjacent_difference_implIS3_Lb0ELb0EPlS7_ZN2at6native12_GLOBAL__N_124unique_dim_cuda_templateIbEESt5tupleIJNS8_6TensorESD_SD_EERKSD_lbbbEUlllE1_EE10hipError_tPvRmT2_T3_mT4_P12ihipStream_tbEUlT_E_NS1_11comp_targetILNS1_3genE2ELNS1_11target_archE906ELNS1_3gpuE6ELNS1_3repE0EEENS1_30default_config_static_selectorELNS0_4arch9wavefront6targetE1EEEvT1_,"axG",@progbits,_ZN7rocprim17ROCPRIM_400000_NS6detail17trampoline_kernelINS0_14default_configENS1_35adjacent_difference_config_selectorILb0ElEEZNS1_24adjacent_difference_implIS3_Lb0ELb0EPlS7_ZN2at6native12_GLOBAL__N_124unique_dim_cuda_templateIbEESt5tupleIJNS8_6TensorESD_SD_EERKSD_lbbbEUlllE1_EE10hipError_tPvRmT2_T3_mT4_P12ihipStream_tbEUlT_E_NS1_11comp_targetILNS1_3genE2ELNS1_11target_archE906ELNS1_3gpuE6ELNS1_3repE0EEENS1_30default_config_static_selectorELNS0_4arch9wavefront6targetE1EEEvT1_,comdat
.Lfunc_end1031:
	.size	_ZN7rocprim17ROCPRIM_400000_NS6detail17trampoline_kernelINS0_14default_configENS1_35adjacent_difference_config_selectorILb0ElEEZNS1_24adjacent_difference_implIS3_Lb0ELb0EPlS7_ZN2at6native12_GLOBAL__N_124unique_dim_cuda_templateIbEESt5tupleIJNS8_6TensorESD_SD_EERKSD_lbbbEUlllE1_EE10hipError_tPvRmT2_T3_mT4_P12ihipStream_tbEUlT_E_NS1_11comp_targetILNS1_3genE2ELNS1_11target_archE906ELNS1_3gpuE6ELNS1_3repE0EEENS1_30default_config_static_selectorELNS0_4arch9wavefront6targetE1EEEvT1_, .Lfunc_end1031-_ZN7rocprim17ROCPRIM_400000_NS6detail17trampoline_kernelINS0_14default_configENS1_35adjacent_difference_config_selectorILb0ElEEZNS1_24adjacent_difference_implIS3_Lb0ELb0EPlS7_ZN2at6native12_GLOBAL__N_124unique_dim_cuda_templateIbEESt5tupleIJNS8_6TensorESD_SD_EERKSD_lbbbEUlllE1_EE10hipError_tPvRmT2_T3_mT4_P12ihipStream_tbEUlT_E_NS1_11comp_targetILNS1_3genE2ELNS1_11target_archE906ELNS1_3gpuE6ELNS1_3repE0EEENS1_30default_config_static_selectorELNS0_4arch9wavefront6targetE1EEEvT1_
                                        ; -- End function
	.set _ZN7rocprim17ROCPRIM_400000_NS6detail17trampoline_kernelINS0_14default_configENS1_35adjacent_difference_config_selectorILb0ElEEZNS1_24adjacent_difference_implIS3_Lb0ELb0EPlS7_ZN2at6native12_GLOBAL__N_124unique_dim_cuda_templateIbEESt5tupleIJNS8_6TensorESD_SD_EERKSD_lbbbEUlllE1_EE10hipError_tPvRmT2_T3_mT4_P12ihipStream_tbEUlT_E_NS1_11comp_targetILNS1_3genE2ELNS1_11target_archE906ELNS1_3gpuE6ELNS1_3repE0EEENS1_30default_config_static_selectorELNS0_4arch9wavefront6targetE1EEEvT1_.num_vgpr, 0
	.set _ZN7rocprim17ROCPRIM_400000_NS6detail17trampoline_kernelINS0_14default_configENS1_35adjacent_difference_config_selectorILb0ElEEZNS1_24adjacent_difference_implIS3_Lb0ELb0EPlS7_ZN2at6native12_GLOBAL__N_124unique_dim_cuda_templateIbEESt5tupleIJNS8_6TensorESD_SD_EERKSD_lbbbEUlllE1_EE10hipError_tPvRmT2_T3_mT4_P12ihipStream_tbEUlT_E_NS1_11comp_targetILNS1_3genE2ELNS1_11target_archE906ELNS1_3gpuE6ELNS1_3repE0EEENS1_30default_config_static_selectorELNS0_4arch9wavefront6targetE1EEEvT1_.num_agpr, 0
	.set _ZN7rocprim17ROCPRIM_400000_NS6detail17trampoline_kernelINS0_14default_configENS1_35adjacent_difference_config_selectorILb0ElEEZNS1_24adjacent_difference_implIS3_Lb0ELb0EPlS7_ZN2at6native12_GLOBAL__N_124unique_dim_cuda_templateIbEESt5tupleIJNS8_6TensorESD_SD_EERKSD_lbbbEUlllE1_EE10hipError_tPvRmT2_T3_mT4_P12ihipStream_tbEUlT_E_NS1_11comp_targetILNS1_3genE2ELNS1_11target_archE906ELNS1_3gpuE6ELNS1_3repE0EEENS1_30default_config_static_selectorELNS0_4arch9wavefront6targetE1EEEvT1_.numbered_sgpr, 0
	.set _ZN7rocprim17ROCPRIM_400000_NS6detail17trampoline_kernelINS0_14default_configENS1_35adjacent_difference_config_selectorILb0ElEEZNS1_24adjacent_difference_implIS3_Lb0ELb0EPlS7_ZN2at6native12_GLOBAL__N_124unique_dim_cuda_templateIbEESt5tupleIJNS8_6TensorESD_SD_EERKSD_lbbbEUlllE1_EE10hipError_tPvRmT2_T3_mT4_P12ihipStream_tbEUlT_E_NS1_11comp_targetILNS1_3genE2ELNS1_11target_archE906ELNS1_3gpuE6ELNS1_3repE0EEENS1_30default_config_static_selectorELNS0_4arch9wavefront6targetE1EEEvT1_.num_named_barrier, 0
	.set _ZN7rocprim17ROCPRIM_400000_NS6detail17trampoline_kernelINS0_14default_configENS1_35adjacent_difference_config_selectorILb0ElEEZNS1_24adjacent_difference_implIS3_Lb0ELb0EPlS7_ZN2at6native12_GLOBAL__N_124unique_dim_cuda_templateIbEESt5tupleIJNS8_6TensorESD_SD_EERKSD_lbbbEUlllE1_EE10hipError_tPvRmT2_T3_mT4_P12ihipStream_tbEUlT_E_NS1_11comp_targetILNS1_3genE2ELNS1_11target_archE906ELNS1_3gpuE6ELNS1_3repE0EEENS1_30default_config_static_selectorELNS0_4arch9wavefront6targetE1EEEvT1_.private_seg_size, 0
	.set _ZN7rocprim17ROCPRIM_400000_NS6detail17trampoline_kernelINS0_14default_configENS1_35adjacent_difference_config_selectorILb0ElEEZNS1_24adjacent_difference_implIS3_Lb0ELb0EPlS7_ZN2at6native12_GLOBAL__N_124unique_dim_cuda_templateIbEESt5tupleIJNS8_6TensorESD_SD_EERKSD_lbbbEUlllE1_EE10hipError_tPvRmT2_T3_mT4_P12ihipStream_tbEUlT_E_NS1_11comp_targetILNS1_3genE2ELNS1_11target_archE906ELNS1_3gpuE6ELNS1_3repE0EEENS1_30default_config_static_selectorELNS0_4arch9wavefront6targetE1EEEvT1_.uses_vcc, 0
	.set _ZN7rocprim17ROCPRIM_400000_NS6detail17trampoline_kernelINS0_14default_configENS1_35adjacent_difference_config_selectorILb0ElEEZNS1_24adjacent_difference_implIS3_Lb0ELb0EPlS7_ZN2at6native12_GLOBAL__N_124unique_dim_cuda_templateIbEESt5tupleIJNS8_6TensorESD_SD_EERKSD_lbbbEUlllE1_EE10hipError_tPvRmT2_T3_mT4_P12ihipStream_tbEUlT_E_NS1_11comp_targetILNS1_3genE2ELNS1_11target_archE906ELNS1_3gpuE6ELNS1_3repE0EEENS1_30default_config_static_selectorELNS0_4arch9wavefront6targetE1EEEvT1_.uses_flat_scratch, 0
	.set _ZN7rocprim17ROCPRIM_400000_NS6detail17trampoline_kernelINS0_14default_configENS1_35adjacent_difference_config_selectorILb0ElEEZNS1_24adjacent_difference_implIS3_Lb0ELb0EPlS7_ZN2at6native12_GLOBAL__N_124unique_dim_cuda_templateIbEESt5tupleIJNS8_6TensorESD_SD_EERKSD_lbbbEUlllE1_EE10hipError_tPvRmT2_T3_mT4_P12ihipStream_tbEUlT_E_NS1_11comp_targetILNS1_3genE2ELNS1_11target_archE906ELNS1_3gpuE6ELNS1_3repE0EEENS1_30default_config_static_selectorELNS0_4arch9wavefront6targetE1EEEvT1_.has_dyn_sized_stack, 0
	.set _ZN7rocprim17ROCPRIM_400000_NS6detail17trampoline_kernelINS0_14default_configENS1_35adjacent_difference_config_selectorILb0ElEEZNS1_24adjacent_difference_implIS3_Lb0ELb0EPlS7_ZN2at6native12_GLOBAL__N_124unique_dim_cuda_templateIbEESt5tupleIJNS8_6TensorESD_SD_EERKSD_lbbbEUlllE1_EE10hipError_tPvRmT2_T3_mT4_P12ihipStream_tbEUlT_E_NS1_11comp_targetILNS1_3genE2ELNS1_11target_archE906ELNS1_3gpuE6ELNS1_3repE0EEENS1_30default_config_static_selectorELNS0_4arch9wavefront6targetE1EEEvT1_.has_recursion, 0
	.set _ZN7rocprim17ROCPRIM_400000_NS6detail17trampoline_kernelINS0_14default_configENS1_35adjacent_difference_config_selectorILb0ElEEZNS1_24adjacent_difference_implIS3_Lb0ELb0EPlS7_ZN2at6native12_GLOBAL__N_124unique_dim_cuda_templateIbEESt5tupleIJNS8_6TensorESD_SD_EERKSD_lbbbEUlllE1_EE10hipError_tPvRmT2_T3_mT4_P12ihipStream_tbEUlT_E_NS1_11comp_targetILNS1_3genE2ELNS1_11target_archE906ELNS1_3gpuE6ELNS1_3repE0EEENS1_30default_config_static_selectorELNS0_4arch9wavefront6targetE1EEEvT1_.has_indirect_call, 0
	.section	.AMDGPU.csdata,"",@progbits
; Kernel info:
; codeLenInByte = 0
; TotalNumSgprs: 6
; NumVgprs: 0
; NumAgprs: 0
; TotalNumVgprs: 0
; ScratchSize: 0
; MemoryBound: 0
; FloatMode: 240
; IeeeMode: 1
; LDSByteSize: 0 bytes/workgroup (compile time only)
; SGPRBlocks: 0
; VGPRBlocks: 0
; NumSGPRsForWavesPerEU: 6
; NumVGPRsForWavesPerEU: 1
; AccumOffset: 4
; Occupancy: 8
; WaveLimiterHint : 0
; COMPUTE_PGM_RSRC2:SCRATCH_EN: 0
; COMPUTE_PGM_RSRC2:USER_SGPR: 2
; COMPUTE_PGM_RSRC2:TRAP_HANDLER: 0
; COMPUTE_PGM_RSRC2:TGID_X_EN: 1
; COMPUTE_PGM_RSRC2:TGID_Y_EN: 0
; COMPUTE_PGM_RSRC2:TGID_Z_EN: 0
; COMPUTE_PGM_RSRC2:TIDIG_COMP_CNT: 0
; COMPUTE_PGM_RSRC3_GFX90A:ACCUM_OFFSET: 0
; COMPUTE_PGM_RSRC3_GFX90A:TG_SPLIT: 0
	.section	.text._ZN7rocprim17ROCPRIM_400000_NS6detail17trampoline_kernelINS0_14default_configENS1_35adjacent_difference_config_selectorILb0ElEEZNS1_24adjacent_difference_implIS3_Lb0ELb0EPlS7_ZN2at6native12_GLOBAL__N_124unique_dim_cuda_templateIbEESt5tupleIJNS8_6TensorESD_SD_EERKSD_lbbbEUlllE1_EE10hipError_tPvRmT2_T3_mT4_P12ihipStream_tbEUlT_E_NS1_11comp_targetILNS1_3genE9ELNS1_11target_archE1100ELNS1_3gpuE3ELNS1_3repE0EEENS1_30default_config_static_selectorELNS0_4arch9wavefront6targetE1EEEvT1_,"axG",@progbits,_ZN7rocprim17ROCPRIM_400000_NS6detail17trampoline_kernelINS0_14default_configENS1_35adjacent_difference_config_selectorILb0ElEEZNS1_24adjacent_difference_implIS3_Lb0ELb0EPlS7_ZN2at6native12_GLOBAL__N_124unique_dim_cuda_templateIbEESt5tupleIJNS8_6TensorESD_SD_EERKSD_lbbbEUlllE1_EE10hipError_tPvRmT2_T3_mT4_P12ihipStream_tbEUlT_E_NS1_11comp_targetILNS1_3genE9ELNS1_11target_archE1100ELNS1_3gpuE3ELNS1_3repE0EEENS1_30default_config_static_selectorELNS0_4arch9wavefront6targetE1EEEvT1_,comdat
	.globl	_ZN7rocprim17ROCPRIM_400000_NS6detail17trampoline_kernelINS0_14default_configENS1_35adjacent_difference_config_selectorILb0ElEEZNS1_24adjacent_difference_implIS3_Lb0ELb0EPlS7_ZN2at6native12_GLOBAL__N_124unique_dim_cuda_templateIbEESt5tupleIJNS8_6TensorESD_SD_EERKSD_lbbbEUlllE1_EE10hipError_tPvRmT2_T3_mT4_P12ihipStream_tbEUlT_E_NS1_11comp_targetILNS1_3genE9ELNS1_11target_archE1100ELNS1_3gpuE3ELNS1_3repE0EEENS1_30default_config_static_selectorELNS0_4arch9wavefront6targetE1EEEvT1_ ; -- Begin function _ZN7rocprim17ROCPRIM_400000_NS6detail17trampoline_kernelINS0_14default_configENS1_35adjacent_difference_config_selectorILb0ElEEZNS1_24adjacent_difference_implIS3_Lb0ELb0EPlS7_ZN2at6native12_GLOBAL__N_124unique_dim_cuda_templateIbEESt5tupleIJNS8_6TensorESD_SD_EERKSD_lbbbEUlllE1_EE10hipError_tPvRmT2_T3_mT4_P12ihipStream_tbEUlT_E_NS1_11comp_targetILNS1_3genE9ELNS1_11target_archE1100ELNS1_3gpuE3ELNS1_3repE0EEENS1_30default_config_static_selectorELNS0_4arch9wavefront6targetE1EEEvT1_
	.p2align	8
	.type	_ZN7rocprim17ROCPRIM_400000_NS6detail17trampoline_kernelINS0_14default_configENS1_35adjacent_difference_config_selectorILb0ElEEZNS1_24adjacent_difference_implIS3_Lb0ELb0EPlS7_ZN2at6native12_GLOBAL__N_124unique_dim_cuda_templateIbEESt5tupleIJNS8_6TensorESD_SD_EERKSD_lbbbEUlllE1_EE10hipError_tPvRmT2_T3_mT4_P12ihipStream_tbEUlT_E_NS1_11comp_targetILNS1_3genE9ELNS1_11target_archE1100ELNS1_3gpuE3ELNS1_3repE0EEENS1_30default_config_static_selectorELNS0_4arch9wavefront6targetE1EEEvT1_,@function
_ZN7rocprim17ROCPRIM_400000_NS6detail17trampoline_kernelINS0_14default_configENS1_35adjacent_difference_config_selectorILb0ElEEZNS1_24adjacent_difference_implIS3_Lb0ELb0EPlS7_ZN2at6native12_GLOBAL__N_124unique_dim_cuda_templateIbEESt5tupleIJNS8_6TensorESD_SD_EERKSD_lbbbEUlllE1_EE10hipError_tPvRmT2_T3_mT4_P12ihipStream_tbEUlT_E_NS1_11comp_targetILNS1_3genE9ELNS1_11target_archE1100ELNS1_3gpuE3ELNS1_3repE0EEENS1_30default_config_static_selectorELNS0_4arch9wavefront6targetE1EEEvT1_: ; @_ZN7rocprim17ROCPRIM_400000_NS6detail17trampoline_kernelINS0_14default_configENS1_35adjacent_difference_config_selectorILb0ElEEZNS1_24adjacent_difference_implIS3_Lb0ELb0EPlS7_ZN2at6native12_GLOBAL__N_124unique_dim_cuda_templateIbEESt5tupleIJNS8_6TensorESD_SD_EERKSD_lbbbEUlllE1_EE10hipError_tPvRmT2_T3_mT4_P12ihipStream_tbEUlT_E_NS1_11comp_targetILNS1_3genE9ELNS1_11target_archE1100ELNS1_3gpuE3ELNS1_3repE0EEENS1_30default_config_static_selectorELNS0_4arch9wavefront6targetE1EEEvT1_
; %bb.0:
	.section	.rodata,"a",@progbits
	.p2align	6, 0x0
	.amdhsa_kernel _ZN7rocprim17ROCPRIM_400000_NS6detail17trampoline_kernelINS0_14default_configENS1_35adjacent_difference_config_selectorILb0ElEEZNS1_24adjacent_difference_implIS3_Lb0ELb0EPlS7_ZN2at6native12_GLOBAL__N_124unique_dim_cuda_templateIbEESt5tupleIJNS8_6TensorESD_SD_EERKSD_lbbbEUlllE1_EE10hipError_tPvRmT2_T3_mT4_P12ihipStream_tbEUlT_E_NS1_11comp_targetILNS1_3genE9ELNS1_11target_archE1100ELNS1_3gpuE3ELNS1_3repE0EEENS1_30default_config_static_selectorELNS0_4arch9wavefront6targetE1EEEvT1_
		.amdhsa_group_segment_fixed_size 0
		.amdhsa_private_segment_fixed_size 0
		.amdhsa_kernarg_size 64
		.amdhsa_user_sgpr_count 2
		.amdhsa_user_sgpr_dispatch_ptr 0
		.amdhsa_user_sgpr_queue_ptr 0
		.amdhsa_user_sgpr_kernarg_segment_ptr 1
		.amdhsa_user_sgpr_dispatch_id 0
		.amdhsa_user_sgpr_kernarg_preload_length 0
		.amdhsa_user_sgpr_kernarg_preload_offset 0
		.amdhsa_user_sgpr_private_segment_size 0
		.amdhsa_uses_dynamic_stack 0
		.amdhsa_enable_private_segment 0
		.amdhsa_system_sgpr_workgroup_id_x 1
		.amdhsa_system_sgpr_workgroup_id_y 0
		.amdhsa_system_sgpr_workgroup_id_z 0
		.amdhsa_system_sgpr_workgroup_info 0
		.amdhsa_system_vgpr_workitem_id 0
		.amdhsa_next_free_vgpr 1
		.amdhsa_next_free_sgpr 0
		.amdhsa_accum_offset 4
		.amdhsa_reserve_vcc 0
		.amdhsa_float_round_mode_32 0
		.amdhsa_float_round_mode_16_64 0
		.amdhsa_float_denorm_mode_32 3
		.amdhsa_float_denorm_mode_16_64 3
		.amdhsa_dx10_clamp 1
		.amdhsa_ieee_mode 1
		.amdhsa_fp16_overflow 0
		.amdhsa_tg_split 0
		.amdhsa_exception_fp_ieee_invalid_op 0
		.amdhsa_exception_fp_denorm_src 0
		.amdhsa_exception_fp_ieee_div_zero 0
		.amdhsa_exception_fp_ieee_overflow 0
		.amdhsa_exception_fp_ieee_underflow 0
		.amdhsa_exception_fp_ieee_inexact 0
		.amdhsa_exception_int_div_zero 0
	.end_amdhsa_kernel
	.section	.text._ZN7rocprim17ROCPRIM_400000_NS6detail17trampoline_kernelINS0_14default_configENS1_35adjacent_difference_config_selectorILb0ElEEZNS1_24adjacent_difference_implIS3_Lb0ELb0EPlS7_ZN2at6native12_GLOBAL__N_124unique_dim_cuda_templateIbEESt5tupleIJNS8_6TensorESD_SD_EERKSD_lbbbEUlllE1_EE10hipError_tPvRmT2_T3_mT4_P12ihipStream_tbEUlT_E_NS1_11comp_targetILNS1_3genE9ELNS1_11target_archE1100ELNS1_3gpuE3ELNS1_3repE0EEENS1_30default_config_static_selectorELNS0_4arch9wavefront6targetE1EEEvT1_,"axG",@progbits,_ZN7rocprim17ROCPRIM_400000_NS6detail17trampoline_kernelINS0_14default_configENS1_35adjacent_difference_config_selectorILb0ElEEZNS1_24adjacent_difference_implIS3_Lb0ELb0EPlS7_ZN2at6native12_GLOBAL__N_124unique_dim_cuda_templateIbEESt5tupleIJNS8_6TensorESD_SD_EERKSD_lbbbEUlllE1_EE10hipError_tPvRmT2_T3_mT4_P12ihipStream_tbEUlT_E_NS1_11comp_targetILNS1_3genE9ELNS1_11target_archE1100ELNS1_3gpuE3ELNS1_3repE0EEENS1_30default_config_static_selectorELNS0_4arch9wavefront6targetE1EEEvT1_,comdat
.Lfunc_end1032:
	.size	_ZN7rocprim17ROCPRIM_400000_NS6detail17trampoline_kernelINS0_14default_configENS1_35adjacent_difference_config_selectorILb0ElEEZNS1_24adjacent_difference_implIS3_Lb0ELb0EPlS7_ZN2at6native12_GLOBAL__N_124unique_dim_cuda_templateIbEESt5tupleIJNS8_6TensorESD_SD_EERKSD_lbbbEUlllE1_EE10hipError_tPvRmT2_T3_mT4_P12ihipStream_tbEUlT_E_NS1_11comp_targetILNS1_3genE9ELNS1_11target_archE1100ELNS1_3gpuE3ELNS1_3repE0EEENS1_30default_config_static_selectorELNS0_4arch9wavefront6targetE1EEEvT1_, .Lfunc_end1032-_ZN7rocprim17ROCPRIM_400000_NS6detail17trampoline_kernelINS0_14default_configENS1_35adjacent_difference_config_selectorILb0ElEEZNS1_24adjacent_difference_implIS3_Lb0ELb0EPlS7_ZN2at6native12_GLOBAL__N_124unique_dim_cuda_templateIbEESt5tupleIJNS8_6TensorESD_SD_EERKSD_lbbbEUlllE1_EE10hipError_tPvRmT2_T3_mT4_P12ihipStream_tbEUlT_E_NS1_11comp_targetILNS1_3genE9ELNS1_11target_archE1100ELNS1_3gpuE3ELNS1_3repE0EEENS1_30default_config_static_selectorELNS0_4arch9wavefront6targetE1EEEvT1_
                                        ; -- End function
	.set _ZN7rocprim17ROCPRIM_400000_NS6detail17trampoline_kernelINS0_14default_configENS1_35adjacent_difference_config_selectorILb0ElEEZNS1_24adjacent_difference_implIS3_Lb0ELb0EPlS7_ZN2at6native12_GLOBAL__N_124unique_dim_cuda_templateIbEESt5tupleIJNS8_6TensorESD_SD_EERKSD_lbbbEUlllE1_EE10hipError_tPvRmT2_T3_mT4_P12ihipStream_tbEUlT_E_NS1_11comp_targetILNS1_3genE9ELNS1_11target_archE1100ELNS1_3gpuE3ELNS1_3repE0EEENS1_30default_config_static_selectorELNS0_4arch9wavefront6targetE1EEEvT1_.num_vgpr, 0
	.set _ZN7rocprim17ROCPRIM_400000_NS6detail17trampoline_kernelINS0_14default_configENS1_35adjacent_difference_config_selectorILb0ElEEZNS1_24adjacent_difference_implIS3_Lb0ELb0EPlS7_ZN2at6native12_GLOBAL__N_124unique_dim_cuda_templateIbEESt5tupleIJNS8_6TensorESD_SD_EERKSD_lbbbEUlllE1_EE10hipError_tPvRmT2_T3_mT4_P12ihipStream_tbEUlT_E_NS1_11comp_targetILNS1_3genE9ELNS1_11target_archE1100ELNS1_3gpuE3ELNS1_3repE0EEENS1_30default_config_static_selectorELNS0_4arch9wavefront6targetE1EEEvT1_.num_agpr, 0
	.set _ZN7rocprim17ROCPRIM_400000_NS6detail17trampoline_kernelINS0_14default_configENS1_35adjacent_difference_config_selectorILb0ElEEZNS1_24adjacent_difference_implIS3_Lb0ELb0EPlS7_ZN2at6native12_GLOBAL__N_124unique_dim_cuda_templateIbEESt5tupleIJNS8_6TensorESD_SD_EERKSD_lbbbEUlllE1_EE10hipError_tPvRmT2_T3_mT4_P12ihipStream_tbEUlT_E_NS1_11comp_targetILNS1_3genE9ELNS1_11target_archE1100ELNS1_3gpuE3ELNS1_3repE0EEENS1_30default_config_static_selectorELNS0_4arch9wavefront6targetE1EEEvT1_.numbered_sgpr, 0
	.set _ZN7rocprim17ROCPRIM_400000_NS6detail17trampoline_kernelINS0_14default_configENS1_35adjacent_difference_config_selectorILb0ElEEZNS1_24adjacent_difference_implIS3_Lb0ELb0EPlS7_ZN2at6native12_GLOBAL__N_124unique_dim_cuda_templateIbEESt5tupleIJNS8_6TensorESD_SD_EERKSD_lbbbEUlllE1_EE10hipError_tPvRmT2_T3_mT4_P12ihipStream_tbEUlT_E_NS1_11comp_targetILNS1_3genE9ELNS1_11target_archE1100ELNS1_3gpuE3ELNS1_3repE0EEENS1_30default_config_static_selectorELNS0_4arch9wavefront6targetE1EEEvT1_.num_named_barrier, 0
	.set _ZN7rocprim17ROCPRIM_400000_NS6detail17trampoline_kernelINS0_14default_configENS1_35adjacent_difference_config_selectorILb0ElEEZNS1_24adjacent_difference_implIS3_Lb0ELb0EPlS7_ZN2at6native12_GLOBAL__N_124unique_dim_cuda_templateIbEESt5tupleIJNS8_6TensorESD_SD_EERKSD_lbbbEUlllE1_EE10hipError_tPvRmT2_T3_mT4_P12ihipStream_tbEUlT_E_NS1_11comp_targetILNS1_3genE9ELNS1_11target_archE1100ELNS1_3gpuE3ELNS1_3repE0EEENS1_30default_config_static_selectorELNS0_4arch9wavefront6targetE1EEEvT1_.private_seg_size, 0
	.set _ZN7rocprim17ROCPRIM_400000_NS6detail17trampoline_kernelINS0_14default_configENS1_35adjacent_difference_config_selectorILb0ElEEZNS1_24adjacent_difference_implIS3_Lb0ELb0EPlS7_ZN2at6native12_GLOBAL__N_124unique_dim_cuda_templateIbEESt5tupleIJNS8_6TensorESD_SD_EERKSD_lbbbEUlllE1_EE10hipError_tPvRmT2_T3_mT4_P12ihipStream_tbEUlT_E_NS1_11comp_targetILNS1_3genE9ELNS1_11target_archE1100ELNS1_3gpuE3ELNS1_3repE0EEENS1_30default_config_static_selectorELNS0_4arch9wavefront6targetE1EEEvT1_.uses_vcc, 0
	.set _ZN7rocprim17ROCPRIM_400000_NS6detail17trampoline_kernelINS0_14default_configENS1_35adjacent_difference_config_selectorILb0ElEEZNS1_24adjacent_difference_implIS3_Lb0ELb0EPlS7_ZN2at6native12_GLOBAL__N_124unique_dim_cuda_templateIbEESt5tupleIJNS8_6TensorESD_SD_EERKSD_lbbbEUlllE1_EE10hipError_tPvRmT2_T3_mT4_P12ihipStream_tbEUlT_E_NS1_11comp_targetILNS1_3genE9ELNS1_11target_archE1100ELNS1_3gpuE3ELNS1_3repE0EEENS1_30default_config_static_selectorELNS0_4arch9wavefront6targetE1EEEvT1_.uses_flat_scratch, 0
	.set _ZN7rocprim17ROCPRIM_400000_NS6detail17trampoline_kernelINS0_14default_configENS1_35adjacent_difference_config_selectorILb0ElEEZNS1_24adjacent_difference_implIS3_Lb0ELb0EPlS7_ZN2at6native12_GLOBAL__N_124unique_dim_cuda_templateIbEESt5tupleIJNS8_6TensorESD_SD_EERKSD_lbbbEUlllE1_EE10hipError_tPvRmT2_T3_mT4_P12ihipStream_tbEUlT_E_NS1_11comp_targetILNS1_3genE9ELNS1_11target_archE1100ELNS1_3gpuE3ELNS1_3repE0EEENS1_30default_config_static_selectorELNS0_4arch9wavefront6targetE1EEEvT1_.has_dyn_sized_stack, 0
	.set _ZN7rocprim17ROCPRIM_400000_NS6detail17trampoline_kernelINS0_14default_configENS1_35adjacent_difference_config_selectorILb0ElEEZNS1_24adjacent_difference_implIS3_Lb0ELb0EPlS7_ZN2at6native12_GLOBAL__N_124unique_dim_cuda_templateIbEESt5tupleIJNS8_6TensorESD_SD_EERKSD_lbbbEUlllE1_EE10hipError_tPvRmT2_T3_mT4_P12ihipStream_tbEUlT_E_NS1_11comp_targetILNS1_3genE9ELNS1_11target_archE1100ELNS1_3gpuE3ELNS1_3repE0EEENS1_30default_config_static_selectorELNS0_4arch9wavefront6targetE1EEEvT1_.has_recursion, 0
	.set _ZN7rocprim17ROCPRIM_400000_NS6detail17trampoline_kernelINS0_14default_configENS1_35adjacent_difference_config_selectorILb0ElEEZNS1_24adjacent_difference_implIS3_Lb0ELb0EPlS7_ZN2at6native12_GLOBAL__N_124unique_dim_cuda_templateIbEESt5tupleIJNS8_6TensorESD_SD_EERKSD_lbbbEUlllE1_EE10hipError_tPvRmT2_T3_mT4_P12ihipStream_tbEUlT_E_NS1_11comp_targetILNS1_3genE9ELNS1_11target_archE1100ELNS1_3gpuE3ELNS1_3repE0EEENS1_30default_config_static_selectorELNS0_4arch9wavefront6targetE1EEEvT1_.has_indirect_call, 0
	.section	.AMDGPU.csdata,"",@progbits
; Kernel info:
; codeLenInByte = 0
; TotalNumSgprs: 6
; NumVgprs: 0
; NumAgprs: 0
; TotalNumVgprs: 0
; ScratchSize: 0
; MemoryBound: 0
; FloatMode: 240
; IeeeMode: 1
; LDSByteSize: 0 bytes/workgroup (compile time only)
; SGPRBlocks: 0
; VGPRBlocks: 0
; NumSGPRsForWavesPerEU: 6
; NumVGPRsForWavesPerEU: 1
; AccumOffset: 4
; Occupancy: 8
; WaveLimiterHint : 0
; COMPUTE_PGM_RSRC2:SCRATCH_EN: 0
; COMPUTE_PGM_RSRC2:USER_SGPR: 2
; COMPUTE_PGM_RSRC2:TRAP_HANDLER: 0
; COMPUTE_PGM_RSRC2:TGID_X_EN: 1
; COMPUTE_PGM_RSRC2:TGID_Y_EN: 0
; COMPUTE_PGM_RSRC2:TGID_Z_EN: 0
; COMPUTE_PGM_RSRC2:TIDIG_COMP_CNT: 0
; COMPUTE_PGM_RSRC3_GFX90A:ACCUM_OFFSET: 0
; COMPUTE_PGM_RSRC3_GFX90A:TG_SPLIT: 0
	.section	.text._ZN7rocprim17ROCPRIM_400000_NS6detail17trampoline_kernelINS0_14default_configENS1_35adjacent_difference_config_selectorILb0ElEEZNS1_24adjacent_difference_implIS3_Lb0ELb0EPlS7_ZN2at6native12_GLOBAL__N_124unique_dim_cuda_templateIbEESt5tupleIJNS8_6TensorESD_SD_EERKSD_lbbbEUlllE1_EE10hipError_tPvRmT2_T3_mT4_P12ihipStream_tbEUlT_E_NS1_11comp_targetILNS1_3genE8ELNS1_11target_archE1030ELNS1_3gpuE2ELNS1_3repE0EEENS1_30default_config_static_selectorELNS0_4arch9wavefront6targetE1EEEvT1_,"axG",@progbits,_ZN7rocprim17ROCPRIM_400000_NS6detail17trampoline_kernelINS0_14default_configENS1_35adjacent_difference_config_selectorILb0ElEEZNS1_24adjacent_difference_implIS3_Lb0ELb0EPlS7_ZN2at6native12_GLOBAL__N_124unique_dim_cuda_templateIbEESt5tupleIJNS8_6TensorESD_SD_EERKSD_lbbbEUlllE1_EE10hipError_tPvRmT2_T3_mT4_P12ihipStream_tbEUlT_E_NS1_11comp_targetILNS1_3genE8ELNS1_11target_archE1030ELNS1_3gpuE2ELNS1_3repE0EEENS1_30default_config_static_selectorELNS0_4arch9wavefront6targetE1EEEvT1_,comdat
	.globl	_ZN7rocprim17ROCPRIM_400000_NS6detail17trampoline_kernelINS0_14default_configENS1_35adjacent_difference_config_selectorILb0ElEEZNS1_24adjacent_difference_implIS3_Lb0ELb0EPlS7_ZN2at6native12_GLOBAL__N_124unique_dim_cuda_templateIbEESt5tupleIJNS8_6TensorESD_SD_EERKSD_lbbbEUlllE1_EE10hipError_tPvRmT2_T3_mT4_P12ihipStream_tbEUlT_E_NS1_11comp_targetILNS1_3genE8ELNS1_11target_archE1030ELNS1_3gpuE2ELNS1_3repE0EEENS1_30default_config_static_selectorELNS0_4arch9wavefront6targetE1EEEvT1_ ; -- Begin function _ZN7rocprim17ROCPRIM_400000_NS6detail17trampoline_kernelINS0_14default_configENS1_35adjacent_difference_config_selectorILb0ElEEZNS1_24adjacent_difference_implIS3_Lb0ELb0EPlS7_ZN2at6native12_GLOBAL__N_124unique_dim_cuda_templateIbEESt5tupleIJNS8_6TensorESD_SD_EERKSD_lbbbEUlllE1_EE10hipError_tPvRmT2_T3_mT4_P12ihipStream_tbEUlT_E_NS1_11comp_targetILNS1_3genE8ELNS1_11target_archE1030ELNS1_3gpuE2ELNS1_3repE0EEENS1_30default_config_static_selectorELNS0_4arch9wavefront6targetE1EEEvT1_
	.p2align	8
	.type	_ZN7rocprim17ROCPRIM_400000_NS6detail17trampoline_kernelINS0_14default_configENS1_35adjacent_difference_config_selectorILb0ElEEZNS1_24adjacent_difference_implIS3_Lb0ELb0EPlS7_ZN2at6native12_GLOBAL__N_124unique_dim_cuda_templateIbEESt5tupleIJNS8_6TensorESD_SD_EERKSD_lbbbEUlllE1_EE10hipError_tPvRmT2_T3_mT4_P12ihipStream_tbEUlT_E_NS1_11comp_targetILNS1_3genE8ELNS1_11target_archE1030ELNS1_3gpuE2ELNS1_3repE0EEENS1_30default_config_static_selectorELNS0_4arch9wavefront6targetE1EEEvT1_,@function
_ZN7rocprim17ROCPRIM_400000_NS6detail17trampoline_kernelINS0_14default_configENS1_35adjacent_difference_config_selectorILb0ElEEZNS1_24adjacent_difference_implIS3_Lb0ELb0EPlS7_ZN2at6native12_GLOBAL__N_124unique_dim_cuda_templateIbEESt5tupleIJNS8_6TensorESD_SD_EERKSD_lbbbEUlllE1_EE10hipError_tPvRmT2_T3_mT4_P12ihipStream_tbEUlT_E_NS1_11comp_targetILNS1_3genE8ELNS1_11target_archE1030ELNS1_3gpuE2ELNS1_3repE0EEENS1_30default_config_static_selectorELNS0_4arch9wavefront6targetE1EEEvT1_: ; @_ZN7rocprim17ROCPRIM_400000_NS6detail17trampoline_kernelINS0_14default_configENS1_35adjacent_difference_config_selectorILb0ElEEZNS1_24adjacent_difference_implIS3_Lb0ELb0EPlS7_ZN2at6native12_GLOBAL__N_124unique_dim_cuda_templateIbEESt5tupleIJNS8_6TensorESD_SD_EERKSD_lbbbEUlllE1_EE10hipError_tPvRmT2_T3_mT4_P12ihipStream_tbEUlT_E_NS1_11comp_targetILNS1_3genE8ELNS1_11target_archE1030ELNS1_3gpuE2ELNS1_3repE0EEENS1_30default_config_static_selectorELNS0_4arch9wavefront6targetE1EEEvT1_
; %bb.0:
	.section	.rodata,"a",@progbits
	.p2align	6, 0x0
	.amdhsa_kernel _ZN7rocprim17ROCPRIM_400000_NS6detail17trampoline_kernelINS0_14default_configENS1_35adjacent_difference_config_selectorILb0ElEEZNS1_24adjacent_difference_implIS3_Lb0ELb0EPlS7_ZN2at6native12_GLOBAL__N_124unique_dim_cuda_templateIbEESt5tupleIJNS8_6TensorESD_SD_EERKSD_lbbbEUlllE1_EE10hipError_tPvRmT2_T3_mT4_P12ihipStream_tbEUlT_E_NS1_11comp_targetILNS1_3genE8ELNS1_11target_archE1030ELNS1_3gpuE2ELNS1_3repE0EEENS1_30default_config_static_selectorELNS0_4arch9wavefront6targetE1EEEvT1_
		.amdhsa_group_segment_fixed_size 0
		.amdhsa_private_segment_fixed_size 0
		.amdhsa_kernarg_size 64
		.amdhsa_user_sgpr_count 2
		.amdhsa_user_sgpr_dispatch_ptr 0
		.amdhsa_user_sgpr_queue_ptr 0
		.amdhsa_user_sgpr_kernarg_segment_ptr 1
		.amdhsa_user_sgpr_dispatch_id 0
		.amdhsa_user_sgpr_kernarg_preload_length 0
		.amdhsa_user_sgpr_kernarg_preload_offset 0
		.amdhsa_user_sgpr_private_segment_size 0
		.amdhsa_uses_dynamic_stack 0
		.amdhsa_enable_private_segment 0
		.amdhsa_system_sgpr_workgroup_id_x 1
		.amdhsa_system_sgpr_workgroup_id_y 0
		.amdhsa_system_sgpr_workgroup_id_z 0
		.amdhsa_system_sgpr_workgroup_info 0
		.amdhsa_system_vgpr_workitem_id 0
		.amdhsa_next_free_vgpr 1
		.amdhsa_next_free_sgpr 0
		.amdhsa_accum_offset 4
		.amdhsa_reserve_vcc 0
		.amdhsa_float_round_mode_32 0
		.amdhsa_float_round_mode_16_64 0
		.amdhsa_float_denorm_mode_32 3
		.amdhsa_float_denorm_mode_16_64 3
		.amdhsa_dx10_clamp 1
		.amdhsa_ieee_mode 1
		.amdhsa_fp16_overflow 0
		.amdhsa_tg_split 0
		.amdhsa_exception_fp_ieee_invalid_op 0
		.amdhsa_exception_fp_denorm_src 0
		.amdhsa_exception_fp_ieee_div_zero 0
		.amdhsa_exception_fp_ieee_overflow 0
		.amdhsa_exception_fp_ieee_underflow 0
		.amdhsa_exception_fp_ieee_inexact 0
		.amdhsa_exception_int_div_zero 0
	.end_amdhsa_kernel
	.section	.text._ZN7rocprim17ROCPRIM_400000_NS6detail17trampoline_kernelINS0_14default_configENS1_35adjacent_difference_config_selectorILb0ElEEZNS1_24adjacent_difference_implIS3_Lb0ELb0EPlS7_ZN2at6native12_GLOBAL__N_124unique_dim_cuda_templateIbEESt5tupleIJNS8_6TensorESD_SD_EERKSD_lbbbEUlllE1_EE10hipError_tPvRmT2_T3_mT4_P12ihipStream_tbEUlT_E_NS1_11comp_targetILNS1_3genE8ELNS1_11target_archE1030ELNS1_3gpuE2ELNS1_3repE0EEENS1_30default_config_static_selectorELNS0_4arch9wavefront6targetE1EEEvT1_,"axG",@progbits,_ZN7rocprim17ROCPRIM_400000_NS6detail17trampoline_kernelINS0_14default_configENS1_35adjacent_difference_config_selectorILb0ElEEZNS1_24adjacent_difference_implIS3_Lb0ELb0EPlS7_ZN2at6native12_GLOBAL__N_124unique_dim_cuda_templateIbEESt5tupleIJNS8_6TensorESD_SD_EERKSD_lbbbEUlllE1_EE10hipError_tPvRmT2_T3_mT4_P12ihipStream_tbEUlT_E_NS1_11comp_targetILNS1_3genE8ELNS1_11target_archE1030ELNS1_3gpuE2ELNS1_3repE0EEENS1_30default_config_static_selectorELNS0_4arch9wavefront6targetE1EEEvT1_,comdat
.Lfunc_end1033:
	.size	_ZN7rocprim17ROCPRIM_400000_NS6detail17trampoline_kernelINS0_14default_configENS1_35adjacent_difference_config_selectorILb0ElEEZNS1_24adjacent_difference_implIS3_Lb0ELb0EPlS7_ZN2at6native12_GLOBAL__N_124unique_dim_cuda_templateIbEESt5tupleIJNS8_6TensorESD_SD_EERKSD_lbbbEUlllE1_EE10hipError_tPvRmT2_T3_mT4_P12ihipStream_tbEUlT_E_NS1_11comp_targetILNS1_3genE8ELNS1_11target_archE1030ELNS1_3gpuE2ELNS1_3repE0EEENS1_30default_config_static_selectorELNS0_4arch9wavefront6targetE1EEEvT1_, .Lfunc_end1033-_ZN7rocprim17ROCPRIM_400000_NS6detail17trampoline_kernelINS0_14default_configENS1_35adjacent_difference_config_selectorILb0ElEEZNS1_24adjacent_difference_implIS3_Lb0ELb0EPlS7_ZN2at6native12_GLOBAL__N_124unique_dim_cuda_templateIbEESt5tupleIJNS8_6TensorESD_SD_EERKSD_lbbbEUlllE1_EE10hipError_tPvRmT2_T3_mT4_P12ihipStream_tbEUlT_E_NS1_11comp_targetILNS1_3genE8ELNS1_11target_archE1030ELNS1_3gpuE2ELNS1_3repE0EEENS1_30default_config_static_selectorELNS0_4arch9wavefront6targetE1EEEvT1_
                                        ; -- End function
	.set _ZN7rocprim17ROCPRIM_400000_NS6detail17trampoline_kernelINS0_14default_configENS1_35adjacent_difference_config_selectorILb0ElEEZNS1_24adjacent_difference_implIS3_Lb0ELb0EPlS7_ZN2at6native12_GLOBAL__N_124unique_dim_cuda_templateIbEESt5tupleIJNS8_6TensorESD_SD_EERKSD_lbbbEUlllE1_EE10hipError_tPvRmT2_T3_mT4_P12ihipStream_tbEUlT_E_NS1_11comp_targetILNS1_3genE8ELNS1_11target_archE1030ELNS1_3gpuE2ELNS1_3repE0EEENS1_30default_config_static_selectorELNS0_4arch9wavefront6targetE1EEEvT1_.num_vgpr, 0
	.set _ZN7rocprim17ROCPRIM_400000_NS6detail17trampoline_kernelINS0_14default_configENS1_35adjacent_difference_config_selectorILb0ElEEZNS1_24adjacent_difference_implIS3_Lb0ELb0EPlS7_ZN2at6native12_GLOBAL__N_124unique_dim_cuda_templateIbEESt5tupleIJNS8_6TensorESD_SD_EERKSD_lbbbEUlllE1_EE10hipError_tPvRmT2_T3_mT4_P12ihipStream_tbEUlT_E_NS1_11comp_targetILNS1_3genE8ELNS1_11target_archE1030ELNS1_3gpuE2ELNS1_3repE0EEENS1_30default_config_static_selectorELNS0_4arch9wavefront6targetE1EEEvT1_.num_agpr, 0
	.set _ZN7rocprim17ROCPRIM_400000_NS6detail17trampoline_kernelINS0_14default_configENS1_35adjacent_difference_config_selectorILb0ElEEZNS1_24adjacent_difference_implIS3_Lb0ELb0EPlS7_ZN2at6native12_GLOBAL__N_124unique_dim_cuda_templateIbEESt5tupleIJNS8_6TensorESD_SD_EERKSD_lbbbEUlllE1_EE10hipError_tPvRmT2_T3_mT4_P12ihipStream_tbEUlT_E_NS1_11comp_targetILNS1_3genE8ELNS1_11target_archE1030ELNS1_3gpuE2ELNS1_3repE0EEENS1_30default_config_static_selectorELNS0_4arch9wavefront6targetE1EEEvT1_.numbered_sgpr, 0
	.set _ZN7rocprim17ROCPRIM_400000_NS6detail17trampoline_kernelINS0_14default_configENS1_35adjacent_difference_config_selectorILb0ElEEZNS1_24adjacent_difference_implIS3_Lb0ELb0EPlS7_ZN2at6native12_GLOBAL__N_124unique_dim_cuda_templateIbEESt5tupleIJNS8_6TensorESD_SD_EERKSD_lbbbEUlllE1_EE10hipError_tPvRmT2_T3_mT4_P12ihipStream_tbEUlT_E_NS1_11comp_targetILNS1_3genE8ELNS1_11target_archE1030ELNS1_3gpuE2ELNS1_3repE0EEENS1_30default_config_static_selectorELNS0_4arch9wavefront6targetE1EEEvT1_.num_named_barrier, 0
	.set _ZN7rocprim17ROCPRIM_400000_NS6detail17trampoline_kernelINS0_14default_configENS1_35adjacent_difference_config_selectorILb0ElEEZNS1_24adjacent_difference_implIS3_Lb0ELb0EPlS7_ZN2at6native12_GLOBAL__N_124unique_dim_cuda_templateIbEESt5tupleIJNS8_6TensorESD_SD_EERKSD_lbbbEUlllE1_EE10hipError_tPvRmT2_T3_mT4_P12ihipStream_tbEUlT_E_NS1_11comp_targetILNS1_3genE8ELNS1_11target_archE1030ELNS1_3gpuE2ELNS1_3repE0EEENS1_30default_config_static_selectorELNS0_4arch9wavefront6targetE1EEEvT1_.private_seg_size, 0
	.set _ZN7rocprim17ROCPRIM_400000_NS6detail17trampoline_kernelINS0_14default_configENS1_35adjacent_difference_config_selectorILb0ElEEZNS1_24adjacent_difference_implIS3_Lb0ELb0EPlS7_ZN2at6native12_GLOBAL__N_124unique_dim_cuda_templateIbEESt5tupleIJNS8_6TensorESD_SD_EERKSD_lbbbEUlllE1_EE10hipError_tPvRmT2_T3_mT4_P12ihipStream_tbEUlT_E_NS1_11comp_targetILNS1_3genE8ELNS1_11target_archE1030ELNS1_3gpuE2ELNS1_3repE0EEENS1_30default_config_static_selectorELNS0_4arch9wavefront6targetE1EEEvT1_.uses_vcc, 0
	.set _ZN7rocprim17ROCPRIM_400000_NS6detail17trampoline_kernelINS0_14default_configENS1_35adjacent_difference_config_selectorILb0ElEEZNS1_24adjacent_difference_implIS3_Lb0ELb0EPlS7_ZN2at6native12_GLOBAL__N_124unique_dim_cuda_templateIbEESt5tupleIJNS8_6TensorESD_SD_EERKSD_lbbbEUlllE1_EE10hipError_tPvRmT2_T3_mT4_P12ihipStream_tbEUlT_E_NS1_11comp_targetILNS1_3genE8ELNS1_11target_archE1030ELNS1_3gpuE2ELNS1_3repE0EEENS1_30default_config_static_selectorELNS0_4arch9wavefront6targetE1EEEvT1_.uses_flat_scratch, 0
	.set _ZN7rocprim17ROCPRIM_400000_NS6detail17trampoline_kernelINS0_14default_configENS1_35adjacent_difference_config_selectorILb0ElEEZNS1_24adjacent_difference_implIS3_Lb0ELb0EPlS7_ZN2at6native12_GLOBAL__N_124unique_dim_cuda_templateIbEESt5tupleIJNS8_6TensorESD_SD_EERKSD_lbbbEUlllE1_EE10hipError_tPvRmT2_T3_mT4_P12ihipStream_tbEUlT_E_NS1_11comp_targetILNS1_3genE8ELNS1_11target_archE1030ELNS1_3gpuE2ELNS1_3repE0EEENS1_30default_config_static_selectorELNS0_4arch9wavefront6targetE1EEEvT1_.has_dyn_sized_stack, 0
	.set _ZN7rocprim17ROCPRIM_400000_NS6detail17trampoline_kernelINS0_14default_configENS1_35adjacent_difference_config_selectorILb0ElEEZNS1_24adjacent_difference_implIS3_Lb0ELb0EPlS7_ZN2at6native12_GLOBAL__N_124unique_dim_cuda_templateIbEESt5tupleIJNS8_6TensorESD_SD_EERKSD_lbbbEUlllE1_EE10hipError_tPvRmT2_T3_mT4_P12ihipStream_tbEUlT_E_NS1_11comp_targetILNS1_3genE8ELNS1_11target_archE1030ELNS1_3gpuE2ELNS1_3repE0EEENS1_30default_config_static_selectorELNS0_4arch9wavefront6targetE1EEEvT1_.has_recursion, 0
	.set _ZN7rocprim17ROCPRIM_400000_NS6detail17trampoline_kernelINS0_14default_configENS1_35adjacent_difference_config_selectorILb0ElEEZNS1_24adjacent_difference_implIS3_Lb0ELb0EPlS7_ZN2at6native12_GLOBAL__N_124unique_dim_cuda_templateIbEESt5tupleIJNS8_6TensorESD_SD_EERKSD_lbbbEUlllE1_EE10hipError_tPvRmT2_T3_mT4_P12ihipStream_tbEUlT_E_NS1_11comp_targetILNS1_3genE8ELNS1_11target_archE1030ELNS1_3gpuE2ELNS1_3repE0EEENS1_30default_config_static_selectorELNS0_4arch9wavefront6targetE1EEEvT1_.has_indirect_call, 0
	.section	.AMDGPU.csdata,"",@progbits
; Kernel info:
; codeLenInByte = 0
; TotalNumSgprs: 6
; NumVgprs: 0
; NumAgprs: 0
; TotalNumVgprs: 0
; ScratchSize: 0
; MemoryBound: 0
; FloatMode: 240
; IeeeMode: 1
; LDSByteSize: 0 bytes/workgroup (compile time only)
; SGPRBlocks: 0
; VGPRBlocks: 0
; NumSGPRsForWavesPerEU: 6
; NumVGPRsForWavesPerEU: 1
; AccumOffset: 4
; Occupancy: 8
; WaveLimiterHint : 0
; COMPUTE_PGM_RSRC2:SCRATCH_EN: 0
; COMPUTE_PGM_RSRC2:USER_SGPR: 2
; COMPUTE_PGM_RSRC2:TRAP_HANDLER: 0
; COMPUTE_PGM_RSRC2:TGID_X_EN: 1
; COMPUTE_PGM_RSRC2:TGID_Y_EN: 0
; COMPUTE_PGM_RSRC2:TGID_Z_EN: 0
; COMPUTE_PGM_RSRC2:TIDIG_COMP_CNT: 0
; COMPUTE_PGM_RSRC3_GFX90A:ACCUM_OFFSET: 0
; COMPUTE_PGM_RSRC3_GFX90A:TG_SPLIT: 0
	.section	.text._ZN7rocprim17ROCPRIM_400000_NS6detail17trampoline_kernelINS0_14default_configENS1_25transform_config_selectorIlLb0EEEZNS1_14transform_implILb0ES3_S5_NS0_18transform_iteratorINS0_17counting_iteratorImlEEZNS1_24adjacent_difference_implIS3_Lb1ELb0EPlSB_ZN2at6native12_GLOBAL__N_124unique_dim_cuda_templateIbEESt5tupleIJNSC_6TensorESH_SH_EERKSH_lbbbEUlllE1_EE10hipError_tPvRmT2_T3_mT4_P12ihipStream_tbEUlmE_lEESB_NS0_8identityIvEEEESM_SP_SQ_mSR_ST_bEUlT_E_NS1_11comp_targetILNS1_3genE0ELNS1_11target_archE4294967295ELNS1_3gpuE0ELNS1_3repE0EEENS1_30default_config_static_selectorELNS0_4arch9wavefront6targetE1EEEvT1_,"axG",@progbits,_ZN7rocprim17ROCPRIM_400000_NS6detail17trampoline_kernelINS0_14default_configENS1_25transform_config_selectorIlLb0EEEZNS1_14transform_implILb0ES3_S5_NS0_18transform_iteratorINS0_17counting_iteratorImlEEZNS1_24adjacent_difference_implIS3_Lb1ELb0EPlSB_ZN2at6native12_GLOBAL__N_124unique_dim_cuda_templateIbEESt5tupleIJNSC_6TensorESH_SH_EERKSH_lbbbEUlllE1_EE10hipError_tPvRmT2_T3_mT4_P12ihipStream_tbEUlmE_lEESB_NS0_8identityIvEEEESM_SP_SQ_mSR_ST_bEUlT_E_NS1_11comp_targetILNS1_3genE0ELNS1_11target_archE4294967295ELNS1_3gpuE0ELNS1_3repE0EEENS1_30default_config_static_selectorELNS0_4arch9wavefront6targetE1EEEvT1_,comdat
	.globl	_ZN7rocprim17ROCPRIM_400000_NS6detail17trampoline_kernelINS0_14default_configENS1_25transform_config_selectorIlLb0EEEZNS1_14transform_implILb0ES3_S5_NS0_18transform_iteratorINS0_17counting_iteratorImlEEZNS1_24adjacent_difference_implIS3_Lb1ELb0EPlSB_ZN2at6native12_GLOBAL__N_124unique_dim_cuda_templateIbEESt5tupleIJNSC_6TensorESH_SH_EERKSH_lbbbEUlllE1_EE10hipError_tPvRmT2_T3_mT4_P12ihipStream_tbEUlmE_lEESB_NS0_8identityIvEEEESM_SP_SQ_mSR_ST_bEUlT_E_NS1_11comp_targetILNS1_3genE0ELNS1_11target_archE4294967295ELNS1_3gpuE0ELNS1_3repE0EEENS1_30default_config_static_selectorELNS0_4arch9wavefront6targetE1EEEvT1_ ; -- Begin function _ZN7rocprim17ROCPRIM_400000_NS6detail17trampoline_kernelINS0_14default_configENS1_25transform_config_selectorIlLb0EEEZNS1_14transform_implILb0ES3_S5_NS0_18transform_iteratorINS0_17counting_iteratorImlEEZNS1_24adjacent_difference_implIS3_Lb1ELb0EPlSB_ZN2at6native12_GLOBAL__N_124unique_dim_cuda_templateIbEESt5tupleIJNSC_6TensorESH_SH_EERKSH_lbbbEUlllE1_EE10hipError_tPvRmT2_T3_mT4_P12ihipStream_tbEUlmE_lEESB_NS0_8identityIvEEEESM_SP_SQ_mSR_ST_bEUlT_E_NS1_11comp_targetILNS1_3genE0ELNS1_11target_archE4294967295ELNS1_3gpuE0ELNS1_3repE0EEENS1_30default_config_static_selectorELNS0_4arch9wavefront6targetE1EEEvT1_
	.p2align	8
	.type	_ZN7rocprim17ROCPRIM_400000_NS6detail17trampoline_kernelINS0_14default_configENS1_25transform_config_selectorIlLb0EEEZNS1_14transform_implILb0ES3_S5_NS0_18transform_iteratorINS0_17counting_iteratorImlEEZNS1_24adjacent_difference_implIS3_Lb1ELb0EPlSB_ZN2at6native12_GLOBAL__N_124unique_dim_cuda_templateIbEESt5tupleIJNSC_6TensorESH_SH_EERKSH_lbbbEUlllE1_EE10hipError_tPvRmT2_T3_mT4_P12ihipStream_tbEUlmE_lEESB_NS0_8identityIvEEEESM_SP_SQ_mSR_ST_bEUlT_E_NS1_11comp_targetILNS1_3genE0ELNS1_11target_archE4294967295ELNS1_3gpuE0ELNS1_3repE0EEENS1_30default_config_static_selectorELNS0_4arch9wavefront6targetE1EEEvT1_,@function
_ZN7rocprim17ROCPRIM_400000_NS6detail17trampoline_kernelINS0_14default_configENS1_25transform_config_selectorIlLb0EEEZNS1_14transform_implILb0ES3_S5_NS0_18transform_iteratorINS0_17counting_iteratorImlEEZNS1_24adjacent_difference_implIS3_Lb1ELb0EPlSB_ZN2at6native12_GLOBAL__N_124unique_dim_cuda_templateIbEESt5tupleIJNSC_6TensorESH_SH_EERKSH_lbbbEUlllE1_EE10hipError_tPvRmT2_T3_mT4_P12ihipStream_tbEUlmE_lEESB_NS0_8identityIvEEEESM_SP_SQ_mSR_ST_bEUlT_E_NS1_11comp_targetILNS1_3genE0ELNS1_11target_archE4294967295ELNS1_3gpuE0ELNS1_3repE0EEENS1_30default_config_static_selectorELNS0_4arch9wavefront6targetE1EEEvT1_: ; @_ZN7rocprim17ROCPRIM_400000_NS6detail17trampoline_kernelINS0_14default_configENS1_25transform_config_selectorIlLb0EEEZNS1_14transform_implILb0ES3_S5_NS0_18transform_iteratorINS0_17counting_iteratorImlEEZNS1_24adjacent_difference_implIS3_Lb1ELb0EPlSB_ZN2at6native12_GLOBAL__N_124unique_dim_cuda_templateIbEESt5tupleIJNSC_6TensorESH_SH_EERKSH_lbbbEUlllE1_EE10hipError_tPvRmT2_T3_mT4_P12ihipStream_tbEUlmE_lEESB_NS0_8identityIvEEEESM_SP_SQ_mSR_ST_bEUlT_E_NS1_11comp_targetILNS1_3genE0ELNS1_11target_archE4294967295ELNS1_3gpuE0ELNS1_3repE0EEENS1_30default_config_static_selectorELNS0_4arch9wavefront6targetE1EEEvT1_
; %bb.0:
	s_load_dword s3, s[0:1], 0x38
	s_load_dword s5, s[0:1], 0x20
	s_lshl_b32 s4, s2, 7
	s_waitcnt lgkmcnt(0)
	s_add_i32 s3, s3, -1
	s_cmp_lg_u32 s2, s3
	s_cselect_b64 s[2:3], -1, 0
	s_sub_i32 s5, s5, s4
	v_cmp_gt_u32_e32 vcc, s5, v0
	s_or_b64 s[2:3], s[2:3], vcc
	s_and_saveexec_b64 s[6:7], s[2:3]
	s_cbranch_execz .LBB1034_2
; %bb.1:
	s_load_dwordx2 s[2:3], s[0:1], 0x18
	s_load_dwordx4 s[8:11], s[0:1], 0x0
	s_load_dwordx2 s[6:7], s[0:1], 0x28
	s_load_dword s5, s[0:1], 0x10
	v_mov_b32_e32 v1, 0
	s_waitcnt lgkmcnt(0)
	s_lshl_b64 s[0:1], s[2:3], 3
	v_mov_b32_e32 v2, s10
	s_add_u32 s6, s6, s0
	s_addc_u32 s7, s7, s1
	s_add_u32 s0, s8, s2
	s_addc_u32 s1, s9, s3
	;; [unrolled: 2-line block ×3, first 2 shown]
	v_lshl_add_u64 v[4:5], s[0:1], 0, v[0:1]
	v_mad_u64_u32 v[6:7], s[0:1], v4, s5, 0
	v_mov_b32_e32 v4, v7
	v_mad_u64_u32 v[4:5], s[0:1], v5, s5, v[4:5]
	v_mov_b32_e32 v3, s11
	v_mov_b32_e32 v7, v4
	v_lshl_add_u64 v[2:3], v[6:7], 3, v[2:3]
	global_load_dwordx2 v[2:3], v[2:3], off
	s_mov_b32 s5, 0
	s_lshl_b64 s[0:1], s[4:5], 3
	s_add_u32 s0, s6, s0
	s_addc_u32 s1, s7, s1
	v_lshl_add_u64 v[0:1], v[0:1], 3, s[0:1]
	s_waitcnt vmcnt(0)
	global_store_dwordx2 v[0:1], v[2:3], off
.LBB1034_2:
	s_endpgm
	.section	.rodata,"a",@progbits
	.p2align	6, 0x0
	.amdhsa_kernel _ZN7rocprim17ROCPRIM_400000_NS6detail17trampoline_kernelINS0_14default_configENS1_25transform_config_selectorIlLb0EEEZNS1_14transform_implILb0ES3_S5_NS0_18transform_iteratorINS0_17counting_iteratorImlEEZNS1_24adjacent_difference_implIS3_Lb1ELb0EPlSB_ZN2at6native12_GLOBAL__N_124unique_dim_cuda_templateIbEESt5tupleIJNSC_6TensorESH_SH_EERKSH_lbbbEUlllE1_EE10hipError_tPvRmT2_T3_mT4_P12ihipStream_tbEUlmE_lEESB_NS0_8identityIvEEEESM_SP_SQ_mSR_ST_bEUlT_E_NS1_11comp_targetILNS1_3genE0ELNS1_11target_archE4294967295ELNS1_3gpuE0ELNS1_3repE0EEENS1_30default_config_static_selectorELNS0_4arch9wavefront6targetE1EEEvT1_
		.amdhsa_group_segment_fixed_size 0
		.amdhsa_private_segment_fixed_size 0
		.amdhsa_kernarg_size 312
		.amdhsa_user_sgpr_count 2
		.amdhsa_user_sgpr_dispatch_ptr 0
		.amdhsa_user_sgpr_queue_ptr 0
		.amdhsa_user_sgpr_kernarg_segment_ptr 1
		.amdhsa_user_sgpr_dispatch_id 0
		.amdhsa_user_sgpr_kernarg_preload_length 0
		.amdhsa_user_sgpr_kernarg_preload_offset 0
		.amdhsa_user_sgpr_private_segment_size 0
		.amdhsa_uses_dynamic_stack 0
		.amdhsa_enable_private_segment 0
		.amdhsa_system_sgpr_workgroup_id_x 1
		.amdhsa_system_sgpr_workgroup_id_y 0
		.amdhsa_system_sgpr_workgroup_id_z 0
		.amdhsa_system_sgpr_workgroup_info 0
		.amdhsa_system_vgpr_workitem_id 0
		.amdhsa_next_free_vgpr 8
		.amdhsa_next_free_sgpr 12
		.amdhsa_accum_offset 8
		.amdhsa_reserve_vcc 1
		.amdhsa_float_round_mode_32 0
		.amdhsa_float_round_mode_16_64 0
		.amdhsa_float_denorm_mode_32 3
		.amdhsa_float_denorm_mode_16_64 3
		.amdhsa_dx10_clamp 1
		.amdhsa_ieee_mode 1
		.amdhsa_fp16_overflow 0
		.amdhsa_tg_split 0
		.amdhsa_exception_fp_ieee_invalid_op 0
		.amdhsa_exception_fp_denorm_src 0
		.amdhsa_exception_fp_ieee_div_zero 0
		.amdhsa_exception_fp_ieee_overflow 0
		.amdhsa_exception_fp_ieee_underflow 0
		.amdhsa_exception_fp_ieee_inexact 0
		.amdhsa_exception_int_div_zero 0
	.end_amdhsa_kernel
	.section	.text._ZN7rocprim17ROCPRIM_400000_NS6detail17trampoline_kernelINS0_14default_configENS1_25transform_config_selectorIlLb0EEEZNS1_14transform_implILb0ES3_S5_NS0_18transform_iteratorINS0_17counting_iteratorImlEEZNS1_24adjacent_difference_implIS3_Lb1ELb0EPlSB_ZN2at6native12_GLOBAL__N_124unique_dim_cuda_templateIbEESt5tupleIJNSC_6TensorESH_SH_EERKSH_lbbbEUlllE1_EE10hipError_tPvRmT2_T3_mT4_P12ihipStream_tbEUlmE_lEESB_NS0_8identityIvEEEESM_SP_SQ_mSR_ST_bEUlT_E_NS1_11comp_targetILNS1_3genE0ELNS1_11target_archE4294967295ELNS1_3gpuE0ELNS1_3repE0EEENS1_30default_config_static_selectorELNS0_4arch9wavefront6targetE1EEEvT1_,"axG",@progbits,_ZN7rocprim17ROCPRIM_400000_NS6detail17trampoline_kernelINS0_14default_configENS1_25transform_config_selectorIlLb0EEEZNS1_14transform_implILb0ES3_S5_NS0_18transform_iteratorINS0_17counting_iteratorImlEEZNS1_24adjacent_difference_implIS3_Lb1ELb0EPlSB_ZN2at6native12_GLOBAL__N_124unique_dim_cuda_templateIbEESt5tupleIJNSC_6TensorESH_SH_EERKSH_lbbbEUlllE1_EE10hipError_tPvRmT2_T3_mT4_P12ihipStream_tbEUlmE_lEESB_NS0_8identityIvEEEESM_SP_SQ_mSR_ST_bEUlT_E_NS1_11comp_targetILNS1_3genE0ELNS1_11target_archE4294967295ELNS1_3gpuE0ELNS1_3repE0EEENS1_30default_config_static_selectorELNS0_4arch9wavefront6targetE1EEEvT1_,comdat
.Lfunc_end1034:
	.size	_ZN7rocprim17ROCPRIM_400000_NS6detail17trampoline_kernelINS0_14default_configENS1_25transform_config_selectorIlLb0EEEZNS1_14transform_implILb0ES3_S5_NS0_18transform_iteratorINS0_17counting_iteratorImlEEZNS1_24adjacent_difference_implIS3_Lb1ELb0EPlSB_ZN2at6native12_GLOBAL__N_124unique_dim_cuda_templateIbEESt5tupleIJNSC_6TensorESH_SH_EERKSH_lbbbEUlllE1_EE10hipError_tPvRmT2_T3_mT4_P12ihipStream_tbEUlmE_lEESB_NS0_8identityIvEEEESM_SP_SQ_mSR_ST_bEUlT_E_NS1_11comp_targetILNS1_3genE0ELNS1_11target_archE4294967295ELNS1_3gpuE0ELNS1_3repE0EEENS1_30default_config_static_selectorELNS0_4arch9wavefront6targetE1EEEvT1_, .Lfunc_end1034-_ZN7rocprim17ROCPRIM_400000_NS6detail17trampoline_kernelINS0_14default_configENS1_25transform_config_selectorIlLb0EEEZNS1_14transform_implILb0ES3_S5_NS0_18transform_iteratorINS0_17counting_iteratorImlEEZNS1_24adjacent_difference_implIS3_Lb1ELb0EPlSB_ZN2at6native12_GLOBAL__N_124unique_dim_cuda_templateIbEESt5tupleIJNSC_6TensorESH_SH_EERKSH_lbbbEUlllE1_EE10hipError_tPvRmT2_T3_mT4_P12ihipStream_tbEUlmE_lEESB_NS0_8identityIvEEEESM_SP_SQ_mSR_ST_bEUlT_E_NS1_11comp_targetILNS1_3genE0ELNS1_11target_archE4294967295ELNS1_3gpuE0ELNS1_3repE0EEENS1_30default_config_static_selectorELNS0_4arch9wavefront6targetE1EEEvT1_
                                        ; -- End function
	.set _ZN7rocprim17ROCPRIM_400000_NS6detail17trampoline_kernelINS0_14default_configENS1_25transform_config_selectorIlLb0EEEZNS1_14transform_implILb0ES3_S5_NS0_18transform_iteratorINS0_17counting_iteratorImlEEZNS1_24adjacent_difference_implIS3_Lb1ELb0EPlSB_ZN2at6native12_GLOBAL__N_124unique_dim_cuda_templateIbEESt5tupleIJNSC_6TensorESH_SH_EERKSH_lbbbEUlllE1_EE10hipError_tPvRmT2_T3_mT4_P12ihipStream_tbEUlmE_lEESB_NS0_8identityIvEEEESM_SP_SQ_mSR_ST_bEUlT_E_NS1_11comp_targetILNS1_3genE0ELNS1_11target_archE4294967295ELNS1_3gpuE0ELNS1_3repE0EEENS1_30default_config_static_selectorELNS0_4arch9wavefront6targetE1EEEvT1_.num_vgpr, 8
	.set _ZN7rocprim17ROCPRIM_400000_NS6detail17trampoline_kernelINS0_14default_configENS1_25transform_config_selectorIlLb0EEEZNS1_14transform_implILb0ES3_S5_NS0_18transform_iteratorINS0_17counting_iteratorImlEEZNS1_24adjacent_difference_implIS3_Lb1ELb0EPlSB_ZN2at6native12_GLOBAL__N_124unique_dim_cuda_templateIbEESt5tupleIJNSC_6TensorESH_SH_EERKSH_lbbbEUlllE1_EE10hipError_tPvRmT2_T3_mT4_P12ihipStream_tbEUlmE_lEESB_NS0_8identityIvEEEESM_SP_SQ_mSR_ST_bEUlT_E_NS1_11comp_targetILNS1_3genE0ELNS1_11target_archE4294967295ELNS1_3gpuE0ELNS1_3repE0EEENS1_30default_config_static_selectorELNS0_4arch9wavefront6targetE1EEEvT1_.num_agpr, 0
	.set _ZN7rocprim17ROCPRIM_400000_NS6detail17trampoline_kernelINS0_14default_configENS1_25transform_config_selectorIlLb0EEEZNS1_14transform_implILb0ES3_S5_NS0_18transform_iteratorINS0_17counting_iteratorImlEEZNS1_24adjacent_difference_implIS3_Lb1ELb0EPlSB_ZN2at6native12_GLOBAL__N_124unique_dim_cuda_templateIbEESt5tupleIJNSC_6TensorESH_SH_EERKSH_lbbbEUlllE1_EE10hipError_tPvRmT2_T3_mT4_P12ihipStream_tbEUlmE_lEESB_NS0_8identityIvEEEESM_SP_SQ_mSR_ST_bEUlT_E_NS1_11comp_targetILNS1_3genE0ELNS1_11target_archE4294967295ELNS1_3gpuE0ELNS1_3repE0EEENS1_30default_config_static_selectorELNS0_4arch9wavefront6targetE1EEEvT1_.numbered_sgpr, 12
	.set _ZN7rocprim17ROCPRIM_400000_NS6detail17trampoline_kernelINS0_14default_configENS1_25transform_config_selectorIlLb0EEEZNS1_14transform_implILb0ES3_S5_NS0_18transform_iteratorINS0_17counting_iteratorImlEEZNS1_24adjacent_difference_implIS3_Lb1ELb0EPlSB_ZN2at6native12_GLOBAL__N_124unique_dim_cuda_templateIbEESt5tupleIJNSC_6TensorESH_SH_EERKSH_lbbbEUlllE1_EE10hipError_tPvRmT2_T3_mT4_P12ihipStream_tbEUlmE_lEESB_NS0_8identityIvEEEESM_SP_SQ_mSR_ST_bEUlT_E_NS1_11comp_targetILNS1_3genE0ELNS1_11target_archE4294967295ELNS1_3gpuE0ELNS1_3repE0EEENS1_30default_config_static_selectorELNS0_4arch9wavefront6targetE1EEEvT1_.num_named_barrier, 0
	.set _ZN7rocprim17ROCPRIM_400000_NS6detail17trampoline_kernelINS0_14default_configENS1_25transform_config_selectorIlLb0EEEZNS1_14transform_implILb0ES3_S5_NS0_18transform_iteratorINS0_17counting_iteratorImlEEZNS1_24adjacent_difference_implIS3_Lb1ELb0EPlSB_ZN2at6native12_GLOBAL__N_124unique_dim_cuda_templateIbEESt5tupleIJNSC_6TensorESH_SH_EERKSH_lbbbEUlllE1_EE10hipError_tPvRmT2_T3_mT4_P12ihipStream_tbEUlmE_lEESB_NS0_8identityIvEEEESM_SP_SQ_mSR_ST_bEUlT_E_NS1_11comp_targetILNS1_3genE0ELNS1_11target_archE4294967295ELNS1_3gpuE0ELNS1_3repE0EEENS1_30default_config_static_selectorELNS0_4arch9wavefront6targetE1EEEvT1_.private_seg_size, 0
	.set _ZN7rocprim17ROCPRIM_400000_NS6detail17trampoline_kernelINS0_14default_configENS1_25transform_config_selectorIlLb0EEEZNS1_14transform_implILb0ES3_S5_NS0_18transform_iteratorINS0_17counting_iteratorImlEEZNS1_24adjacent_difference_implIS3_Lb1ELb0EPlSB_ZN2at6native12_GLOBAL__N_124unique_dim_cuda_templateIbEESt5tupleIJNSC_6TensorESH_SH_EERKSH_lbbbEUlllE1_EE10hipError_tPvRmT2_T3_mT4_P12ihipStream_tbEUlmE_lEESB_NS0_8identityIvEEEESM_SP_SQ_mSR_ST_bEUlT_E_NS1_11comp_targetILNS1_3genE0ELNS1_11target_archE4294967295ELNS1_3gpuE0ELNS1_3repE0EEENS1_30default_config_static_selectorELNS0_4arch9wavefront6targetE1EEEvT1_.uses_vcc, 1
	.set _ZN7rocprim17ROCPRIM_400000_NS6detail17trampoline_kernelINS0_14default_configENS1_25transform_config_selectorIlLb0EEEZNS1_14transform_implILb0ES3_S5_NS0_18transform_iteratorINS0_17counting_iteratorImlEEZNS1_24adjacent_difference_implIS3_Lb1ELb0EPlSB_ZN2at6native12_GLOBAL__N_124unique_dim_cuda_templateIbEESt5tupleIJNSC_6TensorESH_SH_EERKSH_lbbbEUlllE1_EE10hipError_tPvRmT2_T3_mT4_P12ihipStream_tbEUlmE_lEESB_NS0_8identityIvEEEESM_SP_SQ_mSR_ST_bEUlT_E_NS1_11comp_targetILNS1_3genE0ELNS1_11target_archE4294967295ELNS1_3gpuE0ELNS1_3repE0EEENS1_30default_config_static_selectorELNS0_4arch9wavefront6targetE1EEEvT1_.uses_flat_scratch, 0
	.set _ZN7rocprim17ROCPRIM_400000_NS6detail17trampoline_kernelINS0_14default_configENS1_25transform_config_selectorIlLb0EEEZNS1_14transform_implILb0ES3_S5_NS0_18transform_iteratorINS0_17counting_iteratorImlEEZNS1_24adjacent_difference_implIS3_Lb1ELb0EPlSB_ZN2at6native12_GLOBAL__N_124unique_dim_cuda_templateIbEESt5tupleIJNSC_6TensorESH_SH_EERKSH_lbbbEUlllE1_EE10hipError_tPvRmT2_T3_mT4_P12ihipStream_tbEUlmE_lEESB_NS0_8identityIvEEEESM_SP_SQ_mSR_ST_bEUlT_E_NS1_11comp_targetILNS1_3genE0ELNS1_11target_archE4294967295ELNS1_3gpuE0ELNS1_3repE0EEENS1_30default_config_static_selectorELNS0_4arch9wavefront6targetE1EEEvT1_.has_dyn_sized_stack, 0
	.set _ZN7rocprim17ROCPRIM_400000_NS6detail17trampoline_kernelINS0_14default_configENS1_25transform_config_selectorIlLb0EEEZNS1_14transform_implILb0ES3_S5_NS0_18transform_iteratorINS0_17counting_iteratorImlEEZNS1_24adjacent_difference_implIS3_Lb1ELb0EPlSB_ZN2at6native12_GLOBAL__N_124unique_dim_cuda_templateIbEESt5tupleIJNSC_6TensorESH_SH_EERKSH_lbbbEUlllE1_EE10hipError_tPvRmT2_T3_mT4_P12ihipStream_tbEUlmE_lEESB_NS0_8identityIvEEEESM_SP_SQ_mSR_ST_bEUlT_E_NS1_11comp_targetILNS1_3genE0ELNS1_11target_archE4294967295ELNS1_3gpuE0ELNS1_3repE0EEENS1_30default_config_static_selectorELNS0_4arch9wavefront6targetE1EEEvT1_.has_recursion, 0
	.set _ZN7rocprim17ROCPRIM_400000_NS6detail17trampoline_kernelINS0_14default_configENS1_25transform_config_selectorIlLb0EEEZNS1_14transform_implILb0ES3_S5_NS0_18transform_iteratorINS0_17counting_iteratorImlEEZNS1_24adjacent_difference_implIS3_Lb1ELb0EPlSB_ZN2at6native12_GLOBAL__N_124unique_dim_cuda_templateIbEESt5tupleIJNSC_6TensorESH_SH_EERKSH_lbbbEUlllE1_EE10hipError_tPvRmT2_T3_mT4_P12ihipStream_tbEUlmE_lEESB_NS0_8identityIvEEEESM_SP_SQ_mSR_ST_bEUlT_E_NS1_11comp_targetILNS1_3genE0ELNS1_11target_archE4294967295ELNS1_3gpuE0ELNS1_3repE0EEENS1_30default_config_static_selectorELNS0_4arch9wavefront6targetE1EEEvT1_.has_indirect_call, 0
	.section	.AMDGPU.csdata,"",@progbits
; Kernel info:
; codeLenInByte = 220
; TotalNumSgprs: 18
; NumVgprs: 8
; NumAgprs: 0
; TotalNumVgprs: 8
; ScratchSize: 0
; MemoryBound: 0
; FloatMode: 240
; IeeeMode: 1
; LDSByteSize: 0 bytes/workgroup (compile time only)
; SGPRBlocks: 2
; VGPRBlocks: 0
; NumSGPRsForWavesPerEU: 18
; NumVGPRsForWavesPerEU: 8
; AccumOffset: 8
; Occupancy: 8
; WaveLimiterHint : 0
; COMPUTE_PGM_RSRC2:SCRATCH_EN: 0
; COMPUTE_PGM_RSRC2:USER_SGPR: 2
; COMPUTE_PGM_RSRC2:TRAP_HANDLER: 0
; COMPUTE_PGM_RSRC2:TGID_X_EN: 1
; COMPUTE_PGM_RSRC2:TGID_Y_EN: 0
; COMPUTE_PGM_RSRC2:TGID_Z_EN: 0
; COMPUTE_PGM_RSRC2:TIDIG_COMP_CNT: 0
; COMPUTE_PGM_RSRC3_GFX90A:ACCUM_OFFSET: 1
; COMPUTE_PGM_RSRC3_GFX90A:TG_SPLIT: 0
	.section	.text._ZN7rocprim17ROCPRIM_400000_NS6detail17trampoline_kernelINS0_14default_configENS1_25transform_config_selectorIlLb0EEEZNS1_14transform_implILb0ES3_S5_NS0_18transform_iteratorINS0_17counting_iteratorImlEEZNS1_24adjacent_difference_implIS3_Lb1ELb0EPlSB_ZN2at6native12_GLOBAL__N_124unique_dim_cuda_templateIbEESt5tupleIJNSC_6TensorESH_SH_EERKSH_lbbbEUlllE1_EE10hipError_tPvRmT2_T3_mT4_P12ihipStream_tbEUlmE_lEESB_NS0_8identityIvEEEESM_SP_SQ_mSR_ST_bEUlT_E_NS1_11comp_targetILNS1_3genE5ELNS1_11target_archE942ELNS1_3gpuE9ELNS1_3repE0EEENS1_30default_config_static_selectorELNS0_4arch9wavefront6targetE1EEEvT1_,"axG",@progbits,_ZN7rocprim17ROCPRIM_400000_NS6detail17trampoline_kernelINS0_14default_configENS1_25transform_config_selectorIlLb0EEEZNS1_14transform_implILb0ES3_S5_NS0_18transform_iteratorINS0_17counting_iteratorImlEEZNS1_24adjacent_difference_implIS3_Lb1ELb0EPlSB_ZN2at6native12_GLOBAL__N_124unique_dim_cuda_templateIbEESt5tupleIJNSC_6TensorESH_SH_EERKSH_lbbbEUlllE1_EE10hipError_tPvRmT2_T3_mT4_P12ihipStream_tbEUlmE_lEESB_NS0_8identityIvEEEESM_SP_SQ_mSR_ST_bEUlT_E_NS1_11comp_targetILNS1_3genE5ELNS1_11target_archE942ELNS1_3gpuE9ELNS1_3repE0EEENS1_30default_config_static_selectorELNS0_4arch9wavefront6targetE1EEEvT1_,comdat
	.globl	_ZN7rocprim17ROCPRIM_400000_NS6detail17trampoline_kernelINS0_14default_configENS1_25transform_config_selectorIlLb0EEEZNS1_14transform_implILb0ES3_S5_NS0_18transform_iteratorINS0_17counting_iteratorImlEEZNS1_24adjacent_difference_implIS3_Lb1ELb0EPlSB_ZN2at6native12_GLOBAL__N_124unique_dim_cuda_templateIbEESt5tupleIJNSC_6TensorESH_SH_EERKSH_lbbbEUlllE1_EE10hipError_tPvRmT2_T3_mT4_P12ihipStream_tbEUlmE_lEESB_NS0_8identityIvEEEESM_SP_SQ_mSR_ST_bEUlT_E_NS1_11comp_targetILNS1_3genE5ELNS1_11target_archE942ELNS1_3gpuE9ELNS1_3repE0EEENS1_30default_config_static_selectorELNS0_4arch9wavefront6targetE1EEEvT1_ ; -- Begin function _ZN7rocprim17ROCPRIM_400000_NS6detail17trampoline_kernelINS0_14default_configENS1_25transform_config_selectorIlLb0EEEZNS1_14transform_implILb0ES3_S5_NS0_18transform_iteratorINS0_17counting_iteratorImlEEZNS1_24adjacent_difference_implIS3_Lb1ELb0EPlSB_ZN2at6native12_GLOBAL__N_124unique_dim_cuda_templateIbEESt5tupleIJNSC_6TensorESH_SH_EERKSH_lbbbEUlllE1_EE10hipError_tPvRmT2_T3_mT4_P12ihipStream_tbEUlmE_lEESB_NS0_8identityIvEEEESM_SP_SQ_mSR_ST_bEUlT_E_NS1_11comp_targetILNS1_3genE5ELNS1_11target_archE942ELNS1_3gpuE9ELNS1_3repE0EEENS1_30default_config_static_selectorELNS0_4arch9wavefront6targetE1EEEvT1_
	.p2align	8
	.type	_ZN7rocprim17ROCPRIM_400000_NS6detail17trampoline_kernelINS0_14default_configENS1_25transform_config_selectorIlLb0EEEZNS1_14transform_implILb0ES3_S5_NS0_18transform_iteratorINS0_17counting_iteratorImlEEZNS1_24adjacent_difference_implIS3_Lb1ELb0EPlSB_ZN2at6native12_GLOBAL__N_124unique_dim_cuda_templateIbEESt5tupleIJNSC_6TensorESH_SH_EERKSH_lbbbEUlllE1_EE10hipError_tPvRmT2_T3_mT4_P12ihipStream_tbEUlmE_lEESB_NS0_8identityIvEEEESM_SP_SQ_mSR_ST_bEUlT_E_NS1_11comp_targetILNS1_3genE5ELNS1_11target_archE942ELNS1_3gpuE9ELNS1_3repE0EEENS1_30default_config_static_selectorELNS0_4arch9wavefront6targetE1EEEvT1_,@function
_ZN7rocprim17ROCPRIM_400000_NS6detail17trampoline_kernelINS0_14default_configENS1_25transform_config_selectorIlLb0EEEZNS1_14transform_implILb0ES3_S5_NS0_18transform_iteratorINS0_17counting_iteratorImlEEZNS1_24adjacent_difference_implIS3_Lb1ELb0EPlSB_ZN2at6native12_GLOBAL__N_124unique_dim_cuda_templateIbEESt5tupleIJNSC_6TensorESH_SH_EERKSH_lbbbEUlllE1_EE10hipError_tPvRmT2_T3_mT4_P12ihipStream_tbEUlmE_lEESB_NS0_8identityIvEEEESM_SP_SQ_mSR_ST_bEUlT_E_NS1_11comp_targetILNS1_3genE5ELNS1_11target_archE942ELNS1_3gpuE9ELNS1_3repE0EEENS1_30default_config_static_selectorELNS0_4arch9wavefront6targetE1EEEvT1_: ; @_ZN7rocprim17ROCPRIM_400000_NS6detail17trampoline_kernelINS0_14default_configENS1_25transform_config_selectorIlLb0EEEZNS1_14transform_implILb0ES3_S5_NS0_18transform_iteratorINS0_17counting_iteratorImlEEZNS1_24adjacent_difference_implIS3_Lb1ELb0EPlSB_ZN2at6native12_GLOBAL__N_124unique_dim_cuda_templateIbEESt5tupleIJNSC_6TensorESH_SH_EERKSH_lbbbEUlllE1_EE10hipError_tPvRmT2_T3_mT4_P12ihipStream_tbEUlmE_lEESB_NS0_8identityIvEEEESM_SP_SQ_mSR_ST_bEUlT_E_NS1_11comp_targetILNS1_3genE5ELNS1_11target_archE942ELNS1_3gpuE9ELNS1_3repE0EEENS1_30default_config_static_selectorELNS0_4arch9wavefront6targetE1EEEvT1_
; %bb.0:
	.section	.rodata,"a",@progbits
	.p2align	6, 0x0
	.amdhsa_kernel _ZN7rocprim17ROCPRIM_400000_NS6detail17trampoline_kernelINS0_14default_configENS1_25transform_config_selectorIlLb0EEEZNS1_14transform_implILb0ES3_S5_NS0_18transform_iteratorINS0_17counting_iteratorImlEEZNS1_24adjacent_difference_implIS3_Lb1ELb0EPlSB_ZN2at6native12_GLOBAL__N_124unique_dim_cuda_templateIbEESt5tupleIJNSC_6TensorESH_SH_EERKSH_lbbbEUlllE1_EE10hipError_tPvRmT2_T3_mT4_P12ihipStream_tbEUlmE_lEESB_NS0_8identityIvEEEESM_SP_SQ_mSR_ST_bEUlT_E_NS1_11comp_targetILNS1_3genE5ELNS1_11target_archE942ELNS1_3gpuE9ELNS1_3repE0EEENS1_30default_config_static_selectorELNS0_4arch9wavefront6targetE1EEEvT1_
		.amdhsa_group_segment_fixed_size 0
		.amdhsa_private_segment_fixed_size 0
		.amdhsa_kernarg_size 56
		.amdhsa_user_sgpr_count 2
		.amdhsa_user_sgpr_dispatch_ptr 0
		.amdhsa_user_sgpr_queue_ptr 0
		.amdhsa_user_sgpr_kernarg_segment_ptr 1
		.amdhsa_user_sgpr_dispatch_id 0
		.amdhsa_user_sgpr_kernarg_preload_length 0
		.amdhsa_user_sgpr_kernarg_preload_offset 0
		.amdhsa_user_sgpr_private_segment_size 0
		.amdhsa_uses_dynamic_stack 0
		.amdhsa_enable_private_segment 0
		.amdhsa_system_sgpr_workgroup_id_x 1
		.amdhsa_system_sgpr_workgroup_id_y 0
		.amdhsa_system_sgpr_workgroup_id_z 0
		.amdhsa_system_sgpr_workgroup_info 0
		.amdhsa_system_vgpr_workitem_id 0
		.amdhsa_next_free_vgpr 1
		.amdhsa_next_free_sgpr 0
		.amdhsa_accum_offset 4
		.amdhsa_reserve_vcc 0
		.amdhsa_float_round_mode_32 0
		.amdhsa_float_round_mode_16_64 0
		.amdhsa_float_denorm_mode_32 3
		.amdhsa_float_denorm_mode_16_64 3
		.amdhsa_dx10_clamp 1
		.amdhsa_ieee_mode 1
		.amdhsa_fp16_overflow 0
		.amdhsa_tg_split 0
		.amdhsa_exception_fp_ieee_invalid_op 0
		.amdhsa_exception_fp_denorm_src 0
		.amdhsa_exception_fp_ieee_div_zero 0
		.amdhsa_exception_fp_ieee_overflow 0
		.amdhsa_exception_fp_ieee_underflow 0
		.amdhsa_exception_fp_ieee_inexact 0
		.amdhsa_exception_int_div_zero 0
	.end_amdhsa_kernel
	.section	.text._ZN7rocprim17ROCPRIM_400000_NS6detail17trampoline_kernelINS0_14default_configENS1_25transform_config_selectorIlLb0EEEZNS1_14transform_implILb0ES3_S5_NS0_18transform_iteratorINS0_17counting_iteratorImlEEZNS1_24adjacent_difference_implIS3_Lb1ELb0EPlSB_ZN2at6native12_GLOBAL__N_124unique_dim_cuda_templateIbEESt5tupleIJNSC_6TensorESH_SH_EERKSH_lbbbEUlllE1_EE10hipError_tPvRmT2_T3_mT4_P12ihipStream_tbEUlmE_lEESB_NS0_8identityIvEEEESM_SP_SQ_mSR_ST_bEUlT_E_NS1_11comp_targetILNS1_3genE5ELNS1_11target_archE942ELNS1_3gpuE9ELNS1_3repE0EEENS1_30default_config_static_selectorELNS0_4arch9wavefront6targetE1EEEvT1_,"axG",@progbits,_ZN7rocprim17ROCPRIM_400000_NS6detail17trampoline_kernelINS0_14default_configENS1_25transform_config_selectorIlLb0EEEZNS1_14transform_implILb0ES3_S5_NS0_18transform_iteratorINS0_17counting_iteratorImlEEZNS1_24adjacent_difference_implIS3_Lb1ELb0EPlSB_ZN2at6native12_GLOBAL__N_124unique_dim_cuda_templateIbEESt5tupleIJNSC_6TensorESH_SH_EERKSH_lbbbEUlllE1_EE10hipError_tPvRmT2_T3_mT4_P12ihipStream_tbEUlmE_lEESB_NS0_8identityIvEEEESM_SP_SQ_mSR_ST_bEUlT_E_NS1_11comp_targetILNS1_3genE5ELNS1_11target_archE942ELNS1_3gpuE9ELNS1_3repE0EEENS1_30default_config_static_selectorELNS0_4arch9wavefront6targetE1EEEvT1_,comdat
.Lfunc_end1035:
	.size	_ZN7rocprim17ROCPRIM_400000_NS6detail17trampoline_kernelINS0_14default_configENS1_25transform_config_selectorIlLb0EEEZNS1_14transform_implILb0ES3_S5_NS0_18transform_iteratorINS0_17counting_iteratorImlEEZNS1_24adjacent_difference_implIS3_Lb1ELb0EPlSB_ZN2at6native12_GLOBAL__N_124unique_dim_cuda_templateIbEESt5tupleIJNSC_6TensorESH_SH_EERKSH_lbbbEUlllE1_EE10hipError_tPvRmT2_T3_mT4_P12ihipStream_tbEUlmE_lEESB_NS0_8identityIvEEEESM_SP_SQ_mSR_ST_bEUlT_E_NS1_11comp_targetILNS1_3genE5ELNS1_11target_archE942ELNS1_3gpuE9ELNS1_3repE0EEENS1_30default_config_static_selectorELNS0_4arch9wavefront6targetE1EEEvT1_, .Lfunc_end1035-_ZN7rocprim17ROCPRIM_400000_NS6detail17trampoline_kernelINS0_14default_configENS1_25transform_config_selectorIlLb0EEEZNS1_14transform_implILb0ES3_S5_NS0_18transform_iteratorINS0_17counting_iteratorImlEEZNS1_24adjacent_difference_implIS3_Lb1ELb0EPlSB_ZN2at6native12_GLOBAL__N_124unique_dim_cuda_templateIbEESt5tupleIJNSC_6TensorESH_SH_EERKSH_lbbbEUlllE1_EE10hipError_tPvRmT2_T3_mT4_P12ihipStream_tbEUlmE_lEESB_NS0_8identityIvEEEESM_SP_SQ_mSR_ST_bEUlT_E_NS1_11comp_targetILNS1_3genE5ELNS1_11target_archE942ELNS1_3gpuE9ELNS1_3repE0EEENS1_30default_config_static_selectorELNS0_4arch9wavefront6targetE1EEEvT1_
                                        ; -- End function
	.set _ZN7rocprim17ROCPRIM_400000_NS6detail17trampoline_kernelINS0_14default_configENS1_25transform_config_selectorIlLb0EEEZNS1_14transform_implILb0ES3_S5_NS0_18transform_iteratorINS0_17counting_iteratorImlEEZNS1_24adjacent_difference_implIS3_Lb1ELb0EPlSB_ZN2at6native12_GLOBAL__N_124unique_dim_cuda_templateIbEESt5tupleIJNSC_6TensorESH_SH_EERKSH_lbbbEUlllE1_EE10hipError_tPvRmT2_T3_mT4_P12ihipStream_tbEUlmE_lEESB_NS0_8identityIvEEEESM_SP_SQ_mSR_ST_bEUlT_E_NS1_11comp_targetILNS1_3genE5ELNS1_11target_archE942ELNS1_3gpuE9ELNS1_3repE0EEENS1_30default_config_static_selectorELNS0_4arch9wavefront6targetE1EEEvT1_.num_vgpr, 0
	.set _ZN7rocprim17ROCPRIM_400000_NS6detail17trampoline_kernelINS0_14default_configENS1_25transform_config_selectorIlLb0EEEZNS1_14transform_implILb0ES3_S5_NS0_18transform_iteratorINS0_17counting_iteratorImlEEZNS1_24adjacent_difference_implIS3_Lb1ELb0EPlSB_ZN2at6native12_GLOBAL__N_124unique_dim_cuda_templateIbEESt5tupleIJNSC_6TensorESH_SH_EERKSH_lbbbEUlllE1_EE10hipError_tPvRmT2_T3_mT4_P12ihipStream_tbEUlmE_lEESB_NS0_8identityIvEEEESM_SP_SQ_mSR_ST_bEUlT_E_NS1_11comp_targetILNS1_3genE5ELNS1_11target_archE942ELNS1_3gpuE9ELNS1_3repE0EEENS1_30default_config_static_selectorELNS0_4arch9wavefront6targetE1EEEvT1_.num_agpr, 0
	.set _ZN7rocprim17ROCPRIM_400000_NS6detail17trampoline_kernelINS0_14default_configENS1_25transform_config_selectorIlLb0EEEZNS1_14transform_implILb0ES3_S5_NS0_18transform_iteratorINS0_17counting_iteratorImlEEZNS1_24adjacent_difference_implIS3_Lb1ELb0EPlSB_ZN2at6native12_GLOBAL__N_124unique_dim_cuda_templateIbEESt5tupleIJNSC_6TensorESH_SH_EERKSH_lbbbEUlllE1_EE10hipError_tPvRmT2_T3_mT4_P12ihipStream_tbEUlmE_lEESB_NS0_8identityIvEEEESM_SP_SQ_mSR_ST_bEUlT_E_NS1_11comp_targetILNS1_3genE5ELNS1_11target_archE942ELNS1_3gpuE9ELNS1_3repE0EEENS1_30default_config_static_selectorELNS0_4arch9wavefront6targetE1EEEvT1_.numbered_sgpr, 0
	.set _ZN7rocprim17ROCPRIM_400000_NS6detail17trampoline_kernelINS0_14default_configENS1_25transform_config_selectorIlLb0EEEZNS1_14transform_implILb0ES3_S5_NS0_18transform_iteratorINS0_17counting_iteratorImlEEZNS1_24adjacent_difference_implIS3_Lb1ELb0EPlSB_ZN2at6native12_GLOBAL__N_124unique_dim_cuda_templateIbEESt5tupleIJNSC_6TensorESH_SH_EERKSH_lbbbEUlllE1_EE10hipError_tPvRmT2_T3_mT4_P12ihipStream_tbEUlmE_lEESB_NS0_8identityIvEEEESM_SP_SQ_mSR_ST_bEUlT_E_NS1_11comp_targetILNS1_3genE5ELNS1_11target_archE942ELNS1_3gpuE9ELNS1_3repE0EEENS1_30default_config_static_selectorELNS0_4arch9wavefront6targetE1EEEvT1_.num_named_barrier, 0
	.set _ZN7rocprim17ROCPRIM_400000_NS6detail17trampoline_kernelINS0_14default_configENS1_25transform_config_selectorIlLb0EEEZNS1_14transform_implILb0ES3_S5_NS0_18transform_iteratorINS0_17counting_iteratorImlEEZNS1_24adjacent_difference_implIS3_Lb1ELb0EPlSB_ZN2at6native12_GLOBAL__N_124unique_dim_cuda_templateIbEESt5tupleIJNSC_6TensorESH_SH_EERKSH_lbbbEUlllE1_EE10hipError_tPvRmT2_T3_mT4_P12ihipStream_tbEUlmE_lEESB_NS0_8identityIvEEEESM_SP_SQ_mSR_ST_bEUlT_E_NS1_11comp_targetILNS1_3genE5ELNS1_11target_archE942ELNS1_3gpuE9ELNS1_3repE0EEENS1_30default_config_static_selectorELNS0_4arch9wavefront6targetE1EEEvT1_.private_seg_size, 0
	.set _ZN7rocprim17ROCPRIM_400000_NS6detail17trampoline_kernelINS0_14default_configENS1_25transform_config_selectorIlLb0EEEZNS1_14transform_implILb0ES3_S5_NS0_18transform_iteratorINS0_17counting_iteratorImlEEZNS1_24adjacent_difference_implIS3_Lb1ELb0EPlSB_ZN2at6native12_GLOBAL__N_124unique_dim_cuda_templateIbEESt5tupleIJNSC_6TensorESH_SH_EERKSH_lbbbEUlllE1_EE10hipError_tPvRmT2_T3_mT4_P12ihipStream_tbEUlmE_lEESB_NS0_8identityIvEEEESM_SP_SQ_mSR_ST_bEUlT_E_NS1_11comp_targetILNS1_3genE5ELNS1_11target_archE942ELNS1_3gpuE9ELNS1_3repE0EEENS1_30default_config_static_selectorELNS0_4arch9wavefront6targetE1EEEvT1_.uses_vcc, 0
	.set _ZN7rocprim17ROCPRIM_400000_NS6detail17trampoline_kernelINS0_14default_configENS1_25transform_config_selectorIlLb0EEEZNS1_14transform_implILb0ES3_S5_NS0_18transform_iteratorINS0_17counting_iteratorImlEEZNS1_24adjacent_difference_implIS3_Lb1ELb0EPlSB_ZN2at6native12_GLOBAL__N_124unique_dim_cuda_templateIbEESt5tupleIJNSC_6TensorESH_SH_EERKSH_lbbbEUlllE1_EE10hipError_tPvRmT2_T3_mT4_P12ihipStream_tbEUlmE_lEESB_NS0_8identityIvEEEESM_SP_SQ_mSR_ST_bEUlT_E_NS1_11comp_targetILNS1_3genE5ELNS1_11target_archE942ELNS1_3gpuE9ELNS1_3repE0EEENS1_30default_config_static_selectorELNS0_4arch9wavefront6targetE1EEEvT1_.uses_flat_scratch, 0
	.set _ZN7rocprim17ROCPRIM_400000_NS6detail17trampoline_kernelINS0_14default_configENS1_25transform_config_selectorIlLb0EEEZNS1_14transform_implILb0ES3_S5_NS0_18transform_iteratorINS0_17counting_iteratorImlEEZNS1_24adjacent_difference_implIS3_Lb1ELb0EPlSB_ZN2at6native12_GLOBAL__N_124unique_dim_cuda_templateIbEESt5tupleIJNSC_6TensorESH_SH_EERKSH_lbbbEUlllE1_EE10hipError_tPvRmT2_T3_mT4_P12ihipStream_tbEUlmE_lEESB_NS0_8identityIvEEEESM_SP_SQ_mSR_ST_bEUlT_E_NS1_11comp_targetILNS1_3genE5ELNS1_11target_archE942ELNS1_3gpuE9ELNS1_3repE0EEENS1_30default_config_static_selectorELNS0_4arch9wavefront6targetE1EEEvT1_.has_dyn_sized_stack, 0
	.set _ZN7rocprim17ROCPRIM_400000_NS6detail17trampoline_kernelINS0_14default_configENS1_25transform_config_selectorIlLb0EEEZNS1_14transform_implILb0ES3_S5_NS0_18transform_iteratorINS0_17counting_iteratorImlEEZNS1_24adjacent_difference_implIS3_Lb1ELb0EPlSB_ZN2at6native12_GLOBAL__N_124unique_dim_cuda_templateIbEESt5tupleIJNSC_6TensorESH_SH_EERKSH_lbbbEUlllE1_EE10hipError_tPvRmT2_T3_mT4_P12ihipStream_tbEUlmE_lEESB_NS0_8identityIvEEEESM_SP_SQ_mSR_ST_bEUlT_E_NS1_11comp_targetILNS1_3genE5ELNS1_11target_archE942ELNS1_3gpuE9ELNS1_3repE0EEENS1_30default_config_static_selectorELNS0_4arch9wavefront6targetE1EEEvT1_.has_recursion, 0
	.set _ZN7rocprim17ROCPRIM_400000_NS6detail17trampoline_kernelINS0_14default_configENS1_25transform_config_selectorIlLb0EEEZNS1_14transform_implILb0ES3_S5_NS0_18transform_iteratorINS0_17counting_iteratorImlEEZNS1_24adjacent_difference_implIS3_Lb1ELb0EPlSB_ZN2at6native12_GLOBAL__N_124unique_dim_cuda_templateIbEESt5tupleIJNSC_6TensorESH_SH_EERKSH_lbbbEUlllE1_EE10hipError_tPvRmT2_T3_mT4_P12ihipStream_tbEUlmE_lEESB_NS0_8identityIvEEEESM_SP_SQ_mSR_ST_bEUlT_E_NS1_11comp_targetILNS1_3genE5ELNS1_11target_archE942ELNS1_3gpuE9ELNS1_3repE0EEENS1_30default_config_static_selectorELNS0_4arch9wavefront6targetE1EEEvT1_.has_indirect_call, 0
	.section	.AMDGPU.csdata,"",@progbits
; Kernel info:
; codeLenInByte = 0
; TotalNumSgprs: 6
; NumVgprs: 0
; NumAgprs: 0
; TotalNumVgprs: 0
; ScratchSize: 0
; MemoryBound: 0
; FloatMode: 240
; IeeeMode: 1
; LDSByteSize: 0 bytes/workgroup (compile time only)
; SGPRBlocks: 0
; VGPRBlocks: 0
; NumSGPRsForWavesPerEU: 6
; NumVGPRsForWavesPerEU: 1
; AccumOffset: 4
; Occupancy: 8
; WaveLimiterHint : 0
; COMPUTE_PGM_RSRC2:SCRATCH_EN: 0
; COMPUTE_PGM_RSRC2:USER_SGPR: 2
; COMPUTE_PGM_RSRC2:TRAP_HANDLER: 0
; COMPUTE_PGM_RSRC2:TGID_X_EN: 1
; COMPUTE_PGM_RSRC2:TGID_Y_EN: 0
; COMPUTE_PGM_RSRC2:TGID_Z_EN: 0
; COMPUTE_PGM_RSRC2:TIDIG_COMP_CNT: 0
; COMPUTE_PGM_RSRC3_GFX90A:ACCUM_OFFSET: 0
; COMPUTE_PGM_RSRC3_GFX90A:TG_SPLIT: 0
	.section	.text._ZN7rocprim17ROCPRIM_400000_NS6detail17trampoline_kernelINS0_14default_configENS1_25transform_config_selectorIlLb0EEEZNS1_14transform_implILb0ES3_S5_NS0_18transform_iteratorINS0_17counting_iteratorImlEEZNS1_24adjacent_difference_implIS3_Lb1ELb0EPlSB_ZN2at6native12_GLOBAL__N_124unique_dim_cuda_templateIbEESt5tupleIJNSC_6TensorESH_SH_EERKSH_lbbbEUlllE1_EE10hipError_tPvRmT2_T3_mT4_P12ihipStream_tbEUlmE_lEESB_NS0_8identityIvEEEESM_SP_SQ_mSR_ST_bEUlT_E_NS1_11comp_targetILNS1_3genE4ELNS1_11target_archE910ELNS1_3gpuE8ELNS1_3repE0EEENS1_30default_config_static_selectorELNS0_4arch9wavefront6targetE1EEEvT1_,"axG",@progbits,_ZN7rocprim17ROCPRIM_400000_NS6detail17trampoline_kernelINS0_14default_configENS1_25transform_config_selectorIlLb0EEEZNS1_14transform_implILb0ES3_S5_NS0_18transform_iteratorINS0_17counting_iteratorImlEEZNS1_24adjacent_difference_implIS3_Lb1ELb0EPlSB_ZN2at6native12_GLOBAL__N_124unique_dim_cuda_templateIbEESt5tupleIJNSC_6TensorESH_SH_EERKSH_lbbbEUlllE1_EE10hipError_tPvRmT2_T3_mT4_P12ihipStream_tbEUlmE_lEESB_NS0_8identityIvEEEESM_SP_SQ_mSR_ST_bEUlT_E_NS1_11comp_targetILNS1_3genE4ELNS1_11target_archE910ELNS1_3gpuE8ELNS1_3repE0EEENS1_30default_config_static_selectorELNS0_4arch9wavefront6targetE1EEEvT1_,comdat
	.globl	_ZN7rocprim17ROCPRIM_400000_NS6detail17trampoline_kernelINS0_14default_configENS1_25transform_config_selectorIlLb0EEEZNS1_14transform_implILb0ES3_S5_NS0_18transform_iteratorINS0_17counting_iteratorImlEEZNS1_24adjacent_difference_implIS3_Lb1ELb0EPlSB_ZN2at6native12_GLOBAL__N_124unique_dim_cuda_templateIbEESt5tupleIJNSC_6TensorESH_SH_EERKSH_lbbbEUlllE1_EE10hipError_tPvRmT2_T3_mT4_P12ihipStream_tbEUlmE_lEESB_NS0_8identityIvEEEESM_SP_SQ_mSR_ST_bEUlT_E_NS1_11comp_targetILNS1_3genE4ELNS1_11target_archE910ELNS1_3gpuE8ELNS1_3repE0EEENS1_30default_config_static_selectorELNS0_4arch9wavefront6targetE1EEEvT1_ ; -- Begin function _ZN7rocprim17ROCPRIM_400000_NS6detail17trampoline_kernelINS0_14default_configENS1_25transform_config_selectorIlLb0EEEZNS1_14transform_implILb0ES3_S5_NS0_18transform_iteratorINS0_17counting_iteratorImlEEZNS1_24adjacent_difference_implIS3_Lb1ELb0EPlSB_ZN2at6native12_GLOBAL__N_124unique_dim_cuda_templateIbEESt5tupleIJNSC_6TensorESH_SH_EERKSH_lbbbEUlllE1_EE10hipError_tPvRmT2_T3_mT4_P12ihipStream_tbEUlmE_lEESB_NS0_8identityIvEEEESM_SP_SQ_mSR_ST_bEUlT_E_NS1_11comp_targetILNS1_3genE4ELNS1_11target_archE910ELNS1_3gpuE8ELNS1_3repE0EEENS1_30default_config_static_selectorELNS0_4arch9wavefront6targetE1EEEvT1_
	.p2align	8
	.type	_ZN7rocprim17ROCPRIM_400000_NS6detail17trampoline_kernelINS0_14default_configENS1_25transform_config_selectorIlLb0EEEZNS1_14transform_implILb0ES3_S5_NS0_18transform_iteratorINS0_17counting_iteratorImlEEZNS1_24adjacent_difference_implIS3_Lb1ELb0EPlSB_ZN2at6native12_GLOBAL__N_124unique_dim_cuda_templateIbEESt5tupleIJNSC_6TensorESH_SH_EERKSH_lbbbEUlllE1_EE10hipError_tPvRmT2_T3_mT4_P12ihipStream_tbEUlmE_lEESB_NS0_8identityIvEEEESM_SP_SQ_mSR_ST_bEUlT_E_NS1_11comp_targetILNS1_3genE4ELNS1_11target_archE910ELNS1_3gpuE8ELNS1_3repE0EEENS1_30default_config_static_selectorELNS0_4arch9wavefront6targetE1EEEvT1_,@function
_ZN7rocprim17ROCPRIM_400000_NS6detail17trampoline_kernelINS0_14default_configENS1_25transform_config_selectorIlLb0EEEZNS1_14transform_implILb0ES3_S5_NS0_18transform_iteratorINS0_17counting_iteratorImlEEZNS1_24adjacent_difference_implIS3_Lb1ELb0EPlSB_ZN2at6native12_GLOBAL__N_124unique_dim_cuda_templateIbEESt5tupleIJNSC_6TensorESH_SH_EERKSH_lbbbEUlllE1_EE10hipError_tPvRmT2_T3_mT4_P12ihipStream_tbEUlmE_lEESB_NS0_8identityIvEEEESM_SP_SQ_mSR_ST_bEUlT_E_NS1_11comp_targetILNS1_3genE4ELNS1_11target_archE910ELNS1_3gpuE8ELNS1_3repE0EEENS1_30default_config_static_selectorELNS0_4arch9wavefront6targetE1EEEvT1_: ; @_ZN7rocprim17ROCPRIM_400000_NS6detail17trampoline_kernelINS0_14default_configENS1_25transform_config_selectorIlLb0EEEZNS1_14transform_implILb0ES3_S5_NS0_18transform_iteratorINS0_17counting_iteratorImlEEZNS1_24adjacent_difference_implIS3_Lb1ELb0EPlSB_ZN2at6native12_GLOBAL__N_124unique_dim_cuda_templateIbEESt5tupleIJNSC_6TensorESH_SH_EERKSH_lbbbEUlllE1_EE10hipError_tPvRmT2_T3_mT4_P12ihipStream_tbEUlmE_lEESB_NS0_8identityIvEEEESM_SP_SQ_mSR_ST_bEUlT_E_NS1_11comp_targetILNS1_3genE4ELNS1_11target_archE910ELNS1_3gpuE8ELNS1_3repE0EEENS1_30default_config_static_selectorELNS0_4arch9wavefront6targetE1EEEvT1_
; %bb.0:
	.section	.rodata,"a",@progbits
	.p2align	6, 0x0
	.amdhsa_kernel _ZN7rocprim17ROCPRIM_400000_NS6detail17trampoline_kernelINS0_14default_configENS1_25transform_config_selectorIlLb0EEEZNS1_14transform_implILb0ES3_S5_NS0_18transform_iteratorINS0_17counting_iteratorImlEEZNS1_24adjacent_difference_implIS3_Lb1ELb0EPlSB_ZN2at6native12_GLOBAL__N_124unique_dim_cuda_templateIbEESt5tupleIJNSC_6TensorESH_SH_EERKSH_lbbbEUlllE1_EE10hipError_tPvRmT2_T3_mT4_P12ihipStream_tbEUlmE_lEESB_NS0_8identityIvEEEESM_SP_SQ_mSR_ST_bEUlT_E_NS1_11comp_targetILNS1_3genE4ELNS1_11target_archE910ELNS1_3gpuE8ELNS1_3repE0EEENS1_30default_config_static_selectorELNS0_4arch9wavefront6targetE1EEEvT1_
		.amdhsa_group_segment_fixed_size 0
		.amdhsa_private_segment_fixed_size 0
		.amdhsa_kernarg_size 56
		.amdhsa_user_sgpr_count 2
		.amdhsa_user_sgpr_dispatch_ptr 0
		.amdhsa_user_sgpr_queue_ptr 0
		.amdhsa_user_sgpr_kernarg_segment_ptr 1
		.amdhsa_user_sgpr_dispatch_id 0
		.amdhsa_user_sgpr_kernarg_preload_length 0
		.amdhsa_user_sgpr_kernarg_preload_offset 0
		.amdhsa_user_sgpr_private_segment_size 0
		.amdhsa_uses_dynamic_stack 0
		.amdhsa_enable_private_segment 0
		.amdhsa_system_sgpr_workgroup_id_x 1
		.amdhsa_system_sgpr_workgroup_id_y 0
		.amdhsa_system_sgpr_workgroup_id_z 0
		.amdhsa_system_sgpr_workgroup_info 0
		.amdhsa_system_vgpr_workitem_id 0
		.amdhsa_next_free_vgpr 1
		.amdhsa_next_free_sgpr 0
		.amdhsa_accum_offset 4
		.amdhsa_reserve_vcc 0
		.amdhsa_float_round_mode_32 0
		.amdhsa_float_round_mode_16_64 0
		.amdhsa_float_denorm_mode_32 3
		.amdhsa_float_denorm_mode_16_64 3
		.amdhsa_dx10_clamp 1
		.amdhsa_ieee_mode 1
		.amdhsa_fp16_overflow 0
		.amdhsa_tg_split 0
		.amdhsa_exception_fp_ieee_invalid_op 0
		.amdhsa_exception_fp_denorm_src 0
		.amdhsa_exception_fp_ieee_div_zero 0
		.amdhsa_exception_fp_ieee_overflow 0
		.amdhsa_exception_fp_ieee_underflow 0
		.amdhsa_exception_fp_ieee_inexact 0
		.amdhsa_exception_int_div_zero 0
	.end_amdhsa_kernel
	.section	.text._ZN7rocprim17ROCPRIM_400000_NS6detail17trampoline_kernelINS0_14default_configENS1_25transform_config_selectorIlLb0EEEZNS1_14transform_implILb0ES3_S5_NS0_18transform_iteratorINS0_17counting_iteratorImlEEZNS1_24adjacent_difference_implIS3_Lb1ELb0EPlSB_ZN2at6native12_GLOBAL__N_124unique_dim_cuda_templateIbEESt5tupleIJNSC_6TensorESH_SH_EERKSH_lbbbEUlllE1_EE10hipError_tPvRmT2_T3_mT4_P12ihipStream_tbEUlmE_lEESB_NS0_8identityIvEEEESM_SP_SQ_mSR_ST_bEUlT_E_NS1_11comp_targetILNS1_3genE4ELNS1_11target_archE910ELNS1_3gpuE8ELNS1_3repE0EEENS1_30default_config_static_selectorELNS0_4arch9wavefront6targetE1EEEvT1_,"axG",@progbits,_ZN7rocprim17ROCPRIM_400000_NS6detail17trampoline_kernelINS0_14default_configENS1_25transform_config_selectorIlLb0EEEZNS1_14transform_implILb0ES3_S5_NS0_18transform_iteratorINS0_17counting_iteratorImlEEZNS1_24adjacent_difference_implIS3_Lb1ELb0EPlSB_ZN2at6native12_GLOBAL__N_124unique_dim_cuda_templateIbEESt5tupleIJNSC_6TensorESH_SH_EERKSH_lbbbEUlllE1_EE10hipError_tPvRmT2_T3_mT4_P12ihipStream_tbEUlmE_lEESB_NS0_8identityIvEEEESM_SP_SQ_mSR_ST_bEUlT_E_NS1_11comp_targetILNS1_3genE4ELNS1_11target_archE910ELNS1_3gpuE8ELNS1_3repE0EEENS1_30default_config_static_selectorELNS0_4arch9wavefront6targetE1EEEvT1_,comdat
.Lfunc_end1036:
	.size	_ZN7rocprim17ROCPRIM_400000_NS6detail17trampoline_kernelINS0_14default_configENS1_25transform_config_selectorIlLb0EEEZNS1_14transform_implILb0ES3_S5_NS0_18transform_iteratorINS0_17counting_iteratorImlEEZNS1_24adjacent_difference_implIS3_Lb1ELb0EPlSB_ZN2at6native12_GLOBAL__N_124unique_dim_cuda_templateIbEESt5tupleIJNSC_6TensorESH_SH_EERKSH_lbbbEUlllE1_EE10hipError_tPvRmT2_T3_mT4_P12ihipStream_tbEUlmE_lEESB_NS0_8identityIvEEEESM_SP_SQ_mSR_ST_bEUlT_E_NS1_11comp_targetILNS1_3genE4ELNS1_11target_archE910ELNS1_3gpuE8ELNS1_3repE0EEENS1_30default_config_static_selectorELNS0_4arch9wavefront6targetE1EEEvT1_, .Lfunc_end1036-_ZN7rocprim17ROCPRIM_400000_NS6detail17trampoline_kernelINS0_14default_configENS1_25transform_config_selectorIlLb0EEEZNS1_14transform_implILb0ES3_S5_NS0_18transform_iteratorINS0_17counting_iteratorImlEEZNS1_24adjacent_difference_implIS3_Lb1ELb0EPlSB_ZN2at6native12_GLOBAL__N_124unique_dim_cuda_templateIbEESt5tupleIJNSC_6TensorESH_SH_EERKSH_lbbbEUlllE1_EE10hipError_tPvRmT2_T3_mT4_P12ihipStream_tbEUlmE_lEESB_NS0_8identityIvEEEESM_SP_SQ_mSR_ST_bEUlT_E_NS1_11comp_targetILNS1_3genE4ELNS1_11target_archE910ELNS1_3gpuE8ELNS1_3repE0EEENS1_30default_config_static_selectorELNS0_4arch9wavefront6targetE1EEEvT1_
                                        ; -- End function
	.set _ZN7rocprim17ROCPRIM_400000_NS6detail17trampoline_kernelINS0_14default_configENS1_25transform_config_selectorIlLb0EEEZNS1_14transform_implILb0ES3_S5_NS0_18transform_iteratorINS0_17counting_iteratorImlEEZNS1_24adjacent_difference_implIS3_Lb1ELb0EPlSB_ZN2at6native12_GLOBAL__N_124unique_dim_cuda_templateIbEESt5tupleIJNSC_6TensorESH_SH_EERKSH_lbbbEUlllE1_EE10hipError_tPvRmT2_T3_mT4_P12ihipStream_tbEUlmE_lEESB_NS0_8identityIvEEEESM_SP_SQ_mSR_ST_bEUlT_E_NS1_11comp_targetILNS1_3genE4ELNS1_11target_archE910ELNS1_3gpuE8ELNS1_3repE0EEENS1_30default_config_static_selectorELNS0_4arch9wavefront6targetE1EEEvT1_.num_vgpr, 0
	.set _ZN7rocprim17ROCPRIM_400000_NS6detail17trampoline_kernelINS0_14default_configENS1_25transform_config_selectorIlLb0EEEZNS1_14transform_implILb0ES3_S5_NS0_18transform_iteratorINS0_17counting_iteratorImlEEZNS1_24adjacent_difference_implIS3_Lb1ELb0EPlSB_ZN2at6native12_GLOBAL__N_124unique_dim_cuda_templateIbEESt5tupleIJNSC_6TensorESH_SH_EERKSH_lbbbEUlllE1_EE10hipError_tPvRmT2_T3_mT4_P12ihipStream_tbEUlmE_lEESB_NS0_8identityIvEEEESM_SP_SQ_mSR_ST_bEUlT_E_NS1_11comp_targetILNS1_3genE4ELNS1_11target_archE910ELNS1_3gpuE8ELNS1_3repE0EEENS1_30default_config_static_selectorELNS0_4arch9wavefront6targetE1EEEvT1_.num_agpr, 0
	.set _ZN7rocprim17ROCPRIM_400000_NS6detail17trampoline_kernelINS0_14default_configENS1_25transform_config_selectorIlLb0EEEZNS1_14transform_implILb0ES3_S5_NS0_18transform_iteratorINS0_17counting_iteratorImlEEZNS1_24adjacent_difference_implIS3_Lb1ELb0EPlSB_ZN2at6native12_GLOBAL__N_124unique_dim_cuda_templateIbEESt5tupleIJNSC_6TensorESH_SH_EERKSH_lbbbEUlllE1_EE10hipError_tPvRmT2_T3_mT4_P12ihipStream_tbEUlmE_lEESB_NS0_8identityIvEEEESM_SP_SQ_mSR_ST_bEUlT_E_NS1_11comp_targetILNS1_3genE4ELNS1_11target_archE910ELNS1_3gpuE8ELNS1_3repE0EEENS1_30default_config_static_selectorELNS0_4arch9wavefront6targetE1EEEvT1_.numbered_sgpr, 0
	.set _ZN7rocprim17ROCPRIM_400000_NS6detail17trampoline_kernelINS0_14default_configENS1_25transform_config_selectorIlLb0EEEZNS1_14transform_implILb0ES3_S5_NS0_18transform_iteratorINS0_17counting_iteratorImlEEZNS1_24adjacent_difference_implIS3_Lb1ELb0EPlSB_ZN2at6native12_GLOBAL__N_124unique_dim_cuda_templateIbEESt5tupleIJNSC_6TensorESH_SH_EERKSH_lbbbEUlllE1_EE10hipError_tPvRmT2_T3_mT4_P12ihipStream_tbEUlmE_lEESB_NS0_8identityIvEEEESM_SP_SQ_mSR_ST_bEUlT_E_NS1_11comp_targetILNS1_3genE4ELNS1_11target_archE910ELNS1_3gpuE8ELNS1_3repE0EEENS1_30default_config_static_selectorELNS0_4arch9wavefront6targetE1EEEvT1_.num_named_barrier, 0
	.set _ZN7rocprim17ROCPRIM_400000_NS6detail17trampoline_kernelINS0_14default_configENS1_25transform_config_selectorIlLb0EEEZNS1_14transform_implILb0ES3_S5_NS0_18transform_iteratorINS0_17counting_iteratorImlEEZNS1_24adjacent_difference_implIS3_Lb1ELb0EPlSB_ZN2at6native12_GLOBAL__N_124unique_dim_cuda_templateIbEESt5tupleIJNSC_6TensorESH_SH_EERKSH_lbbbEUlllE1_EE10hipError_tPvRmT2_T3_mT4_P12ihipStream_tbEUlmE_lEESB_NS0_8identityIvEEEESM_SP_SQ_mSR_ST_bEUlT_E_NS1_11comp_targetILNS1_3genE4ELNS1_11target_archE910ELNS1_3gpuE8ELNS1_3repE0EEENS1_30default_config_static_selectorELNS0_4arch9wavefront6targetE1EEEvT1_.private_seg_size, 0
	.set _ZN7rocprim17ROCPRIM_400000_NS6detail17trampoline_kernelINS0_14default_configENS1_25transform_config_selectorIlLb0EEEZNS1_14transform_implILb0ES3_S5_NS0_18transform_iteratorINS0_17counting_iteratorImlEEZNS1_24adjacent_difference_implIS3_Lb1ELb0EPlSB_ZN2at6native12_GLOBAL__N_124unique_dim_cuda_templateIbEESt5tupleIJNSC_6TensorESH_SH_EERKSH_lbbbEUlllE1_EE10hipError_tPvRmT2_T3_mT4_P12ihipStream_tbEUlmE_lEESB_NS0_8identityIvEEEESM_SP_SQ_mSR_ST_bEUlT_E_NS1_11comp_targetILNS1_3genE4ELNS1_11target_archE910ELNS1_3gpuE8ELNS1_3repE0EEENS1_30default_config_static_selectorELNS0_4arch9wavefront6targetE1EEEvT1_.uses_vcc, 0
	.set _ZN7rocprim17ROCPRIM_400000_NS6detail17trampoline_kernelINS0_14default_configENS1_25transform_config_selectorIlLb0EEEZNS1_14transform_implILb0ES3_S5_NS0_18transform_iteratorINS0_17counting_iteratorImlEEZNS1_24adjacent_difference_implIS3_Lb1ELb0EPlSB_ZN2at6native12_GLOBAL__N_124unique_dim_cuda_templateIbEESt5tupleIJNSC_6TensorESH_SH_EERKSH_lbbbEUlllE1_EE10hipError_tPvRmT2_T3_mT4_P12ihipStream_tbEUlmE_lEESB_NS0_8identityIvEEEESM_SP_SQ_mSR_ST_bEUlT_E_NS1_11comp_targetILNS1_3genE4ELNS1_11target_archE910ELNS1_3gpuE8ELNS1_3repE0EEENS1_30default_config_static_selectorELNS0_4arch9wavefront6targetE1EEEvT1_.uses_flat_scratch, 0
	.set _ZN7rocprim17ROCPRIM_400000_NS6detail17trampoline_kernelINS0_14default_configENS1_25transform_config_selectorIlLb0EEEZNS1_14transform_implILb0ES3_S5_NS0_18transform_iteratorINS0_17counting_iteratorImlEEZNS1_24adjacent_difference_implIS3_Lb1ELb0EPlSB_ZN2at6native12_GLOBAL__N_124unique_dim_cuda_templateIbEESt5tupleIJNSC_6TensorESH_SH_EERKSH_lbbbEUlllE1_EE10hipError_tPvRmT2_T3_mT4_P12ihipStream_tbEUlmE_lEESB_NS0_8identityIvEEEESM_SP_SQ_mSR_ST_bEUlT_E_NS1_11comp_targetILNS1_3genE4ELNS1_11target_archE910ELNS1_3gpuE8ELNS1_3repE0EEENS1_30default_config_static_selectorELNS0_4arch9wavefront6targetE1EEEvT1_.has_dyn_sized_stack, 0
	.set _ZN7rocprim17ROCPRIM_400000_NS6detail17trampoline_kernelINS0_14default_configENS1_25transform_config_selectorIlLb0EEEZNS1_14transform_implILb0ES3_S5_NS0_18transform_iteratorINS0_17counting_iteratorImlEEZNS1_24adjacent_difference_implIS3_Lb1ELb0EPlSB_ZN2at6native12_GLOBAL__N_124unique_dim_cuda_templateIbEESt5tupleIJNSC_6TensorESH_SH_EERKSH_lbbbEUlllE1_EE10hipError_tPvRmT2_T3_mT4_P12ihipStream_tbEUlmE_lEESB_NS0_8identityIvEEEESM_SP_SQ_mSR_ST_bEUlT_E_NS1_11comp_targetILNS1_3genE4ELNS1_11target_archE910ELNS1_3gpuE8ELNS1_3repE0EEENS1_30default_config_static_selectorELNS0_4arch9wavefront6targetE1EEEvT1_.has_recursion, 0
	.set _ZN7rocprim17ROCPRIM_400000_NS6detail17trampoline_kernelINS0_14default_configENS1_25transform_config_selectorIlLb0EEEZNS1_14transform_implILb0ES3_S5_NS0_18transform_iteratorINS0_17counting_iteratorImlEEZNS1_24adjacent_difference_implIS3_Lb1ELb0EPlSB_ZN2at6native12_GLOBAL__N_124unique_dim_cuda_templateIbEESt5tupleIJNSC_6TensorESH_SH_EERKSH_lbbbEUlllE1_EE10hipError_tPvRmT2_T3_mT4_P12ihipStream_tbEUlmE_lEESB_NS0_8identityIvEEEESM_SP_SQ_mSR_ST_bEUlT_E_NS1_11comp_targetILNS1_3genE4ELNS1_11target_archE910ELNS1_3gpuE8ELNS1_3repE0EEENS1_30default_config_static_selectorELNS0_4arch9wavefront6targetE1EEEvT1_.has_indirect_call, 0
	.section	.AMDGPU.csdata,"",@progbits
; Kernel info:
; codeLenInByte = 0
; TotalNumSgprs: 6
; NumVgprs: 0
; NumAgprs: 0
; TotalNumVgprs: 0
; ScratchSize: 0
; MemoryBound: 0
; FloatMode: 240
; IeeeMode: 1
; LDSByteSize: 0 bytes/workgroup (compile time only)
; SGPRBlocks: 0
; VGPRBlocks: 0
; NumSGPRsForWavesPerEU: 6
; NumVGPRsForWavesPerEU: 1
; AccumOffset: 4
; Occupancy: 8
; WaveLimiterHint : 0
; COMPUTE_PGM_RSRC2:SCRATCH_EN: 0
; COMPUTE_PGM_RSRC2:USER_SGPR: 2
; COMPUTE_PGM_RSRC2:TRAP_HANDLER: 0
; COMPUTE_PGM_RSRC2:TGID_X_EN: 1
; COMPUTE_PGM_RSRC2:TGID_Y_EN: 0
; COMPUTE_PGM_RSRC2:TGID_Z_EN: 0
; COMPUTE_PGM_RSRC2:TIDIG_COMP_CNT: 0
; COMPUTE_PGM_RSRC3_GFX90A:ACCUM_OFFSET: 0
; COMPUTE_PGM_RSRC3_GFX90A:TG_SPLIT: 0
	.section	.text._ZN7rocprim17ROCPRIM_400000_NS6detail17trampoline_kernelINS0_14default_configENS1_25transform_config_selectorIlLb0EEEZNS1_14transform_implILb0ES3_S5_NS0_18transform_iteratorINS0_17counting_iteratorImlEEZNS1_24adjacent_difference_implIS3_Lb1ELb0EPlSB_ZN2at6native12_GLOBAL__N_124unique_dim_cuda_templateIbEESt5tupleIJNSC_6TensorESH_SH_EERKSH_lbbbEUlllE1_EE10hipError_tPvRmT2_T3_mT4_P12ihipStream_tbEUlmE_lEESB_NS0_8identityIvEEEESM_SP_SQ_mSR_ST_bEUlT_E_NS1_11comp_targetILNS1_3genE3ELNS1_11target_archE908ELNS1_3gpuE7ELNS1_3repE0EEENS1_30default_config_static_selectorELNS0_4arch9wavefront6targetE1EEEvT1_,"axG",@progbits,_ZN7rocprim17ROCPRIM_400000_NS6detail17trampoline_kernelINS0_14default_configENS1_25transform_config_selectorIlLb0EEEZNS1_14transform_implILb0ES3_S5_NS0_18transform_iteratorINS0_17counting_iteratorImlEEZNS1_24adjacent_difference_implIS3_Lb1ELb0EPlSB_ZN2at6native12_GLOBAL__N_124unique_dim_cuda_templateIbEESt5tupleIJNSC_6TensorESH_SH_EERKSH_lbbbEUlllE1_EE10hipError_tPvRmT2_T3_mT4_P12ihipStream_tbEUlmE_lEESB_NS0_8identityIvEEEESM_SP_SQ_mSR_ST_bEUlT_E_NS1_11comp_targetILNS1_3genE3ELNS1_11target_archE908ELNS1_3gpuE7ELNS1_3repE0EEENS1_30default_config_static_selectorELNS0_4arch9wavefront6targetE1EEEvT1_,comdat
	.globl	_ZN7rocprim17ROCPRIM_400000_NS6detail17trampoline_kernelINS0_14default_configENS1_25transform_config_selectorIlLb0EEEZNS1_14transform_implILb0ES3_S5_NS0_18transform_iteratorINS0_17counting_iteratorImlEEZNS1_24adjacent_difference_implIS3_Lb1ELb0EPlSB_ZN2at6native12_GLOBAL__N_124unique_dim_cuda_templateIbEESt5tupleIJNSC_6TensorESH_SH_EERKSH_lbbbEUlllE1_EE10hipError_tPvRmT2_T3_mT4_P12ihipStream_tbEUlmE_lEESB_NS0_8identityIvEEEESM_SP_SQ_mSR_ST_bEUlT_E_NS1_11comp_targetILNS1_3genE3ELNS1_11target_archE908ELNS1_3gpuE7ELNS1_3repE0EEENS1_30default_config_static_selectorELNS0_4arch9wavefront6targetE1EEEvT1_ ; -- Begin function _ZN7rocprim17ROCPRIM_400000_NS6detail17trampoline_kernelINS0_14default_configENS1_25transform_config_selectorIlLb0EEEZNS1_14transform_implILb0ES3_S5_NS0_18transform_iteratorINS0_17counting_iteratorImlEEZNS1_24adjacent_difference_implIS3_Lb1ELb0EPlSB_ZN2at6native12_GLOBAL__N_124unique_dim_cuda_templateIbEESt5tupleIJNSC_6TensorESH_SH_EERKSH_lbbbEUlllE1_EE10hipError_tPvRmT2_T3_mT4_P12ihipStream_tbEUlmE_lEESB_NS0_8identityIvEEEESM_SP_SQ_mSR_ST_bEUlT_E_NS1_11comp_targetILNS1_3genE3ELNS1_11target_archE908ELNS1_3gpuE7ELNS1_3repE0EEENS1_30default_config_static_selectorELNS0_4arch9wavefront6targetE1EEEvT1_
	.p2align	8
	.type	_ZN7rocprim17ROCPRIM_400000_NS6detail17trampoline_kernelINS0_14default_configENS1_25transform_config_selectorIlLb0EEEZNS1_14transform_implILb0ES3_S5_NS0_18transform_iteratorINS0_17counting_iteratorImlEEZNS1_24adjacent_difference_implIS3_Lb1ELb0EPlSB_ZN2at6native12_GLOBAL__N_124unique_dim_cuda_templateIbEESt5tupleIJNSC_6TensorESH_SH_EERKSH_lbbbEUlllE1_EE10hipError_tPvRmT2_T3_mT4_P12ihipStream_tbEUlmE_lEESB_NS0_8identityIvEEEESM_SP_SQ_mSR_ST_bEUlT_E_NS1_11comp_targetILNS1_3genE3ELNS1_11target_archE908ELNS1_3gpuE7ELNS1_3repE0EEENS1_30default_config_static_selectorELNS0_4arch9wavefront6targetE1EEEvT1_,@function
_ZN7rocprim17ROCPRIM_400000_NS6detail17trampoline_kernelINS0_14default_configENS1_25transform_config_selectorIlLb0EEEZNS1_14transform_implILb0ES3_S5_NS0_18transform_iteratorINS0_17counting_iteratorImlEEZNS1_24adjacent_difference_implIS3_Lb1ELb0EPlSB_ZN2at6native12_GLOBAL__N_124unique_dim_cuda_templateIbEESt5tupleIJNSC_6TensorESH_SH_EERKSH_lbbbEUlllE1_EE10hipError_tPvRmT2_T3_mT4_P12ihipStream_tbEUlmE_lEESB_NS0_8identityIvEEEESM_SP_SQ_mSR_ST_bEUlT_E_NS1_11comp_targetILNS1_3genE3ELNS1_11target_archE908ELNS1_3gpuE7ELNS1_3repE0EEENS1_30default_config_static_selectorELNS0_4arch9wavefront6targetE1EEEvT1_: ; @_ZN7rocprim17ROCPRIM_400000_NS6detail17trampoline_kernelINS0_14default_configENS1_25transform_config_selectorIlLb0EEEZNS1_14transform_implILb0ES3_S5_NS0_18transform_iteratorINS0_17counting_iteratorImlEEZNS1_24adjacent_difference_implIS3_Lb1ELb0EPlSB_ZN2at6native12_GLOBAL__N_124unique_dim_cuda_templateIbEESt5tupleIJNSC_6TensorESH_SH_EERKSH_lbbbEUlllE1_EE10hipError_tPvRmT2_T3_mT4_P12ihipStream_tbEUlmE_lEESB_NS0_8identityIvEEEESM_SP_SQ_mSR_ST_bEUlT_E_NS1_11comp_targetILNS1_3genE3ELNS1_11target_archE908ELNS1_3gpuE7ELNS1_3repE0EEENS1_30default_config_static_selectorELNS0_4arch9wavefront6targetE1EEEvT1_
; %bb.0:
	.section	.rodata,"a",@progbits
	.p2align	6, 0x0
	.amdhsa_kernel _ZN7rocprim17ROCPRIM_400000_NS6detail17trampoline_kernelINS0_14default_configENS1_25transform_config_selectorIlLb0EEEZNS1_14transform_implILb0ES3_S5_NS0_18transform_iteratorINS0_17counting_iteratorImlEEZNS1_24adjacent_difference_implIS3_Lb1ELb0EPlSB_ZN2at6native12_GLOBAL__N_124unique_dim_cuda_templateIbEESt5tupleIJNSC_6TensorESH_SH_EERKSH_lbbbEUlllE1_EE10hipError_tPvRmT2_T3_mT4_P12ihipStream_tbEUlmE_lEESB_NS0_8identityIvEEEESM_SP_SQ_mSR_ST_bEUlT_E_NS1_11comp_targetILNS1_3genE3ELNS1_11target_archE908ELNS1_3gpuE7ELNS1_3repE0EEENS1_30default_config_static_selectorELNS0_4arch9wavefront6targetE1EEEvT1_
		.amdhsa_group_segment_fixed_size 0
		.amdhsa_private_segment_fixed_size 0
		.amdhsa_kernarg_size 56
		.amdhsa_user_sgpr_count 2
		.amdhsa_user_sgpr_dispatch_ptr 0
		.amdhsa_user_sgpr_queue_ptr 0
		.amdhsa_user_sgpr_kernarg_segment_ptr 1
		.amdhsa_user_sgpr_dispatch_id 0
		.amdhsa_user_sgpr_kernarg_preload_length 0
		.amdhsa_user_sgpr_kernarg_preload_offset 0
		.amdhsa_user_sgpr_private_segment_size 0
		.amdhsa_uses_dynamic_stack 0
		.amdhsa_enable_private_segment 0
		.amdhsa_system_sgpr_workgroup_id_x 1
		.amdhsa_system_sgpr_workgroup_id_y 0
		.amdhsa_system_sgpr_workgroup_id_z 0
		.amdhsa_system_sgpr_workgroup_info 0
		.amdhsa_system_vgpr_workitem_id 0
		.amdhsa_next_free_vgpr 1
		.amdhsa_next_free_sgpr 0
		.amdhsa_accum_offset 4
		.amdhsa_reserve_vcc 0
		.amdhsa_float_round_mode_32 0
		.amdhsa_float_round_mode_16_64 0
		.amdhsa_float_denorm_mode_32 3
		.amdhsa_float_denorm_mode_16_64 3
		.amdhsa_dx10_clamp 1
		.amdhsa_ieee_mode 1
		.amdhsa_fp16_overflow 0
		.amdhsa_tg_split 0
		.amdhsa_exception_fp_ieee_invalid_op 0
		.amdhsa_exception_fp_denorm_src 0
		.amdhsa_exception_fp_ieee_div_zero 0
		.amdhsa_exception_fp_ieee_overflow 0
		.amdhsa_exception_fp_ieee_underflow 0
		.amdhsa_exception_fp_ieee_inexact 0
		.amdhsa_exception_int_div_zero 0
	.end_amdhsa_kernel
	.section	.text._ZN7rocprim17ROCPRIM_400000_NS6detail17trampoline_kernelINS0_14default_configENS1_25transform_config_selectorIlLb0EEEZNS1_14transform_implILb0ES3_S5_NS0_18transform_iteratorINS0_17counting_iteratorImlEEZNS1_24adjacent_difference_implIS3_Lb1ELb0EPlSB_ZN2at6native12_GLOBAL__N_124unique_dim_cuda_templateIbEESt5tupleIJNSC_6TensorESH_SH_EERKSH_lbbbEUlllE1_EE10hipError_tPvRmT2_T3_mT4_P12ihipStream_tbEUlmE_lEESB_NS0_8identityIvEEEESM_SP_SQ_mSR_ST_bEUlT_E_NS1_11comp_targetILNS1_3genE3ELNS1_11target_archE908ELNS1_3gpuE7ELNS1_3repE0EEENS1_30default_config_static_selectorELNS0_4arch9wavefront6targetE1EEEvT1_,"axG",@progbits,_ZN7rocprim17ROCPRIM_400000_NS6detail17trampoline_kernelINS0_14default_configENS1_25transform_config_selectorIlLb0EEEZNS1_14transform_implILb0ES3_S5_NS0_18transform_iteratorINS0_17counting_iteratorImlEEZNS1_24adjacent_difference_implIS3_Lb1ELb0EPlSB_ZN2at6native12_GLOBAL__N_124unique_dim_cuda_templateIbEESt5tupleIJNSC_6TensorESH_SH_EERKSH_lbbbEUlllE1_EE10hipError_tPvRmT2_T3_mT4_P12ihipStream_tbEUlmE_lEESB_NS0_8identityIvEEEESM_SP_SQ_mSR_ST_bEUlT_E_NS1_11comp_targetILNS1_3genE3ELNS1_11target_archE908ELNS1_3gpuE7ELNS1_3repE0EEENS1_30default_config_static_selectorELNS0_4arch9wavefront6targetE1EEEvT1_,comdat
.Lfunc_end1037:
	.size	_ZN7rocprim17ROCPRIM_400000_NS6detail17trampoline_kernelINS0_14default_configENS1_25transform_config_selectorIlLb0EEEZNS1_14transform_implILb0ES3_S5_NS0_18transform_iteratorINS0_17counting_iteratorImlEEZNS1_24adjacent_difference_implIS3_Lb1ELb0EPlSB_ZN2at6native12_GLOBAL__N_124unique_dim_cuda_templateIbEESt5tupleIJNSC_6TensorESH_SH_EERKSH_lbbbEUlllE1_EE10hipError_tPvRmT2_T3_mT4_P12ihipStream_tbEUlmE_lEESB_NS0_8identityIvEEEESM_SP_SQ_mSR_ST_bEUlT_E_NS1_11comp_targetILNS1_3genE3ELNS1_11target_archE908ELNS1_3gpuE7ELNS1_3repE0EEENS1_30default_config_static_selectorELNS0_4arch9wavefront6targetE1EEEvT1_, .Lfunc_end1037-_ZN7rocprim17ROCPRIM_400000_NS6detail17trampoline_kernelINS0_14default_configENS1_25transform_config_selectorIlLb0EEEZNS1_14transform_implILb0ES3_S5_NS0_18transform_iteratorINS0_17counting_iteratorImlEEZNS1_24adjacent_difference_implIS3_Lb1ELb0EPlSB_ZN2at6native12_GLOBAL__N_124unique_dim_cuda_templateIbEESt5tupleIJNSC_6TensorESH_SH_EERKSH_lbbbEUlllE1_EE10hipError_tPvRmT2_T3_mT4_P12ihipStream_tbEUlmE_lEESB_NS0_8identityIvEEEESM_SP_SQ_mSR_ST_bEUlT_E_NS1_11comp_targetILNS1_3genE3ELNS1_11target_archE908ELNS1_3gpuE7ELNS1_3repE0EEENS1_30default_config_static_selectorELNS0_4arch9wavefront6targetE1EEEvT1_
                                        ; -- End function
	.set _ZN7rocprim17ROCPRIM_400000_NS6detail17trampoline_kernelINS0_14default_configENS1_25transform_config_selectorIlLb0EEEZNS1_14transform_implILb0ES3_S5_NS0_18transform_iteratorINS0_17counting_iteratorImlEEZNS1_24adjacent_difference_implIS3_Lb1ELb0EPlSB_ZN2at6native12_GLOBAL__N_124unique_dim_cuda_templateIbEESt5tupleIJNSC_6TensorESH_SH_EERKSH_lbbbEUlllE1_EE10hipError_tPvRmT2_T3_mT4_P12ihipStream_tbEUlmE_lEESB_NS0_8identityIvEEEESM_SP_SQ_mSR_ST_bEUlT_E_NS1_11comp_targetILNS1_3genE3ELNS1_11target_archE908ELNS1_3gpuE7ELNS1_3repE0EEENS1_30default_config_static_selectorELNS0_4arch9wavefront6targetE1EEEvT1_.num_vgpr, 0
	.set _ZN7rocprim17ROCPRIM_400000_NS6detail17trampoline_kernelINS0_14default_configENS1_25transform_config_selectorIlLb0EEEZNS1_14transform_implILb0ES3_S5_NS0_18transform_iteratorINS0_17counting_iteratorImlEEZNS1_24adjacent_difference_implIS3_Lb1ELb0EPlSB_ZN2at6native12_GLOBAL__N_124unique_dim_cuda_templateIbEESt5tupleIJNSC_6TensorESH_SH_EERKSH_lbbbEUlllE1_EE10hipError_tPvRmT2_T3_mT4_P12ihipStream_tbEUlmE_lEESB_NS0_8identityIvEEEESM_SP_SQ_mSR_ST_bEUlT_E_NS1_11comp_targetILNS1_3genE3ELNS1_11target_archE908ELNS1_3gpuE7ELNS1_3repE0EEENS1_30default_config_static_selectorELNS0_4arch9wavefront6targetE1EEEvT1_.num_agpr, 0
	.set _ZN7rocprim17ROCPRIM_400000_NS6detail17trampoline_kernelINS0_14default_configENS1_25transform_config_selectorIlLb0EEEZNS1_14transform_implILb0ES3_S5_NS0_18transform_iteratorINS0_17counting_iteratorImlEEZNS1_24adjacent_difference_implIS3_Lb1ELb0EPlSB_ZN2at6native12_GLOBAL__N_124unique_dim_cuda_templateIbEESt5tupleIJNSC_6TensorESH_SH_EERKSH_lbbbEUlllE1_EE10hipError_tPvRmT2_T3_mT4_P12ihipStream_tbEUlmE_lEESB_NS0_8identityIvEEEESM_SP_SQ_mSR_ST_bEUlT_E_NS1_11comp_targetILNS1_3genE3ELNS1_11target_archE908ELNS1_3gpuE7ELNS1_3repE0EEENS1_30default_config_static_selectorELNS0_4arch9wavefront6targetE1EEEvT1_.numbered_sgpr, 0
	.set _ZN7rocprim17ROCPRIM_400000_NS6detail17trampoline_kernelINS0_14default_configENS1_25transform_config_selectorIlLb0EEEZNS1_14transform_implILb0ES3_S5_NS0_18transform_iteratorINS0_17counting_iteratorImlEEZNS1_24adjacent_difference_implIS3_Lb1ELb0EPlSB_ZN2at6native12_GLOBAL__N_124unique_dim_cuda_templateIbEESt5tupleIJNSC_6TensorESH_SH_EERKSH_lbbbEUlllE1_EE10hipError_tPvRmT2_T3_mT4_P12ihipStream_tbEUlmE_lEESB_NS0_8identityIvEEEESM_SP_SQ_mSR_ST_bEUlT_E_NS1_11comp_targetILNS1_3genE3ELNS1_11target_archE908ELNS1_3gpuE7ELNS1_3repE0EEENS1_30default_config_static_selectorELNS0_4arch9wavefront6targetE1EEEvT1_.num_named_barrier, 0
	.set _ZN7rocprim17ROCPRIM_400000_NS6detail17trampoline_kernelINS0_14default_configENS1_25transform_config_selectorIlLb0EEEZNS1_14transform_implILb0ES3_S5_NS0_18transform_iteratorINS0_17counting_iteratorImlEEZNS1_24adjacent_difference_implIS3_Lb1ELb0EPlSB_ZN2at6native12_GLOBAL__N_124unique_dim_cuda_templateIbEESt5tupleIJNSC_6TensorESH_SH_EERKSH_lbbbEUlllE1_EE10hipError_tPvRmT2_T3_mT4_P12ihipStream_tbEUlmE_lEESB_NS0_8identityIvEEEESM_SP_SQ_mSR_ST_bEUlT_E_NS1_11comp_targetILNS1_3genE3ELNS1_11target_archE908ELNS1_3gpuE7ELNS1_3repE0EEENS1_30default_config_static_selectorELNS0_4arch9wavefront6targetE1EEEvT1_.private_seg_size, 0
	.set _ZN7rocprim17ROCPRIM_400000_NS6detail17trampoline_kernelINS0_14default_configENS1_25transform_config_selectorIlLb0EEEZNS1_14transform_implILb0ES3_S5_NS0_18transform_iteratorINS0_17counting_iteratorImlEEZNS1_24adjacent_difference_implIS3_Lb1ELb0EPlSB_ZN2at6native12_GLOBAL__N_124unique_dim_cuda_templateIbEESt5tupleIJNSC_6TensorESH_SH_EERKSH_lbbbEUlllE1_EE10hipError_tPvRmT2_T3_mT4_P12ihipStream_tbEUlmE_lEESB_NS0_8identityIvEEEESM_SP_SQ_mSR_ST_bEUlT_E_NS1_11comp_targetILNS1_3genE3ELNS1_11target_archE908ELNS1_3gpuE7ELNS1_3repE0EEENS1_30default_config_static_selectorELNS0_4arch9wavefront6targetE1EEEvT1_.uses_vcc, 0
	.set _ZN7rocprim17ROCPRIM_400000_NS6detail17trampoline_kernelINS0_14default_configENS1_25transform_config_selectorIlLb0EEEZNS1_14transform_implILb0ES3_S5_NS0_18transform_iteratorINS0_17counting_iteratorImlEEZNS1_24adjacent_difference_implIS3_Lb1ELb0EPlSB_ZN2at6native12_GLOBAL__N_124unique_dim_cuda_templateIbEESt5tupleIJNSC_6TensorESH_SH_EERKSH_lbbbEUlllE1_EE10hipError_tPvRmT2_T3_mT4_P12ihipStream_tbEUlmE_lEESB_NS0_8identityIvEEEESM_SP_SQ_mSR_ST_bEUlT_E_NS1_11comp_targetILNS1_3genE3ELNS1_11target_archE908ELNS1_3gpuE7ELNS1_3repE0EEENS1_30default_config_static_selectorELNS0_4arch9wavefront6targetE1EEEvT1_.uses_flat_scratch, 0
	.set _ZN7rocprim17ROCPRIM_400000_NS6detail17trampoline_kernelINS0_14default_configENS1_25transform_config_selectorIlLb0EEEZNS1_14transform_implILb0ES3_S5_NS0_18transform_iteratorINS0_17counting_iteratorImlEEZNS1_24adjacent_difference_implIS3_Lb1ELb0EPlSB_ZN2at6native12_GLOBAL__N_124unique_dim_cuda_templateIbEESt5tupleIJNSC_6TensorESH_SH_EERKSH_lbbbEUlllE1_EE10hipError_tPvRmT2_T3_mT4_P12ihipStream_tbEUlmE_lEESB_NS0_8identityIvEEEESM_SP_SQ_mSR_ST_bEUlT_E_NS1_11comp_targetILNS1_3genE3ELNS1_11target_archE908ELNS1_3gpuE7ELNS1_3repE0EEENS1_30default_config_static_selectorELNS0_4arch9wavefront6targetE1EEEvT1_.has_dyn_sized_stack, 0
	.set _ZN7rocprim17ROCPRIM_400000_NS6detail17trampoline_kernelINS0_14default_configENS1_25transform_config_selectorIlLb0EEEZNS1_14transform_implILb0ES3_S5_NS0_18transform_iteratorINS0_17counting_iteratorImlEEZNS1_24adjacent_difference_implIS3_Lb1ELb0EPlSB_ZN2at6native12_GLOBAL__N_124unique_dim_cuda_templateIbEESt5tupleIJNSC_6TensorESH_SH_EERKSH_lbbbEUlllE1_EE10hipError_tPvRmT2_T3_mT4_P12ihipStream_tbEUlmE_lEESB_NS0_8identityIvEEEESM_SP_SQ_mSR_ST_bEUlT_E_NS1_11comp_targetILNS1_3genE3ELNS1_11target_archE908ELNS1_3gpuE7ELNS1_3repE0EEENS1_30default_config_static_selectorELNS0_4arch9wavefront6targetE1EEEvT1_.has_recursion, 0
	.set _ZN7rocprim17ROCPRIM_400000_NS6detail17trampoline_kernelINS0_14default_configENS1_25transform_config_selectorIlLb0EEEZNS1_14transform_implILb0ES3_S5_NS0_18transform_iteratorINS0_17counting_iteratorImlEEZNS1_24adjacent_difference_implIS3_Lb1ELb0EPlSB_ZN2at6native12_GLOBAL__N_124unique_dim_cuda_templateIbEESt5tupleIJNSC_6TensorESH_SH_EERKSH_lbbbEUlllE1_EE10hipError_tPvRmT2_T3_mT4_P12ihipStream_tbEUlmE_lEESB_NS0_8identityIvEEEESM_SP_SQ_mSR_ST_bEUlT_E_NS1_11comp_targetILNS1_3genE3ELNS1_11target_archE908ELNS1_3gpuE7ELNS1_3repE0EEENS1_30default_config_static_selectorELNS0_4arch9wavefront6targetE1EEEvT1_.has_indirect_call, 0
	.section	.AMDGPU.csdata,"",@progbits
; Kernel info:
; codeLenInByte = 0
; TotalNumSgprs: 6
; NumVgprs: 0
; NumAgprs: 0
; TotalNumVgprs: 0
; ScratchSize: 0
; MemoryBound: 0
; FloatMode: 240
; IeeeMode: 1
; LDSByteSize: 0 bytes/workgroup (compile time only)
; SGPRBlocks: 0
; VGPRBlocks: 0
; NumSGPRsForWavesPerEU: 6
; NumVGPRsForWavesPerEU: 1
; AccumOffset: 4
; Occupancy: 8
; WaveLimiterHint : 0
; COMPUTE_PGM_RSRC2:SCRATCH_EN: 0
; COMPUTE_PGM_RSRC2:USER_SGPR: 2
; COMPUTE_PGM_RSRC2:TRAP_HANDLER: 0
; COMPUTE_PGM_RSRC2:TGID_X_EN: 1
; COMPUTE_PGM_RSRC2:TGID_Y_EN: 0
; COMPUTE_PGM_RSRC2:TGID_Z_EN: 0
; COMPUTE_PGM_RSRC2:TIDIG_COMP_CNT: 0
; COMPUTE_PGM_RSRC3_GFX90A:ACCUM_OFFSET: 0
; COMPUTE_PGM_RSRC3_GFX90A:TG_SPLIT: 0
	.section	.text._ZN7rocprim17ROCPRIM_400000_NS6detail17trampoline_kernelINS0_14default_configENS1_25transform_config_selectorIlLb0EEEZNS1_14transform_implILb0ES3_S5_NS0_18transform_iteratorINS0_17counting_iteratorImlEEZNS1_24adjacent_difference_implIS3_Lb1ELb0EPlSB_ZN2at6native12_GLOBAL__N_124unique_dim_cuda_templateIbEESt5tupleIJNSC_6TensorESH_SH_EERKSH_lbbbEUlllE1_EE10hipError_tPvRmT2_T3_mT4_P12ihipStream_tbEUlmE_lEESB_NS0_8identityIvEEEESM_SP_SQ_mSR_ST_bEUlT_E_NS1_11comp_targetILNS1_3genE2ELNS1_11target_archE906ELNS1_3gpuE6ELNS1_3repE0EEENS1_30default_config_static_selectorELNS0_4arch9wavefront6targetE1EEEvT1_,"axG",@progbits,_ZN7rocprim17ROCPRIM_400000_NS6detail17trampoline_kernelINS0_14default_configENS1_25transform_config_selectorIlLb0EEEZNS1_14transform_implILb0ES3_S5_NS0_18transform_iteratorINS0_17counting_iteratorImlEEZNS1_24adjacent_difference_implIS3_Lb1ELb0EPlSB_ZN2at6native12_GLOBAL__N_124unique_dim_cuda_templateIbEESt5tupleIJNSC_6TensorESH_SH_EERKSH_lbbbEUlllE1_EE10hipError_tPvRmT2_T3_mT4_P12ihipStream_tbEUlmE_lEESB_NS0_8identityIvEEEESM_SP_SQ_mSR_ST_bEUlT_E_NS1_11comp_targetILNS1_3genE2ELNS1_11target_archE906ELNS1_3gpuE6ELNS1_3repE0EEENS1_30default_config_static_selectorELNS0_4arch9wavefront6targetE1EEEvT1_,comdat
	.globl	_ZN7rocprim17ROCPRIM_400000_NS6detail17trampoline_kernelINS0_14default_configENS1_25transform_config_selectorIlLb0EEEZNS1_14transform_implILb0ES3_S5_NS0_18transform_iteratorINS0_17counting_iteratorImlEEZNS1_24adjacent_difference_implIS3_Lb1ELb0EPlSB_ZN2at6native12_GLOBAL__N_124unique_dim_cuda_templateIbEESt5tupleIJNSC_6TensorESH_SH_EERKSH_lbbbEUlllE1_EE10hipError_tPvRmT2_T3_mT4_P12ihipStream_tbEUlmE_lEESB_NS0_8identityIvEEEESM_SP_SQ_mSR_ST_bEUlT_E_NS1_11comp_targetILNS1_3genE2ELNS1_11target_archE906ELNS1_3gpuE6ELNS1_3repE0EEENS1_30default_config_static_selectorELNS0_4arch9wavefront6targetE1EEEvT1_ ; -- Begin function _ZN7rocprim17ROCPRIM_400000_NS6detail17trampoline_kernelINS0_14default_configENS1_25transform_config_selectorIlLb0EEEZNS1_14transform_implILb0ES3_S5_NS0_18transform_iteratorINS0_17counting_iteratorImlEEZNS1_24adjacent_difference_implIS3_Lb1ELb0EPlSB_ZN2at6native12_GLOBAL__N_124unique_dim_cuda_templateIbEESt5tupleIJNSC_6TensorESH_SH_EERKSH_lbbbEUlllE1_EE10hipError_tPvRmT2_T3_mT4_P12ihipStream_tbEUlmE_lEESB_NS0_8identityIvEEEESM_SP_SQ_mSR_ST_bEUlT_E_NS1_11comp_targetILNS1_3genE2ELNS1_11target_archE906ELNS1_3gpuE6ELNS1_3repE0EEENS1_30default_config_static_selectorELNS0_4arch9wavefront6targetE1EEEvT1_
	.p2align	8
	.type	_ZN7rocprim17ROCPRIM_400000_NS6detail17trampoline_kernelINS0_14default_configENS1_25transform_config_selectorIlLb0EEEZNS1_14transform_implILb0ES3_S5_NS0_18transform_iteratorINS0_17counting_iteratorImlEEZNS1_24adjacent_difference_implIS3_Lb1ELb0EPlSB_ZN2at6native12_GLOBAL__N_124unique_dim_cuda_templateIbEESt5tupleIJNSC_6TensorESH_SH_EERKSH_lbbbEUlllE1_EE10hipError_tPvRmT2_T3_mT4_P12ihipStream_tbEUlmE_lEESB_NS0_8identityIvEEEESM_SP_SQ_mSR_ST_bEUlT_E_NS1_11comp_targetILNS1_3genE2ELNS1_11target_archE906ELNS1_3gpuE6ELNS1_3repE0EEENS1_30default_config_static_selectorELNS0_4arch9wavefront6targetE1EEEvT1_,@function
_ZN7rocprim17ROCPRIM_400000_NS6detail17trampoline_kernelINS0_14default_configENS1_25transform_config_selectorIlLb0EEEZNS1_14transform_implILb0ES3_S5_NS0_18transform_iteratorINS0_17counting_iteratorImlEEZNS1_24adjacent_difference_implIS3_Lb1ELb0EPlSB_ZN2at6native12_GLOBAL__N_124unique_dim_cuda_templateIbEESt5tupleIJNSC_6TensorESH_SH_EERKSH_lbbbEUlllE1_EE10hipError_tPvRmT2_T3_mT4_P12ihipStream_tbEUlmE_lEESB_NS0_8identityIvEEEESM_SP_SQ_mSR_ST_bEUlT_E_NS1_11comp_targetILNS1_3genE2ELNS1_11target_archE906ELNS1_3gpuE6ELNS1_3repE0EEENS1_30default_config_static_selectorELNS0_4arch9wavefront6targetE1EEEvT1_: ; @_ZN7rocprim17ROCPRIM_400000_NS6detail17trampoline_kernelINS0_14default_configENS1_25transform_config_selectorIlLb0EEEZNS1_14transform_implILb0ES3_S5_NS0_18transform_iteratorINS0_17counting_iteratorImlEEZNS1_24adjacent_difference_implIS3_Lb1ELb0EPlSB_ZN2at6native12_GLOBAL__N_124unique_dim_cuda_templateIbEESt5tupleIJNSC_6TensorESH_SH_EERKSH_lbbbEUlllE1_EE10hipError_tPvRmT2_T3_mT4_P12ihipStream_tbEUlmE_lEESB_NS0_8identityIvEEEESM_SP_SQ_mSR_ST_bEUlT_E_NS1_11comp_targetILNS1_3genE2ELNS1_11target_archE906ELNS1_3gpuE6ELNS1_3repE0EEENS1_30default_config_static_selectorELNS0_4arch9wavefront6targetE1EEEvT1_
; %bb.0:
	.section	.rodata,"a",@progbits
	.p2align	6, 0x0
	.amdhsa_kernel _ZN7rocprim17ROCPRIM_400000_NS6detail17trampoline_kernelINS0_14default_configENS1_25transform_config_selectorIlLb0EEEZNS1_14transform_implILb0ES3_S5_NS0_18transform_iteratorINS0_17counting_iteratorImlEEZNS1_24adjacent_difference_implIS3_Lb1ELb0EPlSB_ZN2at6native12_GLOBAL__N_124unique_dim_cuda_templateIbEESt5tupleIJNSC_6TensorESH_SH_EERKSH_lbbbEUlllE1_EE10hipError_tPvRmT2_T3_mT4_P12ihipStream_tbEUlmE_lEESB_NS0_8identityIvEEEESM_SP_SQ_mSR_ST_bEUlT_E_NS1_11comp_targetILNS1_3genE2ELNS1_11target_archE906ELNS1_3gpuE6ELNS1_3repE0EEENS1_30default_config_static_selectorELNS0_4arch9wavefront6targetE1EEEvT1_
		.amdhsa_group_segment_fixed_size 0
		.amdhsa_private_segment_fixed_size 0
		.amdhsa_kernarg_size 56
		.amdhsa_user_sgpr_count 2
		.amdhsa_user_sgpr_dispatch_ptr 0
		.amdhsa_user_sgpr_queue_ptr 0
		.amdhsa_user_sgpr_kernarg_segment_ptr 1
		.amdhsa_user_sgpr_dispatch_id 0
		.amdhsa_user_sgpr_kernarg_preload_length 0
		.amdhsa_user_sgpr_kernarg_preload_offset 0
		.amdhsa_user_sgpr_private_segment_size 0
		.amdhsa_uses_dynamic_stack 0
		.amdhsa_enable_private_segment 0
		.amdhsa_system_sgpr_workgroup_id_x 1
		.amdhsa_system_sgpr_workgroup_id_y 0
		.amdhsa_system_sgpr_workgroup_id_z 0
		.amdhsa_system_sgpr_workgroup_info 0
		.amdhsa_system_vgpr_workitem_id 0
		.amdhsa_next_free_vgpr 1
		.amdhsa_next_free_sgpr 0
		.amdhsa_accum_offset 4
		.amdhsa_reserve_vcc 0
		.amdhsa_float_round_mode_32 0
		.amdhsa_float_round_mode_16_64 0
		.amdhsa_float_denorm_mode_32 3
		.amdhsa_float_denorm_mode_16_64 3
		.amdhsa_dx10_clamp 1
		.amdhsa_ieee_mode 1
		.amdhsa_fp16_overflow 0
		.amdhsa_tg_split 0
		.amdhsa_exception_fp_ieee_invalid_op 0
		.amdhsa_exception_fp_denorm_src 0
		.amdhsa_exception_fp_ieee_div_zero 0
		.amdhsa_exception_fp_ieee_overflow 0
		.amdhsa_exception_fp_ieee_underflow 0
		.amdhsa_exception_fp_ieee_inexact 0
		.amdhsa_exception_int_div_zero 0
	.end_amdhsa_kernel
	.section	.text._ZN7rocprim17ROCPRIM_400000_NS6detail17trampoline_kernelINS0_14default_configENS1_25transform_config_selectorIlLb0EEEZNS1_14transform_implILb0ES3_S5_NS0_18transform_iteratorINS0_17counting_iteratorImlEEZNS1_24adjacent_difference_implIS3_Lb1ELb0EPlSB_ZN2at6native12_GLOBAL__N_124unique_dim_cuda_templateIbEESt5tupleIJNSC_6TensorESH_SH_EERKSH_lbbbEUlllE1_EE10hipError_tPvRmT2_T3_mT4_P12ihipStream_tbEUlmE_lEESB_NS0_8identityIvEEEESM_SP_SQ_mSR_ST_bEUlT_E_NS1_11comp_targetILNS1_3genE2ELNS1_11target_archE906ELNS1_3gpuE6ELNS1_3repE0EEENS1_30default_config_static_selectorELNS0_4arch9wavefront6targetE1EEEvT1_,"axG",@progbits,_ZN7rocprim17ROCPRIM_400000_NS6detail17trampoline_kernelINS0_14default_configENS1_25transform_config_selectorIlLb0EEEZNS1_14transform_implILb0ES3_S5_NS0_18transform_iteratorINS0_17counting_iteratorImlEEZNS1_24adjacent_difference_implIS3_Lb1ELb0EPlSB_ZN2at6native12_GLOBAL__N_124unique_dim_cuda_templateIbEESt5tupleIJNSC_6TensorESH_SH_EERKSH_lbbbEUlllE1_EE10hipError_tPvRmT2_T3_mT4_P12ihipStream_tbEUlmE_lEESB_NS0_8identityIvEEEESM_SP_SQ_mSR_ST_bEUlT_E_NS1_11comp_targetILNS1_3genE2ELNS1_11target_archE906ELNS1_3gpuE6ELNS1_3repE0EEENS1_30default_config_static_selectorELNS0_4arch9wavefront6targetE1EEEvT1_,comdat
.Lfunc_end1038:
	.size	_ZN7rocprim17ROCPRIM_400000_NS6detail17trampoline_kernelINS0_14default_configENS1_25transform_config_selectorIlLb0EEEZNS1_14transform_implILb0ES3_S5_NS0_18transform_iteratorINS0_17counting_iteratorImlEEZNS1_24adjacent_difference_implIS3_Lb1ELb0EPlSB_ZN2at6native12_GLOBAL__N_124unique_dim_cuda_templateIbEESt5tupleIJNSC_6TensorESH_SH_EERKSH_lbbbEUlllE1_EE10hipError_tPvRmT2_T3_mT4_P12ihipStream_tbEUlmE_lEESB_NS0_8identityIvEEEESM_SP_SQ_mSR_ST_bEUlT_E_NS1_11comp_targetILNS1_3genE2ELNS1_11target_archE906ELNS1_3gpuE6ELNS1_3repE0EEENS1_30default_config_static_selectorELNS0_4arch9wavefront6targetE1EEEvT1_, .Lfunc_end1038-_ZN7rocprim17ROCPRIM_400000_NS6detail17trampoline_kernelINS0_14default_configENS1_25transform_config_selectorIlLb0EEEZNS1_14transform_implILb0ES3_S5_NS0_18transform_iteratorINS0_17counting_iteratorImlEEZNS1_24adjacent_difference_implIS3_Lb1ELb0EPlSB_ZN2at6native12_GLOBAL__N_124unique_dim_cuda_templateIbEESt5tupleIJNSC_6TensorESH_SH_EERKSH_lbbbEUlllE1_EE10hipError_tPvRmT2_T3_mT4_P12ihipStream_tbEUlmE_lEESB_NS0_8identityIvEEEESM_SP_SQ_mSR_ST_bEUlT_E_NS1_11comp_targetILNS1_3genE2ELNS1_11target_archE906ELNS1_3gpuE6ELNS1_3repE0EEENS1_30default_config_static_selectorELNS0_4arch9wavefront6targetE1EEEvT1_
                                        ; -- End function
	.set _ZN7rocprim17ROCPRIM_400000_NS6detail17trampoline_kernelINS0_14default_configENS1_25transform_config_selectorIlLb0EEEZNS1_14transform_implILb0ES3_S5_NS0_18transform_iteratorINS0_17counting_iteratorImlEEZNS1_24adjacent_difference_implIS3_Lb1ELb0EPlSB_ZN2at6native12_GLOBAL__N_124unique_dim_cuda_templateIbEESt5tupleIJNSC_6TensorESH_SH_EERKSH_lbbbEUlllE1_EE10hipError_tPvRmT2_T3_mT4_P12ihipStream_tbEUlmE_lEESB_NS0_8identityIvEEEESM_SP_SQ_mSR_ST_bEUlT_E_NS1_11comp_targetILNS1_3genE2ELNS1_11target_archE906ELNS1_3gpuE6ELNS1_3repE0EEENS1_30default_config_static_selectorELNS0_4arch9wavefront6targetE1EEEvT1_.num_vgpr, 0
	.set _ZN7rocprim17ROCPRIM_400000_NS6detail17trampoline_kernelINS0_14default_configENS1_25transform_config_selectorIlLb0EEEZNS1_14transform_implILb0ES3_S5_NS0_18transform_iteratorINS0_17counting_iteratorImlEEZNS1_24adjacent_difference_implIS3_Lb1ELb0EPlSB_ZN2at6native12_GLOBAL__N_124unique_dim_cuda_templateIbEESt5tupleIJNSC_6TensorESH_SH_EERKSH_lbbbEUlllE1_EE10hipError_tPvRmT2_T3_mT4_P12ihipStream_tbEUlmE_lEESB_NS0_8identityIvEEEESM_SP_SQ_mSR_ST_bEUlT_E_NS1_11comp_targetILNS1_3genE2ELNS1_11target_archE906ELNS1_3gpuE6ELNS1_3repE0EEENS1_30default_config_static_selectorELNS0_4arch9wavefront6targetE1EEEvT1_.num_agpr, 0
	.set _ZN7rocprim17ROCPRIM_400000_NS6detail17trampoline_kernelINS0_14default_configENS1_25transform_config_selectorIlLb0EEEZNS1_14transform_implILb0ES3_S5_NS0_18transform_iteratorINS0_17counting_iteratorImlEEZNS1_24adjacent_difference_implIS3_Lb1ELb0EPlSB_ZN2at6native12_GLOBAL__N_124unique_dim_cuda_templateIbEESt5tupleIJNSC_6TensorESH_SH_EERKSH_lbbbEUlllE1_EE10hipError_tPvRmT2_T3_mT4_P12ihipStream_tbEUlmE_lEESB_NS0_8identityIvEEEESM_SP_SQ_mSR_ST_bEUlT_E_NS1_11comp_targetILNS1_3genE2ELNS1_11target_archE906ELNS1_3gpuE6ELNS1_3repE0EEENS1_30default_config_static_selectorELNS0_4arch9wavefront6targetE1EEEvT1_.numbered_sgpr, 0
	.set _ZN7rocprim17ROCPRIM_400000_NS6detail17trampoline_kernelINS0_14default_configENS1_25transform_config_selectorIlLb0EEEZNS1_14transform_implILb0ES3_S5_NS0_18transform_iteratorINS0_17counting_iteratorImlEEZNS1_24adjacent_difference_implIS3_Lb1ELb0EPlSB_ZN2at6native12_GLOBAL__N_124unique_dim_cuda_templateIbEESt5tupleIJNSC_6TensorESH_SH_EERKSH_lbbbEUlllE1_EE10hipError_tPvRmT2_T3_mT4_P12ihipStream_tbEUlmE_lEESB_NS0_8identityIvEEEESM_SP_SQ_mSR_ST_bEUlT_E_NS1_11comp_targetILNS1_3genE2ELNS1_11target_archE906ELNS1_3gpuE6ELNS1_3repE0EEENS1_30default_config_static_selectorELNS0_4arch9wavefront6targetE1EEEvT1_.num_named_barrier, 0
	.set _ZN7rocprim17ROCPRIM_400000_NS6detail17trampoline_kernelINS0_14default_configENS1_25transform_config_selectorIlLb0EEEZNS1_14transform_implILb0ES3_S5_NS0_18transform_iteratorINS0_17counting_iteratorImlEEZNS1_24adjacent_difference_implIS3_Lb1ELb0EPlSB_ZN2at6native12_GLOBAL__N_124unique_dim_cuda_templateIbEESt5tupleIJNSC_6TensorESH_SH_EERKSH_lbbbEUlllE1_EE10hipError_tPvRmT2_T3_mT4_P12ihipStream_tbEUlmE_lEESB_NS0_8identityIvEEEESM_SP_SQ_mSR_ST_bEUlT_E_NS1_11comp_targetILNS1_3genE2ELNS1_11target_archE906ELNS1_3gpuE6ELNS1_3repE0EEENS1_30default_config_static_selectorELNS0_4arch9wavefront6targetE1EEEvT1_.private_seg_size, 0
	.set _ZN7rocprim17ROCPRIM_400000_NS6detail17trampoline_kernelINS0_14default_configENS1_25transform_config_selectorIlLb0EEEZNS1_14transform_implILb0ES3_S5_NS0_18transform_iteratorINS0_17counting_iteratorImlEEZNS1_24adjacent_difference_implIS3_Lb1ELb0EPlSB_ZN2at6native12_GLOBAL__N_124unique_dim_cuda_templateIbEESt5tupleIJNSC_6TensorESH_SH_EERKSH_lbbbEUlllE1_EE10hipError_tPvRmT2_T3_mT4_P12ihipStream_tbEUlmE_lEESB_NS0_8identityIvEEEESM_SP_SQ_mSR_ST_bEUlT_E_NS1_11comp_targetILNS1_3genE2ELNS1_11target_archE906ELNS1_3gpuE6ELNS1_3repE0EEENS1_30default_config_static_selectorELNS0_4arch9wavefront6targetE1EEEvT1_.uses_vcc, 0
	.set _ZN7rocprim17ROCPRIM_400000_NS6detail17trampoline_kernelINS0_14default_configENS1_25transform_config_selectorIlLb0EEEZNS1_14transform_implILb0ES3_S5_NS0_18transform_iteratorINS0_17counting_iteratorImlEEZNS1_24adjacent_difference_implIS3_Lb1ELb0EPlSB_ZN2at6native12_GLOBAL__N_124unique_dim_cuda_templateIbEESt5tupleIJNSC_6TensorESH_SH_EERKSH_lbbbEUlllE1_EE10hipError_tPvRmT2_T3_mT4_P12ihipStream_tbEUlmE_lEESB_NS0_8identityIvEEEESM_SP_SQ_mSR_ST_bEUlT_E_NS1_11comp_targetILNS1_3genE2ELNS1_11target_archE906ELNS1_3gpuE6ELNS1_3repE0EEENS1_30default_config_static_selectorELNS0_4arch9wavefront6targetE1EEEvT1_.uses_flat_scratch, 0
	.set _ZN7rocprim17ROCPRIM_400000_NS6detail17trampoline_kernelINS0_14default_configENS1_25transform_config_selectorIlLb0EEEZNS1_14transform_implILb0ES3_S5_NS0_18transform_iteratorINS0_17counting_iteratorImlEEZNS1_24adjacent_difference_implIS3_Lb1ELb0EPlSB_ZN2at6native12_GLOBAL__N_124unique_dim_cuda_templateIbEESt5tupleIJNSC_6TensorESH_SH_EERKSH_lbbbEUlllE1_EE10hipError_tPvRmT2_T3_mT4_P12ihipStream_tbEUlmE_lEESB_NS0_8identityIvEEEESM_SP_SQ_mSR_ST_bEUlT_E_NS1_11comp_targetILNS1_3genE2ELNS1_11target_archE906ELNS1_3gpuE6ELNS1_3repE0EEENS1_30default_config_static_selectorELNS0_4arch9wavefront6targetE1EEEvT1_.has_dyn_sized_stack, 0
	.set _ZN7rocprim17ROCPRIM_400000_NS6detail17trampoline_kernelINS0_14default_configENS1_25transform_config_selectorIlLb0EEEZNS1_14transform_implILb0ES3_S5_NS0_18transform_iteratorINS0_17counting_iteratorImlEEZNS1_24adjacent_difference_implIS3_Lb1ELb0EPlSB_ZN2at6native12_GLOBAL__N_124unique_dim_cuda_templateIbEESt5tupleIJNSC_6TensorESH_SH_EERKSH_lbbbEUlllE1_EE10hipError_tPvRmT2_T3_mT4_P12ihipStream_tbEUlmE_lEESB_NS0_8identityIvEEEESM_SP_SQ_mSR_ST_bEUlT_E_NS1_11comp_targetILNS1_3genE2ELNS1_11target_archE906ELNS1_3gpuE6ELNS1_3repE0EEENS1_30default_config_static_selectorELNS0_4arch9wavefront6targetE1EEEvT1_.has_recursion, 0
	.set _ZN7rocprim17ROCPRIM_400000_NS6detail17trampoline_kernelINS0_14default_configENS1_25transform_config_selectorIlLb0EEEZNS1_14transform_implILb0ES3_S5_NS0_18transform_iteratorINS0_17counting_iteratorImlEEZNS1_24adjacent_difference_implIS3_Lb1ELb0EPlSB_ZN2at6native12_GLOBAL__N_124unique_dim_cuda_templateIbEESt5tupleIJNSC_6TensorESH_SH_EERKSH_lbbbEUlllE1_EE10hipError_tPvRmT2_T3_mT4_P12ihipStream_tbEUlmE_lEESB_NS0_8identityIvEEEESM_SP_SQ_mSR_ST_bEUlT_E_NS1_11comp_targetILNS1_3genE2ELNS1_11target_archE906ELNS1_3gpuE6ELNS1_3repE0EEENS1_30default_config_static_selectorELNS0_4arch9wavefront6targetE1EEEvT1_.has_indirect_call, 0
	.section	.AMDGPU.csdata,"",@progbits
; Kernel info:
; codeLenInByte = 0
; TotalNumSgprs: 6
; NumVgprs: 0
; NumAgprs: 0
; TotalNumVgprs: 0
; ScratchSize: 0
; MemoryBound: 0
; FloatMode: 240
; IeeeMode: 1
; LDSByteSize: 0 bytes/workgroup (compile time only)
; SGPRBlocks: 0
; VGPRBlocks: 0
; NumSGPRsForWavesPerEU: 6
; NumVGPRsForWavesPerEU: 1
; AccumOffset: 4
; Occupancy: 8
; WaveLimiterHint : 0
; COMPUTE_PGM_RSRC2:SCRATCH_EN: 0
; COMPUTE_PGM_RSRC2:USER_SGPR: 2
; COMPUTE_PGM_RSRC2:TRAP_HANDLER: 0
; COMPUTE_PGM_RSRC2:TGID_X_EN: 1
; COMPUTE_PGM_RSRC2:TGID_Y_EN: 0
; COMPUTE_PGM_RSRC2:TGID_Z_EN: 0
; COMPUTE_PGM_RSRC2:TIDIG_COMP_CNT: 0
; COMPUTE_PGM_RSRC3_GFX90A:ACCUM_OFFSET: 0
; COMPUTE_PGM_RSRC3_GFX90A:TG_SPLIT: 0
	.section	.text._ZN7rocprim17ROCPRIM_400000_NS6detail17trampoline_kernelINS0_14default_configENS1_25transform_config_selectorIlLb0EEEZNS1_14transform_implILb0ES3_S5_NS0_18transform_iteratorINS0_17counting_iteratorImlEEZNS1_24adjacent_difference_implIS3_Lb1ELb0EPlSB_ZN2at6native12_GLOBAL__N_124unique_dim_cuda_templateIbEESt5tupleIJNSC_6TensorESH_SH_EERKSH_lbbbEUlllE1_EE10hipError_tPvRmT2_T3_mT4_P12ihipStream_tbEUlmE_lEESB_NS0_8identityIvEEEESM_SP_SQ_mSR_ST_bEUlT_E_NS1_11comp_targetILNS1_3genE10ELNS1_11target_archE1201ELNS1_3gpuE5ELNS1_3repE0EEENS1_30default_config_static_selectorELNS0_4arch9wavefront6targetE1EEEvT1_,"axG",@progbits,_ZN7rocprim17ROCPRIM_400000_NS6detail17trampoline_kernelINS0_14default_configENS1_25transform_config_selectorIlLb0EEEZNS1_14transform_implILb0ES3_S5_NS0_18transform_iteratorINS0_17counting_iteratorImlEEZNS1_24adjacent_difference_implIS3_Lb1ELb0EPlSB_ZN2at6native12_GLOBAL__N_124unique_dim_cuda_templateIbEESt5tupleIJNSC_6TensorESH_SH_EERKSH_lbbbEUlllE1_EE10hipError_tPvRmT2_T3_mT4_P12ihipStream_tbEUlmE_lEESB_NS0_8identityIvEEEESM_SP_SQ_mSR_ST_bEUlT_E_NS1_11comp_targetILNS1_3genE10ELNS1_11target_archE1201ELNS1_3gpuE5ELNS1_3repE0EEENS1_30default_config_static_selectorELNS0_4arch9wavefront6targetE1EEEvT1_,comdat
	.globl	_ZN7rocprim17ROCPRIM_400000_NS6detail17trampoline_kernelINS0_14default_configENS1_25transform_config_selectorIlLb0EEEZNS1_14transform_implILb0ES3_S5_NS0_18transform_iteratorINS0_17counting_iteratorImlEEZNS1_24adjacent_difference_implIS3_Lb1ELb0EPlSB_ZN2at6native12_GLOBAL__N_124unique_dim_cuda_templateIbEESt5tupleIJNSC_6TensorESH_SH_EERKSH_lbbbEUlllE1_EE10hipError_tPvRmT2_T3_mT4_P12ihipStream_tbEUlmE_lEESB_NS0_8identityIvEEEESM_SP_SQ_mSR_ST_bEUlT_E_NS1_11comp_targetILNS1_3genE10ELNS1_11target_archE1201ELNS1_3gpuE5ELNS1_3repE0EEENS1_30default_config_static_selectorELNS0_4arch9wavefront6targetE1EEEvT1_ ; -- Begin function _ZN7rocprim17ROCPRIM_400000_NS6detail17trampoline_kernelINS0_14default_configENS1_25transform_config_selectorIlLb0EEEZNS1_14transform_implILb0ES3_S5_NS0_18transform_iteratorINS0_17counting_iteratorImlEEZNS1_24adjacent_difference_implIS3_Lb1ELb0EPlSB_ZN2at6native12_GLOBAL__N_124unique_dim_cuda_templateIbEESt5tupleIJNSC_6TensorESH_SH_EERKSH_lbbbEUlllE1_EE10hipError_tPvRmT2_T3_mT4_P12ihipStream_tbEUlmE_lEESB_NS0_8identityIvEEEESM_SP_SQ_mSR_ST_bEUlT_E_NS1_11comp_targetILNS1_3genE10ELNS1_11target_archE1201ELNS1_3gpuE5ELNS1_3repE0EEENS1_30default_config_static_selectorELNS0_4arch9wavefront6targetE1EEEvT1_
	.p2align	8
	.type	_ZN7rocprim17ROCPRIM_400000_NS6detail17trampoline_kernelINS0_14default_configENS1_25transform_config_selectorIlLb0EEEZNS1_14transform_implILb0ES3_S5_NS0_18transform_iteratorINS0_17counting_iteratorImlEEZNS1_24adjacent_difference_implIS3_Lb1ELb0EPlSB_ZN2at6native12_GLOBAL__N_124unique_dim_cuda_templateIbEESt5tupleIJNSC_6TensorESH_SH_EERKSH_lbbbEUlllE1_EE10hipError_tPvRmT2_T3_mT4_P12ihipStream_tbEUlmE_lEESB_NS0_8identityIvEEEESM_SP_SQ_mSR_ST_bEUlT_E_NS1_11comp_targetILNS1_3genE10ELNS1_11target_archE1201ELNS1_3gpuE5ELNS1_3repE0EEENS1_30default_config_static_selectorELNS0_4arch9wavefront6targetE1EEEvT1_,@function
_ZN7rocprim17ROCPRIM_400000_NS6detail17trampoline_kernelINS0_14default_configENS1_25transform_config_selectorIlLb0EEEZNS1_14transform_implILb0ES3_S5_NS0_18transform_iteratorINS0_17counting_iteratorImlEEZNS1_24adjacent_difference_implIS3_Lb1ELb0EPlSB_ZN2at6native12_GLOBAL__N_124unique_dim_cuda_templateIbEESt5tupleIJNSC_6TensorESH_SH_EERKSH_lbbbEUlllE1_EE10hipError_tPvRmT2_T3_mT4_P12ihipStream_tbEUlmE_lEESB_NS0_8identityIvEEEESM_SP_SQ_mSR_ST_bEUlT_E_NS1_11comp_targetILNS1_3genE10ELNS1_11target_archE1201ELNS1_3gpuE5ELNS1_3repE0EEENS1_30default_config_static_selectorELNS0_4arch9wavefront6targetE1EEEvT1_: ; @_ZN7rocprim17ROCPRIM_400000_NS6detail17trampoline_kernelINS0_14default_configENS1_25transform_config_selectorIlLb0EEEZNS1_14transform_implILb0ES3_S5_NS0_18transform_iteratorINS0_17counting_iteratorImlEEZNS1_24adjacent_difference_implIS3_Lb1ELb0EPlSB_ZN2at6native12_GLOBAL__N_124unique_dim_cuda_templateIbEESt5tupleIJNSC_6TensorESH_SH_EERKSH_lbbbEUlllE1_EE10hipError_tPvRmT2_T3_mT4_P12ihipStream_tbEUlmE_lEESB_NS0_8identityIvEEEESM_SP_SQ_mSR_ST_bEUlT_E_NS1_11comp_targetILNS1_3genE10ELNS1_11target_archE1201ELNS1_3gpuE5ELNS1_3repE0EEENS1_30default_config_static_selectorELNS0_4arch9wavefront6targetE1EEEvT1_
; %bb.0:
	.section	.rodata,"a",@progbits
	.p2align	6, 0x0
	.amdhsa_kernel _ZN7rocprim17ROCPRIM_400000_NS6detail17trampoline_kernelINS0_14default_configENS1_25transform_config_selectorIlLb0EEEZNS1_14transform_implILb0ES3_S5_NS0_18transform_iteratorINS0_17counting_iteratorImlEEZNS1_24adjacent_difference_implIS3_Lb1ELb0EPlSB_ZN2at6native12_GLOBAL__N_124unique_dim_cuda_templateIbEESt5tupleIJNSC_6TensorESH_SH_EERKSH_lbbbEUlllE1_EE10hipError_tPvRmT2_T3_mT4_P12ihipStream_tbEUlmE_lEESB_NS0_8identityIvEEEESM_SP_SQ_mSR_ST_bEUlT_E_NS1_11comp_targetILNS1_3genE10ELNS1_11target_archE1201ELNS1_3gpuE5ELNS1_3repE0EEENS1_30default_config_static_selectorELNS0_4arch9wavefront6targetE1EEEvT1_
		.amdhsa_group_segment_fixed_size 0
		.amdhsa_private_segment_fixed_size 0
		.amdhsa_kernarg_size 56
		.amdhsa_user_sgpr_count 2
		.amdhsa_user_sgpr_dispatch_ptr 0
		.amdhsa_user_sgpr_queue_ptr 0
		.amdhsa_user_sgpr_kernarg_segment_ptr 1
		.amdhsa_user_sgpr_dispatch_id 0
		.amdhsa_user_sgpr_kernarg_preload_length 0
		.amdhsa_user_sgpr_kernarg_preload_offset 0
		.amdhsa_user_sgpr_private_segment_size 0
		.amdhsa_uses_dynamic_stack 0
		.amdhsa_enable_private_segment 0
		.amdhsa_system_sgpr_workgroup_id_x 1
		.amdhsa_system_sgpr_workgroup_id_y 0
		.amdhsa_system_sgpr_workgroup_id_z 0
		.amdhsa_system_sgpr_workgroup_info 0
		.amdhsa_system_vgpr_workitem_id 0
		.amdhsa_next_free_vgpr 1
		.amdhsa_next_free_sgpr 0
		.amdhsa_accum_offset 4
		.amdhsa_reserve_vcc 0
		.amdhsa_float_round_mode_32 0
		.amdhsa_float_round_mode_16_64 0
		.amdhsa_float_denorm_mode_32 3
		.amdhsa_float_denorm_mode_16_64 3
		.amdhsa_dx10_clamp 1
		.amdhsa_ieee_mode 1
		.amdhsa_fp16_overflow 0
		.amdhsa_tg_split 0
		.amdhsa_exception_fp_ieee_invalid_op 0
		.amdhsa_exception_fp_denorm_src 0
		.amdhsa_exception_fp_ieee_div_zero 0
		.amdhsa_exception_fp_ieee_overflow 0
		.amdhsa_exception_fp_ieee_underflow 0
		.amdhsa_exception_fp_ieee_inexact 0
		.amdhsa_exception_int_div_zero 0
	.end_amdhsa_kernel
	.section	.text._ZN7rocprim17ROCPRIM_400000_NS6detail17trampoline_kernelINS0_14default_configENS1_25transform_config_selectorIlLb0EEEZNS1_14transform_implILb0ES3_S5_NS0_18transform_iteratorINS0_17counting_iteratorImlEEZNS1_24adjacent_difference_implIS3_Lb1ELb0EPlSB_ZN2at6native12_GLOBAL__N_124unique_dim_cuda_templateIbEESt5tupleIJNSC_6TensorESH_SH_EERKSH_lbbbEUlllE1_EE10hipError_tPvRmT2_T3_mT4_P12ihipStream_tbEUlmE_lEESB_NS0_8identityIvEEEESM_SP_SQ_mSR_ST_bEUlT_E_NS1_11comp_targetILNS1_3genE10ELNS1_11target_archE1201ELNS1_3gpuE5ELNS1_3repE0EEENS1_30default_config_static_selectorELNS0_4arch9wavefront6targetE1EEEvT1_,"axG",@progbits,_ZN7rocprim17ROCPRIM_400000_NS6detail17trampoline_kernelINS0_14default_configENS1_25transform_config_selectorIlLb0EEEZNS1_14transform_implILb0ES3_S5_NS0_18transform_iteratorINS0_17counting_iteratorImlEEZNS1_24adjacent_difference_implIS3_Lb1ELb0EPlSB_ZN2at6native12_GLOBAL__N_124unique_dim_cuda_templateIbEESt5tupleIJNSC_6TensorESH_SH_EERKSH_lbbbEUlllE1_EE10hipError_tPvRmT2_T3_mT4_P12ihipStream_tbEUlmE_lEESB_NS0_8identityIvEEEESM_SP_SQ_mSR_ST_bEUlT_E_NS1_11comp_targetILNS1_3genE10ELNS1_11target_archE1201ELNS1_3gpuE5ELNS1_3repE0EEENS1_30default_config_static_selectorELNS0_4arch9wavefront6targetE1EEEvT1_,comdat
.Lfunc_end1039:
	.size	_ZN7rocprim17ROCPRIM_400000_NS6detail17trampoline_kernelINS0_14default_configENS1_25transform_config_selectorIlLb0EEEZNS1_14transform_implILb0ES3_S5_NS0_18transform_iteratorINS0_17counting_iteratorImlEEZNS1_24adjacent_difference_implIS3_Lb1ELb0EPlSB_ZN2at6native12_GLOBAL__N_124unique_dim_cuda_templateIbEESt5tupleIJNSC_6TensorESH_SH_EERKSH_lbbbEUlllE1_EE10hipError_tPvRmT2_T3_mT4_P12ihipStream_tbEUlmE_lEESB_NS0_8identityIvEEEESM_SP_SQ_mSR_ST_bEUlT_E_NS1_11comp_targetILNS1_3genE10ELNS1_11target_archE1201ELNS1_3gpuE5ELNS1_3repE0EEENS1_30default_config_static_selectorELNS0_4arch9wavefront6targetE1EEEvT1_, .Lfunc_end1039-_ZN7rocprim17ROCPRIM_400000_NS6detail17trampoline_kernelINS0_14default_configENS1_25transform_config_selectorIlLb0EEEZNS1_14transform_implILb0ES3_S5_NS0_18transform_iteratorINS0_17counting_iteratorImlEEZNS1_24adjacent_difference_implIS3_Lb1ELb0EPlSB_ZN2at6native12_GLOBAL__N_124unique_dim_cuda_templateIbEESt5tupleIJNSC_6TensorESH_SH_EERKSH_lbbbEUlllE1_EE10hipError_tPvRmT2_T3_mT4_P12ihipStream_tbEUlmE_lEESB_NS0_8identityIvEEEESM_SP_SQ_mSR_ST_bEUlT_E_NS1_11comp_targetILNS1_3genE10ELNS1_11target_archE1201ELNS1_3gpuE5ELNS1_3repE0EEENS1_30default_config_static_selectorELNS0_4arch9wavefront6targetE1EEEvT1_
                                        ; -- End function
	.set _ZN7rocprim17ROCPRIM_400000_NS6detail17trampoline_kernelINS0_14default_configENS1_25transform_config_selectorIlLb0EEEZNS1_14transform_implILb0ES3_S5_NS0_18transform_iteratorINS0_17counting_iteratorImlEEZNS1_24adjacent_difference_implIS3_Lb1ELb0EPlSB_ZN2at6native12_GLOBAL__N_124unique_dim_cuda_templateIbEESt5tupleIJNSC_6TensorESH_SH_EERKSH_lbbbEUlllE1_EE10hipError_tPvRmT2_T3_mT4_P12ihipStream_tbEUlmE_lEESB_NS0_8identityIvEEEESM_SP_SQ_mSR_ST_bEUlT_E_NS1_11comp_targetILNS1_3genE10ELNS1_11target_archE1201ELNS1_3gpuE5ELNS1_3repE0EEENS1_30default_config_static_selectorELNS0_4arch9wavefront6targetE1EEEvT1_.num_vgpr, 0
	.set _ZN7rocprim17ROCPRIM_400000_NS6detail17trampoline_kernelINS0_14default_configENS1_25transform_config_selectorIlLb0EEEZNS1_14transform_implILb0ES3_S5_NS0_18transform_iteratorINS0_17counting_iteratorImlEEZNS1_24adjacent_difference_implIS3_Lb1ELb0EPlSB_ZN2at6native12_GLOBAL__N_124unique_dim_cuda_templateIbEESt5tupleIJNSC_6TensorESH_SH_EERKSH_lbbbEUlllE1_EE10hipError_tPvRmT2_T3_mT4_P12ihipStream_tbEUlmE_lEESB_NS0_8identityIvEEEESM_SP_SQ_mSR_ST_bEUlT_E_NS1_11comp_targetILNS1_3genE10ELNS1_11target_archE1201ELNS1_3gpuE5ELNS1_3repE0EEENS1_30default_config_static_selectorELNS0_4arch9wavefront6targetE1EEEvT1_.num_agpr, 0
	.set _ZN7rocprim17ROCPRIM_400000_NS6detail17trampoline_kernelINS0_14default_configENS1_25transform_config_selectorIlLb0EEEZNS1_14transform_implILb0ES3_S5_NS0_18transform_iteratorINS0_17counting_iteratorImlEEZNS1_24adjacent_difference_implIS3_Lb1ELb0EPlSB_ZN2at6native12_GLOBAL__N_124unique_dim_cuda_templateIbEESt5tupleIJNSC_6TensorESH_SH_EERKSH_lbbbEUlllE1_EE10hipError_tPvRmT2_T3_mT4_P12ihipStream_tbEUlmE_lEESB_NS0_8identityIvEEEESM_SP_SQ_mSR_ST_bEUlT_E_NS1_11comp_targetILNS1_3genE10ELNS1_11target_archE1201ELNS1_3gpuE5ELNS1_3repE0EEENS1_30default_config_static_selectorELNS0_4arch9wavefront6targetE1EEEvT1_.numbered_sgpr, 0
	.set _ZN7rocprim17ROCPRIM_400000_NS6detail17trampoline_kernelINS0_14default_configENS1_25transform_config_selectorIlLb0EEEZNS1_14transform_implILb0ES3_S5_NS0_18transform_iteratorINS0_17counting_iteratorImlEEZNS1_24adjacent_difference_implIS3_Lb1ELb0EPlSB_ZN2at6native12_GLOBAL__N_124unique_dim_cuda_templateIbEESt5tupleIJNSC_6TensorESH_SH_EERKSH_lbbbEUlllE1_EE10hipError_tPvRmT2_T3_mT4_P12ihipStream_tbEUlmE_lEESB_NS0_8identityIvEEEESM_SP_SQ_mSR_ST_bEUlT_E_NS1_11comp_targetILNS1_3genE10ELNS1_11target_archE1201ELNS1_3gpuE5ELNS1_3repE0EEENS1_30default_config_static_selectorELNS0_4arch9wavefront6targetE1EEEvT1_.num_named_barrier, 0
	.set _ZN7rocprim17ROCPRIM_400000_NS6detail17trampoline_kernelINS0_14default_configENS1_25transform_config_selectorIlLb0EEEZNS1_14transform_implILb0ES3_S5_NS0_18transform_iteratorINS0_17counting_iteratorImlEEZNS1_24adjacent_difference_implIS3_Lb1ELb0EPlSB_ZN2at6native12_GLOBAL__N_124unique_dim_cuda_templateIbEESt5tupleIJNSC_6TensorESH_SH_EERKSH_lbbbEUlllE1_EE10hipError_tPvRmT2_T3_mT4_P12ihipStream_tbEUlmE_lEESB_NS0_8identityIvEEEESM_SP_SQ_mSR_ST_bEUlT_E_NS1_11comp_targetILNS1_3genE10ELNS1_11target_archE1201ELNS1_3gpuE5ELNS1_3repE0EEENS1_30default_config_static_selectorELNS0_4arch9wavefront6targetE1EEEvT1_.private_seg_size, 0
	.set _ZN7rocprim17ROCPRIM_400000_NS6detail17trampoline_kernelINS0_14default_configENS1_25transform_config_selectorIlLb0EEEZNS1_14transform_implILb0ES3_S5_NS0_18transform_iteratorINS0_17counting_iteratorImlEEZNS1_24adjacent_difference_implIS3_Lb1ELb0EPlSB_ZN2at6native12_GLOBAL__N_124unique_dim_cuda_templateIbEESt5tupleIJNSC_6TensorESH_SH_EERKSH_lbbbEUlllE1_EE10hipError_tPvRmT2_T3_mT4_P12ihipStream_tbEUlmE_lEESB_NS0_8identityIvEEEESM_SP_SQ_mSR_ST_bEUlT_E_NS1_11comp_targetILNS1_3genE10ELNS1_11target_archE1201ELNS1_3gpuE5ELNS1_3repE0EEENS1_30default_config_static_selectorELNS0_4arch9wavefront6targetE1EEEvT1_.uses_vcc, 0
	.set _ZN7rocprim17ROCPRIM_400000_NS6detail17trampoline_kernelINS0_14default_configENS1_25transform_config_selectorIlLb0EEEZNS1_14transform_implILb0ES3_S5_NS0_18transform_iteratorINS0_17counting_iteratorImlEEZNS1_24adjacent_difference_implIS3_Lb1ELb0EPlSB_ZN2at6native12_GLOBAL__N_124unique_dim_cuda_templateIbEESt5tupleIJNSC_6TensorESH_SH_EERKSH_lbbbEUlllE1_EE10hipError_tPvRmT2_T3_mT4_P12ihipStream_tbEUlmE_lEESB_NS0_8identityIvEEEESM_SP_SQ_mSR_ST_bEUlT_E_NS1_11comp_targetILNS1_3genE10ELNS1_11target_archE1201ELNS1_3gpuE5ELNS1_3repE0EEENS1_30default_config_static_selectorELNS0_4arch9wavefront6targetE1EEEvT1_.uses_flat_scratch, 0
	.set _ZN7rocprim17ROCPRIM_400000_NS6detail17trampoline_kernelINS0_14default_configENS1_25transform_config_selectorIlLb0EEEZNS1_14transform_implILb0ES3_S5_NS0_18transform_iteratorINS0_17counting_iteratorImlEEZNS1_24adjacent_difference_implIS3_Lb1ELb0EPlSB_ZN2at6native12_GLOBAL__N_124unique_dim_cuda_templateIbEESt5tupleIJNSC_6TensorESH_SH_EERKSH_lbbbEUlllE1_EE10hipError_tPvRmT2_T3_mT4_P12ihipStream_tbEUlmE_lEESB_NS0_8identityIvEEEESM_SP_SQ_mSR_ST_bEUlT_E_NS1_11comp_targetILNS1_3genE10ELNS1_11target_archE1201ELNS1_3gpuE5ELNS1_3repE0EEENS1_30default_config_static_selectorELNS0_4arch9wavefront6targetE1EEEvT1_.has_dyn_sized_stack, 0
	.set _ZN7rocprim17ROCPRIM_400000_NS6detail17trampoline_kernelINS0_14default_configENS1_25transform_config_selectorIlLb0EEEZNS1_14transform_implILb0ES3_S5_NS0_18transform_iteratorINS0_17counting_iteratorImlEEZNS1_24adjacent_difference_implIS3_Lb1ELb0EPlSB_ZN2at6native12_GLOBAL__N_124unique_dim_cuda_templateIbEESt5tupleIJNSC_6TensorESH_SH_EERKSH_lbbbEUlllE1_EE10hipError_tPvRmT2_T3_mT4_P12ihipStream_tbEUlmE_lEESB_NS0_8identityIvEEEESM_SP_SQ_mSR_ST_bEUlT_E_NS1_11comp_targetILNS1_3genE10ELNS1_11target_archE1201ELNS1_3gpuE5ELNS1_3repE0EEENS1_30default_config_static_selectorELNS0_4arch9wavefront6targetE1EEEvT1_.has_recursion, 0
	.set _ZN7rocprim17ROCPRIM_400000_NS6detail17trampoline_kernelINS0_14default_configENS1_25transform_config_selectorIlLb0EEEZNS1_14transform_implILb0ES3_S5_NS0_18transform_iteratorINS0_17counting_iteratorImlEEZNS1_24adjacent_difference_implIS3_Lb1ELb0EPlSB_ZN2at6native12_GLOBAL__N_124unique_dim_cuda_templateIbEESt5tupleIJNSC_6TensorESH_SH_EERKSH_lbbbEUlllE1_EE10hipError_tPvRmT2_T3_mT4_P12ihipStream_tbEUlmE_lEESB_NS0_8identityIvEEEESM_SP_SQ_mSR_ST_bEUlT_E_NS1_11comp_targetILNS1_3genE10ELNS1_11target_archE1201ELNS1_3gpuE5ELNS1_3repE0EEENS1_30default_config_static_selectorELNS0_4arch9wavefront6targetE1EEEvT1_.has_indirect_call, 0
	.section	.AMDGPU.csdata,"",@progbits
; Kernel info:
; codeLenInByte = 0
; TotalNumSgprs: 6
; NumVgprs: 0
; NumAgprs: 0
; TotalNumVgprs: 0
; ScratchSize: 0
; MemoryBound: 0
; FloatMode: 240
; IeeeMode: 1
; LDSByteSize: 0 bytes/workgroup (compile time only)
; SGPRBlocks: 0
; VGPRBlocks: 0
; NumSGPRsForWavesPerEU: 6
; NumVGPRsForWavesPerEU: 1
; AccumOffset: 4
; Occupancy: 8
; WaveLimiterHint : 0
; COMPUTE_PGM_RSRC2:SCRATCH_EN: 0
; COMPUTE_PGM_RSRC2:USER_SGPR: 2
; COMPUTE_PGM_RSRC2:TRAP_HANDLER: 0
; COMPUTE_PGM_RSRC2:TGID_X_EN: 1
; COMPUTE_PGM_RSRC2:TGID_Y_EN: 0
; COMPUTE_PGM_RSRC2:TGID_Z_EN: 0
; COMPUTE_PGM_RSRC2:TIDIG_COMP_CNT: 0
; COMPUTE_PGM_RSRC3_GFX90A:ACCUM_OFFSET: 0
; COMPUTE_PGM_RSRC3_GFX90A:TG_SPLIT: 0
	.section	.text._ZN7rocprim17ROCPRIM_400000_NS6detail17trampoline_kernelINS0_14default_configENS1_25transform_config_selectorIlLb0EEEZNS1_14transform_implILb0ES3_S5_NS0_18transform_iteratorINS0_17counting_iteratorImlEEZNS1_24adjacent_difference_implIS3_Lb1ELb0EPlSB_ZN2at6native12_GLOBAL__N_124unique_dim_cuda_templateIbEESt5tupleIJNSC_6TensorESH_SH_EERKSH_lbbbEUlllE1_EE10hipError_tPvRmT2_T3_mT4_P12ihipStream_tbEUlmE_lEESB_NS0_8identityIvEEEESM_SP_SQ_mSR_ST_bEUlT_E_NS1_11comp_targetILNS1_3genE10ELNS1_11target_archE1200ELNS1_3gpuE4ELNS1_3repE0EEENS1_30default_config_static_selectorELNS0_4arch9wavefront6targetE1EEEvT1_,"axG",@progbits,_ZN7rocprim17ROCPRIM_400000_NS6detail17trampoline_kernelINS0_14default_configENS1_25transform_config_selectorIlLb0EEEZNS1_14transform_implILb0ES3_S5_NS0_18transform_iteratorINS0_17counting_iteratorImlEEZNS1_24adjacent_difference_implIS3_Lb1ELb0EPlSB_ZN2at6native12_GLOBAL__N_124unique_dim_cuda_templateIbEESt5tupleIJNSC_6TensorESH_SH_EERKSH_lbbbEUlllE1_EE10hipError_tPvRmT2_T3_mT4_P12ihipStream_tbEUlmE_lEESB_NS0_8identityIvEEEESM_SP_SQ_mSR_ST_bEUlT_E_NS1_11comp_targetILNS1_3genE10ELNS1_11target_archE1200ELNS1_3gpuE4ELNS1_3repE0EEENS1_30default_config_static_selectorELNS0_4arch9wavefront6targetE1EEEvT1_,comdat
	.globl	_ZN7rocprim17ROCPRIM_400000_NS6detail17trampoline_kernelINS0_14default_configENS1_25transform_config_selectorIlLb0EEEZNS1_14transform_implILb0ES3_S5_NS0_18transform_iteratorINS0_17counting_iteratorImlEEZNS1_24adjacent_difference_implIS3_Lb1ELb0EPlSB_ZN2at6native12_GLOBAL__N_124unique_dim_cuda_templateIbEESt5tupleIJNSC_6TensorESH_SH_EERKSH_lbbbEUlllE1_EE10hipError_tPvRmT2_T3_mT4_P12ihipStream_tbEUlmE_lEESB_NS0_8identityIvEEEESM_SP_SQ_mSR_ST_bEUlT_E_NS1_11comp_targetILNS1_3genE10ELNS1_11target_archE1200ELNS1_3gpuE4ELNS1_3repE0EEENS1_30default_config_static_selectorELNS0_4arch9wavefront6targetE1EEEvT1_ ; -- Begin function _ZN7rocprim17ROCPRIM_400000_NS6detail17trampoline_kernelINS0_14default_configENS1_25transform_config_selectorIlLb0EEEZNS1_14transform_implILb0ES3_S5_NS0_18transform_iteratorINS0_17counting_iteratorImlEEZNS1_24adjacent_difference_implIS3_Lb1ELb0EPlSB_ZN2at6native12_GLOBAL__N_124unique_dim_cuda_templateIbEESt5tupleIJNSC_6TensorESH_SH_EERKSH_lbbbEUlllE1_EE10hipError_tPvRmT2_T3_mT4_P12ihipStream_tbEUlmE_lEESB_NS0_8identityIvEEEESM_SP_SQ_mSR_ST_bEUlT_E_NS1_11comp_targetILNS1_3genE10ELNS1_11target_archE1200ELNS1_3gpuE4ELNS1_3repE0EEENS1_30default_config_static_selectorELNS0_4arch9wavefront6targetE1EEEvT1_
	.p2align	8
	.type	_ZN7rocprim17ROCPRIM_400000_NS6detail17trampoline_kernelINS0_14default_configENS1_25transform_config_selectorIlLb0EEEZNS1_14transform_implILb0ES3_S5_NS0_18transform_iteratorINS0_17counting_iteratorImlEEZNS1_24adjacent_difference_implIS3_Lb1ELb0EPlSB_ZN2at6native12_GLOBAL__N_124unique_dim_cuda_templateIbEESt5tupleIJNSC_6TensorESH_SH_EERKSH_lbbbEUlllE1_EE10hipError_tPvRmT2_T3_mT4_P12ihipStream_tbEUlmE_lEESB_NS0_8identityIvEEEESM_SP_SQ_mSR_ST_bEUlT_E_NS1_11comp_targetILNS1_3genE10ELNS1_11target_archE1200ELNS1_3gpuE4ELNS1_3repE0EEENS1_30default_config_static_selectorELNS0_4arch9wavefront6targetE1EEEvT1_,@function
_ZN7rocprim17ROCPRIM_400000_NS6detail17trampoline_kernelINS0_14default_configENS1_25transform_config_selectorIlLb0EEEZNS1_14transform_implILb0ES3_S5_NS0_18transform_iteratorINS0_17counting_iteratorImlEEZNS1_24adjacent_difference_implIS3_Lb1ELb0EPlSB_ZN2at6native12_GLOBAL__N_124unique_dim_cuda_templateIbEESt5tupleIJNSC_6TensorESH_SH_EERKSH_lbbbEUlllE1_EE10hipError_tPvRmT2_T3_mT4_P12ihipStream_tbEUlmE_lEESB_NS0_8identityIvEEEESM_SP_SQ_mSR_ST_bEUlT_E_NS1_11comp_targetILNS1_3genE10ELNS1_11target_archE1200ELNS1_3gpuE4ELNS1_3repE0EEENS1_30default_config_static_selectorELNS0_4arch9wavefront6targetE1EEEvT1_: ; @_ZN7rocprim17ROCPRIM_400000_NS6detail17trampoline_kernelINS0_14default_configENS1_25transform_config_selectorIlLb0EEEZNS1_14transform_implILb0ES3_S5_NS0_18transform_iteratorINS0_17counting_iteratorImlEEZNS1_24adjacent_difference_implIS3_Lb1ELb0EPlSB_ZN2at6native12_GLOBAL__N_124unique_dim_cuda_templateIbEESt5tupleIJNSC_6TensorESH_SH_EERKSH_lbbbEUlllE1_EE10hipError_tPvRmT2_T3_mT4_P12ihipStream_tbEUlmE_lEESB_NS0_8identityIvEEEESM_SP_SQ_mSR_ST_bEUlT_E_NS1_11comp_targetILNS1_3genE10ELNS1_11target_archE1200ELNS1_3gpuE4ELNS1_3repE0EEENS1_30default_config_static_selectorELNS0_4arch9wavefront6targetE1EEEvT1_
; %bb.0:
	.section	.rodata,"a",@progbits
	.p2align	6, 0x0
	.amdhsa_kernel _ZN7rocprim17ROCPRIM_400000_NS6detail17trampoline_kernelINS0_14default_configENS1_25transform_config_selectorIlLb0EEEZNS1_14transform_implILb0ES3_S5_NS0_18transform_iteratorINS0_17counting_iteratorImlEEZNS1_24adjacent_difference_implIS3_Lb1ELb0EPlSB_ZN2at6native12_GLOBAL__N_124unique_dim_cuda_templateIbEESt5tupleIJNSC_6TensorESH_SH_EERKSH_lbbbEUlllE1_EE10hipError_tPvRmT2_T3_mT4_P12ihipStream_tbEUlmE_lEESB_NS0_8identityIvEEEESM_SP_SQ_mSR_ST_bEUlT_E_NS1_11comp_targetILNS1_3genE10ELNS1_11target_archE1200ELNS1_3gpuE4ELNS1_3repE0EEENS1_30default_config_static_selectorELNS0_4arch9wavefront6targetE1EEEvT1_
		.amdhsa_group_segment_fixed_size 0
		.amdhsa_private_segment_fixed_size 0
		.amdhsa_kernarg_size 56
		.amdhsa_user_sgpr_count 2
		.amdhsa_user_sgpr_dispatch_ptr 0
		.amdhsa_user_sgpr_queue_ptr 0
		.amdhsa_user_sgpr_kernarg_segment_ptr 1
		.amdhsa_user_sgpr_dispatch_id 0
		.amdhsa_user_sgpr_kernarg_preload_length 0
		.amdhsa_user_sgpr_kernarg_preload_offset 0
		.amdhsa_user_sgpr_private_segment_size 0
		.amdhsa_uses_dynamic_stack 0
		.amdhsa_enable_private_segment 0
		.amdhsa_system_sgpr_workgroup_id_x 1
		.amdhsa_system_sgpr_workgroup_id_y 0
		.amdhsa_system_sgpr_workgroup_id_z 0
		.amdhsa_system_sgpr_workgroup_info 0
		.amdhsa_system_vgpr_workitem_id 0
		.amdhsa_next_free_vgpr 1
		.amdhsa_next_free_sgpr 0
		.amdhsa_accum_offset 4
		.amdhsa_reserve_vcc 0
		.amdhsa_float_round_mode_32 0
		.amdhsa_float_round_mode_16_64 0
		.amdhsa_float_denorm_mode_32 3
		.amdhsa_float_denorm_mode_16_64 3
		.amdhsa_dx10_clamp 1
		.amdhsa_ieee_mode 1
		.amdhsa_fp16_overflow 0
		.amdhsa_tg_split 0
		.amdhsa_exception_fp_ieee_invalid_op 0
		.amdhsa_exception_fp_denorm_src 0
		.amdhsa_exception_fp_ieee_div_zero 0
		.amdhsa_exception_fp_ieee_overflow 0
		.amdhsa_exception_fp_ieee_underflow 0
		.amdhsa_exception_fp_ieee_inexact 0
		.amdhsa_exception_int_div_zero 0
	.end_amdhsa_kernel
	.section	.text._ZN7rocprim17ROCPRIM_400000_NS6detail17trampoline_kernelINS0_14default_configENS1_25transform_config_selectorIlLb0EEEZNS1_14transform_implILb0ES3_S5_NS0_18transform_iteratorINS0_17counting_iteratorImlEEZNS1_24adjacent_difference_implIS3_Lb1ELb0EPlSB_ZN2at6native12_GLOBAL__N_124unique_dim_cuda_templateIbEESt5tupleIJNSC_6TensorESH_SH_EERKSH_lbbbEUlllE1_EE10hipError_tPvRmT2_T3_mT4_P12ihipStream_tbEUlmE_lEESB_NS0_8identityIvEEEESM_SP_SQ_mSR_ST_bEUlT_E_NS1_11comp_targetILNS1_3genE10ELNS1_11target_archE1200ELNS1_3gpuE4ELNS1_3repE0EEENS1_30default_config_static_selectorELNS0_4arch9wavefront6targetE1EEEvT1_,"axG",@progbits,_ZN7rocprim17ROCPRIM_400000_NS6detail17trampoline_kernelINS0_14default_configENS1_25transform_config_selectorIlLb0EEEZNS1_14transform_implILb0ES3_S5_NS0_18transform_iteratorINS0_17counting_iteratorImlEEZNS1_24adjacent_difference_implIS3_Lb1ELb0EPlSB_ZN2at6native12_GLOBAL__N_124unique_dim_cuda_templateIbEESt5tupleIJNSC_6TensorESH_SH_EERKSH_lbbbEUlllE1_EE10hipError_tPvRmT2_T3_mT4_P12ihipStream_tbEUlmE_lEESB_NS0_8identityIvEEEESM_SP_SQ_mSR_ST_bEUlT_E_NS1_11comp_targetILNS1_3genE10ELNS1_11target_archE1200ELNS1_3gpuE4ELNS1_3repE0EEENS1_30default_config_static_selectorELNS0_4arch9wavefront6targetE1EEEvT1_,comdat
.Lfunc_end1040:
	.size	_ZN7rocprim17ROCPRIM_400000_NS6detail17trampoline_kernelINS0_14default_configENS1_25transform_config_selectorIlLb0EEEZNS1_14transform_implILb0ES3_S5_NS0_18transform_iteratorINS0_17counting_iteratorImlEEZNS1_24adjacent_difference_implIS3_Lb1ELb0EPlSB_ZN2at6native12_GLOBAL__N_124unique_dim_cuda_templateIbEESt5tupleIJNSC_6TensorESH_SH_EERKSH_lbbbEUlllE1_EE10hipError_tPvRmT2_T3_mT4_P12ihipStream_tbEUlmE_lEESB_NS0_8identityIvEEEESM_SP_SQ_mSR_ST_bEUlT_E_NS1_11comp_targetILNS1_3genE10ELNS1_11target_archE1200ELNS1_3gpuE4ELNS1_3repE0EEENS1_30default_config_static_selectorELNS0_4arch9wavefront6targetE1EEEvT1_, .Lfunc_end1040-_ZN7rocprim17ROCPRIM_400000_NS6detail17trampoline_kernelINS0_14default_configENS1_25transform_config_selectorIlLb0EEEZNS1_14transform_implILb0ES3_S5_NS0_18transform_iteratorINS0_17counting_iteratorImlEEZNS1_24adjacent_difference_implIS3_Lb1ELb0EPlSB_ZN2at6native12_GLOBAL__N_124unique_dim_cuda_templateIbEESt5tupleIJNSC_6TensorESH_SH_EERKSH_lbbbEUlllE1_EE10hipError_tPvRmT2_T3_mT4_P12ihipStream_tbEUlmE_lEESB_NS0_8identityIvEEEESM_SP_SQ_mSR_ST_bEUlT_E_NS1_11comp_targetILNS1_3genE10ELNS1_11target_archE1200ELNS1_3gpuE4ELNS1_3repE0EEENS1_30default_config_static_selectorELNS0_4arch9wavefront6targetE1EEEvT1_
                                        ; -- End function
	.set _ZN7rocprim17ROCPRIM_400000_NS6detail17trampoline_kernelINS0_14default_configENS1_25transform_config_selectorIlLb0EEEZNS1_14transform_implILb0ES3_S5_NS0_18transform_iteratorINS0_17counting_iteratorImlEEZNS1_24adjacent_difference_implIS3_Lb1ELb0EPlSB_ZN2at6native12_GLOBAL__N_124unique_dim_cuda_templateIbEESt5tupleIJNSC_6TensorESH_SH_EERKSH_lbbbEUlllE1_EE10hipError_tPvRmT2_T3_mT4_P12ihipStream_tbEUlmE_lEESB_NS0_8identityIvEEEESM_SP_SQ_mSR_ST_bEUlT_E_NS1_11comp_targetILNS1_3genE10ELNS1_11target_archE1200ELNS1_3gpuE4ELNS1_3repE0EEENS1_30default_config_static_selectorELNS0_4arch9wavefront6targetE1EEEvT1_.num_vgpr, 0
	.set _ZN7rocprim17ROCPRIM_400000_NS6detail17trampoline_kernelINS0_14default_configENS1_25transform_config_selectorIlLb0EEEZNS1_14transform_implILb0ES3_S5_NS0_18transform_iteratorINS0_17counting_iteratorImlEEZNS1_24adjacent_difference_implIS3_Lb1ELb0EPlSB_ZN2at6native12_GLOBAL__N_124unique_dim_cuda_templateIbEESt5tupleIJNSC_6TensorESH_SH_EERKSH_lbbbEUlllE1_EE10hipError_tPvRmT2_T3_mT4_P12ihipStream_tbEUlmE_lEESB_NS0_8identityIvEEEESM_SP_SQ_mSR_ST_bEUlT_E_NS1_11comp_targetILNS1_3genE10ELNS1_11target_archE1200ELNS1_3gpuE4ELNS1_3repE0EEENS1_30default_config_static_selectorELNS0_4arch9wavefront6targetE1EEEvT1_.num_agpr, 0
	.set _ZN7rocprim17ROCPRIM_400000_NS6detail17trampoline_kernelINS0_14default_configENS1_25transform_config_selectorIlLb0EEEZNS1_14transform_implILb0ES3_S5_NS0_18transform_iteratorINS0_17counting_iteratorImlEEZNS1_24adjacent_difference_implIS3_Lb1ELb0EPlSB_ZN2at6native12_GLOBAL__N_124unique_dim_cuda_templateIbEESt5tupleIJNSC_6TensorESH_SH_EERKSH_lbbbEUlllE1_EE10hipError_tPvRmT2_T3_mT4_P12ihipStream_tbEUlmE_lEESB_NS0_8identityIvEEEESM_SP_SQ_mSR_ST_bEUlT_E_NS1_11comp_targetILNS1_3genE10ELNS1_11target_archE1200ELNS1_3gpuE4ELNS1_3repE0EEENS1_30default_config_static_selectorELNS0_4arch9wavefront6targetE1EEEvT1_.numbered_sgpr, 0
	.set _ZN7rocprim17ROCPRIM_400000_NS6detail17trampoline_kernelINS0_14default_configENS1_25transform_config_selectorIlLb0EEEZNS1_14transform_implILb0ES3_S5_NS0_18transform_iteratorINS0_17counting_iteratorImlEEZNS1_24adjacent_difference_implIS3_Lb1ELb0EPlSB_ZN2at6native12_GLOBAL__N_124unique_dim_cuda_templateIbEESt5tupleIJNSC_6TensorESH_SH_EERKSH_lbbbEUlllE1_EE10hipError_tPvRmT2_T3_mT4_P12ihipStream_tbEUlmE_lEESB_NS0_8identityIvEEEESM_SP_SQ_mSR_ST_bEUlT_E_NS1_11comp_targetILNS1_3genE10ELNS1_11target_archE1200ELNS1_3gpuE4ELNS1_3repE0EEENS1_30default_config_static_selectorELNS0_4arch9wavefront6targetE1EEEvT1_.num_named_barrier, 0
	.set _ZN7rocprim17ROCPRIM_400000_NS6detail17trampoline_kernelINS0_14default_configENS1_25transform_config_selectorIlLb0EEEZNS1_14transform_implILb0ES3_S5_NS0_18transform_iteratorINS0_17counting_iteratorImlEEZNS1_24adjacent_difference_implIS3_Lb1ELb0EPlSB_ZN2at6native12_GLOBAL__N_124unique_dim_cuda_templateIbEESt5tupleIJNSC_6TensorESH_SH_EERKSH_lbbbEUlllE1_EE10hipError_tPvRmT2_T3_mT4_P12ihipStream_tbEUlmE_lEESB_NS0_8identityIvEEEESM_SP_SQ_mSR_ST_bEUlT_E_NS1_11comp_targetILNS1_3genE10ELNS1_11target_archE1200ELNS1_3gpuE4ELNS1_3repE0EEENS1_30default_config_static_selectorELNS0_4arch9wavefront6targetE1EEEvT1_.private_seg_size, 0
	.set _ZN7rocprim17ROCPRIM_400000_NS6detail17trampoline_kernelINS0_14default_configENS1_25transform_config_selectorIlLb0EEEZNS1_14transform_implILb0ES3_S5_NS0_18transform_iteratorINS0_17counting_iteratorImlEEZNS1_24adjacent_difference_implIS3_Lb1ELb0EPlSB_ZN2at6native12_GLOBAL__N_124unique_dim_cuda_templateIbEESt5tupleIJNSC_6TensorESH_SH_EERKSH_lbbbEUlllE1_EE10hipError_tPvRmT2_T3_mT4_P12ihipStream_tbEUlmE_lEESB_NS0_8identityIvEEEESM_SP_SQ_mSR_ST_bEUlT_E_NS1_11comp_targetILNS1_3genE10ELNS1_11target_archE1200ELNS1_3gpuE4ELNS1_3repE0EEENS1_30default_config_static_selectorELNS0_4arch9wavefront6targetE1EEEvT1_.uses_vcc, 0
	.set _ZN7rocprim17ROCPRIM_400000_NS6detail17trampoline_kernelINS0_14default_configENS1_25transform_config_selectorIlLb0EEEZNS1_14transform_implILb0ES3_S5_NS0_18transform_iteratorINS0_17counting_iteratorImlEEZNS1_24adjacent_difference_implIS3_Lb1ELb0EPlSB_ZN2at6native12_GLOBAL__N_124unique_dim_cuda_templateIbEESt5tupleIJNSC_6TensorESH_SH_EERKSH_lbbbEUlllE1_EE10hipError_tPvRmT2_T3_mT4_P12ihipStream_tbEUlmE_lEESB_NS0_8identityIvEEEESM_SP_SQ_mSR_ST_bEUlT_E_NS1_11comp_targetILNS1_3genE10ELNS1_11target_archE1200ELNS1_3gpuE4ELNS1_3repE0EEENS1_30default_config_static_selectorELNS0_4arch9wavefront6targetE1EEEvT1_.uses_flat_scratch, 0
	.set _ZN7rocprim17ROCPRIM_400000_NS6detail17trampoline_kernelINS0_14default_configENS1_25transform_config_selectorIlLb0EEEZNS1_14transform_implILb0ES3_S5_NS0_18transform_iteratorINS0_17counting_iteratorImlEEZNS1_24adjacent_difference_implIS3_Lb1ELb0EPlSB_ZN2at6native12_GLOBAL__N_124unique_dim_cuda_templateIbEESt5tupleIJNSC_6TensorESH_SH_EERKSH_lbbbEUlllE1_EE10hipError_tPvRmT2_T3_mT4_P12ihipStream_tbEUlmE_lEESB_NS0_8identityIvEEEESM_SP_SQ_mSR_ST_bEUlT_E_NS1_11comp_targetILNS1_3genE10ELNS1_11target_archE1200ELNS1_3gpuE4ELNS1_3repE0EEENS1_30default_config_static_selectorELNS0_4arch9wavefront6targetE1EEEvT1_.has_dyn_sized_stack, 0
	.set _ZN7rocprim17ROCPRIM_400000_NS6detail17trampoline_kernelINS0_14default_configENS1_25transform_config_selectorIlLb0EEEZNS1_14transform_implILb0ES3_S5_NS0_18transform_iteratorINS0_17counting_iteratorImlEEZNS1_24adjacent_difference_implIS3_Lb1ELb0EPlSB_ZN2at6native12_GLOBAL__N_124unique_dim_cuda_templateIbEESt5tupleIJNSC_6TensorESH_SH_EERKSH_lbbbEUlllE1_EE10hipError_tPvRmT2_T3_mT4_P12ihipStream_tbEUlmE_lEESB_NS0_8identityIvEEEESM_SP_SQ_mSR_ST_bEUlT_E_NS1_11comp_targetILNS1_3genE10ELNS1_11target_archE1200ELNS1_3gpuE4ELNS1_3repE0EEENS1_30default_config_static_selectorELNS0_4arch9wavefront6targetE1EEEvT1_.has_recursion, 0
	.set _ZN7rocprim17ROCPRIM_400000_NS6detail17trampoline_kernelINS0_14default_configENS1_25transform_config_selectorIlLb0EEEZNS1_14transform_implILb0ES3_S5_NS0_18transform_iteratorINS0_17counting_iteratorImlEEZNS1_24adjacent_difference_implIS3_Lb1ELb0EPlSB_ZN2at6native12_GLOBAL__N_124unique_dim_cuda_templateIbEESt5tupleIJNSC_6TensorESH_SH_EERKSH_lbbbEUlllE1_EE10hipError_tPvRmT2_T3_mT4_P12ihipStream_tbEUlmE_lEESB_NS0_8identityIvEEEESM_SP_SQ_mSR_ST_bEUlT_E_NS1_11comp_targetILNS1_3genE10ELNS1_11target_archE1200ELNS1_3gpuE4ELNS1_3repE0EEENS1_30default_config_static_selectorELNS0_4arch9wavefront6targetE1EEEvT1_.has_indirect_call, 0
	.section	.AMDGPU.csdata,"",@progbits
; Kernel info:
; codeLenInByte = 0
; TotalNumSgprs: 6
; NumVgprs: 0
; NumAgprs: 0
; TotalNumVgprs: 0
; ScratchSize: 0
; MemoryBound: 0
; FloatMode: 240
; IeeeMode: 1
; LDSByteSize: 0 bytes/workgroup (compile time only)
; SGPRBlocks: 0
; VGPRBlocks: 0
; NumSGPRsForWavesPerEU: 6
; NumVGPRsForWavesPerEU: 1
; AccumOffset: 4
; Occupancy: 8
; WaveLimiterHint : 0
; COMPUTE_PGM_RSRC2:SCRATCH_EN: 0
; COMPUTE_PGM_RSRC2:USER_SGPR: 2
; COMPUTE_PGM_RSRC2:TRAP_HANDLER: 0
; COMPUTE_PGM_RSRC2:TGID_X_EN: 1
; COMPUTE_PGM_RSRC2:TGID_Y_EN: 0
; COMPUTE_PGM_RSRC2:TGID_Z_EN: 0
; COMPUTE_PGM_RSRC2:TIDIG_COMP_CNT: 0
; COMPUTE_PGM_RSRC3_GFX90A:ACCUM_OFFSET: 0
; COMPUTE_PGM_RSRC3_GFX90A:TG_SPLIT: 0
	.section	.text._ZN7rocprim17ROCPRIM_400000_NS6detail17trampoline_kernelINS0_14default_configENS1_25transform_config_selectorIlLb0EEEZNS1_14transform_implILb0ES3_S5_NS0_18transform_iteratorINS0_17counting_iteratorImlEEZNS1_24adjacent_difference_implIS3_Lb1ELb0EPlSB_ZN2at6native12_GLOBAL__N_124unique_dim_cuda_templateIbEESt5tupleIJNSC_6TensorESH_SH_EERKSH_lbbbEUlllE1_EE10hipError_tPvRmT2_T3_mT4_P12ihipStream_tbEUlmE_lEESB_NS0_8identityIvEEEESM_SP_SQ_mSR_ST_bEUlT_E_NS1_11comp_targetILNS1_3genE9ELNS1_11target_archE1100ELNS1_3gpuE3ELNS1_3repE0EEENS1_30default_config_static_selectorELNS0_4arch9wavefront6targetE1EEEvT1_,"axG",@progbits,_ZN7rocprim17ROCPRIM_400000_NS6detail17trampoline_kernelINS0_14default_configENS1_25transform_config_selectorIlLb0EEEZNS1_14transform_implILb0ES3_S5_NS0_18transform_iteratorINS0_17counting_iteratorImlEEZNS1_24adjacent_difference_implIS3_Lb1ELb0EPlSB_ZN2at6native12_GLOBAL__N_124unique_dim_cuda_templateIbEESt5tupleIJNSC_6TensorESH_SH_EERKSH_lbbbEUlllE1_EE10hipError_tPvRmT2_T3_mT4_P12ihipStream_tbEUlmE_lEESB_NS0_8identityIvEEEESM_SP_SQ_mSR_ST_bEUlT_E_NS1_11comp_targetILNS1_3genE9ELNS1_11target_archE1100ELNS1_3gpuE3ELNS1_3repE0EEENS1_30default_config_static_selectorELNS0_4arch9wavefront6targetE1EEEvT1_,comdat
	.globl	_ZN7rocprim17ROCPRIM_400000_NS6detail17trampoline_kernelINS0_14default_configENS1_25transform_config_selectorIlLb0EEEZNS1_14transform_implILb0ES3_S5_NS0_18transform_iteratorINS0_17counting_iteratorImlEEZNS1_24adjacent_difference_implIS3_Lb1ELb0EPlSB_ZN2at6native12_GLOBAL__N_124unique_dim_cuda_templateIbEESt5tupleIJNSC_6TensorESH_SH_EERKSH_lbbbEUlllE1_EE10hipError_tPvRmT2_T3_mT4_P12ihipStream_tbEUlmE_lEESB_NS0_8identityIvEEEESM_SP_SQ_mSR_ST_bEUlT_E_NS1_11comp_targetILNS1_3genE9ELNS1_11target_archE1100ELNS1_3gpuE3ELNS1_3repE0EEENS1_30default_config_static_selectorELNS0_4arch9wavefront6targetE1EEEvT1_ ; -- Begin function _ZN7rocprim17ROCPRIM_400000_NS6detail17trampoline_kernelINS0_14default_configENS1_25transform_config_selectorIlLb0EEEZNS1_14transform_implILb0ES3_S5_NS0_18transform_iteratorINS0_17counting_iteratorImlEEZNS1_24adjacent_difference_implIS3_Lb1ELb0EPlSB_ZN2at6native12_GLOBAL__N_124unique_dim_cuda_templateIbEESt5tupleIJNSC_6TensorESH_SH_EERKSH_lbbbEUlllE1_EE10hipError_tPvRmT2_T3_mT4_P12ihipStream_tbEUlmE_lEESB_NS0_8identityIvEEEESM_SP_SQ_mSR_ST_bEUlT_E_NS1_11comp_targetILNS1_3genE9ELNS1_11target_archE1100ELNS1_3gpuE3ELNS1_3repE0EEENS1_30default_config_static_selectorELNS0_4arch9wavefront6targetE1EEEvT1_
	.p2align	8
	.type	_ZN7rocprim17ROCPRIM_400000_NS6detail17trampoline_kernelINS0_14default_configENS1_25transform_config_selectorIlLb0EEEZNS1_14transform_implILb0ES3_S5_NS0_18transform_iteratorINS0_17counting_iteratorImlEEZNS1_24adjacent_difference_implIS3_Lb1ELb0EPlSB_ZN2at6native12_GLOBAL__N_124unique_dim_cuda_templateIbEESt5tupleIJNSC_6TensorESH_SH_EERKSH_lbbbEUlllE1_EE10hipError_tPvRmT2_T3_mT4_P12ihipStream_tbEUlmE_lEESB_NS0_8identityIvEEEESM_SP_SQ_mSR_ST_bEUlT_E_NS1_11comp_targetILNS1_3genE9ELNS1_11target_archE1100ELNS1_3gpuE3ELNS1_3repE0EEENS1_30default_config_static_selectorELNS0_4arch9wavefront6targetE1EEEvT1_,@function
_ZN7rocprim17ROCPRIM_400000_NS6detail17trampoline_kernelINS0_14default_configENS1_25transform_config_selectorIlLb0EEEZNS1_14transform_implILb0ES3_S5_NS0_18transform_iteratorINS0_17counting_iteratorImlEEZNS1_24adjacent_difference_implIS3_Lb1ELb0EPlSB_ZN2at6native12_GLOBAL__N_124unique_dim_cuda_templateIbEESt5tupleIJNSC_6TensorESH_SH_EERKSH_lbbbEUlllE1_EE10hipError_tPvRmT2_T3_mT4_P12ihipStream_tbEUlmE_lEESB_NS0_8identityIvEEEESM_SP_SQ_mSR_ST_bEUlT_E_NS1_11comp_targetILNS1_3genE9ELNS1_11target_archE1100ELNS1_3gpuE3ELNS1_3repE0EEENS1_30default_config_static_selectorELNS0_4arch9wavefront6targetE1EEEvT1_: ; @_ZN7rocprim17ROCPRIM_400000_NS6detail17trampoline_kernelINS0_14default_configENS1_25transform_config_selectorIlLb0EEEZNS1_14transform_implILb0ES3_S5_NS0_18transform_iteratorINS0_17counting_iteratorImlEEZNS1_24adjacent_difference_implIS3_Lb1ELb0EPlSB_ZN2at6native12_GLOBAL__N_124unique_dim_cuda_templateIbEESt5tupleIJNSC_6TensorESH_SH_EERKSH_lbbbEUlllE1_EE10hipError_tPvRmT2_T3_mT4_P12ihipStream_tbEUlmE_lEESB_NS0_8identityIvEEEESM_SP_SQ_mSR_ST_bEUlT_E_NS1_11comp_targetILNS1_3genE9ELNS1_11target_archE1100ELNS1_3gpuE3ELNS1_3repE0EEENS1_30default_config_static_selectorELNS0_4arch9wavefront6targetE1EEEvT1_
; %bb.0:
	.section	.rodata,"a",@progbits
	.p2align	6, 0x0
	.amdhsa_kernel _ZN7rocprim17ROCPRIM_400000_NS6detail17trampoline_kernelINS0_14default_configENS1_25transform_config_selectorIlLb0EEEZNS1_14transform_implILb0ES3_S5_NS0_18transform_iteratorINS0_17counting_iteratorImlEEZNS1_24adjacent_difference_implIS3_Lb1ELb0EPlSB_ZN2at6native12_GLOBAL__N_124unique_dim_cuda_templateIbEESt5tupleIJNSC_6TensorESH_SH_EERKSH_lbbbEUlllE1_EE10hipError_tPvRmT2_T3_mT4_P12ihipStream_tbEUlmE_lEESB_NS0_8identityIvEEEESM_SP_SQ_mSR_ST_bEUlT_E_NS1_11comp_targetILNS1_3genE9ELNS1_11target_archE1100ELNS1_3gpuE3ELNS1_3repE0EEENS1_30default_config_static_selectorELNS0_4arch9wavefront6targetE1EEEvT1_
		.amdhsa_group_segment_fixed_size 0
		.amdhsa_private_segment_fixed_size 0
		.amdhsa_kernarg_size 56
		.amdhsa_user_sgpr_count 2
		.amdhsa_user_sgpr_dispatch_ptr 0
		.amdhsa_user_sgpr_queue_ptr 0
		.amdhsa_user_sgpr_kernarg_segment_ptr 1
		.amdhsa_user_sgpr_dispatch_id 0
		.amdhsa_user_sgpr_kernarg_preload_length 0
		.amdhsa_user_sgpr_kernarg_preload_offset 0
		.amdhsa_user_sgpr_private_segment_size 0
		.amdhsa_uses_dynamic_stack 0
		.amdhsa_enable_private_segment 0
		.amdhsa_system_sgpr_workgroup_id_x 1
		.amdhsa_system_sgpr_workgroup_id_y 0
		.amdhsa_system_sgpr_workgroup_id_z 0
		.amdhsa_system_sgpr_workgroup_info 0
		.amdhsa_system_vgpr_workitem_id 0
		.amdhsa_next_free_vgpr 1
		.amdhsa_next_free_sgpr 0
		.amdhsa_accum_offset 4
		.amdhsa_reserve_vcc 0
		.amdhsa_float_round_mode_32 0
		.amdhsa_float_round_mode_16_64 0
		.amdhsa_float_denorm_mode_32 3
		.amdhsa_float_denorm_mode_16_64 3
		.amdhsa_dx10_clamp 1
		.amdhsa_ieee_mode 1
		.amdhsa_fp16_overflow 0
		.amdhsa_tg_split 0
		.amdhsa_exception_fp_ieee_invalid_op 0
		.amdhsa_exception_fp_denorm_src 0
		.amdhsa_exception_fp_ieee_div_zero 0
		.amdhsa_exception_fp_ieee_overflow 0
		.amdhsa_exception_fp_ieee_underflow 0
		.amdhsa_exception_fp_ieee_inexact 0
		.amdhsa_exception_int_div_zero 0
	.end_amdhsa_kernel
	.section	.text._ZN7rocprim17ROCPRIM_400000_NS6detail17trampoline_kernelINS0_14default_configENS1_25transform_config_selectorIlLb0EEEZNS1_14transform_implILb0ES3_S5_NS0_18transform_iteratorINS0_17counting_iteratorImlEEZNS1_24adjacent_difference_implIS3_Lb1ELb0EPlSB_ZN2at6native12_GLOBAL__N_124unique_dim_cuda_templateIbEESt5tupleIJNSC_6TensorESH_SH_EERKSH_lbbbEUlllE1_EE10hipError_tPvRmT2_T3_mT4_P12ihipStream_tbEUlmE_lEESB_NS0_8identityIvEEEESM_SP_SQ_mSR_ST_bEUlT_E_NS1_11comp_targetILNS1_3genE9ELNS1_11target_archE1100ELNS1_3gpuE3ELNS1_3repE0EEENS1_30default_config_static_selectorELNS0_4arch9wavefront6targetE1EEEvT1_,"axG",@progbits,_ZN7rocprim17ROCPRIM_400000_NS6detail17trampoline_kernelINS0_14default_configENS1_25transform_config_selectorIlLb0EEEZNS1_14transform_implILb0ES3_S5_NS0_18transform_iteratorINS0_17counting_iteratorImlEEZNS1_24adjacent_difference_implIS3_Lb1ELb0EPlSB_ZN2at6native12_GLOBAL__N_124unique_dim_cuda_templateIbEESt5tupleIJNSC_6TensorESH_SH_EERKSH_lbbbEUlllE1_EE10hipError_tPvRmT2_T3_mT4_P12ihipStream_tbEUlmE_lEESB_NS0_8identityIvEEEESM_SP_SQ_mSR_ST_bEUlT_E_NS1_11comp_targetILNS1_3genE9ELNS1_11target_archE1100ELNS1_3gpuE3ELNS1_3repE0EEENS1_30default_config_static_selectorELNS0_4arch9wavefront6targetE1EEEvT1_,comdat
.Lfunc_end1041:
	.size	_ZN7rocprim17ROCPRIM_400000_NS6detail17trampoline_kernelINS0_14default_configENS1_25transform_config_selectorIlLb0EEEZNS1_14transform_implILb0ES3_S5_NS0_18transform_iteratorINS0_17counting_iteratorImlEEZNS1_24adjacent_difference_implIS3_Lb1ELb0EPlSB_ZN2at6native12_GLOBAL__N_124unique_dim_cuda_templateIbEESt5tupleIJNSC_6TensorESH_SH_EERKSH_lbbbEUlllE1_EE10hipError_tPvRmT2_T3_mT4_P12ihipStream_tbEUlmE_lEESB_NS0_8identityIvEEEESM_SP_SQ_mSR_ST_bEUlT_E_NS1_11comp_targetILNS1_3genE9ELNS1_11target_archE1100ELNS1_3gpuE3ELNS1_3repE0EEENS1_30default_config_static_selectorELNS0_4arch9wavefront6targetE1EEEvT1_, .Lfunc_end1041-_ZN7rocprim17ROCPRIM_400000_NS6detail17trampoline_kernelINS0_14default_configENS1_25transform_config_selectorIlLb0EEEZNS1_14transform_implILb0ES3_S5_NS0_18transform_iteratorINS0_17counting_iteratorImlEEZNS1_24adjacent_difference_implIS3_Lb1ELb0EPlSB_ZN2at6native12_GLOBAL__N_124unique_dim_cuda_templateIbEESt5tupleIJNSC_6TensorESH_SH_EERKSH_lbbbEUlllE1_EE10hipError_tPvRmT2_T3_mT4_P12ihipStream_tbEUlmE_lEESB_NS0_8identityIvEEEESM_SP_SQ_mSR_ST_bEUlT_E_NS1_11comp_targetILNS1_3genE9ELNS1_11target_archE1100ELNS1_3gpuE3ELNS1_3repE0EEENS1_30default_config_static_selectorELNS0_4arch9wavefront6targetE1EEEvT1_
                                        ; -- End function
	.set _ZN7rocprim17ROCPRIM_400000_NS6detail17trampoline_kernelINS0_14default_configENS1_25transform_config_selectorIlLb0EEEZNS1_14transform_implILb0ES3_S5_NS0_18transform_iteratorINS0_17counting_iteratorImlEEZNS1_24adjacent_difference_implIS3_Lb1ELb0EPlSB_ZN2at6native12_GLOBAL__N_124unique_dim_cuda_templateIbEESt5tupleIJNSC_6TensorESH_SH_EERKSH_lbbbEUlllE1_EE10hipError_tPvRmT2_T3_mT4_P12ihipStream_tbEUlmE_lEESB_NS0_8identityIvEEEESM_SP_SQ_mSR_ST_bEUlT_E_NS1_11comp_targetILNS1_3genE9ELNS1_11target_archE1100ELNS1_3gpuE3ELNS1_3repE0EEENS1_30default_config_static_selectorELNS0_4arch9wavefront6targetE1EEEvT1_.num_vgpr, 0
	.set _ZN7rocprim17ROCPRIM_400000_NS6detail17trampoline_kernelINS0_14default_configENS1_25transform_config_selectorIlLb0EEEZNS1_14transform_implILb0ES3_S5_NS0_18transform_iteratorINS0_17counting_iteratorImlEEZNS1_24adjacent_difference_implIS3_Lb1ELb0EPlSB_ZN2at6native12_GLOBAL__N_124unique_dim_cuda_templateIbEESt5tupleIJNSC_6TensorESH_SH_EERKSH_lbbbEUlllE1_EE10hipError_tPvRmT2_T3_mT4_P12ihipStream_tbEUlmE_lEESB_NS0_8identityIvEEEESM_SP_SQ_mSR_ST_bEUlT_E_NS1_11comp_targetILNS1_3genE9ELNS1_11target_archE1100ELNS1_3gpuE3ELNS1_3repE0EEENS1_30default_config_static_selectorELNS0_4arch9wavefront6targetE1EEEvT1_.num_agpr, 0
	.set _ZN7rocprim17ROCPRIM_400000_NS6detail17trampoline_kernelINS0_14default_configENS1_25transform_config_selectorIlLb0EEEZNS1_14transform_implILb0ES3_S5_NS0_18transform_iteratorINS0_17counting_iteratorImlEEZNS1_24adjacent_difference_implIS3_Lb1ELb0EPlSB_ZN2at6native12_GLOBAL__N_124unique_dim_cuda_templateIbEESt5tupleIJNSC_6TensorESH_SH_EERKSH_lbbbEUlllE1_EE10hipError_tPvRmT2_T3_mT4_P12ihipStream_tbEUlmE_lEESB_NS0_8identityIvEEEESM_SP_SQ_mSR_ST_bEUlT_E_NS1_11comp_targetILNS1_3genE9ELNS1_11target_archE1100ELNS1_3gpuE3ELNS1_3repE0EEENS1_30default_config_static_selectorELNS0_4arch9wavefront6targetE1EEEvT1_.numbered_sgpr, 0
	.set _ZN7rocprim17ROCPRIM_400000_NS6detail17trampoline_kernelINS0_14default_configENS1_25transform_config_selectorIlLb0EEEZNS1_14transform_implILb0ES3_S5_NS0_18transform_iteratorINS0_17counting_iteratorImlEEZNS1_24adjacent_difference_implIS3_Lb1ELb0EPlSB_ZN2at6native12_GLOBAL__N_124unique_dim_cuda_templateIbEESt5tupleIJNSC_6TensorESH_SH_EERKSH_lbbbEUlllE1_EE10hipError_tPvRmT2_T3_mT4_P12ihipStream_tbEUlmE_lEESB_NS0_8identityIvEEEESM_SP_SQ_mSR_ST_bEUlT_E_NS1_11comp_targetILNS1_3genE9ELNS1_11target_archE1100ELNS1_3gpuE3ELNS1_3repE0EEENS1_30default_config_static_selectorELNS0_4arch9wavefront6targetE1EEEvT1_.num_named_barrier, 0
	.set _ZN7rocprim17ROCPRIM_400000_NS6detail17trampoline_kernelINS0_14default_configENS1_25transform_config_selectorIlLb0EEEZNS1_14transform_implILb0ES3_S5_NS0_18transform_iteratorINS0_17counting_iteratorImlEEZNS1_24adjacent_difference_implIS3_Lb1ELb0EPlSB_ZN2at6native12_GLOBAL__N_124unique_dim_cuda_templateIbEESt5tupleIJNSC_6TensorESH_SH_EERKSH_lbbbEUlllE1_EE10hipError_tPvRmT2_T3_mT4_P12ihipStream_tbEUlmE_lEESB_NS0_8identityIvEEEESM_SP_SQ_mSR_ST_bEUlT_E_NS1_11comp_targetILNS1_3genE9ELNS1_11target_archE1100ELNS1_3gpuE3ELNS1_3repE0EEENS1_30default_config_static_selectorELNS0_4arch9wavefront6targetE1EEEvT1_.private_seg_size, 0
	.set _ZN7rocprim17ROCPRIM_400000_NS6detail17trampoline_kernelINS0_14default_configENS1_25transform_config_selectorIlLb0EEEZNS1_14transform_implILb0ES3_S5_NS0_18transform_iteratorINS0_17counting_iteratorImlEEZNS1_24adjacent_difference_implIS3_Lb1ELb0EPlSB_ZN2at6native12_GLOBAL__N_124unique_dim_cuda_templateIbEESt5tupleIJNSC_6TensorESH_SH_EERKSH_lbbbEUlllE1_EE10hipError_tPvRmT2_T3_mT4_P12ihipStream_tbEUlmE_lEESB_NS0_8identityIvEEEESM_SP_SQ_mSR_ST_bEUlT_E_NS1_11comp_targetILNS1_3genE9ELNS1_11target_archE1100ELNS1_3gpuE3ELNS1_3repE0EEENS1_30default_config_static_selectorELNS0_4arch9wavefront6targetE1EEEvT1_.uses_vcc, 0
	.set _ZN7rocprim17ROCPRIM_400000_NS6detail17trampoline_kernelINS0_14default_configENS1_25transform_config_selectorIlLb0EEEZNS1_14transform_implILb0ES3_S5_NS0_18transform_iteratorINS0_17counting_iteratorImlEEZNS1_24adjacent_difference_implIS3_Lb1ELb0EPlSB_ZN2at6native12_GLOBAL__N_124unique_dim_cuda_templateIbEESt5tupleIJNSC_6TensorESH_SH_EERKSH_lbbbEUlllE1_EE10hipError_tPvRmT2_T3_mT4_P12ihipStream_tbEUlmE_lEESB_NS0_8identityIvEEEESM_SP_SQ_mSR_ST_bEUlT_E_NS1_11comp_targetILNS1_3genE9ELNS1_11target_archE1100ELNS1_3gpuE3ELNS1_3repE0EEENS1_30default_config_static_selectorELNS0_4arch9wavefront6targetE1EEEvT1_.uses_flat_scratch, 0
	.set _ZN7rocprim17ROCPRIM_400000_NS6detail17trampoline_kernelINS0_14default_configENS1_25transform_config_selectorIlLb0EEEZNS1_14transform_implILb0ES3_S5_NS0_18transform_iteratorINS0_17counting_iteratorImlEEZNS1_24adjacent_difference_implIS3_Lb1ELb0EPlSB_ZN2at6native12_GLOBAL__N_124unique_dim_cuda_templateIbEESt5tupleIJNSC_6TensorESH_SH_EERKSH_lbbbEUlllE1_EE10hipError_tPvRmT2_T3_mT4_P12ihipStream_tbEUlmE_lEESB_NS0_8identityIvEEEESM_SP_SQ_mSR_ST_bEUlT_E_NS1_11comp_targetILNS1_3genE9ELNS1_11target_archE1100ELNS1_3gpuE3ELNS1_3repE0EEENS1_30default_config_static_selectorELNS0_4arch9wavefront6targetE1EEEvT1_.has_dyn_sized_stack, 0
	.set _ZN7rocprim17ROCPRIM_400000_NS6detail17trampoline_kernelINS0_14default_configENS1_25transform_config_selectorIlLb0EEEZNS1_14transform_implILb0ES3_S5_NS0_18transform_iteratorINS0_17counting_iteratorImlEEZNS1_24adjacent_difference_implIS3_Lb1ELb0EPlSB_ZN2at6native12_GLOBAL__N_124unique_dim_cuda_templateIbEESt5tupleIJNSC_6TensorESH_SH_EERKSH_lbbbEUlllE1_EE10hipError_tPvRmT2_T3_mT4_P12ihipStream_tbEUlmE_lEESB_NS0_8identityIvEEEESM_SP_SQ_mSR_ST_bEUlT_E_NS1_11comp_targetILNS1_3genE9ELNS1_11target_archE1100ELNS1_3gpuE3ELNS1_3repE0EEENS1_30default_config_static_selectorELNS0_4arch9wavefront6targetE1EEEvT1_.has_recursion, 0
	.set _ZN7rocprim17ROCPRIM_400000_NS6detail17trampoline_kernelINS0_14default_configENS1_25transform_config_selectorIlLb0EEEZNS1_14transform_implILb0ES3_S5_NS0_18transform_iteratorINS0_17counting_iteratorImlEEZNS1_24adjacent_difference_implIS3_Lb1ELb0EPlSB_ZN2at6native12_GLOBAL__N_124unique_dim_cuda_templateIbEESt5tupleIJNSC_6TensorESH_SH_EERKSH_lbbbEUlllE1_EE10hipError_tPvRmT2_T3_mT4_P12ihipStream_tbEUlmE_lEESB_NS0_8identityIvEEEESM_SP_SQ_mSR_ST_bEUlT_E_NS1_11comp_targetILNS1_3genE9ELNS1_11target_archE1100ELNS1_3gpuE3ELNS1_3repE0EEENS1_30default_config_static_selectorELNS0_4arch9wavefront6targetE1EEEvT1_.has_indirect_call, 0
	.section	.AMDGPU.csdata,"",@progbits
; Kernel info:
; codeLenInByte = 0
; TotalNumSgprs: 6
; NumVgprs: 0
; NumAgprs: 0
; TotalNumVgprs: 0
; ScratchSize: 0
; MemoryBound: 0
; FloatMode: 240
; IeeeMode: 1
; LDSByteSize: 0 bytes/workgroup (compile time only)
; SGPRBlocks: 0
; VGPRBlocks: 0
; NumSGPRsForWavesPerEU: 6
; NumVGPRsForWavesPerEU: 1
; AccumOffset: 4
; Occupancy: 8
; WaveLimiterHint : 0
; COMPUTE_PGM_RSRC2:SCRATCH_EN: 0
; COMPUTE_PGM_RSRC2:USER_SGPR: 2
; COMPUTE_PGM_RSRC2:TRAP_HANDLER: 0
; COMPUTE_PGM_RSRC2:TGID_X_EN: 1
; COMPUTE_PGM_RSRC2:TGID_Y_EN: 0
; COMPUTE_PGM_RSRC2:TGID_Z_EN: 0
; COMPUTE_PGM_RSRC2:TIDIG_COMP_CNT: 0
; COMPUTE_PGM_RSRC3_GFX90A:ACCUM_OFFSET: 0
; COMPUTE_PGM_RSRC3_GFX90A:TG_SPLIT: 0
	.section	.text._ZN7rocprim17ROCPRIM_400000_NS6detail17trampoline_kernelINS0_14default_configENS1_25transform_config_selectorIlLb0EEEZNS1_14transform_implILb0ES3_S5_NS0_18transform_iteratorINS0_17counting_iteratorImlEEZNS1_24adjacent_difference_implIS3_Lb1ELb0EPlSB_ZN2at6native12_GLOBAL__N_124unique_dim_cuda_templateIbEESt5tupleIJNSC_6TensorESH_SH_EERKSH_lbbbEUlllE1_EE10hipError_tPvRmT2_T3_mT4_P12ihipStream_tbEUlmE_lEESB_NS0_8identityIvEEEESM_SP_SQ_mSR_ST_bEUlT_E_NS1_11comp_targetILNS1_3genE8ELNS1_11target_archE1030ELNS1_3gpuE2ELNS1_3repE0EEENS1_30default_config_static_selectorELNS0_4arch9wavefront6targetE1EEEvT1_,"axG",@progbits,_ZN7rocprim17ROCPRIM_400000_NS6detail17trampoline_kernelINS0_14default_configENS1_25transform_config_selectorIlLb0EEEZNS1_14transform_implILb0ES3_S5_NS0_18transform_iteratorINS0_17counting_iteratorImlEEZNS1_24adjacent_difference_implIS3_Lb1ELb0EPlSB_ZN2at6native12_GLOBAL__N_124unique_dim_cuda_templateIbEESt5tupleIJNSC_6TensorESH_SH_EERKSH_lbbbEUlllE1_EE10hipError_tPvRmT2_T3_mT4_P12ihipStream_tbEUlmE_lEESB_NS0_8identityIvEEEESM_SP_SQ_mSR_ST_bEUlT_E_NS1_11comp_targetILNS1_3genE8ELNS1_11target_archE1030ELNS1_3gpuE2ELNS1_3repE0EEENS1_30default_config_static_selectorELNS0_4arch9wavefront6targetE1EEEvT1_,comdat
	.globl	_ZN7rocprim17ROCPRIM_400000_NS6detail17trampoline_kernelINS0_14default_configENS1_25transform_config_selectorIlLb0EEEZNS1_14transform_implILb0ES3_S5_NS0_18transform_iteratorINS0_17counting_iteratorImlEEZNS1_24adjacent_difference_implIS3_Lb1ELb0EPlSB_ZN2at6native12_GLOBAL__N_124unique_dim_cuda_templateIbEESt5tupleIJNSC_6TensorESH_SH_EERKSH_lbbbEUlllE1_EE10hipError_tPvRmT2_T3_mT4_P12ihipStream_tbEUlmE_lEESB_NS0_8identityIvEEEESM_SP_SQ_mSR_ST_bEUlT_E_NS1_11comp_targetILNS1_3genE8ELNS1_11target_archE1030ELNS1_3gpuE2ELNS1_3repE0EEENS1_30default_config_static_selectorELNS0_4arch9wavefront6targetE1EEEvT1_ ; -- Begin function _ZN7rocprim17ROCPRIM_400000_NS6detail17trampoline_kernelINS0_14default_configENS1_25transform_config_selectorIlLb0EEEZNS1_14transform_implILb0ES3_S5_NS0_18transform_iteratorINS0_17counting_iteratorImlEEZNS1_24adjacent_difference_implIS3_Lb1ELb0EPlSB_ZN2at6native12_GLOBAL__N_124unique_dim_cuda_templateIbEESt5tupleIJNSC_6TensorESH_SH_EERKSH_lbbbEUlllE1_EE10hipError_tPvRmT2_T3_mT4_P12ihipStream_tbEUlmE_lEESB_NS0_8identityIvEEEESM_SP_SQ_mSR_ST_bEUlT_E_NS1_11comp_targetILNS1_3genE8ELNS1_11target_archE1030ELNS1_3gpuE2ELNS1_3repE0EEENS1_30default_config_static_selectorELNS0_4arch9wavefront6targetE1EEEvT1_
	.p2align	8
	.type	_ZN7rocprim17ROCPRIM_400000_NS6detail17trampoline_kernelINS0_14default_configENS1_25transform_config_selectorIlLb0EEEZNS1_14transform_implILb0ES3_S5_NS0_18transform_iteratorINS0_17counting_iteratorImlEEZNS1_24adjacent_difference_implIS3_Lb1ELb0EPlSB_ZN2at6native12_GLOBAL__N_124unique_dim_cuda_templateIbEESt5tupleIJNSC_6TensorESH_SH_EERKSH_lbbbEUlllE1_EE10hipError_tPvRmT2_T3_mT4_P12ihipStream_tbEUlmE_lEESB_NS0_8identityIvEEEESM_SP_SQ_mSR_ST_bEUlT_E_NS1_11comp_targetILNS1_3genE8ELNS1_11target_archE1030ELNS1_3gpuE2ELNS1_3repE0EEENS1_30default_config_static_selectorELNS0_4arch9wavefront6targetE1EEEvT1_,@function
_ZN7rocprim17ROCPRIM_400000_NS6detail17trampoline_kernelINS0_14default_configENS1_25transform_config_selectorIlLb0EEEZNS1_14transform_implILb0ES3_S5_NS0_18transform_iteratorINS0_17counting_iteratorImlEEZNS1_24adjacent_difference_implIS3_Lb1ELb0EPlSB_ZN2at6native12_GLOBAL__N_124unique_dim_cuda_templateIbEESt5tupleIJNSC_6TensorESH_SH_EERKSH_lbbbEUlllE1_EE10hipError_tPvRmT2_T3_mT4_P12ihipStream_tbEUlmE_lEESB_NS0_8identityIvEEEESM_SP_SQ_mSR_ST_bEUlT_E_NS1_11comp_targetILNS1_3genE8ELNS1_11target_archE1030ELNS1_3gpuE2ELNS1_3repE0EEENS1_30default_config_static_selectorELNS0_4arch9wavefront6targetE1EEEvT1_: ; @_ZN7rocprim17ROCPRIM_400000_NS6detail17trampoline_kernelINS0_14default_configENS1_25transform_config_selectorIlLb0EEEZNS1_14transform_implILb0ES3_S5_NS0_18transform_iteratorINS0_17counting_iteratorImlEEZNS1_24adjacent_difference_implIS3_Lb1ELb0EPlSB_ZN2at6native12_GLOBAL__N_124unique_dim_cuda_templateIbEESt5tupleIJNSC_6TensorESH_SH_EERKSH_lbbbEUlllE1_EE10hipError_tPvRmT2_T3_mT4_P12ihipStream_tbEUlmE_lEESB_NS0_8identityIvEEEESM_SP_SQ_mSR_ST_bEUlT_E_NS1_11comp_targetILNS1_3genE8ELNS1_11target_archE1030ELNS1_3gpuE2ELNS1_3repE0EEENS1_30default_config_static_selectorELNS0_4arch9wavefront6targetE1EEEvT1_
; %bb.0:
	.section	.rodata,"a",@progbits
	.p2align	6, 0x0
	.amdhsa_kernel _ZN7rocprim17ROCPRIM_400000_NS6detail17trampoline_kernelINS0_14default_configENS1_25transform_config_selectorIlLb0EEEZNS1_14transform_implILb0ES3_S5_NS0_18transform_iteratorINS0_17counting_iteratorImlEEZNS1_24adjacent_difference_implIS3_Lb1ELb0EPlSB_ZN2at6native12_GLOBAL__N_124unique_dim_cuda_templateIbEESt5tupleIJNSC_6TensorESH_SH_EERKSH_lbbbEUlllE1_EE10hipError_tPvRmT2_T3_mT4_P12ihipStream_tbEUlmE_lEESB_NS0_8identityIvEEEESM_SP_SQ_mSR_ST_bEUlT_E_NS1_11comp_targetILNS1_3genE8ELNS1_11target_archE1030ELNS1_3gpuE2ELNS1_3repE0EEENS1_30default_config_static_selectorELNS0_4arch9wavefront6targetE1EEEvT1_
		.amdhsa_group_segment_fixed_size 0
		.amdhsa_private_segment_fixed_size 0
		.amdhsa_kernarg_size 56
		.amdhsa_user_sgpr_count 2
		.amdhsa_user_sgpr_dispatch_ptr 0
		.amdhsa_user_sgpr_queue_ptr 0
		.amdhsa_user_sgpr_kernarg_segment_ptr 1
		.amdhsa_user_sgpr_dispatch_id 0
		.amdhsa_user_sgpr_kernarg_preload_length 0
		.amdhsa_user_sgpr_kernarg_preload_offset 0
		.amdhsa_user_sgpr_private_segment_size 0
		.amdhsa_uses_dynamic_stack 0
		.amdhsa_enable_private_segment 0
		.amdhsa_system_sgpr_workgroup_id_x 1
		.amdhsa_system_sgpr_workgroup_id_y 0
		.amdhsa_system_sgpr_workgroup_id_z 0
		.amdhsa_system_sgpr_workgroup_info 0
		.amdhsa_system_vgpr_workitem_id 0
		.amdhsa_next_free_vgpr 1
		.amdhsa_next_free_sgpr 0
		.amdhsa_accum_offset 4
		.amdhsa_reserve_vcc 0
		.amdhsa_float_round_mode_32 0
		.amdhsa_float_round_mode_16_64 0
		.amdhsa_float_denorm_mode_32 3
		.amdhsa_float_denorm_mode_16_64 3
		.amdhsa_dx10_clamp 1
		.amdhsa_ieee_mode 1
		.amdhsa_fp16_overflow 0
		.amdhsa_tg_split 0
		.amdhsa_exception_fp_ieee_invalid_op 0
		.amdhsa_exception_fp_denorm_src 0
		.amdhsa_exception_fp_ieee_div_zero 0
		.amdhsa_exception_fp_ieee_overflow 0
		.amdhsa_exception_fp_ieee_underflow 0
		.amdhsa_exception_fp_ieee_inexact 0
		.amdhsa_exception_int_div_zero 0
	.end_amdhsa_kernel
	.section	.text._ZN7rocprim17ROCPRIM_400000_NS6detail17trampoline_kernelINS0_14default_configENS1_25transform_config_selectorIlLb0EEEZNS1_14transform_implILb0ES3_S5_NS0_18transform_iteratorINS0_17counting_iteratorImlEEZNS1_24adjacent_difference_implIS3_Lb1ELb0EPlSB_ZN2at6native12_GLOBAL__N_124unique_dim_cuda_templateIbEESt5tupleIJNSC_6TensorESH_SH_EERKSH_lbbbEUlllE1_EE10hipError_tPvRmT2_T3_mT4_P12ihipStream_tbEUlmE_lEESB_NS0_8identityIvEEEESM_SP_SQ_mSR_ST_bEUlT_E_NS1_11comp_targetILNS1_3genE8ELNS1_11target_archE1030ELNS1_3gpuE2ELNS1_3repE0EEENS1_30default_config_static_selectorELNS0_4arch9wavefront6targetE1EEEvT1_,"axG",@progbits,_ZN7rocprim17ROCPRIM_400000_NS6detail17trampoline_kernelINS0_14default_configENS1_25transform_config_selectorIlLb0EEEZNS1_14transform_implILb0ES3_S5_NS0_18transform_iteratorINS0_17counting_iteratorImlEEZNS1_24adjacent_difference_implIS3_Lb1ELb0EPlSB_ZN2at6native12_GLOBAL__N_124unique_dim_cuda_templateIbEESt5tupleIJNSC_6TensorESH_SH_EERKSH_lbbbEUlllE1_EE10hipError_tPvRmT2_T3_mT4_P12ihipStream_tbEUlmE_lEESB_NS0_8identityIvEEEESM_SP_SQ_mSR_ST_bEUlT_E_NS1_11comp_targetILNS1_3genE8ELNS1_11target_archE1030ELNS1_3gpuE2ELNS1_3repE0EEENS1_30default_config_static_selectorELNS0_4arch9wavefront6targetE1EEEvT1_,comdat
.Lfunc_end1042:
	.size	_ZN7rocprim17ROCPRIM_400000_NS6detail17trampoline_kernelINS0_14default_configENS1_25transform_config_selectorIlLb0EEEZNS1_14transform_implILb0ES3_S5_NS0_18transform_iteratorINS0_17counting_iteratorImlEEZNS1_24adjacent_difference_implIS3_Lb1ELb0EPlSB_ZN2at6native12_GLOBAL__N_124unique_dim_cuda_templateIbEESt5tupleIJNSC_6TensorESH_SH_EERKSH_lbbbEUlllE1_EE10hipError_tPvRmT2_T3_mT4_P12ihipStream_tbEUlmE_lEESB_NS0_8identityIvEEEESM_SP_SQ_mSR_ST_bEUlT_E_NS1_11comp_targetILNS1_3genE8ELNS1_11target_archE1030ELNS1_3gpuE2ELNS1_3repE0EEENS1_30default_config_static_selectorELNS0_4arch9wavefront6targetE1EEEvT1_, .Lfunc_end1042-_ZN7rocprim17ROCPRIM_400000_NS6detail17trampoline_kernelINS0_14default_configENS1_25transform_config_selectorIlLb0EEEZNS1_14transform_implILb0ES3_S5_NS0_18transform_iteratorINS0_17counting_iteratorImlEEZNS1_24adjacent_difference_implIS3_Lb1ELb0EPlSB_ZN2at6native12_GLOBAL__N_124unique_dim_cuda_templateIbEESt5tupleIJNSC_6TensorESH_SH_EERKSH_lbbbEUlllE1_EE10hipError_tPvRmT2_T3_mT4_P12ihipStream_tbEUlmE_lEESB_NS0_8identityIvEEEESM_SP_SQ_mSR_ST_bEUlT_E_NS1_11comp_targetILNS1_3genE8ELNS1_11target_archE1030ELNS1_3gpuE2ELNS1_3repE0EEENS1_30default_config_static_selectorELNS0_4arch9wavefront6targetE1EEEvT1_
                                        ; -- End function
	.set _ZN7rocprim17ROCPRIM_400000_NS6detail17trampoline_kernelINS0_14default_configENS1_25transform_config_selectorIlLb0EEEZNS1_14transform_implILb0ES3_S5_NS0_18transform_iteratorINS0_17counting_iteratorImlEEZNS1_24adjacent_difference_implIS3_Lb1ELb0EPlSB_ZN2at6native12_GLOBAL__N_124unique_dim_cuda_templateIbEESt5tupleIJNSC_6TensorESH_SH_EERKSH_lbbbEUlllE1_EE10hipError_tPvRmT2_T3_mT4_P12ihipStream_tbEUlmE_lEESB_NS0_8identityIvEEEESM_SP_SQ_mSR_ST_bEUlT_E_NS1_11comp_targetILNS1_3genE8ELNS1_11target_archE1030ELNS1_3gpuE2ELNS1_3repE0EEENS1_30default_config_static_selectorELNS0_4arch9wavefront6targetE1EEEvT1_.num_vgpr, 0
	.set _ZN7rocprim17ROCPRIM_400000_NS6detail17trampoline_kernelINS0_14default_configENS1_25transform_config_selectorIlLb0EEEZNS1_14transform_implILb0ES3_S5_NS0_18transform_iteratorINS0_17counting_iteratorImlEEZNS1_24adjacent_difference_implIS3_Lb1ELb0EPlSB_ZN2at6native12_GLOBAL__N_124unique_dim_cuda_templateIbEESt5tupleIJNSC_6TensorESH_SH_EERKSH_lbbbEUlllE1_EE10hipError_tPvRmT2_T3_mT4_P12ihipStream_tbEUlmE_lEESB_NS0_8identityIvEEEESM_SP_SQ_mSR_ST_bEUlT_E_NS1_11comp_targetILNS1_3genE8ELNS1_11target_archE1030ELNS1_3gpuE2ELNS1_3repE0EEENS1_30default_config_static_selectorELNS0_4arch9wavefront6targetE1EEEvT1_.num_agpr, 0
	.set _ZN7rocprim17ROCPRIM_400000_NS6detail17trampoline_kernelINS0_14default_configENS1_25transform_config_selectorIlLb0EEEZNS1_14transform_implILb0ES3_S5_NS0_18transform_iteratorINS0_17counting_iteratorImlEEZNS1_24adjacent_difference_implIS3_Lb1ELb0EPlSB_ZN2at6native12_GLOBAL__N_124unique_dim_cuda_templateIbEESt5tupleIJNSC_6TensorESH_SH_EERKSH_lbbbEUlllE1_EE10hipError_tPvRmT2_T3_mT4_P12ihipStream_tbEUlmE_lEESB_NS0_8identityIvEEEESM_SP_SQ_mSR_ST_bEUlT_E_NS1_11comp_targetILNS1_3genE8ELNS1_11target_archE1030ELNS1_3gpuE2ELNS1_3repE0EEENS1_30default_config_static_selectorELNS0_4arch9wavefront6targetE1EEEvT1_.numbered_sgpr, 0
	.set _ZN7rocprim17ROCPRIM_400000_NS6detail17trampoline_kernelINS0_14default_configENS1_25transform_config_selectorIlLb0EEEZNS1_14transform_implILb0ES3_S5_NS0_18transform_iteratorINS0_17counting_iteratorImlEEZNS1_24adjacent_difference_implIS3_Lb1ELb0EPlSB_ZN2at6native12_GLOBAL__N_124unique_dim_cuda_templateIbEESt5tupleIJNSC_6TensorESH_SH_EERKSH_lbbbEUlllE1_EE10hipError_tPvRmT2_T3_mT4_P12ihipStream_tbEUlmE_lEESB_NS0_8identityIvEEEESM_SP_SQ_mSR_ST_bEUlT_E_NS1_11comp_targetILNS1_3genE8ELNS1_11target_archE1030ELNS1_3gpuE2ELNS1_3repE0EEENS1_30default_config_static_selectorELNS0_4arch9wavefront6targetE1EEEvT1_.num_named_barrier, 0
	.set _ZN7rocprim17ROCPRIM_400000_NS6detail17trampoline_kernelINS0_14default_configENS1_25transform_config_selectorIlLb0EEEZNS1_14transform_implILb0ES3_S5_NS0_18transform_iteratorINS0_17counting_iteratorImlEEZNS1_24adjacent_difference_implIS3_Lb1ELb0EPlSB_ZN2at6native12_GLOBAL__N_124unique_dim_cuda_templateIbEESt5tupleIJNSC_6TensorESH_SH_EERKSH_lbbbEUlllE1_EE10hipError_tPvRmT2_T3_mT4_P12ihipStream_tbEUlmE_lEESB_NS0_8identityIvEEEESM_SP_SQ_mSR_ST_bEUlT_E_NS1_11comp_targetILNS1_3genE8ELNS1_11target_archE1030ELNS1_3gpuE2ELNS1_3repE0EEENS1_30default_config_static_selectorELNS0_4arch9wavefront6targetE1EEEvT1_.private_seg_size, 0
	.set _ZN7rocprim17ROCPRIM_400000_NS6detail17trampoline_kernelINS0_14default_configENS1_25transform_config_selectorIlLb0EEEZNS1_14transform_implILb0ES3_S5_NS0_18transform_iteratorINS0_17counting_iteratorImlEEZNS1_24adjacent_difference_implIS3_Lb1ELb0EPlSB_ZN2at6native12_GLOBAL__N_124unique_dim_cuda_templateIbEESt5tupleIJNSC_6TensorESH_SH_EERKSH_lbbbEUlllE1_EE10hipError_tPvRmT2_T3_mT4_P12ihipStream_tbEUlmE_lEESB_NS0_8identityIvEEEESM_SP_SQ_mSR_ST_bEUlT_E_NS1_11comp_targetILNS1_3genE8ELNS1_11target_archE1030ELNS1_3gpuE2ELNS1_3repE0EEENS1_30default_config_static_selectorELNS0_4arch9wavefront6targetE1EEEvT1_.uses_vcc, 0
	.set _ZN7rocprim17ROCPRIM_400000_NS6detail17trampoline_kernelINS0_14default_configENS1_25transform_config_selectorIlLb0EEEZNS1_14transform_implILb0ES3_S5_NS0_18transform_iteratorINS0_17counting_iteratorImlEEZNS1_24adjacent_difference_implIS3_Lb1ELb0EPlSB_ZN2at6native12_GLOBAL__N_124unique_dim_cuda_templateIbEESt5tupleIJNSC_6TensorESH_SH_EERKSH_lbbbEUlllE1_EE10hipError_tPvRmT2_T3_mT4_P12ihipStream_tbEUlmE_lEESB_NS0_8identityIvEEEESM_SP_SQ_mSR_ST_bEUlT_E_NS1_11comp_targetILNS1_3genE8ELNS1_11target_archE1030ELNS1_3gpuE2ELNS1_3repE0EEENS1_30default_config_static_selectorELNS0_4arch9wavefront6targetE1EEEvT1_.uses_flat_scratch, 0
	.set _ZN7rocprim17ROCPRIM_400000_NS6detail17trampoline_kernelINS0_14default_configENS1_25transform_config_selectorIlLb0EEEZNS1_14transform_implILb0ES3_S5_NS0_18transform_iteratorINS0_17counting_iteratorImlEEZNS1_24adjacent_difference_implIS3_Lb1ELb0EPlSB_ZN2at6native12_GLOBAL__N_124unique_dim_cuda_templateIbEESt5tupleIJNSC_6TensorESH_SH_EERKSH_lbbbEUlllE1_EE10hipError_tPvRmT2_T3_mT4_P12ihipStream_tbEUlmE_lEESB_NS0_8identityIvEEEESM_SP_SQ_mSR_ST_bEUlT_E_NS1_11comp_targetILNS1_3genE8ELNS1_11target_archE1030ELNS1_3gpuE2ELNS1_3repE0EEENS1_30default_config_static_selectorELNS0_4arch9wavefront6targetE1EEEvT1_.has_dyn_sized_stack, 0
	.set _ZN7rocprim17ROCPRIM_400000_NS6detail17trampoline_kernelINS0_14default_configENS1_25transform_config_selectorIlLb0EEEZNS1_14transform_implILb0ES3_S5_NS0_18transform_iteratorINS0_17counting_iteratorImlEEZNS1_24adjacent_difference_implIS3_Lb1ELb0EPlSB_ZN2at6native12_GLOBAL__N_124unique_dim_cuda_templateIbEESt5tupleIJNSC_6TensorESH_SH_EERKSH_lbbbEUlllE1_EE10hipError_tPvRmT2_T3_mT4_P12ihipStream_tbEUlmE_lEESB_NS0_8identityIvEEEESM_SP_SQ_mSR_ST_bEUlT_E_NS1_11comp_targetILNS1_3genE8ELNS1_11target_archE1030ELNS1_3gpuE2ELNS1_3repE0EEENS1_30default_config_static_selectorELNS0_4arch9wavefront6targetE1EEEvT1_.has_recursion, 0
	.set _ZN7rocprim17ROCPRIM_400000_NS6detail17trampoline_kernelINS0_14default_configENS1_25transform_config_selectorIlLb0EEEZNS1_14transform_implILb0ES3_S5_NS0_18transform_iteratorINS0_17counting_iteratorImlEEZNS1_24adjacent_difference_implIS3_Lb1ELb0EPlSB_ZN2at6native12_GLOBAL__N_124unique_dim_cuda_templateIbEESt5tupleIJNSC_6TensorESH_SH_EERKSH_lbbbEUlllE1_EE10hipError_tPvRmT2_T3_mT4_P12ihipStream_tbEUlmE_lEESB_NS0_8identityIvEEEESM_SP_SQ_mSR_ST_bEUlT_E_NS1_11comp_targetILNS1_3genE8ELNS1_11target_archE1030ELNS1_3gpuE2ELNS1_3repE0EEENS1_30default_config_static_selectorELNS0_4arch9wavefront6targetE1EEEvT1_.has_indirect_call, 0
	.section	.AMDGPU.csdata,"",@progbits
; Kernel info:
; codeLenInByte = 0
; TotalNumSgprs: 6
; NumVgprs: 0
; NumAgprs: 0
; TotalNumVgprs: 0
; ScratchSize: 0
; MemoryBound: 0
; FloatMode: 240
; IeeeMode: 1
; LDSByteSize: 0 bytes/workgroup (compile time only)
; SGPRBlocks: 0
; VGPRBlocks: 0
; NumSGPRsForWavesPerEU: 6
; NumVGPRsForWavesPerEU: 1
; AccumOffset: 4
; Occupancy: 8
; WaveLimiterHint : 0
; COMPUTE_PGM_RSRC2:SCRATCH_EN: 0
; COMPUTE_PGM_RSRC2:USER_SGPR: 2
; COMPUTE_PGM_RSRC2:TRAP_HANDLER: 0
; COMPUTE_PGM_RSRC2:TGID_X_EN: 1
; COMPUTE_PGM_RSRC2:TGID_Y_EN: 0
; COMPUTE_PGM_RSRC2:TGID_Z_EN: 0
; COMPUTE_PGM_RSRC2:TIDIG_COMP_CNT: 0
; COMPUTE_PGM_RSRC3_GFX90A:ACCUM_OFFSET: 0
; COMPUTE_PGM_RSRC3_GFX90A:TG_SPLIT: 0
	.section	.text._ZN7rocprim17ROCPRIM_400000_NS6detail17trampoline_kernelINS0_14default_configENS1_35adjacent_difference_config_selectorILb1ElEEZNS1_24adjacent_difference_implIS3_Lb1ELb0EPlS7_ZN2at6native12_GLOBAL__N_124unique_dim_cuda_templateIbEESt5tupleIJNS8_6TensorESD_SD_EERKSD_lbbbEUlllE1_EE10hipError_tPvRmT2_T3_mT4_P12ihipStream_tbEUlT_E_NS1_11comp_targetILNS1_3genE0ELNS1_11target_archE4294967295ELNS1_3gpuE0ELNS1_3repE0EEENS1_30default_config_static_selectorELNS0_4arch9wavefront6targetE1EEEvT1_,"axG",@progbits,_ZN7rocprim17ROCPRIM_400000_NS6detail17trampoline_kernelINS0_14default_configENS1_35adjacent_difference_config_selectorILb1ElEEZNS1_24adjacent_difference_implIS3_Lb1ELb0EPlS7_ZN2at6native12_GLOBAL__N_124unique_dim_cuda_templateIbEESt5tupleIJNS8_6TensorESD_SD_EERKSD_lbbbEUlllE1_EE10hipError_tPvRmT2_T3_mT4_P12ihipStream_tbEUlT_E_NS1_11comp_targetILNS1_3genE0ELNS1_11target_archE4294967295ELNS1_3gpuE0ELNS1_3repE0EEENS1_30default_config_static_selectorELNS0_4arch9wavefront6targetE1EEEvT1_,comdat
	.globl	_ZN7rocprim17ROCPRIM_400000_NS6detail17trampoline_kernelINS0_14default_configENS1_35adjacent_difference_config_selectorILb1ElEEZNS1_24adjacent_difference_implIS3_Lb1ELb0EPlS7_ZN2at6native12_GLOBAL__N_124unique_dim_cuda_templateIbEESt5tupleIJNS8_6TensorESD_SD_EERKSD_lbbbEUlllE1_EE10hipError_tPvRmT2_T3_mT4_P12ihipStream_tbEUlT_E_NS1_11comp_targetILNS1_3genE0ELNS1_11target_archE4294967295ELNS1_3gpuE0ELNS1_3repE0EEENS1_30default_config_static_selectorELNS0_4arch9wavefront6targetE1EEEvT1_ ; -- Begin function _ZN7rocprim17ROCPRIM_400000_NS6detail17trampoline_kernelINS0_14default_configENS1_35adjacent_difference_config_selectorILb1ElEEZNS1_24adjacent_difference_implIS3_Lb1ELb0EPlS7_ZN2at6native12_GLOBAL__N_124unique_dim_cuda_templateIbEESt5tupleIJNS8_6TensorESD_SD_EERKSD_lbbbEUlllE1_EE10hipError_tPvRmT2_T3_mT4_P12ihipStream_tbEUlT_E_NS1_11comp_targetILNS1_3genE0ELNS1_11target_archE4294967295ELNS1_3gpuE0ELNS1_3repE0EEENS1_30default_config_static_selectorELNS0_4arch9wavefront6targetE1EEEvT1_
	.p2align	8
	.type	_ZN7rocprim17ROCPRIM_400000_NS6detail17trampoline_kernelINS0_14default_configENS1_35adjacent_difference_config_selectorILb1ElEEZNS1_24adjacent_difference_implIS3_Lb1ELb0EPlS7_ZN2at6native12_GLOBAL__N_124unique_dim_cuda_templateIbEESt5tupleIJNS8_6TensorESD_SD_EERKSD_lbbbEUlllE1_EE10hipError_tPvRmT2_T3_mT4_P12ihipStream_tbEUlT_E_NS1_11comp_targetILNS1_3genE0ELNS1_11target_archE4294967295ELNS1_3gpuE0ELNS1_3repE0EEENS1_30default_config_static_selectorELNS0_4arch9wavefront6targetE1EEEvT1_,@function
_ZN7rocprim17ROCPRIM_400000_NS6detail17trampoline_kernelINS0_14default_configENS1_35adjacent_difference_config_selectorILb1ElEEZNS1_24adjacent_difference_implIS3_Lb1ELb0EPlS7_ZN2at6native12_GLOBAL__N_124unique_dim_cuda_templateIbEESt5tupleIJNS8_6TensorESD_SD_EERKSD_lbbbEUlllE1_EE10hipError_tPvRmT2_T3_mT4_P12ihipStream_tbEUlT_E_NS1_11comp_targetILNS1_3genE0ELNS1_11target_archE4294967295ELNS1_3gpuE0ELNS1_3repE0EEENS1_30default_config_static_selectorELNS0_4arch9wavefront6targetE1EEEvT1_: ; @_ZN7rocprim17ROCPRIM_400000_NS6detail17trampoline_kernelINS0_14default_configENS1_35adjacent_difference_config_selectorILb1ElEEZNS1_24adjacent_difference_implIS3_Lb1ELb0EPlS7_ZN2at6native12_GLOBAL__N_124unique_dim_cuda_templateIbEESt5tupleIJNS8_6TensorESD_SD_EERKSD_lbbbEUlllE1_EE10hipError_tPvRmT2_T3_mT4_P12ihipStream_tbEUlT_E_NS1_11comp_targetILNS1_3genE0ELNS1_11target_archE4294967295ELNS1_3gpuE0ELNS1_3repE0EEENS1_30default_config_static_selectorELNS0_4arch9wavefront6targetE1EEEvT1_
; %bb.0:
	s_load_dwordx16 s[4:19], s[0:1], 0x0
	s_mov_b32 s27, 0
	s_waitcnt lgkmcnt(0)
	s_lshl_b64 s[6:7], s[6:7], 3
	s_add_u32 s30, s4, s6
	s_addc_u32 s31, s5, s7
	s_lshl_b32 s4, s2, 10
	s_lshr_b64 s[0:1], s[10:11], 10
	s_and_b32 s26, s10, 0x3ff
	s_cmp_lg_u64 s[26:27], 0
	s_cselect_b64 s[20:21], -1, 0
	v_cndmask_b32_e64 v1, 0, 1, s[20:21]
	s_mov_b32 s26, s2
	v_readfirstlane_b32 s3, v1
	s_add_u32 s22, s0, s3
	s_addc_u32 s23, s1, 0
	s_add_u32 s24, s18, s2
	s_addc_u32 s25, s19, 0
	s_add_u32 s20, s22, -1
	s_addc_u32 s21, s23, -1
	v_mov_b64_e32 v[2:3], s[20:21]
	v_cmp_ge_u64_e64 s[0:1], s[24:25], v[2:3]
	s_mov_b64 s[2:3], -1
	s_and_b64 vcc, exec, s[0:1]
	s_cbranch_vccz .LBB1043_6
; %bb.1:
	s_lshl_b32 s2, s20, 10
	s_mov_b32 s5, s27
	s_sub_i32 s11, s10, s2
	s_lshl_b64 s[2:3], s[4:5], 3
	s_add_u32 s2, s30, s2
	v_mov_b32_e32 v2, 0
	s_addc_u32 s3, s31, s3
	v_cmp_gt_u32_e32 vcc, s11, v0
	v_mov_b32_e32 v3, v2
	v_mov_b32_e32 v4, v2
	;; [unrolled: 1-line block ×3, first 2 shown]
	s_and_saveexec_b64 s[28:29], vcc
	s_cbranch_execz .LBB1043_3
; %bb.2:
	v_lshlrev_b32_e32 v1, 3, v0
	global_load_dwordx2 v[4:5], v1, s[2:3]
	v_mov_b32_e32 v6, v2
	v_mov_b32_e32 v7, v2
	s_waitcnt vmcnt(0)
	v_mov_b64_e32 v[2:3], v[4:5]
	v_mov_b64_e32 v[4:5], v[6:7]
.LBB1043_3:
	s_or_b64 exec, exec, s[28:29]
	v_or_b32_e32 v1, 0x200, v0
	v_cmp_gt_u32_e32 vcc, s11, v1
	s_and_saveexec_b64 s[28:29], vcc
	s_cbranch_execz .LBB1043_5
; %bb.4:
	v_lshlrev_b32_e32 v4, 3, v1
	global_load_dwordx2 v[4:5], v4, s[2:3]
.LBB1043_5:
	s_or_b64 exec, exec, s[28:29]
	v_lshrrev_b32_e32 v6, 2, v0
	v_lshrrev_b32_e32 v1, 2, v1
	v_and_b32_e32 v6, 0x78, v6
	v_lshlrev_b32_e32 v7, 3, v0
	v_and_b32_e32 v1, 0xf8, v1
	v_add_u32_e32 v6, v6, v7
	v_add_u32_e32 v1, v1, v7
	s_mov_b64 s[2:3], 0
	ds_write_b64 v6, v[2:3]
	s_waitcnt vmcnt(0)
	ds_write_b64 v1, v[4:5] offset:4096
	s_waitcnt lgkmcnt(0)
	s_barrier
.LBB1043_6:
	s_and_b64 vcc, exec, s[2:3]
	s_cbranch_vccz .LBB1043_8
; %bb.7:
	s_mov_b32 s5, 0
	s_lshl_b64 s[2:3], s[4:5], 3
	s_add_u32 s2, s30, s2
	s_addc_u32 s3, s31, s3
	v_lshlrev_b32_e32 v2, 3, v0
	v_mov_b32_e32 v3, 0
	v_lshl_add_u64 v[4:5], s[2:3], 0, v[2:3]
	v_add_co_u32_e32 v4, vcc, 0x1000, v4
	v_lshrrev_b32_e32 v1, 2, v0
	s_nop 0
	v_addc_co_u32_e32 v5, vcc, 0, v5, vcc
	global_load_dwordx2 v[6:7], v2, s[2:3]
	global_load_dwordx2 v[8:9], v[4:5], off
	v_or_b32_e32 v3, 0x200, v0
	v_and_b32_e32 v1, 0x78, v1
	v_lshrrev_b32_e32 v3, 2, v3
	v_add_u32_e32 v1, v1, v2
	v_and_b32_e32 v3, 0xf8, v3
	v_add_u32_e32 v2, v3, v2
	s_waitcnt vmcnt(1)
	ds_write_b64 v1, v[6:7]
	s_waitcnt vmcnt(0)
	ds_write_b64 v2, v[8:9] offset:4096
	s_waitcnt lgkmcnt(0)
	s_barrier
.LBB1043_8:
	v_lshrrev_b32_e32 v1, 1, v0
	v_and_b32_e32 v2, 0xf8, v1
	v_lshl_add_u32 v2, v0, 4, v2
	ds_read2_b64 v[2:5], v2 offset1:1
	s_cmp_eq_u64 s[24:25], 0
	s_waitcnt lgkmcnt(0)
	s_barrier
	s_cbranch_scc1 .LBB1043_15
; %bb.9:
	s_lshl_b64 s[2:3], s[18:19], 3
	s_add_u32 s5, s16, s2
	s_addc_u32 s11, s17, s3
	s_lshl_b64 s[2:3], s[26:27], 3
	s_add_u32 s2, s5, s2
	s_addc_u32 s3, s11, s3
	s_add_u32 s2, s2, -8
	s_addc_u32 s3, s3, -1
	s_load_dwordx2 s[16:17], s[2:3], 0x0
	s_cmp_eq_u64 s[24:25], s[20:21]
	s_cbranch_scc1 .LBB1043_16
; %bb.10:
	v_cmp_lt_i64_e64 s[2:3], s[12:13], 1
	v_lshlrev_b32_e32 v12, 3, v0
	v_mov_b64_e32 v[8:9], 0
	v_cmp_gt_i64_e64 s[18:19], s[12:13], 0
	s_and_b64 vcc, exec, s[2:3]
	ds_write_b64 v12, v[4:5]
	s_cbranch_vccnz .LBB1043_18
; %bb.11:
	v_mov_b64_e32 v[8:9], s[14:15]
	v_mad_u64_u32 v[6:7], s[2:3], v4, s12, v[8:9]
	v_mul_lo_u32 v10, v4, s13
	v_mul_lo_u32 v11, v5, s12
	v_add3_u32 v7, v11, v7, v10
	v_mad_u64_u32 v[10:11], s[2:3], v2, s12, v[8:9]
	v_mul_lo_u32 v8, v2, s13
	v_mul_lo_u32 v9, v3, s12
	v_add3_u32 v11, v9, v11, v8
	s_mov_b64 s[26:27], 0
	s_mov_b64 s[28:29], s[12:13]
                                        ; implicit-def: $sgpr30_sgpr31
	s_branch .LBB1043_13
.LBB1043_12:                            ;   in Loop: Header=BB1043_13 Depth=1
	s_or_b64 exec, exec, s[2:3]
	s_and_b64 s[2:3], exec, s[30:31]
	s_or_b64 s[26:27], s[2:3], s[26:27]
	s_andn2_b64 exec, exec, s[26:27]
	s_cbranch_execz .LBB1043_17
.LBB1043_13:                            ; =>This Inner Loop Header: Depth=1
	global_load_ubyte v13, v[6:7], off
	global_load_ubyte v14, v[10:11], off
	v_mov_b64_e32 v[8:9], 1
	s_or_b64 s[30:31], s[30:31], exec
	s_waitcnt vmcnt(1)
	v_cmp_ne_u16_e32 vcc, 0, v13
	s_waitcnt vmcnt(0)
	v_cmp_ne_u16_e64 s[2:3], 0, v14
	s_xor_b64 s[2:3], vcc, s[2:3]
	s_xor_b64 s[34:35], s[2:3], -1
	s_and_saveexec_b64 s[2:3], s[34:35]
	s_cbranch_execz .LBB1043_12
; %bb.14:                               ;   in Loop: Header=BB1043_13 Depth=1
	s_add_u32 s28, s28, -1
	s_addc_u32 s29, s29, -1
	s_cmp_eq_u64 s[28:29], 0
	s_cselect_b64 s[34:35], -1, 0
	s_andn2_b64 s[30:31], s[30:31], exec
	s_and_b64 s[34:35], s[34:35], exec
	v_lshl_add_u64 v[6:7], v[6:7], 0, 1
	v_lshl_add_u64 v[10:11], v[10:11], 0, 1
	v_mov_b64_e32 v[8:9], 0
	s_or_b64 s[30:31], s[30:31], s[34:35]
	s_branch .LBB1043_12
.LBB1043_15:
                                        ; implicit-def: $vgpr8_vgpr9
                                        ; implicit-def: $vgpr6_vgpr7
	s_branch .LBB1043_47
.LBB1043_16:
                                        ; implicit-def: $vgpr8_vgpr9
                                        ; implicit-def: $vgpr6_vgpr7
	s_cbranch_execnz .LBB1043_27
	s_branch .LBB1043_46
.LBB1043_17:
	s_or_b64 exec, exec, s[26:27]
.LBB1043_18:
	v_cmp_ne_u32_e32 vcc, 0, v0
	s_waitcnt lgkmcnt(0)
	v_mov_b64_e32 v[6:7], s[16:17]
	s_barrier
	s_and_saveexec_b64 s[2:3], vcc
; %bb.19:
	v_add_u32_e32 v6, -8, v12
	ds_read_b64 v[6:7], v6
; %bb.20:
	s_or_b64 exec, exec, s[2:3]
	s_andn2_b64 vcc, exec, s[18:19]
	s_cbranch_vccnz .LBB1043_26
; %bb.21:
	v_mov_b64_e32 v[12:13], s[14:15]
	v_mad_u64_u32 v[10:11], s[2:3], v2, s12, v[12:13]
	v_mul_lo_u32 v14, v2, s13
	v_mul_lo_u32 v15, v3, s12
	s_waitcnt lgkmcnt(0)
	v_mad_u64_u32 v[12:13], s[2:3], v6, s12, v[12:13]
	v_mul_lo_u32 v6, v6, s13
	v_mul_lo_u32 v7, v7, s12
	v_add3_u32 v11, v15, v11, v14
	v_add3_u32 v13, v7, v13, v6
	s_mov_b64 s[18:19], 0
	s_mov_b64 s[26:27], s[12:13]
                                        ; implicit-def: $sgpr28_sgpr29
	s_branch .LBB1043_23
.LBB1043_22:                            ;   in Loop: Header=BB1043_23 Depth=1
	s_or_b64 exec, exec, s[2:3]
	s_and_b64 s[2:3], exec, s[28:29]
	s_or_b64 s[18:19], s[2:3], s[18:19]
	s_andn2_b64 exec, exec, s[18:19]
	s_cbranch_execz .LBB1043_25
.LBB1043_23:                            ; =>This Inner Loop Header: Depth=1
	global_load_ubyte v14, v[10:11], off
	global_load_ubyte v15, v[12:13], off
	v_mov_b64_e32 v[6:7], 1
	s_or_b64 s[28:29], s[28:29], exec
	s_waitcnt vmcnt(1)
	v_cmp_ne_u16_e32 vcc, 0, v14
	s_waitcnt vmcnt(0)
	v_cmp_ne_u16_e64 s[2:3], 0, v15
	s_xor_b64 s[2:3], vcc, s[2:3]
	s_xor_b64 s[30:31], s[2:3], -1
	s_and_saveexec_b64 s[2:3], s[30:31]
	s_cbranch_execz .LBB1043_22
; %bb.24:                               ;   in Loop: Header=BB1043_23 Depth=1
	s_add_u32 s26, s26, -1
	s_addc_u32 s27, s27, -1
	s_cmp_eq_u64 s[26:27], 0
	s_cselect_b64 s[30:31], -1, 0
	s_andn2_b64 s[28:29], s[28:29], exec
	s_and_b64 s[30:31], s[30:31], exec
	v_lshl_add_u64 v[10:11], v[10:11], 0, 1
	v_lshl_add_u64 v[12:13], v[12:13], 0, 1
	v_mov_b64_e32 v[6:7], 0
	s_or_b64 s[28:29], s[28:29], s[30:31]
	s_branch .LBB1043_22
.LBB1043_25:
	s_or_b64 exec, exec, s[18:19]
	s_branch .LBB1043_46
.LBB1043_26:
	s_waitcnt lgkmcnt(0)
	v_mov_b64_e32 v[6:7], 0
	s_branch .LBB1043_46
.LBB1043_27:
	s_lshl_b32 s2, s24, 10
	v_lshlrev_b32_e32 v12, 1, v0
	s_sub_i32 s5, s10, s2
	v_or_b32_e32 v6, 1, v12
	v_lshlrev_b32_e32 v13, 3, v0
	v_cmp_gt_u32_e32 vcc, s5, v6
	v_mov_b64_e32 v[8:9], v[4:5]
	ds_write_b64 v13, v[4:5]
	v_mov_b64_e32 v[6:7], v[2:3]
	s_and_saveexec_b64 s[18:19], vcc
	s_cbranch_execz .LBB1043_35
; %bb.28:
	v_cmp_lt_i64_e64 s[2:3], s[12:13], 1
	s_and_b64 vcc, exec, s[2:3]
	s_cbranch_vccnz .LBB1043_34
; %bb.29:
	v_mov_b64_e32 v[8:9], s[14:15]
	v_mad_u64_u32 v[6:7], s[2:3], v4, s12, v[8:9]
	v_mul_lo_u32 v10, v4, s13
	v_mul_lo_u32 v11, v5, s12
	v_add3_u32 v7, v11, v7, v10
	v_mad_u64_u32 v[10:11], s[2:3], v2, s12, v[8:9]
	v_mul_lo_u32 v8, v2, s13
	v_mul_lo_u32 v9, v3, s12
	v_add3_u32 v11, v9, v11, v8
	s_mov_b64 s[24:25], 0
	s_mov_b64 s[26:27], s[12:13]
                                        ; implicit-def: $sgpr28_sgpr29
	s_branch .LBB1043_31
.LBB1043_30:                            ;   in Loop: Header=BB1043_31 Depth=1
	s_or_b64 exec, exec, s[2:3]
	s_and_b64 s[2:3], exec, s[28:29]
	s_or_b64 s[24:25], s[2:3], s[24:25]
	s_andn2_b64 exec, exec, s[24:25]
	s_cbranch_execz .LBB1043_33
.LBB1043_31:                            ; =>This Inner Loop Header: Depth=1
	global_load_ubyte v14, v[6:7], off
	global_load_ubyte v15, v[10:11], off
	v_mov_b64_e32 v[8:9], 1
	s_or_b64 s[28:29], s[28:29], exec
	s_waitcnt vmcnt(1)
	v_cmp_ne_u16_e32 vcc, 0, v14
	s_waitcnt vmcnt(0)
	v_cmp_ne_u16_e64 s[2:3], 0, v15
	s_xor_b64 s[2:3], vcc, s[2:3]
	s_xor_b64 s[30:31], s[2:3], -1
	s_and_saveexec_b64 s[2:3], s[30:31]
	s_cbranch_execz .LBB1043_30
; %bb.32:                               ;   in Loop: Header=BB1043_31 Depth=1
	s_add_u32 s26, s26, -1
	s_addc_u32 s27, s27, -1
	s_cmp_eq_u64 s[26:27], 0
	s_cselect_b64 s[30:31], -1, 0
	s_andn2_b64 s[28:29], s[28:29], exec
	s_and_b64 s[30:31], s[30:31], exec
	v_lshl_add_u64 v[6:7], v[6:7], 0, 1
	v_lshl_add_u64 v[10:11], v[10:11], 0, 1
	v_mov_b64_e32 v[8:9], 0
	s_or_b64 s[28:29], s[28:29], s[30:31]
	s_branch .LBB1043_30
.LBB1043_33:
	s_or_b64 exec, exec, s[24:25]
	s_branch .LBB1043_35
.LBB1043_34:
	v_mov_b64_e32 v[8:9], 0
.LBB1043_35:
	s_or_b64 exec, exec, s[18:19]
	v_cmp_ne_u32_e32 vcc, 0, v0
	s_waitcnt lgkmcnt(0)
	v_mov_b64_e32 v[14:15], s[16:17]
	s_barrier
	s_and_saveexec_b64 s[2:3], vcc
; %bb.36:
	v_add_u32_e32 v6, -8, v13
	ds_read_b64 v[14:15], v6
; %bb.37:
	s_or_b64 exec, exec, s[2:3]
	v_cmp_gt_u32_e32 vcc, s5, v12
	v_mov_b64_e32 v[6:7], v[2:3]
	s_and_saveexec_b64 s[16:17], vcc
	s_cbranch_execz .LBB1043_45
; %bb.38:
	v_cmp_lt_i64_e64 s[2:3], s[12:13], 1
	s_and_b64 vcc, exec, s[2:3]
	s_cbranch_vccnz .LBB1043_44
; %bb.39:
	v_mov_b64_e32 v[6:7], s[14:15]
	v_mad_u64_u32 v[10:11], s[2:3], v2, s12, v[6:7]
	v_mul_lo_u32 v12, v2, s13
	v_mul_lo_u32 v13, v3, s12
	v_add3_u32 v11, v13, v11, v12
	s_waitcnt lgkmcnt(0)
	v_mad_u64_u32 v[12:13], s[2:3], v14, s12, v[6:7]
	v_mul_lo_u32 v6, v14, s13
	v_mul_lo_u32 v7, v15, s12
	v_add3_u32 v13, v7, v13, v6
	s_mov_b64 s[18:19], 0
	s_mov_b64 s[24:25], s[12:13]
                                        ; implicit-def: $sgpr26_sgpr27
	s_branch .LBB1043_41
.LBB1043_40:                            ;   in Loop: Header=BB1043_41 Depth=1
	s_or_b64 exec, exec, s[2:3]
	s_and_b64 s[2:3], exec, s[26:27]
	s_or_b64 s[18:19], s[2:3], s[18:19]
	s_andn2_b64 exec, exec, s[18:19]
	s_cbranch_execz .LBB1043_43
.LBB1043_41:                            ; =>This Inner Loop Header: Depth=1
	global_load_ubyte v14, v[10:11], off
	global_load_ubyte v15, v[12:13], off
	v_mov_b64_e32 v[6:7], 1
	s_or_b64 s[26:27], s[26:27], exec
	s_waitcnt vmcnt(1)
	v_cmp_ne_u16_e32 vcc, 0, v14
	s_waitcnt vmcnt(0)
	v_cmp_ne_u16_e64 s[2:3], 0, v15
	s_xor_b64 s[2:3], vcc, s[2:3]
	s_xor_b64 s[28:29], s[2:3], -1
	s_and_saveexec_b64 s[2:3], s[28:29]
	s_cbranch_execz .LBB1043_40
; %bb.42:                               ;   in Loop: Header=BB1043_41 Depth=1
	s_add_u32 s24, s24, -1
	s_addc_u32 s25, s25, -1
	s_cmp_eq_u64 s[24:25], 0
	s_cselect_b64 s[28:29], -1, 0
	s_andn2_b64 s[26:27], s[26:27], exec
	s_and_b64 s[28:29], s[28:29], exec
	v_lshl_add_u64 v[10:11], v[10:11], 0, 1
	v_lshl_add_u64 v[12:13], v[12:13], 0, 1
	v_mov_b64_e32 v[6:7], 0
	s_or_b64 s[26:27], s[26:27], s[28:29]
	s_branch .LBB1043_40
.LBB1043_43:
	s_or_b64 exec, exec, s[18:19]
	s_branch .LBB1043_45
.LBB1043_44:
	v_mov_b64_e32 v[6:7], 0
.LBB1043_45:
	s_or_b64 exec, exec, s[16:17]
.LBB1043_46:
	s_cbranch_execnz .LBB1043_81
.LBB1043_47:
	s_cmp_eq_u64 s[22:23], 1
	s_cbranch_scc1 .LBB1043_53
; %bb.48:
	v_cmp_lt_i64_e64 s[2:3], s[12:13], 1
	v_lshlrev_b32_e32 v12, 3, v0
	v_mov_b64_e32 v[8:9], 0
	s_waitcnt lgkmcnt(0)
	v_cmp_gt_i64_e64 s[16:17], s[12:13], 0
	s_and_b64 vcc, exec, s[2:3]
	ds_write_b64 v12, v[4:5]
	s_cbranch_vccnz .LBB1043_55
; %bb.49:
	v_mov_b64_e32 v[8:9], s[14:15]
	v_mad_u64_u32 v[6:7], s[2:3], v4, s12, v[8:9]
	v_mul_lo_u32 v10, v4, s13
	v_mul_lo_u32 v11, v5, s12
	v_add3_u32 v7, v11, v7, v10
	v_mad_u64_u32 v[10:11], s[2:3], v2, s12, v[8:9]
	v_mul_lo_u32 v8, v2, s13
	v_mul_lo_u32 v9, v3, s12
	v_add3_u32 v11, v9, v11, v8
	s_mov_b64 s[18:19], 0
	s_mov_b64 s[22:23], s[12:13]
                                        ; implicit-def: $sgpr24_sgpr25
	s_branch .LBB1043_51
.LBB1043_50:                            ;   in Loop: Header=BB1043_51 Depth=1
	s_or_b64 exec, exec, s[2:3]
	s_and_b64 s[2:3], exec, s[24:25]
	s_or_b64 s[18:19], s[2:3], s[18:19]
	s_andn2_b64 exec, exec, s[18:19]
	s_cbranch_execz .LBB1043_54
.LBB1043_51:                            ; =>This Inner Loop Header: Depth=1
	global_load_ubyte v13, v[6:7], off
	global_load_ubyte v14, v[10:11], off
	v_mov_b64_e32 v[8:9], 1
	s_or_b64 s[24:25], s[24:25], exec
	s_waitcnt vmcnt(1)
	v_cmp_ne_u16_e32 vcc, 0, v13
	s_waitcnt vmcnt(0)
	v_cmp_ne_u16_e64 s[2:3], 0, v14
	s_xor_b64 s[2:3], vcc, s[2:3]
	s_xor_b64 s[26:27], s[2:3], -1
	s_and_saveexec_b64 s[2:3], s[26:27]
	s_cbranch_execz .LBB1043_50
; %bb.52:                               ;   in Loop: Header=BB1043_51 Depth=1
	s_add_u32 s22, s22, -1
	s_addc_u32 s23, s23, -1
	s_cmp_eq_u64 s[22:23], 0
	s_cselect_b64 s[26:27], -1, 0
	s_andn2_b64 s[24:25], s[24:25], exec
	s_and_b64 s[26:27], s[26:27], exec
	v_lshl_add_u64 v[6:7], v[6:7], 0, 1
	v_lshl_add_u64 v[10:11], v[10:11], 0, 1
	v_mov_b64_e32 v[8:9], 0
	s_or_b64 s[24:25], s[24:25], s[26:27]
	s_branch .LBB1043_50
.LBB1043_53:
                                        ; implicit-def: $vgpr8_vgpr9
                                        ; implicit-def: $vgpr6_vgpr7
	s_cbranch_execnz .LBB1043_64
	s_branch .LBB1043_81
.LBB1043_54:
	s_or_b64 exec, exec, s[18:19]
.LBB1043_55:
	v_cmp_ne_u32_e32 vcc, 0, v0
	v_mov_b64_e32 v[6:7], v[2:3]
	s_waitcnt lgkmcnt(0)
	s_barrier
	s_and_saveexec_b64 s[18:19], vcc
	s_cbranch_execz .LBB1043_63
; %bb.56:
	s_andn2_b64 vcc, exec, s[16:17]
	s_cbranch_vccnz .LBB1043_62
; %bb.57:
	v_add_u32_e32 v6, -8, v12
	ds_read_b64 v[6:7], v6
	v_mov_b64_e32 v[12:13], s[14:15]
	v_mad_u64_u32 v[10:11], s[2:3], v2, s12, v[12:13]
	v_mul_lo_u32 v14, v2, s13
	v_mul_lo_u32 v15, v3, s12
	v_add3_u32 v11, v15, v11, v14
	s_waitcnt lgkmcnt(0)
	v_mul_lo_u32 v14, v6, s13
	v_mul_lo_u32 v7, v7, s12
	v_mad_u64_u32 v[12:13], s[2:3], v6, s12, v[12:13]
	v_add3_u32 v13, v7, v13, v14
	s_mov_b64 s[16:17], 0
	s_mov_b64 s[22:23], s[12:13]
                                        ; implicit-def: $sgpr24_sgpr25
	s_branch .LBB1043_59
.LBB1043_58:                            ;   in Loop: Header=BB1043_59 Depth=1
	s_or_b64 exec, exec, s[2:3]
	s_and_b64 s[2:3], exec, s[24:25]
	s_or_b64 s[16:17], s[2:3], s[16:17]
	s_andn2_b64 exec, exec, s[16:17]
	s_cbranch_execz .LBB1043_61
.LBB1043_59:                            ; =>This Inner Loop Header: Depth=1
	global_load_ubyte v14, v[10:11], off
	global_load_ubyte v15, v[12:13], off
	v_mov_b64_e32 v[6:7], 1
	s_or_b64 s[24:25], s[24:25], exec
	s_waitcnt vmcnt(1)
	v_cmp_ne_u16_e32 vcc, 0, v14
	s_waitcnt vmcnt(0)
	v_cmp_ne_u16_e64 s[2:3], 0, v15
	s_xor_b64 s[2:3], vcc, s[2:3]
	s_xor_b64 s[26:27], s[2:3], -1
	s_and_saveexec_b64 s[2:3], s[26:27]
	s_cbranch_execz .LBB1043_58
; %bb.60:                               ;   in Loop: Header=BB1043_59 Depth=1
	s_add_u32 s22, s22, -1
	s_addc_u32 s23, s23, -1
	s_cmp_eq_u64 s[22:23], 0
	s_cselect_b64 s[26:27], -1, 0
	s_andn2_b64 s[24:25], s[24:25], exec
	s_and_b64 s[26:27], s[26:27], exec
	v_lshl_add_u64 v[10:11], v[10:11], 0, 1
	v_lshl_add_u64 v[12:13], v[12:13], 0, 1
	v_mov_b64_e32 v[6:7], 0
	s_or_b64 s[24:25], s[24:25], s[26:27]
	s_branch .LBB1043_58
.LBB1043_61:
	s_or_b64 exec, exec, s[16:17]
	s_branch .LBB1043_63
.LBB1043_62:
	v_mov_b64_e32 v[6:7], 0
.LBB1043_63:
	s_or_b64 exec, exec, s[18:19]
	s_branch .LBB1043_81
.LBB1043_64:
	v_lshlrev_b32_e32 v11, 1, v0
	v_or_b32_e32 v6, 1, v11
	v_lshlrev_b32_e32 v10, 3, v0
	v_cmp_gt_u32_e32 vcc, s10, v6
	v_mov_b64_e32 v[8:9], v[4:5]
	ds_write_b64 v10, v[4:5]
	v_mov_b64_e32 v[6:7], v[2:3]
	s_waitcnt lgkmcnt(0)
	s_and_saveexec_b64 s[16:17], vcc
	s_cbranch_execz .LBB1043_72
; %bb.65:
	v_cmp_lt_i64_e64 s[2:3], s[12:13], 1
	s_and_b64 vcc, exec, s[2:3]
	s_cbranch_vccnz .LBB1043_71
; %bb.66:
	v_mov_b64_e32 v[8:9], s[14:15]
	v_mad_u64_u32 v[6:7], s[2:3], v4, s12, v[8:9]
	v_mul_lo_u32 v4, v4, s13
	v_mul_lo_u32 v5, v5, s12
	v_add3_u32 v7, v5, v7, v4
	v_mad_u64_u32 v[4:5], s[2:3], v2, s12, v[8:9]
	v_mul_lo_u32 v8, v2, s13
	v_mul_lo_u32 v9, v3, s12
	v_add3_u32 v5, v9, v5, v8
	s_mov_b64 s[18:19], 0
	s_mov_b64 s[22:23], s[12:13]
                                        ; implicit-def: $sgpr24_sgpr25
	s_branch .LBB1043_68
.LBB1043_67:                            ;   in Loop: Header=BB1043_68 Depth=1
	s_or_b64 exec, exec, s[2:3]
	s_and_b64 s[2:3], exec, s[24:25]
	s_or_b64 s[18:19], s[2:3], s[18:19]
	s_andn2_b64 exec, exec, s[18:19]
	s_cbranch_execz .LBB1043_70
.LBB1043_68:                            ; =>This Inner Loop Header: Depth=1
	global_load_ubyte v12, v[6:7], off
	global_load_ubyte v13, v[4:5], off
	v_mov_b64_e32 v[8:9], 1
	s_or_b64 s[24:25], s[24:25], exec
	s_waitcnt vmcnt(1)
	v_cmp_ne_u16_e32 vcc, 0, v12
	s_waitcnt vmcnt(0)
	v_cmp_ne_u16_e64 s[2:3], 0, v13
	s_xor_b64 s[2:3], vcc, s[2:3]
	s_xor_b64 s[26:27], s[2:3], -1
	s_and_saveexec_b64 s[2:3], s[26:27]
	s_cbranch_execz .LBB1043_67
; %bb.69:                               ;   in Loop: Header=BB1043_68 Depth=1
	s_add_u32 s22, s22, -1
	s_addc_u32 s23, s23, -1
	s_cmp_eq_u64 s[22:23], 0
	s_cselect_b64 s[26:27], -1, 0
	s_andn2_b64 s[24:25], s[24:25], exec
	s_and_b64 s[26:27], s[26:27], exec
	v_lshl_add_u64 v[6:7], v[6:7], 0, 1
	v_lshl_add_u64 v[4:5], v[4:5], 0, 1
	v_mov_b64_e32 v[8:9], 0
	s_or_b64 s[24:25], s[24:25], s[26:27]
	s_branch .LBB1043_67
.LBB1043_70:
	s_or_b64 exec, exec, s[18:19]
	s_branch .LBB1043_72
.LBB1043_71:
	v_mov_b64_e32 v[8:9], 0
.LBB1043_72:
	s_or_b64 exec, exec, s[16:17]
	v_cmp_ne_u32_e32 vcc, 0, v0
	v_cmp_gt_u32_e64 s[2:3], s10, v11
	s_and_b64 s[2:3], vcc, s[2:3]
	s_barrier
	s_and_saveexec_b64 s[16:17], s[2:3]
	s_cbranch_execz .LBB1043_80
; %bb.73:
	v_cmp_lt_i64_e64 s[2:3], s[12:13], 1
	s_and_b64 vcc, exec, s[2:3]
	s_cbranch_vccnz .LBB1043_79
; %bb.74:
	v_add_u32_e32 v4, -8, v10
	ds_read_b64 v[6:7], v4
	v_mov_b64_e32 v[10:11], s[14:15]
	v_mad_u64_u32 v[4:5], s[2:3], v2, s12, v[10:11]
	v_mul_lo_u32 v2, v2, s13
	v_mul_lo_u32 v3, v3, s12
	v_add3_u32 v5, v3, v5, v2
	s_waitcnt lgkmcnt(0)
	v_mul_lo_u32 v2, v6, s13
	v_mul_lo_u32 v3, v7, s12
	v_mad_u64_u32 v[6:7], s[2:3], v6, s12, v[10:11]
	v_add3_u32 v7, v3, v7, v2
	s_mov_b64 s[14:15], 0
                                        ; implicit-def: $sgpr18_sgpr19
	s_branch .LBB1043_76
.LBB1043_75:                            ;   in Loop: Header=BB1043_76 Depth=1
	s_or_b64 exec, exec, s[2:3]
	s_and_b64 s[2:3], exec, s[18:19]
	s_or_b64 s[14:15], s[2:3], s[14:15]
	s_andn2_b64 exec, exec, s[14:15]
	s_cbranch_execz .LBB1043_78
.LBB1043_76:                            ; =>This Inner Loop Header: Depth=1
	global_load_ubyte v10, v[4:5], off
	global_load_ubyte v11, v[6:7], off
	v_mov_b64_e32 v[2:3], 1
	s_or_b64 s[18:19], s[18:19], exec
	s_waitcnt vmcnt(1)
	v_cmp_ne_u16_e32 vcc, 0, v10
	s_waitcnt vmcnt(0)
	v_cmp_ne_u16_e64 s[2:3], 0, v11
	s_xor_b64 s[2:3], vcc, s[2:3]
	s_xor_b64 s[22:23], s[2:3], -1
	s_and_saveexec_b64 s[2:3], s[22:23]
	s_cbranch_execz .LBB1043_75
; %bb.77:                               ;   in Loop: Header=BB1043_76 Depth=1
	s_add_u32 s12, s12, -1
	s_addc_u32 s13, s13, -1
	s_cmp_eq_u64 s[12:13], 0
	s_cselect_b64 s[22:23], -1, 0
	s_andn2_b64 s[18:19], s[18:19], exec
	s_and_b64 s[22:23], s[22:23], exec
	v_lshl_add_u64 v[4:5], v[4:5], 0, 1
	v_lshl_add_u64 v[6:7], v[6:7], 0, 1
	v_mov_b64_e32 v[2:3], 0
	s_or_b64 s[18:19], s[18:19], s[22:23]
	s_branch .LBB1043_75
.LBB1043_78:
	s_or_b64 exec, exec, s[14:15]
	s_branch .LBB1043_80
.LBB1043_79:
	v_mov_b64_e32 v[2:3], 0
.LBB1043_80:
	s_or_b64 exec, exec, s[16:17]
	v_mov_b64_e32 v[6:7], v[2:3]
.LBB1043_81:
	s_add_u32 s6, s8, s6
	s_addc_u32 s7, s9, s7
	s_and_b64 vcc, exec, s[0:1]
	s_waitcnt lgkmcnt(0)
	s_barrier
	s_cbranch_vccz .LBB1043_85
; %bb.82:
	v_and_b32_e32 v2, 0xf8, v1
	v_lshl_add_u32 v2, v0, 4, v2
	v_or_b32_e32 v10, 0x200, v0
	ds_write2_b64 v2, v[6:7], v[8:9] offset1:1
	v_lshrrev_b32_e32 v2, 2, v10
	v_and_b32_e32 v2, 0xf8, v2
	v_lshlrev_b32_e32 v4, 3, v0
	v_add_u32_e32 v2, v2, v4
	s_lshl_b32 s0, s20, 10
	s_mov_b32 s5, 0
	s_waitcnt lgkmcnt(0)
	s_barrier
	ds_read_b64 v[2:3], v2 offset:4096
	s_sub_i32 s2, s10, s0
	s_lshl_b64 s[0:1], s[4:5], 3
	s_add_u32 s0, s6, s0
	s_addc_u32 s1, s7, s1
	v_mov_b32_e32 v5, 0
	v_lshl_add_u64 v[4:5], s[0:1], 0, v[4:5]
	v_cmp_gt_u32_e32 vcc, s2, v0
	s_and_saveexec_b64 s[0:1], vcc
	s_cbranch_execz .LBB1043_84
; %bb.83:
	v_lshrrev_b32_e32 v11, 2, v0
	v_and_b32_e32 v11, 0x78, v11
	v_lshl_add_u32 v11, v0, 3, v11
	ds_read_b64 v[12:13], v11
	s_waitcnt lgkmcnt(0)
	global_store_dwordx2 v[4:5], v[12:13], off
.LBB1043_84:
	s_or_b64 exec, exec, s[0:1]
	v_cmp_gt_u32_e64 s[0:1], s2, v10
	s_branch .LBB1043_87
.LBB1043_85:
	s_mov_b64 s[0:1], 0
                                        ; implicit-def: $vgpr2_vgpr3
                                        ; implicit-def: $vgpr4_vgpr5
	s_cbranch_execz .LBB1043_87
; %bb.86:
	v_and_b32_e32 v1, 0xf8, v1
	v_lshl_add_u32 v1, v0, 4, v1
	ds_write2_b64 v1, v[6:7], v[8:9] offset1:1
	v_lshrrev_b32_e32 v1, 2, v0
	v_lshlrev_b32_e32 v6, 3, v0
	v_or_b32_e32 v0, 0x200, v0
	v_lshrrev_b32_e32 v0, 2, v0
	v_and_b32_e32 v1, 0x78, v1
	v_and_b32_e32 v0, 0xf8, v0
	v_add_u32_e32 v1, v1, v6
	v_add_u32_e32 v0, v0, v6
	s_mov_b32 s5, 0
	s_waitcnt lgkmcnt(0)
	s_barrier
	ds_read_b64 v[8:9], v1
	ds_read_b64 v[2:3], v0 offset:4096
	s_lshl_b64 s[2:3], s[4:5], 3
	s_add_u32 s2, s6, s2
	s_addc_u32 s3, s7, s3
	v_mov_b32_e32 v7, 0
	v_lshl_add_u64 v[4:5], s[2:3], 0, v[6:7]
	s_or_b64 s[0:1], s[0:1], exec
	s_waitcnt lgkmcnt(1)
	global_store_dwordx2 v6, v[8:9], s[2:3]
.LBB1043_87:
	s_and_saveexec_b64 s[2:3], s[0:1]
	s_cbranch_execnz .LBB1043_89
; %bb.88:
	s_endpgm
.LBB1043_89:
	v_add_co_u32_e32 v0, vcc, 0x1000, v4
	s_nop 1
	v_addc_co_u32_e32 v1, vcc, 0, v5, vcc
	s_waitcnt lgkmcnt(0)
	global_store_dwordx2 v[0:1], v[2:3], off
	s_endpgm
	.section	.rodata,"a",@progbits
	.p2align	6, 0x0
	.amdhsa_kernel _ZN7rocprim17ROCPRIM_400000_NS6detail17trampoline_kernelINS0_14default_configENS1_35adjacent_difference_config_selectorILb1ElEEZNS1_24adjacent_difference_implIS3_Lb1ELb0EPlS7_ZN2at6native12_GLOBAL__N_124unique_dim_cuda_templateIbEESt5tupleIJNS8_6TensorESD_SD_EERKSD_lbbbEUlllE1_EE10hipError_tPvRmT2_T3_mT4_P12ihipStream_tbEUlT_E_NS1_11comp_targetILNS1_3genE0ELNS1_11target_archE4294967295ELNS1_3gpuE0ELNS1_3repE0EEENS1_30default_config_static_selectorELNS0_4arch9wavefront6targetE1EEEvT1_
		.amdhsa_group_segment_fixed_size 8448
		.amdhsa_private_segment_fixed_size 0
		.amdhsa_kernarg_size 64
		.amdhsa_user_sgpr_count 2
		.amdhsa_user_sgpr_dispatch_ptr 0
		.amdhsa_user_sgpr_queue_ptr 0
		.amdhsa_user_sgpr_kernarg_segment_ptr 1
		.amdhsa_user_sgpr_dispatch_id 0
		.amdhsa_user_sgpr_kernarg_preload_length 0
		.amdhsa_user_sgpr_kernarg_preload_offset 0
		.amdhsa_user_sgpr_private_segment_size 0
		.amdhsa_uses_dynamic_stack 0
		.amdhsa_enable_private_segment 0
		.amdhsa_system_sgpr_workgroup_id_x 1
		.amdhsa_system_sgpr_workgroup_id_y 0
		.amdhsa_system_sgpr_workgroup_id_z 0
		.amdhsa_system_sgpr_workgroup_info 0
		.amdhsa_system_vgpr_workitem_id 0
		.amdhsa_next_free_vgpr 16
		.amdhsa_next_free_sgpr 36
		.amdhsa_accum_offset 16
		.amdhsa_reserve_vcc 1
		.amdhsa_float_round_mode_32 0
		.amdhsa_float_round_mode_16_64 0
		.amdhsa_float_denorm_mode_32 3
		.amdhsa_float_denorm_mode_16_64 3
		.amdhsa_dx10_clamp 1
		.amdhsa_ieee_mode 1
		.amdhsa_fp16_overflow 0
		.amdhsa_tg_split 0
		.amdhsa_exception_fp_ieee_invalid_op 0
		.amdhsa_exception_fp_denorm_src 0
		.amdhsa_exception_fp_ieee_div_zero 0
		.amdhsa_exception_fp_ieee_overflow 0
		.amdhsa_exception_fp_ieee_underflow 0
		.amdhsa_exception_fp_ieee_inexact 0
		.amdhsa_exception_int_div_zero 0
	.end_amdhsa_kernel
	.section	.text._ZN7rocprim17ROCPRIM_400000_NS6detail17trampoline_kernelINS0_14default_configENS1_35adjacent_difference_config_selectorILb1ElEEZNS1_24adjacent_difference_implIS3_Lb1ELb0EPlS7_ZN2at6native12_GLOBAL__N_124unique_dim_cuda_templateIbEESt5tupleIJNS8_6TensorESD_SD_EERKSD_lbbbEUlllE1_EE10hipError_tPvRmT2_T3_mT4_P12ihipStream_tbEUlT_E_NS1_11comp_targetILNS1_3genE0ELNS1_11target_archE4294967295ELNS1_3gpuE0ELNS1_3repE0EEENS1_30default_config_static_selectorELNS0_4arch9wavefront6targetE1EEEvT1_,"axG",@progbits,_ZN7rocprim17ROCPRIM_400000_NS6detail17trampoline_kernelINS0_14default_configENS1_35adjacent_difference_config_selectorILb1ElEEZNS1_24adjacent_difference_implIS3_Lb1ELb0EPlS7_ZN2at6native12_GLOBAL__N_124unique_dim_cuda_templateIbEESt5tupleIJNS8_6TensorESD_SD_EERKSD_lbbbEUlllE1_EE10hipError_tPvRmT2_T3_mT4_P12ihipStream_tbEUlT_E_NS1_11comp_targetILNS1_3genE0ELNS1_11target_archE4294967295ELNS1_3gpuE0ELNS1_3repE0EEENS1_30default_config_static_selectorELNS0_4arch9wavefront6targetE1EEEvT1_,comdat
.Lfunc_end1043:
	.size	_ZN7rocprim17ROCPRIM_400000_NS6detail17trampoline_kernelINS0_14default_configENS1_35adjacent_difference_config_selectorILb1ElEEZNS1_24adjacent_difference_implIS3_Lb1ELb0EPlS7_ZN2at6native12_GLOBAL__N_124unique_dim_cuda_templateIbEESt5tupleIJNS8_6TensorESD_SD_EERKSD_lbbbEUlllE1_EE10hipError_tPvRmT2_T3_mT4_P12ihipStream_tbEUlT_E_NS1_11comp_targetILNS1_3genE0ELNS1_11target_archE4294967295ELNS1_3gpuE0ELNS1_3repE0EEENS1_30default_config_static_selectorELNS0_4arch9wavefront6targetE1EEEvT1_, .Lfunc_end1043-_ZN7rocprim17ROCPRIM_400000_NS6detail17trampoline_kernelINS0_14default_configENS1_35adjacent_difference_config_selectorILb1ElEEZNS1_24adjacent_difference_implIS3_Lb1ELb0EPlS7_ZN2at6native12_GLOBAL__N_124unique_dim_cuda_templateIbEESt5tupleIJNS8_6TensorESD_SD_EERKSD_lbbbEUlllE1_EE10hipError_tPvRmT2_T3_mT4_P12ihipStream_tbEUlT_E_NS1_11comp_targetILNS1_3genE0ELNS1_11target_archE4294967295ELNS1_3gpuE0ELNS1_3repE0EEENS1_30default_config_static_selectorELNS0_4arch9wavefront6targetE1EEEvT1_
                                        ; -- End function
	.set _ZN7rocprim17ROCPRIM_400000_NS6detail17trampoline_kernelINS0_14default_configENS1_35adjacent_difference_config_selectorILb1ElEEZNS1_24adjacent_difference_implIS3_Lb1ELb0EPlS7_ZN2at6native12_GLOBAL__N_124unique_dim_cuda_templateIbEESt5tupleIJNS8_6TensorESD_SD_EERKSD_lbbbEUlllE1_EE10hipError_tPvRmT2_T3_mT4_P12ihipStream_tbEUlT_E_NS1_11comp_targetILNS1_3genE0ELNS1_11target_archE4294967295ELNS1_3gpuE0ELNS1_3repE0EEENS1_30default_config_static_selectorELNS0_4arch9wavefront6targetE1EEEvT1_.num_vgpr, 16
	.set _ZN7rocprim17ROCPRIM_400000_NS6detail17trampoline_kernelINS0_14default_configENS1_35adjacent_difference_config_selectorILb1ElEEZNS1_24adjacent_difference_implIS3_Lb1ELb0EPlS7_ZN2at6native12_GLOBAL__N_124unique_dim_cuda_templateIbEESt5tupleIJNS8_6TensorESD_SD_EERKSD_lbbbEUlllE1_EE10hipError_tPvRmT2_T3_mT4_P12ihipStream_tbEUlT_E_NS1_11comp_targetILNS1_3genE0ELNS1_11target_archE4294967295ELNS1_3gpuE0ELNS1_3repE0EEENS1_30default_config_static_selectorELNS0_4arch9wavefront6targetE1EEEvT1_.num_agpr, 0
	.set _ZN7rocprim17ROCPRIM_400000_NS6detail17trampoline_kernelINS0_14default_configENS1_35adjacent_difference_config_selectorILb1ElEEZNS1_24adjacent_difference_implIS3_Lb1ELb0EPlS7_ZN2at6native12_GLOBAL__N_124unique_dim_cuda_templateIbEESt5tupleIJNS8_6TensorESD_SD_EERKSD_lbbbEUlllE1_EE10hipError_tPvRmT2_T3_mT4_P12ihipStream_tbEUlT_E_NS1_11comp_targetILNS1_3genE0ELNS1_11target_archE4294967295ELNS1_3gpuE0ELNS1_3repE0EEENS1_30default_config_static_selectorELNS0_4arch9wavefront6targetE1EEEvT1_.numbered_sgpr, 36
	.set _ZN7rocprim17ROCPRIM_400000_NS6detail17trampoline_kernelINS0_14default_configENS1_35adjacent_difference_config_selectorILb1ElEEZNS1_24adjacent_difference_implIS3_Lb1ELb0EPlS7_ZN2at6native12_GLOBAL__N_124unique_dim_cuda_templateIbEESt5tupleIJNS8_6TensorESD_SD_EERKSD_lbbbEUlllE1_EE10hipError_tPvRmT2_T3_mT4_P12ihipStream_tbEUlT_E_NS1_11comp_targetILNS1_3genE0ELNS1_11target_archE4294967295ELNS1_3gpuE0ELNS1_3repE0EEENS1_30default_config_static_selectorELNS0_4arch9wavefront6targetE1EEEvT1_.num_named_barrier, 0
	.set _ZN7rocprim17ROCPRIM_400000_NS6detail17trampoline_kernelINS0_14default_configENS1_35adjacent_difference_config_selectorILb1ElEEZNS1_24adjacent_difference_implIS3_Lb1ELb0EPlS7_ZN2at6native12_GLOBAL__N_124unique_dim_cuda_templateIbEESt5tupleIJNS8_6TensorESD_SD_EERKSD_lbbbEUlllE1_EE10hipError_tPvRmT2_T3_mT4_P12ihipStream_tbEUlT_E_NS1_11comp_targetILNS1_3genE0ELNS1_11target_archE4294967295ELNS1_3gpuE0ELNS1_3repE0EEENS1_30default_config_static_selectorELNS0_4arch9wavefront6targetE1EEEvT1_.private_seg_size, 0
	.set _ZN7rocprim17ROCPRIM_400000_NS6detail17trampoline_kernelINS0_14default_configENS1_35adjacent_difference_config_selectorILb1ElEEZNS1_24adjacent_difference_implIS3_Lb1ELb0EPlS7_ZN2at6native12_GLOBAL__N_124unique_dim_cuda_templateIbEESt5tupleIJNS8_6TensorESD_SD_EERKSD_lbbbEUlllE1_EE10hipError_tPvRmT2_T3_mT4_P12ihipStream_tbEUlT_E_NS1_11comp_targetILNS1_3genE0ELNS1_11target_archE4294967295ELNS1_3gpuE0ELNS1_3repE0EEENS1_30default_config_static_selectorELNS0_4arch9wavefront6targetE1EEEvT1_.uses_vcc, 1
	.set _ZN7rocprim17ROCPRIM_400000_NS6detail17trampoline_kernelINS0_14default_configENS1_35adjacent_difference_config_selectorILb1ElEEZNS1_24adjacent_difference_implIS3_Lb1ELb0EPlS7_ZN2at6native12_GLOBAL__N_124unique_dim_cuda_templateIbEESt5tupleIJNS8_6TensorESD_SD_EERKSD_lbbbEUlllE1_EE10hipError_tPvRmT2_T3_mT4_P12ihipStream_tbEUlT_E_NS1_11comp_targetILNS1_3genE0ELNS1_11target_archE4294967295ELNS1_3gpuE0ELNS1_3repE0EEENS1_30default_config_static_selectorELNS0_4arch9wavefront6targetE1EEEvT1_.uses_flat_scratch, 0
	.set _ZN7rocprim17ROCPRIM_400000_NS6detail17trampoline_kernelINS0_14default_configENS1_35adjacent_difference_config_selectorILb1ElEEZNS1_24adjacent_difference_implIS3_Lb1ELb0EPlS7_ZN2at6native12_GLOBAL__N_124unique_dim_cuda_templateIbEESt5tupleIJNS8_6TensorESD_SD_EERKSD_lbbbEUlllE1_EE10hipError_tPvRmT2_T3_mT4_P12ihipStream_tbEUlT_E_NS1_11comp_targetILNS1_3genE0ELNS1_11target_archE4294967295ELNS1_3gpuE0ELNS1_3repE0EEENS1_30default_config_static_selectorELNS0_4arch9wavefront6targetE1EEEvT1_.has_dyn_sized_stack, 0
	.set _ZN7rocprim17ROCPRIM_400000_NS6detail17trampoline_kernelINS0_14default_configENS1_35adjacent_difference_config_selectorILb1ElEEZNS1_24adjacent_difference_implIS3_Lb1ELb0EPlS7_ZN2at6native12_GLOBAL__N_124unique_dim_cuda_templateIbEESt5tupleIJNS8_6TensorESD_SD_EERKSD_lbbbEUlllE1_EE10hipError_tPvRmT2_T3_mT4_P12ihipStream_tbEUlT_E_NS1_11comp_targetILNS1_3genE0ELNS1_11target_archE4294967295ELNS1_3gpuE0ELNS1_3repE0EEENS1_30default_config_static_selectorELNS0_4arch9wavefront6targetE1EEEvT1_.has_recursion, 0
	.set _ZN7rocprim17ROCPRIM_400000_NS6detail17trampoline_kernelINS0_14default_configENS1_35adjacent_difference_config_selectorILb1ElEEZNS1_24adjacent_difference_implIS3_Lb1ELb0EPlS7_ZN2at6native12_GLOBAL__N_124unique_dim_cuda_templateIbEESt5tupleIJNS8_6TensorESD_SD_EERKSD_lbbbEUlllE1_EE10hipError_tPvRmT2_T3_mT4_P12ihipStream_tbEUlT_E_NS1_11comp_targetILNS1_3genE0ELNS1_11target_archE4294967295ELNS1_3gpuE0ELNS1_3repE0EEENS1_30default_config_static_selectorELNS0_4arch9wavefront6targetE1EEEvT1_.has_indirect_call, 0
	.section	.AMDGPU.csdata,"",@progbits
; Kernel info:
; codeLenInByte = 3204
; TotalNumSgprs: 42
; NumVgprs: 16
; NumAgprs: 0
; TotalNumVgprs: 16
; ScratchSize: 0
; MemoryBound: 0
; FloatMode: 240
; IeeeMode: 1
; LDSByteSize: 8448 bytes/workgroup (compile time only)
; SGPRBlocks: 5
; VGPRBlocks: 1
; NumSGPRsForWavesPerEU: 42
; NumVGPRsForWavesPerEU: 16
; AccumOffset: 16
; Occupancy: 8
; WaveLimiterHint : 1
; COMPUTE_PGM_RSRC2:SCRATCH_EN: 0
; COMPUTE_PGM_RSRC2:USER_SGPR: 2
; COMPUTE_PGM_RSRC2:TRAP_HANDLER: 0
; COMPUTE_PGM_RSRC2:TGID_X_EN: 1
; COMPUTE_PGM_RSRC2:TGID_Y_EN: 0
; COMPUTE_PGM_RSRC2:TGID_Z_EN: 0
; COMPUTE_PGM_RSRC2:TIDIG_COMP_CNT: 0
; COMPUTE_PGM_RSRC3_GFX90A:ACCUM_OFFSET: 3
; COMPUTE_PGM_RSRC3_GFX90A:TG_SPLIT: 0
	.section	.text._ZN7rocprim17ROCPRIM_400000_NS6detail17trampoline_kernelINS0_14default_configENS1_35adjacent_difference_config_selectorILb1ElEEZNS1_24adjacent_difference_implIS3_Lb1ELb0EPlS7_ZN2at6native12_GLOBAL__N_124unique_dim_cuda_templateIbEESt5tupleIJNS8_6TensorESD_SD_EERKSD_lbbbEUlllE1_EE10hipError_tPvRmT2_T3_mT4_P12ihipStream_tbEUlT_E_NS1_11comp_targetILNS1_3genE10ELNS1_11target_archE1201ELNS1_3gpuE5ELNS1_3repE0EEENS1_30default_config_static_selectorELNS0_4arch9wavefront6targetE1EEEvT1_,"axG",@progbits,_ZN7rocprim17ROCPRIM_400000_NS6detail17trampoline_kernelINS0_14default_configENS1_35adjacent_difference_config_selectorILb1ElEEZNS1_24adjacent_difference_implIS3_Lb1ELb0EPlS7_ZN2at6native12_GLOBAL__N_124unique_dim_cuda_templateIbEESt5tupleIJNS8_6TensorESD_SD_EERKSD_lbbbEUlllE1_EE10hipError_tPvRmT2_T3_mT4_P12ihipStream_tbEUlT_E_NS1_11comp_targetILNS1_3genE10ELNS1_11target_archE1201ELNS1_3gpuE5ELNS1_3repE0EEENS1_30default_config_static_selectorELNS0_4arch9wavefront6targetE1EEEvT1_,comdat
	.globl	_ZN7rocprim17ROCPRIM_400000_NS6detail17trampoline_kernelINS0_14default_configENS1_35adjacent_difference_config_selectorILb1ElEEZNS1_24adjacent_difference_implIS3_Lb1ELb0EPlS7_ZN2at6native12_GLOBAL__N_124unique_dim_cuda_templateIbEESt5tupleIJNS8_6TensorESD_SD_EERKSD_lbbbEUlllE1_EE10hipError_tPvRmT2_T3_mT4_P12ihipStream_tbEUlT_E_NS1_11comp_targetILNS1_3genE10ELNS1_11target_archE1201ELNS1_3gpuE5ELNS1_3repE0EEENS1_30default_config_static_selectorELNS0_4arch9wavefront6targetE1EEEvT1_ ; -- Begin function _ZN7rocprim17ROCPRIM_400000_NS6detail17trampoline_kernelINS0_14default_configENS1_35adjacent_difference_config_selectorILb1ElEEZNS1_24adjacent_difference_implIS3_Lb1ELb0EPlS7_ZN2at6native12_GLOBAL__N_124unique_dim_cuda_templateIbEESt5tupleIJNS8_6TensorESD_SD_EERKSD_lbbbEUlllE1_EE10hipError_tPvRmT2_T3_mT4_P12ihipStream_tbEUlT_E_NS1_11comp_targetILNS1_3genE10ELNS1_11target_archE1201ELNS1_3gpuE5ELNS1_3repE0EEENS1_30default_config_static_selectorELNS0_4arch9wavefront6targetE1EEEvT1_
	.p2align	8
	.type	_ZN7rocprim17ROCPRIM_400000_NS6detail17trampoline_kernelINS0_14default_configENS1_35adjacent_difference_config_selectorILb1ElEEZNS1_24adjacent_difference_implIS3_Lb1ELb0EPlS7_ZN2at6native12_GLOBAL__N_124unique_dim_cuda_templateIbEESt5tupleIJNS8_6TensorESD_SD_EERKSD_lbbbEUlllE1_EE10hipError_tPvRmT2_T3_mT4_P12ihipStream_tbEUlT_E_NS1_11comp_targetILNS1_3genE10ELNS1_11target_archE1201ELNS1_3gpuE5ELNS1_3repE0EEENS1_30default_config_static_selectorELNS0_4arch9wavefront6targetE1EEEvT1_,@function
_ZN7rocprim17ROCPRIM_400000_NS6detail17trampoline_kernelINS0_14default_configENS1_35adjacent_difference_config_selectorILb1ElEEZNS1_24adjacent_difference_implIS3_Lb1ELb0EPlS7_ZN2at6native12_GLOBAL__N_124unique_dim_cuda_templateIbEESt5tupleIJNS8_6TensorESD_SD_EERKSD_lbbbEUlllE1_EE10hipError_tPvRmT2_T3_mT4_P12ihipStream_tbEUlT_E_NS1_11comp_targetILNS1_3genE10ELNS1_11target_archE1201ELNS1_3gpuE5ELNS1_3repE0EEENS1_30default_config_static_selectorELNS0_4arch9wavefront6targetE1EEEvT1_: ; @_ZN7rocprim17ROCPRIM_400000_NS6detail17trampoline_kernelINS0_14default_configENS1_35adjacent_difference_config_selectorILb1ElEEZNS1_24adjacent_difference_implIS3_Lb1ELb0EPlS7_ZN2at6native12_GLOBAL__N_124unique_dim_cuda_templateIbEESt5tupleIJNS8_6TensorESD_SD_EERKSD_lbbbEUlllE1_EE10hipError_tPvRmT2_T3_mT4_P12ihipStream_tbEUlT_E_NS1_11comp_targetILNS1_3genE10ELNS1_11target_archE1201ELNS1_3gpuE5ELNS1_3repE0EEENS1_30default_config_static_selectorELNS0_4arch9wavefront6targetE1EEEvT1_
; %bb.0:
	.section	.rodata,"a",@progbits
	.p2align	6, 0x0
	.amdhsa_kernel _ZN7rocprim17ROCPRIM_400000_NS6detail17trampoline_kernelINS0_14default_configENS1_35adjacent_difference_config_selectorILb1ElEEZNS1_24adjacent_difference_implIS3_Lb1ELb0EPlS7_ZN2at6native12_GLOBAL__N_124unique_dim_cuda_templateIbEESt5tupleIJNS8_6TensorESD_SD_EERKSD_lbbbEUlllE1_EE10hipError_tPvRmT2_T3_mT4_P12ihipStream_tbEUlT_E_NS1_11comp_targetILNS1_3genE10ELNS1_11target_archE1201ELNS1_3gpuE5ELNS1_3repE0EEENS1_30default_config_static_selectorELNS0_4arch9wavefront6targetE1EEEvT1_
		.amdhsa_group_segment_fixed_size 0
		.amdhsa_private_segment_fixed_size 0
		.amdhsa_kernarg_size 64
		.amdhsa_user_sgpr_count 2
		.amdhsa_user_sgpr_dispatch_ptr 0
		.amdhsa_user_sgpr_queue_ptr 0
		.amdhsa_user_sgpr_kernarg_segment_ptr 1
		.amdhsa_user_sgpr_dispatch_id 0
		.amdhsa_user_sgpr_kernarg_preload_length 0
		.amdhsa_user_sgpr_kernarg_preload_offset 0
		.amdhsa_user_sgpr_private_segment_size 0
		.amdhsa_uses_dynamic_stack 0
		.amdhsa_enable_private_segment 0
		.amdhsa_system_sgpr_workgroup_id_x 1
		.amdhsa_system_sgpr_workgroup_id_y 0
		.amdhsa_system_sgpr_workgroup_id_z 0
		.amdhsa_system_sgpr_workgroup_info 0
		.amdhsa_system_vgpr_workitem_id 0
		.amdhsa_next_free_vgpr 1
		.amdhsa_next_free_sgpr 0
		.amdhsa_accum_offset 4
		.amdhsa_reserve_vcc 0
		.amdhsa_float_round_mode_32 0
		.amdhsa_float_round_mode_16_64 0
		.amdhsa_float_denorm_mode_32 3
		.amdhsa_float_denorm_mode_16_64 3
		.amdhsa_dx10_clamp 1
		.amdhsa_ieee_mode 1
		.amdhsa_fp16_overflow 0
		.amdhsa_tg_split 0
		.amdhsa_exception_fp_ieee_invalid_op 0
		.amdhsa_exception_fp_denorm_src 0
		.amdhsa_exception_fp_ieee_div_zero 0
		.amdhsa_exception_fp_ieee_overflow 0
		.amdhsa_exception_fp_ieee_underflow 0
		.amdhsa_exception_fp_ieee_inexact 0
		.amdhsa_exception_int_div_zero 0
	.end_amdhsa_kernel
	.section	.text._ZN7rocprim17ROCPRIM_400000_NS6detail17trampoline_kernelINS0_14default_configENS1_35adjacent_difference_config_selectorILb1ElEEZNS1_24adjacent_difference_implIS3_Lb1ELb0EPlS7_ZN2at6native12_GLOBAL__N_124unique_dim_cuda_templateIbEESt5tupleIJNS8_6TensorESD_SD_EERKSD_lbbbEUlllE1_EE10hipError_tPvRmT2_T3_mT4_P12ihipStream_tbEUlT_E_NS1_11comp_targetILNS1_3genE10ELNS1_11target_archE1201ELNS1_3gpuE5ELNS1_3repE0EEENS1_30default_config_static_selectorELNS0_4arch9wavefront6targetE1EEEvT1_,"axG",@progbits,_ZN7rocprim17ROCPRIM_400000_NS6detail17trampoline_kernelINS0_14default_configENS1_35adjacent_difference_config_selectorILb1ElEEZNS1_24adjacent_difference_implIS3_Lb1ELb0EPlS7_ZN2at6native12_GLOBAL__N_124unique_dim_cuda_templateIbEESt5tupleIJNS8_6TensorESD_SD_EERKSD_lbbbEUlllE1_EE10hipError_tPvRmT2_T3_mT4_P12ihipStream_tbEUlT_E_NS1_11comp_targetILNS1_3genE10ELNS1_11target_archE1201ELNS1_3gpuE5ELNS1_3repE0EEENS1_30default_config_static_selectorELNS0_4arch9wavefront6targetE1EEEvT1_,comdat
.Lfunc_end1044:
	.size	_ZN7rocprim17ROCPRIM_400000_NS6detail17trampoline_kernelINS0_14default_configENS1_35adjacent_difference_config_selectorILb1ElEEZNS1_24adjacent_difference_implIS3_Lb1ELb0EPlS7_ZN2at6native12_GLOBAL__N_124unique_dim_cuda_templateIbEESt5tupleIJNS8_6TensorESD_SD_EERKSD_lbbbEUlllE1_EE10hipError_tPvRmT2_T3_mT4_P12ihipStream_tbEUlT_E_NS1_11comp_targetILNS1_3genE10ELNS1_11target_archE1201ELNS1_3gpuE5ELNS1_3repE0EEENS1_30default_config_static_selectorELNS0_4arch9wavefront6targetE1EEEvT1_, .Lfunc_end1044-_ZN7rocprim17ROCPRIM_400000_NS6detail17trampoline_kernelINS0_14default_configENS1_35adjacent_difference_config_selectorILb1ElEEZNS1_24adjacent_difference_implIS3_Lb1ELb0EPlS7_ZN2at6native12_GLOBAL__N_124unique_dim_cuda_templateIbEESt5tupleIJNS8_6TensorESD_SD_EERKSD_lbbbEUlllE1_EE10hipError_tPvRmT2_T3_mT4_P12ihipStream_tbEUlT_E_NS1_11comp_targetILNS1_3genE10ELNS1_11target_archE1201ELNS1_3gpuE5ELNS1_3repE0EEENS1_30default_config_static_selectorELNS0_4arch9wavefront6targetE1EEEvT1_
                                        ; -- End function
	.set _ZN7rocprim17ROCPRIM_400000_NS6detail17trampoline_kernelINS0_14default_configENS1_35adjacent_difference_config_selectorILb1ElEEZNS1_24adjacent_difference_implIS3_Lb1ELb0EPlS7_ZN2at6native12_GLOBAL__N_124unique_dim_cuda_templateIbEESt5tupleIJNS8_6TensorESD_SD_EERKSD_lbbbEUlllE1_EE10hipError_tPvRmT2_T3_mT4_P12ihipStream_tbEUlT_E_NS1_11comp_targetILNS1_3genE10ELNS1_11target_archE1201ELNS1_3gpuE5ELNS1_3repE0EEENS1_30default_config_static_selectorELNS0_4arch9wavefront6targetE1EEEvT1_.num_vgpr, 0
	.set _ZN7rocprim17ROCPRIM_400000_NS6detail17trampoline_kernelINS0_14default_configENS1_35adjacent_difference_config_selectorILb1ElEEZNS1_24adjacent_difference_implIS3_Lb1ELb0EPlS7_ZN2at6native12_GLOBAL__N_124unique_dim_cuda_templateIbEESt5tupleIJNS8_6TensorESD_SD_EERKSD_lbbbEUlllE1_EE10hipError_tPvRmT2_T3_mT4_P12ihipStream_tbEUlT_E_NS1_11comp_targetILNS1_3genE10ELNS1_11target_archE1201ELNS1_3gpuE5ELNS1_3repE0EEENS1_30default_config_static_selectorELNS0_4arch9wavefront6targetE1EEEvT1_.num_agpr, 0
	.set _ZN7rocprim17ROCPRIM_400000_NS6detail17trampoline_kernelINS0_14default_configENS1_35adjacent_difference_config_selectorILb1ElEEZNS1_24adjacent_difference_implIS3_Lb1ELb0EPlS7_ZN2at6native12_GLOBAL__N_124unique_dim_cuda_templateIbEESt5tupleIJNS8_6TensorESD_SD_EERKSD_lbbbEUlllE1_EE10hipError_tPvRmT2_T3_mT4_P12ihipStream_tbEUlT_E_NS1_11comp_targetILNS1_3genE10ELNS1_11target_archE1201ELNS1_3gpuE5ELNS1_3repE0EEENS1_30default_config_static_selectorELNS0_4arch9wavefront6targetE1EEEvT1_.numbered_sgpr, 0
	.set _ZN7rocprim17ROCPRIM_400000_NS6detail17trampoline_kernelINS0_14default_configENS1_35adjacent_difference_config_selectorILb1ElEEZNS1_24adjacent_difference_implIS3_Lb1ELb0EPlS7_ZN2at6native12_GLOBAL__N_124unique_dim_cuda_templateIbEESt5tupleIJNS8_6TensorESD_SD_EERKSD_lbbbEUlllE1_EE10hipError_tPvRmT2_T3_mT4_P12ihipStream_tbEUlT_E_NS1_11comp_targetILNS1_3genE10ELNS1_11target_archE1201ELNS1_3gpuE5ELNS1_3repE0EEENS1_30default_config_static_selectorELNS0_4arch9wavefront6targetE1EEEvT1_.num_named_barrier, 0
	.set _ZN7rocprim17ROCPRIM_400000_NS6detail17trampoline_kernelINS0_14default_configENS1_35adjacent_difference_config_selectorILb1ElEEZNS1_24adjacent_difference_implIS3_Lb1ELb0EPlS7_ZN2at6native12_GLOBAL__N_124unique_dim_cuda_templateIbEESt5tupleIJNS8_6TensorESD_SD_EERKSD_lbbbEUlllE1_EE10hipError_tPvRmT2_T3_mT4_P12ihipStream_tbEUlT_E_NS1_11comp_targetILNS1_3genE10ELNS1_11target_archE1201ELNS1_3gpuE5ELNS1_3repE0EEENS1_30default_config_static_selectorELNS0_4arch9wavefront6targetE1EEEvT1_.private_seg_size, 0
	.set _ZN7rocprim17ROCPRIM_400000_NS6detail17trampoline_kernelINS0_14default_configENS1_35adjacent_difference_config_selectorILb1ElEEZNS1_24adjacent_difference_implIS3_Lb1ELb0EPlS7_ZN2at6native12_GLOBAL__N_124unique_dim_cuda_templateIbEESt5tupleIJNS8_6TensorESD_SD_EERKSD_lbbbEUlllE1_EE10hipError_tPvRmT2_T3_mT4_P12ihipStream_tbEUlT_E_NS1_11comp_targetILNS1_3genE10ELNS1_11target_archE1201ELNS1_3gpuE5ELNS1_3repE0EEENS1_30default_config_static_selectorELNS0_4arch9wavefront6targetE1EEEvT1_.uses_vcc, 0
	.set _ZN7rocprim17ROCPRIM_400000_NS6detail17trampoline_kernelINS0_14default_configENS1_35adjacent_difference_config_selectorILb1ElEEZNS1_24adjacent_difference_implIS3_Lb1ELb0EPlS7_ZN2at6native12_GLOBAL__N_124unique_dim_cuda_templateIbEESt5tupleIJNS8_6TensorESD_SD_EERKSD_lbbbEUlllE1_EE10hipError_tPvRmT2_T3_mT4_P12ihipStream_tbEUlT_E_NS1_11comp_targetILNS1_3genE10ELNS1_11target_archE1201ELNS1_3gpuE5ELNS1_3repE0EEENS1_30default_config_static_selectorELNS0_4arch9wavefront6targetE1EEEvT1_.uses_flat_scratch, 0
	.set _ZN7rocprim17ROCPRIM_400000_NS6detail17trampoline_kernelINS0_14default_configENS1_35adjacent_difference_config_selectorILb1ElEEZNS1_24adjacent_difference_implIS3_Lb1ELb0EPlS7_ZN2at6native12_GLOBAL__N_124unique_dim_cuda_templateIbEESt5tupleIJNS8_6TensorESD_SD_EERKSD_lbbbEUlllE1_EE10hipError_tPvRmT2_T3_mT4_P12ihipStream_tbEUlT_E_NS1_11comp_targetILNS1_3genE10ELNS1_11target_archE1201ELNS1_3gpuE5ELNS1_3repE0EEENS1_30default_config_static_selectorELNS0_4arch9wavefront6targetE1EEEvT1_.has_dyn_sized_stack, 0
	.set _ZN7rocprim17ROCPRIM_400000_NS6detail17trampoline_kernelINS0_14default_configENS1_35adjacent_difference_config_selectorILb1ElEEZNS1_24adjacent_difference_implIS3_Lb1ELb0EPlS7_ZN2at6native12_GLOBAL__N_124unique_dim_cuda_templateIbEESt5tupleIJNS8_6TensorESD_SD_EERKSD_lbbbEUlllE1_EE10hipError_tPvRmT2_T3_mT4_P12ihipStream_tbEUlT_E_NS1_11comp_targetILNS1_3genE10ELNS1_11target_archE1201ELNS1_3gpuE5ELNS1_3repE0EEENS1_30default_config_static_selectorELNS0_4arch9wavefront6targetE1EEEvT1_.has_recursion, 0
	.set _ZN7rocprim17ROCPRIM_400000_NS6detail17trampoline_kernelINS0_14default_configENS1_35adjacent_difference_config_selectorILb1ElEEZNS1_24adjacent_difference_implIS3_Lb1ELb0EPlS7_ZN2at6native12_GLOBAL__N_124unique_dim_cuda_templateIbEESt5tupleIJNS8_6TensorESD_SD_EERKSD_lbbbEUlllE1_EE10hipError_tPvRmT2_T3_mT4_P12ihipStream_tbEUlT_E_NS1_11comp_targetILNS1_3genE10ELNS1_11target_archE1201ELNS1_3gpuE5ELNS1_3repE0EEENS1_30default_config_static_selectorELNS0_4arch9wavefront6targetE1EEEvT1_.has_indirect_call, 0
	.section	.AMDGPU.csdata,"",@progbits
; Kernel info:
; codeLenInByte = 0
; TotalNumSgprs: 6
; NumVgprs: 0
; NumAgprs: 0
; TotalNumVgprs: 0
; ScratchSize: 0
; MemoryBound: 0
; FloatMode: 240
; IeeeMode: 1
; LDSByteSize: 0 bytes/workgroup (compile time only)
; SGPRBlocks: 0
; VGPRBlocks: 0
; NumSGPRsForWavesPerEU: 6
; NumVGPRsForWavesPerEU: 1
; AccumOffset: 4
; Occupancy: 8
; WaveLimiterHint : 0
; COMPUTE_PGM_RSRC2:SCRATCH_EN: 0
; COMPUTE_PGM_RSRC2:USER_SGPR: 2
; COMPUTE_PGM_RSRC2:TRAP_HANDLER: 0
; COMPUTE_PGM_RSRC2:TGID_X_EN: 1
; COMPUTE_PGM_RSRC2:TGID_Y_EN: 0
; COMPUTE_PGM_RSRC2:TGID_Z_EN: 0
; COMPUTE_PGM_RSRC2:TIDIG_COMP_CNT: 0
; COMPUTE_PGM_RSRC3_GFX90A:ACCUM_OFFSET: 0
; COMPUTE_PGM_RSRC3_GFX90A:TG_SPLIT: 0
	.section	.text._ZN7rocprim17ROCPRIM_400000_NS6detail17trampoline_kernelINS0_14default_configENS1_35adjacent_difference_config_selectorILb1ElEEZNS1_24adjacent_difference_implIS3_Lb1ELb0EPlS7_ZN2at6native12_GLOBAL__N_124unique_dim_cuda_templateIbEESt5tupleIJNS8_6TensorESD_SD_EERKSD_lbbbEUlllE1_EE10hipError_tPvRmT2_T3_mT4_P12ihipStream_tbEUlT_E_NS1_11comp_targetILNS1_3genE5ELNS1_11target_archE942ELNS1_3gpuE9ELNS1_3repE0EEENS1_30default_config_static_selectorELNS0_4arch9wavefront6targetE1EEEvT1_,"axG",@progbits,_ZN7rocprim17ROCPRIM_400000_NS6detail17trampoline_kernelINS0_14default_configENS1_35adjacent_difference_config_selectorILb1ElEEZNS1_24adjacent_difference_implIS3_Lb1ELb0EPlS7_ZN2at6native12_GLOBAL__N_124unique_dim_cuda_templateIbEESt5tupleIJNS8_6TensorESD_SD_EERKSD_lbbbEUlllE1_EE10hipError_tPvRmT2_T3_mT4_P12ihipStream_tbEUlT_E_NS1_11comp_targetILNS1_3genE5ELNS1_11target_archE942ELNS1_3gpuE9ELNS1_3repE0EEENS1_30default_config_static_selectorELNS0_4arch9wavefront6targetE1EEEvT1_,comdat
	.globl	_ZN7rocprim17ROCPRIM_400000_NS6detail17trampoline_kernelINS0_14default_configENS1_35adjacent_difference_config_selectorILb1ElEEZNS1_24adjacent_difference_implIS3_Lb1ELb0EPlS7_ZN2at6native12_GLOBAL__N_124unique_dim_cuda_templateIbEESt5tupleIJNS8_6TensorESD_SD_EERKSD_lbbbEUlllE1_EE10hipError_tPvRmT2_T3_mT4_P12ihipStream_tbEUlT_E_NS1_11comp_targetILNS1_3genE5ELNS1_11target_archE942ELNS1_3gpuE9ELNS1_3repE0EEENS1_30default_config_static_selectorELNS0_4arch9wavefront6targetE1EEEvT1_ ; -- Begin function _ZN7rocprim17ROCPRIM_400000_NS6detail17trampoline_kernelINS0_14default_configENS1_35adjacent_difference_config_selectorILb1ElEEZNS1_24adjacent_difference_implIS3_Lb1ELb0EPlS7_ZN2at6native12_GLOBAL__N_124unique_dim_cuda_templateIbEESt5tupleIJNS8_6TensorESD_SD_EERKSD_lbbbEUlllE1_EE10hipError_tPvRmT2_T3_mT4_P12ihipStream_tbEUlT_E_NS1_11comp_targetILNS1_3genE5ELNS1_11target_archE942ELNS1_3gpuE9ELNS1_3repE0EEENS1_30default_config_static_selectorELNS0_4arch9wavefront6targetE1EEEvT1_
	.p2align	8
	.type	_ZN7rocprim17ROCPRIM_400000_NS6detail17trampoline_kernelINS0_14default_configENS1_35adjacent_difference_config_selectorILb1ElEEZNS1_24adjacent_difference_implIS3_Lb1ELb0EPlS7_ZN2at6native12_GLOBAL__N_124unique_dim_cuda_templateIbEESt5tupleIJNS8_6TensorESD_SD_EERKSD_lbbbEUlllE1_EE10hipError_tPvRmT2_T3_mT4_P12ihipStream_tbEUlT_E_NS1_11comp_targetILNS1_3genE5ELNS1_11target_archE942ELNS1_3gpuE9ELNS1_3repE0EEENS1_30default_config_static_selectorELNS0_4arch9wavefront6targetE1EEEvT1_,@function
_ZN7rocprim17ROCPRIM_400000_NS6detail17trampoline_kernelINS0_14default_configENS1_35adjacent_difference_config_selectorILb1ElEEZNS1_24adjacent_difference_implIS3_Lb1ELb0EPlS7_ZN2at6native12_GLOBAL__N_124unique_dim_cuda_templateIbEESt5tupleIJNS8_6TensorESD_SD_EERKSD_lbbbEUlllE1_EE10hipError_tPvRmT2_T3_mT4_P12ihipStream_tbEUlT_E_NS1_11comp_targetILNS1_3genE5ELNS1_11target_archE942ELNS1_3gpuE9ELNS1_3repE0EEENS1_30default_config_static_selectorELNS0_4arch9wavefront6targetE1EEEvT1_: ; @_ZN7rocprim17ROCPRIM_400000_NS6detail17trampoline_kernelINS0_14default_configENS1_35adjacent_difference_config_selectorILb1ElEEZNS1_24adjacent_difference_implIS3_Lb1ELb0EPlS7_ZN2at6native12_GLOBAL__N_124unique_dim_cuda_templateIbEESt5tupleIJNS8_6TensorESD_SD_EERKSD_lbbbEUlllE1_EE10hipError_tPvRmT2_T3_mT4_P12ihipStream_tbEUlT_E_NS1_11comp_targetILNS1_3genE5ELNS1_11target_archE942ELNS1_3gpuE9ELNS1_3repE0EEENS1_30default_config_static_selectorELNS0_4arch9wavefront6targetE1EEEvT1_
; %bb.0:
	.section	.rodata,"a",@progbits
	.p2align	6, 0x0
	.amdhsa_kernel _ZN7rocprim17ROCPRIM_400000_NS6detail17trampoline_kernelINS0_14default_configENS1_35adjacent_difference_config_selectorILb1ElEEZNS1_24adjacent_difference_implIS3_Lb1ELb0EPlS7_ZN2at6native12_GLOBAL__N_124unique_dim_cuda_templateIbEESt5tupleIJNS8_6TensorESD_SD_EERKSD_lbbbEUlllE1_EE10hipError_tPvRmT2_T3_mT4_P12ihipStream_tbEUlT_E_NS1_11comp_targetILNS1_3genE5ELNS1_11target_archE942ELNS1_3gpuE9ELNS1_3repE0EEENS1_30default_config_static_selectorELNS0_4arch9wavefront6targetE1EEEvT1_
		.amdhsa_group_segment_fixed_size 0
		.amdhsa_private_segment_fixed_size 0
		.amdhsa_kernarg_size 64
		.amdhsa_user_sgpr_count 2
		.amdhsa_user_sgpr_dispatch_ptr 0
		.amdhsa_user_sgpr_queue_ptr 0
		.amdhsa_user_sgpr_kernarg_segment_ptr 1
		.amdhsa_user_sgpr_dispatch_id 0
		.amdhsa_user_sgpr_kernarg_preload_length 0
		.amdhsa_user_sgpr_kernarg_preload_offset 0
		.amdhsa_user_sgpr_private_segment_size 0
		.amdhsa_uses_dynamic_stack 0
		.amdhsa_enable_private_segment 0
		.amdhsa_system_sgpr_workgroup_id_x 1
		.amdhsa_system_sgpr_workgroup_id_y 0
		.amdhsa_system_sgpr_workgroup_id_z 0
		.amdhsa_system_sgpr_workgroup_info 0
		.amdhsa_system_vgpr_workitem_id 0
		.amdhsa_next_free_vgpr 1
		.amdhsa_next_free_sgpr 0
		.amdhsa_accum_offset 4
		.amdhsa_reserve_vcc 0
		.amdhsa_float_round_mode_32 0
		.amdhsa_float_round_mode_16_64 0
		.amdhsa_float_denorm_mode_32 3
		.amdhsa_float_denorm_mode_16_64 3
		.amdhsa_dx10_clamp 1
		.amdhsa_ieee_mode 1
		.amdhsa_fp16_overflow 0
		.amdhsa_tg_split 0
		.amdhsa_exception_fp_ieee_invalid_op 0
		.amdhsa_exception_fp_denorm_src 0
		.amdhsa_exception_fp_ieee_div_zero 0
		.amdhsa_exception_fp_ieee_overflow 0
		.amdhsa_exception_fp_ieee_underflow 0
		.amdhsa_exception_fp_ieee_inexact 0
		.amdhsa_exception_int_div_zero 0
	.end_amdhsa_kernel
	.section	.text._ZN7rocprim17ROCPRIM_400000_NS6detail17trampoline_kernelINS0_14default_configENS1_35adjacent_difference_config_selectorILb1ElEEZNS1_24adjacent_difference_implIS3_Lb1ELb0EPlS7_ZN2at6native12_GLOBAL__N_124unique_dim_cuda_templateIbEESt5tupleIJNS8_6TensorESD_SD_EERKSD_lbbbEUlllE1_EE10hipError_tPvRmT2_T3_mT4_P12ihipStream_tbEUlT_E_NS1_11comp_targetILNS1_3genE5ELNS1_11target_archE942ELNS1_3gpuE9ELNS1_3repE0EEENS1_30default_config_static_selectorELNS0_4arch9wavefront6targetE1EEEvT1_,"axG",@progbits,_ZN7rocprim17ROCPRIM_400000_NS6detail17trampoline_kernelINS0_14default_configENS1_35adjacent_difference_config_selectorILb1ElEEZNS1_24adjacent_difference_implIS3_Lb1ELb0EPlS7_ZN2at6native12_GLOBAL__N_124unique_dim_cuda_templateIbEESt5tupleIJNS8_6TensorESD_SD_EERKSD_lbbbEUlllE1_EE10hipError_tPvRmT2_T3_mT4_P12ihipStream_tbEUlT_E_NS1_11comp_targetILNS1_3genE5ELNS1_11target_archE942ELNS1_3gpuE9ELNS1_3repE0EEENS1_30default_config_static_selectorELNS0_4arch9wavefront6targetE1EEEvT1_,comdat
.Lfunc_end1045:
	.size	_ZN7rocprim17ROCPRIM_400000_NS6detail17trampoline_kernelINS0_14default_configENS1_35adjacent_difference_config_selectorILb1ElEEZNS1_24adjacent_difference_implIS3_Lb1ELb0EPlS7_ZN2at6native12_GLOBAL__N_124unique_dim_cuda_templateIbEESt5tupleIJNS8_6TensorESD_SD_EERKSD_lbbbEUlllE1_EE10hipError_tPvRmT2_T3_mT4_P12ihipStream_tbEUlT_E_NS1_11comp_targetILNS1_3genE5ELNS1_11target_archE942ELNS1_3gpuE9ELNS1_3repE0EEENS1_30default_config_static_selectorELNS0_4arch9wavefront6targetE1EEEvT1_, .Lfunc_end1045-_ZN7rocprim17ROCPRIM_400000_NS6detail17trampoline_kernelINS0_14default_configENS1_35adjacent_difference_config_selectorILb1ElEEZNS1_24adjacent_difference_implIS3_Lb1ELb0EPlS7_ZN2at6native12_GLOBAL__N_124unique_dim_cuda_templateIbEESt5tupleIJNS8_6TensorESD_SD_EERKSD_lbbbEUlllE1_EE10hipError_tPvRmT2_T3_mT4_P12ihipStream_tbEUlT_E_NS1_11comp_targetILNS1_3genE5ELNS1_11target_archE942ELNS1_3gpuE9ELNS1_3repE0EEENS1_30default_config_static_selectorELNS0_4arch9wavefront6targetE1EEEvT1_
                                        ; -- End function
	.set _ZN7rocprim17ROCPRIM_400000_NS6detail17trampoline_kernelINS0_14default_configENS1_35adjacent_difference_config_selectorILb1ElEEZNS1_24adjacent_difference_implIS3_Lb1ELb0EPlS7_ZN2at6native12_GLOBAL__N_124unique_dim_cuda_templateIbEESt5tupleIJNS8_6TensorESD_SD_EERKSD_lbbbEUlllE1_EE10hipError_tPvRmT2_T3_mT4_P12ihipStream_tbEUlT_E_NS1_11comp_targetILNS1_3genE5ELNS1_11target_archE942ELNS1_3gpuE9ELNS1_3repE0EEENS1_30default_config_static_selectorELNS0_4arch9wavefront6targetE1EEEvT1_.num_vgpr, 0
	.set _ZN7rocprim17ROCPRIM_400000_NS6detail17trampoline_kernelINS0_14default_configENS1_35adjacent_difference_config_selectorILb1ElEEZNS1_24adjacent_difference_implIS3_Lb1ELb0EPlS7_ZN2at6native12_GLOBAL__N_124unique_dim_cuda_templateIbEESt5tupleIJNS8_6TensorESD_SD_EERKSD_lbbbEUlllE1_EE10hipError_tPvRmT2_T3_mT4_P12ihipStream_tbEUlT_E_NS1_11comp_targetILNS1_3genE5ELNS1_11target_archE942ELNS1_3gpuE9ELNS1_3repE0EEENS1_30default_config_static_selectorELNS0_4arch9wavefront6targetE1EEEvT1_.num_agpr, 0
	.set _ZN7rocprim17ROCPRIM_400000_NS6detail17trampoline_kernelINS0_14default_configENS1_35adjacent_difference_config_selectorILb1ElEEZNS1_24adjacent_difference_implIS3_Lb1ELb0EPlS7_ZN2at6native12_GLOBAL__N_124unique_dim_cuda_templateIbEESt5tupleIJNS8_6TensorESD_SD_EERKSD_lbbbEUlllE1_EE10hipError_tPvRmT2_T3_mT4_P12ihipStream_tbEUlT_E_NS1_11comp_targetILNS1_3genE5ELNS1_11target_archE942ELNS1_3gpuE9ELNS1_3repE0EEENS1_30default_config_static_selectorELNS0_4arch9wavefront6targetE1EEEvT1_.numbered_sgpr, 0
	.set _ZN7rocprim17ROCPRIM_400000_NS6detail17trampoline_kernelINS0_14default_configENS1_35adjacent_difference_config_selectorILb1ElEEZNS1_24adjacent_difference_implIS3_Lb1ELb0EPlS7_ZN2at6native12_GLOBAL__N_124unique_dim_cuda_templateIbEESt5tupleIJNS8_6TensorESD_SD_EERKSD_lbbbEUlllE1_EE10hipError_tPvRmT2_T3_mT4_P12ihipStream_tbEUlT_E_NS1_11comp_targetILNS1_3genE5ELNS1_11target_archE942ELNS1_3gpuE9ELNS1_3repE0EEENS1_30default_config_static_selectorELNS0_4arch9wavefront6targetE1EEEvT1_.num_named_barrier, 0
	.set _ZN7rocprim17ROCPRIM_400000_NS6detail17trampoline_kernelINS0_14default_configENS1_35adjacent_difference_config_selectorILb1ElEEZNS1_24adjacent_difference_implIS3_Lb1ELb0EPlS7_ZN2at6native12_GLOBAL__N_124unique_dim_cuda_templateIbEESt5tupleIJNS8_6TensorESD_SD_EERKSD_lbbbEUlllE1_EE10hipError_tPvRmT2_T3_mT4_P12ihipStream_tbEUlT_E_NS1_11comp_targetILNS1_3genE5ELNS1_11target_archE942ELNS1_3gpuE9ELNS1_3repE0EEENS1_30default_config_static_selectorELNS0_4arch9wavefront6targetE1EEEvT1_.private_seg_size, 0
	.set _ZN7rocprim17ROCPRIM_400000_NS6detail17trampoline_kernelINS0_14default_configENS1_35adjacent_difference_config_selectorILb1ElEEZNS1_24adjacent_difference_implIS3_Lb1ELb0EPlS7_ZN2at6native12_GLOBAL__N_124unique_dim_cuda_templateIbEESt5tupleIJNS8_6TensorESD_SD_EERKSD_lbbbEUlllE1_EE10hipError_tPvRmT2_T3_mT4_P12ihipStream_tbEUlT_E_NS1_11comp_targetILNS1_3genE5ELNS1_11target_archE942ELNS1_3gpuE9ELNS1_3repE0EEENS1_30default_config_static_selectorELNS0_4arch9wavefront6targetE1EEEvT1_.uses_vcc, 0
	.set _ZN7rocprim17ROCPRIM_400000_NS6detail17trampoline_kernelINS0_14default_configENS1_35adjacent_difference_config_selectorILb1ElEEZNS1_24adjacent_difference_implIS3_Lb1ELb0EPlS7_ZN2at6native12_GLOBAL__N_124unique_dim_cuda_templateIbEESt5tupleIJNS8_6TensorESD_SD_EERKSD_lbbbEUlllE1_EE10hipError_tPvRmT2_T3_mT4_P12ihipStream_tbEUlT_E_NS1_11comp_targetILNS1_3genE5ELNS1_11target_archE942ELNS1_3gpuE9ELNS1_3repE0EEENS1_30default_config_static_selectorELNS0_4arch9wavefront6targetE1EEEvT1_.uses_flat_scratch, 0
	.set _ZN7rocprim17ROCPRIM_400000_NS6detail17trampoline_kernelINS0_14default_configENS1_35adjacent_difference_config_selectorILb1ElEEZNS1_24adjacent_difference_implIS3_Lb1ELb0EPlS7_ZN2at6native12_GLOBAL__N_124unique_dim_cuda_templateIbEESt5tupleIJNS8_6TensorESD_SD_EERKSD_lbbbEUlllE1_EE10hipError_tPvRmT2_T3_mT4_P12ihipStream_tbEUlT_E_NS1_11comp_targetILNS1_3genE5ELNS1_11target_archE942ELNS1_3gpuE9ELNS1_3repE0EEENS1_30default_config_static_selectorELNS0_4arch9wavefront6targetE1EEEvT1_.has_dyn_sized_stack, 0
	.set _ZN7rocprim17ROCPRIM_400000_NS6detail17trampoline_kernelINS0_14default_configENS1_35adjacent_difference_config_selectorILb1ElEEZNS1_24adjacent_difference_implIS3_Lb1ELb0EPlS7_ZN2at6native12_GLOBAL__N_124unique_dim_cuda_templateIbEESt5tupleIJNS8_6TensorESD_SD_EERKSD_lbbbEUlllE1_EE10hipError_tPvRmT2_T3_mT4_P12ihipStream_tbEUlT_E_NS1_11comp_targetILNS1_3genE5ELNS1_11target_archE942ELNS1_3gpuE9ELNS1_3repE0EEENS1_30default_config_static_selectorELNS0_4arch9wavefront6targetE1EEEvT1_.has_recursion, 0
	.set _ZN7rocprim17ROCPRIM_400000_NS6detail17trampoline_kernelINS0_14default_configENS1_35adjacent_difference_config_selectorILb1ElEEZNS1_24adjacent_difference_implIS3_Lb1ELb0EPlS7_ZN2at6native12_GLOBAL__N_124unique_dim_cuda_templateIbEESt5tupleIJNS8_6TensorESD_SD_EERKSD_lbbbEUlllE1_EE10hipError_tPvRmT2_T3_mT4_P12ihipStream_tbEUlT_E_NS1_11comp_targetILNS1_3genE5ELNS1_11target_archE942ELNS1_3gpuE9ELNS1_3repE0EEENS1_30default_config_static_selectorELNS0_4arch9wavefront6targetE1EEEvT1_.has_indirect_call, 0
	.section	.AMDGPU.csdata,"",@progbits
; Kernel info:
; codeLenInByte = 0
; TotalNumSgprs: 6
; NumVgprs: 0
; NumAgprs: 0
; TotalNumVgprs: 0
; ScratchSize: 0
; MemoryBound: 0
; FloatMode: 240
; IeeeMode: 1
; LDSByteSize: 0 bytes/workgroup (compile time only)
; SGPRBlocks: 0
; VGPRBlocks: 0
; NumSGPRsForWavesPerEU: 6
; NumVGPRsForWavesPerEU: 1
; AccumOffset: 4
; Occupancy: 8
; WaveLimiterHint : 0
; COMPUTE_PGM_RSRC2:SCRATCH_EN: 0
; COMPUTE_PGM_RSRC2:USER_SGPR: 2
; COMPUTE_PGM_RSRC2:TRAP_HANDLER: 0
; COMPUTE_PGM_RSRC2:TGID_X_EN: 1
; COMPUTE_PGM_RSRC2:TGID_Y_EN: 0
; COMPUTE_PGM_RSRC2:TGID_Z_EN: 0
; COMPUTE_PGM_RSRC2:TIDIG_COMP_CNT: 0
; COMPUTE_PGM_RSRC3_GFX90A:ACCUM_OFFSET: 0
; COMPUTE_PGM_RSRC3_GFX90A:TG_SPLIT: 0
	.section	.text._ZN7rocprim17ROCPRIM_400000_NS6detail17trampoline_kernelINS0_14default_configENS1_35adjacent_difference_config_selectorILb1ElEEZNS1_24adjacent_difference_implIS3_Lb1ELb0EPlS7_ZN2at6native12_GLOBAL__N_124unique_dim_cuda_templateIbEESt5tupleIJNS8_6TensorESD_SD_EERKSD_lbbbEUlllE1_EE10hipError_tPvRmT2_T3_mT4_P12ihipStream_tbEUlT_E_NS1_11comp_targetILNS1_3genE4ELNS1_11target_archE910ELNS1_3gpuE8ELNS1_3repE0EEENS1_30default_config_static_selectorELNS0_4arch9wavefront6targetE1EEEvT1_,"axG",@progbits,_ZN7rocprim17ROCPRIM_400000_NS6detail17trampoline_kernelINS0_14default_configENS1_35adjacent_difference_config_selectorILb1ElEEZNS1_24adjacent_difference_implIS3_Lb1ELb0EPlS7_ZN2at6native12_GLOBAL__N_124unique_dim_cuda_templateIbEESt5tupleIJNS8_6TensorESD_SD_EERKSD_lbbbEUlllE1_EE10hipError_tPvRmT2_T3_mT4_P12ihipStream_tbEUlT_E_NS1_11comp_targetILNS1_3genE4ELNS1_11target_archE910ELNS1_3gpuE8ELNS1_3repE0EEENS1_30default_config_static_selectorELNS0_4arch9wavefront6targetE1EEEvT1_,comdat
	.globl	_ZN7rocprim17ROCPRIM_400000_NS6detail17trampoline_kernelINS0_14default_configENS1_35adjacent_difference_config_selectorILb1ElEEZNS1_24adjacent_difference_implIS3_Lb1ELb0EPlS7_ZN2at6native12_GLOBAL__N_124unique_dim_cuda_templateIbEESt5tupleIJNS8_6TensorESD_SD_EERKSD_lbbbEUlllE1_EE10hipError_tPvRmT2_T3_mT4_P12ihipStream_tbEUlT_E_NS1_11comp_targetILNS1_3genE4ELNS1_11target_archE910ELNS1_3gpuE8ELNS1_3repE0EEENS1_30default_config_static_selectorELNS0_4arch9wavefront6targetE1EEEvT1_ ; -- Begin function _ZN7rocprim17ROCPRIM_400000_NS6detail17trampoline_kernelINS0_14default_configENS1_35adjacent_difference_config_selectorILb1ElEEZNS1_24adjacent_difference_implIS3_Lb1ELb0EPlS7_ZN2at6native12_GLOBAL__N_124unique_dim_cuda_templateIbEESt5tupleIJNS8_6TensorESD_SD_EERKSD_lbbbEUlllE1_EE10hipError_tPvRmT2_T3_mT4_P12ihipStream_tbEUlT_E_NS1_11comp_targetILNS1_3genE4ELNS1_11target_archE910ELNS1_3gpuE8ELNS1_3repE0EEENS1_30default_config_static_selectorELNS0_4arch9wavefront6targetE1EEEvT1_
	.p2align	8
	.type	_ZN7rocprim17ROCPRIM_400000_NS6detail17trampoline_kernelINS0_14default_configENS1_35adjacent_difference_config_selectorILb1ElEEZNS1_24adjacent_difference_implIS3_Lb1ELb0EPlS7_ZN2at6native12_GLOBAL__N_124unique_dim_cuda_templateIbEESt5tupleIJNS8_6TensorESD_SD_EERKSD_lbbbEUlllE1_EE10hipError_tPvRmT2_T3_mT4_P12ihipStream_tbEUlT_E_NS1_11comp_targetILNS1_3genE4ELNS1_11target_archE910ELNS1_3gpuE8ELNS1_3repE0EEENS1_30default_config_static_selectorELNS0_4arch9wavefront6targetE1EEEvT1_,@function
_ZN7rocprim17ROCPRIM_400000_NS6detail17trampoline_kernelINS0_14default_configENS1_35adjacent_difference_config_selectorILb1ElEEZNS1_24adjacent_difference_implIS3_Lb1ELb0EPlS7_ZN2at6native12_GLOBAL__N_124unique_dim_cuda_templateIbEESt5tupleIJNS8_6TensorESD_SD_EERKSD_lbbbEUlllE1_EE10hipError_tPvRmT2_T3_mT4_P12ihipStream_tbEUlT_E_NS1_11comp_targetILNS1_3genE4ELNS1_11target_archE910ELNS1_3gpuE8ELNS1_3repE0EEENS1_30default_config_static_selectorELNS0_4arch9wavefront6targetE1EEEvT1_: ; @_ZN7rocprim17ROCPRIM_400000_NS6detail17trampoline_kernelINS0_14default_configENS1_35adjacent_difference_config_selectorILb1ElEEZNS1_24adjacent_difference_implIS3_Lb1ELb0EPlS7_ZN2at6native12_GLOBAL__N_124unique_dim_cuda_templateIbEESt5tupleIJNS8_6TensorESD_SD_EERKSD_lbbbEUlllE1_EE10hipError_tPvRmT2_T3_mT4_P12ihipStream_tbEUlT_E_NS1_11comp_targetILNS1_3genE4ELNS1_11target_archE910ELNS1_3gpuE8ELNS1_3repE0EEENS1_30default_config_static_selectorELNS0_4arch9wavefront6targetE1EEEvT1_
; %bb.0:
	.section	.rodata,"a",@progbits
	.p2align	6, 0x0
	.amdhsa_kernel _ZN7rocprim17ROCPRIM_400000_NS6detail17trampoline_kernelINS0_14default_configENS1_35adjacent_difference_config_selectorILb1ElEEZNS1_24adjacent_difference_implIS3_Lb1ELb0EPlS7_ZN2at6native12_GLOBAL__N_124unique_dim_cuda_templateIbEESt5tupleIJNS8_6TensorESD_SD_EERKSD_lbbbEUlllE1_EE10hipError_tPvRmT2_T3_mT4_P12ihipStream_tbEUlT_E_NS1_11comp_targetILNS1_3genE4ELNS1_11target_archE910ELNS1_3gpuE8ELNS1_3repE0EEENS1_30default_config_static_selectorELNS0_4arch9wavefront6targetE1EEEvT1_
		.amdhsa_group_segment_fixed_size 0
		.amdhsa_private_segment_fixed_size 0
		.amdhsa_kernarg_size 64
		.amdhsa_user_sgpr_count 2
		.amdhsa_user_sgpr_dispatch_ptr 0
		.amdhsa_user_sgpr_queue_ptr 0
		.amdhsa_user_sgpr_kernarg_segment_ptr 1
		.amdhsa_user_sgpr_dispatch_id 0
		.amdhsa_user_sgpr_kernarg_preload_length 0
		.amdhsa_user_sgpr_kernarg_preload_offset 0
		.amdhsa_user_sgpr_private_segment_size 0
		.amdhsa_uses_dynamic_stack 0
		.amdhsa_enable_private_segment 0
		.amdhsa_system_sgpr_workgroup_id_x 1
		.amdhsa_system_sgpr_workgroup_id_y 0
		.amdhsa_system_sgpr_workgroup_id_z 0
		.amdhsa_system_sgpr_workgroup_info 0
		.amdhsa_system_vgpr_workitem_id 0
		.amdhsa_next_free_vgpr 1
		.amdhsa_next_free_sgpr 0
		.amdhsa_accum_offset 4
		.amdhsa_reserve_vcc 0
		.amdhsa_float_round_mode_32 0
		.amdhsa_float_round_mode_16_64 0
		.amdhsa_float_denorm_mode_32 3
		.amdhsa_float_denorm_mode_16_64 3
		.amdhsa_dx10_clamp 1
		.amdhsa_ieee_mode 1
		.amdhsa_fp16_overflow 0
		.amdhsa_tg_split 0
		.amdhsa_exception_fp_ieee_invalid_op 0
		.amdhsa_exception_fp_denorm_src 0
		.amdhsa_exception_fp_ieee_div_zero 0
		.amdhsa_exception_fp_ieee_overflow 0
		.amdhsa_exception_fp_ieee_underflow 0
		.amdhsa_exception_fp_ieee_inexact 0
		.amdhsa_exception_int_div_zero 0
	.end_amdhsa_kernel
	.section	.text._ZN7rocprim17ROCPRIM_400000_NS6detail17trampoline_kernelINS0_14default_configENS1_35adjacent_difference_config_selectorILb1ElEEZNS1_24adjacent_difference_implIS3_Lb1ELb0EPlS7_ZN2at6native12_GLOBAL__N_124unique_dim_cuda_templateIbEESt5tupleIJNS8_6TensorESD_SD_EERKSD_lbbbEUlllE1_EE10hipError_tPvRmT2_T3_mT4_P12ihipStream_tbEUlT_E_NS1_11comp_targetILNS1_3genE4ELNS1_11target_archE910ELNS1_3gpuE8ELNS1_3repE0EEENS1_30default_config_static_selectorELNS0_4arch9wavefront6targetE1EEEvT1_,"axG",@progbits,_ZN7rocprim17ROCPRIM_400000_NS6detail17trampoline_kernelINS0_14default_configENS1_35adjacent_difference_config_selectorILb1ElEEZNS1_24adjacent_difference_implIS3_Lb1ELb0EPlS7_ZN2at6native12_GLOBAL__N_124unique_dim_cuda_templateIbEESt5tupleIJNS8_6TensorESD_SD_EERKSD_lbbbEUlllE1_EE10hipError_tPvRmT2_T3_mT4_P12ihipStream_tbEUlT_E_NS1_11comp_targetILNS1_3genE4ELNS1_11target_archE910ELNS1_3gpuE8ELNS1_3repE0EEENS1_30default_config_static_selectorELNS0_4arch9wavefront6targetE1EEEvT1_,comdat
.Lfunc_end1046:
	.size	_ZN7rocprim17ROCPRIM_400000_NS6detail17trampoline_kernelINS0_14default_configENS1_35adjacent_difference_config_selectorILb1ElEEZNS1_24adjacent_difference_implIS3_Lb1ELb0EPlS7_ZN2at6native12_GLOBAL__N_124unique_dim_cuda_templateIbEESt5tupleIJNS8_6TensorESD_SD_EERKSD_lbbbEUlllE1_EE10hipError_tPvRmT2_T3_mT4_P12ihipStream_tbEUlT_E_NS1_11comp_targetILNS1_3genE4ELNS1_11target_archE910ELNS1_3gpuE8ELNS1_3repE0EEENS1_30default_config_static_selectorELNS0_4arch9wavefront6targetE1EEEvT1_, .Lfunc_end1046-_ZN7rocprim17ROCPRIM_400000_NS6detail17trampoline_kernelINS0_14default_configENS1_35adjacent_difference_config_selectorILb1ElEEZNS1_24adjacent_difference_implIS3_Lb1ELb0EPlS7_ZN2at6native12_GLOBAL__N_124unique_dim_cuda_templateIbEESt5tupleIJNS8_6TensorESD_SD_EERKSD_lbbbEUlllE1_EE10hipError_tPvRmT2_T3_mT4_P12ihipStream_tbEUlT_E_NS1_11comp_targetILNS1_3genE4ELNS1_11target_archE910ELNS1_3gpuE8ELNS1_3repE0EEENS1_30default_config_static_selectorELNS0_4arch9wavefront6targetE1EEEvT1_
                                        ; -- End function
	.set _ZN7rocprim17ROCPRIM_400000_NS6detail17trampoline_kernelINS0_14default_configENS1_35adjacent_difference_config_selectorILb1ElEEZNS1_24adjacent_difference_implIS3_Lb1ELb0EPlS7_ZN2at6native12_GLOBAL__N_124unique_dim_cuda_templateIbEESt5tupleIJNS8_6TensorESD_SD_EERKSD_lbbbEUlllE1_EE10hipError_tPvRmT2_T3_mT4_P12ihipStream_tbEUlT_E_NS1_11comp_targetILNS1_3genE4ELNS1_11target_archE910ELNS1_3gpuE8ELNS1_3repE0EEENS1_30default_config_static_selectorELNS0_4arch9wavefront6targetE1EEEvT1_.num_vgpr, 0
	.set _ZN7rocprim17ROCPRIM_400000_NS6detail17trampoline_kernelINS0_14default_configENS1_35adjacent_difference_config_selectorILb1ElEEZNS1_24adjacent_difference_implIS3_Lb1ELb0EPlS7_ZN2at6native12_GLOBAL__N_124unique_dim_cuda_templateIbEESt5tupleIJNS8_6TensorESD_SD_EERKSD_lbbbEUlllE1_EE10hipError_tPvRmT2_T3_mT4_P12ihipStream_tbEUlT_E_NS1_11comp_targetILNS1_3genE4ELNS1_11target_archE910ELNS1_3gpuE8ELNS1_3repE0EEENS1_30default_config_static_selectorELNS0_4arch9wavefront6targetE1EEEvT1_.num_agpr, 0
	.set _ZN7rocprim17ROCPRIM_400000_NS6detail17trampoline_kernelINS0_14default_configENS1_35adjacent_difference_config_selectorILb1ElEEZNS1_24adjacent_difference_implIS3_Lb1ELb0EPlS7_ZN2at6native12_GLOBAL__N_124unique_dim_cuda_templateIbEESt5tupleIJNS8_6TensorESD_SD_EERKSD_lbbbEUlllE1_EE10hipError_tPvRmT2_T3_mT4_P12ihipStream_tbEUlT_E_NS1_11comp_targetILNS1_3genE4ELNS1_11target_archE910ELNS1_3gpuE8ELNS1_3repE0EEENS1_30default_config_static_selectorELNS0_4arch9wavefront6targetE1EEEvT1_.numbered_sgpr, 0
	.set _ZN7rocprim17ROCPRIM_400000_NS6detail17trampoline_kernelINS0_14default_configENS1_35adjacent_difference_config_selectorILb1ElEEZNS1_24adjacent_difference_implIS3_Lb1ELb0EPlS7_ZN2at6native12_GLOBAL__N_124unique_dim_cuda_templateIbEESt5tupleIJNS8_6TensorESD_SD_EERKSD_lbbbEUlllE1_EE10hipError_tPvRmT2_T3_mT4_P12ihipStream_tbEUlT_E_NS1_11comp_targetILNS1_3genE4ELNS1_11target_archE910ELNS1_3gpuE8ELNS1_3repE0EEENS1_30default_config_static_selectorELNS0_4arch9wavefront6targetE1EEEvT1_.num_named_barrier, 0
	.set _ZN7rocprim17ROCPRIM_400000_NS6detail17trampoline_kernelINS0_14default_configENS1_35adjacent_difference_config_selectorILb1ElEEZNS1_24adjacent_difference_implIS3_Lb1ELb0EPlS7_ZN2at6native12_GLOBAL__N_124unique_dim_cuda_templateIbEESt5tupleIJNS8_6TensorESD_SD_EERKSD_lbbbEUlllE1_EE10hipError_tPvRmT2_T3_mT4_P12ihipStream_tbEUlT_E_NS1_11comp_targetILNS1_3genE4ELNS1_11target_archE910ELNS1_3gpuE8ELNS1_3repE0EEENS1_30default_config_static_selectorELNS0_4arch9wavefront6targetE1EEEvT1_.private_seg_size, 0
	.set _ZN7rocprim17ROCPRIM_400000_NS6detail17trampoline_kernelINS0_14default_configENS1_35adjacent_difference_config_selectorILb1ElEEZNS1_24adjacent_difference_implIS3_Lb1ELb0EPlS7_ZN2at6native12_GLOBAL__N_124unique_dim_cuda_templateIbEESt5tupleIJNS8_6TensorESD_SD_EERKSD_lbbbEUlllE1_EE10hipError_tPvRmT2_T3_mT4_P12ihipStream_tbEUlT_E_NS1_11comp_targetILNS1_3genE4ELNS1_11target_archE910ELNS1_3gpuE8ELNS1_3repE0EEENS1_30default_config_static_selectorELNS0_4arch9wavefront6targetE1EEEvT1_.uses_vcc, 0
	.set _ZN7rocprim17ROCPRIM_400000_NS6detail17trampoline_kernelINS0_14default_configENS1_35adjacent_difference_config_selectorILb1ElEEZNS1_24adjacent_difference_implIS3_Lb1ELb0EPlS7_ZN2at6native12_GLOBAL__N_124unique_dim_cuda_templateIbEESt5tupleIJNS8_6TensorESD_SD_EERKSD_lbbbEUlllE1_EE10hipError_tPvRmT2_T3_mT4_P12ihipStream_tbEUlT_E_NS1_11comp_targetILNS1_3genE4ELNS1_11target_archE910ELNS1_3gpuE8ELNS1_3repE0EEENS1_30default_config_static_selectorELNS0_4arch9wavefront6targetE1EEEvT1_.uses_flat_scratch, 0
	.set _ZN7rocprim17ROCPRIM_400000_NS6detail17trampoline_kernelINS0_14default_configENS1_35adjacent_difference_config_selectorILb1ElEEZNS1_24adjacent_difference_implIS3_Lb1ELb0EPlS7_ZN2at6native12_GLOBAL__N_124unique_dim_cuda_templateIbEESt5tupleIJNS8_6TensorESD_SD_EERKSD_lbbbEUlllE1_EE10hipError_tPvRmT2_T3_mT4_P12ihipStream_tbEUlT_E_NS1_11comp_targetILNS1_3genE4ELNS1_11target_archE910ELNS1_3gpuE8ELNS1_3repE0EEENS1_30default_config_static_selectorELNS0_4arch9wavefront6targetE1EEEvT1_.has_dyn_sized_stack, 0
	.set _ZN7rocprim17ROCPRIM_400000_NS6detail17trampoline_kernelINS0_14default_configENS1_35adjacent_difference_config_selectorILb1ElEEZNS1_24adjacent_difference_implIS3_Lb1ELb0EPlS7_ZN2at6native12_GLOBAL__N_124unique_dim_cuda_templateIbEESt5tupleIJNS8_6TensorESD_SD_EERKSD_lbbbEUlllE1_EE10hipError_tPvRmT2_T3_mT4_P12ihipStream_tbEUlT_E_NS1_11comp_targetILNS1_3genE4ELNS1_11target_archE910ELNS1_3gpuE8ELNS1_3repE0EEENS1_30default_config_static_selectorELNS0_4arch9wavefront6targetE1EEEvT1_.has_recursion, 0
	.set _ZN7rocprim17ROCPRIM_400000_NS6detail17trampoline_kernelINS0_14default_configENS1_35adjacent_difference_config_selectorILb1ElEEZNS1_24adjacent_difference_implIS3_Lb1ELb0EPlS7_ZN2at6native12_GLOBAL__N_124unique_dim_cuda_templateIbEESt5tupleIJNS8_6TensorESD_SD_EERKSD_lbbbEUlllE1_EE10hipError_tPvRmT2_T3_mT4_P12ihipStream_tbEUlT_E_NS1_11comp_targetILNS1_3genE4ELNS1_11target_archE910ELNS1_3gpuE8ELNS1_3repE0EEENS1_30default_config_static_selectorELNS0_4arch9wavefront6targetE1EEEvT1_.has_indirect_call, 0
	.section	.AMDGPU.csdata,"",@progbits
; Kernel info:
; codeLenInByte = 0
; TotalNumSgprs: 6
; NumVgprs: 0
; NumAgprs: 0
; TotalNumVgprs: 0
; ScratchSize: 0
; MemoryBound: 0
; FloatMode: 240
; IeeeMode: 1
; LDSByteSize: 0 bytes/workgroup (compile time only)
; SGPRBlocks: 0
; VGPRBlocks: 0
; NumSGPRsForWavesPerEU: 6
; NumVGPRsForWavesPerEU: 1
; AccumOffset: 4
; Occupancy: 8
; WaveLimiterHint : 0
; COMPUTE_PGM_RSRC2:SCRATCH_EN: 0
; COMPUTE_PGM_RSRC2:USER_SGPR: 2
; COMPUTE_PGM_RSRC2:TRAP_HANDLER: 0
; COMPUTE_PGM_RSRC2:TGID_X_EN: 1
; COMPUTE_PGM_RSRC2:TGID_Y_EN: 0
; COMPUTE_PGM_RSRC2:TGID_Z_EN: 0
; COMPUTE_PGM_RSRC2:TIDIG_COMP_CNT: 0
; COMPUTE_PGM_RSRC3_GFX90A:ACCUM_OFFSET: 0
; COMPUTE_PGM_RSRC3_GFX90A:TG_SPLIT: 0
	.section	.text._ZN7rocprim17ROCPRIM_400000_NS6detail17trampoline_kernelINS0_14default_configENS1_35adjacent_difference_config_selectorILb1ElEEZNS1_24adjacent_difference_implIS3_Lb1ELb0EPlS7_ZN2at6native12_GLOBAL__N_124unique_dim_cuda_templateIbEESt5tupleIJNS8_6TensorESD_SD_EERKSD_lbbbEUlllE1_EE10hipError_tPvRmT2_T3_mT4_P12ihipStream_tbEUlT_E_NS1_11comp_targetILNS1_3genE3ELNS1_11target_archE908ELNS1_3gpuE7ELNS1_3repE0EEENS1_30default_config_static_selectorELNS0_4arch9wavefront6targetE1EEEvT1_,"axG",@progbits,_ZN7rocprim17ROCPRIM_400000_NS6detail17trampoline_kernelINS0_14default_configENS1_35adjacent_difference_config_selectorILb1ElEEZNS1_24adjacent_difference_implIS3_Lb1ELb0EPlS7_ZN2at6native12_GLOBAL__N_124unique_dim_cuda_templateIbEESt5tupleIJNS8_6TensorESD_SD_EERKSD_lbbbEUlllE1_EE10hipError_tPvRmT2_T3_mT4_P12ihipStream_tbEUlT_E_NS1_11comp_targetILNS1_3genE3ELNS1_11target_archE908ELNS1_3gpuE7ELNS1_3repE0EEENS1_30default_config_static_selectorELNS0_4arch9wavefront6targetE1EEEvT1_,comdat
	.globl	_ZN7rocprim17ROCPRIM_400000_NS6detail17trampoline_kernelINS0_14default_configENS1_35adjacent_difference_config_selectorILb1ElEEZNS1_24adjacent_difference_implIS3_Lb1ELb0EPlS7_ZN2at6native12_GLOBAL__N_124unique_dim_cuda_templateIbEESt5tupleIJNS8_6TensorESD_SD_EERKSD_lbbbEUlllE1_EE10hipError_tPvRmT2_T3_mT4_P12ihipStream_tbEUlT_E_NS1_11comp_targetILNS1_3genE3ELNS1_11target_archE908ELNS1_3gpuE7ELNS1_3repE0EEENS1_30default_config_static_selectorELNS0_4arch9wavefront6targetE1EEEvT1_ ; -- Begin function _ZN7rocprim17ROCPRIM_400000_NS6detail17trampoline_kernelINS0_14default_configENS1_35adjacent_difference_config_selectorILb1ElEEZNS1_24adjacent_difference_implIS3_Lb1ELb0EPlS7_ZN2at6native12_GLOBAL__N_124unique_dim_cuda_templateIbEESt5tupleIJNS8_6TensorESD_SD_EERKSD_lbbbEUlllE1_EE10hipError_tPvRmT2_T3_mT4_P12ihipStream_tbEUlT_E_NS1_11comp_targetILNS1_3genE3ELNS1_11target_archE908ELNS1_3gpuE7ELNS1_3repE0EEENS1_30default_config_static_selectorELNS0_4arch9wavefront6targetE1EEEvT1_
	.p2align	8
	.type	_ZN7rocprim17ROCPRIM_400000_NS6detail17trampoline_kernelINS0_14default_configENS1_35adjacent_difference_config_selectorILb1ElEEZNS1_24adjacent_difference_implIS3_Lb1ELb0EPlS7_ZN2at6native12_GLOBAL__N_124unique_dim_cuda_templateIbEESt5tupleIJNS8_6TensorESD_SD_EERKSD_lbbbEUlllE1_EE10hipError_tPvRmT2_T3_mT4_P12ihipStream_tbEUlT_E_NS1_11comp_targetILNS1_3genE3ELNS1_11target_archE908ELNS1_3gpuE7ELNS1_3repE0EEENS1_30default_config_static_selectorELNS0_4arch9wavefront6targetE1EEEvT1_,@function
_ZN7rocprim17ROCPRIM_400000_NS6detail17trampoline_kernelINS0_14default_configENS1_35adjacent_difference_config_selectorILb1ElEEZNS1_24adjacent_difference_implIS3_Lb1ELb0EPlS7_ZN2at6native12_GLOBAL__N_124unique_dim_cuda_templateIbEESt5tupleIJNS8_6TensorESD_SD_EERKSD_lbbbEUlllE1_EE10hipError_tPvRmT2_T3_mT4_P12ihipStream_tbEUlT_E_NS1_11comp_targetILNS1_3genE3ELNS1_11target_archE908ELNS1_3gpuE7ELNS1_3repE0EEENS1_30default_config_static_selectorELNS0_4arch9wavefront6targetE1EEEvT1_: ; @_ZN7rocprim17ROCPRIM_400000_NS6detail17trampoline_kernelINS0_14default_configENS1_35adjacent_difference_config_selectorILb1ElEEZNS1_24adjacent_difference_implIS3_Lb1ELb0EPlS7_ZN2at6native12_GLOBAL__N_124unique_dim_cuda_templateIbEESt5tupleIJNS8_6TensorESD_SD_EERKSD_lbbbEUlllE1_EE10hipError_tPvRmT2_T3_mT4_P12ihipStream_tbEUlT_E_NS1_11comp_targetILNS1_3genE3ELNS1_11target_archE908ELNS1_3gpuE7ELNS1_3repE0EEENS1_30default_config_static_selectorELNS0_4arch9wavefront6targetE1EEEvT1_
; %bb.0:
	.section	.rodata,"a",@progbits
	.p2align	6, 0x0
	.amdhsa_kernel _ZN7rocprim17ROCPRIM_400000_NS6detail17trampoline_kernelINS0_14default_configENS1_35adjacent_difference_config_selectorILb1ElEEZNS1_24adjacent_difference_implIS3_Lb1ELb0EPlS7_ZN2at6native12_GLOBAL__N_124unique_dim_cuda_templateIbEESt5tupleIJNS8_6TensorESD_SD_EERKSD_lbbbEUlllE1_EE10hipError_tPvRmT2_T3_mT4_P12ihipStream_tbEUlT_E_NS1_11comp_targetILNS1_3genE3ELNS1_11target_archE908ELNS1_3gpuE7ELNS1_3repE0EEENS1_30default_config_static_selectorELNS0_4arch9wavefront6targetE1EEEvT1_
		.amdhsa_group_segment_fixed_size 0
		.amdhsa_private_segment_fixed_size 0
		.amdhsa_kernarg_size 64
		.amdhsa_user_sgpr_count 2
		.amdhsa_user_sgpr_dispatch_ptr 0
		.amdhsa_user_sgpr_queue_ptr 0
		.amdhsa_user_sgpr_kernarg_segment_ptr 1
		.amdhsa_user_sgpr_dispatch_id 0
		.amdhsa_user_sgpr_kernarg_preload_length 0
		.amdhsa_user_sgpr_kernarg_preload_offset 0
		.amdhsa_user_sgpr_private_segment_size 0
		.amdhsa_uses_dynamic_stack 0
		.amdhsa_enable_private_segment 0
		.amdhsa_system_sgpr_workgroup_id_x 1
		.amdhsa_system_sgpr_workgroup_id_y 0
		.amdhsa_system_sgpr_workgroup_id_z 0
		.amdhsa_system_sgpr_workgroup_info 0
		.amdhsa_system_vgpr_workitem_id 0
		.amdhsa_next_free_vgpr 1
		.amdhsa_next_free_sgpr 0
		.amdhsa_accum_offset 4
		.amdhsa_reserve_vcc 0
		.amdhsa_float_round_mode_32 0
		.amdhsa_float_round_mode_16_64 0
		.amdhsa_float_denorm_mode_32 3
		.amdhsa_float_denorm_mode_16_64 3
		.amdhsa_dx10_clamp 1
		.amdhsa_ieee_mode 1
		.amdhsa_fp16_overflow 0
		.amdhsa_tg_split 0
		.amdhsa_exception_fp_ieee_invalid_op 0
		.amdhsa_exception_fp_denorm_src 0
		.amdhsa_exception_fp_ieee_div_zero 0
		.amdhsa_exception_fp_ieee_overflow 0
		.amdhsa_exception_fp_ieee_underflow 0
		.amdhsa_exception_fp_ieee_inexact 0
		.amdhsa_exception_int_div_zero 0
	.end_amdhsa_kernel
	.section	.text._ZN7rocprim17ROCPRIM_400000_NS6detail17trampoline_kernelINS0_14default_configENS1_35adjacent_difference_config_selectorILb1ElEEZNS1_24adjacent_difference_implIS3_Lb1ELb0EPlS7_ZN2at6native12_GLOBAL__N_124unique_dim_cuda_templateIbEESt5tupleIJNS8_6TensorESD_SD_EERKSD_lbbbEUlllE1_EE10hipError_tPvRmT2_T3_mT4_P12ihipStream_tbEUlT_E_NS1_11comp_targetILNS1_3genE3ELNS1_11target_archE908ELNS1_3gpuE7ELNS1_3repE0EEENS1_30default_config_static_selectorELNS0_4arch9wavefront6targetE1EEEvT1_,"axG",@progbits,_ZN7rocprim17ROCPRIM_400000_NS6detail17trampoline_kernelINS0_14default_configENS1_35adjacent_difference_config_selectorILb1ElEEZNS1_24adjacent_difference_implIS3_Lb1ELb0EPlS7_ZN2at6native12_GLOBAL__N_124unique_dim_cuda_templateIbEESt5tupleIJNS8_6TensorESD_SD_EERKSD_lbbbEUlllE1_EE10hipError_tPvRmT2_T3_mT4_P12ihipStream_tbEUlT_E_NS1_11comp_targetILNS1_3genE3ELNS1_11target_archE908ELNS1_3gpuE7ELNS1_3repE0EEENS1_30default_config_static_selectorELNS0_4arch9wavefront6targetE1EEEvT1_,comdat
.Lfunc_end1047:
	.size	_ZN7rocprim17ROCPRIM_400000_NS6detail17trampoline_kernelINS0_14default_configENS1_35adjacent_difference_config_selectorILb1ElEEZNS1_24adjacent_difference_implIS3_Lb1ELb0EPlS7_ZN2at6native12_GLOBAL__N_124unique_dim_cuda_templateIbEESt5tupleIJNS8_6TensorESD_SD_EERKSD_lbbbEUlllE1_EE10hipError_tPvRmT2_T3_mT4_P12ihipStream_tbEUlT_E_NS1_11comp_targetILNS1_3genE3ELNS1_11target_archE908ELNS1_3gpuE7ELNS1_3repE0EEENS1_30default_config_static_selectorELNS0_4arch9wavefront6targetE1EEEvT1_, .Lfunc_end1047-_ZN7rocprim17ROCPRIM_400000_NS6detail17trampoline_kernelINS0_14default_configENS1_35adjacent_difference_config_selectorILb1ElEEZNS1_24adjacent_difference_implIS3_Lb1ELb0EPlS7_ZN2at6native12_GLOBAL__N_124unique_dim_cuda_templateIbEESt5tupleIJNS8_6TensorESD_SD_EERKSD_lbbbEUlllE1_EE10hipError_tPvRmT2_T3_mT4_P12ihipStream_tbEUlT_E_NS1_11comp_targetILNS1_3genE3ELNS1_11target_archE908ELNS1_3gpuE7ELNS1_3repE0EEENS1_30default_config_static_selectorELNS0_4arch9wavefront6targetE1EEEvT1_
                                        ; -- End function
	.set _ZN7rocprim17ROCPRIM_400000_NS6detail17trampoline_kernelINS0_14default_configENS1_35adjacent_difference_config_selectorILb1ElEEZNS1_24adjacent_difference_implIS3_Lb1ELb0EPlS7_ZN2at6native12_GLOBAL__N_124unique_dim_cuda_templateIbEESt5tupleIJNS8_6TensorESD_SD_EERKSD_lbbbEUlllE1_EE10hipError_tPvRmT2_T3_mT4_P12ihipStream_tbEUlT_E_NS1_11comp_targetILNS1_3genE3ELNS1_11target_archE908ELNS1_3gpuE7ELNS1_3repE0EEENS1_30default_config_static_selectorELNS0_4arch9wavefront6targetE1EEEvT1_.num_vgpr, 0
	.set _ZN7rocprim17ROCPRIM_400000_NS6detail17trampoline_kernelINS0_14default_configENS1_35adjacent_difference_config_selectorILb1ElEEZNS1_24adjacent_difference_implIS3_Lb1ELb0EPlS7_ZN2at6native12_GLOBAL__N_124unique_dim_cuda_templateIbEESt5tupleIJNS8_6TensorESD_SD_EERKSD_lbbbEUlllE1_EE10hipError_tPvRmT2_T3_mT4_P12ihipStream_tbEUlT_E_NS1_11comp_targetILNS1_3genE3ELNS1_11target_archE908ELNS1_3gpuE7ELNS1_3repE0EEENS1_30default_config_static_selectorELNS0_4arch9wavefront6targetE1EEEvT1_.num_agpr, 0
	.set _ZN7rocprim17ROCPRIM_400000_NS6detail17trampoline_kernelINS0_14default_configENS1_35adjacent_difference_config_selectorILb1ElEEZNS1_24adjacent_difference_implIS3_Lb1ELb0EPlS7_ZN2at6native12_GLOBAL__N_124unique_dim_cuda_templateIbEESt5tupleIJNS8_6TensorESD_SD_EERKSD_lbbbEUlllE1_EE10hipError_tPvRmT2_T3_mT4_P12ihipStream_tbEUlT_E_NS1_11comp_targetILNS1_3genE3ELNS1_11target_archE908ELNS1_3gpuE7ELNS1_3repE0EEENS1_30default_config_static_selectorELNS0_4arch9wavefront6targetE1EEEvT1_.numbered_sgpr, 0
	.set _ZN7rocprim17ROCPRIM_400000_NS6detail17trampoline_kernelINS0_14default_configENS1_35adjacent_difference_config_selectorILb1ElEEZNS1_24adjacent_difference_implIS3_Lb1ELb0EPlS7_ZN2at6native12_GLOBAL__N_124unique_dim_cuda_templateIbEESt5tupleIJNS8_6TensorESD_SD_EERKSD_lbbbEUlllE1_EE10hipError_tPvRmT2_T3_mT4_P12ihipStream_tbEUlT_E_NS1_11comp_targetILNS1_3genE3ELNS1_11target_archE908ELNS1_3gpuE7ELNS1_3repE0EEENS1_30default_config_static_selectorELNS0_4arch9wavefront6targetE1EEEvT1_.num_named_barrier, 0
	.set _ZN7rocprim17ROCPRIM_400000_NS6detail17trampoline_kernelINS0_14default_configENS1_35adjacent_difference_config_selectorILb1ElEEZNS1_24adjacent_difference_implIS3_Lb1ELb0EPlS7_ZN2at6native12_GLOBAL__N_124unique_dim_cuda_templateIbEESt5tupleIJNS8_6TensorESD_SD_EERKSD_lbbbEUlllE1_EE10hipError_tPvRmT2_T3_mT4_P12ihipStream_tbEUlT_E_NS1_11comp_targetILNS1_3genE3ELNS1_11target_archE908ELNS1_3gpuE7ELNS1_3repE0EEENS1_30default_config_static_selectorELNS0_4arch9wavefront6targetE1EEEvT1_.private_seg_size, 0
	.set _ZN7rocprim17ROCPRIM_400000_NS6detail17trampoline_kernelINS0_14default_configENS1_35adjacent_difference_config_selectorILb1ElEEZNS1_24adjacent_difference_implIS3_Lb1ELb0EPlS7_ZN2at6native12_GLOBAL__N_124unique_dim_cuda_templateIbEESt5tupleIJNS8_6TensorESD_SD_EERKSD_lbbbEUlllE1_EE10hipError_tPvRmT2_T3_mT4_P12ihipStream_tbEUlT_E_NS1_11comp_targetILNS1_3genE3ELNS1_11target_archE908ELNS1_3gpuE7ELNS1_3repE0EEENS1_30default_config_static_selectorELNS0_4arch9wavefront6targetE1EEEvT1_.uses_vcc, 0
	.set _ZN7rocprim17ROCPRIM_400000_NS6detail17trampoline_kernelINS0_14default_configENS1_35adjacent_difference_config_selectorILb1ElEEZNS1_24adjacent_difference_implIS3_Lb1ELb0EPlS7_ZN2at6native12_GLOBAL__N_124unique_dim_cuda_templateIbEESt5tupleIJNS8_6TensorESD_SD_EERKSD_lbbbEUlllE1_EE10hipError_tPvRmT2_T3_mT4_P12ihipStream_tbEUlT_E_NS1_11comp_targetILNS1_3genE3ELNS1_11target_archE908ELNS1_3gpuE7ELNS1_3repE0EEENS1_30default_config_static_selectorELNS0_4arch9wavefront6targetE1EEEvT1_.uses_flat_scratch, 0
	.set _ZN7rocprim17ROCPRIM_400000_NS6detail17trampoline_kernelINS0_14default_configENS1_35adjacent_difference_config_selectorILb1ElEEZNS1_24adjacent_difference_implIS3_Lb1ELb0EPlS7_ZN2at6native12_GLOBAL__N_124unique_dim_cuda_templateIbEESt5tupleIJNS8_6TensorESD_SD_EERKSD_lbbbEUlllE1_EE10hipError_tPvRmT2_T3_mT4_P12ihipStream_tbEUlT_E_NS1_11comp_targetILNS1_3genE3ELNS1_11target_archE908ELNS1_3gpuE7ELNS1_3repE0EEENS1_30default_config_static_selectorELNS0_4arch9wavefront6targetE1EEEvT1_.has_dyn_sized_stack, 0
	.set _ZN7rocprim17ROCPRIM_400000_NS6detail17trampoline_kernelINS0_14default_configENS1_35adjacent_difference_config_selectorILb1ElEEZNS1_24adjacent_difference_implIS3_Lb1ELb0EPlS7_ZN2at6native12_GLOBAL__N_124unique_dim_cuda_templateIbEESt5tupleIJNS8_6TensorESD_SD_EERKSD_lbbbEUlllE1_EE10hipError_tPvRmT2_T3_mT4_P12ihipStream_tbEUlT_E_NS1_11comp_targetILNS1_3genE3ELNS1_11target_archE908ELNS1_3gpuE7ELNS1_3repE0EEENS1_30default_config_static_selectorELNS0_4arch9wavefront6targetE1EEEvT1_.has_recursion, 0
	.set _ZN7rocprim17ROCPRIM_400000_NS6detail17trampoline_kernelINS0_14default_configENS1_35adjacent_difference_config_selectorILb1ElEEZNS1_24adjacent_difference_implIS3_Lb1ELb0EPlS7_ZN2at6native12_GLOBAL__N_124unique_dim_cuda_templateIbEESt5tupleIJNS8_6TensorESD_SD_EERKSD_lbbbEUlllE1_EE10hipError_tPvRmT2_T3_mT4_P12ihipStream_tbEUlT_E_NS1_11comp_targetILNS1_3genE3ELNS1_11target_archE908ELNS1_3gpuE7ELNS1_3repE0EEENS1_30default_config_static_selectorELNS0_4arch9wavefront6targetE1EEEvT1_.has_indirect_call, 0
	.section	.AMDGPU.csdata,"",@progbits
; Kernel info:
; codeLenInByte = 0
; TotalNumSgprs: 6
; NumVgprs: 0
; NumAgprs: 0
; TotalNumVgprs: 0
; ScratchSize: 0
; MemoryBound: 0
; FloatMode: 240
; IeeeMode: 1
; LDSByteSize: 0 bytes/workgroup (compile time only)
; SGPRBlocks: 0
; VGPRBlocks: 0
; NumSGPRsForWavesPerEU: 6
; NumVGPRsForWavesPerEU: 1
; AccumOffset: 4
; Occupancy: 8
; WaveLimiterHint : 0
; COMPUTE_PGM_RSRC2:SCRATCH_EN: 0
; COMPUTE_PGM_RSRC2:USER_SGPR: 2
; COMPUTE_PGM_RSRC2:TRAP_HANDLER: 0
; COMPUTE_PGM_RSRC2:TGID_X_EN: 1
; COMPUTE_PGM_RSRC2:TGID_Y_EN: 0
; COMPUTE_PGM_RSRC2:TGID_Z_EN: 0
; COMPUTE_PGM_RSRC2:TIDIG_COMP_CNT: 0
; COMPUTE_PGM_RSRC3_GFX90A:ACCUM_OFFSET: 0
; COMPUTE_PGM_RSRC3_GFX90A:TG_SPLIT: 0
	.section	.text._ZN7rocprim17ROCPRIM_400000_NS6detail17trampoline_kernelINS0_14default_configENS1_35adjacent_difference_config_selectorILb1ElEEZNS1_24adjacent_difference_implIS3_Lb1ELb0EPlS7_ZN2at6native12_GLOBAL__N_124unique_dim_cuda_templateIbEESt5tupleIJNS8_6TensorESD_SD_EERKSD_lbbbEUlllE1_EE10hipError_tPvRmT2_T3_mT4_P12ihipStream_tbEUlT_E_NS1_11comp_targetILNS1_3genE2ELNS1_11target_archE906ELNS1_3gpuE6ELNS1_3repE0EEENS1_30default_config_static_selectorELNS0_4arch9wavefront6targetE1EEEvT1_,"axG",@progbits,_ZN7rocprim17ROCPRIM_400000_NS6detail17trampoline_kernelINS0_14default_configENS1_35adjacent_difference_config_selectorILb1ElEEZNS1_24adjacent_difference_implIS3_Lb1ELb0EPlS7_ZN2at6native12_GLOBAL__N_124unique_dim_cuda_templateIbEESt5tupleIJNS8_6TensorESD_SD_EERKSD_lbbbEUlllE1_EE10hipError_tPvRmT2_T3_mT4_P12ihipStream_tbEUlT_E_NS1_11comp_targetILNS1_3genE2ELNS1_11target_archE906ELNS1_3gpuE6ELNS1_3repE0EEENS1_30default_config_static_selectorELNS0_4arch9wavefront6targetE1EEEvT1_,comdat
	.globl	_ZN7rocprim17ROCPRIM_400000_NS6detail17trampoline_kernelINS0_14default_configENS1_35adjacent_difference_config_selectorILb1ElEEZNS1_24adjacent_difference_implIS3_Lb1ELb0EPlS7_ZN2at6native12_GLOBAL__N_124unique_dim_cuda_templateIbEESt5tupleIJNS8_6TensorESD_SD_EERKSD_lbbbEUlllE1_EE10hipError_tPvRmT2_T3_mT4_P12ihipStream_tbEUlT_E_NS1_11comp_targetILNS1_3genE2ELNS1_11target_archE906ELNS1_3gpuE6ELNS1_3repE0EEENS1_30default_config_static_selectorELNS0_4arch9wavefront6targetE1EEEvT1_ ; -- Begin function _ZN7rocprim17ROCPRIM_400000_NS6detail17trampoline_kernelINS0_14default_configENS1_35adjacent_difference_config_selectorILb1ElEEZNS1_24adjacent_difference_implIS3_Lb1ELb0EPlS7_ZN2at6native12_GLOBAL__N_124unique_dim_cuda_templateIbEESt5tupleIJNS8_6TensorESD_SD_EERKSD_lbbbEUlllE1_EE10hipError_tPvRmT2_T3_mT4_P12ihipStream_tbEUlT_E_NS1_11comp_targetILNS1_3genE2ELNS1_11target_archE906ELNS1_3gpuE6ELNS1_3repE0EEENS1_30default_config_static_selectorELNS0_4arch9wavefront6targetE1EEEvT1_
	.p2align	8
	.type	_ZN7rocprim17ROCPRIM_400000_NS6detail17trampoline_kernelINS0_14default_configENS1_35adjacent_difference_config_selectorILb1ElEEZNS1_24adjacent_difference_implIS3_Lb1ELb0EPlS7_ZN2at6native12_GLOBAL__N_124unique_dim_cuda_templateIbEESt5tupleIJNS8_6TensorESD_SD_EERKSD_lbbbEUlllE1_EE10hipError_tPvRmT2_T3_mT4_P12ihipStream_tbEUlT_E_NS1_11comp_targetILNS1_3genE2ELNS1_11target_archE906ELNS1_3gpuE6ELNS1_3repE0EEENS1_30default_config_static_selectorELNS0_4arch9wavefront6targetE1EEEvT1_,@function
_ZN7rocprim17ROCPRIM_400000_NS6detail17trampoline_kernelINS0_14default_configENS1_35adjacent_difference_config_selectorILb1ElEEZNS1_24adjacent_difference_implIS3_Lb1ELb0EPlS7_ZN2at6native12_GLOBAL__N_124unique_dim_cuda_templateIbEESt5tupleIJNS8_6TensorESD_SD_EERKSD_lbbbEUlllE1_EE10hipError_tPvRmT2_T3_mT4_P12ihipStream_tbEUlT_E_NS1_11comp_targetILNS1_3genE2ELNS1_11target_archE906ELNS1_3gpuE6ELNS1_3repE0EEENS1_30default_config_static_selectorELNS0_4arch9wavefront6targetE1EEEvT1_: ; @_ZN7rocprim17ROCPRIM_400000_NS6detail17trampoline_kernelINS0_14default_configENS1_35adjacent_difference_config_selectorILb1ElEEZNS1_24adjacent_difference_implIS3_Lb1ELb0EPlS7_ZN2at6native12_GLOBAL__N_124unique_dim_cuda_templateIbEESt5tupleIJNS8_6TensorESD_SD_EERKSD_lbbbEUlllE1_EE10hipError_tPvRmT2_T3_mT4_P12ihipStream_tbEUlT_E_NS1_11comp_targetILNS1_3genE2ELNS1_11target_archE906ELNS1_3gpuE6ELNS1_3repE0EEENS1_30default_config_static_selectorELNS0_4arch9wavefront6targetE1EEEvT1_
; %bb.0:
	.section	.rodata,"a",@progbits
	.p2align	6, 0x0
	.amdhsa_kernel _ZN7rocprim17ROCPRIM_400000_NS6detail17trampoline_kernelINS0_14default_configENS1_35adjacent_difference_config_selectorILb1ElEEZNS1_24adjacent_difference_implIS3_Lb1ELb0EPlS7_ZN2at6native12_GLOBAL__N_124unique_dim_cuda_templateIbEESt5tupleIJNS8_6TensorESD_SD_EERKSD_lbbbEUlllE1_EE10hipError_tPvRmT2_T3_mT4_P12ihipStream_tbEUlT_E_NS1_11comp_targetILNS1_3genE2ELNS1_11target_archE906ELNS1_3gpuE6ELNS1_3repE0EEENS1_30default_config_static_selectorELNS0_4arch9wavefront6targetE1EEEvT1_
		.amdhsa_group_segment_fixed_size 0
		.amdhsa_private_segment_fixed_size 0
		.amdhsa_kernarg_size 64
		.amdhsa_user_sgpr_count 2
		.amdhsa_user_sgpr_dispatch_ptr 0
		.amdhsa_user_sgpr_queue_ptr 0
		.amdhsa_user_sgpr_kernarg_segment_ptr 1
		.amdhsa_user_sgpr_dispatch_id 0
		.amdhsa_user_sgpr_kernarg_preload_length 0
		.amdhsa_user_sgpr_kernarg_preload_offset 0
		.amdhsa_user_sgpr_private_segment_size 0
		.amdhsa_uses_dynamic_stack 0
		.amdhsa_enable_private_segment 0
		.amdhsa_system_sgpr_workgroup_id_x 1
		.amdhsa_system_sgpr_workgroup_id_y 0
		.amdhsa_system_sgpr_workgroup_id_z 0
		.amdhsa_system_sgpr_workgroup_info 0
		.amdhsa_system_vgpr_workitem_id 0
		.amdhsa_next_free_vgpr 1
		.amdhsa_next_free_sgpr 0
		.amdhsa_accum_offset 4
		.amdhsa_reserve_vcc 0
		.amdhsa_float_round_mode_32 0
		.amdhsa_float_round_mode_16_64 0
		.amdhsa_float_denorm_mode_32 3
		.amdhsa_float_denorm_mode_16_64 3
		.amdhsa_dx10_clamp 1
		.amdhsa_ieee_mode 1
		.amdhsa_fp16_overflow 0
		.amdhsa_tg_split 0
		.amdhsa_exception_fp_ieee_invalid_op 0
		.amdhsa_exception_fp_denorm_src 0
		.amdhsa_exception_fp_ieee_div_zero 0
		.amdhsa_exception_fp_ieee_overflow 0
		.amdhsa_exception_fp_ieee_underflow 0
		.amdhsa_exception_fp_ieee_inexact 0
		.amdhsa_exception_int_div_zero 0
	.end_amdhsa_kernel
	.section	.text._ZN7rocprim17ROCPRIM_400000_NS6detail17trampoline_kernelINS0_14default_configENS1_35adjacent_difference_config_selectorILb1ElEEZNS1_24adjacent_difference_implIS3_Lb1ELb0EPlS7_ZN2at6native12_GLOBAL__N_124unique_dim_cuda_templateIbEESt5tupleIJNS8_6TensorESD_SD_EERKSD_lbbbEUlllE1_EE10hipError_tPvRmT2_T3_mT4_P12ihipStream_tbEUlT_E_NS1_11comp_targetILNS1_3genE2ELNS1_11target_archE906ELNS1_3gpuE6ELNS1_3repE0EEENS1_30default_config_static_selectorELNS0_4arch9wavefront6targetE1EEEvT1_,"axG",@progbits,_ZN7rocprim17ROCPRIM_400000_NS6detail17trampoline_kernelINS0_14default_configENS1_35adjacent_difference_config_selectorILb1ElEEZNS1_24adjacent_difference_implIS3_Lb1ELb0EPlS7_ZN2at6native12_GLOBAL__N_124unique_dim_cuda_templateIbEESt5tupleIJNS8_6TensorESD_SD_EERKSD_lbbbEUlllE1_EE10hipError_tPvRmT2_T3_mT4_P12ihipStream_tbEUlT_E_NS1_11comp_targetILNS1_3genE2ELNS1_11target_archE906ELNS1_3gpuE6ELNS1_3repE0EEENS1_30default_config_static_selectorELNS0_4arch9wavefront6targetE1EEEvT1_,comdat
.Lfunc_end1048:
	.size	_ZN7rocprim17ROCPRIM_400000_NS6detail17trampoline_kernelINS0_14default_configENS1_35adjacent_difference_config_selectorILb1ElEEZNS1_24adjacent_difference_implIS3_Lb1ELb0EPlS7_ZN2at6native12_GLOBAL__N_124unique_dim_cuda_templateIbEESt5tupleIJNS8_6TensorESD_SD_EERKSD_lbbbEUlllE1_EE10hipError_tPvRmT2_T3_mT4_P12ihipStream_tbEUlT_E_NS1_11comp_targetILNS1_3genE2ELNS1_11target_archE906ELNS1_3gpuE6ELNS1_3repE0EEENS1_30default_config_static_selectorELNS0_4arch9wavefront6targetE1EEEvT1_, .Lfunc_end1048-_ZN7rocprim17ROCPRIM_400000_NS6detail17trampoline_kernelINS0_14default_configENS1_35adjacent_difference_config_selectorILb1ElEEZNS1_24adjacent_difference_implIS3_Lb1ELb0EPlS7_ZN2at6native12_GLOBAL__N_124unique_dim_cuda_templateIbEESt5tupleIJNS8_6TensorESD_SD_EERKSD_lbbbEUlllE1_EE10hipError_tPvRmT2_T3_mT4_P12ihipStream_tbEUlT_E_NS1_11comp_targetILNS1_3genE2ELNS1_11target_archE906ELNS1_3gpuE6ELNS1_3repE0EEENS1_30default_config_static_selectorELNS0_4arch9wavefront6targetE1EEEvT1_
                                        ; -- End function
	.set _ZN7rocprim17ROCPRIM_400000_NS6detail17trampoline_kernelINS0_14default_configENS1_35adjacent_difference_config_selectorILb1ElEEZNS1_24adjacent_difference_implIS3_Lb1ELb0EPlS7_ZN2at6native12_GLOBAL__N_124unique_dim_cuda_templateIbEESt5tupleIJNS8_6TensorESD_SD_EERKSD_lbbbEUlllE1_EE10hipError_tPvRmT2_T3_mT4_P12ihipStream_tbEUlT_E_NS1_11comp_targetILNS1_3genE2ELNS1_11target_archE906ELNS1_3gpuE6ELNS1_3repE0EEENS1_30default_config_static_selectorELNS0_4arch9wavefront6targetE1EEEvT1_.num_vgpr, 0
	.set _ZN7rocprim17ROCPRIM_400000_NS6detail17trampoline_kernelINS0_14default_configENS1_35adjacent_difference_config_selectorILb1ElEEZNS1_24adjacent_difference_implIS3_Lb1ELb0EPlS7_ZN2at6native12_GLOBAL__N_124unique_dim_cuda_templateIbEESt5tupleIJNS8_6TensorESD_SD_EERKSD_lbbbEUlllE1_EE10hipError_tPvRmT2_T3_mT4_P12ihipStream_tbEUlT_E_NS1_11comp_targetILNS1_3genE2ELNS1_11target_archE906ELNS1_3gpuE6ELNS1_3repE0EEENS1_30default_config_static_selectorELNS0_4arch9wavefront6targetE1EEEvT1_.num_agpr, 0
	.set _ZN7rocprim17ROCPRIM_400000_NS6detail17trampoline_kernelINS0_14default_configENS1_35adjacent_difference_config_selectorILb1ElEEZNS1_24adjacent_difference_implIS3_Lb1ELb0EPlS7_ZN2at6native12_GLOBAL__N_124unique_dim_cuda_templateIbEESt5tupleIJNS8_6TensorESD_SD_EERKSD_lbbbEUlllE1_EE10hipError_tPvRmT2_T3_mT4_P12ihipStream_tbEUlT_E_NS1_11comp_targetILNS1_3genE2ELNS1_11target_archE906ELNS1_3gpuE6ELNS1_3repE0EEENS1_30default_config_static_selectorELNS0_4arch9wavefront6targetE1EEEvT1_.numbered_sgpr, 0
	.set _ZN7rocprim17ROCPRIM_400000_NS6detail17trampoline_kernelINS0_14default_configENS1_35adjacent_difference_config_selectorILb1ElEEZNS1_24adjacent_difference_implIS3_Lb1ELb0EPlS7_ZN2at6native12_GLOBAL__N_124unique_dim_cuda_templateIbEESt5tupleIJNS8_6TensorESD_SD_EERKSD_lbbbEUlllE1_EE10hipError_tPvRmT2_T3_mT4_P12ihipStream_tbEUlT_E_NS1_11comp_targetILNS1_3genE2ELNS1_11target_archE906ELNS1_3gpuE6ELNS1_3repE0EEENS1_30default_config_static_selectorELNS0_4arch9wavefront6targetE1EEEvT1_.num_named_barrier, 0
	.set _ZN7rocprim17ROCPRIM_400000_NS6detail17trampoline_kernelINS0_14default_configENS1_35adjacent_difference_config_selectorILb1ElEEZNS1_24adjacent_difference_implIS3_Lb1ELb0EPlS7_ZN2at6native12_GLOBAL__N_124unique_dim_cuda_templateIbEESt5tupleIJNS8_6TensorESD_SD_EERKSD_lbbbEUlllE1_EE10hipError_tPvRmT2_T3_mT4_P12ihipStream_tbEUlT_E_NS1_11comp_targetILNS1_3genE2ELNS1_11target_archE906ELNS1_3gpuE6ELNS1_3repE0EEENS1_30default_config_static_selectorELNS0_4arch9wavefront6targetE1EEEvT1_.private_seg_size, 0
	.set _ZN7rocprim17ROCPRIM_400000_NS6detail17trampoline_kernelINS0_14default_configENS1_35adjacent_difference_config_selectorILb1ElEEZNS1_24adjacent_difference_implIS3_Lb1ELb0EPlS7_ZN2at6native12_GLOBAL__N_124unique_dim_cuda_templateIbEESt5tupleIJNS8_6TensorESD_SD_EERKSD_lbbbEUlllE1_EE10hipError_tPvRmT2_T3_mT4_P12ihipStream_tbEUlT_E_NS1_11comp_targetILNS1_3genE2ELNS1_11target_archE906ELNS1_3gpuE6ELNS1_3repE0EEENS1_30default_config_static_selectorELNS0_4arch9wavefront6targetE1EEEvT1_.uses_vcc, 0
	.set _ZN7rocprim17ROCPRIM_400000_NS6detail17trampoline_kernelINS0_14default_configENS1_35adjacent_difference_config_selectorILb1ElEEZNS1_24adjacent_difference_implIS3_Lb1ELb0EPlS7_ZN2at6native12_GLOBAL__N_124unique_dim_cuda_templateIbEESt5tupleIJNS8_6TensorESD_SD_EERKSD_lbbbEUlllE1_EE10hipError_tPvRmT2_T3_mT4_P12ihipStream_tbEUlT_E_NS1_11comp_targetILNS1_3genE2ELNS1_11target_archE906ELNS1_3gpuE6ELNS1_3repE0EEENS1_30default_config_static_selectorELNS0_4arch9wavefront6targetE1EEEvT1_.uses_flat_scratch, 0
	.set _ZN7rocprim17ROCPRIM_400000_NS6detail17trampoline_kernelINS0_14default_configENS1_35adjacent_difference_config_selectorILb1ElEEZNS1_24adjacent_difference_implIS3_Lb1ELb0EPlS7_ZN2at6native12_GLOBAL__N_124unique_dim_cuda_templateIbEESt5tupleIJNS8_6TensorESD_SD_EERKSD_lbbbEUlllE1_EE10hipError_tPvRmT2_T3_mT4_P12ihipStream_tbEUlT_E_NS1_11comp_targetILNS1_3genE2ELNS1_11target_archE906ELNS1_3gpuE6ELNS1_3repE0EEENS1_30default_config_static_selectorELNS0_4arch9wavefront6targetE1EEEvT1_.has_dyn_sized_stack, 0
	.set _ZN7rocprim17ROCPRIM_400000_NS6detail17trampoline_kernelINS0_14default_configENS1_35adjacent_difference_config_selectorILb1ElEEZNS1_24adjacent_difference_implIS3_Lb1ELb0EPlS7_ZN2at6native12_GLOBAL__N_124unique_dim_cuda_templateIbEESt5tupleIJNS8_6TensorESD_SD_EERKSD_lbbbEUlllE1_EE10hipError_tPvRmT2_T3_mT4_P12ihipStream_tbEUlT_E_NS1_11comp_targetILNS1_3genE2ELNS1_11target_archE906ELNS1_3gpuE6ELNS1_3repE0EEENS1_30default_config_static_selectorELNS0_4arch9wavefront6targetE1EEEvT1_.has_recursion, 0
	.set _ZN7rocprim17ROCPRIM_400000_NS6detail17trampoline_kernelINS0_14default_configENS1_35adjacent_difference_config_selectorILb1ElEEZNS1_24adjacent_difference_implIS3_Lb1ELb0EPlS7_ZN2at6native12_GLOBAL__N_124unique_dim_cuda_templateIbEESt5tupleIJNS8_6TensorESD_SD_EERKSD_lbbbEUlllE1_EE10hipError_tPvRmT2_T3_mT4_P12ihipStream_tbEUlT_E_NS1_11comp_targetILNS1_3genE2ELNS1_11target_archE906ELNS1_3gpuE6ELNS1_3repE0EEENS1_30default_config_static_selectorELNS0_4arch9wavefront6targetE1EEEvT1_.has_indirect_call, 0
	.section	.AMDGPU.csdata,"",@progbits
; Kernel info:
; codeLenInByte = 0
; TotalNumSgprs: 6
; NumVgprs: 0
; NumAgprs: 0
; TotalNumVgprs: 0
; ScratchSize: 0
; MemoryBound: 0
; FloatMode: 240
; IeeeMode: 1
; LDSByteSize: 0 bytes/workgroup (compile time only)
; SGPRBlocks: 0
; VGPRBlocks: 0
; NumSGPRsForWavesPerEU: 6
; NumVGPRsForWavesPerEU: 1
; AccumOffset: 4
; Occupancy: 8
; WaveLimiterHint : 0
; COMPUTE_PGM_RSRC2:SCRATCH_EN: 0
; COMPUTE_PGM_RSRC2:USER_SGPR: 2
; COMPUTE_PGM_RSRC2:TRAP_HANDLER: 0
; COMPUTE_PGM_RSRC2:TGID_X_EN: 1
; COMPUTE_PGM_RSRC2:TGID_Y_EN: 0
; COMPUTE_PGM_RSRC2:TGID_Z_EN: 0
; COMPUTE_PGM_RSRC2:TIDIG_COMP_CNT: 0
; COMPUTE_PGM_RSRC3_GFX90A:ACCUM_OFFSET: 0
; COMPUTE_PGM_RSRC3_GFX90A:TG_SPLIT: 0
	.section	.text._ZN7rocprim17ROCPRIM_400000_NS6detail17trampoline_kernelINS0_14default_configENS1_35adjacent_difference_config_selectorILb1ElEEZNS1_24adjacent_difference_implIS3_Lb1ELb0EPlS7_ZN2at6native12_GLOBAL__N_124unique_dim_cuda_templateIbEESt5tupleIJNS8_6TensorESD_SD_EERKSD_lbbbEUlllE1_EE10hipError_tPvRmT2_T3_mT4_P12ihipStream_tbEUlT_E_NS1_11comp_targetILNS1_3genE9ELNS1_11target_archE1100ELNS1_3gpuE3ELNS1_3repE0EEENS1_30default_config_static_selectorELNS0_4arch9wavefront6targetE1EEEvT1_,"axG",@progbits,_ZN7rocprim17ROCPRIM_400000_NS6detail17trampoline_kernelINS0_14default_configENS1_35adjacent_difference_config_selectorILb1ElEEZNS1_24adjacent_difference_implIS3_Lb1ELb0EPlS7_ZN2at6native12_GLOBAL__N_124unique_dim_cuda_templateIbEESt5tupleIJNS8_6TensorESD_SD_EERKSD_lbbbEUlllE1_EE10hipError_tPvRmT2_T3_mT4_P12ihipStream_tbEUlT_E_NS1_11comp_targetILNS1_3genE9ELNS1_11target_archE1100ELNS1_3gpuE3ELNS1_3repE0EEENS1_30default_config_static_selectorELNS0_4arch9wavefront6targetE1EEEvT1_,comdat
	.globl	_ZN7rocprim17ROCPRIM_400000_NS6detail17trampoline_kernelINS0_14default_configENS1_35adjacent_difference_config_selectorILb1ElEEZNS1_24adjacent_difference_implIS3_Lb1ELb0EPlS7_ZN2at6native12_GLOBAL__N_124unique_dim_cuda_templateIbEESt5tupleIJNS8_6TensorESD_SD_EERKSD_lbbbEUlllE1_EE10hipError_tPvRmT2_T3_mT4_P12ihipStream_tbEUlT_E_NS1_11comp_targetILNS1_3genE9ELNS1_11target_archE1100ELNS1_3gpuE3ELNS1_3repE0EEENS1_30default_config_static_selectorELNS0_4arch9wavefront6targetE1EEEvT1_ ; -- Begin function _ZN7rocprim17ROCPRIM_400000_NS6detail17trampoline_kernelINS0_14default_configENS1_35adjacent_difference_config_selectorILb1ElEEZNS1_24adjacent_difference_implIS3_Lb1ELb0EPlS7_ZN2at6native12_GLOBAL__N_124unique_dim_cuda_templateIbEESt5tupleIJNS8_6TensorESD_SD_EERKSD_lbbbEUlllE1_EE10hipError_tPvRmT2_T3_mT4_P12ihipStream_tbEUlT_E_NS1_11comp_targetILNS1_3genE9ELNS1_11target_archE1100ELNS1_3gpuE3ELNS1_3repE0EEENS1_30default_config_static_selectorELNS0_4arch9wavefront6targetE1EEEvT1_
	.p2align	8
	.type	_ZN7rocprim17ROCPRIM_400000_NS6detail17trampoline_kernelINS0_14default_configENS1_35adjacent_difference_config_selectorILb1ElEEZNS1_24adjacent_difference_implIS3_Lb1ELb0EPlS7_ZN2at6native12_GLOBAL__N_124unique_dim_cuda_templateIbEESt5tupleIJNS8_6TensorESD_SD_EERKSD_lbbbEUlllE1_EE10hipError_tPvRmT2_T3_mT4_P12ihipStream_tbEUlT_E_NS1_11comp_targetILNS1_3genE9ELNS1_11target_archE1100ELNS1_3gpuE3ELNS1_3repE0EEENS1_30default_config_static_selectorELNS0_4arch9wavefront6targetE1EEEvT1_,@function
_ZN7rocprim17ROCPRIM_400000_NS6detail17trampoline_kernelINS0_14default_configENS1_35adjacent_difference_config_selectorILb1ElEEZNS1_24adjacent_difference_implIS3_Lb1ELb0EPlS7_ZN2at6native12_GLOBAL__N_124unique_dim_cuda_templateIbEESt5tupleIJNS8_6TensorESD_SD_EERKSD_lbbbEUlllE1_EE10hipError_tPvRmT2_T3_mT4_P12ihipStream_tbEUlT_E_NS1_11comp_targetILNS1_3genE9ELNS1_11target_archE1100ELNS1_3gpuE3ELNS1_3repE0EEENS1_30default_config_static_selectorELNS0_4arch9wavefront6targetE1EEEvT1_: ; @_ZN7rocprim17ROCPRIM_400000_NS6detail17trampoline_kernelINS0_14default_configENS1_35adjacent_difference_config_selectorILb1ElEEZNS1_24adjacent_difference_implIS3_Lb1ELb0EPlS7_ZN2at6native12_GLOBAL__N_124unique_dim_cuda_templateIbEESt5tupleIJNS8_6TensorESD_SD_EERKSD_lbbbEUlllE1_EE10hipError_tPvRmT2_T3_mT4_P12ihipStream_tbEUlT_E_NS1_11comp_targetILNS1_3genE9ELNS1_11target_archE1100ELNS1_3gpuE3ELNS1_3repE0EEENS1_30default_config_static_selectorELNS0_4arch9wavefront6targetE1EEEvT1_
; %bb.0:
	.section	.rodata,"a",@progbits
	.p2align	6, 0x0
	.amdhsa_kernel _ZN7rocprim17ROCPRIM_400000_NS6detail17trampoline_kernelINS0_14default_configENS1_35adjacent_difference_config_selectorILb1ElEEZNS1_24adjacent_difference_implIS3_Lb1ELb0EPlS7_ZN2at6native12_GLOBAL__N_124unique_dim_cuda_templateIbEESt5tupleIJNS8_6TensorESD_SD_EERKSD_lbbbEUlllE1_EE10hipError_tPvRmT2_T3_mT4_P12ihipStream_tbEUlT_E_NS1_11comp_targetILNS1_3genE9ELNS1_11target_archE1100ELNS1_3gpuE3ELNS1_3repE0EEENS1_30default_config_static_selectorELNS0_4arch9wavefront6targetE1EEEvT1_
		.amdhsa_group_segment_fixed_size 0
		.amdhsa_private_segment_fixed_size 0
		.amdhsa_kernarg_size 64
		.amdhsa_user_sgpr_count 2
		.amdhsa_user_sgpr_dispatch_ptr 0
		.amdhsa_user_sgpr_queue_ptr 0
		.amdhsa_user_sgpr_kernarg_segment_ptr 1
		.amdhsa_user_sgpr_dispatch_id 0
		.amdhsa_user_sgpr_kernarg_preload_length 0
		.amdhsa_user_sgpr_kernarg_preload_offset 0
		.amdhsa_user_sgpr_private_segment_size 0
		.amdhsa_uses_dynamic_stack 0
		.amdhsa_enable_private_segment 0
		.amdhsa_system_sgpr_workgroup_id_x 1
		.amdhsa_system_sgpr_workgroup_id_y 0
		.amdhsa_system_sgpr_workgroup_id_z 0
		.amdhsa_system_sgpr_workgroup_info 0
		.amdhsa_system_vgpr_workitem_id 0
		.amdhsa_next_free_vgpr 1
		.amdhsa_next_free_sgpr 0
		.amdhsa_accum_offset 4
		.amdhsa_reserve_vcc 0
		.amdhsa_float_round_mode_32 0
		.amdhsa_float_round_mode_16_64 0
		.amdhsa_float_denorm_mode_32 3
		.amdhsa_float_denorm_mode_16_64 3
		.amdhsa_dx10_clamp 1
		.amdhsa_ieee_mode 1
		.amdhsa_fp16_overflow 0
		.amdhsa_tg_split 0
		.amdhsa_exception_fp_ieee_invalid_op 0
		.amdhsa_exception_fp_denorm_src 0
		.amdhsa_exception_fp_ieee_div_zero 0
		.amdhsa_exception_fp_ieee_overflow 0
		.amdhsa_exception_fp_ieee_underflow 0
		.amdhsa_exception_fp_ieee_inexact 0
		.amdhsa_exception_int_div_zero 0
	.end_amdhsa_kernel
	.section	.text._ZN7rocprim17ROCPRIM_400000_NS6detail17trampoline_kernelINS0_14default_configENS1_35adjacent_difference_config_selectorILb1ElEEZNS1_24adjacent_difference_implIS3_Lb1ELb0EPlS7_ZN2at6native12_GLOBAL__N_124unique_dim_cuda_templateIbEESt5tupleIJNS8_6TensorESD_SD_EERKSD_lbbbEUlllE1_EE10hipError_tPvRmT2_T3_mT4_P12ihipStream_tbEUlT_E_NS1_11comp_targetILNS1_3genE9ELNS1_11target_archE1100ELNS1_3gpuE3ELNS1_3repE0EEENS1_30default_config_static_selectorELNS0_4arch9wavefront6targetE1EEEvT1_,"axG",@progbits,_ZN7rocprim17ROCPRIM_400000_NS6detail17trampoline_kernelINS0_14default_configENS1_35adjacent_difference_config_selectorILb1ElEEZNS1_24adjacent_difference_implIS3_Lb1ELb0EPlS7_ZN2at6native12_GLOBAL__N_124unique_dim_cuda_templateIbEESt5tupleIJNS8_6TensorESD_SD_EERKSD_lbbbEUlllE1_EE10hipError_tPvRmT2_T3_mT4_P12ihipStream_tbEUlT_E_NS1_11comp_targetILNS1_3genE9ELNS1_11target_archE1100ELNS1_3gpuE3ELNS1_3repE0EEENS1_30default_config_static_selectorELNS0_4arch9wavefront6targetE1EEEvT1_,comdat
.Lfunc_end1049:
	.size	_ZN7rocprim17ROCPRIM_400000_NS6detail17trampoline_kernelINS0_14default_configENS1_35adjacent_difference_config_selectorILb1ElEEZNS1_24adjacent_difference_implIS3_Lb1ELb0EPlS7_ZN2at6native12_GLOBAL__N_124unique_dim_cuda_templateIbEESt5tupleIJNS8_6TensorESD_SD_EERKSD_lbbbEUlllE1_EE10hipError_tPvRmT2_T3_mT4_P12ihipStream_tbEUlT_E_NS1_11comp_targetILNS1_3genE9ELNS1_11target_archE1100ELNS1_3gpuE3ELNS1_3repE0EEENS1_30default_config_static_selectorELNS0_4arch9wavefront6targetE1EEEvT1_, .Lfunc_end1049-_ZN7rocprim17ROCPRIM_400000_NS6detail17trampoline_kernelINS0_14default_configENS1_35adjacent_difference_config_selectorILb1ElEEZNS1_24adjacent_difference_implIS3_Lb1ELb0EPlS7_ZN2at6native12_GLOBAL__N_124unique_dim_cuda_templateIbEESt5tupleIJNS8_6TensorESD_SD_EERKSD_lbbbEUlllE1_EE10hipError_tPvRmT2_T3_mT4_P12ihipStream_tbEUlT_E_NS1_11comp_targetILNS1_3genE9ELNS1_11target_archE1100ELNS1_3gpuE3ELNS1_3repE0EEENS1_30default_config_static_selectorELNS0_4arch9wavefront6targetE1EEEvT1_
                                        ; -- End function
	.set _ZN7rocprim17ROCPRIM_400000_NS6detail17trampoline_kernelINS0_14default_configENS1_35adjacent_difference_config_selectorILb1ElEEZNS1_24adjacent_difference_implIS3_Lb1ELb0EPlS7_ZN2at6native12_GLOBAL__N_124unique_dim_cuda_templateIbEESt5tupleIJNS8_6TensorESD_SD_EERKSD_lbbbEUlllE1_EE10hipError_tPvRmT2_T3_mT4_P12ihipStream_tbEUlT_E_NS1_11comp_targetILNS1_3genE9ELNS1_11target_archE1100ELNS1_3gpuE3ELNS1_3repE0EEENS1_30default_config_static_selectorELNS0_4arch9wavefront6targetE1EEEvT1_.num_vgpr, 0
	.set _ZN7rocprim17ROCPRIM_400000_NS6detail17trampoline_kernelINS0_14default_configENS1_35adjacent_difference_config_selectorILb1ElEEZNS1_24adjacent_difference_implIS3_Lb1ELb0EPlS7_ZN2at6native12_GLOBAL__N_124unique_dim_cuda_templateIbEESt5tupleIJNS8_6TensorESD_SD_EERKSD_lbbbEUlllE1_EE10hipError_tPvRmT2_T3_mT4_P12ihipStream_tbEUlT_E_NS1_11comp_targetILNS1_3genE9ELNS1_11target_archE1100ELNS1_3gpuE3ELNS1_3repE0EEENS1_30default_config_static_selectorELNS0_4arch9wavefront6targetE1EEEvT1_.num_agpr, 0
	.set _ZN7rocprim17ROCPRIM_400000_NS6detail17trampoline_kernelINS0_14default_configENS1_35adjacent_difference_config_selectorILb1ElEEZNS1_24adjacent_difference_implIS3_Lb1ELb0EPlS7_ZN2at6native12_GLOBAL__N_124unique_dim_cuda_templateIbEESt5tupleIJNS8_6TensorESD_SD_EERKSD_lbbbEUlllE1_EE10hipError_tPvRmT2_T3_mT4_P12ihipStream_tbEUlT_E_NS1_11comp_targetILNS1_3genE9ELNS1_11target_archE1100ELNS1_3gpuE3ELNS1_3repE0EEENS1_30default_config_static_selectorELNS0_4arch9wavefront6targetE1EEEvT1_.numbered_sgpr, 0
	.set _ZN7rocprim17ROCPRIM_400000_NS6detail17trampoline_kernelINS0_14default_configENS1_35adjacent_difference_config_selectorILb1ElEEZNS1_24adjacent_difference_implIS3_Lb1ELb0EPlS7_ZN2at6native12_GLOBAL__N_124unique_dim_cuda_templateIbEESt5tupleIJNS8_6TensorESD_SD_EERKSD_lbbbEUlllE1_EE10hipError_tPvRmT2_T3_mT4_P12ihipStream_tbEUlT_E_NS1_11comp_targetILNS1_3genE9ELNS1_11target_archE1100ELNS1_3gpuE3ELNS1_3repE0EEENS1_30default_config_static_selectorELNS0_4arch9wavefront6targetE1EEEvT1_.num_named_barrier, 0
	.set _ZN7rocprim17ROCPRIM_400000_NS6detail17trampoline_kernelINS0_14default_configENS1_35adjacent_difference_config_selectorILb1ElEEZNS1_24adjacent_difference_implIS3_Lb1ELb0EPlS7_ZN2at6native12_GLOBAL__N_124unique_dim_cuda_templateIbEESt5tupleIJNS8_6TensorESD_SD_EERKSD_lbbbEUlllE1_EE10hipError_tPvRmT2_T3_mT4_P12ihipStream_tbEUlT_E_NS1_11comp_targetILNS1_3genE9ELNS1_11target_archE1100ELNS1_3gpuE3ELNS1_3repE0EEENS1_30default_config_static_selectorELNS0_4arch9wavefront6targetE1EEEvT1_.private_seg_size, 0
	.set _ZN7rocprim17ROCPRIM_400000_NS6detail17trampoline_kernelINS0_14default_configENS1_35adjacent_difference_config_selectorILb1ElEEZNS1_24adjacent_difference_implIS3_Lb1ELb0EPlS7_ZN2at6native12_GLOBAL__N_124unique_dim_cuda_templateIbEESt5tupleIJNS8_6TensorESD_SD_EERKSD_lbbbEUlllE1_EE10hipError_tPvRmT2_T3_mT4_P12ihipStream_tbEUlT_E_NS1_11comp_targetILNS1_3genE9ELNS1_11target_archE1100ELNS1_3gpuE3ELNS1_3repE0EEENS1_30default_config_static_selectorELNS0_4arch9wavefront6targetE1EEEvT1_.uses_vcc, 0
	.set _ZN7rocprim17ROCPRIM_400000_NS6detail17trampoline_kernelINS0_14default_configENS1_35adjacent_difference_config_selectorILb1ElEEZNS1_24adjacent_difference_implIS3_Lb1ELb0EPlS7_ZN2at6native12_GLOBAL__N_124unique_dim_cuda_templateIbEESt5tupleIJNS8_6TensorESD_SD_EERKSD_lbbbEUlllE1_EE10hipError_tPvRmT2_T3_mT4_P12ihipStream_tbEUlT_E_NS1_11comp_targetILNS1_3genE9ELNS1_11target_archE1100ELNS1_3gpuE3ELNS1_3repE0EEENS1_30default_config_static_selectorELNS0_4arch9wavefront6targetE1EEEvT1_.uses_flat_scratch, 0
	.set _ZN7rocprim17ROCPRIM_400000_NS6detail17trampoline_kernelINS0_14default_configENS1_35adjacent_difference_config_selectorILb1ElEEZNS1_24adjacent_difference_implIS3_Lb1ELb0EPlS7_ZN2at6native12_GLOBAL__N_124unique_dim_cuda_templateIbEESt5tupleIJNS8_6TensorESD_SD_EERKSD_lbbbEUlllE1_EE10hipError_tPvRmT2_T3_mT4_P12ihipStream_tbEUlT_E_NS1_11comp_targetILNS1_3genE9ELNS1_11target_archE1100ELNS1_3gpuE3ELNS1_3repE0EEENS1_30default_config_static_selectorELNS0_4arch9wavefront6targetE1EEEvT1_.has_dyn_sized_stack, 0
	.set _ZN7rocprim17ROCPRIM_400000_NS6detail17trampoline_kernelINS0_14default_configENS1_35adjacent_difference_config_selectorILb1ElEEZNS1_24adjacent_difference_implIS3_Lb1ELb0EPlS7_ZN2at6native12_GLOBAL__N_124unique_dim_cuda_templateIbEESt5tupleIJNS8_6TensorESD_SD_EERKSD_lbbbEUlllE1_EE10hipError_tPvRmT2_T3_mT4_P12ihipStream_tbEUlT_E_NS1_11comp_targetILNS1_3genE9ELNS1_11target_archE1100ELNS1_3gpuE3ELNS1_3repE0EEENS1_30default_config_static_selectorELNS0_4arch9wavefront6targetE1EEEvT1_.has_recursion, 0
	.set _ZN7rocprim17ROCPRIM_400000_NS6detail17trampoline_kernelINS0_14default_configENS1_35adjacent_difference_config_selectorILb1ElEEZNS1_24adjacent_difference_implIS3_Lb1ELb0EPlS7_ZN2at6native12_GLOBAL__N_124unique_dim_cuda_templateIbEESt5tupleIJNS8_6TensorESD_SD_EERKSD_lbbbEUlllE1_EE10hipError_tPvRmT2_T3_mT4_P12ihipStream_tbEUlT_E_NS1_11comp_targetILNS1_3genE9ELNS1_11target_archE1100ELNS1_3gpuE3ELNS1_3repE0EEENS1_30default_config_static_selectorELNS0_4arch9wavefront6targetE1EEEvT1_.has_indirect_call, 0
	.section	.AMDGPU.csdata,"",@progbits
; Kernel info:
; codeLenInByte = 0
; TotalNumSgprs: 6
; NumVgprs: 0
; NumAgprs: 0
; TotalNumVgprs: 0
; ScratchSize: 0
; MemoryBound: 0
; FloatMode: 240
; IeeeMode: 1
; LDSByteSize: 0 bytes/workgroup (compile time only)
; SGPRBlocks: 0
; VGPRBlocks: 0
; NumSGPRsForWavesPerEU: 6
; NumVGPRsForWavesPerEU: 1
; AccumOffset: 4
; Occupancy: 8
; WaveLimiterHint : 0
; COMPUTE_PGM_RSRC2:SCRATCH_EN: 0
; COMPUTE_PGM_RSRC2:USER_SGPR: 2
; COMPUTE_PGM_RSRC2:TRAP_HANDLER: 0
; COMPUTE_PGM_RSRC2:TGID_X_EN: 1
; COMPUTE_PGM_RSRC2:TGID_Y_EN: 0
; COMPUTE_PGM_RSRC2:TGID_Z_EN: 0
; COMPUTE_PGM_RSRC2:TIDIG_COMP_CNT: 0
; COMPUTE_PGM_RSRC3_GFX90A:ACCUM_OFFSET: 0
; COMPUTE_PGM_RSRC3_GFX90A:TG_SPLIT: 0
	.section	.text._ZN7rocprim17ROCPRIM_400000_NS6detail17trampoline_kernelINS0_14default_configENS1_35adjacent_difference_config_selectorILb1ElEEZNS1_24adjacent_difference_implIS3_Lb1ELb0EPlS7_ZN2at6native12_GLOBAL__N_124unique_dim_cuda_templateIbEESt5tupleIJNS8_6TensorESD_SD_EERKSD_lbbbEUlllE1_EE10hipError_tPvRmT2_T3_mT4_P12ihipStream_tbEUlT_E_NS1_11comp_targetILNS1_3genE8ELNS1_11target_archE1030ELNS1_3gpuE2ELNS1_3repE0EEENS1_30default_config_static_selectorELNS0_4arch9wavefront6targetE1EEEvT1_,"axG",@progbits,_ZN7rocprim17ROCPRIM_400000_NS6detail17trampoline_kernelINS0_14default_configENS1_35adjacent_difference_config_selectorILb1ElEEZNS1_24adjacent_difference_implIS3_Lb1ELb0EPlS7_ZN2at6native12_GLOBAL__N_124unique_dim_cuda_templateIbEESt5tupleIJNS8_6TensorESD_SD_EERKSD_lbbbEUlllE1_EE10hipError_tPvRmT2_T3_mT4_P12ihipStream_tbEUlT_E_NS1_11comp_targetILNS1_3genE8ELNS1_11target_archE1030ELNS1_3gpuE2ELNS1_3repE0EEENS1_30default_config_static_selectorELNS0_4arch9wavefront6targetE1EEEvT1_,comdat
	.globl	_ZN7rocprim17ROCPRIM_400000_NS6detail17trampoline_kernelINS0_14default_configENS1_35adjacent_difference_config_selectorILb1ElEEZNS1_24adjacent_difference_implIS3_Lb1ELb0EPlS7_ZN2at6native12_GLOBAL__N_124unique_dim_cuda_templateIbEESt5tupleIJNS8_6TensorESD_SD_EERKSD_lbbbEUlllE1_EE10hipError_tPvRmT2_T3_mT4_P12ihipStream_tbEUlT_E_NS1_11comp_targetILNS1_3genE8ELNS1_11target_archE1030ELNS1_3gpuE2ELNS1_3repE0EEENS1_30default_config_static_selectorELNS0_4arch9wavefront6targetE1EEEvT1_ ; -- Begin function _ZN7rocprim17ROCPRIM_400000_NS6detail17trampoline_kernelINS0_14default_configENS1_35adjacent_difference_config_selectorILb1ElEEZNS1_24adjacent_difference_implIS3_Lb1ELb0EPlS7_ZN2at6native12_GLOBAL__N_124unique_dim_cuda_templateIbEESt5tupleIJNS8_6TensorESD_SD_EERKSD_lbbbEUlllE1_EE10hipError_tPvRmT2_T3_mT4_P12ihipStream_tbEUlT_E_NS1_11comp_targetILNS1_3genE8ELNS1_11target_archE1030ELNS1_3gpuE2ELNS1_3repE0EEENS1_30default_config_static_selectorELNS0_4arch9wavefront6targetE1EEEvT1_
	.p2align	8
	.type	_ZN7rocprim17ROCPRIM_400000_NS6detail17trampoline_kernelINS0_14default_configENS1_35adjacent_difference_config_selectorILb1ElEEZNS1_24adjacent_difference_implIS3_Lb1ELb0EPlS7_ZN2at6native12_GLOBAL__N_124unique_dim_cuda_templateIbEESt5tupleIJNS8_6TensorESD_SD_EERKSD_lbbbEUlllE1_EE10hipError_tPvRmT2_T3_mT4_P12ihipStream_tbEUlT_E_NS1_11comp_targetILNS1_3genE8ELNS1_11target_archE1030ELNS1_3gpuE2ELNS1_3repE0EEENS1_30default_config_static_selectorELNS0_4arch9wavefront6targetE1EEEvT1_,@function
_ZN7rocprim17ROCPRIM_400000_NS6detail17trampoline_kernelINS0_14default_configENS1_35adjacent_difference_config_selectorILb1ElEEZNS1_24adjacent_difference_implIS3_Lb1ELb0EPlS7_ZN2at6native12_GLOBAL__N_124unique_dim_cuda_templateIbEESt5tupleIJNS8_6TensorESD_SD_EERKSD_lbbbEUlllE1_EE10hipError_tPvRmT2_T3_mT4_P12ihipStream_tbEUlT_E_NS1_11comp_targetILNS1_3genE8ELNS1_11target_archE1030ELNS1_3gpuE2ELNS1_3repE0EEENS1_30default_config_static_selectorELNS0_4arch9wavefront6targetE1EEEvT1_: ; @_ZN7rocprim17ROCPRIM_400000_NS6detail17trampoline_kernelINS0_14default_configENS1_35adjacent_difference_config_selectorILb1ElEEZNS1_24adjacent_difference_implIS3_Lb1ELb0EPlS7_ZN2at6native12_GLOBAL__N_124unique_dim_cuda_templateIbEESt5tupleIJNS8_6TensorESD_SD_EERKSD_lbbbEUlllE1_EE10hipError_tPvRmT2_T3_mT4_P12ihipStream_tbEUlT_E_NS1_11comp_targetILNS1_3genE8ELNS1_11target_archE1030ELNS1_3gpuE2ELNS1_3repE0EEENS1_30default_config_static_selectorELNS0_4arch9wavefront6targetE1EEEvT1_
; %bb.0:
	.section	.rodata,"a",@progbits
	.p2align	6, 0x0
	.amdhsa_kernel _ZN7rocprim17ROCPRIM_400000_NS6detail17trampoline_kernelINS0_14default_configENS1_35adjacent_difference_config_selectorILb1ElEEZNS1_24adjacent_difference_implIS3_Lb1ELb0EPlS7_ZN2at6native12_GLOBAL__N_124unique_dim_cuda_templateIbEESt5tupleIJNS8_6TensorESD_SD_EERKSD_lbbbEUlllE1_EE10hipError_tPvRmT2_T3_mT4_P12ihipStream_tbEUlT_E_NS1_11comp_targetILNS1_3genE8ELNS1_11target_archE1030ELNS1_3gpuE2ELNS1_3repE0EEENS1_30default_config_static_selectorELNS0_4arch9wavefront6targetE1EEEvT1_
		.amdhsa_group_segment_fixed_size 0
		.amdhsa_private_segment_fixed_size 0
		.amdhsa_kernarg_size 64
		.amdhsa_user_sgpr_count 2
		.amdhsa_user_sgpr_dispatch_ptr 0
		.amdhsa_user_sgpr_queue_ptr 0
		.amdhsa_user_sgpr_kernarg_segment_ptr 1
		.amdhsa_user_sgpr_dispatch_id 0
		.amdhsa_user_sgpr_kernarg_preload_length 0
		.amdhsa_user_sgpr_kernarg_preload_offset 0
		.amdhsa_user_sgpr_private_segment_size 0
		.amdhsa_uses_dynamic_stack 0
		.amdhsa_enable_private_segment 0
		.amdhsa_system_sgpr_workgroup_id_x 1
		.amdhsa_system_sgpr_workgroup_id_y 0
		.amdhsa_system_sgpr_workgroup_id_z 0
		.amdhsa_system_sgpr_workgroup_info 0
		.amdhsa_system_vgpr_workitem_id 0
		.amdhsa_next_free_vgpr 1
		.amdhsa_next_free_sgpr 0
		.amdhsa_accum_offset 4
		.amdhsa_reserve_vcc 0
		.amdhsa_float_round_mode_32 0
		.amdhsa_float_round_mode_16_64 0
		.amdhsa_float_denorm_mode_32 3
		.amdhsa_float_denorm_mode_16_64 3
		.amdhsa_dx10_clamp 1
		.amdhsa_ieee_mode 1
		.amdhsa_fp16_overflow 0
		.amdhsa_tg_split 0
		.amdhsa_exception_fp_ieee_invalid_op 0
		.amdhsa_exception_fp_denorm_src 0
		.amdhsa_exception_fp_ieee_div_zero 0
		.amdhsa_exception_fp_ieee_overflow 0
		.amdhsa_exception_fp_ieee_underflow 0
		.amdhsa_exception_fp_ieee_inexact 0
		.amdhsa_exception_int_div_zero 0
	.end_amdhsa_kernel
	.section	.text._ZN7rocprim17ROCPRIM_400000_NS6detail17trampoline_kernelINS0_14default_configENS1_35adjacent_difference_config_selectorILb1ElEEZNS1_24adjacent_difference_implIS3_Lb1ELb0EPlS7_ZN2at6native12_GLOBAL__N_124unique_dim_cuda_templateIbEESt5tupleIJNS8_6TensorESD_SD_EERKSD_lbbbEUlllE1_EE10hipError_tPvRmT2_T3_mT4_P12ihipStream_tbEUlT_E_NS1_11comp_targetILNS1_3genE8ELNS1_11target_archE1030ELNS1_3gpuE2ELNS1_3repE0EEENS1_30default_config_static_selectorELNS0_4arch9wavefront6targetE1EEEvT1_,"axG",@progbits,_ZN7rocprim17ROCPRIM_400000_NS6detail17trampoline_kernelINS0_14default_configENS1_35adjacent_difference_config_selectorILb1ElEEZNS1_24adjacent_difference_implIS3_Lb1ELb0EPlS7_ZN2at6native12_GLOBAL__N_124unique_dim_cuda_templateIbEESt5tupleIJNS8_6TensorESD_SD_EERKSD_lbbbEUlllE1_EE10hipError_tPvRmT2_T3_mT4_P12ihipStream_tbEUlT_E_NS1_11comp_targetILNS1_3genE8ELNS1_11target_archE1030ELNS1_3gpuE2ELNS1_3repE0EEENS1_30default_config_static_selectorELNS0_4arch9wavefront6targetE1EEEvT1_,comdat
.Lfunc_end1050:
	.size	_ZN7rocprim17ROCPRIM_400000_NS6detail17trampoline_kernelINS0_14default_configENS1_35adjacent_difference_config_selectorILb1ElEEZNS1_24adjacent_difference_implIS3_Lb1ELb0EPlS7_ZN2at6native12_GLOBAL__N_124unique_dim_cuda_templateIbEESt5tupleIJNS8_6TensorESD_SD_EERKSD_lbbbEUlllE1_EE10hipError_tPvRmT2_T3_mT4_P12ihipStream_tbEUlT_E_NS1_11comp_targetILNS1_3genE8ELNS1_11target_archE1030ELNS1_3gpuE2ELNS1_3repE0EEENS1_30default_config_static_selectorELNS0_4arch9wavefront6targetE1EEEvT1_, .Lfunc_end1050-_ZN7rocprim17ROCPRIM_400000_NS6detail17trampoline_kernelINS0_14default_configENS1_35adjacent_difference_config_selectorILb1ElEEZNS1_24adjacent_difference_implIS3_Lb1ELb0EPlS7_ZN2at6native12_GLOBAL__N_124unique_dim_cuda_templateIbEESt5tupleIJNS8_6TensorESD_SD_EERKSD_lbbbEUlllE1_EE10hipError_tPvRmT2_T3_mT4_P12ihipStream_tbEUlT_E_NS1_11comp_targetILNS1_3genE8ELNS1_11target_archE1030ELNS1_3gpuE2ELNS1_3repE0EEENS1_30default_config_static_selectorELNS0_4arch9wavefront6targetE1EEEvT1_
                                        ; -- End function
	.set _ZN7rocprim17ROCPRIM_400000_NS6detail17trampoline_kernelINS0_14default_configENS1_35adjacent_difference_config_selectorILb1ElEEZNS1_24adjacent_difference_implIS3_Lb1ELb0EPlS7_ZN2at6native12_GLOBAL__N_124unique_dim_cuda_templateIbEESt5tupleIJNS8_6TensorESD_SD_EERKSD_lbbbEUlllE1_EE10hipError_tPvRmT2_T3_mT4_P12ihipStream_tbEUlT_E_NS1_11comp_targetILNS1_3genE8ELNS1_11target_archE1030ELNS1_3gpuE2ELNS1_3repE0EEENS1_30default_config_static_selectorELNS0_4arch9wavefront6targetE1EEEvT1_.num_vgpr, 0
	.set _ZN7rocprim17ROCPRIM_400000_NS6detail17trampoline_kernelINS0_14default_configENS1_35adjacent_difference_config_selectorILb1ElEEZNS1_24adjacent_difference_implIS3_Lb1ELb0EPlS7_ZN2at6native12_GLOBAL__N_124unique_dim_cuda_templateIbEESt5tupleIJNS8_6TensorESD_SD_EERKSD_lbbbEUlllE1_EE10hipError_tPvRmT2_T3_mT4_P12ihipStream_tbEUlT_E_NS1_11comp_targetILNS1_3genE8ELNS1_11target_archE1030ELNS1_3gpuE2ELNS1_3repE0EEENS1_30default_config_static_selectorELNS0_4arch9wavefront6targetE1EEEvT1_.num_agpr, 0
	.set _ZN7rocprim17ROCPRIM_400000_NS6detail17trampoline_kernelINS0_14default_configENS1_35adjacent_difference_config_selectorILb1ElEEZNS1_24adjacent_difference_implIS3_Lb1ELb0EPlS7_ZN2at6native12_GLOBAL__N_124unique_dim_cuda_templateIbEESt5tupleIJNS8_6TensorESD_SD_EERKSD_lbbbEUlllE1_EE10hipError_tPvRmT2_T3_mT4_P12ihipStream_tbEUlT_E_NS1_11comp_targetILNS1_3genE8ELNS1_11target_archE1030ELNS1_3gpuE2ELNS1_3repE0EEENS1_30default_config_static_selectorELNS0_4arch9wavefront6targetE1EEEvT1_.numbered_sgpr, 0
	.set _ZN7rocprim17ROCPRIM_400000_NS6detail17trampoline_kernelINS0_14default_configENS1_35adjacent_difference_config_selectorILb1ElEEZNS1_24adjacent_difference_implIS3_Lb1ELb0EPlS7_ZN2at6native12_GLOBAL__N_124unique_dim_cuda_templateIbEESt5tupleIJNS8_6TensorESD_SD_EERKSD_lbbbEUlllE1_EE10hipError_tPvRmT2_T3_mT4_P12ihipStream_tbEUlT_E_NS1_11comp_targetILNS1_3genE8ELNS1_11target_archE1030ELNS1_3gpuE2ELNS1_3repE0EEENS1_30default_config_static_selectorELNS0_4arch9wavefront6targetE1EEEvT1_.num_named_barrier, 0
	.set _ZN7rocprim17ROCPRIM_400000_NS6detail17trampoline_kernelINS0_14default_configENS1_35adjacent_difference_config_selectorILb1ElEEZNS1_24adjacent_difference_implIS3_Lb1ELb0EPlS7_ZN2at6native12_GLOBAL__N_124unique_dim_cuda_templateIbEESt5tupleIJNS8_6TensorESD_SD_EERKSD_lbbbEUlllE1_EE10hipError_tPvRmT2_T3_mT4_P12ihipStream_tbEUlT_E_NS1_11comp_targetILNS1_3genE8ELNS1_11target_archE1030ELNS1_3gpuE2ELNS1_3repE0EEENS1_30default_config_static_selectorELNS0_4arch9wavefront6targetE1EEEvT1_.private_seg_size, 0
	.set _ZN7rocprim17ROCPRIM_400000_NS6detail17trampoline_kernelINS0_14default_configENS1_35adjacent_difference_config_selectorILb1ElEEZNS1_24adjacent_difference_implIS3_Lb1ELb0EPlS7_ZN2at6native12_GLOBAL__N_124unique_dim_cuda_templateIbEESt5tupleIJNS8_6TensorESD_SD_EERKSD_lbbbEUlllE1_EE10hipError_tPvRmT2_T3_mT4_P12ihipStream_tbEUlT_E_NS1_11comp_targetILNS1_3genE8ELNS1_11target_archE1030ELNS1_3gpuE2ELNS1_3repE0EEENS1_30default_config_static_selectorELNS0_4arch9wavefront6targetE1EEEvT1_.uses_vcc, 0
	.set _ZN7rocprim17ROCPRIM_400000_NS6detail17trampoline_kernelINS0_14default_configENS1_35adjacent_difference_config_selectorILb1ElEEZNS1_24adjacent_difference_implIS3_Lb1ELb0EPlS7_ZN2at6native12_GLOBAL__N_124unique_dim_cuda_templateIbEESt5tupleIJNS8_6TensorESD_SD_EERKSD_lbbbEUlllE1_EE10hipError_tPvRmT2_T3_mT4_P12ihipStream_tbEUlT_E_NS1_11comp_targetILNS1_3genE8ELNS1_11target_archE1030ELNS1_3gpuE2ELNS1_3repE0EEENS1_30default_config_static_selectorELNS0_4arch9wavefront6targetE1EEEvT1_.uses_flat_scratch, 0
	.set _ZN7rocprim17ROCPRIM_400000_NS6detail17trampoline_kernelINS0_14default_configENS1_35adjacent_difference_config_selectorILb1ElEEZNS1_24adjacent_difference_implIS3_Lb1ELb0EPlS7_ZN2at6native12_GLOBAL__N_124unique_dim_cuda_templateIbEESt5tupleIJNS8_6TensorESD_SD_EERKSD_lbbbEUlllE1_EE10hipError_tPvRmT2_T3_mT4_P12ihipStream_tbEUlT_E_NS1_11comp_targetILNS1_3genE8ELNS1_11target_archE1030ELNS1_3gpuE2ELNS1_3repE0EEENS1_30default_config_static_selectorELNS0_4arch9wavefront6targetE1EEEvT1_.has_dyn_sized_stack, 0
	.set _ZN7rocprim17ROCPRIM_400000_NS6detail17trampoline_kernelINS0_14default_configENS1_35adjacent_difference_config_selectorILb1ElEEZNS1_24adjacent_difference_implIS3_Lb1ELb0EPlS7_ZN2at6native12_GLOBAL__N_124unique_dim_cuda_templateIbEESt5tupleIJNS8_6TensorESD_SD_EERKSD_lbbbEUlllE1_EE10hipError_tPvRmT2_T3_mT4_P12ihipStream_tbEUlT_E_NS1_11comp_targetILNS1_3genE8ELNS1_11target_archE1030ELNS1_3gpuE2ELNS1_3repE0EEENS1_30default_config_static_selectorELNS0_4arch9wavefront6targetE1EEEvT1_.has_recursion, 0
	.set _ZN7rocprim17ROCPRIM_400000_NS6detail17trampoline_kernelINS0_14default_configENS1_35adjacent_difference_config_selectorILb1ElEEZNS1_24adjacent_difference_implIS3_Lb1ELb0EPlS7_ZN2at6native12_GLOBAL__N_124unique_dim_cuda_templateIbEESt5tupleIJNS8_6TensorESD_SD_EERKSD_lbbbEUlllE1_EE10hipError_tPvRmT2_T3_mT4_P12ihipStream_tbEUlT_E_NS1_11comp_targetILNS1_3genE8ELNS1_11target_archE1030ELNS1_3gpuE2ELNS1_3repE0EEENS1_30default_config_static_selectorELNS0_4arch9wavefront6targetE1EEEvT1_.has_indirect_call, 0
	.section	.AMDGPU.csdata,"",@progbits
; Kernel info:
; codeLenInByte = 0
; TotalNumSgprs: 6
; NumVgprs: 0
; NumAgprs: 0
; TotalNumVgprs: 0
; ScratchSize: 0
; MemoryBound: 0
; FloatMode: 240
; IeeeMode: 1
; LDSByteSize: 0 bytes/workgroup (compile time only)
; SGPRBlocks: 0
; VGPRBlocks: 0
; NumSGPRsForWavesPerEU: 6
; NumVGPRsForWavesPerEU: 1
; AccumOffset: 4
; Occupancy: 8
; WaveLimiterHint : 0
; COMPUTE_PGM_RSRC2:SCRATCH_EN: 0
; COMPUTE_PGM_RSRC2:USER_SGPR: 2
; COMPUTE_PGM_RSRC2:TRAP_HANDLER: 0
; COMPUTE_PGM_RSRC2:TGID_X_EN: 1
; COMPUTE_PGM_RSRC2:TGID_Y_EN: 0
; COMPUTE_PGM_RSRC2:TGID_Z_EN: 0
; COMPUTE_PGM_RSRC2:TIDIG_COMP_CNT: 0
; COMPUTE_PGM_RSRC3_GFX90A:ACCUM_OFFSET: 0
; COMPUTE_PGM_RSRC3_GFX90A:TG_SPLIT: 0
	.section	.text._ZN7rocprim17ROCPRIM_400000_NS6detail17trampoline_kernelINS0_14default_configENS1_25partition_config_selectorILNS1_17partition_subalgoE8ElNS0_10empty_typeEbEEZZNS1_14partition_implILS5_8ELb0ES3_jPlPS6_PKS6_NS0_5tupleIJS9_S6_EEENSD_IJSA_SA_EEENS0_18inequality_wrapperIZN2at6native12_GLOBAL__N_124unique_dim_cuda_templateIbEESt5tupleIJNSH_6TensorESM_SM_EERKSM_lbbbEUlllE0_EEPmJS6_EEE10hipError_tPvRmT3_T4_T5_T6_T7_T9_mT8_P12ihipStream_tbDpT10_ENKUlT_T0_E_clISt17integral_constantIbLb0EES1C_EEDaS17_S18_EUlS17_E_NS1_11comp_targetILNS1_3genE0ELNS1_11target_archE4294967295ELNS1_3gpuE0ELNS1_3repE0EEENS1_30default_config_static_selectorELNS0_4arch9wavefront6targetE1EEEvT1_,"axG",@progbits,_ZN7rocprim17ROCPRIM_400000_NS6detail17trampoline_kernelINS0_14default_configENS1_25partition_config_selectorILNS1_17partition_subalgoE8ElNS0_10empty_typeEbEEZZNS1_14partition_implILS5_8ELb0ES3_jPlPS6_PKS6_NS0_5tupleIJS9_S6_EEENSD_IJSA_SA_EEENS0_18inequality_wrapperIZN2at6native12_GLOBAL__N_124unique_dim_cuda_templateIbEESt5tupleIJNSH_6TensorESM_SM_EERKSM_lbbbEUlllE0_EEPmJS6_EEE10hipError_tPvRmT3_T4_T5_T6_T7_T9_mT8_P12ihipStream_tbDpT10_ENKUlT_T0_E_clISt17integral_constantIbLb0EES1C_EEDaS17_S18_EUlS17_E_NS1_11comp_targetILNS1_3genE0ELNS1_11target_archE4294967295ELNS1_3gpuE0ELNS1_3repE0EEENS1_30default_config_static_selectorELNS0_4arch9wavefront6targetE1EEEvT1_,comdat
	.globl	_ZN7rocprim17ROCPRIM_400000_NS6detail17trampoline_kernelINS0_14default_configENS1_25partition_config_selectorILNS1_17partition_subalgoE8ElNS0_10empty_typeEbEEZZNS1_14partition_implILS5_8ELb0ES3_jPlPS6_PKS6_NS0_5tupleIJS9_S6_EEENSD_IJSA_SA_EEENS0_18inequality_wrapperIZN2at6native12_GLOBAL__N_124unique_dim_cuda_templateIbEESt5tupleIJNSH_6TensorESM_SM_EERKSM_lbbbEUlllE0_EEPmJS6_EEE10hipError_tPvRmT3_T4_T5_T6_T7_T9_mT8_P12ihipStream_tbDpT10_ENKUlT_T0_E_clISt17integral_constantIbLb0EES1C_EEDaS17_S18_EUlS17_E_NS1_11comp_targetILNS1_3genE0ELNS1_11target_archE4294967295ELNS1_3gpuE0ELNS1_3repE0EEENS1_30default_config_static_selectorELNS0_4arch9wavefront6targetE1EEEvT1_ ; -- Begin function _ZN7rocprim17ROCPRIM_400000_NS6detail17trampoline_kernelINS0_14default_configENS1_25partition_config_selectorILNS1_17partition_subalgoE8ElNS0_10empty_typeEbEEZZNS1_14partition_implILS5_8ELb0ES3_jPlPS6_PKS6_NS0_5tupleIJS9_S6_EEENSD_IJSA_SA_EEENS0_18inequality_wrapperIZN2at6native12_GLOBAL__N_124unique_dim_cuda_templateIbEESt5tupleIJNSH_6TensorESM_SM_EERKSM_lbbbEUlllE0_EEPmJS6_EEE10hipError_tPvRmT3_T4_T5_T6_T7_T9_mT8_P12ihipStream_tbDpT10_ENKUlT_T0_E_clISt17integral_constantIbLb0EES1C_EEDaS17_S18_EUlS17_E_NS1_11comp_targetILNS1_3genE0ELNS1_11target_archE4294967295ELNS1_3gpuE0ELNS1_3repE0EEENS1_30default_config_static_selectorELNS0_4arch9wavefront6targetE1EEEvT1_
	.p2align	8
	.type	_ZN7rocprim17ROCPRIM_400000_NS6detail17trampoline_kernelINS0_14default_configENS1_25partition_config_selectorILNS1_17partition_subalgoE8ElNS0_10empty_typeEbEEZZNS1_14partition_implILS5_8ELb0ES3_jPlPS6_PKS6_NS0_5tupleIJS9_S6_EEENSD_IJSA_SA_EEENS0_18inequality_wrapperIZN2at6native12_GLOBAL__N_124unique_dim_cuda_templateIbEESt5tupleIJNSH_6TensorESM_SM_EERKSM_lbbbEUlllE0_EEPmJS6_EEE10hipError_tPvRmT3_T4_T5_T6_T7_T9_mT8_P12ihipStream_tbDpT10_ENKUlT_T0_E_clISt17integral_constantIbLb0EES1C_EEDaS17_S18_EUlS17_E_NS1_11comp_targetILNS1_3genE0ELNS1_11target_archE4294967295ELNS1_3gpuE0ELNS1_3repE0EEENS1_30default_config_static_selectorELNS0_4arch9wavefront6targetE1EEEvT1_,@function
_ZN7rocprim17ROCPRIM_400000_NS6detail17trampoline_kernelINS0_14default_configENS1_25partition_config_selectorILNS1_17partition_subalgoE8ElNS0_10empty_typeEbEEZZNS1_14partition_implILS5_8ELb0ES3_jPlPS6_PKS6_NS0_5tupleIJS9_S6_EEENSD_IJSA_SA_EEENS0_18inequality_wrapperIZN2at6native12_GLOBAL__N_124unique_dim_cuda_templateIbEESt5tupleIJNSH_6TensorESM_SM_EERKSM_lbbbEUlllE0_EEPmJS6_EEE10hipError_tPvRmT3_T4_T5_T6_T7_T9_mT8_P12ihipStream_tbDpT10_ENKUlT_T0_E_clISt17integral_constantIbLb0EES1C_EEDaS17_S18_EUlS17_E_NS1_11comp_targetILNS1_3genE0ELNS1_11target_archE4294967295ELNS1_3gpuE0ELNS1_3repE0EEENS1_30default_config_static_selectorELNS0_4arch9wavefront6targetE1EEEvT1_: ; @_ZN7rocprim17ROCPRIM_400000_NS6detail17trampoline_kernelINS0_14default_configENS1_25partition_config_selectorILNS1_17partition_subalgoE8ElNS0_10empty_typeEbEEZZNS1_14partition_implILS5_8ELb0ES3_jPlPS6_PKS6_NS0_5tupleIJS9_S6_EEENSD_IJSA_SA_EEENS0_18inequality_wrapperIZN2at6native12_GLOBAL__N_124unique_dim_cuda_templateIbEESt5tupleIJNSH_6TensorESM_SM_EERKSM_lbbbEUlllE0_EEPmJS6_EEE10hipError_tPvRmT3_T4_T5_T6_T7_T9_mT8_P12ihipStream_tbDpT10_ENKUlT_T0_E_clISt17integral_constantIbLb0EES1C_EEDaS17_S18_EUlS17_E_NS1_11comp_targetILNS1_3genE0ELNS1_11target_archE4294967295ELNS1_3gpuE0ELNS1_3repE0EEENS1_30default_config_static_selectorELNS0_4arch9wavefront6targetE1EEEvT1_
; %bb.0:
	s_load_dwordx4 s[4:7], s[0:1], 0x8
	s_load_dwordx8 s[24:31], s[0:1], 0x40
	s_load_dwordx4 s[20:23], s[0:1], 0x60
	s_load_dword s3, s[0:1], 0x70
	v_lshlrev_b32_e32 v18, 3, v0
	s_waitcnt lgkmcnt(0)
	s_lshl_b64 s[8:9], s[6:7], 3
	s_add_u32 s12, s4, s8
	s_addc_u32 s13, s5, s9
	s_mul_i32 s8, s3, 0xe00
	s_add_i32 s10, s3, -1
	s_add_i32 s3, s8, s6
	s_sub_i32 s3, s28, s3
	s_add_u32 s8, s6, s8
	s_addc_u32 s9, s7, 0
	v_mov_b64_e32 v[2:3], s[8:9]
	s_cmp_eq_u32 s2, s10
	s_load_dwordx2 s[26:27], s[26:27], 0x0
	v_cmp_le_u64_e32 vcc, s[28:29], v[2:3]
	s_cselect_b64 s[28:29], -1, 0
	s_mul_i32 s4, s2, 0xe00
	s_mov_b32 s5, 0
	s_and_b64 s[8:9], s[28:29], vcc
	s_xor_b64 s[34:35], s[8:9], -1
	s_lshl_b64 s[4:5], s[4:5], 3
	s_add_u32 s4, s12, s4
	s_mov_b64 s[10:11], -1
	s_addc_u32 s5, s13, s5
	s_and_b64 vcc, exec, s[34:35]
	s_cbranch_vccz .LBB1051_2
; %bb.1:
	v_lshlrev_b32_e32 v2, 3, v0
	v_mov_b32_e32 v3, 0
	v_lshl_add_u64 v[4:5], s[4:5], 0, v[2:3]
	v_add_co_u32_e32 v8, vcc, 0x1000, v4
	global_load_dwordx2 v[6:7], v2, s[4:5]
	s_nop 0
	v_addc_co_u32_e32 v9, vcc, 0, v5, vcc
	v_add_co_u32_e32 v10, vcc, 0x2000, v4
	s_mov_b64 s[10:11], 0
	s_nop 0
	v_addc_co_u32_e32 v11, vcc, 0, v5, vcc
	v_add_co_u32_e32 v12, vcc, 0x3000, v4
	s_nop 1
	v_addc_co_u32_e32 v13, vcc, 0, v5, vcc
	v_add_co_u32_e32 v14, vcc, 0x4000, v4
	s_nop 1
	v_addc_co_u32_e32 v15, vcc, 0, v5, vcc
	global_load_dwordx2 v[16:17], v[8:9], off
	global_load_dwordx2 v[20:21], v[10:11], off
	;; [unrolled: 1-line block ×4, first 2 shown]
	v_add_co_u32_e32 v8, vcc, 0x5000, v4
	s_nop 1
	v_addc_co_u32_e32 v9, vcc, 0, v5, vcc
	v_add_co_u32_e32 v4, vcc, 0x6000, v4
	s_nop 1
	v_addc_co_u32_e32 v5, vcc, 0, v5, vcc
	global_load_dwordx2 v[10:11], v[8:9], off
	global_load_dwordx2 v[12:13], v[4:5], off
	s_waitcnt vmcnt(5)
	ds_write2st64_b64 v2, v[6:7], v[16:17] offset1:8
	s_waitcnt vmcnt(3)
	ds_write2st64_b64 v2, v[20:21], v[22:23] offset0:16 offset1:24
	s_waitcnt vmcnt(1)
	ds_write2st64_b64 v2, v[24:25], v[10:11] offset0:32 offset1:40
	s_waitcnt vmcnt(0)
	ds_write_b64 v2, v[12:13] offset:24576
	s_waitcnt lgkmcnt(0)
	s_barrier
.LBB1051_2:
	s_andn2_b64 vcc, exec, s[10:11]
	s_addk_i32 s3, 0xe00
	s_cbranch_vccnz .LBB1051_18
; %bb.3:
	v_mov_b32_e32 v2, 0
	v_cmp_gt_u32_e32 vcc, s3, v0
	v_mov_b32_e32 v3, v2
	v_mov_b32_e32 v4, v2
	;; [unrolled: 1-line block ×13, first 2 shown]
	s_and_saveexec_b64 s[10:11], vcc
	s_cbranch_execz .LBB1051_5
; %bb.4:
	v_lshlrev_b32_e32 v1, 3, v0
	global_load_dwordx2 v[4:5], v1, s[4:5]
	v_mov_b32_e32 v6, v2
	v_mov_b32_e32 v7, v2
	;; [unrolled: 1-line block ×12, first 2 shown]
	s_waitcnt vmcnt(0)
	v_mov_b64_e32 v[2:3], v[4:5]
	v_mov_b64_e32 v[4:5], v[6:7]
	;; [unrolled: 1-line block ×8, first 2 shown]
.LBB1051_5:
	s_or_b64 exec, exec, s[10:11]
	v_or_b32_e32 v1, 0x200, v0
	v_cmp_gt_u32_e32 vcc, s3, v1
	s_and_saveexec_b64 s[10:11], vcc
	s_cbranch_execz .LBB1051_7
; %bb.6:
	v_lshlrev_b32_e32 v1, 3, v1
	global_load_dwordx2 v[4:5], v1, s[4:5]
.LBB1051_7:
	s_or_b64 exec, exec, s[10:11]
	v_or_b32_e32 v1, 0x400, v0
	v_cmp_gt_u32_e32 vcc, s3, v1
	s_and_saveexec_b64 s[10:11], vcc
	s_cbranch_execz .LBB1051_9
; %bb.8:
	v_lshlrev_b32_e32 v1, 3, v1
	global_load_dwordx2 v[6:7], v1, s[4:5]
.LBB1051_9:
	;; [unrolled: 9-line block ×6, first 2 shown]
	s_or_b64 exec, exec, s[10:11]
	v_lshlrev_b32_e32 v1, 3, v0
	s_waitcnt vmcnt(0)
	ds_write2st64_b64 v1, v[2:3], v[4:5] offset1:8
	ds_write2st64_b64 v1, v[6:7], v[8:9] offset0:16 offset1:24
	ds_write2st64_b64 v1, v[10:11], v[12:13] offset0:32 offset1:40
	ds_write_b64 v1, v[14:15] offset:24576
	s_waitcnt lgkmcnt(0)
	s_barrier
.LBB1051_18:
	v_mul_u32_u24_e32 v1, 7, v0
	v_lshlrev_b32_e32 v26, 3, v1
	s_waitcnt lgkmcnt(0)
	ds_read2_b64 v[10:13], v26 offset1:1
	ds_read2_b64 v[6:9], v26 offset0:2 offset1:3
	ds_read2_b64 v[2:5], v26 offset0:4 offset1:5
	ds_read_b64 v[14:15], v26 offset:48
	s_cmp_lg_u32 s2, 0
	s_cselect_b64 s[16:17], -1, 0
	s_cmp_lg_u64 s[6:7], 0
	s_cselect_b64 s[6:7], -1, 0
	s_or_b64 s[6:7], s[16:17], s[6:7]
	s_mov_b64 s[10:11], 0
	s_and_b64 vcc, exec, s[6:7]
	v_cmp_lt_i64_e64 s[12:13], s[30:31], 1
	v_cmp_gt_i64_e64 s[6:7], s[30:31], 0
	s_waitcnt lgkmcnt(0)
	s_barrier
	s_cbranch_vccz .LBB1051_33
; %bb.19:
	s_add_u32 s4, s4, -8
	s_addc_u32 s5, s5, -1
	s_load_dwordx2 s[10:11], s[4:5], 0x0
	v_lshlrev_b32_e32 v27, 3, v0
	s_mov_b64 s[14:15], 0
	s_and_b64 vcc, exec, s[34:35]
	ds_write_b64 v27, v[14:15]
	s_cbranch_vccz .LBB1051_35
; %bb.20:
	v_cndmask_b32_e64 v16, 0, 1, s[6:7]
	v_cmp_ne_u32_e64 s[4:5], 1, v16
	s_andn2_b64 vcc, exec, s[6:7]
	v_mov_b32_e32 v19, 0
	s_cbranch_vccnz .LBB1051_26
; %bb.21:
	v_mov_b64_e32 v[20:21], s[20:21]
	v_mad_u64_u32 v[16:17], s[6:7], v4, s30, v[20:21]
	v_mul_lo_u32 v19, v4, s31
	v_mul_lo_u32 v22, v5, s30
	s_add_u32 s18, s30, -1
	v_add3_u32 v17, v22, v17, v19
	v_mad_u64_u32 v[20:21], s[6:7], v14, s30, v[20:21]
	v_mul_lo_u32 v19, v14, s31
	v_mul_lo_u32 v22, v15, s30
	s_addc_u32 s19, s31, -1
	v_add3_u32 v21, v22, v21, v19
	s_mov_b64 s[38:39], s[18:19]
	v_mov_b64_e32 v[22:23], v[16:17]
                                        ; implicit-def: $sgpr36_sgpr37
.LBB1051_22:                            ; =>This Inner Loop Header: Depth=1
	global_load_ubyte v19, v[22:23], off
	global_load_ubyte v24, v[20:21], off
	v_lshl_add_u64 v[22:23], v[22:23], 0, 1
	v_lshl_add_u64 v[20:21], v[20:21], 0, 1
	s_waitcnt vmcnt(1)
	v_cmp_ne_u16_e32 vcc, 0, v19
	s_waitcnt vmcnt(0)
	v_cmp_ne_u16_e64 s[6:7], 0, v24
	s_xor_b64 s[6:7], vcc, s[6:7]
	s_cmp_eq_u64 s[38:39], 0
	s_cselect_b64 s[40:41], -1, 0
	s_or_b64 s[40:41], s[6:7], s[40:41]
	s_add_u32 s38, s38, -1
	s_addc_u32 s39, s39, -1
	s_and_b64 s[40:41], exec, s[40:41]
	s_or_b64 s[14:15], s[40:41], s[14:15]
	s_andn2_b64 s[36:37], s[36:37], exec
	s_and_b64 s[6:7], s[6:7], exec
	s_or_b64 s[36:37], s[36:37], s[6:7]
	s_andn2_b64 exec, exec, s[14:15]
	s_cbranch_execnz .LBB1051_22
; %bb.23:
	s_or_b64 exec, exec, s[14:15]
	v_mov_b64_e32 v[20:21], s[20:21]
	v_mad_u64_u32 v[20:21], s[6:7], v2, s30, v[20:21]
	v_mul_lo_u32 v19, v2, s31
	v_mul_lo_u32 v22, v3, s30
	v_add3_u32 v21, v22, v21, v19
	s_mov_b64 s[38:39], 0
                                        ; implicit-def: $sgpr14_sgpr15
.LBB1051_24:                            ; =>This Inner Loop Header: Depth=1
	global_load_ubyte v19, v[20:21], off
	global_load_ubyte v22, v[16:17], off
	v_lshl_add_u64 v[20:21], v[20:21], 0, 1
	v_lshl_add_u64 v[16:17], v[16:17], 0, 1
	s_waitcnt vmcnt(1)
	v_cmp_ne_u16_e32 vcc, 0, v19
	s_waitcnt vmcnt(0)
	v_cmp_ne_u16_e64 s[6:7], 0, v22
	s_xor_b64 s[6:7], vcc, s[6:7]
	s_cmp_eq_u64 s[18:19], 0
	s_cselect_b64 s[40:41], -1, 0
	s_or_b64 s[40:41], s[6:7], s[40:41]
	s_add_u32 s18, s18, -1
	s_addc_u32 s19, s19, -1
	s_and_b64 s[40:41], exec, s[40:41]
	s_or_b64 s[38:39], s[40:41], s[38:39]
	s_andn2_b64 s[14:15], s[14:15], exec
	s_and_b64 s[6:7], s[6:7], exec
	s_or_b64 s[14:15], s[14:15], s[6:7]
	s_andn2_b64 exec, exec, s[38:39]
	s_cbranch_execnz .LBB1051_24
; %bb.25:
	s_or_b64 exec, exec, s[38:39]
	v_cndmask_b32_e64 v19, 0, 1, s[36:37]
.LBB1051_26:
	s_and_b64 vcc, exec, s[4:5]
	s_cbranch_vccnz .LBB1051_36
; %bb.27:
	v_mov_b64_e32 v[20:21], s[20:21]
	v_mad_u64_u32 v[16:17], s[6:7], v8, s30, v[20:21]
	v_mul_lo_u32 v22, v8, s31
	v_mul_lo_u32 v23, v9, s30
	s_add_u32 s36, s30, -1
	v_add3_u32 v17, v23, v17, v22
	v_mad_u64_u32 v[20:21], s[6:7], v2, s30, v[20:21]
	v_mul_lo_u32 v22, v2, s31
	v_mul_lo_u32 v23, v3, s30
	s_addc_u32 s37, s31, -1
	v_add3_u32 v21, v23, v21, v22
	s_mov_b64 s[18:19], 0
	s_mov_b64 s[40:41], s[36:37]
	v_mov_b64_e32 v[22:23], v[16:17]
                                        ; implicit-def: $sgpr38_sgpr39
.LBB1051_28:                            ; =>This Inner Loop Header: Depth=1
	global_load_ubyte v24, v[22:23], off
	global_load_ubyte v25, v[20:21], off
	v_lshl_add_u64 v[22:23], v[22:23], 0, 1
	v_lshl_add_u64 v[20:21], v[20:21], 0, 1
	s_waitcnt vmcnt(1)
	v_cmp_ne_u16_e32 vcc, 0, v24
	s_waitcnt vmcnt(0)
	v_cmp_ne_u16_e64 s[6:7], 0, v25
	s_xor_b64 s[6:7], vcc, s[6:7]
	s_cmp_eq_u64 s[40:41], 0
	s_cselect_b64 s[42:43], -1, 0
	s_or_b64 s[42:43], s[6:7], s[42:43]
	s_add_u32 s40, s40, -1
	s_addc_u32 s41, s41, -1
	s_and_b64 s[42:43], exec, s[42:43]
	s_or_b64 s[18:19], s[42:43], s[18:19]
	s_andn2_b64 s[38:39], s[38:39], exec
	s_and_b64 s[6:7], s[6:7], exec
	s_or_b64 s[38:39], s[38:39], s[6:7]
	s_andn2_b64 exec, exec, s[18:19]
	s_cbranch_execnz .LBB1051_28
; %bb.29:
	s_or_b64 exec, exec, s[18:19]
	v_mov_b64_e32 v[20:21], s[20:21]
	v_mad_u64_u32 v[20:21], s[6:7], v6, s30, v[20:21]
	v_mul_lo_u32 v22, v6, s31
	v_mul_lo_u32 v23, v7, s30
	v_add3_u32 v21, v23, v21, v22
	s_mov_b64 s[40:41], 0
                                        ; implicit-def: $sgpr18_sgpr19
.LBB1051_30:                            ; =>This Inner Loop Header: Depth=1
	global_load_ubyte v22, v[20:21], off
	global_load_ubyte v23, v[16:17], off
	v_lshl_add_u64 v[20:21], v[20:21], 0, 1
	v_lshl_add_u64 v[16:17], v[16:17], 0, 1
	s_waitcnt vmcnt(1)
	v_cmp_ne_u16_e32 vcc, 0, v22
	s_waitcnt vmcnt(0)
	v_cmp_ne_u16_e64 s[6:7], 0, v23
	s_xor_b64 s[6:7], vcc, s[6:7]
	s_cmp_eq_u64 s[36:37], 0
	s_cselect_b64 s[42:43], -1, 0
	s_or_b64 s[42:43], s[6:7], s[42:43]
	s_add_u32 s36, s36, -1
	s_addc_u32 s37, s37, -1
	s_and_b64 s[42:43], exec, s[42:43]
	s_or_b64 s[40:41], s[42:43], s[40:41]
	s_andn2_b64 s[18:19], s[18:19], exec
	s_and_b64 s[6:7], s[6:7], exec
	s_or_b64 s[18:19], s[18:19], s[6:7]
	s_andn2_b64 exec, exec, s[40:41]
	s_cbranch_execnz .LBB1051_30
; %bb.31:
	s_or_b64 exec, exec, s[40:41]
	v_cndmask_b32_e64 v17, 0, 1, s[38:39]
	s_and_b64 vcc, exec, s[4:5]
	s_cbranch_vccz .LBB1051_37
.LBB1051_32:
	v_mov_b32_e32 v20, 0
	s_mov_b64 s[40:41], 0
	s_branch .LBB1051_42
.LBB1051_33:
                                        ; implicit-def: $sgpr18_sgpr19
                                        ; implicit-def: $vgpr19
                                        ; implicit-def: $vgpr21
                                        ; implicit-def: $vgpr17
                                        ; implicit-def: $vgpr22
	s_branch .LBB1051_81
.LBB1051_34:
                                        ; implicit-def: $vgpr41
                                        ; implicit-def: $vgpr40
                                        ; implicit-def: $vgpr20
	s_branch .LBB1051_140
.LBB1051_35:
                                        ; implicit-def: $sgpr18_sgpr19
                                        ; implicit-def: $vgpr19
                                        ; implicit-def: $vgpr21
                                        ; implicit-def: $vgpr17
                                        ; implicit-def: $vgpr22
	s_cbranch_execnz .LBB1051_49
	s_branch .LBB1051_80
.LBB1051_36:
	v_mov_b32_e32 v17, 0
	s_mov_b64 s[18:19], 0
	s_and_b64 vcc, exec, s[4:5]
	s_cbranch_vccnz .LBB1051_32
.LBB1051_37:
	v_mov_b64_e32 v[22:23], s[20:21]
	v_mad_u64_u32 v[20:21], s[6:7], v12, s30, v[22:23]
	v_mul_lo_u32 v16, v12, s31
	v_mul_lo_u32 v24, v13, s30
	s_add_u32 s36, s30, -1
	v_add3_u32 v21, v24, v21, v16
	v_mad_u64_u32 v[22:23], s[6:7], v6, s30, v[22:23]
	v_mul_lo_u32 v16, v6, s31
	v_mul_lo_u32 v24, v7, s30
	s_addc_u32 s37, s31, -1
	v_add3_u32 v23, v24, v23, v16
	s_mov_b64 s[40:41], 0
	s_mov_b64 s[42:43], s[36:37]
	v_mov_b64_e32 v[24:25], v[20:21]
                                        ; implicit-def: $sgpr38_sgpr39
.LBB1051_38:                            ; =>This Inner Loop Header: Depth=1
	global_load_ubyte v16, v[24:25], off
	global_load_ubyte v28, v[22:23], off
	v_lshl_add_u64 v[24:25], v[24:25], 0, 1
	v_lshl_add_u64 v[22:23], v[22:23], 0, 1
	s_waitcnt vmcnt(1)
	v_cmp_ne_u16_e32 vcc, 0, v16
	s_waitcnt vmcnt(0)
	v_cmp_ne_u16_e64 s[6:7], 0, v28
	s_xor_b64 s[6:7], vcc, s[6:7]
	s_cmp_eq_u64 s[42:43], 0
	s_cselect_b64 s[44:45], -1, 0
	s_or_b64 s[44:45], s[6:7], s[44:45]
	s_add_u32 s42, s42, -1
	s_addc_u32 s43, s43, -1
	s_and_b64 s[44:45], exec, s[44:45]
	s_or_b64 s[40:41], s[44:45], s[40:41]
	s_andn2_b64 s[38:39], s[38:39], exec
	s_and_b64 s[6:7], s[6:7], exec
	s_or_b64 s[38:39], s[38:39], s[6:7]
	s_andn2_b64 exec, exec, s[40:41]
	s_cbranch_execnz .LBB1051_38
; %bb.39:
	s_or_b64 exec, exec, s[40:41]
	v_mov_b64_e32 v[22:23], s[20:21]
	v_mad_u64_u32 v[22:23], s[6:7], v10, s30, v[22:23]
	v_mul_lo_u32 v16, v10, s31
	v_mul_lo_u32 v24, v11, s30
	v_add3_u32 v23, v24, v23, v16
	s_mov_b64 s[42:43], 0
                                        ; implicit-def: $sgpr40_sgpr41
.LBB1051_40:                            ; =>This Inner Loop Header: Depth=1
	global_load_ubyte v16, v[22:23], off
	global_load_ubyte v24, v[20:21], off
	v_lshl_add_u64 v[22:23], v[22:23], 0, 1
	v_lshl_add_u64 v[20:21], v[20:21], 0, 1
	s_waitcnt vmcnt(1)
	v_cmp_ne_u16_e32 vcc, 0, v16
	s_waitcnt vmcnt(0)
	v_cmp_ne_u16_e64 s[6:7], 0, v24
	s_xor_b64 s[6:7], vcc, s[6:7]
	s_cmp_eq_u64 s[36:37], 0
	s_cselect_b64 s[44:45], -1, 0
	s_or_b64 s[44:45], s[6:7], s[44:45]
	s_add_u32 s36, s36, -1
	s_addc_u32 s37, s37, -1
	s_and_b64 s[44:45], exec, s[44:45]
	s_or_b64 s[42:43], s[44:45], s[42:43]
	s_andn2_b64 s[40:41], s[40:41], exec
	s_and_b64 s[6:7], s[6:7], exec
	s_or_b64 s[40:41], s[40:41], s[6:7]
	s_andn2_b64 exec, exec, s[42:43]
	s_cbranch_execnz .LBB1051_40
; %bb.41:
	s_or_b64 exec, exec, s[42:43]
	v_cndmask_b32_e64 v20, 0, 1, s[38:39]
.LBB1051_42:
	v_cmp_ne_u32_e32 vcc, 0, v0
	s_waitcnt lgkmcnt(0)
	v_mov_b64_e32 v[22:23], s[10:11]
	s_barrier
	s_and_saveexec_b64 s[6:7], vcc
; %bb.43:
	v_add_u32_e32 v16, -8, v27
	ds_read_b64 v[22:23], v16
; %bb.44:
	s_or_b64 exec, exec, s[6:7]
	v_cndmask_b32_e64 v21, 0, 1, s[18:19]
	v_cndmask_b32_e64 v16, 0, 1, s[40:41]
	v_lshlrev_b16_e32 v21, 8, v21
	v_lshlrev_b16_e32 v16, 8, v16
	v_or_b32_sdwa v24, v20, v21 dst_sel:WORD_1 dst_unused:UNUSED_PAD src0_sel:DWORD src1_sel:DWORD
	s_mov_b64 s[6:7], 0
	s_and_b64 vcc, exec, s[4:5]
	s_mov_b64 s[18:19], 0
	s_cbranch_vccnz .LBB1051_48
; %bb.45:
	v_mov_b64_e32 v[28:29], s[20:21]
	s_waitcnt lgkmcnt(0)
	v_mad_u64_u32 v[20:21], s[4:5], v22, s30, v[28:29]
	v_mul_lo_u32 v22, v22, s31
	v_mul_lo_u32 v23, v23, s30
	v_add3_u32 v21, v23, v21, v22
	v_mad_u64_u32 v[22:23], s[4:5], v10, s30, v[28:29]
	v_mul_lo_u32 v25, v10, s31
	v_mul_lo_u32 v28, v11, s30
	s_add_u32 s36, s30, -1
	v_add3_u32 v23, v28, v23, v25
	s_addc_u32 s37, s31, -1
	s_mov_b64 s[38:39], 0
                                        ; implicit-def: $sgpr18_sgpr19
.LBB1051_46:                            ; =>This Inner Loop Header: Depth=1
	global_load_ubyte v25, v[20:21], off
	global_load_ubyte v28, v[22:23], off
	v_lshl_add_u64 v[20:21], v[20:21], 0, 1
	v_lshl_add_u64 v[22:23], v[22:23], 0, 1
	s_waitcnt vmcnt(1)
	v_cmp_ne_u16_e32 vcc, 0, v25
	s_waitcnt vmcnt(0)
	v_cmp_ne_u16_e64 s[4:5], 0, v28
	s_xor_b64 s[4:5], vcc, s[4:5]
	s_cmp_eq_u64 s[36:37], 0
	s_cselect_b64 s[40:41], -1, 0
	s_or_b64 s[40:41], s[4:5], s[40:41]
	s_add_u32 s36, s36, -1
	s_addc_u32 s37, s37, -1
	s_and_b64 s[40:41], exec, s[40:41]
	s_or_b64 s[38:39], s[40:41], s[38:39]
	s_andn2_b64 s[18:19], s[18:19], exec
	s_and_b64 s[4:5], s[4:5], exec
	s_or_b64 s[18:19], s[18:19], s[4:5]
	s_andn2_b64 exec, exec, s[38:39]
	s_cbranch_execnz .LBB1051_46
; %bb.47:
	s_or_b64 exec, exec, s[38:39]
.LBB1051_48:
	v_cndmask_b32_e64 v21, 0, 1, s[14:15]
	s_waitcnt lgkmcnt(0)
	v_or_b32_e32 v22, v16, v24
	s_and_b64 vcc, exec, s[6:7]
	s_cbranch_vccz .LBB1051_80
.LBB1051_49:
	v_add_u32_e32 v16, 6, v1
	v_cmp_gt_u32_e32 vcc, s3, v16
	s_xor_b64 s[12:13], s[12:13], -1
	s_and_b64 s[4:5], vcc, s[12:13]
	s_mov_b64 s[6:7], 0
	s_and_saveexec_b64 s[14:15], s[4:5]
	s_cbranch_execz .LBB1051_53
; %bb.50:
	v_mov_b64_e32 v[20:21], s[20:21]
	v_mad_u64_u32 v[16:17], s[4:5], v4, s30, v[20:21]
	v_mul_lo_u32 v19, v4, s31
	v_mul_lo_u32 v22, v5, s30
	v_add3_u32 v17, v22, v17, v19
	v_mad_u64_u32 v[20:21], s[4:5], v14, s30, v[20:21]
	v_mul_lo_u32 v19, v14, s31
	v_mul_lo_u32 v22, v15, s30
	s_add_u32 s6, s30, -1
	v_add3_u32 v21, v22, v21, v19
	s_addc_u32 s7, s31, -1
	s_mov_b64 s[18:19], 0
                                        ; implicit-def: $sgpr36_sgpr37
.LBB1051_51:                            ; =>This Inner Loop Header: Depth=1
	global_load_ubyte v19, v[16:17], off
	global_load_ubyte v22, v[20:21], off
	v_lshl_add_u64 v[16:17], v[16:17], 0, 1
	v_lshl_add_u64 v[20:21], v[20:21], 0, 1
	s_waitcnt vmcnt(1)
	v_cmp_ne_u16_e32 vcc, 0, v19
	s_waitcnt vmcnt(0)
	v_cmp_ne_u16_e64 s[4:5], 0, v22
	s_xor_b64 s[4:5], vcc, s[4:5]
	s_cmp_eq_u64 s[6:7], 0
	s_cselect_b64 s[38:39], -1, 0
	s_or_b64 s[38:39], s[4:5], s[38:39]
	s_add_u32 s6, s6, -1
	s_addc_u32 s7, s7, -1
	s_and_b64 s[38:39], exec, s[38:39]
	s_or_b64 s[18:19], s[38:39], s[18:19]
	s_andn2_b64 s[36:37], s[36:37], exec
	s_and_b64 s[4:5], s[4:5], exec
	s_or_b64 s[36:37], s[36:37], s[4:5]
	s_andn2_b64 exec, exec, s[18:19]
	s_cbranch_execnz .LBB1051_51
; %bb.52:
	s_or_b64 exec, exec, s[18:19]
	s_and_b64 s[6:7], s[36:37], exec
.LBB1051_53:
	s_or_b64 exec, exec, s[14:15]
	v_add_u32_e32 v16, 5, v1
	v_cmp_gt_u32_e32 vcc, s3, v16
	s_and_b64 s[4:5], vcc, s[12:13]
	s_mov_b64 s[14:15], 0
	s_and_saveexec_b64 s[18:19], s[4:5]
	s_cbranch_execz .LBB1051_57
; %bb.54:
	v_mov_b64_e32 v[20:21], s[20:21]
	v_mad_u64_u32 v[16:17], s[4:5], v2, s30, v[20:21]
	v_mul_lo_u32 v19, v2, s31
	v_mul_lo_u32 v22, v3, s30
	v_add3_u32 v17, v22, v17, v19
	v_mad_u64_u32 v[20:21], s[4:5], v4, s30, v[20:21]
	v_mul_lo_u32 v19, v4, s31
	v_mul_lo_u32 v22, v5, s30
	s_add_u32 s14, s30, -1
	v_add3_u32 v21, v22, v21, v19
	s_addc_u32 s15, s31, -1
	s_mov_b64 s[36:37], 0
                                        ; implicit-def: $sgpr38_sgpr39
.LBB1051_55:                            ; =>This Inner Loop Header: Depth=1
	global_load_ubyte v19, v[16:17], off
	global_load_ubyte v22, v[20:21], off
	v_lshl_add_u64 v[16:17], v[16:17], 0, 1
	v_lshl_add_u64 v[20:21], v[20:21], 0, 1
	s_waitcnt vmcnt(1)
	v_cmp_ne_u16_e32 vcc, 0, v19
	s_waitcnt vmcnt(0)
	v_cmp_ne_u16_e64 s[4:5], 0, v22
	s_xor_b64 s[4:5], vcc, s[4:5]
	s_cmp_eq_u64 s[14:15], 0
	s_cselect_b64 s[40:41], -1, 0
	s_or_b64 s[40:41], s[4:5], s[40:41]
	s_add_u32 s14, s14, -1
	s_addc_u32 s15, s15, -1
	s_and_b64 s[40:41], exec, s[40:41]
	s_or_b64 s[36:37], s[40:41], s[36:37]
	s_andn2_b64 s[38:39], s[38:39], exec
	s_and_b64 s[4:5], s[4:5], exec
	s_or_b64 s[38:39], s[38:39], s[4:5]
	s_andn2_b64 exec, exec, s[36:37]
	s_cbranch_execnz .LBB1051_55
; %bb.56:
	s_or_b64 exec, exec, s[36:37]
	s_and_b64 s[14:15], s[38:39], exec
.LBB1051_57:
	s_or_b64 exec, exec, s[18:19]
	v_add_u32_e32 v16, 4, v1
	v_cmp_gt_u32_e32 vcc, s3, v16
	s_and_b64 s[4:5], vcc, s[12:13]
	s_mov_b64 s[36:37], 0
	s_and_saveexec_b64 s[18:19], s[4:5]
	s_cbranch_execz .LBB1051_61
; %bb.58:
	v_mov_b64_e32 v[20:21], s[20:21]
	v_mad_u64_u32 v[16:17], s[4:5], v8, s30, v[20:21]
	v_mul_lo_u32 v19, v8, s31
	v_mul_lo_u32 v22, v9, s30
	v_add3_u32 v17, v22, v17, v19
	v_mad_u64_u32 v[20:21], s[4:5], v2, s30, v[20:21]
	v_mul_lo_u32 v19, v2, s31
	v_mul_lo_u32 v22, v3, s30
	s_add_u32 s36, s30, -1
	v_add3_u32 v21, v22, v21, v19
	s_addc_u32 s37, s31, -1
	s_mov_b64 s[38:39], 0
                                        ; implicit-def: $sgpr40_sgpr41
.LBB1051_59:                            ; =>This Inner Loop Header: Depth=1
	global_load_ubyte v19, v[16:17], off
	global_load_ubyte v22, v[20:21], off
	v_lshl_add_u64 v[16:17], v[16:17], 0, 1
	v_lshl_add_u64 v[20:21], v[20:21], 0, 1
	s_waitcnt vmcnt(1)
	v_cmp_ne_u16_e32 vcc, 0, v19
	s_waitcnt vmcnt(0)
	v_cmp_ne_u16_e64 s[4:5], 0, v22
	s_xor_b64 s[4:5], vcc, s[4:5]
	s_cmp_eq_u64 s[36:37], 0
	s_cselect_b64 s[42:43], -1, 0
	s_or_b64 s[42:43], s[4:5], s[42:43]
	s_add_u32 s36, s36, -1
	s_addc_u32 s37, s37, -1
	s_and_b64 s[42:43], exec, s[42:43]
	s_or_b64 s[38:39], s[42:43], s[38:39]
	s_andn2_b64 s[40:41], s[40:41], exec
	s_and_b64 s[4:5], s[4:5], exec
	s_or_b64 s[40:41], s[40:41], s[4:5]
	s_andn2_b64 exec, exec, s[38:39]
	s_cbranch_execnz .LBB1051_59
; %bb.60:
	s_or_b64 exec, exec, s[38:39]
	s_and_b64 s[36:37], s[40:41], exec
.LBB1051_61:
	s_or_b64 exec, exec, s[18:19]
	v_add_u32_e32 v16, 3, v1
	v_cmp_gt_u32_e32 vcc, s3, v16
	s_and_b64 s[4:5], vcc, s[12:13]
	s_mov_b64 s[18:19], 0
	s_and_saveexec_b64 s[38:39], s[4:5]
	s_cbranch_execz .LBB1051_65
; %bb.62:
	v_mov_b64_e32 v[20:21], s[20:21]
	v_mad_u64_u32 v[16:17], s[4:5], v6, s30, v[20:21]
	v_mul_lo_u32 v19, v6, s31
	v_mul_lo_u32 v22, v7, s30
	v_add3_u32 v17, v22, v17, v19
	v_mad_u64_u32 v[20:21], s[4:5], v8, s30, v[20:21]
	v_mul_lo_u32 v19, v8, s31
	v_mul_lo_u32 v22, v9, s30
	s_add_u32 s18, s30, -1
	v_add3_u32 v21, v22, v21, v19
	s_addc_u32 s19, s31, -1
	s_mov_b64 s[40:41], 0
                                        ; implicit-def: $sgpr42_sgpr43
.LBB1051_63:                            ; =>This Inner Loop Header: Depth=1
	global_load_ubyte v19, v[16:17], off
	global_load_ubyte v22, v[20:21], off
	v_lshl_add_u64 v[16:17], v[16:17], 0, 1
	v_lshl_add_u64 v[20:21], v[20:21], 0, 1
	s_waitcnt vmcnt(1)
	v_cmp_ne_u16_e32 vcc, 0, v19
	s_waitcnt vmcnt(0)
	v_cmp_ne_u16_e64 s[4:5], 0, v22
	s_xor_b64 s[4:5], vcc, s[4:5]
	s_cmp_eq_u64 s[18:19], 0
	s_cselect_b64 s[44:45], -1, 0
	s_or_b64 s[44:45], s[4:5], s[44:45]
	s_add_u32 s18, s18, -1
	s_addc_u32 s19, s19, -1
	s_and_b64 s[44:45], exec, s[44:45]
	s_or_b64 s[40:41], s[44:45], s[40:41]
	s_andn2_b64 s[42:43], s[42:43], exec
	s_and_b64 s[4:5], s[4:5], exec
	s_or_b64 s[42:43], s[42:43], s[4:5]
	s_andn2_b64 exec, exec, s[40:41]
	s_cbranch_execnz .LBB1051_63
; %bb.64:
	s_or_b64 exec, exec, s[40:41]
	s_and_b64 s[18:19], s[42:43], exec
.LBB1051_65:
	s_or_b64 exec, exec, s[38:39]
	v_add_u32_e32 v16, 2, v1
	v_cmp_gt_u32_e32 vcc, s3, v16
	s_and_b64 s[4:5], vcc, s[12:13]
	s_mov_b64 s[38:39], 0
	s_and_saveexec_b64 s[40:41], s[4:5]
	s_cbranch_execz .LBB1051_69
; %bb.66:
	v_mov_b64_e32 v[20:21], s[20:21]
	v_mad_u64_u32 v[16:17], s[4:5], v12, s30, v[20:21]
	v_mul_lo_u32 v19, v12, s31
	v_mul_lo_u32 v22, v13, s30
	v_add3_u32 v17, v22, v17, v19
	v_mad_u64_u32 v[20:21], s[4:5], v6, s30, v[20:21]
	v_mul_lo_u32 v19, v6, s31
	v_mul_lo_u32 v22, v7, s30
	s_add_u32 s38, s30, -1
	v_add3_u32 v21, v22, v21, v19
	s_addc_u32 s39, s31, -1
	s_mov_b64 s[42:43], 0
                                        ; implicit-def: $sgpr44_sgpr45
.LBB1051_67:                            ; =>This Inner Loop Header: Depth=1
	global_load_ubyte v19, v[16:17], off
	global_load_ubyte v22, v[20:21], off
	v_lshl_add_u64 v[16:17], v[16:17], 0, 1
	v_lshl_add_u64 v[20:21], v[20:21], 0, 1
	s_waitcnt vmcnt(1)
	v_cmp_ne_u16_e32 vcc, 0, v19
	s_waitcnt vmcnt(0)
	v_cmp_ne_u16_e64 s[4:5], 0, v22
	s_xor_b64 s[4:5], vcc, s[4:5]
	s_cmp_eq_u64 s[38:39], 0
	s_cselect_b64 s[46:47], -1, 0
	s_or_b64 s[46:47], s[4:5], s[46:47]
	s_add_u32 s38, s38, -1
	s_addc_u32 s39, s39, -1
	s_and_b64 s[46:47], exec, s[46:47]
	s_or_b64 s[42:43], s[46:47], s[42:43]
	s_andn2_b64 s[44:45], s[44:45], exec
	s_and_b64 s[4:5], s[4:5], exec
	s_or_b64 s[44:45], s[44:45], s[4:5]
	s_andn2_b64 exec, exec, s[42:43]
	s_cbranch_execnz .LBB1051_67
; %bb.68:
	s_or_b64 exec, exec, s[42:43]
	s_and_b64 s[38:39], s[44:45], exec
.LBB1051_69:
	s_or_b64 exec, exec, s[40:41]
	v_add_u32_e32 v16, 1, v1
	v_cmp_gt_u32_e32 vcc, s3, v16
	s_and_b64 s[42:43], vcc, s[12:13]
	s_mov_b64 s[4:5], 0
	s_and_saveexec_b64 s[40:41], s[42:43]
	s_cbranch_execz .LBB1051_73
; %bb.70:
	v_mov_b64_e32 v[20:21], s[20:21]
	v_mad_u64_u32 v[16:17], s[4:5], v10, s30, v[20:21]
	v_mul_lo_u32 v19, v10, s31
	v_mul_lo_u32 v22, v11, s30
	v_add3_u32 v17, v22, v17, v19
	v_mad_u64_u32 v[20:21], s[4:5], v12, s30, v[20:21]
	v_mul_lo_u32 v19, v12, s31
	v_mul_lo_u32 v22, v13, s30
	s_add_u32 s42, s30, -1
	v_add3_u32 v21, v22, v21, v19
	s_addc_u32 s43, s31, -1
	s_mov_b64 s[44:45], 0
                                        ; implicit-def: $sgpr46_sgpr47
.LBB1051_71:                            ; =>This Inner Loop Header: Depth=1
	global_load_ubyte v19, v[16:17], off
	global_load_ubyte v22, v[20:21], off
	v_lshl_add_u64 v[16:17], v[16:17], 0, 1
	v_lshl_add_u64 v[20:21], v[20:21], 0, 1
	s_waitcnt vmcnt(1)
	v_cmp_ne_u16_e32 vcc, 0, v19
	s_waitcnt vmcnt(0)
	v_cmp_ne_u16_e64 s[4:5], 0, v22
	s_xor_b64 s[4:5], vcc, s[4:5]
	s_cmp_eq_u64 s[42:43], 0
	s_cselect_b64 s[48:49], -1, 0
	s_or_b64 s[48:49], s[4:5], s[48:49]
	s_add_u32 s42, s42, -1
	s_addc_u32 s43, s43, -1
	s_and_b64 s[48:49], exec, s[48:49]
	s_or_b64 s[44:45], s[48:49], s[44:45]
	s_andn2_b64 s[46:47], s[46:47], exec
	s_and_b64 s[4:5], s[4:5], exec
	s_or_b64 s[46:47], s[46:47], s[4:5]
	s_andn2_b64 exec, exec, s[44:45]
	s_cbranch_execnz .LBB1051_71
; %bb.72:
	s_or_b64 exec, exec, s[44:45]
	s_and_b64 s[4:5], s[46:47], exec
.LBB1051_73:
	s_or_b64 exec, exec, s[40:41]
	v_cmp_ne_u32_e32 vcc, 0, v0
	s_waitcnt lgkmcnt(0)
	v_mov_b64_e32 v[20:21], s[10:11]
	s_barrier
	s_and_saveexec_b64 s[10:11], vcc
; %bb.74:
	v_add_u32_e32 v16, -8, v27
	ds_read_b64 v[20:21], v16
; %bb.75:
	s_or_b64 exec, exec, s[10:11]
	v_cndmask_b32_e64 v17, 0, 1, s[18:19]
	v_cndmask_b32_e64 v16, 0, 1, s[38:39]
	;; [unrolled: 1-line block ×3, first 2 shown]
	v_cmp_gt_u32_e32 vcc, s3, v1
	v_lshlrev_b16_e32 v17, 8, v17
	s_and_b64 s[4:5], vcc, s[12:13]
	v_lshlrev_b16_e32 v22, 8, v19
	v_or_b32_sdwa v23, v16, v17 dst_sel:WORD_1 dst_unused:UNUSED_PAD src0_sel:DWORD src1_sel:DWORD
	s_mov_b64 s[18:19], 0
	s_and_saveexec_b64 s[10:11], s[4:5]
	s_cbranch_execz .LBB1051_79
; %bb.76:
	v_mov_b64_e32 v[24:25], s[20:21]
	s_waitcnt lgkmcnt(0)
	v_mad_u64_u32 v[16:17], s[4:5], v20, s30, v[24:25]
	v_mul_lo_u32 v19, v20, s31
	v_mul_lo_u32 v20, v21, s30
	v_add3_u32 v17, v20, v17, v19
	v_mad_u64_u32 v[20:21], s[4:5], v10, s30, v[24:25]
	v_mul_lo_u32 v19, v10, s31
	v_mul_lo_u32 v24, v11, s30
	s_add_u32 s12, s30, -1
	v_add3_u32 v21, v24, v21, v19
	s_addc_u32 s13, s31, -1
                                        ; implicit-def: $sgpr38_sgpr39
.LBB1051_77:                            ; =>This Inner Loop Header: Depth=1
	global_load_ubyte v19, v[16:17], off
	global_load_ubyte v24, v[20:21], off
	v_lshl_add_u64 v[16:17], v[16:17], 0, 1
	v_lshl_add_u64 v[20:21], v[20:21], 0, 1
	s_waitcnt vmcnt(1)
	v_cmp_ne_u16_e32 vcc, 0, v19
	s_waitcnt vmcnt(0)
	v_cmp_ne_u16_e64 s[4:5], 0, v24
	s_xor_b64 s[4:5], vcc, s[4:5]
	s_cmp_eq_u64 s[12:13], 0
	s_cselect_b64 s[40:41], -1, 0
	s_or_b64 s[40:41], s[4:5], s[40:41]
	s_add_u32 s12, s12, -1
	s_addc_u32 s13, s13, -1
	s_and_b64 s[40:41], exec, s[40:41]
	s_or_b64 s[18:19], s[40:41], s[18:19]
	s_andn2_b64 s[38:39], s[38:39], exec
	s_and_b64 s[4:5], s[4:5], exec
	s_or_b64 s[38:39], s[38:39], s[4:5]
	s_andn2_b64 exec, exec, s[18:19]
	s_cbranch_execnz .LBB1051_77
; %bb.78:
	s_or_b64 exec, exec, s[18:19]
	s_and_b64 s[18:19], s[38:39], exec
.LBB1051_79:
	s_or_b64 exec, exec, s[10:11]
	v_cndmask_b32_e64 v17, 0, 1, s[36:37]
	s_waitcnt lgkmcnt(0)
	v_cndmask_b32_e64 v21, 0, 1, s[14:15]
	v_cndmask_b32_e64 v19, 0, 1, s[6:7]
	v_or_b32_e32 v22, v22, v23
.LBB1051_80:
	s_waitcnt lgkmcnt(0)
	s_mov_b64 s[10:11], -1
	s_cbranch_execnz .LBB1051_34
.LBB1051_81:
	s_movk_i32 s4, 0xffd0
	v_mad_i32_i24 v26, v0, s4, v26
	v_cmp_lt_i64_e64 s[12:13], s[30:31], 1
	s_mov_b64 s[14:15], 0
	v_cmp_gt_i64_e64 s[6:7], s[30:31], 0
	s_and_b64 vcc, exec, s[34:35]
	ds_write_b64 v26, v[14:15]
	s_cbranch_vccz .LBB1051_95
; %bb.82:
	v_cndmask_b32_e64 v16, 0, 1, s[6:7]
	v_cmp_ne_u32_e64 s[4:5], 1, v16
	s_andn2_b64 vcc, exec, s[6:7]
	v_mov_b32_e32 v19, 0
	s_cbranch_vccnz .LBB1051_88
; %bb.83:
	v_mov_b64_e32 v[20:21], s[20:21]
	v_mad_u64_u32 v[16:17], s[6:7], v4, s30, v[20:21]
	v_mul_lo_u32 v19, v4, s31
	v_mul_lo_u32 v22, v5, s30
	s_add_u32 s18, s30, -1
	v_add3_u32 v17, v22, v17, v19
	v_mad_u64_u32 v[20:21], s[6:7], v14, s30, v[20:21]
	v_mul_lo_u32 v19, v14, s31
	v_mul_lo_u32 v22, v15, s30
	s_addc_u32 s19, s31, -1
	v_add3_u32 v21, v22, v21, v19
	s_mov_b64 s[38:39], s[18:19]
	v_mov_b64_e32 v[22:23], v[16:17]
                                        ; implicit-def: $sgpr36_sgpr37
.LBB1051_84:                            ; =>This Inner Loop Header: Depth=1
	global_load_ubyte v19, v[22:23], off
	global_load_ubyte v24, v[20:21], off
	v_lshl_add_u64 v[22:23], v[22:23], 0, 1
	v_lshl_add_u64 v[20:21], v[20:21], 0, 1
	s_waitcnt vmcnt(1)
	v_cmp_ne_u16_e32 vcc, 0, v19
	s_waitcnt vmcnt(0)
	v_cmp_ne_u16_e64 s[6:7], 0, v24
	s_xor_b64 s[6:7], vcc, s[6:7]
	s_cmp_eq_u64 s[38:39], 0
	s_cselect_b64 s[40:41], -1, 0
	s_or_b64 s[40:41], s[6:7], s[40:41]
	s_add_u32 s38, s38, -1
	s_addc_u32 s39, s39, -1
	s_and_b64 s[40:41], exec, s[40:41]
	s_or_b64 s[14:15], s[40:41], s[14:15]
	s_andn2_b64 s[36:37], s[36:37], exec
	s_and_b64 s[6:7], s[6:7], exec
	s_or_b64 s[36:37], s[36:37], s[6:7]
	s_andn2_b64 exec, exec, s[14:15]
	s_cbranch_execnz .LBB1051_84
; %bb.85:
	s_or_b64 exec, exec, s[14:15]
	v_mov_b64_e32 v[20:21], s[20:21]
	v_mad_u64_u32 v[20:21], s[6:7], v2, s30, v[20:21]
	v_mul_lo_u32 v19, v2, s31
	v_mul_lo_u32 v22, v3, s30
	v_add3_u32 v21, v22, v21, v19
	s_mov_b64 s[38:39], 0
                                        ; implicit-def: $sgpr14_sgpr15
.LBB1051_86:                            ; =>This Inner Loop Header: Depth=1
	global_load_ubyte v19, v[20:21], off
	global_load_ubyte v22, v[16:17], off
	v_lshl_add_u64 v[20:21], v[20:21], 0, 1
	v_lshl_add_u64 v[16:17], v[16:17], 0, 1
	s_waitcnt vmcnt(1)
	v_cmp_ne_u16_e32 vcc, 0, v19
	s_waitcnt vmcnt(0)
	v_cmp_ne_u16_e64 s[6:7], 0, v22
	s_xor_b64 s[6:7], vcc, s[6:7]
	s_cmp_eq_u64 s[18:19], 0
	s_cselect_b64 s[40:41], -1, 0
	s_or_b64 s[40:41], s[6:7], s[40:41]
	s_add_u32 s18, s18, -1
	s_addc_u32 s19, s19, -1
	s_and_b64 s[40:41], exec, s[40:41]
	s_or_b64 s[38:39], s[40:41], s[38:39]
	s_andn2_b64 s[14:15], s[14:15], exec
	s_and_b64 s[6:7], s[6:7], exec
	s_or_b64 s[14:15], s[14:15], s[6:7]
	s_andn2_b64 exec, exec, s[38:39]
	s_cbranch_execnz .LBB1051_86
; %bb.87:
	s_or_b64 exec, exec, s[38:39]
	v_cndmask_b32_e64 v19, 0, 1, s[36:37]
.LBB1051_88:
	s_and_b64 vcc, exec, s[4:5]
	s_cbranch_vccnz .LBB1051_96
; %bb.89:
	v_mov_b64_e32 v[20:21], s[20:21]
	v_mad_u64_u32 v[16:17], s[6:7], v8, s30, v[20:21]
	v_mul_lo_u32 v22, v8, s31
	v_mul_lo_u32 v23, v9, s30
	s_add_u32 s36, s30, -1
	v_add3_u32 v17, v23, v17, v22
	v_mad_u64_u32 v[20:21], s[6:7], v2, s30, v[20:21]
	v_mul_lo_u32 v22, v2, s31
	v_mul_lo_u32 v23, v3, s30
	s_addc_u32 s37, s31, -1
	v_add3_u32 v21, v23, v21, v22
	s_mov_b64 s[18:19], 0
	s_mov_b64 s[40:41], s[36:37]
	v_mov_b64_e32 v[22:23], v[16:17]
                                        ; implicit-def: $sgpr38_sgpr39
.LBB1051_90:                            ; =>This Inner Loop Header: Depth=1
	global_load_ubyte v24, v[22:23], off
	global_load_ubyte v25, v[20:21], off
	v_lshl_add_u64 v[22:23], v[22:23], 0, 1
	v_lshl_add_u64 v[20:21], v[20:21], 0, 1
	s_waitcnt vmcnt(1)
	v_cmp_ne_u16_e32 vcc, 0, v24
	s_waitcnt vmcnt(0)
	v_cmp_ne_u16_e64 s[6:7], 0, v25
	s_xor_b64 s[6:7], vcc, s[6:7]
	s_cmp_eq_u64 s[40:41], 0
	s_cselect_b64 s[42:43], -1, 0
	s_or_b64 s[42:43], s[6:7], s[42:43]
	s_add_u32 s40, s40, -1
	s_addc_u32 s41, s41, -1
	s_and_b64 s[42:43], exec, s[42:43]
	s_or_b64 s[18:19], s[42:43], s[18:19]
	s_andn2_b64 s[38:39], s[38:39], exec
	s_and_b64 s[6:7], s[6:7], exec
	s_or_b64 s[38:39], s[38:39], s[6:7]
	s_andn2_b64 exec, exec, s[18:19]
	s_cbranch_execnz .LBB1051_90
; %bb.91:
	s_or_b64 exec, exec, s[18:19]
	v_mov_b64_e32 v[20:21], s[20:21]
	v_mad_u64_u32 v[20:21], s[6:7], v6, s30, v[20:21]
	v_mul_lo_u32 v22, v6, s31
	v_mul_lo_u32 v23, v7, s30
	v_add3_u32 v21, v23, v21, v22
	s_mov_b64 s[40:41], 0
                                        ; implicit-def: $sgpr18_sgpr19
.LBB1051_92:                            ; =>This Inner Loop Header: Depth=1
	global_load_ubyte v22, v[20:21], off
	global_load_ubyte v23, v[16:17], off
	v_lshl_add_u64 v[20:21], v[20:21], 0, 1
	v_lshl_add_u64 v[16:17], v[16:17], 0, 1
	s_waitcnt vmcnt(1)
	v_cmp_ne_u16_e32 vcc, 0, v22
	s_waitcnt vmcnt(0)
	v_cmp_ne_u16_e64 s[6:7], 0, v23
	s_xor_b64 s[6:7], vcc, s[6:7]
	s_cmp_eq_u64 s[36:37], 0
	s_cselect_b64 s[42:43], -1, 0
	s_or_b64 s[42:43], s[6:7], s[42:43]
	s_add_u32 s36, s36, -1
	s_addc_u32 s37, s37, -1
	s_and_b64 s[42:43], exec, s[42:43]
	s_or_b64 s[40:41], s[42:43], s[40:41]
	s_andn2_b64 s[18:19], s[18:19], exec
	s_and_b64 s[6:7], s[6:7], exec
	s_or_b64 s[18:19], s[18:19], s[6:7]
	s_andn2_b64 exec, exec, s[40:41]
	s_cbranch_execnz .LBB1051_92
; %bb.93:
	s_or_b64 exec, exec, s[40:41]
	v_cndmask_b32_e64 v17, 0, 1, s[38:39]
	s_and_b64 vcc, exec, s[4:5]
	s_cbranch_vccz .LBB1051_97
.LBB1051_94:
	v_mov_b32_e32 v40, 0
	s_mov_b64 s[40:41], 0
	s_branch .LBB1051_102
.LBB1051_95:
                                        ; implicit-def: $sgpr18_sgpr19
                                        ; implicit-def: $vgpr19
                                        ; implicit-def: $vgpr21
                                        ; implicit-def: $vgpr17
                                        ; implicit-def: $vgpr22
                                        ; implicit-def: $vgpr41
                                        ; implicit-def: $vgpr40
                                        ; implicit-def: $vgpr20
	s_cbranch_execnz .LBB1051_109
	s_branch .LBB1051_140
.LBB1051_96:
	v_mov_b32_e32 v17, 0
	s_mov_b64 s[18:19], 0
	s_and_b64 vcc, exec, s[4:5]
	s_cbranch_vccnz .LBB1051_94
.LBB1051_97:
	v_mov_b64_e32 v[22:23], s[20:21]
	v_mad_u64_u32 v[20:21], s[6:7], v12, s30, v[22:23]
	v_mul_lo_u32 v16, v12, s31
	v_mul_lo_u32 v24, v13, s30
	s_add_u32 s36, s30, -1
	v_add3_u32 v21, v24, v21, v16
	v_mad_u64_u32 v[22:23], s[6:7], v6, s30, v[22:23]
	v_mul_lo_u32 v16, v6, s31
	v_mul_lo_u32 v24, v7, s30
	s_addc_u32 s37, s31, -1
	v_add3_u32 v23, v24, v23, v16
	s_mov_b64 s[40:41], 0
	s_mov_b64 s[42:43], s[36:37]
	v_mov_b64_e32 v[24:25], v[20:21]
                                        ; implicit-def: $sgpr38_sgpr39
.LBB1051_98:                            ; =>This Inner Loop Header: Depth=1
	global_load_ubyte v16, v[24:25], off
	global_load_ubyte v27, v[22:23], off
	v_lshl_add_u64 v[24:25], v[24:25], 0, 1
	v_lshl_add_u64 v[22:23], v[22:23], 0, 1
	s_waitcnt vmcnt(1)
	v_cmp_ne_u16_e32 vcc, 0, v16
	s_waitcnt vmcnt(0)
	v_cmp_ne_u16_e64 s[6:7], 0, v27
	s_xor_b64 s[6:7], vcc, s[6:7]
	s_cmp_eq_u64 s[42:43], 0
	s_cselect_b64 s[44:45], -1, 0
	s_or_b64 s[44:45], s[6:7], s[44:45]
	s_add_u32 s42, s42, -1
	s_addc_u32 s43, s43, -1
	s_and_b64 s[44:45], exec, s[44:45]
	s_or_b64 s[40:41], s[44:45], s[40:41]
	s_andn2_b64 s[38:39], s[38:39], exec
	s_and_b64 s[6:7], s[6:7], exec
	s_or_b64 s[38:39], s[38:39], s[6:7]
	s_andn2_b64 exec, exec, s[40:41]
	s_cbranch_execnz .LBB1051_98
; %bb.99:
	s_or_b64 exec, exec, s[40:41]
	v_mov_b64_e32 v[22:23], s[20:21]
	v_mad_u64_u32 v[22:23], s[6:7], v10, s30, v[22:23]
	v_mul_lo_u32 v16, v10, s31
	v_mul_lo_u32 v24, v11, s30
	v_add3_u32 v23, v24, v23, v16
	s_mov_b64 s[42:43], 0
                                        ; implicit-def: $sgpr40_sgpr41
.LBB1051_100:                           ; =>This Inner Loop Header: Depth=1
	global_load_ubyte v16, v[22:23], off
	global_load_ubyte v24, v[20:21], off
	v_lshl_add_u64 v[22:23], v[22:23], 0, 1
	v_lshl_add_u64 v[20:21], v[20:21], 0, 1
	s_waitcnt vmcnt(1)
	v_cmp_ne_u16_e32 vcc, 0, v16
	s_waitcnt vmcnt(0)
	v_cmp_ne_u16_e64 s[6:7], 0, v24
	s_xor_b64 s[6:7], vcc, s[6:7]
	s_cmp_eq_u64 s[36:37], 0
	s_cselect_b64 s[44:45], -1, 0
	s_or_b64 s[44:45], s[6:7], s[44:45]
	s_add_u32 s36, s36, -1
	s_addc_u32 s37, s37, -1
	s_and_b64 s[44:45], exec, s[44:45]
	s_or_b64 s[42:43], s[44:45], s[42:43]
	s_andn2_b64 s[40:41], s[40:41], exec
	s_and_b64 s[6:7], s[6:7], exec
	s_or_b64 s[40:41], s[40:41], s[6:7]
	s_andn2_b64 exec, exec, s[42:43]
	s_cbranch_execnz .LBB1051_100
; %bb.101:
	s_or_b64 exec, exec, s[42:43]
	v_cndmask_b32_e64 v40, 0, 1, s[38:39]
.LBB1051_102:
	v_cndmask_b32_e64 v21, 0, 1, s[14:15]
	v_cndmask_b32_e64 v20, 0, 1, s[18:19]
	v_cndmask_b32_e64 v41, 0, 1, s[40:41]
	v_mov_b32_e32 v16, 1
	v_cmp_ne_u32_e32 vcc, 0, v0
	s_waitcnt lgkmcnt(0)
	s_barrier
                                        ; implicit-def: $sgpr18_sgpr19
                                        ; implicit-def: $vgpr22
	s_and_saveexec_b64 s[6:7], vcc
	s_xor_b64 s[6:7], exec, s[6:7]
	s_cbranch_execz .LBB1051_108
; %bb.103:
	v_lshlrev_b16_e32 v22, 8, v41
	v_lshlrev_b16_e32 v23, 8, v20
	v_or_b32_e32 v22, 1, v22
	v_or_b32_sdwa v23, v40, v23 dst_sel:WORD_1 dst_unused:UNUSED_PAD src0_sel:DWORD src1_sel:DWORD
	s_mov_b32 s33, 0x3020104
	v_or_b32_sdwa v27, v22, v23 dst_sel:DWORD dst_unused:UNUSED_PAD src0_sel:WORD_0 src1_sel:DWORD
	s_and_b64 vcc, exec, s[4:5]
	s_mov_b64 s[18:19], 0
	s_cbranch_vccnz .LBB1051_107
; %bb.104:
	v_add_u32_e32 v22, -8, v26
	ds_read_b64 v[22:23], v22
	v_mov_b64_e32 v[24:25], s[20:21]
	s_add_u32 s14, s30, -1
	s_addc_u32 s15, s31, -1
	s_mov_b64 s[36:37], 0
	s_waitcnt lgkmcnt(0)
	v_mul_lo_u32 v28, v22, s31
	v_mul_lo_u32 v29, v23, s30
	v_mad_u64_u32 v[22:23], s[4:5], v22, s30, v[24:25]
	v_add3_u32 v23, v29, v23, v28
	v_mad_u64_u32 v[24:25], s[4:5], v10, s30, v[24:25]
	v_mul_lo_u32 v28, v10, s31
	v_mul_lo_u32 v29, v11, s30
	v_add3_u32 v25, v29, v25, v28
                                        ; implicit-def: $sgpr18_sgpr19
.LBB1051_105:                           ; =>This Inner Loop Header: Depth=1
	global_load_ubyte v28, v[22:23], off
	global_load_ubyte v29, v[24:25], off
	v_lshl_add_u64 v[22:23], v[22:23], 0, 1
	v_lshl_add_u64 v[24:25], v[24:25], 0, 1
	s_waitcnt vmcnt(1)
	v_cmp_ne_u16_e32 vcc, 0, v28
	s_waitcnt vmcnt(0)
	v_cmp_ne_u16_e64 s[4:5], 0, v29
	s_xor_b64 s[4:5], vcc, s[4:5]
	s_cmp_eq_u64 s[14:15], 0
	s_cselect_b64 s[38:39], -1, 0
	s_or_b64 s[38:39], s[4:5], s[38:39]
	s_add_u32 s14, s14, -1
	s_addc_u32 s15, s15, -1
	s_and_b64 s[38:39], exec, s[38:39]
	s_or_b64 s[36:37], s[38:39], s[36:37]
	s_andn2_b64 s[18:19], s[18:19], exec
	s_and_b64 s[4:5], s[4:5], exec
	s_or_b64 s[18:19], s[18:19], s[4:5]
	s_andn2_b64 exec, exec, s[36:37]
	s_cbranch_execnz .LBB1051_105
; %bb.106:
	s_or_b64 exec, exec, s[36:37]
.LBB1051_107:
	v_perm_b32 v22, v27, v27, s33
	s_or_b64 s[10:11], s[10:11], exec
.LBB1051_108:
	s_or_b64 exec, exec, s[6:7]
	s_branch .LBB1051_140
.LBB1051_109:
	v_add_u32_e32 v16, 6, v1
	v_cmp_gt_u32_e32 vcc, s3, v16
	s_xor_b64 s[6:7], s[12:13], -1
	s_and_b64 s[4:5], vcc, s[6:7]
	s_mov_b64 s[12:13], 0
	v_mul_lo_u32 v19, v4, s31
	v_mul_lo_u32 v22, v5, s30
	s_and_saveexec_b64 s[14:15], s[4:5]
	s_cbranch_execz .LBB1051_113
; %bb.110:
	v_mov_b64_e32 v[20:21], s[20:21]
	v_mad_u64_u32 v[16:17], s[4:5], v4, s30, v[20:21]
	v_mad_u64_u32 v[20:21], s[4:5], v14, s30, v[20:21]
	v_mul_lo_u32 v23, v14, s31
	v_mul_lo_u32 v24, v15, s30
	s_add_u32 s12, s30, -1
	v_add3_u32 v17, v22, v17, v19
	v_add3_u32 v21, v24, v21, v23
	s_addc_u32 s13, s31, -1
	s_mov_b64 s[18:19], 0
                                        ; implicit-def: $sgpr36_sgpr37
.LBB1051_111:                           ; =>This Inner Loop Header: Depth=1
	global_load_ubyte v23, v[16:17], off
	global_load_ubyte v24, v[20:21], off
	v_lshl_add_u64 v[16:17], v[16:17], 0, 1
	v_lshl_add_u64 v[20:21], v[20:21], 0, 1
	s_waitcnt vmcnt(1)
	v_cmp_ne_u16_e32 vcc, 0, v23
	s_waitcnt vmcnt(0)
	v_cmp_ne_u16_e64 s[4:5], 0, v24
	s_xor_b64 s[4:5], vcc, s[4:5]
	s_cmp_eq_u64 s[12:13], 0
	s_cselect_b64 s[38:39], -1, 0
	s_or_b64 s[38:39], s[4:5], s[38:39]
	s_add_u32 s12, s12, -1
	s_addc_u32 s13, s13, -1
	s_and_b64 s[38:39], exec, s[38:39]
	s_or_b64 s[18:19], s[38:39], s[18:19]
	s_andn2_b64 s[36:37], s[36:37], exec
	s_and_b64 s[4:5], s[4:5], exec
	s_or_b64 s[36:37], s[36:37], s[4:5]
	s_andn2_b64 exec, exec, s[18:19]
	s_cbranch_execnz .LBB1051_111
; %bb.112:
	s_or_b64 exec, exec, s[18:19]
	s_and_b64 s[12:13], s[36:37], exec
.LBB1051_113:
	s_or_b64 exec, exec, s[14:15]
	v_add_u32_e32 v16, 5, v1
	v_cmp_gt_u32_e32 vcc, s3, v16
	s_and_b64 s[4:5], vcc, s[6:7]
	s_mov_b64 s[14:15], 0
	v_mul_lo_u32 v23, v2, s31
	v_mul_lo_u32 v24, v3, s30
	s_and_saveexec_b64 s[18:19], s[4:5]
	s_cbranch_execz .LBB1051_117
; %bb.114:
	v_mov_b64_e32 v[20:21], s[20:21]
	v_mad_u64_u32 v[16:17], s[4:5], v2, s30, v[20:21]
	v_mad_u64_u32 v[20:21], s[4:5], v4, s30, v[20:21]
	s_add_u32 s14, s30, -1
	v_add3_u32 v17, v24, v17, v23
	v_add3_u32 v21, v22, v21, v19
	s_addc_u32 s15, s31, -1
	s_mov_b64 s[36:37], 0
                                        ; implicit-def: $sgpr38_sgpr39
.LBB1051_115:                           ; =>This Inner Loop Header: Depth=1
	global_load_ubyte v19, v[16:17], off
	global_load_ubyte v22, v[20:21], off
	v_lshl_add_u64 v[16:17], v[16:17], 0, 1
	v_lshl_add_u64 v[20:21], v[20:21], 0, 1
	s_waitcnt vmcnt(1)
	v_cmp_ne_u16_e32 vcc, 0, v19
	s_waitcnt vmcnt(0)
	v_cmp_ne_u16_e64 s[4:5], 0, v22
	s_xor_b64 s[4:5], vcc, s[4:5]
	s_cmp_eq_u64 s[14:15], 0
	s_cselect_b64 s[40:41], -1, 0
	s_or_b64 s[40:41], s[4:5], s[40:41]
	s_add_u32 s14, s14, -1
	s_addc_u32 s15, s15, -1
	s_and_b64 s[40:41], exec, s[40:41]
	s_or_b64 s[36:37], s[40:41], s[36:37]
	s_andn2_b64 s[38:39], s[38:39], exec
	s_and_b64 s[4:5], s[4:5], exec
	s_or_b64 s[38:39], s[38:39], s[4:5]
	s_andn2_b64 exec, exec, s[36:37]
	s_cbranch_execnz .LBB1051_115
; %bb.116:
	s_or_b64 exec, exec, s[36:37]
	s_and_b64 s[14:15], s[38:39], exec
.LBB1051_117:
	s_or_b64 exec, exec, s[18:19]
	v_add_u32_e32 v16, 4, v1
	v_cmp_gt_u32_e32 vcc, s3, v16
	s_and_b64 s[4:5], vcc, s[6:7]
	s_mov_b64 s[18:19], 0
	v_mul_lo_u32 v19, v8, s31
	v_mul_lo_u32 v25, v9, s30
	s_and_saveexec_b64 s[36:37], s[4:5]
	s_cbranch_execz .LBB1051_121
; %bb.118:
	v_mov_b64_e32 v[20:21], s[20:21]
	v_mad_u64_u32 v[16:17], s[4:5], v8, s30, v[20:21]
	v_mad_u64_u32 v[20:21], s[4:5], v2, s30, v[20:21]
	s_add_u32 s18, s30, -1
	v_add3_u32 v17, v25, v17, v19
	v_add3_u32 v21, v24, v21, v23
	s_addc_u32 s19, s31, -1
	s_mov_b64 s[38:39], 0
                                        ; implicit-def: $sgpr40_sgpr41
.LBB1051_119:                           ; =>This Inner Loop Header: Depth=1
	global_load_ubyte v22, v[16:17], off
	global_load_ubyte v23, v[20:21], off
	v_lshl_add_u64 v[16:17], v[16:17], 0, 1
	v_lshl_add_u64 v[20:21], v[20:21], 0, 1
	s_waitcnt vmcnt(1)
	v_cmp_ne_u16_e32 vcc, 0, v22
	s_waitcnt vmcnt(0)
	v_cmp_ne_u16_e64 s[4:5], 0, v23
	s_xor_b64 s[4:5], vcc, s[4:5]
	s_cmp_eq_u64 s[18:19], 0
	s_cselect_b64 s[42:43], -1, 0
	s_or_b64 s[42:43], s[4:5], s[42:43]
	s_add_u32 s18, s18, -1
	s_addc_u32 s19, s19, -1
	s_and_b64 s[42:43], exec, s[42:43]
	s_or_b64 s[38:39], s[42:43], s[38:39]
	s_andn2_b64 s[40:41], s[40:41], exec
	s_and_b64 s[4:5], s[4:5], exec
	s_or_b64 s[40:41], s[40:41], s[4:5]
	s_andn2_b64 exec, exec, s[38:39]
	s_cbranch_execnz .LBB1051_119
; %bb.120:
	s_or_b64 exec, exec, s[38:39]
	s_and_b64 s[18:19], s[40:41], exec
.LBB1051_121:
	s_or_b64 exec, exec, s[36:37]
	v_add_u32_e32 v16, 3, v1
	v_cmp_gt_u32_e32 vcc, s3, v16
	s_and_b64 s[4:5], vcc, s[6:7]
	s_mov_b64 s[36:37], 0
	v_mul_lo_u32 v22, v6, s31
	v_mul_lo_u32 v24, v7, s30
	s_and_saveexec_b64 s[38:39], s[4:5]
	s_cbranch_execz .LBB1051_125
; %bb.122:
	v_mov_b64_e32 v[20:21], s[20:21]
	v_mad_u64_u32 v[16:17], s[4:5], v6, s30, v[20:21]
	v_mad_u64_u32 v[20:21], s[4:5], v8, s30, v[20:21]
	s_add_u32 s36, s30, -1
	v_add3_u32 v17, v24, v17, v22
	v_add3_u32 v21, v25, v21, v19
	s_addc_u32 s37, s31, -1
	s_mov_b64 s[40:41], 0
                                        ; implicit-def: $sgpr42_sgpr43
.LBB1051_123:                           ; =>This Inner Loop Header: Depth=1
	global_load_ubyte v19, v[16:17], off
	global_load_ubyte v23, v[20:21], off
	v_lshl_add_u64 v[16:17], v[16:17], 0, 1
	v_lshl_add_u64 v[20:21], v[20:21], 0, 1
	s_waitcnt vmcnt(1)
	v_cmp_ne_u16_e32 vcc, 0, v19
	s_waitcnt vmcnt(0)
	v_cmp_ne_u16_e64 s[4:5], 0, v23
	s_xor_b64 s[4:5], vcc, s[4:5]
	s_cmp_eq_u64 s[36:37], 0
	s_cselect_b64 s[44:45], -1, 0
	s_or_b64 s[44:45], s[4:5], s[44:45]
	s_add_u32 s36, s36, -1
	s_addc_u32 s37, s37, -1
	s_and_b64 s[44:45], exec, s[44:45]
	s_or_b64 s[40:41], s[44:45], s[40:41]
	s_andn2_b64 s[42:43], s[42:43], exec
	s_and_b64 s[4:5], s[4:5], exec
	s_or_b64 s[42:43], s[42:43], s[4:5]
	s_andn2_b64 exec, exec, s[40:41]
	s_cbranch_execnz .LBB1051_123
; %bb.124:
	s_or_b64 exec, exec, s[40:41]
	s_and_b64 s[36:37], s[42:43], exec
.LBB1051_125:
	s_or_b64 exec, exec, s[38:39]
	v_add_u32_e32 v16, 2, v1
	v_cmp_gt_u32_e32 vcc, s3, v16
	s_and_b64 s[4:5], vcc, s[6:7]
	s_mov_b64 s[38:39], 0
	v_mul_lo_u32 v19, v12, s31
	v_mul_lo_u32 v23, v13, s30
	s_and_saveexec_b64 s[40:41], s[4:5]
	s_cbranch_execz .LBB1051_129
; %bb.126:
	v_mov_b64_e32 v[20:21], s[20:21]
	v_mad_u64_u32 v[16:17], s[4:5], v12, s30, v[20:21]
	v_mad_u64_u32 v[20:21], s[4:5], v6, s30, v[20:21]
	s_add_u32 s38, s30, -1
	v_add3_u32 v17, v23, v17, v19
	v_add3_u32 v21, v24, v21, v22
	s_addc_u32 s39, s31, -1
	s_mov_b64 s[42:43], 0
                                        ; implicit-def: $sgpr44_sgpr45
.LBB1051_127:                           ; =>This Inner Loop Header: Depth=1
	global_load_ubyte v22, v[16:17], off
	global_load_ubyte v24, v[20:21], off
	v_lshl_add_u64 v[16:17], v[16:17], 0, 1
	v_lshl_add_u64 v[20:21], v[20:21], 0, 1
	s_waitcnt vmcnt(1)
	v_cmp_ne_u16_e32 vcc, 0, v22
	s_waitcnt vmcnt(0)
	v_cmp_ne_u16_e64 s[4:5], 0, v24
	s_xor_b64 s[4:5], vcc, s[4:5]
	s_cmp_eq_u64 s[38:39], 0
	s_cselect_b64 s[46:47], -1, 0
	s_or_b64 s[46:47], s[4:5], s[46:47]
	s_add_u32 s38, s38, -1
	s_addc_u32 s39, s39, -1
	s_and_b64 s[46:47], exec, s[46:47]
	s_or_b64 s[42:43], s[46:47], s[42:43]
	s_andn2_b64 s[44:45], s[44:45], exec
	s_and_b64 s[4:5], s[4:5], exec
	s_or_b64 s[44:45], s[44:45], s[4:5]
	s_andn2_b64 exec, exec, s[42:43]
	s_cbranch_execnz .LBB1051_127
; %bb.128:
	s_or_b64 exec, exec, s[42:43]
	s_and_b64 s[38:39], s[44:45], exec
.LBB1051_129:
	s_or_b64 exec, exec, s[40:41]
	v_add_u32_e32 v16, 1, v1
	v_cmp_gt_u32_e32 vcc, s3, v16
	s_and_b64 s[42:43], vcc, s[6:7]
	s_mov_b64 s[4:5], 0
	s_and_saveexec_b64 s[40:41], s[42:43]
	s_cbranch_execz .LBB1051_133
; %bb.130:
	v_mov_b64_e32 v[20:21], s[20:21]
	v_mad_u64_u32 v[16:17], s[4:5], v10, s30, v[20:21]
	v_mul_lo_u32 v22, v10, s31
	v_mul_lo_u32 v24, v11, s30
	v_mad_u64_u32 v[20:21], s[4:5], v12, s30, v[20:21]
	s_add_u32 s42, s30, -1
	v_add3_u32 v17, v24, v17, v22
	v_add3_u32 v21, v23, v21, v19
	s_addc_u32 s43, s31, -1
	s_mov_b64 s[44:45], 0
                                        ; implicit-def: $sgpr46_sgpr47
.LBB1051_131:                           ; =>This Inner Loop Header: Depth=1
	global_load_ubyte v19, v[16:17], off
	global_load_ubyte v22, v[20:21], off
	v_lshl_add_u64 v[16:17], v[16:17], 0, 1
	v_lshl_add_u64 v[20:21], v[20:21], 0, 1
	s_waitcnt vmcnt(1)
	v_cmp_ne_u16_e32 vcc, 0, v19
	s_waitcnt vmcnt(0)
	v_cmp_ne_u16_e64 s[4:5], 0, v22
	s_xor_b64 s[4:5], vcc, s[4:5]
	s_cmp_eq_u64 s[42:43], 0
	s_cselect_b64 s[48:49], -1, 0
	s_or_b64 s[48:49], s[4:5], s[48:49]
	s_add_u32 s42, s42, -1
	s_addc_u32 s43, s43, -1
	s_and_b64 s[48:49], exec, s[48:49]
	s_or_b64 s[44:45], s[48:49], s[44:45]
	s_andn2_b64 s[46:47], s[46:47], exec
	s_and_b64 s[4:5], s[4:5], exec
	s_or_b64 s[46:47], s[46:47], s[4:5]
	s_andn2_b64 exec, exec, s[44:45]
	s_cbranch_execnz .LBB1051_131
; %bb.132:
	s_or_b64 exec, exec, s[44:45]
	s_and_b64 s[4:5], s[46:47], exec
.LBB1051_133:
	s_or_b64 exec, exec, s[40:41]
	v_cndmask_b32_e64 v17, 0, 1, s[18:19]
	v_cndmask_b32_e64 v21, 0, 1, s[14:15]
	;; [unrolled: 1-line block ×6, first 2 shown]
	v_mov_b32_e32 v16, 1
	v_cmp_ne_u32_e32 vcc, 0, v0
	s_waitcnt lgkmcnt(0)
	s_barrier
                                        ; implicit-def: $sgpr18_sgpr19
                                        ; implicit-def: $vgpr22
	s_and_saveexec_b64 s[12:13], vcc
	s_cbranch_execz .LBB1051_139
; %bb.134:
	v_lshlrev_b16_e32 v22, 8, v41
	v_lshlrev_b16_e32 v23, 8, v20
	v_or_b32_e32 v22, 1, v22
	v_or_b32_sdwa v23, v40, v23 dst_sel:WORD_1 dst_unused:UNUSED_PAD src0_sel:DWORD src1_sel:DWORD
	v_cmp_gt_u32_e32 vcc, s3, v1
	v_or_b32_sdwa v27, v22, v23 dst_sel:DWORD dst_unused:UNUSED_PAD src0_sel:WORD_0 src1_sel:DWORD
	s_and_b64 s[4:5], vcc, s[6:7]
	s_mov_b32 s33, 0x3020104
	s_mov_b64 s[18:19], 0
	s_and_saveexec_b64 s[6:7], s[4:5]
	s_cbranch_execz .LBB1051_138
; %bb.135:
	v_add_u32_e32 v22, -8, v26
	ds_read_b64 v[22:23], v22
	v_mov_b64_e32 v[24:25], s[20:21]
	s_add_u32 s14, s30, -1
	s_addc_u32 s15, s31, -1
                                        ; implicit-def: $sgpr20_sgpr21
	s_waitcnt lgkmcnt(0)
	v_mul_lo_u32 v26, v22, s31
	v_mul_lo_u32 v28, v23, s30
	v_mad_u64_u32 v[22:23], s[4:5], v22, s30, v[24:25]
	v_add3_u32 v23, v28, v23, v26
	v_mad_u64_u32 v[24:25], s[4:5], v10, s30, v[24:25]
	v_mul_lo_u32 v26, v10, s31
	v_mul_lo_u32 v28, v11, s30
	v_add3_u32 v25, v28, v25, v26
.LBB1051_136:                           ; =>This Inner Loop Header: Depth=1
	global_load_ubyte v26, v[22:23], off
	global_load_ubyte v28, v[24:25], off
	v_lshl_add_u64 v[22:23], v[22:23], 0, 1
	v_lshl_add_u64 v[24:25], v[24:25], 0, 1
	s_waitcnt vmcnt(1)
	v_cmp_ne_u16_e32 vcc, 0, v26
	s_waitcnt vmcnt(0)
	v_cmp_ne_u16_e64 s[4:5], 0, v28
	s_xor_b64 s[4:5], vcc, s[4:5]
	s_cmp_eq_u64 s[14:15], 0
	s_cselect_b64 s[30:31], -1, 0
	s_or_b64 s[30:31], s[4:5], s[30:31]
	s_add_u32 s14, s14, -1
	s_addc_u32 s15, s15, -1
	s_and_b64 s[30:31], exec, s[30:31]
	s_or_b64 s[18:19], s[30:31], s[18:19]
	s_andn2_b64 s[20:21], s[20:21], exec
	s_and_b64 s[4:5], s[4:5], exec
	s_or_b64 s[20:21], s[20:21], s[4:5]
	s_andn2_b64 exec, exec, s[18:19]
	s_cbranch_execnz .LBB1051_136
; %bb.137:
	s_or_b64 exec, exec, s[18:19]
	s_and_b64 s[18:19], s[20:21], exec
.LBB1051_138:
	s_or_b64 exec, exec, s[6:7]
	v_perm_b32 v22, v27, v27, s33
	s_or_b64 s[10:11], s[10:11], exec
.LBB1051_139:
	s_or_b64 exec, exec, s[12:13]
.LBB1051_140:
	s_and_saveexec_b64 s[4:5], s[10:11]
; %bb.141:
	v_lshrrev_b32_e32 v20, 24, v22
	v_lshrrev_b32_e32 v40, 16, v22
	;; [unrolled: 1-line block ×3, first 2 shown]
	v_cndmask_b32_e64 v16, 0, 1, s[18:19]
; %bb.142:
	s_or_b64 exec, exec, s[4:5]
	s_andn2_b64 vcc, exec, s[8:9]
	s_cbranch_vccnz .LBB1051_146
; %bb.143:
	s_mov_b32 s4, 0xc0c0004
	v_perm_b32 v20, v40, v20, s4
	v_perm_b32 v16, v16, v41, s4
	v_lshlrev_b32_e32 v20, 16, v20
	v_or_b32_e32 v16, v16, v20
	v_cmp_gt_u32_e32 vcc, s3, v1
	v_add_u32_e32 v22, 1, v1
	v_perm_b32 v17, v17, v21, s4
	v_cndmask_b32_e32 v20, v20, v16, vcc
	v_and_b32_e32 v20, 0xffff00ff, v20
	v_cmp_gt_u32_e32 vcc, s3, v22
	v_add_u32_e32 v22, 2, v1
	s_mov_b32 s4, 0x40c0100
	v_cndmask_b32_e32 v20, v20, v16, vcc
	v_lshrrev_b32_e32 v23, 24, v20
	v_and_b32_e32 v19, 0xff, v19
	v_perm_b32 v20, v23, v20, s4
	v_cmp_gt_u32_e32 vcc, s3, v22
	v_lshlrev_b32_e32 v19, 16, v19
	v_add_u32_e32 v22, 3, v1
	v_cndmask_b32_e32 v20, v20, v16, vcc
	s_mov_b32 s4, 0xffff00
	v_or_b32_e32 v21, v17, v19
	v_and_b32_e32 v20, 0xffffff, v20
	v_cmp_gt_u32_e32 vcc, s3, v22
	v_bitop3_b32 v17, v17, s4, v19 bitop3:0xc8
	v_add_u32_e32 v19, 4, v1
	v_cndmask_b32_e32 v20, v20, v16, vcc
	v_cmp_gt_u32_e32 vcc, s3, v19
	v_add_u32_e32 v19, 5, v1
	v_cmp_gt_u32_e64 s[4:5], s3, v19
	v_cndmask_b32_e32 v17, v17, v21, vcc
	v_and_b32_e32 v17, 0xffff00ff, v17
	s_or_b64 vcc, s[4:5], vcc
	v_cndmask_b32_e64 v17, v17, v21, s[4:5]
	v_cndmask_b32_e32 v16, v20, v16, vcc
	v_lshrrev_b64 v[20:21], 24, v[16:17]
	v_add_u32_e32 v1, 6, v1
	v_lshrrev_b32_e32 v40, 16, v16
	v_lshrrev_b32_e32 v41, 8, v16
	;; [unrolled: 1-line block ×4, first 2 shown]
	v_cmp_le_u32_e32 vcc, s3, v1
	s_and_saveexec_b64 s[4:5], vcc
; %bb.144:
	v_mov_b32_e32 v19, 0
; %bb.145:
	s_or_b64 exec, exec, s[4:5]
.LBB1051_146:
	v_and_b32_e32 v1, 0xff, v16
	v_and_b32_e32 v33, 0xff, v41
	;; [unrolled: 1-line block ×5, first 2 shown]
	v_add3_u32 v23, v33, v1, v35
	v_and_b32_e32 v42, 0xff, v21
	v_and_b32_e32 v22, 0xff, v19
	v_add3_u32 v23, v23, v37, v39
	v_add3_u32 v45, v23, v42, v22
	v_mbcnt_lo_u32_b32 v22, -1, 0
	v_mbcnt_hi_u32_b32 v43, -1, v22
	v_and_b32_e32 v22, 15, v43
	v_cmp_eq_u32_e64 s[14:15], 0, v22
	v_cmp_lt_u32_e64 s[12:13], 1, v22
	v_cmp_lt_u32_e64 s[10:11], 3, v22
	v_cmp_lt_u32_e64 s[8:9], 7, v22
	v_and_b32_e32 v22, 16, v43
	v_cmp_eq_u32_e64 s[6:7], 0, v22
	v_or_b32_e32 v22, 63, v0
	v_cmp_lt_u32_e64 s[18:19], 31, v43
	v_lshrrev_b32_e32 v44, 6, v0
	v_cmp_eq_u32_e64 s[4:5], v0, v22
	s_and_b64 vcc, exec, s[16:17]
	s_waitcnt lgkmcnt(0)
	s_barrier
	s_cbranch_vccz .LBB1051_168
; %bb.147:
	v_mov_b32_dpp v22, v45 row_shr:1 row_mask:0xf bank_mask:0xf
	v_cndmask_b32_e64 v22, v22, 0, s[14:15]
	v_add_u32_e32 v22, v22, v45
	s_nop 1
	v_mov_b32_dpp v23, v22 row_shr:2 row_mask:0xf bank_mask:0xf
	v_cndmask_b32_e64 v23, 0, v23, s[12:13]
	v_add_u32_e32 v22, v22, v23
	s_nop 1
	;; [unrolled: 4-line block ×4, first 2 shown]
	v_mov_b32_dpp v23, v22 row_bcast:15 row_mask:0xf bank_mask:0xf
	v_cndmask_b32_e64 v23, v23, 0, s[6:7]
	v_add_u32_e32 v22, v22, v23
	s_nop 1
	v_mov_b32_dpp v23, v22 row_bcast:31 row_mask:0xf bank_mask:0xf
	v_cndmask_b32_e64 v23, 0, v23, s[18:19]
	v_add_u32_e32 v22, v22, v23
	s_and_saveexec_b64 s[16:17], s[4:5]
; %bb.148:
	v_lshlrev_b32_e32 v23, 2, v44
	ds_write_b32 v23, v22
; %bb.149:
	s_or_b64 exec, exec, s[16:17]
	v_cmp_gt_u32_e32 vcc, 8, v0
	s_waitcnt lgkmcnt(0)
	s_barrier
	s_and_saveexec_b64 s[16:17], vcc
	s_cbranch_execz .LBB1051_151
; %bb.150:
	v_lshlrev_b32_e32 v23, 2, v0
	ds_read_b32 v24, v23
	v_and_b32_e32 v25, 7, v43
	v_cmp_ne_u32_e32 vcc, 0, v25
	s_waitcnt lgkmcnt(0)
	v_mov_b32_dpp v26, v24 row_shr:1 row_mask:0xf bank_mask:0xf
	v_cndmask_b32_e32 v26, 0, v26, vcc
	v_add_u32_e32 v24, v26, v24
	v_cmp_lt_u32_e32 vcc, 1, v25
	s_nop 0
	v_mov_b32_dpp v26, v24 row_shr:2 row_mask:0xf bank_mask:0xf
	v_cndmask_b32_e32 v26, 0, v26, vcc
	v_add_u32_e32 v24, v24, v26
	v_cmp_lt_u32_e32 vcc, 3, v25
	s_nop 0
	v_mov_b32_dpp v26, v24 row_shr:4 row_mask:0xf bank_mask:0xf
	v_cndmask_b32_e32 v25, 0, v26, vcc
	v_add_u32_e32 v24, v24, v25
	ds_write_b32 v23, v24
.LBB1051_151:
	s_or_b64 exec, exec, s[16:17]
	v_cmp_gt_u32_e32 vcc, 64, v0
	v_cmp_lt_u32_e64 s[16:17], 63, v0
	s_waitcnt lgkmcnt(0)
	s_barrier
                                        ; implicit-def: $vgpr32
	s_and_saveexec_b64 s[20:21], s[16:17]
	s_cbranch_execz .LBB1051_153
; %bb.152:
	v_lshl_add_u32 v23, v44, 2, -4
	ds_read_b32 v32, v23
	s_waitcnt lgkmcnt(0)
	v_add_u32_e32 v22, v32, v22
.LBB1051_153:
	s_or_b64 exec, exec, s[20:21]
	v_subrev_co_u32_e64 v23, s[16:17], 1, v43
	v_and_b32_e32 v24, 64, v43
	v_cmp_lt_i32_e64 s[20:21], v23, v24
	s_nop 1
	v_cndmask_b32_e64 v23, v23, v43, s[20:21]
	v_lshlrev_b32_e32 v23, 2, v23
	ds_bpermute_b32 v34, v23, v22
	s_and_saveexec_b64 s[20:21], vcc
	s_cbranch_execz .LBB1051_173
; %bb.154:
	v_mov_b32_e32 v29, 0
	ds_read_b32 v22, v29 offset:28
	s_and_saveexec_b64 s[30:31], s[16:17]
	s_cbranch_execz .LBB1051_156
; %bb.155:
	s_add_i32 s36, s2, 64
	s_mov_b32 s37, 0
	s_lshl_b64 s[36:37], s[36:37], 3
	s_add_u32 s36, s22, s36
	v_mov_b32_e32 v23, 1
	s_addc_u32 s37, s23, s37
	s_waitcnt lgkmcnt(0)
	global_store_dwordx2 v29, v[22:23], s[36:37] sc1
.LBB1051_156:
	s_or_b64 exec, exec, s[30:31]
	v_xad_u32 v24, v43, -1, s2
	v_add_u32_e32 v28, 64, v24
	v_lshl_add_u64 v[30:31], v[28:29], 3, s[22:23]
	global_load_dwordx2 v[26:27], v[30:31], off sc1
	s_waitcnt vmcnt(0)
	v_cmp_eq_u16_sdwa s[36:37], v27, v29 src0_sel:BYTE_0 src1_sel:DWORD
	s_and_saveexec_b64 s[30:31], s[36:37]
	s_cbranch_execz .LBB1051_160
; %bb.157:
	s_mov_b64 s[36:37], 0
	v_mov_b32_e32 v23, 0
.LBB1051_158:                           ; =>This Inner Loop Header: Depth=1
	global_load_dwordx2 v[26:27], v[30:31], off sc1
	s_waitcnt vmcnt(0)
	v_cmp_ne_u16_sdwa s[38:39], v27, v23 src0_sel:BYTE_0 src1_sel:DWORD
	s_or_b64 s[36:37], s[38:39], s[36:37]
	s_andn2_b64 exec, exec, s[36:37]
	s_cbranch_execnz .LBB1051_158
; %bb.159:
	s_or_b64 exec, exec, s[36:37]
.LBB1051_160:
	s_or_b64 exec, exec, s[30:31]
	v_and_b32_e32 v38, 63, v43
	v_mov_b32_e32 v36, 2
	v_cmp_ne_u32_e32 vcc, 63, v38
	v_cmp_eq_u16_sdwa s[30:31], v27, v36 src0_sel:BYTE_0 src1_sel:DWORD
	v_lshlrev_b64 v[28:29], v43, -1
	v_addc_co_u32_e32 v30, vcc, 0, v43, vcc
	v_and_b32_e32 v23, s31, v29
	v_lshlrev_b32_e32 v46, 2, v30
	v_or_b32_e32 v23, 0x80000000, v23
	ds_bpermute_b32 v30, v46, v26
	v_and_b32_e32 v25, s30, v28
	v_ffbl_b32_e32 v23, v23
	v_add_u32_e32 v23, 32, v23
	v_ffbl_b32_e32 v25, v25
	v_min_u32_e32 v23, v25, v23
	v_cmp_lt_u32_e32 vcc, v38, v23
	v_add_u32_e32 v48, 2, v38
	v_add_u32_e32 v50, 4, v38
	s_waitcnt lgkmcnt(0)
	v_cndmask_b32_e32 v25, 0, v30, vcc
	v_cmp_gt_u32_e32 vcc, 62, v38
	v_add_u32_e32 v25, v25, v26
	v_add_u32_e32 v52, 8, v38
	v_cndmask_b32_e64 v26, 0, 2, vcc
	v_add_lshl_u32 v47, v26, v43, 2
	ds_bpermute_b32 v26, v47, v25
	v_cmp_le_u32_e32 vcc, v48, v23
	v_add_u32_e32 v54, 16, v38
	v_add_u32_e32 v56, 32, v38
	s_waitcnt lgkmcnt(0)
	v_cndmask_b32_e32 v26, 0, v26, vcc
	v_cmp_gt_u32_e32 vcc, 60, v38
	v_add_u32_e32 v25, v25, v26
	s_nop 0
	v_cndmask_b32_e64 v26, 0, 4, vcc
	v_add_lshl_u32 v49, v26, v43, 2
	ds_bpermute_b32 v26, v49, v25
	v_cmp_le_u32_e32 vcc, v50, v23
	s_waitcnt lgkmcnt(0)
	s_nop 0
	v_cndmask_b32_e32 v26, 0, v26, vcc
	v_cmp_gt_u32_e32 vcc, 56, v38
	v_add_u32_e32 v25, v25, v26
	s_nop 0
	v_cndmask_b32_e64 v26, 0, 8, vcc
	v_add_lshl_u32 v51, v26, v43, 2
	ds_bpermute_b32 v26, v51, v25
	v_cmp_le_u32_e32 vcc, v52, v23
	s_waitcnt lgkmcnt(0)
	s_nop 0
	;; [unrolled: 10-line block ×3, first 2 shown]
	v_cndmask_b32_e32 v26, 0, v26, vcc
	v_add_u32_e32 v25, v25, v26
	v_mov_b32_e32 v26, 0x80
	v_lshl_or_b32 v55, v43, 2, v26
	ds_bpermute_b32 v26, v55, v25
	v_cmp_le_u32_e32 vcc, v56, v23
	s_waitcnt lgkmcnt(0)
	s_nop 0
	v_cndmask_b32_e32 v23, 0, v26, vcc
	v_add_u32_e32 v26, v25, v23
	v_mov_b32_e32 v25, 0
	s_branch .LBB1051_163
.LBB1051_161:                           ;   in Loop: Header=BB1051_163 Depth=1
	s_or_b64 exec, exec, s[30:31]
	v_cmp_eq_u16_sdwa s[30:31], v27, v36 src0_sel:BYTE_0 src1_sel:DWORD
	ds_bpermute_b32 v57, v46, v26
	v_subrev_u32_e32 v24, 64, v24
	v_and_b32_e32 v30, s31, v29
	v_or_b32_e32 v30, 0x80000000, v30
	v_and_b32_e32 v31, s30, v28
	v_ffbl_b32_e32 v30, v30
	v_add_u32_e32 v30, 32, v30
	v_ffbl_b32_e32 v31, v31
	v_min_u32_e32 v30, v31, v30
	v_cmp_lt_u32_e32 vcc, v38, v30
	s_mov_b64 s[30:31], 0
	s_waitcnt lgkmcnt(0)
	v_cndmask_b32_e32 v31, 0, v57, vcc
	v_add_u32_e32 v26, v31, v26
	ds_bpermute_b32 v31, v47, v26
	v_cmp_le_u32_e32 vcc, v48, v30
	s_waitcnt lgkmcnt(0)
	s_nop 0
	v_cndmask_b32_e32 v31, 0, v31, vcc
	v_add_u32_e32 v26, v26, v31
	ds_bpermute_b32 v31, v49, v26
	v_cmp_le_u32_e32 vcc, v50, v30
	s_waitcnt lgkmcnt(0)
	s_nop 0
	;; [unrolled: 6-line block ×5, first 2 shown]
	v_cndmask_b32_e32 v30, 0, v31, vcc
	v_add3_u32 v26, v30, v23, v26
.LBB1051_162:                           ;   in Loop: Header=BB1051_163 Depth=1
	s_and_b64 vcc, exec, s[30:31]
	s_cbranch_vccnz .LBB1051_169
.LBB1051_163:                           ; =>This Loop Header: Depth=1
                                        ;     Child Loop BB1051_166 Depth 2
	v_cmp_ne_u16_sdwa s[30:31], v27, v36 src0_sel:BYTE_0 src1_sel:DWORD
	v_mov_b32_e32 v23, v26
	s_cmp_lg_u64 s[30:31], exec
	s_mov_b64 s[30:31], -1
                                        ; implicit-def: $vgpr26
                                        ; implicit-def: $vgpr27
	s_cbranch_scc1 .LBB1051_162
; %bb.164:                              ;   in Loop: Header=BB1051_163 Depth=1
	v_lshl_add_u64 v[30:31], v[24:25], 3, s[22:23]
	global_load_dwordx2 v[26:27], v[30:31], off sc1
	s_waitcnt vmcnt(0)
	v_cmp_eq_u16_sdwa s[36:37], v27, v25 src0_sel:BYTE_0 src1_sel:DWORD
	s_and_saveexec_b64 s[30:31], s[36:37]
	s_cbranch_execz .LBB1051_161
; %bb.165:                              ;   in Loop: Header=BB1051_163 Depth=1
	s_mov_b64 s[36:37], 0
.LBB1051_166:                           ;   Parent Loop BB1051_163 Depth=1
                                        ; =>  This Inner Loop Header: Depth=2
	global_load_dwordx2 v[26:27], v[30:31], off sc1
	s_waitcnt vmcnt(0)
	v_cmp_ne_u16_sdwa s[38:39], v27, v25 src0_sel:BYTE_0 src1_sel:DWORD
	s_or_b64 s[36:37], s[38:39], s[36:37]
	s_andn2_b64 exec, exec, s[36:37]
	s_cbranch_execnz .LBB1051_166
; %bb.167:                              ;   in Loop: Header=BB1051_163 Depth=1
	s_or_b64 exec, exec, s[36:37]
	s_branch .LBB1051_161
.LBB1051_168:
                                        ; implicit-def: $vgpr26
                                        ; implicit-def: $vgpr28
                                        ; implicit-def: $vgpr30
                                        ; implicit-def: $vgpr32
                                        ; implicit-def: $vgpr34
                                        ; implicit-def: $vgpr36
                                        ; implicit-def: $vgpr38
                                        ; implicit-def: $vgpr24
                                        ; implicit-def: $vgpr22
	s_load_dwordx2 s[2:3], s[0:1], 0x28
	s_cbranch_execnz .LBB1051_174
	s_branch .LBB1051_183
.LBB1051_169:
	s_and_saveexec_b64 s[30:31], s[16:17]
	s_cbranch_execz .LBB1051_171
; %bb.170:
	s_add_i32 s2, s2, 64
	s_mov_b32 s3, 0
	s_lshl_b64 s[2:3], s[2:3], 3
	s_add_u32 s2, s22, s2
	v_add_u32_e32 v24, v23, v22
	v_mov_b32_e32 v25, 2
	s_addc_u32 s3, s23, s3
	v_mov_b32_e32 v26, 0
	global_store_dwordx2 v26, v[24:25], s[2:3] sc1
	ds_write_b64 v26, v[22:23] offset:28672
.LBB1051_171:
	s_or_b64 exec, exec, s[30:31]
	v_cmp_eq_u32_e32 vcc, 0, v0
	s_and_b64 exec, exec, vcc
; %bb.172:
	v_mov_b32_e32 v22, 0
	ds_write_b32 v22, v23 offset:28
.LBB1051_173:
	s_or_b64 exec, exec, s[20:21]
	v_mov_b32_e32 v22, 0
	s_waitcnt lgkmcnt(0)
	s_barrier
	ds_read_b32 v23, v22 offset:28
	v_cndmask_b32_e64 v24, v34, v32, s[16:17]
	v_cmp_ne_u32_e32 vcc, 0, v0
	s_waitcnt lgkmcnt(0)
	s_barrier
	v_cndmask_b32_e32 v24, 0, v24, vcc
	v_add_u32_e32 v38, v23, v24
	v_add_u32_e32 v36, v38, v1
	ds_read_b64 v[22:23], v22 offset:28672
	v_add_u32_e32 v34, v36, v33
	v_add_u32_e32 v32, v34, v35
	;; [unrolled: 1-line block ×5, first 2 shown]
	s_waitcnt lgkmcnt(0)
	v_mov_b32_e32 v24, v23
	s_load_dwordx2 s[2:3], s[0:1], 0x28
	s_branch .LBB1051_183
.LBB1051_174:
	v_mov_b32_dpp v22, v45 row_shr:1 row_mask:0xf bank_mask:0xf
	v_cndmask_b32_e64 v22, v22, 0, s[14:15]
	v_add_u32_e32 v22, v22, v45
	s_nop 1
	v_mov_b32_dpp v23, v22 row_shr:2 row_mask:0xf bank_mask:0xf
	v_cndmask_b32_e64 v23, 0, v23, s[12:13]
	v_add_u32_e32 v22, v22, v23
	s_nop 1
	;; [unrolled: 4-line block ×4, first 2 shown]
	v_mov_b32_dpp v23, v22 row_bcast:15 row_mask:0xf bank_mask:0xf
	v_cndmask_b32_e64 v23, v23, 0, s[6:7]
	v_add_u32_e32 v22, v22, v23
	s_nop 1
	v_mov_b32_dpp v23, v22 row_bcast:31 row_mask:0xf bank_mask:0xf
	v_cndmask_b32_e64 v23, 0, v23, s[18:19]
	v_add_u32_e32 v22, v22, v23
	s_and_saveexec_b64 s[0:1], s[4:5]
; %bb.175:
	v_lshlrev_b32_e32 v23, 2, v44
	ds_write_b32 v23, v22
; %bb.176:
	s_or_b64 exec, exec, s[0:1]
	v_cmp_gt_u32_e32 vcc, 8, v0
	s_waitcnt lgkmcnt(0)
	s_barrier
	s_and_saveexec_b64 s[0:1], vcc
	s_cbranch_execz .LBB1051_178
; %bb.177:
	v_lshlrev_b32_e32 v23, 2, v0
	ds_read_b32 v24, v23
	v_and_b32_e32 v25, 7, v43
	v_cmp_ne_u32_e32 vcc, 0, v25
	s_waitcnt lgkmcnt(0)
	v_mov_b32_dpp v26, v24 row_shr:1 row_mask:0xf bank_mask:0xf
	v_cndmask_b32_e32 v26, 0, v26, vcc
	v_add_u32_e32 v24, v26, v24
	v_cmp_lt_u32_e32 vcc, 1, v25
	s_nop 0
	v_mov_b32_dpp v26, v24 row_shr:2 row_mask:0xf bank_mask:0xf
	v_cndmask_b32_e32 v26, 0, v26, vcc
	v_add_u32_e32 v24, v24, v26
	v_cmp_lt_u32_e32 vcc, 3, v25
	s_nop 0
	v_mov_b32_dpp v26, v24 row_shr:4 row_mask:0xf bank_mask:0xf
	v_cndmask_b32_e32 v25, 0, v26, vcc
	v_add_u32_e32 v24, v24, v25
	ds_write_b32 v23, v24
.LBB1051_178:
	s_or_b64 exec, exec, s[0:1]
	v_cmp_lt_u32_e32 vcc, 63, v0
	v_mov_b32_e32 v23, 0
	v_mov_b32_e32 v24, 0
	s_waitcnt lgkmcnt(0)
	s_barrier
	s_and_saveexec_b64 s[0:1], vcc
; %bb.179:
	v_lshl_add_u32 v24, v44, 2, -4
	ds_read_b32 v24, v24
; %bb.180:
	s_or_b64 exec, exec, s[0:1]
	v_subrev_co_u32_e32 v25, vcc, 1, v43
	v_and_b32_e32 v26, 64, v43
	v_cmp_lt_i32_e64 s[0:1], v25, v26
	s_waitcnt lgkmcnt(0)
	v_add_u32_e32 v22, v24, v22
	v_cndmask_b32_e64 v25, v25, v43, s[0:1]
	v_lshlrev_b32_e32 v25, 2, v25
	ds_bpermute_b32 v25, v25, v22
	ds_read_b32 v22, v23 offset:28
	v_cmp_eq_u32_e64 s[0:1], 0, v0
	s_and_saveexec_b64 s[4:5], s[0:1]
	s_cbranch_execz .LBB1051_182
; %bb.181:
	v_mov_b32_e32 v26, 0
	v_mov_b32_e32 v23, 2
	s_waitcnt lgkmcnt(0)
	global_store_dwordx2 v26, v[22:23], s[22:23] offset:512 sc1
.LBB1051_182:
	s_or_b64 exec, exec, s[4:5]
	s_waitcnt lgkmcnt(1)
	v_cndmask_b32_e32 v23, v25, v24, vcc
	v_cndmask_b32_e64 v38, v23, 0, s[0:1]
	v_add_u32_e32 v36, v38, v1
	v_add_u32_e32 v34, v36, v33
	;; [unrolled: 1-line block ×6, first 2 shown]
	s_waitcnt lgkmcnt(0)
	s_barrier
	v_mov_b32_e32 v24, 0
.LBB1051_183:
	s_movk_i32 s0, 0x201
	v_cmp_gt_u32_e32 vcc, s0, v22
	v_and_b32_e32 v1, 1, v16
	s_mov_b64 s[4:5], -1
	v_cmp_eq_u32_e64 s[0:1], 1, v1
	s_cbranch_vccnz .LBB1051_187
; %bb.184:
	s_and_b64 vcc, exec, s[4:5]
	s_cbranch_vccnz .LBB1051_202
.LBB1051_185:
	v_cmp_eq_u32_e32 vcc, 0, v0
	s_and_b64 s[0:1], vcc, s[28:29]
	s_waitcnt lgkmcnt(0)
	s_and_saveexec_b64 s[2:3], s[0:1]
	s_cbranch_execnz .LBB1051_219
.LBB1051_186:
	s_endpgm
.LBB1051_187:
	v_add_u32_e32 v16, v24, v22
	v_cmp_lt_u32_e32 vcc, v38, v16
	s_or_b64 s[4:5], s[34:35], vcc
	s_and_b64 s[4:5], s[4:5], s[0:1]
	s_and_saveexec_b64 s[0:1], s[4:5]
	s_cbranch_execz .LBB1051_189
; %bb.188:
	s_lshl_b64 s[4:5], s[26:27], 3
	s_waitcnt lgkmcnt(0)
	s_add_u32 s4, s2, s4
	s_addc_u32 s5, s3, s5
	v_mov_b32_e32 v39, 0
	v_lshl_add_u64 v[42:43], v[38:39], 3, s[4:5]
	global_store_dwordx2 v[42:43], v[10:11], off
.LBB1051_189:
	s_or_b64 exec, exec, s[0:1]
	v_cmp_lt_u32_e32 vcc, v36, v16
	v_and_b32_e32 v23, 1, v41
	s_or_b64 s[0:1], s[34:35], vcc
	v_cmp_eq_u32_e32 vcc, 1, v23
	s_and_b64 s[4:5], s[0:1], vcc
	s_and_saveexec_b64 s[0:1], s[4:5]
	s_cbranch_execz .LBB1051_191
; %bb.190:
	s_lshl_b64 s[4:5], s[26:27], 3
	s_waitcnt lgkmcnt(0)
	s_add_u32 s4, s2, s4
	s_addc_u32 s5, s3, s5
	v_mov_b32_e32 v37, 0
	v_lshl_add_u64 v[42:43], v[36:37], 3, s[4:5]
	global_store_dwordx2 v[42:43], v[12:13], off
.LBB1051_191:
	s_or_b64 exec, exec, s[0:1]
	v_cmp_lt_u32_e32 vcc, v34, v16
	v_and_b32_e32 v23, 1, v40
	s_or_b64 s[0:1], s[34:35], vcc
	v_cmp_eq_u32_e32 vcc, 1, v23
	s_and_b64 s[4:5], s[0:1], vcc
	;; [unrolled: 17-line block ×6, first 2 shown]
	s_and_saveexec_b64 s[0:1], s[4:5]
	s_cbranch_execz .LBB1051_201
; %bb.200:
	s_lshl_b64 s[4:5], s[26:27], 3
	s_waitcnt lgkmcnt(0)
	s_add_u32 s4, s2, s4
	s_addc_u32 s5, s3, s5
	v_mov_b32_e32 v27, 0
	v_lshl_add_u64 v[42:43], v[26:27], 3, s[4:5]
	global_store_dwordx2 v[42:43], v[14:15], off
.LBB1051_201:
	s_or_b64 exec, exec, s[0:1]
	s_branch .LBB1051_185
.LBB1051_202:
	v_cmp_eq_u32_e32 vcc, 1, v1
	s_and_saveexec_b64 s[0:1], vcc
; %bb.203:
	v_sub_u32_e32 v1, v38, v24
	v_lshlrev_b32_e32 v1, 3, v1
	ds_write_b64 v1, v[10:11]
; %bb.204:
	s_or_b64 exec, exec, s[0:1]
	v_and_b32_e32 v1, 1, v41
	v_cmp_eq_u32_e32 vcc, 1, v1
	s_and_saveexec_b64 s[0:1], vcc
; %bb.205:
	v_sub_u32_e32 v1, v36, v24
	v_lshlrev_b32_e32 v1, 3, v1
	ds_write_b64 v1, v[12:13]
; %bb.206:
	s_or_b64 exec, exec, s[0:1]
	v_and_b32_e32 v1, 1, v40
	;; [unrolled: 9-line block ×6, first 2 shown]
	v_cmp_eq_u32_e32 vcc, 1, v1
	s_and_saveexec_b64 s[0:1], vcc
; %bb.215:
	v_sub_u32_e32 v1, v26, v24
	v_lshlrev_b32_e32 v1, 3, v1
	ds_write_b64 v1, v[14:15]
; %bb.216:
	s_or_b64 exec, exec, s[0:1]
	v_mov_b32_e32 v25, 0
	s_lshl_b64 s[0:1], s[26:27], 3
	v_lshlrev_b64 v[2:3], 3, v[24:25]
	v_lshl_add_u64 v[2:3], s[0:1], 0, v[2:3]
	v_mov_b32_e32 v19, v25
	s_waitcnt lgkmcnt(0)
	v_lshl_add_u64 v[2:3], s[2:3], 0, v[2:3]
	v_lshl_add_u64 v[2:3], v[2:3], 0, v[18:19]
	s_mov_b64 s[0:1], 0
	s_mov_b64 s[2:3], 0x1000
	v_mov_b32_e32 v1, v0
	s_barrier
.LBB1051_217:                           ; =>This Inner Loop Header: Depth=1
	ds_read_b64 v[4:5], v18
	v_add_u32_e32 v1, 0x200, v1
	v_cmp_ge_u32_e32 vcc, v1, v22
	v_add_u32_e32 v18, 0x1000, v18
	s_or_b64 s[0:1], vcc, s[0:1]
	s_waitcnt lgkmcnt(0)
	global_store_dwordx2 v[2:3], v[4:5], off
	v_lshl_add_u64 v[2:3], v[2:3], 0, s[2:3]
	s_andn2_b64 exec, exec, s[0:1]
	s_cbranch_execnz .LBB1051_217
; %bb.218:
	s_or_b64 exec, exec, s[0:1]
	v_cmp_eq_u32_e32 vcc, 0, v0
	s_and_b64 s[0:1], vcc, s[28:29]
	s_and_saveexec_b64 s[2:3], s[0:1]
	s_cbranch_execz .LBB1051_186
.LBB1051_219:
	v_mov_b32_e32 v23, 0
	v_lshl_add_u64 v[0:1], s[26:27], 0, v[22:23]
	v_mov_b32_e32 v25, v23
	v_lshl_add_u64 v[0:1], v[0:1], 0, v[24:25]
	global_store_dwordx2 v23, v[0:1], s[24:25]
	s_endpgm
	.section	.rodata,"a",@progbits
	.p2align	6, 0x0
	.amdhsa_kernel _ZN7rocprim17ROCPRIM_400000_NS6detail17trampoline_kernelINS0_14default_configENS1_25partition_config_selectorILNS1_17partition_subalgoE8ElNS0_10empty_typeEbEEZZNS1_14partition_implILS5_8ELb0ES3_jPlPS6_PKS6_NS0_5tupleIJS9_S6_EEENSD_IJSA_SA_EEENS0_18inequality_wrapperIZN2at6native12_GLOBAL__N_124unique_dim_cuda_templateIbEESt5tupleIJNSH_6TensorESM_SM_EERKSM_lbbbEUlllE0_EEPmJS6_EEE10hipError_tPvRmT3_T4_T5_T6_T7_T9_mT8_P12ihipStream_tbDpT10_ENKUlT_T0_E_clISt17integral_constantIbLb0EES1C_EEDaS17_S18_EUlS17_E_NS1_11comp_targetILNS1_3genE0ELNS1_11target_archE4294967295ELNS1_3gpuE0ELNS1_3repE0EEENS1_30default_config_static_selectorELNS0_4arch9wavefront6targetE1EEEvT1_
		.amdhsa_group_segment_fixed_size 28680
		.amdhsa_private_segment_fixed_size 0
		.amdhsa_kernarg_size 120
		.amdhsa_user_sgpr_count 2
		.amdhsa_user_sgpr_dispatch_ptr 0
		.amdhsa_user_sgpr_queue_ptr 0
		.amdhsa_user_sgpr_kernarg_segment_ptr 1
		.amdhsa_user_sgpr_dispatch_id 0
		.amdhsa_user_sgpr_kernarg_preload_length 0
		.amdhsa_user_sgpr_kernarg_preload_offset 0
		.amdhsa_user_sgpr_private_segment_size 0
		.amdhsa_uses_dynamic_stack 0
		.amdhsa_enable_private_segment 0
		.amdhsa_system_sgpr_workgroup_id_x 1
		.amdhsa_system_sgpr_workgroup_id_y 0
		.amdhsa_system_sgpr_workgroup_id_z 0
		.amdhsa_system_sgpr_workgroup_info 0
		.amdhsa_system_vgpr_workitem_id 0
		.amdhsa_next_free_vgpr 58
		.amdhsa_next_free_sgpr 50
		.amdhsa_accum_offset 60
		.amdhsa_reserve_vcc 1
		.amdhsa_float_round_mode_32 0
		.amdhsa_float_round_mode_16_64 0
		.amdhsa_float_denorm_mode_32 3
		.amdhsa_float_denorm_mode_16_64 3
		.amdhsa_dx10_clamp 1
		.amdhsa_ieee_mode 1
		.amdhsa_fp16_overflow 0
		.amdhsa_tg_split 0
		.amdhsa_exception_fp_ieee_invalid_op 0
		.amdhsa_exception_fp_denorm_src 0
		.amdhsa_exception_fp_ieee_div_zero 0
		.amdhsa_exception_fp_ieee_overflow 0
		.amdhsa_exception_fp_ieee_underflow 0
		.amdhsa_exception_fp_ieee_inexact 0
		.amdhsa_exception_int_div_zero 0
	.end_amdhsa_kernel
	.section	.text._ZN7rocprim17ROCPRIM_400000_NS6detail17trampoline_kernelINS0_14default_configENS1_25partition_config_selectorILNS1_17partition_subalgoE8ElNS0_10empty_typeEbEEZZNS1_14partition_implILS5_8ELb0ES3_jPlPS6_PKS6_NS0_5tupleIJS9_S6_EEENSD_IJSA_SA_EEENS0_18inequality_wrapperIZN2at6native12_GLOBAL__N_124unique_dim_cuda_templateIbEESt5tupleIJNSH_6TensorESM_SM_EERKSM_lbbbEUlllE0_EEPmJS6_EEE10hipError_tPvRmT3_T4_T5_T6_T7_T9_mT8_P12ihipStream_tbDpT10_ENKUlT_T0_E_clISt17integral_constantIbLb0EES1C_EEDaS17_S18_EUlS17_E_NS1_11comp_targetILNS1_3genE0ELNS1_11target_archE4294967295ELNS1_3gpuE0ELNS1_3repE0EEENS1_30default_config_static_selectorELNS0_4arch9wavefront6targetE1EEEvT1_,"axG",@progbits,_ZN7rocprim17ROCPRIM_400000_NS6detail17trampoline_kernelINS0_14default_configENS1_25partition_config_selectorILNS1_17partition_subalgoE8ElNS0_10empty_typeEbEEZZNS1_14partition_implILS5_8ELb0ES3_jPlPS6_PKS6_NS0_5tupleIJS9_S6_EEENSD_IJSA_SA_EEENS0_18inequality_wrapperIZN2at6native12_GLOBAL__N_124unique_dim_cuda_templateIbEESt5tupleIJNSH_6TensorESM_SM_EERKSM_lbbbEUlllE0_EEPmJS6_EEE10hipError_tPvRmT3_T4_T5_T6_T7_T9_mT8_P12ihipStream_tbDpT10_ENKUlT_T0_E_clISt17integral_constantIbLb0EES1C_EEDaS17_S18_EUlS17_E_NS1_11comp_targetILNS1_3genE0ELNS1_11target_archE4294967295ELNS1_3gpuE0ELNS1_3repE0EEENS1_30default_config_static_selectorELNS0_4arch9wavefront6targetE1EEEvT1_,comdat
.Lfunc_end1051:
	.size	_ZN7rocprim17ROCPRIM_400000_NS6detail17trampoline_kernelINS0_14default_configENS1_25partition_config_selectorILNS1_17partition_subalgoE8ElNS0_10empty_typeEbEEZZNS1_14partition_implILS5_8ELb0ES3_jPlPS6_PKS6_NS0_5tupleIJS9_S6_EEENSD_IJSA_SA_EEENS0_18inequality_wrapperIZN2at6native12_GLOBAL__N_124unique_dim_cuda_templateIbEESt5tupleIJNSH_6TensorESM_SM_EERKSM_lbbbEUlllE0_EEPmJS6_EEE10hipError_tPvRmT3_T4_T5_T6_T7_T9_mT8_P12ihipStream_tbDpT10_ENKUlT_T0_E_clISt17integral_constantIbLb0EES1C_EEDaS17_S18_EUlS17_E_NS1_11comp_targetILNS1_3genE0ELNS1_11target_archE4294967295ELNS1_3gpuE0ELNS1_3repE0EEENS1_30default_config_static_selectorELNS0_4arch9wavefront6targetE1EEEvT1_, .Lfunc_end1051-_ZN7rocprim17ROCPRIM_400000_NS6detail17trampoline_kernelINS0_14default_configENS1_25partition_config_selectorILNS1_17partition_subalgoE8ElNS0_10empty_typeEbEEZZNS1_14partition_implILS5_8ELb0ES3_jPlPS6_PKS6_NS0_5tupleIJS9_S6_EEENSD_IJSA_SA_EEENS0_18inequality_wrapperIZN2at6native12_GLOBAL__N_124unique_dim_cuda_templateIbEESt5tupleIJNSH_6TensorESM_SM_EERKSM_lbbbEUlllE0_EEPmJS6_EEE10hipError_tPvRmT3_T4_T5_T6_T7_T9_mT8_P12ihipStream_tbDpT10_ENKUlT_T0_E_clISt17integral_constantIbLb0EES1C_EEDaS17_S18_EUlS17_E_NS1_11comp_targetILNS1_3genE0ELNS1_11target_archE4294967295ELNS1_3gpuE0ELNS1_3repE0EEENS1_30default_config_static_selectorELNS0_4arch9wavefront6targetE1EEEvT1_
                                        ; -- End function
	.set _ZN7rocprim17ROCPRIM_400000_NS6detail17trampoline_kernelINS0_14default_configENS1_25partition_config_selectorILNS1_17partition_subalgoE8ElNS0_10empty_typeEbEEZZNS1_14partition_implILS5_8ELb0ES3_jPlPS6_PKS6_NS0_5tupleIJS9_S6_EEENSD_IJSA_SA_EEENS0_18inequality_wrapperIZN2at6native12_GLOBAL__N_124unique_dim_cuda_templateIbEESt5tupleIJNSH_6TensorESM_SM_EERKSM_lbbbEUlllE0_EEPmJS6_EEE10hipError_tPvRmT3_T4_T5_T6_T7_T9_mT8_P12ihipStream_tbDpT10_ENKUlT_T0_E_clISt17integral_constantIbLb0EES1C_EEDaS17_S18_EUlS17_E_NS1_11comp_targetILNS1_3genE0ELNS1_11target_archE4294967295ELNS1_3gpuE0ELNS1_3repE0EEENS1_30default_config_static_selectorELNS0_4arch9wavefront6targetE1EEEvT1_.num_vgpr, 58
	.set _ZN7rocprim17ROCPRIM_400000_NS6detail17trampoline_kernelINS0_14default_configENS1_25partition_config_selectorILNS1_17partition_subalgoE8ElNS0_10empty_typeEbEEZZNS1_14partition_implILS5_8ELb0ES3_jPlPS6_PKS6_NS0_5tupleIJS9_S6_EEENSD_IJSA_SA_EEENS0_18inequality_wrapperIZN2at6native12_GLOBAL__N_124unique_dim_cuda_templateIbEESt5tupleIJNSH_6TensorESM_SM_EERKSM_lbbbEUlllE0_EEPmJS6_EEE10hipError_tPvRmT3_T4_T5_T6_T7_T9_mT8_P12ihipStream_tbDpT10_ENKUlT_T0_E_clISt17integral_constantIbLb0EES1C_EEDaS17_S18_EUlS17_E_NS1_11comp_targetILNS1_3genE0ELNS1_11target_archE4294967295ELNS1_3gpuE0ELNS1_3repE0EEENS1_30default_config_static_selectorELNS0_4arch9wavefront6targetE1EEEvT1_.num_agpr, 0
	.set _ZN7rocprim17ROCPRIM_400000_NS6detail17trampoline_kernelINS0_14default_configENS1_25partition_config_selectorILNS1_17partition_subalgoE8ElNS0_10empty_typeEbEEZZNS1_14partition_implILS5_8ELb0ES3_jPlPS6_PKS6_NS0_5tupleIJS9_S6_EEENSD_IJSA_SA_EEENS0_18inequality_wrapperIZN2at6native12_GLOBAL__N_124unique_dim_cuda_templateIbEESt5tupleIJNSH_6TensorESM_SM_EERKSM_lbbbEUlllE0_EEPmJS6_EEE10hipError_tPvRmT3_T4_T5_T6_T7_T9_mT8_P12ihipStream_tbDpT10_ENKUlT_T0_E_clISt17integral_constantIbLb0EES1C_EEDaS17_S18_EUlS17_E_NS1_11comp_targetILNS1_3genE0ELNS1_11target_archE4294967295ELNS1_3gpuE0ELNS1_3repE0EEENS1_30default_config_static_selectorELNS0_4arch9wavefront6targetE1EEEvT1_.numbered_sgpr, 50
	.set _ZN7rocprim17ROCPRIM_400000_NS6detail17trampoline_kernelINS0_14default_configENS1_25partition_config_selectorILNS1_17partition_subalgoE8ElNS0_10empty_typeEbEEZZNS1_14partition_implILS5_8ELb0ES3_jPlPS6_PKS6_NS0_5tupleIJS9_S6_EEENSD_IJSA_SA_EEENS0_18inequality_wrapperIZN2at6native12_GLOBAL__N_124unique_dim_cuda_templateIbEESt5tupleIJNSH_6TensorESM_SM_EERKSM_lbbbEUlllE0_EEPmJS6_EEE10hipError_tPvRmT3_T4_T5_T6_T7_T9_mT8_P12ihipStream_tbDpT10_ENKUlT_T0_E_clISt17integral_constantIbLb0EES1C_EEDaS17_S18_EUlS17_E_NS1_11comp_targetILNS1_3genE0ELNS1_11target_archE4294967295ELNS1_3gpuE0ELNS1_3repE0EEENS1_30default_config_static_selectorELNS0_4arch9wavefront6targetE1EEEvT1_.num_named_barrier, 0
	.set _ZN7rocprim17ROCPRIM_400000_NS6detail17trampoline_kernelINS0_14default_configENS1_25partition_config_selectorILNS1_17partition_subalgoE8ElNS0_10empty_typeEbEEZZNS1_14partition_implILS5_8ELb0ES3_jPlPS6_PKS6_NS0_5tupleIJS9_S6_EEENSD_IJSA_SA_EEENS0_18inequality_wrapperIZN2at6native12_GLOBAL__N_124unique_dim_cuda_templateIbEESt5tupleIJNSH_6TensorESM_SM_EERKSM_lbbbEUlllE0_EEPmJS6_EEE10hipError_tPvRmT3_T4_T5_T6_T7_T9_mT8_P12ihipStream_tbDpT10_ENKUlT_T0_E_clISt17integral_constantIbLb0EES1C_EEDaS17_S18_EUlS17_E_NS1_11comp_targetILNS1_3genE0ELNS1_11target_archE4294967295ELNS1_3gpuE0ELNS1_3repE0EEENS1_30default_config_static_selectorELNS0_4arch9wavefront6targetE1EEEvT1_.private_seg_size, 0
	.set _ZN7rocprim17ROCPRIM_400000_NS6detail17trampoline_kernelINS0_14default_configENS1_25partition_config_selectorILNS1_17partition_subalgoE8ElNS0_10empty_typeEbEEZZNS1_14partition_implILS5_8ELb0ES3_jPlPS6_PKS6_NS0_5tupleIJS9_S6_EEENSD_IJSA_SA_EEENS0_18inequality_wrapperIZN2at6native12_GLOBAL__N_124unique_dim_cuda_templateIbEESt5tupleIJNSH_6TensorESM_SM_EERKSM_lbbbEUlllE0_EEPmJS6_EEE10hipError_tPvRmT3_T4_T5_T6_T7_T9_mT8_P12ihipStream_tbDpT10_ENKUlT_T0_E_clISt17integral_constantIbLb0EES1C_EEDaS17_S18_EUlS17_E_NS1_11comp_targetILNS1_3genE0ELNS1_11target_archE4294967295ELNS1_3gpuE0ELNS1_3repE0EEENS1_30default_config_static_selectorELNS0_4arch9wavefront6targetE1EEEvT1_.uses_vcc, 1
	.set _ZN7rocprim17ROCPRIM_400000_NS6detail17trampoline_kernelINS0_14default_configENS1_25partition_config_selectorILNS1_17partition_subalgoE8ElNS0_10empty_typeEbEEZZNS1_14partition_implILS5_8ELb0ES3_jPlPS6_PKS6_NS0_5tupleIJS9_S6_EEENSD_IJSA_SA_EEENS0_18inequality_wrapperIZN2at6native12_GLOBAL__N_124unique_dim_cuda_templateIbEESt5tupleIJNSH_6TensorESM_SM_EERKSM_lbbbEUlllE0_EEPmJS6_EEE10hipError_tPvRmT3_T4_T5_T6_T7_T9_mT8_P12ihipStream_tbDpT10_ENKUlT_T0_E_clISt17integral_constantIbLb0EES1C_EEDaS17_S18_EUlS17_E_NS1_11comp_targetILNS1_3genE0ELNS1_11target_archE4294967295ELNS1_3gpuE0ELNS1_3repE0EEENS1_30default_config_static_selectorELNS0_4arch9wavefront6targetE1EEEvT1_.uses_flat_scratch, 0
	.set _ZN7rocprim17ROCPRIM_400000_NS6detail17trampoline_kernelINS0_14default_configENS1_25partition_config_selectorILNS1_17partition_subalgoE8ElNS0_10empty_typeEbEEZZNS1_14partition_implILS5_8ELb0ES3_jPlPS6_PKS6_NS0_5tupleIJS9_S6_EEENSD_IJSA_SA_EEENS0_18inequality_wrapperIZN2at6native12_GLOBAL__N_124unique_dim_cuda_templateIbEESt5tupleIJNSH_6TensorESM_SM_EERKSM_lbbbEUlllE0_EEPmJS6_EEE10hipError_tPvRmT3_T4_T5_T6_T7_T9_mT8_P12ihipStream_tbDpT10_ENKUlT_T0_E_clISt17integral_constantIbLb0EES1C_EEDaS17_S18_EUlS17_E_NS1_11comp_targetILNS1_3genE0ELNS1_11target_archE4294967295ELNS1_3gpuE0ELNS1_3repE0EEENS1_30default_config_static_selectorELNS0_4arch9wavefront6targetE1EEEvT1_.has_dyn_sized_stack, 0
	.set _ZN7rocprim17ROCPRIM_400000_NS6detail17trampoline_kernelINS0_14default_configENS1_25partition_config_selectorILNS1_17partition_subalgoE8ElNS0_10empty_typeEbEEZZNS1_14partition_implILS5_8ELb0ES3_jPlPS6_PKS6_NS0_5tupleIJS9_S6_EEENSD_IJSA_SA_EEENS0_18inequality_wrapperIZN2at6native12_GLOBAL__N_124unique_dim_cuda_templateIbEESt5tupleIJNSH_6TensorESM_SM_EERKSM_lbbbEUlllE0_EEPmJS6_EEE10hipError_tPvRmT3_T4_T5_T6_T7_T9_mT8_P12ihipStream_tbDpT10_ENKUlT_T0_E_clISt17integral_constantIbLb0EES1C_EEDaS17_S18_EUlS17_E_NS1_11comp_targetILNS1_3genE0ELNS1_11target_archE4294967295ELNS1_3gpuE0ELNS1_3repE0EEENS1_30default_config_static_selectorELNS0_4arch9wavefront6targetE1EEEvT1_.has_recursion, 0
	.set _ZN7rocprim17ROCPRIM_400000_NS6detail17trampoline_kernelINS0_14default_configENS1_25partition_config_selectorILNS1_17partition_subalgoE8ElNS0_10empty_typeEbEEZZNS1_14partition_implILS5_8ELb0ES3_jPlPS6_PKS6_NS0_5tupleIJS9_S6_EEENSD_IJSA_SA_EEENS0_18inequality_wrapperIZN2at6native12_GLOBAL__N_124unique_dim_cuda_templateIbEESt5tupleIJNSH_6TensorESM_SM_EERKSM_lbbbEUlllE0_EEPmJS6_EEE10hipError_tPvRmT3_T4_T5_T6_T7_T9_mT8_P12ihipStream_tbDpT10_ENKUlT_T0_E_clISt17integral_constantIbLb0EES1C_EEDaS17_S18_EUlS17_E_NS1_11comp_targetILNS1_3genE0ELNS1_11target_archE4294967295ELNS1_3gpuE0ELNS1_3repE0EEENS1_30default_config_static_selectorELNS0_4arch9wavefront6targetE1EEEvT1_.has_indirect_call, 0
	.section	.AMDGPU.csdata,"",@progbits
; Kernel info:
; codeLenInByte = 10472
; TotalNumSgprs: 56
; NumVgprs: 58
; NumAgprs: 0
; TotalNumVgprs: 58
; ScratchSize: 0
; MemoryBound: 0
; FloatMode: 240
; IeeeMode: 1
; LDSByteSize: 28680 bytes/workgroup (compile time only)
; SGPRBlocks: 6
; VGPRBlocks: 7
; NumSGPRsForWavesPerEU: 56
; NumVGPRsForWavesPerEU: 58
; AccumOffset: 60
; Occupancy: 8
; WaveLimiterHint : 1
; COMPUTE_PGM_RSRC2:SCRATCH_EN: 0
; COMPUTE_PGM_RSRC2:USER_SGPR: 2
; COMPUTE_PGM_RSRC2:TRAP_HANDLER: 0
; COMPUTE_PGM_RSRC2:TGID_X_EN: 1
; COMPUTE_PGM_RSRC2:TGID_Y_EN: 0
; COMPUTE_PGM_RSRC2:TGID_Z_EN: 0
; COMPUTE_PGM_RSRC2:TIDIG_COMP_CNT: 0
; COMPUTE_PGM_RSRC3_GFX90A:ACCUM_OFFSET: 14
; COMPUTE_PGM_RSRC3_GFX90A:TG_SPLIT: 0
	.section	.text._ZN7rocprim17ROCPRIM_400000_NS6detail17trampoline_kernelINS0_14default_configENS1_25partition_config_selectorILNS1_17partition_subalgoE8ElNS0_10empty_typeEbEEZZNS1_14partition_implILS5_8ELb0ES3_jPlPS6_PKS6_NS0_5tupleIJS9_S6_EEENSD_IJSA_SA_EEENS0_18inequality_wrapperIZN2at6native12_GLOBAL__N_124unique_dim_cuda_templateIbEESt5tupleIJNSH_6TensorESM_SM_EERKSM_lbbbEUlllE0_EEPmJS6_EEE10hipError_tPvRmT3_T4_T5_T6_T7_T9_mT8_P12ihipStream_tbDpT10_ENKUlT_T0_E_clISt17integral_constantIbLb0EES1C_EEDaS17_S18_EUlS17_E_NS1_11comp_targetILNS1_3genE5ELNS1_11target_archE942ELNS1_3gpuE9ELNS1_3repE0EEENS1_30default_config_static_selectorELNS0_4arch9wavefront6targetE1EEEvT1_,"axG",@progbits,_ZN7rocprim17ROCPRIM_400000_NS6detail17trampoline_kernelINS0_14default_configENS1_25partition_config_selectorILNS1_17partition_subalgoE8ElNS0_10empty_typeEbEEZZNS1_14partition_implILS5_8ELb0ES3_jPlPS6_PKS6_NS0_5tupleIJS9_S6_EEENSD_IJSA_SA_EEENS0_18inequality_wrapperIZN2at6native12_GLOBAL__N_124unique_dim_cuda_templateIbEESt5tupleIJNSH_6TensorESM_SM_EERKSM_lbbbEUlllE0_EEPmJS6_EEE10hipError_tPvRmT3_T4_T5_T6_T7_T9_mT8_P12ihipStream_tbDpT10_ENKUlT_T0_E_clISt17integral_constantIbLb0EES1C_EEDaS17_S18_EUlS17_E_NS1_11comp_targetILNS1_3genE5ELNS1_11target_archE942ELNS1_3gpuE9ELNS1_3repE0EEENS1_30default_config_static_selectorELNS0_4arch9wavefront6targetE1EEEvT1_,comdat
	.globl	_ZN7rocprim17ROCPRIM_400000_NS6detail17trampoline_kernelINS0_14default_configENS1_25partition_config_selectorILNS1_17partition_subalgoE8ElNS0_10empty_typeEbEEZZNS1_14partition_implILS5_8ELb0ES3_jPlPS6_PKS6_NS0_5tupleIJS9_S6_EEENSD_IJSA_SA_EEENS0_18inequality_wrapperIZN2at6native12_GLOBAL__N_124unique_dim_cuda_templateIbEESt5tupleIJNSH_6TensorESM_SM_EERKSM_lbbbEUlllE0_EEPmJS6_EEE10hipError_tPvRmT3_T4_T5_T6_T7_T9_mT8_P12ihipStream_tbDpT10_ENKUlT_T0_E_clISt17integral_constantIbLb0EES1C_EEDaS17_S18_EUlS17_E_NS1_11comp_targetILNS1_3genE5ELNS1_11target_archE942ELNS1_3gpuE9ELNS1_3repE0EEENS1_30default_config_static_selectorELNS0_4arch9wavefront6targetE1EEEvT1_ ; -- Begin function _ZN7rocprim17ROCPRIM_400000_NS6detail17trampoline_kernelINS0_14default_configENS1_25partition_config_selectorILNS1_17partition_subalgoE8ElNS0_10empty_typeEbEEZZNS1_14partition_implILS5_8ELb0ES3_jPlPS6_PKS6_NS0_5tupleIJS9_S6_EEENSD_IJSA_SA_EEENS0_18inequality_wrapperIZN2at6native12_GLOBAL__N_124unique_dim_cuda_templateIbEESt5tupleIJNSH_6TensorESM_SM_EERKSM_lbbbEUlllE0_EEPmJS6_EEE10hipError_tPvRmT3_T4_T5_T6_T7_T9_mT8_P12ihipStream_tbDpT10_ENKUlT_T0_E_clISt17integral_constantIbLb0EES1C_EEDaS17_S18_EUlS17_E_NS1_11comp_targetILNS1_3genE5ELNS1_11target_archE942ELNS1_3gpuE9ELNS1_3repE0EEENS1_30default_config_static_selectorELNS0_4arch9wavefront6targetE1EEEvT1_
	.p2align	8
	.type	_ZN7rocprim17ROCPRIM_400000_NS6detail17trampoline_kernelINS0_14default_configENS1_25partition_config_selectorILNS1_17partition_subalgoE8ElNS0_10empty_typeEbEEZZNS1_14partition_implILS5_8ELb0ES3_jPlPS6_PKS6_NS0_5tupleIJS9_S6_EEENSD_IJSA_SA_EEENS0_18inequality_wrapperIZN2at6native12_GLOBAL__N_124unique_dim_cuda_templateIbEESt5tupleIJNSH_6TensorESM_SM_EERKSM_lbbbEUlllE0_EEPmJS6_EEE10hipError_tPvRmT3_T4_T5_T6_T7_T9_mT8_P12ihipStream_tbDpT10_ENKUlT_T0_E_clISt17integral_constantIbLb0EES1C_EEDaS17_S18_EUlS17_E_NS1_11comp_targetILNS1_3genE5ELNS1_11target_archE942ELNS1_3gpuE9ELNS1_3repE0EEENS1_30default_config_static_selectorELNS0_4arch9wavefront6targetE1EEEvT1_,@function
_ZN7rocprim17ROCPRIM_400000_NS6detail17trampoline_kernelINS0_14default_configENS1_25partition_config_selectorILNS1_17partition_subalgoE8ElNS0_10empty_typeEbEEZZNS1_14partition_implILS5_8ELb0ES3_jPlPS6_PKS6_NS0_5tupleIJS9_S6_EEENSD_IJSA_SA_EEENS0_18inequality_wrapperIZN2at6native12_GLOBAL__N_124unique_dim_cuda_templateIbEESt5tupleIJNSH_6TensorESM_SM_EERKSM_lbbbEUlllE0_EEPmJS6_EEE10hipError_tPvRmT3_T4_T5_T6_T7_T9_mT8_P12ihipStream_tbDpT10_ENKUlT_T0_E_clISt17integral_constantIbLb0EES1C_EEDaS17_S18_EUlS17_E_NS1_11comp_targetILNS1_3genE5ELNS1_11target_archE942ELNS1_3gpuE9ELNS1_3repE0EEENS1_30default_config_static_selectorELNS0_4arch9wavefront6targetE1EEEvT1_: ; @_ZN7rocprim17ROCPRIM_400000_NS6detail17trampoline_kernelINS0_14default_configENS1_25partition_config_selectorILNS1_17partition_subalgoE8ElNS0_10empty_typeEbEEZZNS1_14partition_implILS5_8ELb0ES3_jPlPS6_PKS6_NS0_5tupleIJS9_S6_EEENSD_IJSA_SA_EEENS0_18inequality_wrapperIZN2at6native12_GLOBAL__N_124unique_dim_cuda_templateIbEESt5tupleIJNSH_6TensorESM_SM_EERKSM_lbbbEUlllE0_EEPmJS6_EEE10hipError_tPvRmT3_T4_T5_T6_T7_T9_mT8_P12ihipStream_tbDpT10_ENKUlT_T0_E_clISt17integral_constantIbLb0EES1C_EEDaS17_S18_EUlS17_E_NS1_11comp_targetILNS1_3genE5ELNS1_11target_archE942ELNS1_3gpuE9ELNS1_3repE0EEENS1_30default_config_static_selectorELNS0_4arch9wavefront6targetE1EEEvT1_
; %bb.0:
	.section	.rodata,"a",@progbits
	.p2align	6, 0x0
	.amdhsa_kernel _ZN7rocprim17ROCPRIM_400000_NS6detail17trampoline_kernelINS0_14default_configENS1_25partition_config_selectorILNS1_17partition_subalgoE8ElNS0_10empty_typeEbEEZZNS1_14partition_implILS5_8ELb0ES3_jPlPS6_PKS6_NS0_5tupleIJS9_S6_EEENSD_IJSA_SA_EEENS0_18inequality_wrapperIZN2at6native12_GLOBAL__N_124unique_dim_cuda_templateIbEESt5tupleIJNSH_6TensorESM_SM_EERKSM_lbbbEUlllE0_EEPmJS6_EEE10hipError_tPvRmT3_T4_T5_T6_T7_T9_mT8_P12ihipStream_tbDpT10_ENKUlT_T0_E_clISt17integral_constantIbLb0EES1C_EEDaS17_S18_EUlS17_E_NS1_11comp_targetILNS1_3genE5ELNS1_11target_archE942ELNS1_3gpuE9ELNS1_3repE0EEENS1_30default_config_static_selectorELNS0_4arch9wavefront6targetE1EEEvT1_
		.amdhsa_group_segment_fixed_size 0
		.amdhsa_private_segment_fixed_size 0
		.amdhsa_kernarg_size 120
		.amdhsa_user_sgpr_count 2
		.amdhsa_user_sgpr_dispatch_ptr 0
		.amdhsa_user_sgpr_queue_ptr 0
		.amdhsa_user_sgpr_kernarg_segment_ptr 1
		.amdhsa_user_sgpr_dispatch_id 0
		.amdhsa_user_sgpr_kernarg_preload_length 0
		.amdhsa_user_sgpr_kernarg_preload_offset 0
		.amdhsa_user_sgpr_private_segment_size 0
		.amdhsa_uses_dynamic_stack 0
		.amdhsa_enable_private_segment 0
		.amdhsa_system_sgpr_workgroup_id_x 1
		.amdhsa_system_sgpr_workgroup_id_y 0
		.amdhsa_system_sgpr_workgroup_id_z 0
		.amdhsa_system_sgpr_workgroup_info 0
		.amdhsa_system_vgpr_workitem_id 0
		.amdhsa_next_free_vgpr 1
		.amdhsa_next_free_sgpr 0
		.amdhsa_accum_offset 4
		.amdhsa_reserve_vcc 0
		.amdhsa_float_round_mode_32 0
		.amdhsa_float_round_mode_16_64 0
		.amdhsa_float_denorm_mode_32 3
		.amdhsa_float_denorm_mode_16_64 3
		.amdhsa_dx10_clamp 1
		.amdhsa_ieee_mode 1
		.amdhsa_fp16_overflow 0
		.amdhsa_tg_split 0
		.amdhsa_exception_fp_ieee_invalid_op 0
		.amdhsa_exception_fp_denorm_src 0
		.amdhsa_exception_fp_ieee_div_zero 0
		.amdhsa_exception_fp_ieee_overflow 0
		.amdhsa_exception_fp_ieee_underflow 0
		.amdhsa_exception_fp_ieee_inexact 0
		.amdhsa_exception_int_div_zero 0
	.end_amdhsa_kernel
	.section	.text._ZN7rocprim17ROCPRIM_400000_NS6detail17trampoline_kernelINS0_14default_configENS1_25partition_config_selectorILNS1_17partition_subalgoE8ElNS0_10empty_typeEbEEZZNS1_14partition_implILS5_8ELb0ES3_jPlPS6_PKS6_NS0_5tupleIJS9_S6_EEENSD_IJSA_SA_EEENS0_18inequality_wrapperIZN2at6native12_GLOBAL__N_124unique_dim_cuda_templateIbEESt5tupleIJNSH_6TensorESM_SM_EERKSM_lbbbEUlllE0_EEPmJS6_EEE10hipError_tPvRmT3_T4_T5_T6_T7_T9_mT8_P12ihipStream_tbDpT10_ENKUlT_T0_E_clISt17integral_constantIbLb0EES1C_EEDaS17_S18_EUlS17_E_NS1_11comp_targetILNS1_3genE5ELNS1_11target_archE942ELNS1_3gpuE9ELNS1_3repE0EEENS1_30default_config_static_selectorELNS0_4arch9wavefront6targetE1EEEvT1_,"axG",@progbits,_ZN7rocprim17ROCPRIM_400000_NS6detail17trampoline_kernelINS0_14default_configENS1_25partition_config_selectorILNS1_17partition_subalgoE8ElNS0_10empty_typeEbEEZZNS1_14partition_implILS5_8ELb0ES3_jPlPS6_PKS6_NS0_5tupleIJS9_S6_EEENSD_IJSA_SA_EEENS0_18inequality_wrapperIZN2at6native12_GLOBAL__N_124unique_dim_cuda_templateIbEESt5tupleIJNSH_6TensorESM_SM_EERKSM_lbbbEUlllE0_EEPmJS6_EEE10hipError_tPvRmT3_T4_T5_T6_T7_T9_mT8_P12ihipStream_tbDpT10_ENKUlT_T0_E_clISt17integral_constantIbLb0EES1C_EEDaS17_S18_EUlS17_E_NS1_11comp_targetILNS1_3genE5ELNS1_11target_archE942ELNS1_3gpuE9ELNS1_3repE0EEENS1_30default_config_static_selectorELNS0_4arch9wavefront6targetE1EEEvT1_,comdat
.Lfunc_end1052:
	.size	_ZN7rocprim17ROCPRIM_400000_NS6detail17trampoline_kernelINS0_14default_configENS1_25partition_config_selectorILNS1_17partition_subalgoE8ElNS0_10empty_typeEbEEZZNS1_14partition_implILS5_8ELb0ES3_jPlPS6_PKS6_NS0_5tupleIJS9_S6_EEENSD_IJSA_SA_EEENS0_18inequality_wrapperIZN2at6native12_GLOBAL__N_124unique_dim_cuda_templateIbEESt5tupleIJNSH_6TensorESM_SM_EERKSM_lbbbEUlllE0_EEPmJS6_EEE10hipError_tPvRmT3_T4_T5_T6_T7_T9_mT8_P12ihipStream_tbDpT10_ENKUlT_T0_E_clISt17integral_constantIbLb0EES1C_EEDaS17_S18_EUlS17_E_NS1_11comp_targetILNS1_3genE5ELNS1_11target_archE942ELNS1_3gpuE9ELNS1_3repE0EEENS1_30default_config_static_selectorELNS0_4arch9wavefront6targetE1EEEvT1_, .Lfunc_end1052-_ZN7rocprim17ROCPRIM_400000_NS6detail17trampoline_kernelINS0_14default_configENS1_25partition_config_selectorILNS1_17partition_subalgoE8ElNS0_10empty_typeEbEEZZNS1_14partition_implILS5_8ELb0ES3_jPlPS6_PKS6_NS0_5tupleIJS9_S6_EEENSD_IJSA_SA_EEENS0_18inequality_wrapperIZN2at6native12_GLOBAL__N_124unique_dim_cuda_templateIbEESt5tupleIJNSH_6TensorESM_SM_EERKSM_lbbbEUlllE0_EEPmJS6_EEE10hipError_tPvRmT3_T4_T5_T6_T7_T9_mT8_P12ihipStream_tbDpT10_ENKUlT_T0_E_clISt17integral_constantIbLb0EES1C_EEDaS17_S18_EUlS17_E_NS1_11comp_targetILNS1_3genE5ELNS1_11target_archE942ELNS1_3gpuE9ELNS1_3repE0EEENS1_30default_config_static_selectorELNS0_4arch9wavefront6targetE1EEEvT1_
                                        ; -- End function
	.set _ZN7rocprim17ROCPRIM_400000_NS6detail17trampoline_kernelINS0_14default_configENS1_25partition_config_selectorILNS1_17partition_subalgoE8ElNS0_10empty_typeEbEEZZNS1_14partition_implILS5_8ELb0ES3_jPlPS6_PKS6_NS0_5tupleIJS9_S6_EEENSD_IJSA_SA_EEENS0_18inequality_wrapperIZN2at6native12_GLOBAL__N_124unique_dim_cuda_templateIbEESt5tupleIJNSH_6TensorESM_SM_EERKSM_lbbbEUlllE0_EEPmJS6_EEE10hipError_tPvRmT3_T4_T5_T6_T7_T9_mT8_P12ihipStream_tbDpT10_ENKUlT_T0_E_clISt17integral_constantIbLb0EES1C_EEDaS17_S18_EUlS17_E_NS1_11comp_targetILNS1_3genE5ELNS1_11target_archE942ELNS1_3gpuE9ELNS1_3repE0EEENS1_30default_config_static_selectorELNS0_4arch9wavefront6targetE1EEEvT1_.num_vgpr, 0
	.set _ZN7rocprim17ROCPRIM_400000_NS6detail17trampoline_kernelINS0_14default_configENS1_25partition_config_selectorILNS1_17partition_subalgoE8ElNS0_10empty_typeEbEEZZNS1_14partition_implILS5_8ELb0ES3_jPlPS6_PKS6_NS0_5tupleIJS9_S6_EEENSD_IJSA_SA_EEENS0_18inequality_wrapperIZN2at6native12_GLOBAL__N_124unique_dim_cuda_templateIbEESt5tupleIJNSH_6TensorESM_SM_EERKSM_lbbbEUlllE0_EEPmJS6_EEE10hipError_tPvRmT3_T4_T5_T6_T7_T9_mT8_P12ihipStream_tbDpT10_ENKUlT_T0_E_clISt17integral_constantIbLb0EES1C_EEDaS17_S18_EUlS17_E_NS1_11comp_targetILNS1_3genE5ELNS1_11target_archE942ELNS1_3gpuE9ELNS1_3repE0EEENS1_30default_config_static_selectorELNS0_4arch9wavefront6targetE1EEEvT1_.num_agpr, 0
	.set _ZN7rocprim17ROCPRIM_400000_NS6detail17trampoline_kernelINS0_14default_configENS1_25partition_config_selectorILNS1_17partition_subalgoE8ElNS0_10empty_typeEbEEZZNS1_14partition_implILS5_8ELb0ES3_jPlPS6_PKS6_NS0_5tupleIJS9_S6_EEENSD_IJSA_SA_EEENS0_18inequality_wrapperIZN2at6native12_GLOBAL__N_124unique_dim_cuda_templateIbEESt5tupleIJNSH_6TensorESM_SM_EERKSM_lbbbEUlllE0_EEPmJS6_EEE10hipError_tPvRmT3_T4_T5_T6_T7_T9_mT8_P12ihipStream_tbDpT10_ENKUlT_T0_E_clISt17integral_constantIbLb0EES1C_EEDaS17_S18_EUlS17_E_NS1_11comp_targetILNS1_3genE5ELNS1_11target_archE942ELNS1_3gpuE9ELNS1_3repE0EEENS1_30default_config_static_selectorELNS0_4arch9wavefront6targetE1EEEvT1_.numbered_sgpr, 0
	.set _ZN7rocprim17ROCPRIM_400000_NS6detail17trampoline_kernelINS0_14default_configENS1_25partition_config_selectorILNS1_17partition_subalgoE8ElNS0_10empty_typeEbEEZZNS1_14partition_implILS5_8ELb0ES3_jPlPS6_PKS6_NS0_5tupleIJS9_S6_EEENSD_IJSA_SA_EEENS0_18inequality_wrapperIZN2at6native12_GLOBAL__N_124unique_dim_cuda_templateIbEESt5tupleIJNSH_6TensorESM_SM_EERKSM_lbbbEUlllE0_EEPmJS6_EEE10hipError_tPvRmT3_T4_T5_T6_T7_T9_mT8_P12ihipStream_tbDpT10_ENKUlT_T0_E_clISt17integral_constantIbLb0EES1C_EEDaS17_S18_EUlS17_E_NS1_11comp_targetILNS1_3genE5ELNS1_11target_archE942ELNS1_3gpuE9ELNS1_3repE0EEENS1_30default_config_static_selectorELNS0_4arch9wavefront6targetE1EEEvT1_.num_named_barrier, 0
	.set _ZN7rocprim17ROCPRIM_400000_NS6detail17trampoline_kernelINS0_14default_configENS1_25partition_config_selectorILNS1_17partition_subalgoE8ElNS0_10empty_typeEbEEZZNS1_14partition_implILS5_8ELb0ES3_jPlPS6_PKS6_NS0_5tupleIJS9_S6_EEENSD_IJSA_SA_EEENS0_18inequality_wrapperIZN2at6native12_GLOBAL__N_124unique_dim_cuda_templateIbEESt5tupleIJNSH_6TensorESM_SM_EERKSM_lbbbEUlllE0_EEPmJS6_EEE10hipError_tPvRmT3_T4_T5_T6_T7_T9_mT8_P12ihipStream_tbDpT10_ENKUlT_T0_E_clISt17integral_constantIbLb0EES1C_EEDaS17_S18_EUlS17_E_NS1_11comp_targetILNS1_3genE5ELNS1_11target_archE942ELNS1_3gpuE9ELNS1_3repE0EEENS1_30default_config_static_selectorELNS0_4arch9wavefront6targetE1EEEvT1_.private_seg_size, 0
	.set _ZN7rocprim17ROCPRIM_400000_NS6detail17trampoline_kernelINS0_14default_configENS1_25partition_config_selectorILNS1_17partition_subalgoE8ElNS0_10empty_typeEbEEZZNS1_14partition_implILS5_8ELb0ES3_jPlPS6_PKS6_NS0_5tupleIJS9_S6_EEENSD_IJSA_SA_EEENS0_18inequality_wrapperIZN2at6native12_GLOBAL__N_124unique_dim_cuda_templateIbEESt5tupleIJNSH_6TensorESM_SM_EERKSM_lbbbEUlllE0_EEPmJS6_EEE10hipError_tPvRmT3_T4_T5_T6_T7_T9_mT8_P12ihipStream_tbDpT10_ENKUlT_T0_E_clISt17integral_constantIbLb0EES1C_EEDaS17_S18_EUlS17_E_NS1_11comp_targetILNS1_3genE5ELNS1_11target_archE942ELNS1_3gpuE9ELNS1_3repE0EEENS1_30default_config_static_selectorELNS0_4arch9wavefront6targetE1EEEvT1_.uses_vcc, 0
	.set _ZN7rocprim17ROCPRIM_400000_NS6detail17trampoline_kernelINS0_14default_configENS1_25partition_config_selectorILNS1_17partition_subalgoE8ElNS0_10empty_typeEbEEZZNS1_14partition_implILS5_8ELb0ES3_jPlPS6_PKS6_NS0_5tupleIJS9_S6_EEENSD_IJSA_SA_EEENS0_18inequality_wrapperIZN2at6native12_GLOBAL__N_124unique_dim_cuda_templateIbEESt5tupleIJNSH_6TensorESM_SM_EERKSM_lbbbEUlllE0_EEPmJS6_EEE10hipError_tPvRmT3_T4_T5_T6_T7_T9_mT8_P12ihipStream_tbDpT10_ENKUlT_T0_E_clISt17integral_constantIbLb0EES1C_EEDaS17_S18_EUlS17_E_NS1_11comp_targetILNS1_3genE5ELNS1_11target_archE942ELNS1_3gpuE9ELNS1_3repE0EEENS1_30default_config_static_selectorELNS0_4arch9wavefront6targetE1EEEvT1_.uses_flat_scratch, 0
	.set _ZN7rocprim17ROCPRIM_400000_NS6detail17trampoline_kernelINS0_14default_configENS1_25partition_config_selectorILNS1_17partition_subalgoE8ElNS0_10empty_typeEbEEZZNS1_14partition_implILS5_8ELb0ES3_jPlPS6_PKS6_NS0_5tupleIJS9_S6_EEENSD_IJSA_SA_EEENS0_18inequality_wrapperIZN2at6native12_GLOBAL__N_124unique_dim_cuda_templateIbEESt5tupleIJNSH_6TensorESM_SM_EERKSM_lbbbEUlllE0_EEPmJS6_EEE10hipError_tPvRmT3_T4_T5_T6_T7_T9_mT8_P12ihipStream_tbDpT10_ENKUlT_T0_E_clISt17integral_constantIbLb0EES1C_EEDaS17_S18_EUlS17_E_NS1_11comp_targetILNS1_3genE5ELNS1_11target_archE942ELNS1_3gpuE9ELNS1_3repE0EEENS1_30default_config_static_selectorELNS0_4arch9wavefront6targetE1EEEvT1_.has_dyn_sized_stack, 0
	.set _ZN7rocprim17ROCPRIM_400000_NS6detail17trampoline_kernelINS0_14default_configENS1_25partition_config_selectorILNS1_17partition_subalgoE8ElNS0_10empty_typeEbEEZZNS1_14partition_implILS5_8ELb0ES3_jPlPS6_PKS6_NS0_5tupleIJS9_S6_EEENSD_IJSA_SA_EEENS0_18inequality_wrapperIZN2at6native12_GLOBAL__N_124unique_dim_cuda_templateIbEESt5tupleIJNSH_6TensorESM_SM_EERKSM_lbbbEUlllE0_EEPmJS6_EEE10hipError_tPvRmT3_T4_T5_T6_T7_T9_mT8_P12ihipStream_tbDpT10_ENKUlT_T0_E_clISt17integral_constantIbLb0EES1C_EEDaS17_S18_EUlS17_E_NS1_11comp_targetILNS1_3genE5ELNS1_11target_archE942ELNS1_3gpuE9ELNS1_3repE0EEENS1_30default_config_static_selectorELNS0_4arch9wavefront6targetE1EEEvT1_.has_recursion, 0
	.set _ZN7rocprim17ROCPRIM_400000_NS6detail17trampoline_kernelINS0_14default_configENS1_25partition_config_selectorILNS1_17partition_subalgoE8ElNS0_10empty_typeEbEEZZNS1_14partition_implILS5_8ELb0ES3_jPlPS6_PKS6_NS0_5tupleIJS9_S6_EEENSD_IJSA_SA_EEENS0_18inequality_wrapperIZN2at6native12_GLOBAL__N_124unique_dim_cuda_templateIbEESt5tupleIJNSH_6TensorESM_SM_EERKSM_lbbbEUlllE0_EEPmJS6_EEE10hipError_tPvRmT3_T4_T5_T6_T7_T9_mT8_P12ihipStream_tbDpT10_ENKUlT_T0_E_clISt17integral_constantIbLb0EES1C_EEDaS17_S18_EUlS17_E_NS1_11comp_targetILNS1_3genE5ELNS1_11target_archE942ELNS1_3gpuE9ELNS1_3repE0EEENS1_30default_config_static_selectorELNS0_4arch9wavefront6targetE1EEEvT1_.has_indirect_call, 0
	.section	.AMDGPU.csdata,"",@progbits
; Kernel info:
; codeLenInByte = 0
; TotalNumSgprs: 6
; NumVgprs: 0
; NumAgprs: 0
; TotalNumVgprs: 0
; ScratchSize: 0
; MemoryBound: 0
; FloatMode: 240
; IeeeMode: 1
; LDSByteSize: 0 bytes/workgroup (compile time only)
; SGPRBlocks: 0
; VGPRBlocks: 0
; NumSGPRsForWavesPerEU: 6
; NumVGPRsForWavesPerEU: 1
; AccumOffset: 4
; Occupancy: 8
; WaveLimiterHint : 0
; COMPUTE_PGM_RSRC2:SCRATCH_EN: 0
; COMPUTE_PGM_RSRC2:USER_SGPR: 2
; COMPUTE_PGM_RSRC2:TRAP_HANDLER: 0
; COMPUTE_PGM_RSRC2:TGID_X_EN: 1
; COMPUTE_PGM_RSRC2:TGID_Y_EN: 0
; COMPUTE_PGM_RSRC2:TGID_Z_EN: 0
; COMPUTE_PGM_RSRC2:TIDIG_COMP_CNT: 0
; COMPUTE_PGM_RSRC3_GFX90A:ACCUM_OFFSET: 0
; COMPUTE_PGM_RSRC3_GFX90A:TG_SPLIT: 0
	.section	.text._ZN7rocprim17ROCPRIM_400000_NS6detail17trampoline_kernelINS0_14default_configENS1_25partition_config_selectorILNS1_17partition_subalgoE8ElNS0_10empty_typeEbEEZZNS1_14partition_implILS5_8ELb0ES3_jPlPS6_PKS6_NS0_5tupleIJS9_S6_EEENSD_IJSA_SA_EEENS0_18inequality_wrapperIZN2at6native12_GLOBAL__N_124unique_dim_cuda_templateIbEESt5tupleIJNSH_6TensorESM_SM_EERKSM_lbbbEUlllE0_EEPmJS6_EEE10hipError_tPvRmT3_T4_T5_T6_T7_T9_mT8_P12ihipStream_tbDpT10_ENKUlT_T0_E_clISt17integral_constantIbLb0EES1C_EEDaS17_S18_EUlS17_E_NS1_11comp_targetILNS1_3genE4ELNS1_11target_archE910ELNS1_3gpuE8ELNS1_3repE0EEENS1_30default_config_static_selectorELNS0_4arch9wavefront6targetE1EEEvT1_,"axG",@progbits,_ZN7rocprim17ROCPRIM_400000_NS6detail17trampoline_kernelINS0_14default_configENS1_25partition_config_selectorILNS1_17partition_subalgoE8ElNS0_10empty_typeEbEEZZNS1_14partition_implILS5_8ELb0ES3_jPlPS6_PKS6_NS0_5tupleIJS9_S6_EEENSD_IJSA_SA_EEENS0_18inequality_wrapperIZN2at6native12_GLOBAL__N_124unique_dim_cuda_templateIbEESt5tupleIJNSH_6TensorESM_SM_EERKSM_lbbbEUlllE0_EEPmJS6_EEE10hipError_tPvRmT3_T4_T5_T6_T7_T9_mT8_P12ihipStream_tbDpT10_ENKUlT_T0_E_clISt17integral_constantIbLb0EES1C_EEDaS17_S18_EUlS17_E_NS1_11comp_targetILNS1_3genE4ELNS1_11target_archE910ELNS1_3gpuE8ELNS1_3repE0EEENS1_30default_config_static_selectorELNS0_4arch9wavefront6targetE1EEEvT1_,comdat
	.globl	_ZN7rocprim17ROCPRIM_400000_NS6detail17trampoline_kernelINS0_14default_configENS1_25partition_config_selectorILNS1_17partition_subalgoE8ElNS0_10empty_typeEbEEZZNS1_14partition_implILS5_8ELb0ES3_jPlPS6_PKS6_NS0_5tupleIJS9_S6_EEENSD_IJSA_SA_EEENS0_18inequality_wrapperIZN2at6native12_GLOBAL__N_124unique_dim_cuda_templateIbEESt5tupleIJNSH_6TensorESM_SM_EERKSM_lbbbEUlllE0_EEPmJS6_EEE10hipError_tPvRmT3_T4_T5_T6_T7_T9_mT8_P12ihipStream_tbDpT10_ENKUlT_T0_E_clISt17integral_constantIbLb0EES1C_EEDaS17_S18_EUlS17_E_NS1_11comp_targetILNS1_3genE4ELNS1_11target_archE910ELNS1_3gpuE8ELNS1_3repE0EEENS1_30default_config_static_selectorELNS0_4arch9wavefront6targetE1EEEvT1_ ; -- Begin function _ZN7rocprim17ROCPRIM_400000_NS6detail17trampoline_kernelINS0_14default_configENS1_25partition_config_selectorILNS1_17partition_subalgoE8ElNS0_10empty_typeEbEEZZNS1_14partition_implILS5_8ELb0ES3_jPlPS6_PKS6_NS0_5tupleIJS9_S6_EEENSD_IJSA_SA_EEENS0_18inequality_wrapperIZN2at6native12_GLOBAL__N_124unique_dim_cuda_templateIbEESt5tupleIJNSH_6TensorESM_SM_EERKSM_lbbbEUlllE0_EEPmJS6_EEE10hipError_tPvRmT3_T4_T5_T6_T7_T9_mT8_P12ihipStream_tbDpT10_ENKUlT_T0_E_clISt17integral_constantIbLb0EES1C_EEDaS17_S18_EUlS17_E_NS1_11comp_targetILNS1_3genE4ELNS1_11target_archE910ELNS1_3gpuE8ELNS1_3repE0EEENS1_30default_config_static_selectorELNS0_4arch9wavefront6targetE1EEEvT1_
	.p2align	8
	.type	_ZN7rocprim17ROCPRIM_400000_NS6detail17trampoline_kernelINS0_14default_configENS1_25partition_config_selectorILNS1_17partition_subalgoE8ElNS0_10empty_typeEbEEZZNS1_14partition_implILS5_8ELb0ES3_jPlPS6_PKS6_NS0_5tupleIJS9_S6_EEENSD_IJSA_SA_EEENS0_18inequality_wrapperIZN2at6native12_GLOBAL__N_124unique_dim_cuda_templateIbEESt5tupleIJNSH_6TensorESM_SM_EERKSM_lbbbEUlllE0_EEPmJS6_EEE10hipError_tPvRmT3_T4_T5_T6_T7_T9_mT8_P12ihipStream_tbDpT10_ENKUlT_T0_E_clISt17integral_constantIbLb0EES1C_EEDaS17_S18_EUlS17_E_NS1_11comp_targetILNS1_3genE4ELNS1_11target_archE910ELNS1_3gpuE8ELNS1_3repE0EEENS1_30default_config_static_selectorELNS0_4arch9wavefront6targetE1EEEvT1_,@function
_ZN7rocprim17ROCPRIM_400000_NS6detail17trampoline_kernelINS0_14default_configENS1_25partition_config_selectorILNS1_17partition_subalgoE8ElNS0_10empty_typeEbEEZZNS1_14partition_implILS5_8ELb0ES3_jPlPS6_PKS6_NS0_5tupleIJS9_S6_EEENSD_IJSA_SA_EEENS0_18inequality_wrapperIZN2at6native12_GLOBAL__N_124unique_dim_cuda_templateIbEESt5tupleIJNSH_6TensorESM_SM_EERKSM_lbbbEUlllE0_EEPmJS6_EEE10hipError_tPvRmT3_T4_T5_T6_T7_T9_mT8_P12ihipStream_tbDpT10_ENKUlT_T0_E_clISt17integral_constantIbLb0EES1C_EEDaS17_S18_EUlS17_E_NS1_11comp_targetILNS1_3genE4ELNS1_11target_archE910ELNS1_3gpuE8ELNS1_3repE0EEENS1_30default_config_static_selectorELNS0_4arch9wavefront6targetE1EEEvT1_: ; @_ZN7rocprim17ROCPRIM_400000_NS6detail17trampoline_kernelINS0_14default_configENS1_25partition_config_selectorILNS1_17partition_subalgoE8ElNS0_10empty_typeEbEEZZNS1_14partition_implILS5_8ELb0ES3_jPlPS6_PKS6_NS0_5tupleIJS9_S6_EEENSD_IJSA_SA_EEENS0_18inequality_wrapperIZN2at6native12_GLOBAL__N_124unique_dim_cuda_templateIbEESt5tupleIJNSH_6TensorESM_SM_EERKSM_lbbbEUlllE0_EEPmJS6_EEE10hipError_tPvRmT3_T4_T5_T6_T7_T9_mT8_P12ihipStream_tbDpT10_ENKUlT_T0_E_clISt17integral_constantIbLb0EES1C_EEDaS17_S18_EUlS17_E_NS1_11comp_targetILNS1_3genE4ELNS1_11target_archE910ELNS1_3gpuE8ELNS1_3repE0EEENS1_30default_config_static_selectorELNS0_4arch9wavefront6targetE1EEEvT1_
; %bb.0:
	.section	.rodata,"a",@progbits
	.p2align	6, 0x0
	.amdhsa_kernel _ZN7rocprim17ROCPRIM_400000_NS6detail17trampoline_kernelINS0_14default_configENS1_25partition_config_selectorILNS1_17partition_subalgoE8ElNS0_10empty_typeEbEEZZNS1_14partition_implILS5_8ELb0ES3_jPlPS6_PKS6_NS0_5tupleIJS9_S6_EEENSD_IJSA_SA_EEENS0_18inequality_wrapperIZN2at6native12_GLOBAL__N_124unique_dim_cuda_templateIbEESt5tupleIJNSH_6TensorESM_SM_EERKSM_lbbbEUlllE0_EEPmJS6_EEE10hipError_tPvRmT3_T4_T5_T6_T7_T9_mT8_P12ihipStream_tbDpT10_ENKUlT_T0_E_clISt17integral_constantIbLb0EES1C_EEDaS17_S18_EUlS17_E_NS1_11comp_targetILNS1_3genE4ELNS1_11target_archE910ELNS1_3gpuE8ELNS1_3repE0EEENS1_30default_config_static_selectorELNS0_4arch9wavefront6targetE1EEEvT1_
		.amdhsa_group_segment_fixed_size 0
		.amdhsa_private_segment_fixed_size 0
		.amdhsa_kernarg_size 120
		.amdhsa_user_sgpr_count 2
		.amdhsa_user_sgpr_dispatch_ptr 0
		.amdhsa_user_sgpr_queue_ptr 0
		.amdhsa_user_sgpr_kernarg_segment_ptr 1
		.amdhsa_user_sgpr_dispatch_id 0
		.amdhsa_user_sgpr_kernarg_preload_length 0
		.amdhsa_user_sgpr_kernarg_preload_offset 0
		.amdhsa_user_sgpr_private_segment_size 0
		.amdhsa_uses_dynamic_stack 0
		.amdhsa_enable_private_segment 0
		.amdhsa_system_sgpr_workgroup_id_x 1
		.amdhsa_system_sgpr_workgroup_id_y 0
		.amdhsa_system_sgpr_workgroup_id_z 0
		.amdhsa_system_sgpr_workgroup_info 0
		.amdhsa_system_vgpr_workitem_id 0
		.amdhsa_next_free_vgpr 1
		.amdhsa_next_free_sgpr 0
		.amdhsa_accum_offset 4
		.amdhsa_reserve_vcc 0
		.amdhsa_float_round_mode_32 0
		.amdhsa_float_round_mode_16_64 0
		.amdhsa_float_denorm_mode_32 3
		.amdhsa_float_denorm_mode_16_64 3
		.amdhsa_dx10_clamp 1
		.amdhsa_ieee_mode 1
		.amdhsa_fp16_overflow 0
		.amdhsa_tg_split 0
		.amdhsa_exception_fp_ieee_invalid_op 0
		.amdhsa_exception_fp_denorm_src 0
		.amdhsa_exception_fp_ieee_div_zero 0
		.amdhsa_exception_fp_ieee_overflow 0
		.amdhsa_exception_fp_ieee_underflow 0
		.amdhsa_exception_fp_ieee_inexact 0
		.amdhsa_exception_int_div_zero 0
	.end_amdhsa_kernel
	.section	.text._ZN7rocprim17ROCPRIM_400000_NS6detail17trampoline_kernelINS0_14default_configENS1_25partition_config_selectorILNS1_17partition_subalgoE8ElNS0_10empty_typeEbEEZZNS1_14partition_implILS5_8ELb0ES3_jPlPS6_PKS6_NS0_5tupleIJS9_S6_EEENSD_IJSA_SA_EEENS0_18inequality_wrapperIZN2at6native12_GLOBAL__N_124unique_dim_cuda_templateIbEESt5tupleIJNSH_6TensorESM_SM_EERKSM_lbbbEUlllE0_EEPmJS6_EEE10hipError_tPvRmT3_T4_T5_T6_T7_T9_mT8_P12ihipStream_tbDpT10_ENKUlT_T0_E_clISt17integral_constantIbLb0EES1C_EEDaS17_S18_EUlS17_E_NS1_11comp_targetILNS1_3genE4ELNS1_11target_archE910ELNS1_3gpuE8ELNS1_3repE0EEENS1_30default_config_static_selectorELNS0_4arch9wavefront6targetE1EEEvT1_,"axG",@progbits,_ZN7rocprim17ROCPRIM_400000_NS6detail17trampoline_kernelINS0_14default_configENS1_25partition_config_selectorILNS1_17partition_subalgoE8ElNS0_10empty_typeEbEEZZNS1_14partition_implILS5_8ELb0ES3_jPlPS6_PKS6_NS0_5tupleIJS9_S6_EEENSD_IJSA_SA_EEENS0_18inequality_wrapperIZN2at6native12_GLOBAL__N_124unique_dim_cuda_templateIbEESt5tupleIJNSH_6TensorESM_SM_EERKSM_lbbbEUlllE0_EEPmJS6_EEE10hipError_tPvRmT3_T4_T5_T6_T7_T9_mT8_P12ihipStream_tbDpT10_ENKUlT_T0_E_clISt17integral_constantIbLb0EES1C_EEDaS17_S18_EUlS17_E_NS1_11comp_targetILNS1_3genE4ELNS1_11target_archE910ELNS1_3gpuE8ELNS1_3repE0EEENS1_30default_config_static_selectorELNS0_4arch9wavefront6targetE1EEEvT1_,comdat
.Lfunc_end1053:
	.size	_ZN7rocprim17ROCPRIM_400000_NS6detail17trampoline_kernelINS0_14default_configENS1_25partition_config_selectorILNS1_17partition_subalgoE8ElNS0_10empty_typeEbEEZZNS1_14partition_implILS5_8ELb0ES3_jPlPS6_PKS6_NS0_5tupleIJS9_S6_EEENSD_IJSA_SA_EEENS0_18inequality_wrapperIZN2at6native12_GLOBAL__N_124unique_dim_cuda_templateIbEESt5tupleIJNSH_6TensorESM_SM_EERKSM_lbbbEUlllE0_EEPmJS6_EEE10hipError_tPvRmT3_T4_T5_T6_T7_T9_mT8_P12ihipStream_tbDpT10_ENKUlT_T0_E_clISt17integral_constantIbLb0EES1C_EEDaS17_S18_EUlS17_E_NS1_11comp_targetILNS1_3genE4ELNS1_11target_archE910ELNS1_3gpuE8ELNS1_3repE0EEENS1_30default_config_static_selectorELNS0_4arch9wavefront6targetE1EEEvT1_, .Lfunc_end1053-_ZN7rocprim17ROCPRIM_400000_NS6detail17trampoline_kernelINS0_14default_configENS1_25partition_config_selectorILNS1_17partition_subalgoE8ElNS0_10empty_typeEbEEZZNS1_14partition_implILS5_8ELb0ES3_jPlPS6_PKS6_NS0_5tupleIJS9_S6_EEENSD_IJSA_SA_EEENS0_18inequality_wrapperIZN2at6native12_GLOBAL__N_124unique_dim_cuda_templateIbEESt5tupleIJNSH_6TensorESM_SM_EERKSM_lbbbEUlllE0_EEPmJS6_EEE10hipError_tPvRmT3_T4_T5_T6_T7_T9_mT8_P12ihipStream_tbDpT10_ENKUlT_T0_E_clISt17integral_constantIbLb0EES1C_EEDaS17_S18_EUlS17_E_NS1_11comp_targetILNS1_3genE4ELNS1_11target_archE910ELNS1_3gpuE8ELNS1_3repE0EEENS1_30default_config_static_selectorELNS0_4arch9wavefront6targetE1EEEvT1_
                                        ; -- End function
	.set _ZN7rocprim17ROCPRIM_400000_NS6detail17trampoline_kernelINS0_14default_configENS1_25partition_config_selectorILNS1_17partition_subalgoE8ElNS0_10empty_typeEbEEZZNS1_14partition_implILS5_8ELb0ES3_jPlPS6_PKS6_NS0_5tupleIJS9_S6_EEENSD_IJSA_SA_EEENS0_18inequality_wrapperIZN2at6native12_GLOBAL__N_124unique_dim_cuda_templateIbEESt5tupleIJNSH_6TensorESM_SM_EERKSM_lbbbEUlllE0_EEPmJS6_EEE10hipError_tPvRmT3_T4_T5_T6_T7_T9_mT8_P12ihipStream_tbDpT10_ENKUlT_T0_E_clISt17integral_constantIbLb0EES1C_EEDaS17_S18_EUlS17_E_NS1_11comp_targetILNS1_3genE4ELNS1_11target_archE910ELNS1_3gpuE8ELNS1_3repE0EEENS1_30default_config_static_selectorELNS0_4arch9wavefront6targetE1EEEvT1_.num_vgpr, 0
	.set _ZN7rocprim17ROCPRIM_400000_NS6detail17trampoline_kernelINS0_14default_configENS1_25partition_config_selectorILNS1_17partition_subalgoE8ElNS0_10empty_typeEbEEZZNS1_14partition_implILS5_8ELb0ES3_jPlPS6_PKS6_NS0_5tupleIJS9_S6_EEENSD_IJSA_SA_EEENS0_18inequality_wrapperIZN2at6native12_GLOBAL__N_124unique_dim_cuda_templateIbEESt5tupleIJNSH_6TensorESM_SM_EERKSM_lbbbEUlllE0_EEPmJS6_EEE10hipError_tPvRmT3_T4_T5_T6_T7_T9_mT8_P12ihipStream_tbDpT10_ENKUlT_T0_E_clISt17integral_constantIbLb0EES1C_EEDaS17_S18_EUlS17_E_NS1_11comp_targetILNS1_3genE4ELNS1_11target_archE910ELNS1_3gpuE8ELNS1_3repE0EEENS1_30default_config_static_selectorELNS0_4arch9wavefront6targetE1EEEvT1_.num_agpr, 0
	.set _ZN7rocprim17ROCPRIM_400000_NS6detail17trampoline_kernelINS0_14default_configENS1_25partition_config_selectorILNS1_17partition_subalgoE8ElNS0_10empty_typeEbEEZZNS1_14partition_implILS5_8ELb0ES3_jPlPS6_PKS6_NS0_5tupleIJS9_S6_EEENSD_IJSA_SA_EEENS0_18inequality_wrapperIZN2at6native12_GLOBAL__N_124unique_dim_cuda_templateIbEESt5tupleIJNSH_6TensorESM_SM_EERKSM_lbbbEUlllE0_EEPmJS6_EEE10hipError_tPvRmT3_T4_T5_T6_T7_T9_mT8_P12ihipStream_tbDpT10_ENKUlT_T0_E_clISt17integral_constantIbLb0EES1C_EEDaS17_S18_EUlS17_E_NS1_11comp_targetILNS1_3genE4ELNS1_11target_archE910ELNS1_3gpuE8ELNS1_3repE0EEENS1_30default_config_static_selectorELNS0_4arch9wavefront6targetE1EEEvT1_.numbered_sgpr, 0
	.set _ZN7rocprim17ROCPRIM_400000_NS6detail17trampoline_kernelINS0_14default_configENS1_25partition_config_selectorILNS1_17partition_subalgoE8ElNS0_10empty_typeEbEEZZNS1_14partition_implILS5_8ELb0ES3_jPlPS6_PKS6_NS0_5tupleIJS9_S6_EEENSD_IJSA_SA_EEENS0_18inequality_wrapperIZN2at6native12_GLOBAL__N_124unique_dim_cuda_templateIbEESt5tupleIJNSH_6TensorESM_SM_EERKSM_lbbbEUlllE0_EEPmJS6_EEE10hipError_tPvRmT3_T4_T5_T6_T7_T9_mT8_P12ihipStream_tbDpT10_ENKUlT_T0_E_clISt17integral_constantIbLb0EES1C_EEDaS17_S18_EUlS17_E_NS1_11comp_targetILNS1_3genE4ELNS1_11target_archE910ELNS1_3gpuE8ELNS1_3repE0EEENS1_30default_config_static_selectorELNS0_4arch9wavefront6targetE1EEEvT1_.num_named_barrier, 0
	.set _ZN7rocprim17ROCPRIM_400000_NS6detail17trampoline_kernelINS0_14default_configENS1_25partition_config_selectorILNS1_17partition_subalgoE8ElNS0_10empty_typeEbEEZZNS1_14partition_implILS5_8ELb0ES3_jPlPS6_PKS6_NS0_5tupleIJS9_S6_EEENSD_IJSA_SA_EEENS0_18inequality_wrapperIZN2at6native12_GLOBAL__N_124unique_dim_cuda_templateIbEESt5tupleIJNSH_6TensorESM_SM_EERKSM_lbbbEUlllE0_EEPmJS6_EEE10hipError_tPvRmT3_T4_T5_T6_T7_T9_mT8_P12ihipStream_tbDpT10_ENKUlT_T0_E_clISt17integral_constantIbLb0EES1C_EEDaS17_S18_EUlS17_E_NS1_11comp_targetILNS1_3genE4ELNS1_11target_archE910ELNS1_3gpuE8ELNS1_3repE0EEENS1_30default_config_static_selectorELNS0_4arch9wavefront6targetE1EEEvT1_.private_seg_size, 0
	.set _ZN7rocprim17ROCPRIM_400000_NS6detail17trampoline_kernelINS0_14default_configENS1_25partition_config_selectorILNS1_17partition_subalgoE8ElNS0_10empty_typeEbEEZZNS1_14partition_implILS5_8ELb0ES3_jPlPS6_PKS6_NS0_5tupleIJS9_S6_EEENSD_IJSA_SA_EEENS0_18inequality_wrapperIZN2at6native12_GLOBAL__N_124unique_dim_cuda_templateIbEESt5tupleIJNSH_6TensorESM_SM_EERKSM_lbbbEUlllE0_EEPmJS6_EEE10hipError_tPvRmT3_T4_T5_T6_T7_T9_mT8_P12ihipStream_tbDpT10_ENKUlT_T0_E_clISt17integral_constantIbLb0EES1C_EEDaS17_S18_EUlS17_E_NS1_11comp_targetILNS1_3genE4ELNS1_11target_archE910ELNS1_3gpuE8ELNS1_3repE0EEENS1_30default_config_static_selectorELNS0_4arch9wavefront6targetE1EEEvT1_.uses_vcc, 0
	.set _ZN7rocprim17ROCPRIM_400000_NS6detail17trampoline_kernelINS0_14default_configENS1_25partition_config_selectorILNS1_17partition_subalgoE8ElNS0_10empty_typeEbEEZZNS1_14partition_implILS5_8ELb0ES3_jPlPS6_PKS6_NS0_5tupleIJS9_S6_EEENSD_IJSA_SA_EEENS0_18inequality_wrapperIZN2at6native12_GLOBAL__N_124unique_dim_cuda_templateIbEESt5tupleIJNSH_6TensorESM_SM_EERKSM_lbbbEUlllE0_EEPmJS6_EEE10hipError_tPvRmT3_T4_T5_T6_T7_T9_mT8_P12ihipStream_tbDpT10_ENKUlT_T0_E_clISt17integral_constantIbLb0EES1C_EEDaS17_S18_EUlS17_E_NS1_11comp_targetILNS1_3genE4ELNS1_11target_archE910ELNS1_3gpuE8ELNS1_3repE0EEENS1_30default_config_static_selectorELNS0_4arch9wavefront6targetE1EEEvT1_.uses_flat_scratch, 0
	.set _ZN7rocprim17ROCPRIM_400000_NS6detail17trampoline_kernelINS0_14default_configENS1_25partition_config_selectorILNS1_17partition_subalgoE8ElNS0_10empty_typeEbEEZZNS1_14partition_implILS5_8ELb0ES3_jPlPS6_PKS6_NS0_5tupleIJS9_S6_EEENSD_IJSA_SA_EEENS0_18inequality_wrapperIZN2at6native12_GLOBAL__N_124unique_dim_cuda_templateIbEESt5tupleIJNSH_6TensorESM_SM_EERKSM_lbbbEUlllE0_EEPmJS6_EEE10hipError_tPvRmT3_T4_T5_T6_T7_T9_mT8_P12ihipStream_tbDpT10_ENKUlT_T0_E_clISt17integral_constantIbLb0EES1C_EEDaS17_S18_EUlS17_E_NS1_11comp_targetILNS1_3genE4ELNS1_11target_archE910ELNS1_3gpuE8ELNS1_3repE0EEENS1_30default_config_static_selectorELNS0_4arch9wavefront6targetE1EEEvT1_.has_dyn_sized_stack, 0
	.set _ZN7rocprim17ROCPRIM_400000_NS6detail17trampoline_kernelINS0_14default_configENS1_25partition_config_selectorILNS1_17partition_subalgoE8ElNS0_10empty_typeEbEEZZNS1_14partition_implILS5_8ELb0ES3_jPlPS6_PKS6_NS0_5tupleIJS9_S6_EEENSD_IJSA_SA_EEENS0_18inequality_wrapperIZN2at6native12_GLOBAL__N_124unique_dim_cuda_templateIbEESt5tupleIJNSH_6TensorESM_SM_EERKSM_lbbbEUlllE0_EEPmJS6_EEE10hipError_tPvRmT3_T4_T5_T6_T7_T9_mT8_P12ihipStream_tbDpT10_ENKUlT_T0_E_clISt17integral_constantIbLb0EES1C_EEDaS17_S18_EUlS17_E_NS1_11comp_targetILNS1_3genE4ELNS1_11target_archE910ELNS1_3gpuE8ELNS1_3repE0EEENS1_30default_config_static_selectorELNS0_4arch9wavefront6targetE1EEEvT1_.has_recursion, 0
	.set _ZN7rocprim17ROCPRIM_400000_NS6detail17trampoline_kernelINS0_14default_configENS1_25partition_config_selectorILNS1_17partition_subalgoE8ElNS0_10empty_typeEbEEZZNS1_14partition_implILS5_8ELb0ES3_jPlPS6_PKS6_NS0_5tupleIJS9_S6_EEENSD_IJSA_SA_EEENS0_18inequality_wrapperIZN2at6native12_GLOBAL__N_124unique_dim_cuda_templateIbEESt5tupleIJNSH_6TensorESM_SM_EERKSM_lbbbEUlllE0_EEPmJS6_EEE10hipError_tPvRmT3_T4_T5_T6_T7_T9_mT8_P12ihipStream_tbDpT10_ENKUlT_T0_E_clISt17integral_constantIbLb0EES1C_EEDaS17_S18_EUlS17_E_NS1_11comp_targetILNS1_3genE4ELNS1_11target_archE910ELNS1_3gpuE8ELNS1_3repE0EEENS1_30default_config_static_selectorELNS0_4arch9wavefront6targetE1EEEvT1_.has_indirect_call, 0
	.section	.AMDGPU.csdata,"",@progbits
; Kernel info:
; codeLenInByte = 0
; TotalNumSgprs: 6
; NumVgprs: 0
; NumAgprs: 0
; TotalNumVgprs: 0
; ScratchSize: 0
; MemoryBound: 0
; FloatMode: 240
; IeeeMode: 1
; LDSByteSize: 0 bytes/workgroup (compile time only)
; SGPRBlocks: 0
; VGPRBlocks: 0
; NumSGPRsForWavesPerEU: 6
; NumVGPRsForWavesPerEU: 1
; AccumOffset: 4
; Occupancy: 8
; WaveLimiterHint : 0
; COMPUTE_PGM_RSRC2:SCRATCH_EN: 0
; COMPUTE_PGM_RSRC2:USER_SGPR: 2
; COMPUTE_PGM_RSRC2:TRAP_HANDLER: 0
; COMPUTE_PGM_RSRC2:TGID_X_EN: 1
; COMPUTE_PGM_RSRC2:TGID_Y_EN: 0
; COMPUTE_PGM_RSRC2:TGID_Z_EN: 0
; COMPUTE_PGM_RSRC2:TIDIG_COMP_CNT: 0
; COMPUTE_PGM_RSRC3_GFX90A:ACCUM_OFFSET: 0
; COMPUTE_PGM_RSRC3_GFX90A:TG_SPLIT: 0
	.section	.text._ZN7rocprim17ROCPRIM_400000_NS6detail17trampoline_kernelINS0_14default_configENS1_25partition_config_selectorILNS1_17partition_subalgoE8ElNS0_10empty_typeEbEEZZNS1_14partition_implILS5_8ELb0ES3_jPlPS6_PKS6_NS0_5tupleIJS9_S6_EEENSD_IJSA_SA_EEENS0_18inequality_wrapperIZN2at6native12_GLOBAL__N_124unique_dim_cuda_templateIbEESt5tupleIJNSH_6TensorESM_SM_EERKSM_lbbbEUlllE0_EEPmJS6_EEE10hipError_tPvRmT3_T4_T5_T6_T7_T9_mT8_P12ihipStream_tbDpT10_ENKUlT_T0_E_clISt17integral_constantIbLb0EES1C_EEDaS17_S18_EUlS17_E_NS1_11comp_targetILNS1_3genE3ELNS1_11target_archE908ELNS1_3gpuE7ELNS1_3repE0EEENS1_30default_config_static_selectorELNS0_4arch9wavefront6targetE1EEEvT1_,"axG",@progbits,_ZN7rocprim17ROCPRIM_400000_NS6detail17trampoline_kernelINS0_14default_configENS1_25partition_config_selectorILNS1_17partition_subalgoE8ElNS0_10empty_typeEbEEZZNS1_14partition_implILS5_8ELb0ES3_jPlPS6_PKS6_NS0_5tupleIJS9_S6_EEENSD_IJSA_SA_EEENS0_18inequality_wrapperIZN2at6native12_GLOBAL__N_124unique_dim_cuda_templateIbEESt5tupleIJNSH_6TensorESM_SM_EERKSM_lbbbEUlllE0_EEPmJS6_EEE10hipError_tPvRmT3_T4_T5_T6_T7_T9_mT8_P12ihipStream_tbDpT10_ENKUlT_T0_E_clISt17integral_constantIbLb0EES1C_EEDaS17_S18_EUlS17_E_NS1_11comp_targetILNS1_3genE3ELNS1_11target_archE908ELNS1_3gpuE7ELNS1_3repE0EEENS1_30default_config_static_selectorELNS0_4arch9wavefront6targetE1EEEvT1_,comdat
	.globl	_ZN7rocprim17ROCPRIM_400000_NS6detail17trampoline_kernelINS0_14default_configENS1_25partition_config_selectorILNS1_17partition_subalgoE8ElNS0_10empty_typeEbEEZZNS1_14partition_implILS5_8ELb0ES3_jPlPS6_PKS6_NS0_5tupleIJS9_S6_EEENSD_IJSA_SA_EEENS0_18inequality_wrapperIZN2at6native12_GLOBAL__N_124unique_dim_cuda_templateIbEESt5tupleIJNSH_6TensorESM_SM_EERKSM_lbbbEUlllE0_EEPmJS6_EEE10hipError_tPvRmT3_T4_T5_T6_T7_T9_mT8_P12ihipStream_tbDpT10_ENKUlT_T0_E_clISt17integral_constantIbLb0EES1C_EEDaS17_S18_EUlS17_E_NS1_11comp_targetILNS1_3genE3ELNS1_11target_archE908ELNS1_3gpuE7ELNS1_3repE0EEENS1_30default_config_static_selectorELNS0_4arch9wavefront6targetE1EEEvT1_ ; -- Begin function _ZN7rocprim17ROCPRIM_400000_NS6detail17trampoline_kernelINS0_14default_configENS1_25partition_config_selectorILNS1_17partition_subalgoE8ElNS0_10empty_typeEbEEZZNS1_14partition_implILS5_8ELb0ES3_jPlPS6_PKS6_NS0_5tupleIJS9_S6_EEENSD_IJSA_SA_EEENS0_18inequality_wrapperIZN2at6native12_GLOBAL__N_124unique_dim_cuda_templateIbEESt5tupleIJNSH_6TensorESM_SM_EERKSM_lbbbEUlllE0_EEPmJS6_EEE10hipError_tPvRmT3_T4_T5_T6_T7_T9_mT8_P12ihipStream_tbDpT10_ENKUlT_T0_E_clISt17integral_constantIbLb0EES1C_EEDaS17_S18_EUlS17_E_NS1_11comp_targetILNS1_3genE3ELNS1_11target_archE908ELNS1_3gpuE7ELNS1_3repE0EEENS1_30default_config_static_selectorELNS0_4arch9wavefront6targetE1EEEvT1_
	.p2align	8
	.type	_ZN7rocprim17ROCPRIM_400000_NS6detail17trampoline_kernelINS0_14default_configENS1_25partition_config_selectorILNS1_17partition_subalgoE8ElNS0_10empty_typeEbEEZZNS1_14partition_implILS5_8ELb0ES3_jPlPS6_PKS6_NS0_5tupleIJS9_S6_EEENSD_IJSA_SA_EEENS0_18inequality_wrapperIZN2at6native12_GLOBAL__N_124unique_dim_cuda_templateIbEESt5tupleIJNSH_6TensorESM_SM_EERKSM_lbbbEUlllE0_EEPmJS6_EEE10hipError_tPvRmT3_T4_T5_T6_T7_T9_mT8_P12ihipStream_tbDpT10_ENKUlT_T0_E_clISt17integral_constantIbLb0EES1C_EEDaS17_S18_EUlS17_E_NS1_11comp_targetILNS1_3genE3ELNS1_11target_archE908ELNS1_3gpuE7ELNS1_3repE0EEENS1_30default_config_static_selectorELNS0_4arch9wavefront6targetE1EEEvT1_,@function
_ZN7rocprim17ROCPRIM_400000_NS6detail17trampoline_kernelINS0_14default_configENS1_25partition_config_selectorILNS1_17partition_subalgoE8ElNS0_10empty_typeEbEEZZNS1_14partition_implILS5_8ELb0ES3_jPlPS6_PKS6_NS0_5tupleIJS9_S6_EEENSD_IJSA_SA_EEENS0_18inequality_wrapperIZN2at6native12_GLOBAL__N_124unique_dim_cuda_templateIbEESt5tupleIJNSH_6TensorESM_SM_EERKSM_lbbbEUlllE0_EEPmJS6_EEE10hipError_tPvRmT3_T4_T5_T6_T7_T9_mT8_P12ihipStream_tbDpT10_ENKUlT_T0_E_clISt17integral_constantIbLb0EES1C_EEDaS17_S18_EUlS17_E_NS1_11comp_targetILNS1_3genE3ELNS1_11target_archE908ELNS1_3gpuE7ELNS1_3repE0EEENS1_30default_config_static_selectorELNS0_4arch9wavefront6targetE1EEEvT1_: ; @_ZN7rocprim17ROCPRIM_400000_NS6detail17trampoline_kernelINS0_14default_configENS1_25partition_config_selectorILNS1_17partition_subalgoE8ElNS0_10empty_typeEbEEZZNS1_14partition_implILS5_8ELb0ES3_jPlPS6_PKS6_NS0_5tupleIJS9_S6_EEENSD_IJSA_SA_EEENS0_18inequality_wrapperIZN2at6native12_GLOBAL__N_124unique_dim_cuda_templateIbEESt5tupleIJNSH_6TensorESM_SM_EERKSM_lbbbEUlllE0_EEPmJS6_EEE10hipError_tPvRmT3_T4_T5_T6_T7_T9_mT8_P12ihipStream_tbDpT10_ENKUlT_T0_E_clISt17integral_constantIbLb0EES1C_EEDaS17_S18_EUlS17_E_NS1_11comp_targetILNS1_3genE3ELNS1_11target_archE908ELNS1_3gpuE7ELNS1_3repE0EEENS1_30default_config_static_selectorELNS0_4arch9wavefront6targetE1EEEvT1_
; %bb.0:
	.section	.rodata,"a",@progbits
	.p2align	6, 0x0
	.amdhsa_kernel _ZN7rocprim17ROCPRIM_400000_NS6detail17trampoline_kernelINS0_14default_configENS1_25partition_config_selectorILNS1_17partition_subalgoE8ElNS0_10empty_typeEbEEZZNS1_14partition_implILS5_8ELb0ES3_jPlPS6_PKS6_NS0_5tupleIJS9_S6_EEENSD_IJSA_SA_EEENS0_18inequality_wrapperIZN2at6native12_GLOBAL__N_124unique_dim_cuda_templateIbEESt5tupleIJNSH_6TensorESM_SM_EERKSM_lbbbEUlllE0_EEPmJS6_EEE10hipError_tPvRmT3_T4_T5_T6_T7_T9_mT8_P12ihipStream_tbDpT10_ENKUlT_T0_E_clISt17integral_constantIbLb0EES1C_EEDaS17_S18_EUlS17_E_NS1_11comp_targetILNS1_3genE3ELNS1_11target_archE908ELNS1_3gpuE7ELNS1_3repE0EEENS1_30default_config_static_selectorELNS0_4arch9wavefront6targetE1EEEvT1_
		.amdhsa_group_segment_fixed_size 0
		.amdhsa_private_segment_fixed_size 0
		.amdhsa_kernarg_size 120
		.amdhsa_user_sgpr_count 2
		.amdhsa_user_sgpr_dispatch_ptr 0
		.amdhsa_user_sgpr_queue_ptr 0
		.amdhsa_user_sgpr_kernarg_segment_ptr 1
		.amdhsa_user_sgpr_dispatch_id 0
		.amdhsa_user_sgpr_kernarg_preload_length 0
		.amdhsa_user_sgpr_kernarg_preload_offset 0
		.amdhsa_user_sgpr_private_segment_size 0
		.amdhsa_uses_dynamic_stack 0
		.amdhsa_enable_private_segment 0
		.amdhsa_system_sgpr_workgroup_id_x 1
		.amdhsa_system_sgpr_workgroup_id_y 0
		.amdhsa_system_sgpr_workgroup_id_z 0
		.amdhsa_system_sgpr_workgroup_info 0
		.amdhsa_system_vgpr_workitem_id 0
		.amdhsa_next_free_vgpr 1
		.amdhsa_next_free_sgpr 0
		.amdhsa_accum_offset 4
		.amdhsa_reserve_vcc 0
		.amdhsa_float_round_mode_32 0
		.amdhsa_float_round_mode_16_64 0
		.amdhsa_float_denorm_mode_32 3
		.amdhsa_float_denorm_mode_16_64 3
		.amdhsa_dx10_clamp 1
		.amdhsa_ieee_mode 1
		.amdhsa_fp16_overflow 0
		.amdhsa_tg_split 0
		.amdhsa_exception_fp_ieee_invalid_op 0
		.amdhsa_exception_fp_denorm_src 0
		.amdhsa_exception_fp_ieee_div_zero 0
		.amdhsa_exception_fp_ieee_overflow 0
		.amdhsa_exception_fp_ieee_underflow 0
		.amdhsa_exception_fp_ieee_inexact 0
		.amdhsa_exception_int_div_zero 0
	.end_amdhsa_kernel
	.section	.text._ZN7rocprim17ROCPRIM_400000_NS6detail17trampoline_kernelINS0_14default_configENS1_25partition_config_selectorILNS1_17partition_subalgoE8ElNS0_10empty_typeEbEEZZNS1_14partition_implILS5_8ELb0ES3_jPlPS6_PKS6_NS0_5tupleIJS9_S6_EEENSD_IJSA_SA_EEENS0_18inequality_wrapperIZN2at6native12_GLOBAL__N_124unique_dim_cuda_templateIbEESt5tupleIJNSH_6TensorESM_SM_EERKSM_lbbbEUlllE0_EEPmJS6_EEE10hipError_tPvRmT3_T4_T5_T6_T7_T9_mT8_P12ihipStream_tbDpT10_ENKUlT_T0_E_clISt17integral_constantIbLb0EES1C_EEDaS17_S18_EUlS17_E_NS1_11comp_targetILNS1_3genE3ELNS1_11target_archE908ELNS1_3gpuE7ELNS1_3repE0EEENS1_30default_config_static_selectorELNS0_4arch9wavefront6targetE1EEEvT1_,"axG",@progbits,_ZN7rocprim17ROCPRIM_400000_NS6detail17trampoline_kernelINS0_14default_configENS1_25partition_config_selectorILNS1_17partition_subalgoE8ElNS0_10empty_typeEbEEZZNS1_14partition_implILS5_8ELb0ES3_jPlPS6_PKS6_NS0_5tupleIJS9_S6_EEENSD_IJSA_SA_EEENS0_18inequality_wrapperIZN2at6native12_GLOBAL__N_124unique_dim_cuda_templateIbEESt5tupleIJNSH_6TensorESM_SM_EERKSM_lbbbEUlllE0_EEPmJS6_EEE10hipError_tPvRmT3_T4_T5_T6_T7_T9_mT8_P12ihipStream_tbDpT10_ENKUlT_T0_E_clISt17integral_constantIbLb0EES1C_EEDaS17_S18_EUlS17_E_NS1_11comp_targetILNS1_3genE3ELNS1_11target_archE908ELNS1_3gpuE7ELNS1_3repE0EEENS1_30default_config_static_selectorELNS0_4arch9wavefront6targetE1EEEvT1_,comdat
.Lfunc_end1054:
	.size	_ZN7rocprim17ROCPRIM_400000_NS6detail17trampoline_kernelINS0_14default_configENS1_25partition_config_selectorILNS1_17partition_subalgoE8ElNS0_10empty_typeEbEEZZNS1_14partition_implILS5_8ELb0ES3_jPlPS6_PKS6_NS0_5tupleIJS9_S6_EEENSD_IJSA_SA_EEENS0_18inequality_wrapperIZN2at6native12_GLOBAL__N_124unique_dim_cuda_templateIbEESt5tupleIJNSH_6TensorESM_SM_EERKSM_lbbbEUlllE0_EEPmJS6_EEE10hipError_tPvRmT3_T4_T5_T6_T7_T9_mT8_P12ihipStream_tbDpT10_ENKUlT_T0_E_clISt17integral_constantIbLb0EES1C_EEDaS17_S18_EUlS17_E_NS1_11comp_targetILNS1_3genE3ELNS1_11target_archE908ELNS1_3gpuE7ELNS1_3repE0EEENS1_30default_config_static_selectorELNS0_4arch9wavefront6targetE1EEEvT1_, .Lfunc_end1054-_ZN7rocprim17ROCPRIM_400000_NS6detail17trampoline_kernelINS0_14default_configENS1_25partition_config_selectorILNS1_17partition_subalgoE8ElNS0_10empty_typeEbEEZZNS1_14partition_implILS5_8ELb0ES3_jPlPS6_PKS6_NS0_5tupleIJS9_S6_EEENSD_IJSA_SA_EEENS0_18inequality_wrapperIZN2at6native12_GLOBAL__N_124unique_dim_cuda_templateIbEESt5tupleIJNSH_6TensorESM_SM_EERKSM_lbbbEUlllE0_EEPmJS6_EEE10hipError_tPvRmT3_T4_T5_T6_T7_T9_mT8_P12ihipStream_tbDpT10_ENKUlT_T0_E_clISt17integral_constantIbLb0EES1C_EEDaS17_S18_EUlS17_E_NS1_11comp_targetILNS1_3genE3ELNS1_11target_archE908ELNS1_3gpuE7ELNS1_3repE0EEENS1_30default_config_static_selectorELNS0_4arch9wavefront6targetE1EEEvT1_
                                        ; -- End function
	.set _ZN7rocprim17ROCPRIM_400000_NS6detail17trampoline_kernelINS0_14default_configENS1_25partition_config_selectorILNS1_17partition_subalgoE8ElNS0_10empty_typeEbEEZZNS1_14partition_implILS5_8ELb0ES3_jPlPS6_PKS6_NS0_5tupleIJS9_S6_EEENSD_IJSA_SA_EEENS0_18inequality_wrapperIZN2at6native12_GLOBAL__N_124unique_dim_cuda_templateIbEESt5tupleIJNSH_6TensorESM_SM_EERKSM_lbbbEUlllE0_EEPmJS6_EEE10hipError_tPvRmT3_T4_T5_T6_T7_T9_mT8_P12ihipStream_tbDpT10_ENKUlT_T0_E_clISt17integral_constantIbLb0EES1C_EEDaS17_S18_EUlS17_E_NS1_11comp_targetILNS1_3genE3ELNS1_11target_archE908ELNS1_3gpuE7ELNS1_3repE0EEENS1_30default_config_static_selectorELNS0_4arch9wavefront6targetE1EEEvT1_.num_vgpr, 0
	.set _ZN7rocprim17ROCPRIM_400000_NS6detail17trampoline_kernelINS0_14default_configENS1_25partition_config_selectorILNS1_17partition_subalgoE8ElNS0_10empty_typeEbEEZZNS1_14partition_implILS5_8ELb0ES3_jPlPS6_PKS6_NS0_5tupleIJS9_S6_EEENSD_IJSA_SA_EEENS0_18inequality_wrapperIZN2at6native12_GLOBAL__N_124unique_dim_cuda_templateIbEESt5tupleIJNSH_6TensorESM_SM_EERKSM_lbbbEUlllE0_EEPmJS6_EEE10hipError_tPvRmT3_T4_T5_T6_T7_T9_mT8_P12ihipStream_tbDpT10_ENKUlT_T0_E_clISt17integral_constantIbLb0EES1C_EEDaS17_S18_EUlS17_E_NS1_11comp_targetILNS1_3genE3ELNS1_11target_archE908ELNS1_3gpuE7ELNS1_3repE0EEENS1_30default_config_static_selectorELNS0_4arch9wavefront6targetE1EEEvT1_.num_agpr, 0
	.set _ZN7rocprim17ROCPRIM_400000_NS6detail17trampoline_kernelINS0_14default_configENS1_25partition_config_selectorILNS1_17partition_subalgoE8ElNS0_10empty_typeEbEEZZNS1_14partition_implILS5_8ELb0ES3_jPlPS6_PKS6_NS0_5tupleIJS9_S6_EEENSD_IJSA_SA_EEENS0_18inequality_wrapperIZN2at6native12_GLOBAL__N_124unique_dim_cuda_templateIbEESt5tupleIJNSH_6TensorESM_SM_EERKSM_lbbbEUlllE0_EEPmJS6_EEE10hipError_tPvRmT3_T4_T5_T6_T7_T9_mT8_P12ihipStream_tbDpT10_ENKUlT_T0_E_clISt17integral_constantIbLb0EES1C_EEDaS17_S18_EUlS17_E_NS1_11comp_targetILNS1_3genE3ELNS1_11target_archE908ELNS1_3gpuE7ELNS1_3repE0EEENS1_30default_config_static_selectorELNS0_4arch9wavefront6targetE1EEEvT1_.numbered_sgpr, 0
	.set _ZN7rocprim17ROCPRIM_400000_NS6detail17trampoline_kernelINS0_14default_configENS1_25partition_config_selectorILNS1_17partition_subalgoE8ElNS0_10empty_typeEbEEZZNS1_14partition_implILS5_8ELb0ES3_jPlPS6_PKS6_NS0_5tupleIJS9_S6_EEENSD_IJSA_SA_EEENS0_18inequality_wrapperIZN2at6native12_GLOBAL__N_124unique_dim_cuda_templateIbEESt5tupleIJNSH_6TensorESM_SM_EERKSM_lbbbEUlllE0_EEPmJS6_EEE10hipError_tPvRmT3_T4_T5_T6_T7_T9_mT8_P12ihipStream_tbDpT10_ENKUlT_T0_E_clISt17integral_constantIbLb0EES1C_EEDaS17_S18_EUlS17_E_NS1_11comp_targetILNS1_3genE3ELNS1_11target_archE908ELNS1_3gpuE7ELNS1_3repE0EEENS1_30default_config_static_selectorELNS0_4arch9wavefront6targetE1EEEvT1_.num_named_barrier, 0
	.set _ZN7rocprim17ROCPRIM_400000_NS6detail17trampoline_kernelINS0_14default_configENS1_25partition_config_selectorILNS1_17partition_subalgoE8ElNS0_10empty_typeEbEEZZNS1_14partition_implILS5_8ELb0ES3_jPlPS6_PKS6_NS0_5tupleIJS9_S6_EEENSD_IJSA_SA_EEENS0_18inequality_wrapperIZN2at6native12_GLOBAL__N_124unique_dim_cuda_templateIbEESt5tupleIJNSH_6TensorESM_SM_EERKSM_lbbbEUlllE0_EEPmJS6_EEE10hipError_tPvRmT3_T4_T5_T6_T7_T9_mT8_P12ihipStream_tbDpT10_ENKUlT_T0_E_clISt17integral_constantIbLb0EES1C_EEDaS17_S18_EUlS17_E_NS1_11comp_targetILNS1_3genE3ELNS1_11target_archE908ELNS1_3gpuE7ELNS1_3repE0EEENS1_30default_config_static_selectorELNS0_4arch9wavefront6targetE1EEEvT1_.private_seg_size, 0
	.set _ZN7rocprim17ROCPRIM_400000_NS6detail17trampoline_kernelINS0_14default_configENS1_25partition_config_selectorILNS1_17partition_subalgoE8ElNS0_10empty_typeEbEEZZNS1_14partition_implILS5_8ELb0ES3_jPlPS6_PKS6_NS0_5tupleIJS9_S6_EEENSD_IJSA_SA_EEENS0_18inequality_wrapperIZN2at6native12_GLOBAL__N_124unique_dim_cuda_templateIbEESt5tupleIJNSH_6TensorESM_SM_EERKSM_lbbbEUlllE0_EEPmJS6_EEE10hipError_tPvRmT3_T4_T5_T6_T7_T9_mT8_P12ihipStream_tbDpT10_ENKUlT_T0_E_clISt17integral_constantIbLb0EES1C_EEDaS17_S18_EUlS17_E_NS1_11comp_targetILNS1_3genE3ELNS1_11target_archE908ELNS1_3gpuE7ELNS1_3repE0EEENS1_30default_config_static_selectorELNS0_4arch9wavefront6targetE1EEEvT1_.uses_vcc, 0
	.set _ZN7rocprim17ROCPRIM_400000_NS6detail17trampoline_kernelINS0_14default_configENS1_25partition_config_selectorILNS1_17partition_subalgoE8ElNS0_10empty_typeEbEEZZNS1_14partition_implILS5_8ELb0ES3_jPlPS6_PKS6_NS0_5tupleIJS9_S6_EEENSD_IJSA_SA_EEENS0_18inequality_wrapperIZN2at6native12_GLOBAL__N_124unique_dim_cuda_templateIbEESt5tupleIJNSH_6TensorESM_SM_EERKSM_lbbbEUlllE0_EEPmJS6_EEE10hipError_tPvRmT3_T4_T5_T6_T7_T9_mT8_P12ihipStream_tbDpT10_ENKUlT_T0_E_clISt17integral_constantIbLb0EES1C_EEDaS17_S18_EUlS17_E_NS1_11comp_targetILNS1_3genE3ELNS1_11target_archE908ELNS1_3gpuE7ELNS1_3repE0EEENS1_30default_config_static_selectorELNS0_4arch9wavefront6targetE1EEEvT1_.uses_flat_scratch, 0
	.set _ZN7rocprim17ROCPRIM_400000_NS6detail17trampoline_kernelINS0_14default_configENS1_25partition_config_selectorILNS1_17partition_subalgoE8ElNS0_10empty_typeEbEEZZNS1_14partition_implILS5_8ELb0ES3_jPlPS6_PKS6_NS0_5tupleIJS9_S6_EEENSD_IJSA_SA_EEENS0_18inequality_wrapperIZN2at6native12_GLOBAL__N_124unique_dim_cuda_templateIbEESt5tupleIJNSH_6TensorESM_SM_EERKSM_lbbbEUlllE0_EEPmJS6_EEE10hipError_tPvRmT3_T4_T5_T6_T7_T9_mT8_P12ihipStream_tbDpT10_ENKUlT_T0_E_clISt17integral_constantIbLb0EES1C_EEDaS17_S18_EUlS17_E_NS1_11comp_targetILNS1_3genE3ELNS1_11target_archE908ELNS1_3gpuE7ELNS1_3repE0EEENS1_30default_config_static_selectorELNS0_4arch9wavefront6targetE1EEEvT1_.has_dyn_sized_stack, 0
	.set _ZN7rocprim17ROCPRIM_400000_NS6detail17trampoline_kernelINS0_14default_configENS1_25partition_config_selectorILNS1_17partition_subalgoE8ElNS0_10empty_typeEbEEZZNS1_14partition_implILS5_8ELb0ES3_jPlPS6_PKS6_NS0_5tupleIJS9_S6_EEENSD_IJSA_SA_EEENS0_18inequality_wrapperIZN2at6native12_GLOBAL__N_124unique_dim_cuda_templateIbEESt5tupleIJNSH_6TensorESM_SM_EERKSM_lbbbEUlllE0_EEPmJS6_EEE10hipError_tPvRmT3_T4_T5_T6_T7_T9_mT8_P12ihipStream_tbDpT10_ENKUlT_T0_E_clISt17integral_constantIbLb0EES1C_EEDaS17_S18_EUlS17_E_NS1_11comp_targetILNS1_3genE3ELNS1_11target_archE908ELNS1_3gpuE7ELNS1_3repE0EEENS1_30default_config_static_selectorELNS0_4arch9wavefront6targetE1EEEvT1_.has_recursion, 0
	.set _ZN7rocprim17ROCPRIM_400000_NS6detail17trampoline_kernelINS0_14default_configENS1_25partition_config_selectorILNS1_17partition_subalgoE8ElNS0_10empty_typeEbEEZZNS1_14partition_implILS5_8ELb0ES3_jPlPS6_PKS6_NS0_5tupleIJS9_S6_EEENSD_IJSA_SA_EEENS0_18inequality_wrapperIZN2at6native12_GLOBAL__N_124unique_dim_cuda_templateIbEESt5tupleIJNSH_6TensorESM_SM_EERKSM_lbbbEUlllE0_EEPmJS6_EEE10hipError_tPvRmT3_T4_T5_T6_T7_T9_mT8_P12ihipStream_tbDpT10_ENKUlT_T0_E_clISt17integral_constantIbLb0EES1C_EEDaS17_S18_EUlS17_E_NS1_11comp_targetILNS1_3genE3ELNS1_11target_archE908ELNS1_3gpuE7ELNS1_3repE0EEENS1_30default_config_static_selectorELNS0_4arch9wavefront6targetE1EEEvT1_.has_indirect_call, 0
	.section	.AMDGPU.csdata,"",@progbits
; Kernel info:
; codeLenInByte = 0
; TotalNumSgprs: 6
; NumVgprs: 0
; NumAgprs: 0
; TotalNumVgprs: 0
; ScratchSize: 0
; MemoryBound: 0
; FloatMode: 240
; IeeeMode: 1
; LDSByteSize: 0 bytes/workgroup (compile time only)
; SGPRBlocks: 0
; VGPRBlocks: 0
; NumSGPRsForWavesPerEU: 6
; NumVGPRsForWavesPerEU: 1
; AccumOffset: 4
; Occupancy: 8
; WaveLimiterHint : 0
; COMPUTE_PGM_RSRC2:SCRATCH_EN: 0
; COMPUTE_PGM_RSRC2:USER_SGPR: 2
; COMPUTE_PGM_RSRC2:TRAP_HANDLER: 0
; COMPUTE_PGM_RSRC2:TGID_X_EN: 1
; COMPUTE_PGM_RSRC2:TGID_Y_EN: 0
; COMPUTE_PGM_RSRC2:TGID_Z_EN: 0
; COMPUTE_PGM_RSRC2:TIDIG_COMP_CNT: 0
; COMPUTE_PGM_RSRC3_GFX90A:ACCUM_OFFSET: 0
; COMPUTE_PGM_RSRC3_GFX90A:TG_SPLIT: 0
	.section	.text._ZN7rocprim17ROCPRIM_400000_NS6detail17trampoline_kernelINS0_14default_configENS1_25partition_config_selectorILNS1_17partition_subalgoE8ElNS0_10empty_typeEbEEZZNS1_14partition_implILS5_8ELb0ES3_jPlPS6_PKS6_NS0_5tupleIJS9_S6_EEENSD_IJSA_SA_EEENS0_18inequality_wrapperIZN2at6native12_GLOBAL__N_124unique_dim_cuda_templateIbEESt5tupleIJNSH_6TensorESM_SM_EERKSM_lbbbEUlllE0_EEPmJS6_EEE10hipError_tPvRmT3_T4_T5_T6_T7_T9_mT8_P12ihipStream_tbDpT10_ENKUlT_T0_E_clISt17integral_constantIbLb0EES1C_EEDaS17_S18_EUlS17_E_NS1_11comp_targetILNS1_3genE2ELNS1_11target_archE906ELNS1_3gpuE6ELNS1_3repE0EEENS1_30default_config_static_selectorELNS0_4arch9wavefront6targetE1EEEvT1_,"axG",@progbits,_ZN7rocprim17ROCPRIM_400000_NS6detail17trampoline_kernelINS0_14default_configENS1_25partition_config_selectorILNS1_17partition_subalgoE8ElNS0_10empty_typeEbEEZZNS1_14partition_implILS5_8ELb0ES3_jPlPS6_PKS6_NS0_5tupleIJS9_S6_EEENSD_IJSA_SA_EEENS0_18inequality_wrapperIZN2at6native12_GLOBAL__N_124unique_dim_cuda_templateIbEESt5tupleIJNSH_6TensorESM_SM_EERKSM_lbbbEUlllE0_EEPmJS6_EEE10hipError_tPvRmT3_T4_T5_T6_T7_T9_mT8_P12ihipStream_tbDpT10_ENKUlT_T0_E_clISt17integral_constantIbLb0EES1C_EEDaS17_S18_EUlS17_E_NS1_11comp_targetILNS1_3genE2ELNS1_11target_archE906ELNS1_3gpuE6ELNS1_3repE0EEENS1_30default_config_static_selectorELNS0_4arch9wavefront6targetE1EEEvT1_,comdat
	.globl	_ZN7rocprim17ROCPRIM_400000_NS6detail17trampoline_kernelINS0_14default_configENS1_25partition_config_selectorILNS1_17partition_subalgoE8ElNS0_10empty_typeEbEEZZNS1_14partition_implILS5_8ELb0ES3_jPlPS6_PKS6_NS0_5tupleIJS9_S6_EEENSD_IJSA_SA_EEENS0_18inequality_wrapperIZN2at6native12_GLOBAL__N_124unique_dim_cuda_templateIbEESt5tupleIJNSH_6TensorESM_SM_EERKSM_lbbbEUlllE0_EEPmJS6_EEE10hipError_tPvRmT3_T4_T5_T6_T7_T9_mT8_P12ihipStream_tbDpT10_ENKUlT_T0_E_clISt17integral_constantIbLb0EES1C_EEDaS17_S18_EUlS17_E_NS1_11comp_targetILNS1_3genE2ELNS1_11target_archE906ELNS1_3gpuE6ELNS1_3repE0EEENS1_30default_config_static_selectorELNS0_4arch9wavefront6targetE1EEEvT1_ ; -- Begin function _ZN7rocprim17ROCPRIM_400000_NS6detail17trampoline_kernelINS0_14default_configENS1_25partition_config_selectorILNS1_17partition_subalgoE8ElNS0_10empty_typeEbEEZZNS1_14partition_implILS5_8ELb0ES3_jPlPS6_PKS6_NS0_5tupleIJS9_S6_EEENSD_IJSA_SA_EEENS0_18inequality_wrapperIZN2at6native12_GLOBAL__N_124unique_dim_cuda_templateIbEESt5tupleIJNSH_6TensorESM_SM_EERKSM_lbbbEUlllE0_EEPmJS6_EEE10hipError_tPvRmT3_T4_T5_T6_T7_T9_mT8_P12ihipStream_tbDpT10_ENKUlT_T0_E_clISt17integral_constantIbLb0EES1C_EEDaS17_S18_EUlS17_E_NS1_11comp_targetILNS1_3genE2ELNS1_11target_archE906ELNS1_3gpuE6ELNS1_3repE0EEENS1_30default_config_static_selectorELNS0_4arch9wavefront6targetE1EEEvT1_
	.p2align	8
	.type	_ZN7rocprim17ROCPRIM_400000_NS6detail17trampoline_kernelINS0_14default_configENS1_25partition_config_selectorILNS1_17partition_subalgoE8ElNS0_10empty_typeEbEEZZNS1_14partition_implILS5_8ELb0ES3_jPlPS6_PKS6_NS0_5tupleIJS9_S6_EEENSD_IJSA_SA_EEENS0_18inequality_wrapperIZN2at6native12_GLOBAL__N_124unique_dim_cuda_templateIbEESt5tupleIJNSH_6TensorESM_SM_EERKSM_lbbbEUlllE0_EEPmJS6_EEE10hipError_tPvRmT3_T4_T5_T6_T7_T9_mT8_P12ihipStream_tbDpT10_ENKUlT_T0_E_clISt17integral_constantIbLb0EES1C_EEDaS17_S18_EUlS17_E_NS1_11comp_targetILNS1_3genE2ELNS1_11target_archE906ELNS1_3gpuE6ELNS1_3repE0EEENS1_30default_config_static_selectorELNS0_4arch9wavefront6targetE1EEEvT1_,@function
_ZN7rocprim17ROCPRIM_400000_NS6detail17trampoline_kernelINS0_14default_configENS1_25partition_config_selectorILNS1_17partition_subalgoE8ElNS0_10empty_typeEbEEZZNS1_14partition_implILS5_8ELb0ES3_jPlPS6_PKS6_NS0_5tupleIJS9_S6_EEENSD_IJSA_SA_EEENS0_18inequality_wrapperIZN2at6native12_GLOBAL__N_124unique_dim_cuda_templateIbEESt5tupleIJNSH_6TensorESM_SM_EERKSM_lbbbEUlllE0_EEPmJS6_EEE10hipError_tPvRmT3_T4_T5_T6_T7_T9_mT8_P12ihipStream_tbDpT10_ENKUlT_T0_E_clISt17integral_constantIbLb0EES1C_EEDaS17_S18_EUlS17_E_NS1_11comp_targetILNS1_3genE2ELNS1_11target_archE906ELNS1_3gpuE6ELNS1_3repE0EEENS1_30default_config_static_selectorELNS0_4arch9wavefront6targetE1EEEvT1_: ; @_ZN7rocprim17ROCPRIM_400000_NS6detail17trampoline_kernelINS0_14default_configENS1_25partition_config_selectorILNS1_17partition_subalgoE8ElNS0_10empty_typeEbEEZZNS1_14partition_implILS5_8ELb0ES3_jPlPS6_PKS6_NS0_5tupleIJS9_S6_EEENSD_IJSA_SA_EEENS0_18inequality_wrapperIZN2at6native12_GLOBAL__N_124unique_dim_cuda_templateIbEESt5tupleIJNSH_6TensorESM_SM_EERKSM_lbbbEUlllE0_EEPmJS6_EEE10hipError_tPvRmT3_T4_T5_T6_T7_T9_mT8_P12ihipStream_tbDpT10_ENKUlT_T0_E_clISt17integral_constantIbLb0EES1C_EEDaS17_S18_EUlS17_E_NS1_11comp_targetILNS1_3genE2ELNS1_11target_archE906ELNS1_3gpuE6ELNS1_3repE0EEENS1_30default_config_static_selectorELNS0_4arch9wavefront6targetE1EEEvT1_
; %bb.0:
	.section	.rodata,"a",@progbits
	.p2align	6, 0x0
	.amdhsa_kernel _ZN7rocprim17ROCPRIM_400000_NS6detail17trampoline_kernelINS0_14default_configENS1_25partition_config_selectorILNS1_17partition_subalgoE8ElNS0_10empty_typeEbEEZZNS1_14partition_implILS5_8ELb0ES3_jPlPS6_PKS6_NS0_5tupleIJS9_S6_EEENSD_IJSA_SA_EEENS0_18inequality_wrapperIZN2at6native12_GLOBAL__N_124unique_dim_cuda_templateIbEESt5tupleIJNSH_6TensorESM_SM_EERKSM_lbbbEUlllE0_EEPmJS6_EEE10hipError_tPvRmT3_T4_T5_T6_T7_T9_mT8_P12ihipStream_tbDpT10_ENKUlT_T0_E_clISt17integral_constantIbLb0EES1C_EEDaS17_S18_EUlS17_E_NS1_11comp_targetILNS1_3genE2ELNS1_11target_archE906ELNS1_3gpuE6ELNS1_3repE0EEENS1_30default_config_static_selectorELNS0_4arch9wavefront6targetE1EEEvT1_
		.amdhsa_group_segment_fixed_size 0
		.amdhsa_private_segment_fixed_size 0
		.amdhsa_kernarg_size 120
		.amdhsa_user_sgpr_count 2
		.amdhsa_user_sgpr_dispatch_ptr 0
		.amdhsa_user_sgpr_queue_ptr 0
		.amdhsa_user_sgpr_kernarg_segment_ptr 1
		.amdhsa_user_sgpr_dispatch_id 0
		.amdhsa_user_sgpr_kernarg_preload_length 0
		.amdhsa_user_sgpr_kernarg_preload_offset 0
		.amdhsa_user_sgpr_private_segment_size 0
		.amdhsa_uses_dynamic_stack 0
		.amdhsa_enable_private_segment 0
		.amdhsa_system_sgpr_workgroup_id_x 1
		.amdhsa_system_sgpr_workgroup_id_y 0
		.amdhsa_system_sgpr_workgroup_id_z 0
		.amdhsa_system_sgpr_workgroup_info 0
		.amdhsa_system_vgpr_workitem_id 0
		.amdhsa_next_free_vgpr 1
		.amdhsa_next_free_sgpr 0
		.amdhsa_accum_offset 4
		.amdhsa_reserve_vcc 0
		.amdhsa_float_round_mode_32 0
		.amdhsa_float_round_mode_16_64 0
		.amdhsa_float_denorm_mode_32 3
		.amdhsa_float_denorm_mode_16_64 3
		.amdhsa_dx10_clamp 1
		.amdhsa_ieee_mode 1
		.amdhsa_fp16_overflow 0
		.amdhsa_tg_split 0
		.amdhsa_exception_fp_ieee_invalid_op 0
		.amdhsa_exception_fp_denorm_src 0
		.amdhsa_exception_fp_ieee_div_zero 0
		.amdhsa_exception_fp_ieee_overflow 0
		.amdhsa_exception_fp_ieee_underflow 0
		.amdhsa_exception_fp_ieee_inexact 0
		.amdhsa_exception_int_div_zero 0
	.end_amdhsa_kernel
	.section	.text._ZN7rocprim17ROCPRIM_400000_NS6detail17trampoline_kernelINS0_14default_configENS1_25partition_config_selectorILNS1_17partition_subalgoE8ElNS0_10empty_typeEbEEZZNS1_14partition_implILS5_8ELb0ES3_jPlPS6_PKS6_NS0_5tupleIJS9_S6_EEENSD_IJSA_SA_EEENS0_18inequality_wrapperIZN2at6native12_GLOBAL__N_124unique_dim_cuda_templateIbEESt5tupleIJNSH_6TensorESM_SM_EERKSM_lbbbEUlllE0_EEPmJS6_EEE10hipError_tPvRmT3_T4_T5_T6_T7_T9_mT8_P12ihipStream_tbDpT10_ENKUlT_T0_E_clISt17integral_constantIbLb0EES1C_EEDaS17_S18_EUlS17_E_NS1_11comp_targetILNS1_3genE2ELNS1_11target_archE906ELNS1_3gpuE6ELNS1_3repE0EEENS1_30default_config_static_selectorELNS0_4arch9wavefront6targetE1EEEvT1_,"axG",@progbits,_ZN7rocprim17ROCPRIM_400000_NS6detail17trampoline_kernelINS0_14default_configENS1_25partition_config_selectorILNS1_17partition_subalgoE8ElNS0_10empty_typeEbEEZZNS1_14partition_implILS5_8ELb0ES3_jPlPS6_PKS6_NS0_5tupleIJS9_S6_EEENSD_IJSA_SA_EEENS0_18inequality_wrapperIZN2at6native12_GLOBAL__N_124unique_dim_cuda_templateIbEESt5tupleIJNSH_6TensorESM_SM_EERKSM_lbbbEUlllE0_EEPmJS6_EEE10hipError_tPvRmT3_T4_T5_T6_T7_T9_mT8_P12ihipStream_tbDpT10_ENKUlT_T0_E_clISt17integral_constantIbLb0EES1C_EEDaS17_S18_EUlS17_E_NS1_11comp_targetILNS1_3genE2ELNS1_11target_archE906ELNS1_3gpuE6ELNS1_3repE0EEENS1_30default_config_static_selectorELNS0_4arch9wavefront6targetE1EEEvT1_,comdat
.Lfunc_end1055:
	.size	_ZN7rocprim17ROCPRIM_400000_NS6detail17trampoline_kernelINS0_14default_configENS1_25partition_config_selectorILNS1_17partition_subalgoE8ElNS0_10empty_typeEbEEZZNS1_14partition_implILS5_8ELb0ES3_jPlPS6_PKS6_NS0_5tupleIJS9_S6_EEENSD_IJSA_SA_EEENS0_18inequality_wrapperIZN2at6native12_GLOBAL__N_124unique_dim_cuda_templateIbEESt5tupleIJNSH_6TensorESM_SM_EERKSM_lbbbEUlllE0_EEPmJS6_EEE10hipError_tPvRmT3_T4_T5_T6_T7_T9_mT8_P12ihipStream_tbDpT10_ENKUlT_T0_E_clISt17integral_constantIbLb0EES1C_EEDaS17_S18_EUlS17_E_NS1_11comp_targetILNS1_3genE2ELNS1_11target_archE906ELNS1_3gpuE6ELNS1_3repE0EEENS1_30default_config_static_selectorELNS0_4arch9wavefront6targetE1EEEvT1_, .Lfunc_end1055-_ZN7rocprim17ROCPRIM_400000_NS6detail17trampoline_kernelINS0_14default_configENS1_25partition_config_selectorILNS1_17partition_subalgoE8ElNS0_10empty_typeEbEEZZNS1_14partition_implILS5_8ELb0ES3_jPlPS6_PKS6_NS0_5tupleIJS9_S6_EEENSD_IJSA_SA_EEENS0_18inequality_wrapperIZN2at6native12_GLOBAL__N_124unique_dim_cuda_templateIbEESt5tupleIJNSH_6TensorESM_SM_EERKSM_lbbbEUlllE0_EEPmJS6_EEE10hipError_tPvRmT3_T4_T5_T6_T7_T9_mT8_P12ihipStream_tbDpT10_ENKUlT_T0_E_clISt17integral_constantIbLb0EES1C_EEDaS17_S18_EUlS17_E_NS1_11comp_targetILNS1_3genE2ELNS1_11target_archE906ELNS1_3gpuE6ELNS1_3repE0EEENS1_30default_config_static_selectorELNS0_4arch9wavefront6targetE1EEEvT1_
                                        ; -- End function
	.set _ZN7rocprim17ROCPRIM_400000_NS6detail17trampoline_kernelINS0_14default_configENS1_25partition_config_selectorILNS1_17partition_subalgoE8ElNS0_10empty_typeEbEEZZNS1_14partition_implILS5_8ELb0ES3_jPlPS6_PKS6_NS0_5tupleIJS9_S6_EEENSD_IJSA_SA_EEENS0_18inequality_wrapperIZN2at6native12_GLOBAL__N_124unique_dim_cuda_templateIbEESt5tupleIJNSH_6TensorESM_SM_EERKSM_lbbbEUlllE0_EEPmJS6_EEE10hipError_tPvRmT3_T4_T5_T6_T7_T9_mT8_P12ihipStream_tbDpT10_ENKUlT_T0_E_clISt17integral_constantIbLb0EES1C_EEDaS17_S18_EUlS17_E_NS1_11comp_targetILNS1_3genE2ELNS1_11target_archE906ELNS1_3gpuE6ELNS1_3repE0EEENS1_30default_config_static_selectorELNS0_4arch9wavefront6targetE1EEEvT1_.num_vgpr, 0
	.set _ZN7rocprim17ROCPRIM_400000_NS6detail17trampoline_kernelINS0_14default_configENS1_25partition_config_selectorILNS1_17partition_subalgoE8ElNS0_10empty_typeEbEEZZNS1_14partition_implILS5_8ELb0ES3_jPlPS6_PKS6_NS0_5tupleIJS9_S6_EEENSD_IJSA_SA_EEENS0_18inequality_wrapperIZN2at6native12_GLOBAL__N_124unique_dim_cuda_templateIbEESt5tupleIJNSH_6TensorESM_SM_EERKSM_lbbbEUlllE0_EEPmJS6_EEE10hipError_tPvRmT3_T4_T5_T6_T7_T9_mT8_P12ihipStream_tbDpT10_ENKUlT_T0_E_clISt17integral_constantIbLb0EES1C_EEDaS17_S18_EUlS17_E_NS1_11comp_targetILNS1_3genE2ELNS1_11target_archE906ELNS1_3gpuE6ELNS1_3repE0EEENS1_30default_config_static_selectorELNS0_4arch9wavefront6targetE1EEEvT1_.num_agpr, 0
	.set _ZN7rocprim17ROCPRIM_400000_NS6detail17trampoline_kernelINS0_14default_configENS1_25partition_config_selectorILNS1_17partition_subalgoE8ElNS0_10empty_typeEbEEZZNS1_14partition_implILS5_8ELb0ES3_jPlPS6_PKS6_NS0_5tupleIJS9_S6_EEENSD_IJSA_SA_EEENS0_18inequality_wrapperIZN2at6native12_GLOBAL__N_124unique_dim_cuda_templateIbEESt5tupleIJNSH_6TensorESM_SM_EERKSM_lbbbEUlllE0_EEPmJS6_EEE10hipError_tPvRmT3_T4_T5_T6_T7_T9_mT8_P12ihipStream_tbDpT10_ENKUlT_T0_E_clISt17integral_constantIbLb0EES1C_EEDaS17_S18_EUlS17_E_NS1_11comp_targetILNS1_3genE2ELNS1_11target_archE906ELNS1_3gpuE6ELNS1_3repE0EEENS1_30default_config_static_selectorELNS0_4arch9wavefront6targetE1EEEvT1_.numbered_sgpr, 0
	.set _ZN7rocprim17ROCPRIM_400000_NS6detail17trampoline_kernelINS0_14default_configENS1_25partition_config_selectorILNS1_17partition_subalgoE8ElNS0_10empty_typeEbEEZZNS1_14partition_implILS5_8ELb0ES3_jPlPS6_PKS6_NS0_5tupleIJS9_S6_EEENSD_IJSA_SA_EEENS0_18inequality_wrapperIZN2at6native12_GLOBAL__N_124unique_dim_cuda_templateIbEESt5tupleIJNSH_6TensorESM_SM_EERKSM_lbbbEUlllE0_EEPmJS6_EEE10hipError_tPvRmT3_T4_T5_T6_T7_T9_mT8_P12ihipStream_tbDpT10_ENKUlT_T0_E_clISt17integral_constantIbLb0EES1C_EEDaS17_S18_EUlS17_E_NS1_11comp_targetILNS1_3genE2ELNS1_11target_archE906ELNS1_3gpuE6ELNS1_3repE0EEENS1_30default_config_static_selectorELNS0_4arch9wavefront6targetE1EEEvT1_.num_named_barrier, 0
	.set _ZN7rocprim17ROCPRIM_400000_NS6detail17trampoline_kernelINS0_14default_configENS1_25partition_config_selectorILNS1_17partition_subalgoE8ElNS0_10empty_typeEbEEZZNS1_14partition_implILS5_8ELb0ES3_jPlPS6_PKS6_NS0_5tupleIJS9_S6_EEENSD_IJSA_SA_EEENS0_18inequality_wrapperIZN2at6native12_GLOBAL__N_124unique_dim_cuda_templateIbEESt5tupleIJNSH_6TensorESM_SM_EERKSM_lbbbEUlllE0_EEPmJS6_EEE10hipError_tPvRmT3_T4_T5_T6_T7_T9_mT8_P12ihipStream_tbDpT10_ENKUlT_T0_E_clISt17integral_constantIbLb0EES1C_EEDaS17_S18_EUlS17_E_NS1_11comp_targetILNS1_3genE2ELNS1_11target_archE906ELNS1_3gpuE6ELNS1_3repE0EEENS1_30default_config_static_selectorELNS0_4arch9wavefront6targetE1EEEvT1_.private_seg_size, 0
	.set _ZN7rocprim17ROCPRIM_400000_NS6detail17trampoline_kernelINS0_14default_configENS1_25partition_config_selectorILNS1_17partition_subalgoE8ElNS0_10empty_typeEbEEZZNS1_14partition_implILS5_8ELb0ES3_jPlPS6_PKS6_NS0_5tupleIJS9_S6_EEENSD_IJSA_SA_EEENS0_18inequality_wrapperIZN2at6native12_GLOBAL__N_124unique_dim_cuda_templateIbEESt5tupleIJNSH_6TensorESM_SM_EERKSM_lbbbEUlllE0_EEPmJS6_EEE10hipError_tPvRmT3_T4_T5_T6_T7_T9_mT8_P12ihipStream_tbDpT10_ENKUlT_T0_E_clISt17integral_constantIbLb0EES1C_EEDaS17_S18_EUlS17_E_NS1_11comp_targetILNS1_3genE2ELNS1_11target_archE906ELNS1_3gpuE6ELNS1_3repE0EEENS1_30default_config_static_selectorELNS0_4arch9wavefront6targetE1EEEvT1_.uses_vcc, 0
	.set _ZN7rocprim17ROCPRIM_400000_NS6detail17trampoline_kernelINS0_14default_configENS1_25partition_config_selectorILNS1_17partition_subalgoE8ElNS0_10empty_typeEbEEZZNS1_14partition_implILS5_8ELb0ES3_jPlPS6_PKS6_NS0_5tupleIJS9_S6_EEENSD_IJSA_SA_EEENS0_18inequality_wrapperIZN2at6native12_GLOBAL__N_124unique_dim_cuda_templateIbEESt5tupleIJNSH_6TensorESM_SM_EERKSM_lbbbEUlllE0_EEPmJS6_EEE10hipError_tPvRmT3_T4_T5_T6_T7_T9_mT8_P12ihipStream_tbDpT10_ENKUlT_T0_E_clISt17integral_constantIbLb0EES1C_EEDaS17_S18_EUlS17_E_NS1_11comp_targetILNS1_3genE2ELNS1_11target_archE906ELNS1_3gpuE6ELNS1_3repE0EEENS1_30default_config_static_selectorELNS0_4arch9wavefront6targetE1EEEvT1_.uses_flat_scratch, 0
	.set _ZN7rocprim17ROCPRIM_400000_NS6detail17trampoline_kernelINS0_14default_configENS1_25partition_config_selectorILNS1_17partition_subalgoE8ElNS0_10empty_typeEbEEZZNS1_14partition_implILS5_8ELb0ES3_jPlPS6_PKS6_NS0_5tupleIJS9_S6_EEENSD_IJSA_SA_EEENS0_18inequality_wrapperIZN2at6native12_GLOBAL__N_124unique_dim_cuda_templateIbEESt5tupleIJNSH_6TensorESM_SM_EERKSM_lbbbEUlllE0_EEPmJS6_EEE10hipError_tPvRmT3_T4_T5_T6_T7_T9_mT8_P12ihipStream_tbDpT10_ENKUlT_T0_E_clISt17integral_constantIbLb0EES1C_EEDaS17_S18_EUlS17_E_NS1_11comp_targetILNS1_3genE2ELNS1_11target_archE906ELNS1_3gpuE6ELNS1_3repE0EEENS1_30default_config_static_selectorELNS0_4arch9wavefront6targetE1EEEvT1_.has_dyn_sized_stack, 0
	.set _ZN7rocprim17ROCPRIM_400000_NS6detail17trampoline_kernelINS0_14default_configENS1_25partition_config_selectorILNS1_17partition_subalgoE8ElNS0_10empty_typeEbEEZZNS1_14partition_implILS5_8ELb0ES3_jPlPS6_PKS6_NS0_5tupleIJS9_S6_EEENSD_IJSA_SA_EEENS0_18inequality_wrapperIZN2at6native12_GLOBAL__N_124unique_dim_cuda_templateIbEESt5tupleIJNSH_6TensorESM_SM_EERKSM_lbbbEUlllE0_EEPmJS6_EEE10hipError_tPvRmT3_T4_T5_T6_T7_T9_mT8_P12ihipStream_tbDpT10_ENKUlT_T0_E_clISt17integral_constantIbLb0EES1C_EEDaS17_S18_EUlS17_E_NS1_11comp_targetILNS1_3genE2ELNS1_11target_archE906ELNS1_3gpuE6ELNS1_3repE0EEENS1_30default_config_static_selectorELNS0_4arch9wavefront6targetE1EEEvT1_.has_recursion, 0
	.set _ZN7rocprim17ROCPRIM_400000_NS6detail17trampoline_kernelINS0_14default_configENS1_25partition_config_selectorILNS1_17partition_subalgoE8ElNS0_10empty_typeEbEEZZNS1_14partition_implILS5_8ELb0ES3_jPlPS6_PKS6_NS0_5tupleIJS9_S6_EEENSD_IJSA_SA_EEENS0_18inequality_wrapperIZN2at6native12_GLOBAL__N_124unique_dim_cuda_templateIbEESt5tupleIJNSH_6TensorESM_SM_EERKSM_lbbbEUlllE0_EEPmJS6_EEE10hipError_tPvRmT3_T4_T5_T6_T7_T9_mT8_P12ihipStream_tbDpT10_ENKUlT_T0_E_clISt17integral_constantIbLb0EES1C_EEDaS17_S18_EUlS17_E_NS1_11comp_targetILNS1_3genE2ELNS1_11target_archE906ELNS1_3gpuE6ELNS1_3repE0EEENS1_30default_config_static_selectorELNS0_4arch9wavefront6targetE1EEEvT1_.has_indirect_call, 0
	.section	.AMDGPU.csdata,"",@progbits
; Kernel info:
; codeLenInByte = 0
; TotalNumSgprs: 6
; NumVgprs: 0
; NumAgprs: 0
; TotalNumVgprs: 0
; ScratchSize: 0
; MemoryBound: 0
; FloatMode: 240
; IeeeMode: 1
; LDSByteSize: 0 bytes/workgroup (compile time only)
; SGPRBlocks: 0
; VGPRBlocks: 0
; NumSGPRsForWavesPerEU: 6
; NumVGPRsForWavesPerEU: 1
; AccumOffset: 4
; Occupancy: 8
; WaveLimiterHint : 0
; COMPUTE_PGM_RSRC2:SCRATCH_EN: 0
; COMPUTE_PGM_RSRC2:USER_SGPR: 2
; COMPUTE_PGM_RSRC2:TRAP_HANDLER: 0
; COMPUTE_PGM_RSRC2:TGID_X_EN: 1
; COMPUTE_PGM_RSRC2:TGID_Y_EN: 0
; COMPUTE_PGM_RSRC2:TGID_Z_EN: 0
; COMPUTE_PGM_RSRC2:TIDIG_COMP_CNT: 0
; COMPUTE_PGM_RSRC3_GFX90A:ACCUM_OFFSET: 0
; COMPUTE_PGM_RSRC3_GFX90A:TG_SPLIT: 0
	.section	.text._ZN7rocprim17ROCPRIM_400000_NS6detail17trampoline_kernelINS0_14default_configENS1_25partition_config_selectorILNS1_17partition_subalgoE8ElNS0_10empty_typeEbEEZZNS1_14partition_implILS5_8ELb0ES3_jPlPS6_PKS6_NS0_5tupleIJS9_S6_EEENSD_IJSA_SA_EEENS0_18inequality_wrapperIZN2at6native12_GLOBAL__N_124unique_dim_cuda_templateIbEESt5tupleIJNSH_6TensorESM_SM_EERKSM_lbbbEUlllE0_EEPmJS6_EEE10hipError_tPvRmT3_T4_T5_T6_T7_T9_mT8_P12ihipStream_tbDpT10_ENKUlT_T0_E_clISt17integral_constantIbLb0EES1C_EEDaS17_S18_EUlS17_E_NS1_11comp_targetILNS1_3genE10ELNS1_11target_archE1200ELNS1_3gpuE4ELNS1_3repE0EEENS1_30default_config_static_selectorELNS0_4arch9wavefront6targetE1EEEvT1_,"axG",@progbits,_ZN7rocprim17ROCPRIM_400000_NS6detail17trampoline_kernelINS0_14default_configENS1_25partition_config_selectorILNS1_17partition_subalgoE8ElNS0_10empty_typeEbEEZZNS1_14partition_implILS5_8ELb0ES3_jPlPS6_PKS6_NS0_5tupleIJS9_S6_EEENSD_IJSA_SA_EEENS0_18inequality_wrapperIZN2at6native12_GLOBAL__N_124unique_dim_cuda_templateIbEESt5tupleIJNSH_6TensorESM_SM_EERKSM_lbbbEUlllE0_EEPmJS6_EEE10hipError_tPvRmT3_T4_T5_T6_T7_T9_mT8_P12ihipStream_tbDpT10_ENKUlT_T0_E_clISt17integral_constantIbLb0EES1C_EEDaS17_S18_EUlS17_E_NS1_11comp_targetILNS1_3genE10ELNS1_11target_archE1200ELNS1_3gpuE4ELNS1_3repE0EEENS1_30default_config_static_selectorELNS0_4arch9wavefront6targetE1EEEvT1_,comdat
	.globl	_ZN7rocprim17ROCPRIM_400000_NS6detail17trampoline_kernelINS0_14default_configENS1_25partition_config_selectorILNS1_17partition_subalgoE8ElNS0_10empty_typeEbEEZZNS1_14partition_implILS5_8ELb0ES3_jPlPS6_PKS6_NS0_5tupleIJS9_S6_EEENSD_IJSA_SA_EEENS0_18inequality_wrapperIZN2at6native12_GLOBAL__N_124unique_dim_cuda_templateIbEESt5tupleIJNSH_6TensorESM_SM_EERKSM_lbbbEUlllE0_EEPmJS6_EEE10hipError_tPvRmT3_T4_T5_T6_T7_T9_mT8_P12ihipStream_tbDpT10_ENKUlT_T0_E_clISt17integral_constantIbLb0EES1C_EEDaS17_S18_EUlS17_E_NS1_11comp_targetILNS1_3genE10ELNS1_11target_archE1200ELNS1_3gpuE4ELNS1_3repE0EEENS1_30default_config_static_selectorELNS0_4arch9wavefront6targetE1EEEvT1_ ; -- Begin function _ZN7rocprim17ROCPRIM_400000_NS6detail17trampoline_kernelINS0_14default_configENS1_25partition_config_selectorILNS1_17partition_subalgoE8ElNS0_10empty_typeEbEEZZNS1_14partition_implILS5_8ELb0ES3_jPlPS6_PKS6_NS0_5tupleIJS9_S6_EEENSD_IJSA_SA_EEENS0_18inequality_wrapperIZN2at6native12_GLOBAL__N_124unique_dim_cuda_templateIbEESt5tupleIJNSH_6TensorESM_SM_EERKSM_lbbbEUlllE0_EEPmJS6_EEE10hipError_tPvRmT3_T4_T5_T6_T7_T9_mT8_P12ihipStream_tbDpT10_ENKUlT_T0_E_clISt17integral_constantIbLb0EES1C_EEDaS17_S18_EUlS17_E_NS1_11comp_targetILNS1_3genE10ELNS1_11target_archE1200ELNS1_3gpuE4ELNS1_3repE0EEENS1_30default_config_static_selectorELNS0_4arch9wavefront6targetE1EEEvT1_
	.p2align	8
	.type	_ZN7rocprim17ROCPRIM_400000_NS6detail17trampoline_kernelINS0_14default_configENS1_25partition_config_selectorILNS1_17partition_subalgoE8ElNS0_10empty_typeEbEEZZNS1_14partition_implILS5_8ELb0ES3_jPlPS6_PKS6_NS0_5tupleIJS9_S6_EEENSD_IJSA_SA_EEENS0_18inequality_wrapperIZN2at6native12_GLOBAL__N_124unique_dim_cuda_templateIbEESt5tupleIJNSH_6TensorESM_SM_EERKSM_lbbbEUlllE0_EEPmJS6_EEE10hipError_tPvRmT3_T4_T5_T6_T7_T9_mT8_P12ihipStream_tbDpT10_ENKUlT_T0_E_clISt17integral_constantIbLb0EES1C_EEDaS17_S18_EUlS17_E_NS1_11comp_targetILNS1_3genE10ELNS1_11target_archE1200ELNS1_3gpuE4ELNS1_3repE0EEENS1_30default_config_static_selectorELNS0_4arch9wavefront6targetE1EEEvT1_,@function
_ZN7rocprim17ROCPRIM_400000_NS6detail17trampoline_kernelINS0_14default_configENS1_25partition_config_selectorILNS1_17partition_subalgoE8ElNS0_10empty_typeEbEEZZNS1_14partition_implILS5_8ELb0ES3_jPlPS6_PKS6_NS0_5tupleIJS9_S6_EEENSD_IJSA_SA_EEENS0_18inequality_wrapperIZN2at6native12_GLOBAL__N_124unique_dim_cuda_templateIbEESt5tupleIJNSH_6TensorESM_SM_EERKSM_lbbbEUlllE0_EEPmJS6_EEE10hipError_tPvRmT3_T4_T5_T6_T7_T9_mT8_P12ihipStream_tbDpT10_ENKUlT_T0_E_clISt17integral_constantIbLb0EES1C_EEDaS17_S18_EUlS17_E_NS1_11comp_targetILNS1_3genE10ELNS1_11target_archE1200ELNS1_3gpuE4ELNS1_3repE0EEENS1_30default_config_static_selectorELNS0_4arch9wavefront6targetE1EEEvT1_: ; @_ZN7rocprim17ROCPRIM_400000_NS6detail17trampoline_kernelINS0_14default_configENS1_25partition_config_selectorILNS1_17partition_subalgoE8ElNS0_10empty_typeEbEEZZNS1_14partition_implILS5_8ELb0ES3_jPlPS6_PKS6_NS0_5tupleIJS9_S6_EEENSD_IJSA_SA_EEENS0_18inequality_wrapperIZN2at6native12_GLOBAL__N_124unique_dim_cuda_templateIbEESt5tupleIJNSH_6TensorESM_SM_EERKSM_lbbbEUlllE0_EEPmJS6_EEE10hipError_tPvRmT3_T4_T5_T6_T7_T9_mT8_P12ihipStream_tbDpT10_ENKUlT_T0_E_clISt17integral_constantIbLb0EES1C_EEDaS17_S18_EUlS17_E_NS1_11comp_targetILNS1_3genE10ELNS1_11target_archE1200ELNS1_3gpuE4ELNS1_3repE0EEENS1_30default_config_static_selectorELNS0_4arch9wavefront6targetE1EEEvT1_
; %bb.0:
	.section	.rodata,"a",@progbits
	.p2align	6, 0x0
	.amdhsa_kernel _ZN7rocprim17ROCPRIM_400000_NS6detail17trampoline_kernelINS0_14default_configENS1_25partition_config_selectorILNS1_17partition_subalgoE8ElNS0_10empty_typeEbEEZZNS1_14partition_implILS5_8ELb0ES3_jPlPS6_PKS6_NS0_5tupleIJS9_S6_EEENSD_IJSA_SA_EEENS0_18inequality_wrapperIZN2at6native12_GLOBAL__N_124unique_dim_cuda_templateIbEESt5tupleIJNSH_6TensorESM_SM_EERKSM_lbbbEUlllE0_EEPmJS6_EEE10hipError_tPvRmT3_T4_T5_T6_T7_T9_mT8_P12ihipStream_tbDpT10_ENKUlT_T0_E_clISt17integral_constantIbLb0EES1C_EEDaS17_S18_EUlS17_E_NS1_11comp_targetILNS1_3genE10ELNS1_11target_archE1200ELNS1_3gpuE4ELNS1_3repE0EEENS1_30default_config_static_selectorELNS0_4arch9wavefront6targetE1EEEvT1_
		.amdhsa_group_segment_fixed_size 0
		.amdhsa_private_segment_fixed_size 0
		.amdhsa_kernarg_size 120
		.amdhsa_user_sgpr_count 2
		.amdhsa_user_sgpr_dispatch_ptr 0
		.amdhsa_user_sgpr_queue_ptr 0
		.amdhsa_user_sgpr_kernarg_segment_ptr 1
		.amdhsa_user_sgpr_dispatch_id 0
		.amdhsa_user_sgpr_kernarg_preload_length 0
		.amdhsa_user_sgpr_kernarg_preload_offset 0
		.amdhsa_user_sgpr_private_segment_size 0
		.amdhsa_uses_dynamic_stack 0
		.amdhsa_enable_private_segment 0
		.amdhsa_system_sgpr_workgroup_id_x 1
		.amdhsa_system_sgpr_workgroup_id_y 0
		.amdhsa_system_sgpr_workgroup_id_z 0
		.amdhsa_system_sgpr_workgroup_info 0
		.amdhsa_system_vgpr_workitem_id 0
		.amdhsa_next_free_vgpr 1
		.amdhsa_next_free_sgpr 0
		.amdhsa_accum_offset 4
		.amdhsa_reserve_vcc 0
		.amdhsa_float_round_mode_32 0
		.amdhsa_float_round_mode_16_64 0
		.amdhsa_float_denorm_mode_32 3
		.amdhsa_float_denorm_mode_16_64 3
		.amdhsa_dx10_clamp 1
		.amdhsa_ieee_mode 1
		.amdhsa_fp16_overflow 0
		.amdhsa_tg_split 0
		.amdhsa_exception_fp_ieee_invalid_op 0
		.amdhsa_exception_fp_denorm_src 0
		.amdhsa_exception_fp_ieee_div_zero 0
		.amdhsa_exception_fp_ieee_overflow 0
		.amdhsa_exception_fp_ieee_underflow 0
		.amdhsa_exception_fp_ieee_inexact 0
		.amdhsa_exception_int_div_zero 0
	.end_amdhsa_kernel
	.section	.text._ZN7rocprim17ROCPRIM_400000_NS6detail17trampoline_kernelINS0_14default_configENS1_25partition_config_selectorILNS1_17partition_subalgoE8ElNS0_10empty_typeEbEEZZNS1_14partition_implILS5_8ELb0ES3_jPlPS6_PKS6_NS0_5tupleIJS9_S6_EEENSD_IJSA_SA_EEENS0_18inequality_wrapperIZN2at6native12_GLOBAL__N_124unique_dim_cuda_templateIbEESt5tupleIJNSH_6TensorESM_SM_EERKSM_lbbbEUlllE0_EEPmJS6_EEE10hipError_tPvRmT3_T4_T5_T6_T7_T9_mT8_P12ihipStream_tbDpT10_ENKUlT_T0_E_clISt17integral_constantIbLb0EES1C_EEDaS17_S18_EUlS17_E_NS1_11comp_targetILNS1_3genE10ELNS1_11target_archE1200ELNS1_3gpuE4ELNS1_3repE0EEENS1_30default_config_static_selectorELNS0_4arch9wavefront6targetE1EEEvT1_,"axG",@progbits,_ZN7rocprim17ROCPRIM_400000_NS6detail17trampoline_kernelINS0_14default_configENS1_25partition_config_selectorILNS1_17partition_subalgoE8ElNS0_10empty_typeEbEEZZNS1_14partition_implILS5_8ELb0ES3_jPlPS6_PKS6_NS0_5tupleIJS9_S6_EEENSD_IJSA_SA_EEENS0_18inequality_wrapperIZN2at6native12_GLOBAL__N_124unique_dim_cuda_templateIbEESt5tupleIJNSH_6TensorESM_SM_EERKSM_lbbbEUlllE0_EEPmJS6_EEE10hipError_tPvRmT3_T4_T5_T6_T7_T9_mT8_P12ihipStream_tbDpT10_ENKUlT_T0_E_clISt17integral_constantIbLb0EES1C_EEDaS17_S18_EUlS17_E_NS1_11comp_targetILNS1_3genE10ELNS1_11target_archE1200ELNS1_3gpuE4ELNS1_3repE0EEENS1_30default_config_static_selectorELNS0_4arch9wavefront6targetE1EEEvT1_,comdat
.Lfunc_end1056:
	.size	_ZN7rocprim17ROCPRIM_400000_NS6detail17trampoline_kernelINS0_14default_configENS1_25partition_config_selectorILNS1_17partition_subalgoE8ElNS0_10empty_typeEbEEZZNS1_14partition_implILS5_8ELb0ES3_jPlPS6_PKS6_NS0_5tupleIJS9_S6_EEENSD_IJSA_SA_EEENS0_18inequality_wrapperIZN2at6native12_GLOBAL__N_124unique_dim_cuda_templateIbEESt5tupleIJNSH_6TensorESM_SM_EERKSM_lbbbEUlllE0_EEPmJS6_EEE10hipError_tPvRmT3_T4_T5_T6_T7_T9_mT8_P12ihipStream_tbDpT10_ENKUlT_T0_E_clISt17integral_constantIbLb0EES1C_EEDaS17_S18_EUlS17_E_NS1_11comp_targetILNS1_3genE10ELNS1_11target_archE1200ELNS1_3gpuE4ELNS1_3repE0EEENS1_30default_config_static_selectorELNS0_4arch9wavefront6targetE1EEEvT1_, .Lfunc_end1056-_ZN7rocprim17ROCPRIM_400000_NS6detail17trampoline_kernelINS0_14default_configENS1_25partition_config_selectorILNS1_17partition_subalgoE8ElNS0_10empty_typeEbEEZZNS1_14partition_implILS5_8ELb0ES3_jPlPS6_PKS6_NS0_5tupleIJS9_S6_EEENSD_IJSA_SA_EEENS0_18inequality_wrapperIZN2at6native12_GLOBAL__N_124unique_dim_cuda_templateIbEESt5tupleIJNSH_6TensorESM_SM_EERKSM_lbbbEUlllE0_EEPmJS6_EEE10hipError_tPvRmT3_T4_T5_T6_T7_T9_mT8_P12ihipStream_tbDpT10_ENKUlT_T0_E_clISt17integral_constantIbLb0EES1C_EEDaS17_S18_EUlS17_E_NS1_11comp_targetILNS1_3genE10ELNS1_11target_archE1200ELNS1_3gpuE4ELNS1_3repE0EEENS1_30default_config_static_selectorELNS0_4arch9wavefront6targetE1EEEvT1_
                                        ; -- End function
	.set _ZN7rocprim17ROCPRIM_400000_NS6detail17trampoline_kernelINS0_14default_configENS1_25partition_config_selectorILNS1_17partition_subalgoE8ElNS0_10empty_typeEbEEZZNS1_14partition_implILS5_8ELb0ES3_jPlPS6_PKS6_NS0_5tupleIJS9_S6_EEENSD_IJSA_SA_EEENS0_18inequality_wrapperIZN2at6native12_GLOBAL__N_124unique_dim_cuda_templateIbEESt5tupleIJNSH_6TensorESM_SM_EERKSM_lbbbEUlllE0_EEPmJS6_EEE10hipError_tPvRmT3_T4_T5_T6_T7_T9_mT8_P12ihipStream_tbDpT10_ENKUlT_T0_E_clISt17integral_constantIbLb0EES1C_EEDaS17_S18_EUlS17_E_NS1_11comp_targetILNS1_3genE10ELNS1_11target_archE1200ELNS1_3gpuE4ELNS1_3repE0EEENS1_30default_config_static_selectorELNS0_4arch9wavefront6targetE1EEEvT1_.num_vgpr, 0
	.set _ZN7rocprim17ROCPRIM_400000_NS6detail17trampoline_kernelINS0_14default_configENS1_25partition_config_selectorILNS1_17partition_subalgoE8ElNS0_10empty_typeEbEEZZNS1_14partition_implILS5_8ELb0ES3_jPlPS6_PKS6_NS0_5tupleIJS9_S6_EEENSD_IJSA_SA_EEENS0_18inequality_wrapperIZN2at6native12_GLOBAL__N_124unique_dim_cuda_templateIbEESt5tupleIJNSH_6TensorESM_SM_EERKSM_lbbbEUlllE0_EEPmJS6_EEE10hipError_tPvRmT3_T4_T5_T6_T7_T9_mT8_P12ihipStream_tbDpT10_ENKUlT_T0_E_clISt17integral_constantIbLb0EES1C_EEDaS17_S18_EUlS17_E_NS1_11comp_targetILNS1_3genE10ELNS1_11target_archE1200ELNS1_3gpuE4ELNS1_3repE0EEENS1_30default_config_static_selectorELNS0_4arch9wavefront6targetE1EEEvT1_.num_agpr, 0
	.set _ZN7rocprim17ROCPRIM_400000_NS6detail17trampoline_kernelINS0_14default_configENS1_25partition_config_selectorILNS1_17partition_subalgoE8ElNS0_10empty_typeEbEEZZNS1_14partition_implILS5_8ELb0ES3_jPlPS6_PKS6_NS0_5tupleIJS9_S6_EEENSD_IJSA_SA_EEENS0_18inequality_wrapperIZN2at6native12_GLOBAL__N_124unique_dim_cuda_templateIbEESt5tupleIJNSH_6TensorESM_SM_EERKSM_lbbbEUlllE0_EEPmJS6_EEE10hipError_tPvRmT3_T4_T5_T6_T7_T9_mT8_P12ihipStream_tbDpT10_ENKUlT_T0_E_clISt17integral_constantIbLb0EES1C_EEDaS17_S18_EUlS17_E_NS1_11comp_targetILNS1_3genE10ELNS1_11target_archE1200ELNS1_3gpuE4ELNS1_3repE0EEENS1_30default_config_static_selectorELNS0_4arch9wavefront6targetE1EEEvT1_.numbered_sgpr, 0
	.set _ZN7rocprim17ROCPRIM_400000_NS6detail17trampoline_kernelINS0_14default_configENS1_25partition_config_selectorILNS1_17partition_subalgoE8ElNS0_10empty_typeEbEEZZNS1_14partition_implILS5_8ELb0ES3_jPlPS6_PKS6_NS0_5tupleIJS9_S6_EEENSD_IJSA_SA_EEENS0_18inequality_wrapperIZN2at6native12_GLOBAL__N_124unique_dim_cuda_templateIbEESt5tupleIJNSH_6TensorESM_SM_EERKSM_lbbbEUlllE0_EEPmJS6_EEE10hipError_tPvRmT3_T4_T5_T6_T7_T9_mT8_P12ihipStream_tbDpT10_ENKUlT_T0_E_clISt17integral_constantIbLb0EES1C_EEDaS17_S18_EUlS17_E_NS1_11comp_targetILNS1_3genE10ELNS1_11target_archE1200ELNS1_3gpuE4ELNS1_3repE0EEENS1_30default_config_static_selectorELNS0_4arch9wavefront6targetE1EEEvT1_.num_named_barrier, 0
	.set _ZN7rocprim17ROCPRIM_400000_NS6detail17trampoline_kernelINS0_14default_configENS1_25partition_config_selectorILNS1_17partition_subalgoE8ElNS0_10empty_typeEbEEZZNS1_14partition_implILS5_8ELb0ES3_jPlPS6_PKS6_NS0_5tupleIJS9_S6_EEENSD_IJSA_SA_EEENS0_18inequality_wrapperIZN2at6native12_GLOBAL__N_124unique_dim_cuda_templateIbEESt5tupleIJNSH_6TensorESM_SM_EERKSM_lbbbEUlllE0_EEPmJS6_EEE10hipError_tPvRmT3_T4_T5_T6_T7_T9_mT8_P12ihipStream_tbDpT10_ENKUlT_T0_E_clISt17integral_constantIbLb0EES1C_EEDaS17_S18_EUlS17_E_NS1_11comp_targetILNS1_3genE10ELNS1_11target_archE1200ELNS1_3gpuE4ELNS1_3repE0EEENS1_30default_config_static_selectorELNS0_4arch9wavefront6targetE1EEEvT1_.private_seg_size, 0
	.set _ZN7rocprim17ROCPRIM_400000_NS6detail17trampoline_kernelINS0_14default_configENS1_25partition_config_selectorILNS1_17partition_subalgoE8ElNS0_10empty_typeEbEEZZNS1_14partition_implILS5_8ELb0ES3_jPlPS6_PKS6_NS0_5tupleIJS9_S6_EEENSD_IJSA_SA_EEENS0_18inequality_wrapperIZN2at6native12_GLOBAL__N_124unique_dim_cuda_templateIbEESt5tupleIJNSH_6TensorESM_SM_EERKSM_lbbbEUlllE0_EEPmJS6_EEE10hipError_tPvRmT3_T4_T5_T6_T7_T9_mT8_P12ihipStream_tbDpT10_ENKUlT_T0_E_clISt17integral_constantIbLb0EES1C_EEDaS17_S18_EUlS17_E_NS1_11comp_targetILNS1_3genE10ELNS1_11target_archE1200ELNS1_3gpuE4ELNS1_3repE0EEENS1_30default_config_static_selectorELNS0_4arch9wavefront6targetE1EEEvT1_.uses_vcc, 0
	.set _ZN7rocprim17ROCPRIM_400000_NS6detail17trampoline_kernelINS0_14default_configENS1_25partition_config_selectorILNS1_17partition_subalgoE8ElNS0_10empty_typeEbEEZZNS1_14partition_implILS5_8ELb0ES3_jPlPS6_PKS6_NS0_5tupleIJS9_S6_EEENSD_IJSA_SA_EEENS0_18inequality_wrapperIZN2at6native12_GLOBAL__N_124unique_dim_cuda_templateIbEESt5tupleIJNSH_6TensorESM_SM_EERKSM_lbbbEUlllE0_EEPmJS6_EEE10hipError_tPvRmT3_T4_T5_T6_T7_T9_mT8_P12ihipStream_tbDpT10_ENKUlT_T0_E_clISt17integral_constantIbLb0EES1C_EEDaS17_S18_EUlS17_E_NS1_11comp_targetILNS1_3genE10ELNS1_11target_archE1200ELNS1_3gpuE4ELNS1_3repE0EEENS1_30default_config_static_selectorELNS0_4arch9wavefront6targetE1EEEvT1_.uses_flat_scratch, 0
	.set _ZN7rocprim17ROCPRIM_400000_NS6detail17trampoline_kernelINS0_14default_configENS1_25partition_config_selectorILNS1_17partition_subalgoE8ElNS0_10empty_typeEbEEZZNS1_14partition_implILS5_8ELb0ES3_jPlPS6_PKS6_NS0_5tupleIJS9_S6_EEENSD_IJSA_SA_EEENS0_18inequality_wrapperIZN2at6native12_GLOBAL__N_124unique_dim_cuda_templateIbEESt5tupleIJNSH_6TensorESM_SM_EERKSM_lbbbEUlllE0_EEPmJS6_EEE10hipError_tPvRmT3_T4_T5_T6_T7_T9_mT8_P12ihipStream_tbDpT10_ENKUlT_T0_E_clISt17integral_constantIbLb0EES1C_EEDaS17_S18_EUlS17_E_NS1_11comp_targetILNS1_3genE10ELNS1_11target_archE1200ELNS1_3gpuE4ELNS1_3repE0EEENS1_30default_config_static_selectorELNS0_4arch9wavefront6targetE1EEEvT1_.has_dyn_sized_stack, 0
	.set _ZN7rocprim17ROCPRIM_400000_NS6detail17trampoline_kernelINS0_14default_configENS1_25partition_config_selectorILNS1_17partition_subalgoE8ElNS0_10empty_typeEbEEZZNS1_14partition_implILS5_8ELb0ES3_jPlPS6_PKS6_NS0_5tupleIJS9_S6_EEENSD_IJSA_SA_EEENS0_18inequality_wrapperIZN2at6native12_GLOBAL__N_124unique_dim_cuda_templateIbEESt5tupleIJNSH_6TensorESM_SM_EERKSM_lbbbEUlllE0_EEPmJS6_EEE10hipError_tPvRmT3_T4_T5_T6_T7_T9_mT8_P12ihipStream_tbDpT10_ENKUlT_T0_E_clISt17integral_constantIbLb0EES1C_EEDaS17_S18_EUlS17_E_NS1_11comp_targetILNS1_3genE10ELNS1_11target_archE1200ELNS1_3gpuE4ELNS1_3repE0EEENS1_30default_config_static_selectorELNS0_4arch9wavefront6targetE1EEEvT1_.has_recursion, 0
	.set _ZN7rocprim17ROCPRIM_400000_NS6detail17trampoline_kernelINS0_14default_configENS1_25partition_config_selectorILNS1_17partition_subalgoE8ElNS0_10empty_typeEbEEZZNS1_14partition_implILS5_8ELb0ES3_jPlPS6_PKS6_NS0_5tupleIJS9_S6_EEENSD_IJSA_SA_EEENS0_18inequality_wrapperIZN2at6native12_GLOBAL__N_124unique_dim_cuda_templateIbEESt5tupleIJNSH_6TensorESM_SM_EERKSM_lbbbEUlllE0_EEPmJS6_EEE10hipError_tPvRmT3_T4_T5_T6_T7_T9_mT8_P12ihipStream_tbDpT10_ENKUlT_T0_E_clISt17integral_constantIbLb0EES1C_EEDaS17_S18_EUlS17_E_NS1_11comp_targetILNS1_3genE10ELNS1_11target_archE1200ELNS1_3gpuE4ELNS1_3repE0EEENS1_30default_config_static_selectorELNS0_4arch9wavefront6targetE1EEEvT1_.has_indirect_call, 0
	.section	.AMDGPU.csdata,"",@progbits
; Kernel info:
; codeLenInByte = 0
; TotalNumSgprs: 6
; NumVgprs: 0
; NumAgprs: 0
; TotalNumVgprs: 0
; ScratchSize: 0
; MemoryBound: 0
; FloatMode: 240
; IeeeMode: 1
; LDSByteSize: 0 bytes/workgroup (compile time only)
; SGPRBlocks: 0
; VGPRBlocks: 0
; NumSGPRsForWavesPerEU: 6
; NumVGPRsForWavesPerEU: 1
; AccumOffset: 4
; Occupancy: 8
; WaveLimiterHint : 0
; COMPUTE_PGM_RSRC2:SCRATCH_EN: 0
; COMPUTE_PGM_RSRC2:USER_SGPR: 2
; COMPUTE_PGM_RSRC2:TRAP_HANDLER: 0
; COMPUTE_PGM_RSRC2:TGID_X_EN: 1
; COMPUTE_PGM_RSRC2:TGID_Y_EN: 0
; COMPUTE_PGM_RSRC2:TGID_Z_EN: 0
; COMPUTE_PGM_RSRC2:TIDIG_COMP_CNT: 0
; COMPUTE_PGM_RSRC3_GFX90A:ACCUM_OFFSET: 0
; COMPUTE_PGM_RSRC3_GFX90A:TG_SPLIT: 0
	.section	.text._ZN7rocprim17ROCPRIM_400000_NS6detail17trampoline_kernelINS0_14default_configENS1_25partition_config_selectorILNS1_17partition_subalgoE8ElNS0_10empty_typeEbEEZZNS1_14partition_implILS5_8ELb0ES3_jPlPS6_PKS6_NS0_5tupleIJS9_S6_EEENSD_IJSA_SA_EEENS0_18inequality_wrapperIZN2at6native12_GLOBAL__N_124unique_dim_cuda_templateIbEESt5tupleIJNSH_6TensorESM_SM_EERKSM_lbbbEUlllE0_EEPmJS6_EEE10hipError_tPvRmT3_T4_T5_T6_T7_T9_mT8_P12ihipStream_tbDpT10_ENKUlT_T0_E_clISt17integral_constantIbLb0EES1C_EEDaS17_S18_EUlS17_E_NS1_11comp_targetILNS1_3genE9ELNS1_11target_archE1100ELNS1_3gpuE3ELNS1_3repE0EEENS1_30default_config_static_selectorELNS0_4arch9wavefront6targetE1EEEvT1_,"axG",@progbits,_ZN7rocprim17ROCPRIM_400000_NS6detail17trampoline_kernelINS0_14default_configENS1_25partition_config_selectorILNS1_17partition_subalgoE8ElNS0_10empty_typeEbEEZZNS1_14partition_implILS5_8ELb0ES3_jPlPS6_PKS6_NS0_5tupleIJS9_S6_EEENSD_IJSA_SA_EEENS0_18inequality_wrapperIZN2at6native12_GLOBAL__N_124unique_dim_cuda_templateIbEESt5tupleIJNSH_6TensorESM_SM_EERKSM_lbbbEUlllE0_EEPmJS6_EEE10hipError_tPvRmT3_T4_T5_T6_T7_T9_mT8_P12ihipStream_tbDpT10_ENKUlT_T0_E_clISt17integral_constantIbLb0EES1C_EEDaS17_S18_EUlS17_E_NS1_11comp_targetILNS1_3genE9ELNS1_11target_archE1100ELNS1_3gpuE3ELNS1_3repE0EEENS1_30default_config_static_selectorELNS0_4arch9wavefront6targetE1EEEvT1_,comdat
	.globl	_ZN7rocprim17ROCPRIM_400000_NS6detail17trampoline_kernelINS0_14default_configENS1_25partition_config_selectorILNS1_17partition_subalgoE8ElNS0_10empty_typeEbEEZZNS1_14partition_implILS5_8ELb0ES3_jPlPS6_PKS6_NS0_5tupleIJS9_S6_EEENSD_IJSA_SA_EEENS0_18inequality_wrapperIZN2at6native12_GLOBAL__N_124unique_dim_cuda_templateIbEESt5tupleIJNSH_6TensorESM_SM_EERKSM_lbbbEUlllE0_EEPmJS6_EEE10hipError_tPvRmT3_T4_T5_T6_T7_T9_mT8_P12ihipStream_tbDpT10_ENKUlT_T0_E_clISt17integral_constantIbLb0EES1C_EEDaS17_S18_EUlS17_E_NS1_11comp_targetILNS1_3genE9ELNS1_11target_archE1100ELNS1_3gpuE3ELNS1_3repE0EEENS1_30default_config_static_selectorELNS0_4arch9wavefront6targetE1EEEvT1_ ; -- Begin function _ZN7rocprim17ROCPRIM_400000_NS6detail17trampoline_kernelINS0_14default_configENS1_25partition_config_selectorILNS1_17partition_subalgoE8ElNS0_10empty_typeEbEEZZNS1_14partition_implILS5_8ELb0ES3_jPlPS6_PKS6_NS0_5tupleIJS9_S6_EEENSD_IJSA_SA_EEENS0_18inequality_wrapperIZN2at6native12_GLOBAL__N_124unique_dim_cuda_templateIbEESt5tupleIJNSH_6TensorESM_SM_EERKSM_lbbbEUlllE0_EEPmJS6_EEE10hipError_tPvRmT3_T4_T5_T6_T7_T9_mT8_P12ihipStream_tbDpT10_ENKUlT_T0_E_clISt17integral_constantIbLb0EES1C_EEDaS17_S18_EUlS17_E_NS1_11comp_targetILNS1_3genE9ELNS1_11target_archE1100ELNS1_3gpuE3ELNS1_3repE0EEENS1_30default_config_static_selectorELNS0_4arch9wavefront6targetE1EEEvT1_
	.p2align	8
	.type	_ZN7rocprim17ROCPRIM_400000_NS6detail17trampoline_kernelINS0_14default_configENS1_25partition_config_selectorILNS1_17partition_subalgoE8ElNS0_10empty_typeEbEEZZNS1_14partition_implILS5_8ELb0ES3_jPlPS6_PKS6_NS0_5tupleIJS9_S6_EEENSD_IJSA_SA_EEENS0_18inequality_wrapperIZN2at6native12_GLOBAL__N_124unique_dim_cuda_templateIbEESt5tupleIJNSH_6TensorESM_SM_EERKSM_lbbbEUlllE0_EEPmJS6_EEE10hipError_tPvRmT3_T4_T5_T6_T7_T9_mT8_P12ihipStream_tbDpT10_ENKUlT_T0_E_clISt17integral_constantIbLb0EES1C_EEDaS17_S18_EUlS17_E_NS1_11comp_targetILNS1_3genE9ELNS1_11target_archE1100ELNS1_3gpuE3ELNS1_3repE0EEENS1_30default_config_static_selectorELNS0_4arch9wavefront6targetE1EEEvT1_,@function
_ZN7rocprim17ROCPRIM_400000_NS6detail17trampoline_kernelINS0_14default_configENS1_25partition_config_selectorILNS1_17partition_subalgoE8ElNS0_10empty_typeEbEEZZNS1_14partition_implILS5_8ELb0ES3_jPlPS6_PKS6_NS0_5tupleIJS9_S6_EEENSD_IJSA_SA_EEENS0_18inequality_wrapperIZN2at6native12_GLOBAL__N_124unique_dim_cuda_templateIbEESt5tupleIJNSH_6TensorESM_SM_EERKSM_lbbbEUlllE0_EEPmJS6_EEE10hipError_tPvRmT3_T4_T5_T6_T7_T9_mT8_P12ihipStream_tbDpT10_ENKUlT_T0_E_clISt17integral_constantIbLb0EES1C_EEDaS17_S18_EUlS17_E_NS1_11comp_targetILNS1_3genE9ELNS1_11target_archE1100ELNS1_3gpuE3ELNS1_3repE0EEENS1_30default_config_static_selectorELNS0_4arch9wavefront6targetE1EEEvT1_: ; @_ZN7rocprim17ROCPRIM_400000_NS6detail17trampoline_kernelINS0_14default_configENS1_25partition_config_selectorILNS1_17partition_subalgoE8ElNS0_10empty_typeEbEEZZNS1_14partition_implILS5_8ELb0ES3_jPlPS6_PKS6_NS0_5tupleIJS9_S6_EEENSD_IJSA_SA_EEENS0_18inequality_wrapperIZN2at6native12_GLOBAL__N_124unique_dim_cuda_templateIbEESt5tupleIJNSH_6TensorESM_SM_EERKSM_lbbbEUlllE0_EEPmJS6_EEE10hipError_tPvRmT3_T4_T5_T6_T7_T9_mT8_P12ihipStream_tbDpT10_ENKUlT_T0_E_clISt17integral_constantIbLb0EES1C_EEDaS17_S18_EUlS17_E_NS1_11comp_targetILNS1_3genE9ELNS1_11target_archE1100ELNS1_3gpuE3ELNS1_3repE0EEENS1_30default_config_static_selectorELNS0_4arch9wavefront6targetE1EEEvT1_
; %bb.0:
	.section	.rodata,"a",@progbits
	.p2align	6, 0x0
	.amdhsa_kernel _ZN7rocprim17ROCPRIM_400000_NS6detail17trampoline_kernelINS0_14default_configENS1_25partition_config_selectorILNS1_17partition_subalgoE8ElNS0_10empty_typeEbEEZZNS1_14partition_implILS5_8ELb0ES3_jPlPS6_PKS6_NS0_5tupleIJS9_S6_EEENSD_IJSA_SA_EEENS0_18inequality_wrapperIZN2at6native12_GLOBAL__N_124unique_dim_cuda_templateIbEESt5tupleIJNSH_6TensorESM_SM_EERKSM_lbbbEUlllE0_EEPmJS6_EEE10hipError_tPvRmT3_T4_T5_T6_T7_T9_mT8_P12ihipStream_tbDpT10_ENKUlT_T0_E_clISt17integral_constantIbLb0EES1C_EEDaS17_S18_EUlS17_E_NS1_11comp_targetILNS1_3genE9ELNS1_11target_archE1100ELNS1_3gpuE3ELNS1_3repE0EEENS1_30default_config_static_selectorELNS0_4arch9wavefront6targetE1EEEvT1_
		.amdhsa_group_segment_fixed_size 0
		.amdhsa_private_segment_fixed_size 0
		.amdhsa_kernarg_size 120
		.amdhsa_user_sgpr_count 2
		.amdhsa_user_sgpr_dispatch_ptr 0
		.amdhsa_user_sgpr_queue_ptr 0
		.amdhsa_user_sgpr_kernarg_segment_ptr 1
		.amdhsa_user_sgpr_dispatch_id 0
		.amdhsa_user_sgpr_kernarg_preload_length 0
		.amdhsa_user_sgpr_kernarg_preload_offset 0
		.amdhsa_user_sgpr_private_segment_size 0
		.amdhsa_uses_dynamic_stack 0
		.amdhsa_enable_private_segment 0
		.amdhsa_system_sgpr_workgroup_id_x 1
		.amdhsa_system_sgpr_workgroup_id_y 0
		.amdhsa_system_sgpr_workgroup_id_z 0
		.amdhsa_system_sgpr_workgroup_info 0
		.amdhsa_system_vgpr_workitem_id 0
		.amdhsa_next_free_vgpr 1
		.amdhsa_next_free_sgpr 0
		.amdhsa_accum_offset 4
		.amdhsa_reserve_vcc 0
		.amdhsa_float_round_mode_32 0
		.amdhsa_float_round_mode_16_64 0
		.amdhsa_float_denorm_mode_32 3
		.amdhsa_float_denorm_mode_16_64 3
		.amdhsa_dx10_clamp 1
		.amdhsa_ieee_mode 1
		.amdhsa_fp16_overflow 0
		.amdhsa_tg_split 0
		.amdhsa_exception_fp_ieee_invalid_op 0
		.amdhsa_exception_fp_denorm_src 0
		.amdhsa_exception_fp_ieee_div_zero 0
		.amdhsa_exception_fp_ieee_overflow 0
		.amdhsa_exception_fp_ieee_underflow 0
		.amdhsa_exception_fp_ieee_inexact 0
		.amdhsa_exception_int_div_zero 0
	.end_amdhsa_kernel
	.section	.text._ZN7rocprim17ROCPRIM_400000_NS6detail17trampoline_kernelINS0_14default_configENS1_25partition_config_selectorILNS1_17partition_subalgoE8ElNS0_10empty_typeEbEEZZNS1_14partition_implILS5_8ELb0ES3_jPlPS6_PKS6_NS0_5tupleIJS9_S6_EEENSD_IJSA_SA_EEENS0_18inequality_wrapperIZN2at6native12_GLOBAL__N_124unique_dim_cuda_templateIbEESt5tupleIJNSH_6TensorESM_SM_EERKSM_lbbbEUlllE0_EEPmJS6_EEE10hipError_tPvRmT3_T4_T5_T6_T7_T9_mT8_P12ihipStream_tbDpT10_ENKUlT_T0_E_clISt17integral_constantIbLb0EES1C_EEDaS17_S18_EUlS17_E_NS1_11comp_targetILNS1_3genE9ELNS1_11target_archE1100ELNS1_3gpuE3ELNS1_3repE0EEENS1_30default_config_static_selectorELNS0_4arch9wavefront6targetE1EEEvT1_,"axG",@progbits,_ZN7rocprim17ROCPRIM_400000_NS6detail17trampoline_kernelINS0_14default_configENS1_25partition_config_selectorILNS1_17partition_subalgoE8ElNS0_10empty_typeEbEEZZNS1_14partition_implILS5_8ELb0ES3_jPlPS6_PKS6_NS0_5tupleIJS9_S6_EEENSD_IJSA_SA_EEENS0_18inequality_wrapperIZN2at6native12_GLOBAL__N_124unique_dim_cuda_templateIbEESt5tupleIJNSH_6TensorESM_SM_EERKSM_lbbbEUlllE0_EEPmJS6_EEE10hipError_tPvRmT3_T4_T5_T6_T7_T9_mT8_P12ihipStream_tbDpT10_ENKUlT_T0_E_clISt17integral_constantIbLb0EES1C_EEDaS17_S18_EUlS17_E_NS1_11comp_targetILNS1_3genE9ELNS1_11target_archE1100ELNS1_3gpuE3ELNS1_3repE0EEENS1_30default_config_static_selectorELNS0_4arch9wavefront6targetE1EEEvT1_,comdat
.Lfunc_end1057:
	.size	_ZN7rocprim17ROCPRIM_400000_NS6detail17trampoline_kernelINS0_14default_configENS1_25partition_config_selectorILNS1_17partition_subalgoE8ElNS0_10empty_typeEbEEZZNS1_14partition_implILS5_8ELb0ES3_jPlPS6_PKS6_NS0_5tupleIJS9_S6_EEENSD_IJSA_SA_EEENS0_18inequality_wrapperIZN2at6native12_GLOBAL__N_124unique_dim_cuda_templateIbEESt5tupleIJNSH_6TensorESM_SM_EERKSM_lbbbEUlllE0_EEPmJS6_EEE10hipError_tPvRmT3_T4_T5_T6_T7_T9_mT8_P12ihipStream_tbDpT10_ENKUlT_T0_E_clISt17integral_constantIbLb0EES1C_EEDaS17_S18_EUlS17_E_NS1_11comp_targetILNS1_3genE9ELNS1_11target_archE1100ELNS1_3gpuE3ELNS1_3repE0EEENS1_30default_config_static_selectorELNS0_4arch9wavefront6targetE1EEEvT1_, .Lfunc_end1057-_ZN7rocprim17ROCPRIM_400000_NS6detail17trampoline_kernelINS0_14default_configENS1_25partition_config_selectorILNS1_17partition_subalgoE8ElNS0_10empty_typeEbEEZZNS1_14partition_implILS5_8ELb0ES3_jPlPS6_PKS6_NS0_5tupleIJS9_S6_EEENSD_IJSA_SA_EEENS0_18inequality_wrapperIZN2at6native12_GLOBAL__N_124unique_dim_cuda_templateIbEESt5tupleIJNSH_6TensorESM_SM_EERKSM_lbbbEUlllE0_EEPmJS6_EEE10hipError_tPvRmT3_T4_T5_T6_T7_T9_mT8_P12ihipStream_tbDpT10_ENKUlT_T0_E_clISt17integral_constantIbLb0EES1C_EEDaS17_S18_EUlS17_E_NS1_11comp_targetILNS1_3genE9ELNS1_11target_archE1100ELNS1_3gpuE3ELNS1_3repE0EEENS1_30default_config_static_selectorELNS0_4arch9wavefront6targetE1EEEvT1_
                                        ; -- End function
	.set _ZN7rocprim17ROCPRIM_400000_NS6detail17trampoline_kernelINS0_14default_configENS1_25partition_config_selectorILNS1_17partition_subalgoE8ElNS0_10empty_typeEbEEZZNS1_14partition_implILS5_8ELb0ES3_jPlPS6_PKS6_NS0_5tupleIJS9_S6_EEENSD_IJSA_SA_EEENS0_18inequality_wrapperIZN2at6native12_GLOBAL__N_124unique_dim_cuda_templateIbEESt5tupleIJNSH_6TensorESM_SM_EERKSM_lbbbEUlllE0_EEPmJS6_EEE10hipError_tPvRmT3_T4_T5_T6_T7_T9_mT8_P12ihipStream_tbDpT10_ENKUlT_T0_E_clISt17integral_constantIbLb0EES1C_EEDaS17_S18_EUlS17_E_NS1_11comp_targetILNS1_3genE9ELNS1_11target_archE1100ELNS1_3gpuE3ELNS1_3repE0EEENS1_30default_config_static_selectorELNS0_4arch9wavefront6targetE1EEEvT1_.num_vgpr, 0
	.set _ZN7rocprim17ROCPRIM_400000_NS6detail17trampoline_kernelINS0_14default_configENS1_25partition_config_selectorILNS1_17partition_subalgoE8ElNS0_10empty_typeEbEEZZNS1_14partition_implILS5_8ELb0ES3_jPlPS6_PKS6_NS0_5tupleIJS9_S6_EEENSD_IJSA_SA_EEENS0_18inequality_wrapperIZN2at6native12_GLOBAL__N_124unique_dim_cuda_templateIbEESt5tupleIJNSH_6TensorESM_SM_EERKSM_lbbbEUlllE0_EEPmJS6_EEE10hipError_tPvRmT3_T4_T5_T6_T7_T9_mT8_P12ihipStream_tbDpT10_ENKUlT_T0_E_clISt17integral_constantIbLb0EES1C_EEDaS17_S18_EUlS17_E_NS1_11comp_targetILNS1_3genE9ELNS1_11target_archE1100ELNS1_3gpuE3ELNS1_3repE0EEENS1_30default_config_static_selectorELNS0_4arch9wavefront6targetE1EEEvT1_.num_agpr, 0
	.set _ZN7rocprim17ROCPRIM_400000_NS6detail17trampoline_kernelINS0_14default_configENS1_25partition_config_selectorILNS1_17partition_subalgoE8ElNS0_10empty_typeEbEEZZNS1_14partition_implILS5_8ELb0ES3_jPlPS6_PKS6_NS0_5tupleIJS9_S6_EEENSD_IJSA_SA_EEENS0_18inequality_wrapperIZN2at6native12_GLOBAL__N_124unique_dim_cuda_templateIbEESt5tupleIJNSH_6TensorESM_SM_EERKSM_lbbbEUlllE0_EEPmJS6_EEE10hipError_tPvRmT3_T4_T5_T6_T7_T9_mT8_P12ihipStream_tbDpT10_ENKUlT_T0_E_clISt17integral_constantIbLb0EES1C_EEDaS17_S18_EUlS17_E_NS1_11comp_targetILNS1_3genE9ELNS1_11target_archE1100ELNS1_3gpuE3ELNS1_3repE0EEENS1_30default_config_static_selectorELNS0_4arch9wavefront6targetE1EEEvT1_.numbered_sgpr, 0
	.set _ZN7rocprim17ROCPRIM_400000_NS6detail17trampoline_kernelINS0_14default_configENS1_25partition_config_selectorILNS1_17partition_subalgoE8ElNS0_10empty_typeEbEEZZNS1_14partition_implILS5_8ELb0ES3_jPlPS6_PKS6_NS0_5tupleIJS9_S6_EEENSD_IJSA_SA_EEENS0_18inequality_wrapperIZN2at6native12_GLOBAL__N_124unique_dim_cuda_templateIbEESt5tupleIJNSH_6TensorESM_SM_EERKSM_lbbbEUlllE0_EEPmJS6_EEE10hipError_tPvRmT3_T4_T5_T6_T7_T9_mT8_P12ihipStream_tbDpT10_ENKUlT_T0_E_clISt17integral_constantIbLb0EES1C_EEDaS17_S18_EUlS17_E_NS1_11comp_targetILNS1_3genE9ELNS1_11target_archE1100ELNS1_3gpuE3ELNS1_3repE0EEENS1_30default_config_static_selectorELNS0_4arch9wavefront6targetE1EEEvT1_.num_named_barrier, 0
	.set _ZN7rocprim17ROCPRIM_400000_NS6detail17trampoline_kernelINS0_14default_configENS1_25partition_config_selectorILNS1_17partition_subalgoE8ElNS0_10empty_typeEbEEZZNS1_14partition_implILS5_8ELb0ES3_jPlPS6_PKS6_NS0_5tupleIJS9_S6_EEENSD_IJSA_SA_EEENS0_18inequality_wrapperIZN2at6native12_GLOBAL__N_124unique_dim_cuda_templateIbEESt5tupleIJNSH_6TensorESM_SM_EERKSM_lbbbEUlllE0_EEPmJS6_EEE10hipError_tPvRmT3_T4_T5_T6_T7_T9_mT8_P12ihipStream_tbDpT10_ENKUlT_T0_E_clISt17integral_constantIbLb0EES1C_EEDaS17_S18_EUlS17_E_NS1_11comp_targetILNS1_3genE9ELNS1_11target_archE1100ELNS1_3gpuE3ELNS1_3repE0EEENS1_30default_config_static_selectorELNS0_4arch9wavefront6targetE1EEEvT1_.private_seg_size, 0
	.set _ZN7rocprim17ROCPRIM_400000_NS6detail17trampoline_kernelINS0_14default_configENS1_25partition_config_selectorILNS1_17partition_subalgoE8ElNS0_10empty_typeEbEEZZNS1_14partition_implILS5_8ELb0ES3_jPlPS6_PKS6_NS0_5tupleIJS9_S6_EEENSD_IJSA_SA_EEENS0_18inequality_wrapperIZN2at6native12_GLOBAL__N_124unique_dim_cuda_templateIbEESt5tupleIJNSH_6TensorESM_SM_EERKSM_lbbbEUlllE0_EEPmJS6_EEE10hipError_tPvRmT3_T4_T5_T6_T7_T9_mT8_P12ihipStream_tbDpT10_ENKUlT_T0_E_clISt17integral_constantIbLb0EES1C_EEDaS17_S18_EUlS17_E_NS1_11comp_targetILNS1_3genE9ELNS1_11target_archE1100ELNS1_3gpuE3ELNS1_3repE0EEENS1_30default_config_static_selectorELNS0_4arch9wavefront6targetE1EEEvT1_.uses_vcc, 0
	.set _ZN7rocprim17ROCPRIM_400000_NS6detail17trampoline_kernelINS0_14default_configENS1_25partition_config_selectorILNS1_17partition_subalgoE8ElNS0_10empty_typeEbEEZZNS1_14partition_implILS5_8ELb0ES3_jPlPS6_PKS6_NS0_5tupleIJS9_S6_EEENSD_IJSA_SA_EEENS0_18inequality_wrapperIZN2at6native12_GLOBAL__N_124unique_dim_cuda_templateIbEESt5tupleIJNSH_6TensorESM_SM_EERKSM_lbbbEUlllE0_EEPmJS6_EEE10hipError_tPvRmT3_T4_T5_T6_T7_T9_mT8_P12ihipStream_tbDpT10_ENKUlT_T0_E_clISt17integral_constantIbLb0EES1C_EEDaS17_S18_EUlS17_E_NS1_11comp_targetILNS1_3genE9ELNS1_11target_archE1100ELNS1_3gpuE3ELNS1_3repE0EEENS1_30default_config_static_selectorELNS0_4arch9wavefront6targetE1EEEvT1_.uses_flat_scratch, 0
	.set _ZN7rocprim17ROCPRIM_400000_NS6detail17trampoline_kernelINS0_14default_configENS1_25partition_config_selectorILNS1_17partition_subalgoE8ElNS0_10empty_typeEbEEZZNS1_14partition_implILS5_8ELb0ES3_jPlPS6_PKS6_NS0_5tupleIJS9_S6_EEENSD_IJSA_SA_EEENS0_18inequality_wrapperIZN2at6native12_GLOBAL__N_124unique_dim_cuda_templateIbEESt5tupleIJNSH_6TensorESM_SM_EERKSM_lbbbEUlllE0_EEPmJS6_EEE10hipError_tPvRmT3_T4_T5_T6_T7_T9_mT8_P12ihipStream_tbDpT10_ENKUlT_T0_E_clISt17integral_constantIbLb0EES1C_EEDaS17_S18_EUlS17_E_NS1_11comp_targetILNS1_3genE9ELNS1_11target_archE1100ELNS1_3gpuE3ELNS1_3repE0EEENS1_30default_config_static_selectorELNS0_4arch9wavefront6targetE1EEEvT1_.has_dyn_sized_stack, 0
	.set _ZN7rocprim17ROCPRIM_400000_NS6detail17trampoline_kernelINS0_14default_configENS1_25partition_config_selectorILNS1_17partition_subalgoE8ElNS0_10empty_typeEbEEZZNS1_14partition_implILS5_8ELb0ES3_jPlPS6_PKS6_NS0_5tupleIJS9_S6_EEENSD_IJSA_SA_EEENS0_18inequality_wrapperIZN2at6native12_GLOBAL__N_124unique_dim_cuda_templateIbEESt5tupleIJNSH_6TensorESM_SM_EERKSM_lbbbEUlllE0_EEPmJS6_EEE10hipError_tPvRmT3_T4_T5_T6_T7_T9_mT8_P12ihipStream_tbDpT10_ENKUlT_T0_E_clISt17integral_constantIbLb0EES1C_EEDaS17_S18_EUlS17_E_NS1_11comp_targetILNS1_3genE9ELNS1_11target_archE1100ELNS1_3gpuE3ELNS1_3repE0EEENS1_30default_config_static_selectorELNS0_4arch9wavefront6targetE1EEEvT1_.has_recursion, 0
	.set _ZN7rocprim17ROCPRIM_400000_NS6detail17trampoline_kernelINS0_14default_configENS1_25partition_config_selectorILNS1_17partition_subalgoE8ElNS0_10empty_typeEbEEZZNS1_14partition_implILS5_8ELb0ES3_jPlPS6_PKS6_NS0_5tupleIJS9_S6_EEENSD_IJSA_SA_EEENS0_18inequality_wrapperIZN2at6native12_GLOBAL__N_124unique_dim_cuda_templateIbEESt5tupleIJNSH_6TensorESM_SM_EERKSM_lbbbEUlllE0_EEPmJS6_EEE10hipError_tPvRmT3_T4_T5_T6_T7_T9_mT8_P12ihipStream_tbDpT10_ENKUlT_T0_E_clISt17integral_constantIbLb0EES1C_EEDaS17_S18_EUlS17_E_NS1_11comp_targetILNS1_3genE9ELNS1_11target_archE1100ELNS1_3gpuE3ELNS1_3repE0EEENS1_30default_config_static_selectorELNS0_4arch9wavefront6targetE1EEEvT1_.has_indirect_call, 0
	.section	.AMDGPU.csdata,"",@progbits
; Kernel info:
; codeLenInByte = 0
; TotalNumSgprs: 6
; NumVgprs: 0
; NumAgprs: 0
; TotalNumVgprs: 0
; ScratchSize: 0
; MemoryBound: 0
; FloatMode: 240
; IeeeMode: 1
; LDSByteSize: 0 bytes/workgroup (compile time only)
; SGPRBlocks: 0
; VGPRBlocks: 0
; NumSGPRsForWavesPerEU: 6
; NumVGPRsForWavesPerEU: 1
; AccumOffset: 4
; Occupancy: 8
; WaveLimiterHint : 0
; COMPUTE_PGM_RSRC2:SCRATCH_EN: 0
; COMPUTE_PGM_RSRC2:USER_SGPR: 2
; COMPUTE_PGM_RSRC2:TRAP_HANDLER: 0
; COMPUTE_PGM_RSRC2:TGID_X_EN: 1
; COMPUTE_PGM_RSRC2:TGID_Y_EN: 0
; COMPUTE_PGM_RSRC2:TGID_Z_EN: 0
; COMPUTE_PGM_RSRC2:TIDIG_COMP_CNT: 0
; COMPUTE_PGM_RSRC3_GFX90A:ACCUM_OFFSET: 0
; COMPUTE_PGM_RSRC3_GFX90A:TG_SPLIT: 0
	.section	.text._ZN7rocprim17ROCPRIM_400000_NS6detail17trampoline_kernelINS0_14default_configENS1_25partition_config_selectorILNS1_17partition_subalgoE8ElNS0_10empty_typeEbEEZZNS1_14partition_implILS5_8ELb0ES3_jPlPS6_PKS6_NS0_5tupleIJS9_S6_EEENSD_IJSA_SA_EEENS0_18inequality_wrapperIZN2at6native12_GLOBAL__N_124unique_dim_cuda_templateIbEESt5tupleIJNSH_6TensorESM_SM_EERKSM_lbbbEUlllE0_EEPmJS6_EEE10hipError_tPvRmT3_T4_T5_T6_T7_T9_mT8_P12ihipStream_tbDpT10_ENKUlT_T0_E_clISt17integral_constantIbLb0EES1C_EEDaS17_S18_EUlS17_E_NS1_11comp_targetILNS1_3genE8ELNS1_11target_archE1030ELNS1_3gpuE2ELNS1_3repE0EEENS1_30default_config_static_selectorELNS0_4arch9wavefront6targetE1EEEvT1_,"axG",@progbits,_ZN7rocprim17ROCPRIM_400000_NS6detail17trampoline_kernelINS0_14default_configENS1_25partition_config_selectorILNS1_17partition_subalgoE8ElNS0_10empty_typeEbEEZZNS1_14partition_implILS5_8ELb0ES3_jPlPS6_PKS6_NS0_5tupleIJS9_S6_EEENSD_IJSA_SA_EEENS0_18inequality_wrapperIZN2at6native12_GLOBAL__N_124unique_dim_cuda_templateIbEESt5tupleIJNSH_6TensorESM_SM_EERKSM_lbbbEUlllE0_EEPmJS6_EEE10hipError_tPvRmT3_T4_T5_T6_T7_T9_mT8_P12ihipStream_tbDpT10_ENKUlT_T0_E_clISt17integral_constantIbLb0EES1C_EEDaS17_S18_EUlS17_E_NS1_11comp_targetILNS1_3genE8ELNS1_11target_archE1030ELNS1_3gpuE2ELNS1_3repE0EEENS1_30default_config_static_selectorELNS0_4arch9wavefront6targetE1EEEvT1_,comdat
	.globl	_ZN7rocprim17ROCPRIM_400000_NS6detail17trampoline_kernelINS0_14default_configENS1_25partition_config_selectorILNS1_17partition_subalgoE8ElNS0_10empty_typeEbEEZZNS1_14partition_implILS5_8ELb0ES3_jPlPS6_PKS6_NS0_5tupleIJS9_S6_EEENSD_IJSA_SA_EEENS0_18inequality_wrapperIZN2at6native12_GLOBAL__N_124unique_dim_cuda_templateIbEESt5tupleIJNSH_6TensorESM_SM_EERKSM_lbbbEUlllE0_EEPmJS6_EEE10hipError_tPvRmT3_T4_T5_T6_T7_T9_mT8_P12ihipStream_tbDpT10_ENKUlT_T0_E_clISt17integral_constantIbLb0EES1C_EEDaS17_S18_EUlS17_E_NS1_11comp_targetILNS1_3genE8ELNS1_11target_archE1030ELNS1_3gpuE2ELNS1_3repE0EEENS1_30default_config_static_selectorELNS0_4arch9wavefront6targetE1EEEvT1_ ; -- Begin function _ZN7rocprim17ROCPRIM_400000_NS6detail17trampoline_kernelINS0_14default_configENS1_25partition_config_selectorILNS1_17partition_subalgoE8ElNS0_10empty_typeEbEEZZNS1_14partition_implILS5_8ELb0ES3_jPlPS6_PKS6_NS0_5tupleIJS9_S6_EEENSD_IJSA_SA_EEENS0_18inequality_wrapperIZN2at6native12_GLOBAL__N_124unique_dim_cuda_templateIbEESt5tupleIJNSH_6TensorESM_SM_EERKSM_lbbbEUlllE0_EEPmJS6_EEE10hipError_tPvRmT3_T4_T5_T6_T7_T9_mT8_P12ihipStream_tbDpT10_ENKUlT_T0_E_clISt17integral_constantIbLb0EES1C_EEDaS17_S18_EUlS17_E_NS1_11comp_targetILNS1_3genE8ELNS1_11target_archE1030ELNS1_3gpuE2ELNS1_3repE0EEENS1_30default_config_static_selectorELNS0_4arch9wavefront6targetE1EEEvT1_
	.p2align	8
	.type	_ZN7rocprim17ROCPRIM_400000_NS6detail17trampoline_kernelINS0_14default_configENS1_25partition_config_selectorILNS1_17partition_subalgoE8ElNS0_10empty_typeEbEEZZNS1_14partition_implILS5_8ELb0ES3_jPlPS6_PKS6_NS0_5tupleIJS9_S6_EEENSD_IJSA_SA_EEENS0_18inequality_wrapperIZN2at6native12_GLOBAL__N_124unique_dim_cuda_templateIbEESt5tupleIJNSH_6TensorESM_SM_EERKSM_lbbbEUlllE0_EEPmJS6_EEE10hipError_tPvRmT3_T4_T5_T6_T7_T9_mT8_P12ihipStream_tbDpT10_ENKUlT_T0_E_clISt17integral_constantIbLb0EES1C_EEDaS17_S18_EUlS17_E_NS1_11comp_targetILNS1_3genE8ELNS1_11target_archE1030ELNS1_3gpuE2ELNS1_3repE0EEENS1_30default_config_static_selectorELNS0_4arch9wavefront6targetE1EEEvT1_,@function
_ZN7rocprim17ROCPRIM_400000_NS6detail17trampoline_kernelINS0_14default_configENS1_25partition_config_selectorILNS1_17partition_subalgoE8ElNS0_10empty_typeEbEEZZNS1_14partition_implILS5_8ELb0ES3_jPlPS6_PKS6_NS0_5tupleIJS9_S6_EEENSD_IJSA_SA_EEENS0_18inequality_wrapperIZN2at6native12_GLOBAL__N_124unique_dim_cuda_templateIbEESt5tupleIJNSH_6TensorESM_SM_EERKSM_lbbbEUlllE0_EEPmJS6_EEE10hipError_tPvRmT3_T4_T5_T6_T7_T9_mT8_P12ihipStream_tbDpT10_ENKUlT_T0_E_clISt17integral_constantIbLb0EES1C_EEDaS17_S18_EUlS17_E_NS1_11comp_targetILNS1_3genE8ELNS1_11target_archE1030ELNS1_3gpuE2ELNS1_3repE0EEENS1_30default_config_static_selectorELNS0_4arch9wavefront6targetE1EEEvT1_: ; @_ZN7rocprim17ROCPRIM_400000_NS6detail17trampoline_kernelINS0_14default_configENS1_25partition_config_selectorILNS1_17partition_subalgoE8ElNS0_10empty_typeEbEEZZNS1_14partition_implILS5_8ELb0ES3_jPlPS6_PKS6_NS0_5tupleIJS9_S6_EEENSD_IJSA_SA_EEENS0_18inequality_wrapperIZN2at6native12_GLOBAL__N_124unique_dim_cuda_templateIbEESt5tupleIJNSH_6TensorESM_SM_EERKSM_lbbbEUlllE0_EEPmJS6_EEE10hipError_tPvRmT3_T4_T5_T6_T7_T9_mT8_P12ihipStream_tbDpT10_ENKUlT_T0_E_clISt17integral_constantIbLb0EES1C_EEDaS17_S18_EUlS17_E_NS1_11comp_targetILNS1_3genE8ELNS1_11target_archE1030ELNS1_3gpuE2ELNS1_3repE0EEENS1_30default_config_static_selectorELNS0_4arch9wavefront6targetE1EEEvT1_
; %bb.0:
	.section	.rodata,"a",@progbits
	.p2align	6, 0x0
	.amdhsa_kernel _ZN7rocprim17ROCPRIM_400000_NS6detail17trampoline_kernelINS0_14default_configENS1_25partition_config_selectorILNS1_17partition_subalgoE8ElNS0_10empty_typeEbEEZZNS1_14partition_implILS5_8ELb0ES3_jPlPS6_PKS6_NS0_5tupleIJS9_S6_EEENSD_IJSA_SA_EEENS0_18inequality_wrapperIZN2at6native12_GLOBAL__N_124unique_dim_cuda_templateIbEESt5tupleIJNSH_6TensorESM_SM_EERKSM_lbbbEUlllE0_EEPmJS6_EEE10hipError_tPvRmT3_T4_T5_T6_T7_T9_mT8_P12ihipStream_tbDpT10_ENKUlT_T0_E_clISt17integral_constantIbLb0EES1C_EEDaS17_S18_EUlS17_E_NS1_11comp_targetILNS1_3genE8ELNS1_11target_archE1030ELNS1_3gpuE2ELNS1_3repE0EEENS1_30default_config_static_selectorELNS0_4arch9wavefront6targetE1EEEvT1_
		.amdhsa_group_segment_fixed_size 0
		.amdhsa_private_segment_fixed_size 0
		.amdhsa_kernarg_size 120
		.amdhsa_user_sgpr_count 2
		.amdhsa_user_sgpr_dispatch_ptr 0
		.amdhsa_user_sgpr_queue_ptr 0
		.amdhsa_user_sgpr_kernarg_segment_ptr 1
		.amdhsa_user_sgpr_dispatch_id 0
		.amdhsa_user_sgpr_kernarg_preload_length 0
		.amdhsa_user_sgpr_kernarg_preload_offset 0
		.amdhsa_user_sgpr_private_segment_size 0
		.amdhsa_uses_dynamic_stack 0
		.amdhsa_enable_private_segment 0
		.amdhsa_system_sgpr_workgroup_id_x 1
		.amdhsa_system_sgpr_workgroup_id_y 0
		.amdhsa_system_sgpr_workgroup_id_z 0
		.amdhsa_system_sgpr_workgroup_info 0
		.amdhsa_system_vgpr_workitem_id 0
		.amdhsa_next_free_vgpr 1
		.amdhsa_next_free_sgpr 0
		.amdhsa_accum_offset 4
		.amdhsa_reserve_vcc 0
		.amdhsa_float_round_mode_32 0
		.amdhsa_float_round_mode_16_64 0
		.amdhsa_float_denorm_mode_32 3
		.amdhsa_float_denorm_mode_16_64 3
		.amdhsa_dx10_clamp 1
		.amdhsa_ieee_mode 1
		.amdhsa_fp16_overflow 0
		.amdhsa_tg_split 0
		.amdhsa_exception_fp_ieee_invalid_op 0
		.amdhsa_exception_fp_denorm_src 0
		.amdhsa_exception_fp_ieee_div_zero 0
		.amdhsa_exception_fp_ieee_overflow 0
		.amdhsa_exception_fp_ieee_underflow 0
		.amdhsa_exception_fp_ieee_inexact 0
		.amdhsa_exception_int_div_zero 0
	.end_amdhsa_kernel
	.section	.text._ZN7rocprim17ROCPRIM_400000_NS6detail17trampoline_kernelINS0_14default_configENS1_25partition_config_selectorILNS1_17partition_subalgoE8ElNS0_10empty_typeEbEEZZNS1_14partition_implILS5_8ELb0ES3_jPlPS6_PKS6_NS0_5tupleIJS9_S6_EEENSD_IJSA_SA_EEENS0_18inequality_wrapperIZN2at6native12_GLOBAL__N_124unique_dim_cuda_templateIbEESt5tupleIJNSH_6TensorESM_SM_EERKSM_lbbbEUlllE0_EEPmJS6_EEE10hipError_tPvRmT3_T4_T5_T6_T7_T9_mT8_P12ihipStream_tbDpT10_ENKUlT_T0_E_clISt17integral_constantIbLb0EES1C_EEDaS17_S18_EUlS17_E_NS1_11comp_targetILNS1_3genE8ELNS1_11target_archE1030ELNS1_3gpuE2ELNS1_3repE0EEENS1_30default_config_static_selectorELNS0_4arch9wavefront6targetE1EEEvT1_,"axG",@progbits,_ZN7rocprim17ROCPRIM_400000_NS6detail17trampoline_kernelINS0_14default_configENS1_25partition_config_selectorILNS1_17partition_subalgoE8ElNS0_10empty_typeEbEEZZNS1_14partition_implILS5_8ELb0ES3_jPlPS6_PKS6_NS0_5tupleIJS9_S6_EEENSD_IJSA_SA_EEENS0_18inequality_wrapperIZN2at6native12_GLOBAL__N_124unique_dim_cuda_templateIbEESt5tupleIJNSH_6TensorESM_SM_EERKSM_lbbbEUlllE0_EEPmJS6_EEE10hipError_tPvRmT3_T4_T5_T6_T7_T9_mT8_P12ihipStream_tbDpT10_ENKUlT_T0_E_clISt17integral_constantIbLb0EES1C_EEDaS17_S18_EUlS17_E_NS1_11comp_targetILNS1_3genE8ELNS1_11target_archE1030ELNS1_3gpuE2ELNS1_3repE0EEENS1_30default_config_static_selectorELNS0_4arch9wavefront6targetE1EEEvT1_,comdat
.Lfunc_end1058:
	.size	_ZN7rocprim17ROCPRIM_400000_NS6detail17trampoline_kernelINS0_14default_configENS1_25partition_config_selectorILNS1_17partition_subalgoE8ElNS0_10empty_typeEbEEZZNS1_14partition_implILS5_8ELb0ES3_jPlPS6_PKS6_NS0_5tupleIJS9_S6_EEENSD_IJSA_SA_EEENS0_18inequality_wrapperIZN2at6native12_GLOBAL__N_124unique_dim_cuda_templateIbEESt5tupleIJNSH_6TensorESM_SM_EERKSM_lbbbEUlllE0_EEPmJS6_EEE10hipError_tPvRmT3_T4_T5_T6_T7_T9_mT8_P12ihipStream_tbDpT10_ENKUlT_T0_E_clISt17integral_constantIbLb0EES1C_EEDaS17_S18_EUlS17_E_NS1_11comp_targetILNS1_3genE8ELNS1_11target_archE1030ELNS1_3gpuE2ELNS1_3repE0EEENS1_30default_config_static_selectorELNS0_4arch9wavefront6targetE1EEEvT1_, .Lfunc_end1058-_ZN7rocprim17ROCPRIM_400000_NS6detail17trampoline_kernelINS0_14default_configENS1_25partition_config_selectorILNS1_17partition_subalgoE8ElNS0_10empty_typeEbEEZZNS1_14partition_implILS5_8ELb0ES3_jPlPS6_PKS6_NS0_5tupleIJS9_S6_EEENSD_IJSA_SA_EEENS0_18inequality_wrapperIZN2at6native12_GLOBAL__N_124unique_dim_cuda_templateIbEESt5tupleIJNSH_6TensorESM_SM_EERKSM_lbbbEUlllE0_EEPmJS6_EEE10hipError_tPvRmT3_T4_T5_T6_T7_T9_mT8_P12ihipStream_tbDpT10_ENKUlT_T0_E_clISt17integral_constantIbLb0EES1C_EEDaS17_S18_EUlS17_E_NS1_11comp_targetILNS1_3genE8ELNS1_11target_archE1030ELNS1_3gpuE2ELNS1_3repE0EEENS1_30default_config_static_selectorELNS0_4arch9wavefront6targetE1EEEvT1_
                                        ; -- End function
	.set _ZN7rocprim17ROCPRIM_400000_NS6detail17trampoline_kernelINS0_14default_configENS1_25partition_config_selectorILNS1_17partition_subalgoE8ElNS0_10empty_typeEbEEZZNS1_14partition_implILS5_8ELb0ES3_jPlPS6_PKS6_NS0_5tupleIJS9_S6_EEENSD_IJSA_SA_EEENS0_18inequality_wrapperIZN2at6native12_GLOBAL__N_124unique_dim_cuda_templateIbEESt5tupleIJNSH_6TensorESM_SM_EERKSM_lbbbEUlllE0_EEPmJS6_EEE10hipError_tPvRmT3_T4_T5_T6_T7_T9_mT8_P12ihipStream_tbDpT10_ENKUlT_T0_E_clISt17integral_constantIbLb0EES1C_EEDaS17_S18_EUlS17_E_NS1_11comp_targetILNS1_3genE8ELNS1_11target_archE1030ELNS1_3gpuE2ELNS1_3repE0EEENS1_30default_config_static_selectorELNS0_4arch9wavefront6targetE1EEEvT1_.num_vgpr, 0
	.set _ZN7rocprim17ROCPRIM_400000_NS6detail17trampoline_kernelINS0_14default_configENS1_25partition_config_selectorILNS1_17partition_subalgoE8ElNS0_10empty_typeEbEEZZNS1_14partition_implILS5_8ELb0ES3_jPlPS6_PKS6_NS0_5tupleIJS9_S6_EEENSD_IJSA_SA_EEENS0_18inequality_wrapperIZN2at6native12_GLOBAL__N_124unique_dim_cuda_templateIbEESt5tupleIJNSH_6TensorESM_SM_EERKSM_lbbbEUlllE0_EEPmJS6_EEE10hipError_tPvRmT3_T4_T5_T6_T7_T9_mT8_P12ihipStream_tbDpT10_ENKUlT_T0_E_clISt17integral_constantIbLb0EES1C_EEDaS17_S18_EUlS17_E_NS1_11comp_targetILNS1_3genE8ELNS1_11target_archE1030ELNS1_3gpuE2ELNS1_3repE0EEENS1_30default_config_static_selectorELNS0_4arch9wavefront6targetE1EEEvT1_.num_agpr, 0
	.set _ZN7rocprim17ROCPRIM_400000_NS6detail17trampoline_kernelINS0_14default_configENS1_25partition_config_selectorILNS1_17partition_subalgoE8ElNS0_10empty_typeEbEEZZNS1_14partition_implILS5_8ELb0ES3_jPlPS6_PKS6_NS0_5tupleIJS9_S6_EEENSD_IJSA_SA_EEENS0_18inequality_wrapperIZN2at6native12_GLOBAL__N_124unique_dim_cuda_templateIbEESt5tupleIJNSH_6TensorESM_SM_EERKSM_lbbbEUlllE0_EEPmJS6_EEE10hipError_tPvRmT3_T4_T5_T6_T7_T9_mT8_P12ihipStream_tbDpT10_ENKUlT_T0_E_clISt17integral_constantIbLb0EES1C_EEDaS17_S18_EUlS17_E_NS1_11comp_targetILNS1_3genE8ELNS1_11target_archE1030ELNS1_3gpuE2ELNS1_3repE0EEENS1_30default_config_static_selectorELNS0_4arch9wavefront6targetE1EEEvT1_.numbered_sgpr, 0
	.set _ZN7rocprim17ROCPRIM_400000_NS6detail17trampoline_kernelINS0_14default_configENS1_25partition_config_selectorILNS1_17partition_subalgoE8ElNS0_10empty_typeEbEEZZNS1_14partition_implILS5_8ELb0ES3_jPlPS6_PKS6_NS0_5tupleIJS9_S6_EEENSD_IJSA_SA_EEENS0_18inequality_wrapperIZN2at6native12_GLOBAL__N_124unique_dim_cuda_templateIbEESt5tupleIJNSH_6TensorESM_SM_EERKSM_lbbbEUlllE0_EEPmJS6_EEE10hipError_tPvRmT3_T4_T5_T6_T7_T9_mT8_P12ihipStream_tbDpT10_ENKUlT_T0_E_clISt17integral_constantIbLb0EES1C_EEDaS17_S18_EUlS17_E_NS1_11comp_targetILNS1_3genE8ELNS1_11target_archE1030ELNS1_3gpuE2ELNS1_3repE0EEENS1_30default_config_static_selectorELNS0_4arch9wavefront6targetE1EEEvT1_.num_named_barrier, 0
	.set _ZN7rocprim17ROCPRIM_400000_NS6detail17trampoline_kernelINS0_14default_configENS1_25partition_config_selectorILNS1_17partition_subalgoE8ElNS0_10empty_typeEbEEZZNS1_14partition_implILS5_8ELb0ES3_jPlPS6_PKS6_NS0_5tupleIJS9_S6_EEENSD_IJSA_SA_EEENS0_18inequality_wrapperIZN2at6native12_GLOBAL__N_124unique_dim_cuda_templateIbEESt5tupleIJNSH_6TensorESM_SM_EERKSM_lbbbEUlllE0_EEPmJS6_EEE10hipError_tPvRmT3_T4_T5_T6_T7_T9_mT8_P12ihipStream_tbDpT10_ENKUlT_T0_E_clISt17integral_constantIbLb0EES1C_EEDaS17_S18_EUlS17_E_NS1_11comp_targetILNS1_3genE8ELNS1_11target_archE1030ELNS1_3gpuE2ELNS1_3repE0EEENS1_30default_config_static_selectorELNS0_4arch9wavefront6targetE1EEEvT1_.private_seg_size, 0
	.set _ZN7rocprim17ROCPRIM_400000_NS6detail17trampoline_kernelINS0_14default_configENS1_25partition_config_selectorILNS1_17partition_subalgoE8ElNS0_10empty_typeEbEEZZNS1_14partition_implILS5_8ELb0ES3_jPlPS6_PKS6_NS0_5tupleIJS9_S6_EEENSD_IJSA_SA_EEENS0_18inequality_wrapperIZN2at6native12_GLOBAL__N_124unique_dim_cuda_templateIbEESt5tupleIJNSH_6TensorESM_SM_EERKSM_lbbbEUlllE0_EEPmJS6_EEE10hipError_tPvRmT3_T4_T5_T6_T7_T9_mT8_P12ihipStream_tbDpT10_ENKUlT_T0_E_clISt17integral_constantIbLb0EES1C_EEDaS17_S18_EUlS17_E_NS1_11comp_targetILNS1_3genE8ELNS1_11target_archE1030ELNS1_3gpuE2ELNS1_3repE0EEENS1_30default_config_static_selectorELNS0_4arch9wavefront6targetE1EEEvT1_.uses_vcc, 0
	.set _ZN7rocprim17ROCPRIM_400000_NS6detail17trampoline_kernelINS0_14default_configENS1_25partition_config_selectorILNS1_17partition_subalgoE8ElNS0_10empty_typeEbEEZZNS1_14partition_implILS5_8ELb0ES3_jPlPS6_PKS6_NS0_5tupleIJS9_S6_EEENSD_IJSA_SA_EEENS0_18inequality_wrapperIZN2at6native12_GLOBAL__N_124unique_dim_cuda_templateIbEESt5tupleIJNSH_6TensorESM_SM_EERKSM_lbbbEUlllE0_EEPmJS6_EEE10hipError_tPvRmT3_T4_T5_T6_T7_T9_mT8_P12ihipStream_tbDpT10_ENKUlT_T0_E_clISt17integral_constantIbLb0EES1C_EEDaS17_S18_EUlS17_E_NS1_11comp_targetILNS1_3genE8ELNS1_11target_archE1030ELNS1_3gpuE2ELNS1_3repE0EEENS1_30default_config_static_selectorELNS0_4arch9wavefront6targetE1EEEvT1_.uses_flat_scratch, 0
	.set _ZN7rocprim17ROCPRIM_400000_NS6detail17trampoline_kernelINS0_14default_configENS1_25partition_config_selectorILNS1_17partition_subalgoE8ElNS0_10empty_typeEbEEZZNS1_14partition_implILS5_8ELb0ES3_jPlPS6_PKS6_NS0_5tupleIJS9_S6_EEENSD_IJSA_SA_EEENS0_18inequality_wrapperIZN2at6native12_GLOBAL__N_124unique_dim_cuda_templateIbEESt5tupleIJNSH_6TensorESM_SM_EERKSM_lbbbEUlllE0_EEPmJS6_EEE10hipError_tPvRmT3_T4_T5_T6_T7_T9_mT8_P12ihipStream_tbDpT10_ENKUlT_T0_E_clISt17integral_constantIbLb0EES1C_EEDaS17_S18_EUlS17_E_NS1_11comp_targetILNS1_3genE8ELNS1_11target_archE1030ELNS1_3gpuE2ELNS1_3repE0EEENS1_30default_config_static_selectorELNS0_4arch9wavefront6targetE1EEEvT1_.has_dyn_sized_stack, 0
	.set _ZN7rocprim17ROCPRIM_400000_NS6detail17trampoline_kernelINS0_14default_configENS1_25partition_config_selectorILNS1_17partition_subalgoE8ElNS0_10empty_typeEbEEZZNS1_14partition_implILS5_8ELb0ES3_jPlPS6_PKS6_NS0_5tupleIJS9_S6_EEENSD_IJSA_SA_EEENS0_18inequality_wrapperIZN2at6native12_GLOBAL__N_124unique_dim_cuda_templateIbEESt5tupleIJNSH_6TensorESM_SM_EERKSM_lbbbEUlllE0_EEPmJS6_EEE10hipError_tPvRmT3_T4_T5_T6_T7_T9_mT8_P12ihipStream_tbDpT10_ENKUlT_T0_E_clISt17integral_constantIbLb0EES1C_EEDaS17_S18_EUlS17_E_NS1_11comp_targetILNS1_3genE8ELNS1_11target_archE1030ELNS1_3gpuE2ELNS1_3repE0EEENS1_30default_config_static_selectorELNS0_4arch9wavefront6targetE1EEEvT1_.has_recursion, 0
	.set _ZN7rocprim17ROCPRIM_400000_NS6detail17trampoline_kernelINS0_14default_configENS1_25partition_config_selectorILNS1_17partition_subalgoE8ElNS0_10empty_typeEbEEZZNS1_14partition_implILS5_8ELb0ES3_jPlPS6_PKS6_NS0_5tupleIJS9_S6_EEENSD_IJSA_SA_EEENS0_18inequality_wrapperIZN2at6native12_GLOBAL__N_124unique_dim_cuda_templateIbEESt5tupleIJNSH_6TensorESM_SM_EERKSM_lbbbEUlllE0_EEPmJS6_EEE10hipError_tPvRmT3_T4_T5_T6_T7_T9_mT8_P12ihipStream_tbDpT10_ENKUlT_T0_E_clISt17integral_constantIbLb0EES1C_EEDaS17_S18_EUlS17_E_NS1_11comp_targetILNS1_3genE8ELNS1_11target_archE1030ELNS1_3gpuE2ELNS1_3repE0EEENS1_30default_config_static_selectorELNS0_4arch9wavefront6targetE1EEEvT1_.has_indirect_call, 0
	.section	.AMDGPU.csdata,"",@progbits
; Kernel info:
; codeLenInByte = 0
; TotalNumSgprs: 6
; NumVgprs: 0
; NumAgprs: 0
; TotalNumVgprs: 0
; ScratchSize: 0
; MemoryBound: 0
; FloatMode: 240
; IeeeMode: 1
; LDSByteSize: 0 bytes/workgroup (compile time only)
; SGPRBlocks: 0
; VGPRBlocks: 0
; NumSGPRsForWavesPerEU: 6
; NumVGPRsForWavesPerEU: 1
; AccumOffset: 4
; Occupancy: 8
; WaveLimiterHint : 0
; COMPUTE_PGM_RSRC2:SCRATCH_EN: 0
; COMPUTE_PGM_RSRC2:USER_SGPR: 2
; COMPUTE_PGM_RSRC2:TRAP_HANDLER: 0
; COMPUTE_PGM_RSRC2:TGID_X_EN: 1
; COMPUTE_PGM_RSRC2:TGID_Y_EN: 0
; COMPUTE_PGM_RSRC2:TGID_Z_EN: 0
; COMPUTE_PGM_RSRC2:TIDIG_COMP_CNT: 0
; COMPUTE_PGM_RSRC3_GFX90A:ACCUM_OFFSET: 0
; COMPUTE_PGM_RSRC3_GFX90A:TG_SPLIT: 0
	.section	.text._ZN7rocprim17ROCPRIM_400000_NS6detail17trampoline_kernelINS0_14default_configENS1_25partition_config_selectorILNS1_17partition_subalgoE8ElNS0_10empty_typeEbEEZZNS1_14partition_implILS5_8ELb0ES3_jPlPS6_PKS6_NS0_5tupleIJS9_S6_EEENSD_IJSA_SA_EEENS0_18inequality_wrapperIZN2at6native12_GLOBAL__N_124unique_dim_cuda_templateIbEESt5tupleIJNSH_6TensorESM_SM_EERKSM_lbbbEUlllE0_EEPmJS6_EEE10hipError_tPvRmT3_T4_T5_T6_T7_T9_mT8_P12ihipStream_tbDpT10_ENKUlT_T0_E_clISt17integral_constantIbLb1EES1C_EEDaS17_S18_EUlS17_E_NS1_11comp_targetILNS1_3genE0ELNS1_11target_archE4294967295ELNS1_3gpuE0ELNS1_3repE0EEENS1_30default_config_static_selectorELNS0_4arch9wavefront6targetE1EEEvT1_,"axG",@progbits,_ZN7rocprim17ROCPRIM_400000_NS6detail17trampoline_kernelINS0_14default_configENS1_25partition_config_selectorILNS1_17partition_subalgoE8ElNS0_10empty_typeEbEEZZNS1_14partition_implILS5_8ELb0ES3_jPlPS6_PKS6_NS0_5tupleIJS9_S6_EEENSD_IJSA_SA_EEENS0_18inequality_wrapperIZN2at6native12_GLOBAL__N_124unique_dim_cuda_templateIbEESt5tupleIJNSH_6TensorESM_SM_EERKSM_lbbbEUlllE0_EEPmJS6_EEE10hipError_tPvRmT3_T4_T5_T6_T7_T9_mT8_P12ihipStream_tbDpT10_ENKUlT_T0_E_clISt17integral_constantIbLb1EES1C_EEDaS17_S18_EUlS17_E_NS1_11comp_targetILNS1_3genE0ELNS1_11target_archE4294967295ELNS1_3gpuE0ELNS1_3repE0EEENS1_30default_config_static_selectorELNS0_4arch9wavefront6targetE1EEEvT1_,comdat
	.globl	_ZN7rocprim17ROCPRIM_400000_NS6detail17trampoline_kernelINS0_14default_configENS1_25partition_config_selectorILNS1_17partition_subalgoE8ElNS0_10empty_typeEbEEZZNS1_14partition_implILS5_8ELb0ES3_jPlPS6_PKS6_NS0_5tupleIJS9_S6_EEENSD_IJSA_SA_EEENS0_18inequality_wrapperIZN2at6native12_GLOBAL__N_124unique_dim_cuda_templateIbEESt5tupleIJNSH_6TensorESM_SM_EERKSM_lbbbEUlllE0_EEPmJS6_EEE10hipError_tPvRmT3_T4_T5_T6_T7_T9_mT8_P12ihipStream_tbDpT10_ENKUlT_T0_E_clISt17integral_constantIbLb1EES1C_EEDaS17_S18_EUlS17_E_NS1_11comp_targetILNS1_3genE0ELNS1_11target_archE4294967295ELNS1_3gpuE0ELNS1_3repE0EEENS1_30default_config_static_selectorELNS0_4arch9wavefront6targetE1EEEvT1_ ; -- Begin function _ZN7rocprim17ROCPRIM_400000_NS6detail17trampoline_kernelINS0_14default_configENS1_25partition_config_selectorILNS1_17partition_subalgoE8ElNS0_10empty_typeEbEEZZNS1_14partition_implILS5_8ELb0ES3_jPlPS6_PKS6_NS0_5tupleIJS9_S6_EEENSD_IJSA_SA_EEENS0_18inequality_wrapperIZN2at6native12_GLOBAL__N_124unique_dim_cuda_templateIbEESt5tupleIJNSH_6TensorESM_SM_EERKSM_lbbbEUlllE0_EEPmJS6_EEE10hipError_tPvRmT3_T4_T5_T6_T7_T9_mT8_P12ihipStream_tbDpT10_ENKUlT_T0_E_clISt17integral_constantIbLb1EES1C_EEDaS17_S18_EUlS17_E_NS1_11comp_targetILNS1_3genE0ELNS1_11target_archE4294967295ELNS1_3gpuE0ELNS1_3repE0EEENS1_30default_config_static_selectorELNS0_4arch9wavefront6targetE1EEEvT1_
	.p2align	8
	.type	_ZN7rocprim17ROCPRIM_400000_NS6detail17trampoline_kernelINS0_14default_configENS1_25partition_config_selectorILNS1_17partition_subalgoE8ElNS0_10empty_typeEbEEZZNS1_14partition_implILS5_8ELb0ES3_jPlPS6_PKS6_NS0_5tupleIJS9_S6_EEENSD_IJSA_SA_EEENS0_18inequality_wrapperIZN2at6native12_GLOBAL__N_124unique_dim_cuda_templateIbEESt5tupleIJNSH_6TensorESM_SM_EERKSM_lbbbEUlllE0_EEPmJS6_EEE10hipError_tPvRmT3_T4_T5_T6_T7_T9_mT8_P12ihipStream_tbDpT10_ENKUlT_T0_E_clISt17integral_constantIbLb1EES1C_EEDaS17_S18_EUlS17_E_NS1_11comp_targetILNS1_3genE0ELNS1_11target_archE4294967295ELNS1_3gpuE0ELNS1_3repE0EEENS1_30default_config_static_selectorELNS0_4arch9wavefront6targetE1EEEvT1_,@function
_ZN7rocprim17ROCPRIM_400000_NS6detail17trampoline_kernelINS0_14default_configENS1_25partition_config_selectorILNS1_17partition_subalgoE8ElNS0_10empty_typeEbEEZZNS1_14partition_implILS5_8ELb0ES3_jPlPS6_PKS6_NS0_5tupleIJS9_S6_EEENSD_IJSA_SA_EEENS0_18inequality_wrapperIZN2at6native12_GLOBAL__N_124unique_dim_cuda_templateIbEESt5tupleIJNSH_6TensorESM_SM_EERKSM_lbbbEUlllE0_EEPmJS6_EEE10hipError_tPvRmT3_T4_T5_T6_T7_T9_mT8_P12ihipStream_tbDpT10_ENKUlT_T0_E_clISt17integral_constantIbLb1EES1C_EEDaS17_S18_EUlS17_E_NS1_11comp_targetILNS1_3genE0ELNS1_11target_archE4294967295ELNS1_3gpuE0ELNS1_3repE0EEENS1_30default_config_static_selectorELNS0_4arch9wavefront6targetE1EEEvT1_: ; @_ZN7rocprim17ROCPRIM_400000_NS6detail17trampoline_kernelINS0_14default_configENS1_25partition_config_selectorILNS1_17partition_subalgoE8ElNS0_10empty_typeEbEEZZNS1_14partition_implILS5_8ELb0ES3_jPlPS6_PKS6_NS0_5tupleIJS9_S6_EEENSD_IJSA_SA_EEENS0_18inequality_wrapperIZN2at6native12_GLOBAL__N_124unique_dim_cuda_templateIbEESt5tupleIJNSH_6TensorESM_SM_EERKSM_lbbbEUlllE0_EEPmJS6_EEE10hipError_tPvRmT3_T4_T5_T6_T7_T9_mT8_P12ihipStream_tbDpT10_ENKUlT_T0_E_clISt17integral_constantIbLb1EES1C_EEDaS17_S18_EUlS17_E_NS1_11comp_targetILNS1_3genE0ELNS1_11target_archE4294967295ELNS1_3gpuE0ELNS1_3repE0EEENS1_30default_config_static_selectorELNS0_4arch9wavefront6targetE1EEEvT1_
; %bb.0:
	s_endpgm
	.section	.rodata,"a",@progbits
	.p2align	6, 0x0
	.amdhsa_kernel _ZN7rocprim17ROCPRIM_400000_NS6detail17trampoline_kernelINS0_14default_configENS1_25partition_config_selectorILNS1_17partition_subalgoE8ElNS0_10empty_typeEbEEZZNS1_14partition_implILS5_8ELb0ES3_jPlPS6_PKS6_NS0_5tupleIJS9_S6_EEENSD_IJSA_SA_EEENS0_18inequality_wrapperIZN2at6native12_GLOBAL__N_124unique_dim_cuda_templateIbEESt5tupleIJNSH_6TensorESM_SM_EERKSM_lbbbEUlllE0_EEPmJS6_EEE10hipError_tPvRmT3_T4_T5_T6_T7_T9_mT8_P12ihipStream_tbDpT10_ENKUlT_T0_E_clISt17integral_constantIbLb1EES1C_EEDaS17_S18_EUlS17_E_NS1_11comp_targetILNS1_3genE0ELNS1_11target_archE4294967295ELNS1_3gpuE0ELNS1_3repE0EEENS1_30default_config_static_selectorELNS0_4arch9wavefront6targetE1EEEvT1_
		.amdhsa_group_segment_fixed_size 0
		.amdhsa_private_segment_fixed_size 0
		.amdhsa_kernarg_size 136
		.amdhsa_user_sgpr_count 2
		.amdhsa_user_sgpr_dispatch_ptr 0
		.amdhsa_user_sgpr_queue_ptr 0
		.amdhsa_user_sgpr_kernarg_segment_ptr 1
		.amdhsa_user_sgpr_dispatch_id 0
		.amdhsa_user_sgpr_kernarg_preload_length 0
		.amdhsa_user_sgpr_kernarg_preload_offset 0
		.amdhsa_user_sgpr_private_segment_size 0
		.amdhsa_uses_dynamic_stack 0
		.amdhsa_enable_private_segment 0
		.amdhsa_system_sgpr_workgroup_id_x 1
		.amdhsa_system_sgpr_workgroup_id_y 0
		.amdhsa_system_sgpr_workgroup_id_z 0
		.amdhsa_system_sgpr_workgroup_info 0
		.amdhsa_system_vgpr_workitem_id 0
		.amdhsa_next_free_vgpr 1
		.amdhsa_next_free_sgpr 0
		.amdhsa_accum_offset 4
		.amdhsa_reserve_vcc 0
		.amdhsa_float_round_mode_32 0
		.amdhsa_float_round_mode_16_64 0
		.amdhsa_float_denorm_mode_32 3
		.amdhsa_float_denorm_mode_16_64 3
		.amdhsa_dx10_clamp 1
		.amdhsa_ieee_mode 1
		.amdhsa_fp16_overflow 0
		.amdhsa_tg_split 0
		.amdhsa_exception_fp_ieee_invalid_op 0
		.amdhsa_exception_fp_denorm_src 0
		.amdhsa_exception_fp_ieee_div_zero 0
		.amdhsa_exception_fp_ieee_overflow 0
		.amdhsa_exception_fp_ieee_underflow 0
		.amdhsa_exception_fp_ieee_inexact 0
		.amdhsa_exception_int_div_zero 0
	.end_amdhsa_kernel
	.section	.text._ZN7rocprim17ROCPRIM_400000_NS6detail17trampoline_kernelINS0_14default_configENS1_25partition_config_selectorILNS1_17partition_subalgoE8ElNS0_10empty_typeEbEEZZNS1_14partition_implILS5_8ELb0ES3_jPlPS6_PKS6_NS0_5tupleIJS9_S6_EEENSD_IJSA_SA_EEENS0_18inequality_wrapperIZN2at6native12_GLOBAL__N_124unique_dim_cuda_templateIbEESt5tupleIJNSH_6TensorESM_SM_EERKSM_lbbbEUlllE0_EEPmJS6_EEE10hipError_tPvRmT3_T4_T5_T6_T7_T9_mT8_P12ihipStream_tbDpT10_ENKUlT_T0_E_clISt17integral_constantIbLb1EES1C_EEDaS17_S18_EUlS17_E_NS1_11comp_targetILNS1_3genE0ELNS1_11target_archE4294967295ELNS1_3gpuE0ELNS1_3repE0EEENS1_30default_config_static_selectorELNS0_4arch9wavefront6targetE1EEEvT1_,"axG",@progbits,_ZN7rocprim17ROCPRIM_400000_NS6detail17trampoline_kernelINS0_14default_configENS1_25partition_config_selectorILNS1_17partition_subalgoE8ElNS0_10empty_typeEbEEZZNS1_14partition_implILS5_8ELb0ES3_jPlPS6_PKS6_NS0_5tupleIJS9_S6_EEENSD_IJSA_SA_EEENS0_18inequality_wrapperIZN2at6native12_GLOBAL__N_124unique_dim_cuda_templateIbEESt5tupleIJNSH_6TensorESM_SM_EERKSM_lbbbEUlllE0_EEPmJS6_EEE10hipError_tPvRmT3_T4_T5_T6_T7_T9_mT8_P12ihipStream_tbDpT10_ENKUlT_T0_E_clISt17integral_constantIbLb1EES1C_EEDaS17_S18_EUlS17_E_NS1_11comp_targetILNS1_3genE0ELNS1_11target_archE4294967295ELNS1_3gpuE0ELNS1_3repE0EEENS1_30default_config_static_selectorELNS0_4arch9wavefront6targetE1EEEvT1_,comdat
.Lfunc_end1059:
	.size	_ZN7rocprim17ROCPRIM_400000_NS6detail17trampoline_kernelINS0_14default_configENS1_25partition_config_selectorILNS1_17partition_subalgoE8ElNS0_10empty_typeEbEEZZNS1_14partition_implILS5_8ELb0ES3_jPlPS6_PKS6_NS0_5tupleIJS9_S6_EEENSD_IJSA_SA_EEENS0_18inequality_wrapperIZN2at6native12_GLOBAL__N_124unique_dim_cuda_templateIbEESt5tupleIJNSH_6TensorESM_SM_EERKSM_lbbbEUlllE0_EEPmJS6_EEE10hipError_tPvRmT3_T4_T5_T6_T7_T9_mT8_P12ihipStream_tbDpT10_ENKUlT_T0_E_clISt17integral_constantIbLb1EES1C_EEDaS17_S18_EUlS17_E_NS1_11comp_targetILNS1_3genE0ELNS1_11target_archE4294967295ELNS1_3gpuE0ELNS1_3repE0EEENS1_30default_config_static_selectorELNS0_4arch9wavefront6targetE1EEEvT1_, .Lfunc_end1059-_ZN7rocprim17ROCPRIM_400000_NS6detail17trampoline_kernelINS0_14default_configENS1_25partition_config_selectorILNS1_17partition_subalgoE8ElNS0_10empty_typeEbEEZZNS1_14partition_implILS5_8ELb0ES3_jPlPS6_PKS6_NS0_5tupleIJS9_S6_EEENSD_IJSA_SA_EEENS0_18inequality_wrapperIZN2at6native12_GLOBAL__N_124unique_dim_cuda_templateIbEESt5tupleIJNSH_6TensorESM_SM_EERKSM_lbbbEUlllE0_EEPmJS6_EEE10hipError_tPvRmT3_T4_T5_T6_T7_T9_mT8_P12ihipStream_tbDpT10_ENKUlT_T0_E_clISt17integral_constantIbLb1EES1C_EEDaS17_S18_EUlS17_E_NS1_11comp_targetILNS1_3genE0ELNS1_11target_archE4294967295ELNS1_3gpuE0ELNS1_3repE0EEENS1_30default_config_static_selectorELNS0_4arch9wavefront6targetE1EEEvT1_
                                        ; -- End function
	.set _ZN7rocprim17ROCPRIM_400000_NS6detail17trampoline_kernelINS0_14default_configENS1_25partition_config_selectorILNS1_17partition_subalgoE8ElNS0_10empty_typeEbEEZZNS1_14partition_implILS5_8ELb0ES3_jPlPS6_PKS6_NS0_5tupleIJS9_S6_EEENSD_IJSA_SA_EEENS0_18inequality_wrapperIZN2at6native12_GLOBAL__N_124unique_dim_cuda_templateIbEESt5tupleIJNSH_6TensorESM_SM_EERKSM_lbbbEUlllE0_EEPmJS6_EEE10hipError_tPvRmT3_T4_T5_T6_T7_T9_mT8_P12ihipStream_tbDpT10_ENKUlT_T0_E_clISt17integral_constantIbLb1EES1C_EEDaS17_S18_EUlS17_E_NS1_11comp_targetILNS1_3genE0ELNS1_11target_archE4294967295ELNS1_3gpuE0ELNS1_3repE0EEENS1_30default_config_static_selectorELNS0_4arch9wavefront6targetE1EEEvT1_.num_vgpr, 0
	.set _ZN7rocprim17ROCPRIM_400000_NS6detail17trampoline_kernelINS0_14default_configENS1_25partition_config_selectorILNS1_17partition_subalgoE8ElNS0_10empty_typeEbEEZZNS1_14partition_implILS5_8ELb0ES3_jPlPS6_PKS6_NS0_5tupleIJS9_S6_EEENSD_IJSA_SA_EEENS0_18inequality_wrapperIZN2at6native12_GLOBAL__N_124unique_dim_cuda_templateIbEESt5tupleIJNSH_6TensorESM_SM_EERKSM_lbbbEUlllE0_EEPmJS6_EEE10hipError_tPvRmT3_T4_T5_T6_T7_T9_mT8_P12ihipStream_tbDpT10_ENKUlT_T0_E_clISt17integral_constantIbLb1EES1C_EEDaS17_S18_EUlS17_E_NS1_11comp_targetILNS1_3genE0ELNS1_11target_archE4294967295ELNS1_3gpuE0ELNS1_3repE0EEENS1_30default_config_static_selectorELNS0_4arch9wavefront6targetE1EEEvT1_.num_agpr, 0
	.set _ZN7rocprim17ROCPRIM_400000_NS6detail17trampoline_kernelINS0_14default_configENS1_25partition_config_selectorILNS1_17partition_subalgoE8ElNS0_10empty_typeEbEEZZNS1_14partition_implILS5_8ELb0ES3_jPlPS6_PKS6_NS0_5tupleIJS9_S6_EEENSD_IJSA_SA_EEENS0_18inequality_wrapperIZN2at6native12_GLOBAL__N_124unique_dim_cuda_templateIbEESt5tupleIJNSH_6TensorESM_SM_EERKSM_lbbbEUlllE0_EEPmJS6_EEE10hipError_tPvRmT3_T4_T5_T6_T7_T9_mT8_P12ihipStream_tbDpT10_ENKUlT_T0_E_clISt17integral_constantIbLb1EES1C_EEDaS17_S18_EUlS17_E_NS1_11comp_targetILNS1_3genE0ELNS1_11target_archE4294967295ELNS1_3gpuE0ELNS1_3repE0EEENS1_30default_config_static_selectorELNS0_4arch9wavefront6targetE1EEEvT1_.numbered_sgpr, 0
	.set _ZN7rocprim17ROCPRIM_400000_NS6detail17trampoline_kernelINS0_14default_configENS1_25partition_config_selectorILNS1_17partition_subalgoE8ElNS0_10empty_typeEbEEZZNS1_14partition_implILS5_8ELb0ES3_jPlPS6_PKS6_NS0_5tupleIJS9_S6_EEENSD_IJSA_SA_EEENS0_18inequality_wrapperIZN2at6native12_GLOBAL__N_124unique_dim_cuda_templateIbEESt5tupleIJNSH_6TensorESM_SM_EERKSM_lbbbEUlllE0_EEPmJS6_EEE10hipError_tPvRmT3_T4_T5_T6_T7_T9_mT8_P12ihipStream_tbDpT10_ENKUlT_T0_E_clISt17integral_constantIbLb1EES1C_EEDaS17_S18_EUlS17_E_NS1_11comp_targetILNS1_3genE0ELNS1_11target_archE4294967295ELNS1_3gpuE0ELNS1_3repE0EEENS1_30default_config_static_selectorELNS0_4arch9wavefront6targetE1EEEvT1_.num_named_barrier, 0
	.set _ZN7rocprim17ROCPRIM_400000_NS6detail17trampoline_kernelINS0_14default_configENS1_25partition_config_selectorILNS1_17partition_subalgoE8ElNS0_10empty_typeEbEEZZNS1_14partition_implILS5_8ELb0ES3_jPlPS6_PKS6_NS0_5tupleIJS9_S6_EEENSD_IJSA_SA_EEENS0_18inequality_wrapperIZN2at6native12_GLOBAL__N_124unique_dim_cuda_templateIbEESt5tupleIJNSH_6TensorESM_SM_EERKSM_lbbbEUlllE0_EEPmJS6_EEE10hipError_tPvRmT3_T4_T5_T6_T7_T9_mT8_P12ihipStream_tbDpT10_ENKUlT_T0_E_clISt17integral_constantIbLb1EES1C_EEDaS17_S18_EUlS17_E_NS1_11comp_targetILNS1_3genE0ELNS1_11target_archE4294967295ELNS1_3gpuE0ELNS1_3repE0EEENS1_30default_config_static_selectorELNS0_4arch9wavefront6targetE1EEEvT1_.private_seg_size, 0
	.set _ZN7rocprim17ROCPRIM_400000_NS6detail17trampoline_kernelINS0_14default_configENS1_25partition_config_selectorILNS1_17partition_subalgoE8ElNS0_10empty_typeEbEEZZNS1_14partition_implILS5_8ELb0ES3_jPlPS6_PKS6_NS0_5tupleIJS9_S6_EEENSD_IJSA_SA_EEENS0_18inequality_wrapperIZN2at6native12_GLOBAL__N_124unique_dim_cuda_templateIbEESt5tupleIJNSH_6TensorESM_SM_EERKSM_lbbbEUlllE0_EEPmJS6_EEE10hipError_tPvRmT3_T4_T5_T6_T7_T9_mT8_P12ihipStream_tbDpT10_ENKUlT_T0_E_clISt17integral_constantIbLb1EES1C_EEDaS17_S18_EUlS17_E_NS1_11comp_targetILNS1_3genE0ELNS1_11target_archE4294967295ELNS1_3gpuE0ELNS1_3repE0EEENS1_30default_config_static_selectorELNS0_4arch9wavefront6targetE1EEEvT1_.uses_vcc, 0
	.set _ZN7rocprim17ROCPRIM_400000_NS6detail17trampoline_kernelINS0_14default_configENS1_25partition_config_selectorILNS1_17partition_subalgoE8ElNS0_10empty_typeEbEEZZNS1_14partition_implILS5_8ELb0ES3_jPlPS6_PKS6_NS0_5tupleIJS9_S6_EEENSD_IJSA_SA_EEENS0_18inequality_wrapperIZN2at6native12_GLOBAL__N_124unique_dim_cuda_templateIbEESt5tupleIJNSH_6TensorESM_SM_EERKSM_lbbbEUlllE0_EEPmJS6_EEE10hipError_tPvRmT3_T4_T5_T6_T7_T9_mT8_P12ihipStream_tbDpT10_ENKUlT_T0_E_clISt17integral_constantIbLb1EES1C_EEDaS17_S18_EUlS17_E_NS1_11comp_targetILNS1_3genE0ELNS1_11target_archE4294967295ELNS1_3gpuE0ELNS1_3repE0EEENS1_30default_config_static_selectorELNS0_4arch9wavefront6targetE1EEEvT1_.uses_flat_scratch, 0
	.set _ZN7rocprim17ROCPRIM_400000_NS6detail17trampoline_kernelINS0_14default_configENS1_25partition_config_selectorILNS1_17partition_subalgoE8ElNS0_10empty_typeEbEEZZNS1_14partition_implILS5_8ELb0ES3_jPlPS6_PKS6_NS0_5tupleIJS9_S6_EEENSD_IJSA_SA_EEENS0_18inequality_wrapperIZN2at6native12_GLOBAL__N_124unique_dim_cuda_templateIbEESt5tupleIJNSH_6TensorESM_SM_EERKSM_lbbbEUlllE0_EEPmJS6_EEE10hipError_tPvRmT3_T4_T5_T6_T7_T9_mT8_P12ihipStream_tbDpT10_ENKUlT_T0_E_clISt17integral_constantIbLb1EES1C_EEDaS17_S18_EUlS17_E_NS1_11comp_targetILNS1_3genE0ELNS1_11target_archE4294967295ELNS1_3gpuE0ELNS1_3repE0EEENS1_30default_config_static_selectorELNS0_4arch9wavefront6targetE1EEEvT1_.has_dyn_sized_stack, 0
	.set _ZN7rocprim17ROCPRIM_400000_NS6detail17trampoline_kernelINS0_14default_configENS1_25partition_config_selectorILNS1_17partition_subalgoE8ElNS0_10empty_typeEbEEZZNS1_14partition_implILS5_8ELb0ES3_jPlPS6_PKS6_NS0_5tupleIJS9_S6_EEENSD_IJSA_SA_EEENS0_18inequality_wrapperIZN2at6native12_GLOBAL__N_124unique_dim_cuda_templateIbEESt5tupleIJNSH_6TensorESM_SM_EERKSM_lbbbEUlllE0_EEPmJS6_EEE10hipError_tPvRmT3_T4_T5_T6_T7_T9_mT8_P12ihipStream_tbDpT10_ENKUlT_T0_E_clISt17integral_constantIbLb1EES1C_EEDaS17_S18_EUlS17_E_NS1_11comp_targetILNS1_3genE0ELNS1_11target_archE4294967295ELNS1_3gpuE0ELNS1_3repE0EEENS1_30default_config_static_selectorELNS0_4arch9wavefront6targetE1EEEvT1_.has_recursion, 0
	.set _ZN7rocprim17ROCPRIM_400000_NS6detail17trampoline_kernelINS0_14default_configENS1_25partition_config_selectorILNS1_17partition_subalgoE8ElNS0_10empty_typeEbEEZZNS1_14partition_implILS5_8ELb0ES3_jPlPS6_PKS6_NS0_5tupleIJS9_S6_EEENSD_IJSA_SA_EEENS0_18inequality_wrapperIZN2at6native12_GLOBAL__N_124unique_dim_cuda_templateIbEESt5tupleIJNSH_6TensorESM_SM_EERKSM_lbbbEUlllE0_EEPmJS6_EEE10hipError_tPvRmT3_T4_T5_T6_T7_T9_mT8_P12ihipStream_tbDpT10_ENKUlT_T0_E_clISt17integral_constantIbLb1EES1C_EEDaS17_S18_EUlS17_E_NS1_11comp_targetILNS1_3genE0ELNS1_11target_archE4294967295ELNS1_3gpuE0ELNS1_3repE0EEENS1_30default_config_static_selectorELNS0_4arch9wavefront6targetE1EEEvT1_.has_indirect_call, 0
	.section	.AMDGPU.csdata,"",@progbits
; Kernel info:
; codeLenInByte = 4
; TotalNumSgprs: 6
; NumVgprs: 0
; NumAgprs: 0
; TotalNumVgprs: 0
; ScratchSize: 0
; MemoryBound: 0
; FloatMode: 240
; IeeeMode: 1
; LDSByteSize: 0 bytes/workgroup (compile time only)
; SGPRBlocks: 0
; VGPRBlocks: 0
; NumSGPRsForWavesPerEU: 6
; NumVGPRsForWavesPerEU: 1
; AccumOffset: 4
; Occupancy: 8
; WaveLimiterHint : 0
; COMPUTE_PGM_RSRC2:SCRATCH_EN: 0
; COMPUTE_PGM_RSRC2:USER_SGPR: 2
; COMPUTE_PGM_RSRC2:TRAP_HANDLER: 0
; COMPUTE_PGM_RSRC2:TGID_X_EN: 1
; COMPUTE_PGM_RSRC2:TGID_Y_EN: 0
; COMPUTE_PGM_RSRC2:TGID_Z_EN: 0
; COMPUTE_PGM_RSRC2:TIDIG_COMP_CNT: 0
; COMPUTE_PGM_RSRC3_GFX90A:ACCUM_OFFSET: 0
; COMPUTE_PGM_RSRC3_GFX90A:TG_SPLIT: 0
	.section	.text._ZN7rocprim17ROCPRIM_400000_NS6detail17trampoline_kernelINS0_14default_configENS1_25partition_config_selectorILNS1_17partition_subalgoE8ElNS0_10empty_typeEbEEZZNS1_14partition_implILS5_8ELb0ES3_jPlPS6_PKS6_NS0_5tupleIJS9_S6_EEENSD_IJSA_SA_EEENS0_18inequality_wrapperIZN2at6native12_GLOBAL__N_124unique_dim_cuda_templateIbEESt5tupleIJNSH_6TensorESM_SM_EERKSM_lbbbEUlllE0_EEPmJS6_EEE10hipError_tPvRmT3_T4_T5_T6_T7_T9_mT8_P12ihipStream_tbDpT10_ENKUlT_T0_E_clISt17integral_constantIbLb1EES1C_EEDaS17_S18_EUlS17_E_NS1_11comp_targetILNS1_3genE5ELNS1_11target_archE942ELNS1_3gpuE9ELNS1_3repE0EEENS1_30default_config_static_selectorELNS0_4arch9wavefront6targetE1EEEvT1_,"axG",@progbits,_ZN7rocprim17ROCPRIM_400000_NS6detail17trampoline_kernelINS0_14default_configENS1_25partition_config_selectorILNS1_17partition_subalgoE8ElNS0_10empty_typeEbEEZZNS1_14partition_implILS5_8ELb0ES3_jPlPS6_PKS6_NS0_5tupleIJS9_S6_EEENSD_IJSA_SA_EEENS0_18inequality_wrapperIZN2at6native12_GLOBAL__N_124unique_dim_cuda_templateIbEESt5tupleIJNSH_6TensorESM_SM_EERKSM_lbbbEUlllE0_EEPmJS6_EEE10hipError_tPvRmT3_T4_T5_T6_T7_T9_mT8_P12ihipStream_tbDpT10_ENKUlT_T0_E_clISt17integral_constantIbLb1EES1C_EEDaS17_S18_EUlS17_E_NS1_11comp_targetILNS1_3genE5ELNS1_11target_archE942ELNS1_3gpuE9ELNS1_3repE0EEENS1_30default_config_static_selectorELNS0_4arch9wavefront6targetE1EEEvT1_,comdat
	.globl	_ZN7rocprim17ROCPRIM_400000_NS6detail17trampoline_kernelINS0_14default_configENS1_25partition_config_selectorILNS1_17partition_subalgoE8ElNS0_10empty_typeEbEEZZNS1_14partition_implILS5_8ELb0ES3_jPlPS6_PKS6_NS0_5tupleIJS9_S6_EEENSD_IJSA_SA_EEENS0_18inequality_wrapperIZN2at6native12_GLOBAL__N_124unique_dim_cuda_templateIbEESt5tupleIJNSH_6TensorESM_SM_EERKSM_lbbbEUlllE0_EEPmJS6_EEE10hipError_tPvRmT3_T4_T5_T6_T7_T9_mT8_P12ihipStream_tbDpT10_ENKUlT_T0_E_clISt17integral_constantIbLb1EES1C_EEDaS17_S18_EUlS17_E_NS1_11comp_targetILNS1_3genE5ELNS1_11target_archE942ELNS1_3gpuE9ELNS1_3repE0EEENS1_30default_config_static_selectorELNS0_4arch9wavefront6targetE1EEEvT1_ ; -- Begin function _ZN7rocprim17ROCPRIM_400000_NS6detail17trampoline_kernelINS0_14default_configENS1_25partition_config_selectorILNS1_17partition_subalgoE8ElNS0_10empty_typeEbEEZZNS1_14partition_implILS5_8ELb0ES3_jPlPS6_PKS6_NS0_5tupleIJS9_S6_EEENSD_IJSA_SA_EEENS0_18inequality_wrapperIZN2at6native12_GLOBAL__N_124unique_dim_cuda_templateIbEESt5tupleIJNSH_6TensorESM_SM_EERKSM_lbbbEUlllE0_EEPmJS6_EEE10hipError_tPvRmT3_T4_T5_T6_T7_T9_mT8_P12ihipStream_tbDpT10_ENKUlT_T0_E_clISt17integral_constantIbLb1EES1C_EEDaS17_S18_EUlS17_E_NS1_11comp_targetILNS1_3genE5ELNS1_11target_archE942ELNS1_3gpuE9ELNS1_3repE0EEENS1_30default_config_static_selectorELNS0_4arch9wavefront6targetE1EEEvT1_
	.p2align	8
	.type	_ZN7rocprim17ROCPRIM_400000_NS6detail17trampoline_kernelINS0_14default_configENS1_25partition_config_selectorILNS1_17partition_subalgoE8ElNS0_10empty_typeEbEEZZNS1_14partition_implILS5_8ELb0ES3_jPlPS6_PKS6_NS0_5tupleIJS9_S6_EEENSD_IJSA_SA_EEENS0_18inequality_wrapperIZN2at6native12_GLOBAL__N_124unique_dim_cuda_templateIbEESt5tupleIJNSH_6TensorESM_SM_EERKSM_lbbbEUlllE0_EEPmJS6_EEE10hipError_tPvRmT3_T4_T5_T6_T7_T9_mT8_P12ihipStream_tbDpT10_ENKUlT_T0_E_clISt17integral_constantIbLb1EES1C_EEDaS17_S18_EUlS17_E_NS1_11comp_targetILNS1_3genE5ELNS1_11target_archE942ELNS1_3gpuE9ELNS1_3repE0EEENS1_30default_config_static_selectorELNS0_4arch9wavefront6targetE1EEEvT1_,@function
_ZN7rocprim17ROCPRIM_400000_NS6detail17trampoline_kernelINS0_14default_configENS1_25partition_config_selectorILNS1_17partition_subalgoE8ElNS0_10empty_typeEbEEZZNS1_14partition_implILS5_8ELb0ES3_jPlPS6_PKS6_NS0_5tupleIJS9_S6_EEENSD_IJSA_SA_EEENS0_18inequality_wrapperIZN2at6native12_GLOBAL__N_124unique_dim_cuda_templateIbEESt5tupleIJNSH_6TensorESM_SM_EERKSM_lbbbEUlllE0_EEPmJS6_EEE10hipError_tPvRmT3_T4_T5_T6_T7_T9_mT8_P12ihipStream_tbDpT10_ENKUlT_T0_E_clISt17integral_constantIbLb1EES1C_EEDaS17_S18_EUlS17_E_NS1_11comp_targetILNS1_3genE5ELNS1_11target_archE942ELNS1_3gpuE9ELNS1_3repE0EEENS1_30default_config_static_selectorELNS0_4arch9wavefront6targetE1EEEvT1_: ; @_ZN7rocprim17ROCPRIM_400000_NS6detail17trampoline_kernelINS0_14default_configENS1_25partition_config_selectorILNS1_17partition_subalgoE8ElNS0_10empty_typeEbEEZZNS1_14partition_implILS5_8ELb0ES3_jPlPS6_PKS6_NS0_5tupleIJS9_S6_EEENSD_IJSA_SA_EEENS0_18inequality_wrapperIZN2at6native12_GLOBAL__N_124unique_dim_cuda_templateIbEESt5tupleIJNSH_6TensorESM_SM_EERKSM_lbbbEUlllE0_EEPmJS6_EEE10hipError_tPvRmT3_T4_T5_T6_T7_T9_mT8_P12ihipStream_tbDpT10_ENKUlT_T0_E_clISt17integral_constantIbLb1EES1C_EEDaS17_S18_EUlS17_E_NS1_11comp_targetILNS1_3genE5ELNS1_11target_archE942ELNS1_3gpuE9ELNS1_3repE0EEENS1_30default_config_static_selectorELNS0_4arch9wavefront6targetE1EEEvT1_
; %bb.0:
	.section	.rodata,"a",@progbits
	.p2align	6, 0x0
	.amdhsa_kernel _ZN7rocprim17ROCPRIM_400000_NS6detail17trampoline_kernelINS0_14default_configENS1_25partition_config_selectorILNS1_17partition_subalgoE8ElNS0_10empty_typeEbEEZZNS1_14partition_implILS5_8ELb0ES3_jPlPS6_PKS6_NS0_5tupleIJS9_S6_EEENSD_IJSA_SA_EEENS0_18inequality_wrapperIZN2at6native12_GLOBAL__N_124unique_dim_cuda_templateIbEESt5tupleIJNSH_6TensorESM_SM_EERKSM_lbbbEUlllE0_EEPmJS6_EEE10hipError_tPvRmT3_T4_T5_T6_T7_T9_mT8_P12ihipStream_tbDpT10_ENKUlT_T0_E_clISt17integral_constantIbLb1EES1C_EEDaS17_S18_EUlS17_E_NS1_11comp_targetILNS1_3genE5ELNS1_11target_archE942ELNS1_3gpuE9ELNS1_3repE0EEENS1_30default_config_static_selectorELNS0_4arch9wavefront6targetE1EEEvT1_
		.amdhsa_group_segment_fixed_size 0
		.amdhsa_private_segment_fixed_size 0
		.amdhsa_kernarg_size 136
		.amdhsa_user_sgpr_count 2
		.amdhsa_user_sgpr_dispatch_ptr 0
		.amdhsa_user_sgpr_queue_ptr 0
		.amdhsa_user_sgpr_kernarg_segment_ptr 1
		.amdhsa_user_sgpr_dispatch_id 0
		.amdhsa_user_sgpr_kernarg_preload_length 0
		.amdhsa_user_sgpr_kernarg_preload_offset 0
		.amdhsa_user_sgpr_private_segment_size 0
		.amdhsa_uses_dynamic_stack 0
		.amdhsa_enable_private_segment 0
		.amdhsa_system_sgpr_workgroup_id_x 1
		.amdhsa_system_sgpr_workgroup_id_y 0
		.amdhsa_system_sgpr_workgroup_id_z 0
		.amdhsa_system_sgpr_workgroup_info 0
		.amdhsa_system_vgpr_workitem_id 0
		.amdhsa_next_free_vgpr 1
		.amdhsa_next_free_sgpr 0
		.amdhsa_accum_offset 4
		.amdhsa_reserve_vcc 0
		.amdhsa_float_round_mode_32 0
		.amdhsa_float_round_mode_16_64 0
		.amdhsa_float_denorm_mode_32 3
		.amdhsa_float_denorm_mode_16_64 3
		.amdhsa_dx10_clamp 1
		.amdhsa_ieee_mode 1
		.amdhsa_fp16_overflow 0
		.amdhsa_tg_split 0
		.amdhsa_exception_fp_ieee_invalid_op 0
		.amdhsa_exception_fp_denorm_src 0
		.amdhsa_exception_fp_ieee_div_zero 0
		.amdhsa_exception_fp_ieee_overflow 0
		.amdhsa_exception_fp_ieee_underflow 0
		.amdhsa_exception_fp_ieee_inexact 0
		.amdhsa_exception_int_div_zero 0
	.end_amdhsa_kernel
	.section	.text._ZN7rocprim17ROCPRIM_400000_NS6detail17trampoline_kernelINS0_14default_configENS1_25partition_config_selectorILNS1_17partition_subalgoE8ElNS0_10empty_typeEbEEZZNS1_14partition_implILS5_8ELb0ES3_jPlPS6_PKS6_NS0_5tupleIJS9_S6_EEENSD_IJSA_SA_EEENS0_18inequality_wrapperIZN2at6native12_GLOBAL__N_124unique_dim_cuda_templateIbEESt5tupleIJNSH_6TensorESM_SM_EERKSM_lbbbEUlllE0_EEPmJS6_EEE10hipError_tPvRmT3_T4_T5_T6_T7_T9_mT8_P12ihipStream_tbDpT10_ENKUlT_T0_E_clISt17integral_constantIbLb1EES1C_EEDaS17_S18_EUlS17_E_NS1_11comp_targetILNS1_3genE5ELNS1_11target_archE942ELNS1_3gpuE9ELNS1_3repE0EEENS1_30default_config_static_selectorELNS0_4arch9wavefront6targetE1EEEvT1_,"axG",@progbits,_ZN7rocprim17ROCPRIM_400000_NS6detail17trampoline_kernelINS0_14default_configENS1_25partition_config_selectorILNS1_17partition_subalgoE8ElNS0_10empty_typeEbEEZZNS1_14partition_implILS5_8ELb0ES3_jPlPS6_PKS6_NS0_5tupleIJS9_S6_EEENSD_IJSA_SA_EEENS0_18inequality_wrapperIZN2at6native12_GLOBAL__N_124unique_dim_cuda_templateIbEESt5tupleIJNSH_6TensorESM_SM_EERKSM_lbbbEUlllE0_EEPmJS6_EEE10hipError_tPvRmT3_T4_T5_T6_T7_T9_mT8_P12ihipStream_tbDpT10_ENKUlT_T0_E_clISt17integral_constantIbLb1EES1C_EEDaS17_S18_EUlS17_E_NS1_11comp_targetILNS1_3genE5ELNS1_11target_archE942ELNS1_3gpuE9ELNS1_3repE0EEENS1_30default_config_static_selectorELNS0_4arch9wavefront6targetE1EEEvT1_,comdat
.Lfunc_end1060:
	.size	_ZN7rocprim17ROCPRIM_400000_NS6detail17trampoline_kernelINS0_14default_configENS1_25partition_config_selectorILNS1_17partition_subalgoE8ElNS0_10empty_typeEbEEZZNS1_14partition_implILS5_8ELb0ES3_jPlPS6_PKS6_NS0_5tupleIJS9_S6_EEENSD_IJSA_SA_EEENS0_18inequality_wrapperIZN2at6native12_GLOBAL__N_124unique_dim_cuda_templateIbEESt5tupleIJNSH_6TensorESM_SM_EERKSM_lbbbEUlllE0_EEPmJS6_EEE10hipError_tPvRmT3_T4_T5_T6_T7_T9_mT8_P12ihipStream_tbDpT10_ENKUlT_T0_E_clISt17integral_constantIbLb1EES1C_EEDaS17_S18_EUlS17_E_NS1_11comp_targetILNS1_3genE5ELNS1_11target_archE942ELNS1_3gpuE9ELNS1_3repE0EEENS1_30default_config_static_selectorELNS0_4arch9wavefront6targetE1EEEvT1_, .Lfunc_end1060-_ZN7rocprim17ROCPRIM_400000_NS6detail17trampoline_kernelINS0_14default_configENS1_25partition_config_selectorILNS1_17partition_subalgoE8ElNS0_10empty_typeEbEEZZNS1_14partition_implILS5_8ELb0ES3_jPlPS6_PKS6_NS0_5tupleIJS9_S6_EEENSD_IJSA_SA_EEENS0_18inequality_wrapperIZN2at6native12_GLOBAL__N_124unique_dim_cuda_templateIbEESt5tupleIJNSH_6TensorESM_SM_EERKSM_lbbbEUlllE0_EEPmJS6_EEE10hipError_tPvRmT3_T4_T5_T6_T7_T9_mT8_P12ihipStream_tbDpT10_ENKUlT_T0_E_clISt17integral_constantIbLb1EES1C_EEDaS17_S18_EUlS17_E_NS1_11comp_targetILNS1_3genE5ELNS1_11target_archE942ELNS1_3gpuE9ELNS1_3repE0EEENS1_30default_config_static_selectorELNS0_4arch9wavefront6targetE1EEEvT1_
                                        ; -- End function
	.set _ZN7rocprim17ROCPRIM_400000_NS6detail17trampoline_kernelINS0_14default_configENS1_25partition_config_selectorILNS1_17partition_subalgoE8ElNS0_10empty_typeEbEEZZNS1_14partition_implILS5_8ELb0ES3_jPlPS6_PKS6_NS0_5tupleIJS9_S6_EEENSD_IJSA_SA_EEENS0_18inequality_wrapperIZN2at6native12_GLOBAL__N_124unique_dim_cuda_templateIbEESt5tupleIJNSH_6TensorESM_SM_EERKSM_lbbbEUlllE0_EEPmJS6_EEE10hipError_tPvRmT3_T4_T5_T6_T7_T9_mT8_P12ihipStream_tbDpT10_ENKUlT_T0_E_clISt17integral_constantIbLb1EES1C_EEDaS17_S18_EUlS17_E_NS1_11comp_targetILNS1_3genE5ELNS1_11target_archE942ELNS1_3gpuE9ELNS1_3repE0EEENS1_30default_config_static_selectorELNS0_4arch9wavefront6targetE1EEEvT1_.num_vgpr, 0
	.set _ZN7rocprim17ROCPRIM_400000_NS6detail17trampoline_kernelINS0_14default_configENS1_25partition_config_selectorILNS1_17partition_subalgoE8ElNS0_10empty_typeEbEEZZNS1_14partition_implILS5_8ELb0ES3_jPlPS6_PKS6_NS0_5tupleIJS9_S6_EEENSD_IJSA_SA_EEENS0_18inequality_wrapperIZN2at6native12_GLOBAL__N_124unique_dim_cuda_templateIbEESt5tupleIJNSH_6TensorESM_SM_EERKSM_lbbbEUlllE0_EEPmJS6_EEE10hipError_tPvRmT3_T4_T5_T6_T7_T9_mT8_P12ihipStream_tbDpT10_ENKUlT_T0_E_clISt17integral_constantIbLb1EES1C_EEDaS17_S18_EUlS17_E_NS1_11comp_targetILNS1_3genE5ELNS1_11target_archE942ELNS1_3gpuE9ELNS1_3repE0EEENS1_30default_config_static_selectorELNS0_4arch9wavefront6targetE1EEEvT1_.num_agpr, 0
	.set _ZN7rocprim17ROCPRIM_400000_NS6detail17trampoline_kernelINS0_14default_configENS1_25partition_config_selectorILNS1_17partition_subalgoE8ElNS0_10empty_typeEbEEZZNS1_14partition_implILS5_8ELb0ES3_jPlPS6_PKS6_NS0_5tupleIJS9_S6_EEENSD_IJSA_SA_EEENS0_18inequality_wrapperIZN2at6native12_GLOBAL__N_124unique_dim_cuda_templateIbEESt5tupleIJNSH_6TensorESM_SM_EERKSM_lbbbEUlllE0_EEPmJS6_EEE10hipError_tPvRmT3_T4_T5_T6_T7_T9_mT8_P12ihipStream_tbDpT10_ENKUlT_T0_E_clISt17integral_constantIbLb1EES1C_EEDaS17_S18_EUlS17_E_NS1_11comp_targetILNS1_3genE5ELNS1_11target_archE942ELNS1_3gpuE9ELNS1_3repE0EEENS1_30default_config_static_selectorELNS0_4arch9wavefront6targetE1EEEvT1_.numbered_sgpr, 0
	.set _ZN7rocprim17ROCPRIM_400000_NS6detail17trampoline_kernelINS0_14default_configENS1_25partition_config_selectorILNS1_17partition_subalgoE8ElNS0_10empty_typeEbEEZZNS1_14partition_implILS5_8ELb0ES3_jPlPS6_PKS6_NS0_5tupleIJS9_S6_EEENSD_IJSA_SA_EEENS0_18inequality_wrapperIZN2at6native12_GLOBAL__N_124unique_dim_cuda_templateIbEESt5tupleIJNSH_6TensorESM_SM_EERKSM_lbbbEUlllE0_EEPmJS6_EEE10hipError_tPvRmT3_T4_T5_T6_T7_T9_mT8_P12ihipStream_tbDpT10_ENKUlT_T0_E_clISt17integral_constantIbLb1EES1C_EEDaS17_S18_EUlS17_E_NS1_11comp_targetILNS1_3genE5ELNS1_11target_archE942ELNS1_3gpuE9ELNS1_3repE0EEENS1_30default_config_static_selectorELNS0_4arch9wavefront6targetE1EEEvT1_.num_named_barrier, 0
	.set _ZN7rocprim17ROCPRIM_400000_NS6detail17trampoline_kernelINS0_14default_configENS1_25partition_config_selectorILNS1_17partition_subalgoE8ElNS0_10empty_typeEbEEZZNS1_14partition_implILS5_8ELb0ES3_jPlPS6_PKS6_NS0_5tupleIJS9_S6_EEENSD_IJSA_SA_EEENS0_18inequality_wrapperIZN2at6native12_GLOBAL__N_124unique_dim_cuda_templateIbEESt5tupleIJNSH_6TensorESM_SM_EERKSM_lbbbEUlllE0_EEPmJS6_EEE10hipError_tPvRmT3_T4_T5_T6_T7_T9_mT8_P12ihipStream_tbDpT10_ENKUlT_T0_E_clISt17integral_constantIbLb1EES1C_EEDaS17_S18_EUlS17_E_NS1_11comp_targetILNS1_3genE5ELNS1_11target_archE942ELNS1_3gpuE9ELNS1_3repE0EEENS1_30default_config_static_selectorELNS0_4arch9wavefront6targetE1EEEvT1_.private_seg_size, 0
	.set _ZN7rocprim17ROCPRIM_400000_NS6detail17trampoline_kernelINS0_14default_configENS1_25partition_config_selectorILNS1_17partition_subalgoE8ElNS0_10empty_typeEbEEZZNS1_14partition_implILS5_8ELb0ES3_jPlPS6_PKS6_NS0_5tupleIJS9_S6_EEENSD_IJSA_SA_EEENS0_18inequality_wrapperIZN2at6native12_GLOBAL__N_124unique_dim_cuda_templateIbEESt5tupleIJNSH_6TensorESM_SM_EERKSM_lbbbEUlllE0_EEPmJS6_EEE10hipError_tPvRmT3_T4_T5_T6_T7_T9_mT8_P12ihipStream_tbDpT10_ENKUlT_T0_E_clISt17integral_constantIbLb1EES1C_EEDaS17_S18_EUlS17_E_NS1_11comp_targetILNS1_3genE5ELNS1_11target_archE942ELNS1_3gpuE9ELNS1_3repE0EEENS1_30default_config_static_selectorELNS0_4arch9wavefront6targetE1EEEvT1_.uses_vcc, 0
	.set _ZN7rocprim17ROCPRIM_400000_NS6detail17trampoline_kernelINS0_14default_configENS1_25partition_config_selectorILNS1_17partition_subalgoE8ElNS0_10empty_typeEbEEZZNS1_14partition_implILS5_8ELb0ES3_jPlPS6_PKS6_NS0_5tupleIJS9_S6_EEENSD_IJSA_SA_EEENS0_18inequality_wrapperIZN2at6native12_GLOBAL__N_124unique_dim_cuda_templateIbEESt5tupleIJNSH_6TensorESM_SM_EERKSM_lbbbEUlllE0_EEPmJS6_EEE10hipError_tPvRmT3_T4_T5_T6_T7_T9_mT8_P12ihipStream_tbDpT10_ENKUlT_T0_E_clISt17integral_constantIbLb1EES1C_EEDaS17_S18_EUlS17_E_NS1_11comp_targetILNS1_3genE5ELNS1_11target_archE942ELNS1_3gpuE9ELNS1_3repE0EEENS1_30default_config_static_selectorELNS0_4arch9wavefront6targetE1EEEvT1_.uses_flat_scratch, 0
	.set _ZN7rocprim17ROCPRIM_400000_NS6detail17trampoline_kernelINS0_14default_configENS1_25partition_config_selectorILNS1_17partition_subalgoE8ElNS0_10empty_typeEbEEZZNS1_14partition_implILS5_8ELb0ES3_jPlPS6_PKS6_NS0_5tupleIJS9_S6_EEENSD_IJSA_SA_EEENS0_18inequality_wrapperIZN2at6native12_GLOBAL__N_124unique_dim_cuda_templateIbEESt5tupleIJNSH_6TensorESM_SM_EERKSM_lbbbEUlllE0_EEPmJS6_EEE10hipError_tPvRmT3_T4_T5_T6_T7_T9_mT8_P12ihipStream_tbDpT10_ENKUlT_T0_E_clISt17integral_constantIbLb1EES1C_EEDaS17_S18_EUlS17_E_NS1_11comp_targetILNS1_3genE5ELNS1_11target_archE942ELNS1_3gpuE9ELNS1_3repE0EEENS1_30default_config_static_selectorELNS0_4arch9wavefront6targetE1EEEvT1_.has_dyn_sized_stack, 0
	.set _ZN7rocprim17ROCPRIM_400000_NS6detail17trampoline_kernelINS0_14default_configENS1_25partition_config_selectorILNS1_17partition_subalgoE8ElNS0_10empty_typeEbEEZZNS1_14partition_implILS5_8ELb0ES3_jPlPS6_PKS6_NS0_5tupleIJS9_S6_EEENSD_IJSA_SA_EEENS0_18inequality_wrapperIZN2at6native12_GLOBAL__N_124unique_dim_cuda_templateIbEESt5tupleIJNSH_6TensorESM_SM_EERKSM_lbbbEUlllE0_EEPmJS6_EEE10hipError_tPvRmT3_T4_T5_T6_T7_T9_mT8_P12ihipStream_tbDpT10_ENKUlT_T0_E_clISt17integral_constantIbLb1EES1C_EEDaS17_S18_EUlS17_E_NS1_11comp_targetILNS1_3genE5ELNS1_11target_archE942ELNS1_3gpuE9ELNS1_3repE0EEENS1_30default_config_static_selectorELNS0_4arch9wavefront6targetE1EEEvT1_.has_recursion, 0
	.set _ZN7rocprim17ROCPRIM_400000_NS6detail17trampoline_kernelINS0_14default_configENS1_25partition_config_selectorILNS1_17partition_subalgoE8ElNS0_10empty_typeEbEEZZNS1_14partition_implILS5_8ELb0ES3_jPlPS6_PKS6_NS0_5tupleIJS9_S6_EEENSD_IJSA_SA_EEENS0_18inequality_wrapperIZN2at6native12_GLOBAL__N_124unique_dim_cuda_templateIbEESt5tupleIJNSH_6TensorESM_SM_EERKSM_lbbbEUlllE0_EEPmJS6_EEE10hipError_tPvRmT3_T4_T5_T6_T7_T9_mT8_P12ihipStream_tbDpT10_ENKUlT_T0_E_clISt17integral_constantIbLb1EES1C_EEDaS17_S18_EUlS17_E_NS1_11comp_targetILNS1_3genE5ELNS1_11target_archE942ELNS1_3gpuE9ELNS1_3repE0EEENS1_30default_config_static_selectorELNS0_4arch9wavefront6targetE1EEEvT1_.has_indirect_call, 0
	.section	.AMDGPU.csdata,"",@progbits
; Kernel info:
; codeLenInByte = 0
; TotalNumSgprs: 6
; NumVgprs: 0
; NumAgprs: 0
; TotalNumVgprs: 0
; ScratchSize: 0
; MemoryBound: 0
; FloatMode: 240
; IeeeMode: 1
; LDSByteSize: 0 bytes/workgroup (compile time only)
; SGPRBlocks: 0
; VGPRBlocks: 0
; NumSGPRsForWavesPerEU: 6
; NumVGPRsForWavesPerEU: 1
; AccumOffset: 4
; Occupancy: 8
; WaveLimiterHint : 0
; COMPUTE_PGM_RSRC2:SCRATCH_EN: 0
; COMPUTE_PGM_RSRC2:USER_SGPR: 2
; COMPUTE_PGM_RSRC2:TRAP_HANDLER: 0
; COMPUTE_PGM_RSRC2:TGID_X_EN: 1
; COMPUTE_PGM_RSRC2:TGID_Y_EN: 0
; COMPUTE_PGM_RSRC2:TGID_Z_EN: 0
; COMPUTE_PGM_RSRC2:TIDIG_COMP_CNT: 0
; COMPUTE_PGM_RSRC3_GFX90A:ACCUM_OFFSET: 0
; COMPUTE_PGM_RSRC3_GFX90A:TG_SPLIT: 0
	.section	.text._ZN7rocprim17ROCPRIM_400000_NS6detail17trampoline_kernelINS0_14default_configENS1_25partition_config_selectorILNS1_17partition_subalgoE8ElNS0_10empty_typeEbEEZZNS1_14partition_implILS5_8ELb0ES3_jPlPS6_PKS6_NS0_5tupleIJS9_S6_EEENSD_IJSA_SA_EEENS0_18inequality_wrapperIZN2at6native12_GLOBAL__N_124unique_dim_cuda_templateIbEESt5tupleIJNSH_6TensorESM_SM_EERKSM_lbbbEUlllE0_EEPmJS6_EEE10hipError_tPvRmT3_T4_T5_T6_T7_T9_mT8_P12ihipStream_tbDpT10_ENKUlT_T0_E_clISt17integral_constantIbLb1EES1C_EEDaS17_S18_EUlS17_E_NS1_11comp_targetILNS1_3genE4ELNS1_11target_archE910ELNS1_3gpuE8ELNS1_3repE0EEENS1_30default_config_static_selectorELNS0_4arch9wavefront6targetE1EEEvT1_,"axG",@progbits,_ZN7rocprim17ROCPRIM_400000_NS6detail17trampoline_kernelINS0_14default_configENS1_25partition_config_selectorILNS1_17partition_subalgoE8ElNS0_10empty_typeEbEEZZNS1_14partition_implILS5_8ELb0ES3_jPlPS6_PKS6_NS0_5tupleIJS9_S6_EEENSD_IJSA_SA_EEENS0_18inequality_wrapperIZN2at6native12_GLOBAL__N_124unique_dim_cuda_templateIbEESt5tupleIJNSH_6TensorESM_SM_EERKSM_lbbbEUlllE0_EEPmJS6_EEE10hipError_tPvRmT3_T4_T5_T6_T7_T9_mT8_P12ihipStream_tbDpT10_ENKUlT_T0_E_clISt17integral_constantIbLb1EES1C_EEDaS17_S18_EUlS17_E_NS1_11comp_targetILNS1_3genE4ELNS1_11target_archE910ELNS1_3gpuE8ELNS1_3repE0EEENS1_30default_config_static_selectorELNS0_4arch9wavefront6targetE1EEEvT1_,comdat
	.globl	_ZN7rocprim17ROCPRIM_400000_NS6detail17trampoline_kernelINS0_14default_configENS1_25partition_config_selectorILNS1_17partition_subalgoE8ElNS0_10empty_typeEbEEZZNS1_14partition_implILS5_8ELb0ES3_jPlPS6_PKS6_NS0_5tupleIJS9_S6_EEENSD_IJSA_SA_EEENS0_18inequality_wrapperIZN2at6native12_GLOBAL__N_124unique_dim_cuda_templateIbEESt5tupleIJNSH_6TensorESM_SM_EERKSM_lbbbEUlllE0_EEPmJS6_EEE10hipError_tPvRmT3_T4_T5_T6_T7_T9_mT8_P12ihipStream_tbDpT10_ENKUlT_T0_E_clISt17integral_constantIbLb1EES1C_EEDaS17_S18_EUlS17_E_NS1_11comp_targetILNS1_3genE4ELNS1_11target_archE910ELNS1_3gpuE8ELNS1_3repE0EEENS1_30default_config_static_selectorELNS0_4arch9wavefront6targetE1EEEvT1_ ; -- Begin function _ZN7rocprim17ROCPRIM_400000_NS6detail17trampoline_kernelINS0_14default_configENS1_25partition_config_selectorILNS1_17partition_subalgoE8ElNS0_10empty_typeEbEEZZNS1_14partition_implILS5_8ELb0ES3_jPlPS6_PKS6_NS0_5tupleIJS9_S6_EEENSD_IJSA_SA_EEENS0_18inequality_wrapperIZN2at6native12_GLOBAL__N_124unique_dim_cuda_templateIbEESt5tupleIJNSH_6TensorESM_SM_EERKSM_lbbbEUlllE0_EEPmJS6_EEE10hipError_tPvRmT3_T4_T5_T6_T7_T9_mT8_P12ihipStream_tbDpT10_ENKUlT_T0_E_clISt17integral_constantIbLb1EES1C_EEDaS17_S18_EUlS17_E_NS1_11comp_targetILNS1_3genE4ELNS1_11target_archE910ELNS1_3gpuE8ELNS1_3repE0EEENS1_30default_config_static_selectorELNS0_4arch9wavefront6targetE1EEEvT1_
	.p2align	8
	.type	_ZN7rocprim17ROCPRIM_400000_NS6detail17trampoline_kernelINS0_14default_configENS1_25partition_config_selectorILNS1_17partition_subalgoE8ElNS0_10empty_typeEbEEZZNS1_14partition_implILS5_8ELb0ES3_jPlPS6_PKS6_NS0_5tupleIJS9_S6_EEENSD_IJSA_SA_EEENS0_18inequality_wrapperIZN2at6native12_GLOBAL__N_124unique_dim_cuda_templateIbEESt5tupleIJNSH_6TensorESM_SM_EERKSM_lbbbEUlllE0_EEPmJS6_EEE10hipError_tPvRmT3_T4_T5_T6_T7_T9_mT8_P12ihipStream_tbDpT10_ENKUlT_T0_E_clISt17integral_constantIbLb1EES1C_EEDaS17_S18_EUlS17_E_NS1_11comp_targetILNS1_3genE4ELNS1_11target_archE910ELNS1_3gpuE8ELNS1_3repE0EEENS1_30default_config_static_selectorELNS0_4arch9wavefront6targetE1EEEvT1_,@function
_ZN7rocprim17ROCPRIM_400000_NS6detail17trampoline_kernelINS0_14default_configENS1_25partition_config_selectorILNS1_17partition_subalgoE8ElNS0_10empty_typeEbEEZZNS1_14partition_implILS5_8ELb0ES3_jPlPS6_PKS6_NS0_5tupleIJS9_S6_EEENSD_IJSA_SA_EEENS0_18inequality_wrapperIZN2at6native12_GLOBAL__N_124unique_dim_cuda_templateIbEESt5tupleIJNSH_6TensorESM_SM_EERKSM_lbbbEUlllE0_EEPmJS6_EEE10hipError_tPvRmT3_T4_T5_T6_T7_T9_mT8_P12ihipStream_tbDpT10_ENKUlT_T0_E_clISt17integral_constantIbLb1EES1C_EEDaS17_S18_EUlS17_E_NS1_11comp_targetILNS1_3genE4ELNS1_11target_archE910ELNS1_3gpuE8ELNS1_3repE0EEENS1_30default_config_static_selectorELNS0_4arch9wavefront6targetE1EEEvT1_: ; @_ZN7rocprim17ROCPRIM_400000_NS6detail17trampoline_kernelINS0_14default_configENS1_25partition_config_selectorILNS1_17partition_subalgoE8ElNS0_10empty_typeEbEEZZNS1_14partition_implILS5_8ELb0ES3_jPlPS6_PKS6_NS0_5tupleIJS9_S6_EEENSD_IJSA_SA_EEENS0_18inequality_wrapperIZN2at6native12_GLOBAL__N_124unique_dim_cuda_templateIbEESt5tupleIJNSH_6TensorESM_SM_EERKSM_lbbbEUlllE0_EEPmJS6_EEE10hipError_tPvRmT3_T4_T5_T6_T7_T9_mT8_P12ihipStream_tbDpT10_ENKUlT_T0_E_clISt17integral_constantIbLb1EES1C_EEDaS17_S18_EUlS17_E_NS1_11comp_targetILNS1_3genE4ELNS1_11target_archE910ELNS1_3gpuE8ELNS1_3repE0EEENS1_30default_config_static_selectorELNS0_4arch9wavefront6targetE1EEEvT1_
; %bb.0:
	.section	.rodata,"a",@progbits
	.p2align	6, 0x0
	.amdhsa_kernel _ZN7rocprim17ROCPRIM_400000_NS6detail17trampoline_kernelINS0_14default_configENS1_25partition_config_selectorILNS1_17partition_subalgoE8ElNS0_10empty_typeEbEEZZNS1_14partition_implILS5_8ELb0ES3_jPlPS6_PKS6_NS0_5tupleIJS9_S6_EEENSD_IJSA_SA_EEENS0_18inequality_wrapperIZN2at6native12_GLOBAL__N_124unique_dim_cuda_templateIbEESt5tupleIJNSH_6TensorESM_SM_EERKSM_lbbbEUlllE0_EEPmJS6_EEE10hipError_tPvRmT3_T4_T5_T6_T7_T9_mT8_P12ihipStream_tbDpT10_ENKUlT_T0_E_clISt17integral_constantIbLb1EES1C_EEDaS17_S18_EUlS17_E_NS1_11comp_targetILNS1_3genE4ELNS1_11target_archE910ELNS1_3gpuE8ELNS1_3repE0EEENS1_30default_config_static_selectorELNS0_4arch9wavefront6targetE1EEEvT1_
		.amdhsa_group_segment_fixed_size 0
		.amdhsa_private_segment_fixed_size 0
		.amdhsa_kernarg_size 136
		.amdhsa_user_sgpr_count 2
		.amdhsa_user_sgpr_dispatch_ptr 0
		.amdhsa_user_sgpr_queue_ptr 0
		.amdhsa_user_sgpr_kernarg_segment_ptr 1
		.amdhsa_user_sgpr_dispatch_id 0
		.amdhsa_user_sgpr_kernarg_preload_length 0
		.amdhsa_user_sgpr_kernarg_preload_offset 0
		.amdhsa_user_sgpr_private_segment_size 0
		.amdhsa_uses_dynamic_stack 0
		.amdhsa_enable_private_segment 0
		.amdhsa_system_sgpr_workgroup_id_x 1
		.amdhsa_system_sgpr_workgroup_id_y 0
		.amdhsa_system_sgpr_workgroup_id_z 0
		.amdhsa_system_sgpr_workgroup_info 0
		.amdhsa_system_vgpr_workitem_id 0
		.amdhsa_next_free_vgpr 1
		.amdhsa_next_free_sgpr 0
		.amdhsa_accum_offset 4
		.amdhsa_reserve_vcc 0
		.amdhsa_float_round_mode_32 0
		.amdhsa_float_round_mode_16_64 0
		.amdhsa_float_denorm_mode_32 3
		.amdhsa_float_denorm_mode_16_64 3
		.amdhsa_dx10_clamp 1
		.amdhsa_ieee_mode 1
		.amdhsa_fp16_overflow 0
		.amdhsa_tg_split 0
		.amdhsa_exception_fp_ieee_invalid_op 0
		.amdhsa_exception_fp_denorm_src 0
		.amdhsa_exception_fp_ieee_div_zero 0
		.amdhsa_exception_fp_ieee_overflow 0
		.amdhsa_exception_fp_ieee_underflow 0
		.amdhsa_exception_fp_ieee_inexact 0
		.amdhsa_exception_int_div_zero 0
	.end_amdhsa_kernel
	.section	.text._ZN7rocprim17ROCPRIM_400000_NS6detail17trampoline_kernelINS0_14default_configENS1_25partition_config_selectorILNS1_17partition_subalgoE8ElNS0_10empty_typeEbEEZZNS1_14partition_implILS5_8ELb0ES3_jPlPS6_PKS6_NS0_5tupleIJS9_S6_EEENSD_IJSA_SA_EEENS0_18inequality_wrapperIZN2at6native12_GLOBAL__N_124unique_dim_cuda_templateIbEESt5tupleIJNSH_6TensorESM_SM_EERKSM_lbbbEUlllE0_EEPmJS6_EEE10hipError_tPvRmT3_T4_T5_T6_T7_T9_mT8_P12ihipStream_tbDpT10_ENKUlT_T0_E_clISt17integral_constantIbLb1EES1C_EEDaS17_S18_EUlS17_E_NS1_11comp_targetILNS1_3genE4ELNS1_11target_archE910ELNS1_3gpuE8ELNS1_3repE0EEENS1_30default_config_static_selectorELNS0_4arch9wavefront6targetE1EEEvT1_,"axG",@progbits,_ZN7rocprim17ROCPRIM_400000_NS6detail17trampoline_kernelINS0_14default_configENS1_25partition_config_selectorILNS1_17partition_subalgoE8ElNS0_10empty_typeEbEEZZNS1_14partition_implILS5_8ELb0ES3_jPlPS6_PKS6_NS0_5tupleIJS9_S6_EEENSD_IJSA_SA_EEENS0_18inequality_wrapperIZN2at6native12_GLOBAL__N_124unique_dim_cuda_templateIbEESt5tupleIJNSH_6TensorESM_SM_EERKSM_lbbbEUlllE0_EEPmJS6_EEE10hipError_tPvRmT3_T4_T5_T6_T7_T9_mT8_P12ihipStream_tbDpT10_ENKUlT_T0_E_clISt17integral_constantIbLb1EES1C_EEDaS17_S18_EUlS17_E_NS1_11comp_targetILNS1_3genE4ELNS1_11target_archE910ELNS1_3gpuE8ELNS1_3repE0EEENS1_30default_config_static_selectorELNS0_4arch9wavefront6targetE1EEEvT1_,comdat
.Lfunc_end1061:
	.size	_ZN7rocprim17ROCPRIM_400000_NS6detail17trampoline_kernelINS0_14default_configENS1_25partition_config_selectorILNS1_17partition_subalgoE8ElNS0_10empty_typeEbEEZZNS1_14partition_implILS5_8ELb0ES3_jPlPS6_PKS6_NS0_5tupleIJS9_S6_EEENSD_IJSA_SA_EEENS0_18inequality_wrapperIZN2at6native12_GLOBAL__N_124unique_dim_cuda_templateIbEESt5tupleIJNSH_6TensorESM_SM_EERKSM_lbbbEUlllE0_EEPmJS6_EEE10hipError_tPvRmT3_T4_T5_T6_T7_T9_mT8_P12ihipStream_tbDpT10_ENKUlT_T0_E_clISt17integral_constantIbLb1EES1C_EEDaS17_S18_EUlS17_E_NS1_11comp_targetILNS1_3genE4ELNS1_11target_archE910ELNS1_3gpuE8ELNS1_3repE0EEENS1_30default_config_static_selectorELNS0_4arch9wavefront6targetE1EEEvT1_, .Lfunc_end1061-_ZN7rocprim17ROCPRIM_400000_NS6detail17trampoline_kernelINS0_14default_configENS1_25partition_config_selectorILNS1_17partition_subalgoE8ElNS0_10empty_typeEbEEZZNS1_14partition_implILS5_8ELb0ES3_jPlPS6_PKS6_NS0_5tupleIJS9_S6_EEENSD_IJSA_SA_EEENS0_18inequality_wrapperIZN2at6native12_GLOBAL__N_124unique_dim_cuda_templateIbEESt5tupleIJNSH_6TensorESM_SM_EERKSM_lbbbEUlllE0_EEPmJS6_EEE10hipError_tPvRmT3_T4_T5_T6_T7_T9_mT8_P12ihipStream_tbDpT10_ENKUlT_T0_E_clISt17integral_constantIbLb1EES1C_EEDaS17_S18_EUlS17_E_NS1_11comp_targetILNS1_3genE4ELNS1_11target_archE910ELNS1_3gpuE8ELNS1_3repE0EEENS1_30default_config_static_selectorELNS0_4arch9wavefront6targetE1EEEvT1_
                                        ; -- End function
	.set _ZN7rocprim17ROCPRIM_400000_NS6detail17trampoline_kernelINS0_14default_configENS1_25partition_config_selectorILNS1_17partition_subalgoE8ElNS0_10empty_typeEbEEZZNS1_14partition_implILS5_8ELb0ES3_jPlPS6_PKS6_NS0_5tupleIJS9_S6_EEENSD_IJSA_SA_EEENS0_18inequality_wrapperIZN2at6native12_GLOBAL__N_124unique_dim_cuda_templateIbEESt5tupleIJNSH_6TensorESM_SM_EERKSM_lbbbEUlllE0_EEPmJS6_EEE10hipError_tPvRmT3_T4_T5_T6_T7_T9_mT8_P12ihipStream_tbDpT10_ENKUlT_T0_E_clISt17integral_constantIbLb1EES1C_EEDaS17_S18_EUlS17_E_NS1_11comp_targetILNS1_3genE4ELNS1_11target_archE910ELNS1_3gpuE8ELNS1_3repE0EEENS1_30default_config_static_selectorELNS0_4arch9wavefront6targetE1EEEvT1_.num_vgpr, 0
	.set _ZN7rocprim17ROCPRIM_400000_NS6detail17trampoline_kernelINS0_14default_configENS1_25partition_config_selectorILNS1_17partition_subalgoE8ElNS0_10empty_typeEbEEZZNS1_14partition_implILS5_8ELb0ES3_jPlPS6_PKS6_NS0_5tupleIJS9_S6_EEENSD_IJSA_SA_EEENS0_18inequality_wrapperIZN2at6native12_GLOBAL__N_124unique_dim_cuda_templateIbEESt5tupleIJNSH_6TensorESM_SM_EERKSM_lbbbEUlllE0_EEPmJS6_EEE10hipError_tPvRmT3_T4_T5_T6_T7_T9_mT8_P12ihipStream_tbDpT10_ENKUlT_T0_E_clISt17integral_constantIbLb1EES1C_EEDaS17_S18_EUlS17_E_NS1_11comp_targetILNS1_3genE4ELNS1_11target_archE910ELNS1_3gpuE8ELNS1_3repE0EEENS1_30default_config_static_selectorELNS0_4arch9wavefront6targetE1EEEvT1_.num_agpr, 0
	.set _ZN7rocprim17ROCPRIM_400000_NS6detail17trampoline_kernelINS0_14default_configENS1_25partition_config_selectorILNS1_17partition_subalgoE8ElNS0_10empty_typeEbEEZZNS1_14partition_implILS5_8ELb0ES3_jPlPS6_PKS6_NS0_5tupleIJS9_S6_EEENSD_IJSA_SA_EEENS0_18inequality_wrapperIZN2at6native12_GLOBAL__N_124unique_dim_cuda_templateIbEESt5tupleIJNSH_6TensorESM_SM_EERKSM_lbbbEUlllE0_EEPmJS6_EEE10hipError_tPvRmT3_T4_T5_T6_T7_T9_mT8_P12ihipStream_tbDpT10_ENKUlT_T0_E_clISt17integral_constantIbLb1EES1C_EEDaS17_S18_EUlS17_E_NS1_11comp_targetILNS1_3genE4ELNS1_11target_archE910ELNS1_3gpuE8ELNS1_3repE0EEENS1_30default_config_static_selectorELNS0_4arch9wavefront6targetE1EEEvT1_.numbered_sgpr, 0
	.set _ZN7rocprim17ROCPRIM_400000_NS6detail17trampoline_kernelINS0_14default_configENS1_25partition_config_selectorILNS1_17partition_subalgoE8ElNS0_10empty_typeEbEEZZNS1_14partition_implILS5_8ELb0ES3_jPlPS6_PKS6_NS0_5tupleIJS9_S6_EEENSD_IJSA_SA_EEENS0_18inequality_wrapperIZN2at6native12_GLOBAL__N_124unique_dim_cuda_templateIbEESt5tupleIJNSH_6TensorESM_SM_EERKSM_lbbbEUlllE0_EEPmJS6_EEE10hipError_tPvRmT3_T4_T5_T6_T7_T9_mT8_P12ihipStream_tbDpT10_ENKUlT_T0_E_clISt17integral_constantIbLb1EES1C_EEDaS17_S18_EUlS17_E_NS1_11comp_targetILNS1_3genE4ELNS1_11target_archE910ELNS1_3gpuE8ELNS1_3repE0EEENS1_30default_config_static_selectorELNS0_4arch9wavefront6targetE1EEEvT1_.num_named_barrier, 0
	.set _ZN7rocprim17ROCPRIM_400000_NS6detail17trampoline_kernelINS0_14default_configENS1_25partition_config_selectorILNS1_17partition_subalgoE8ElNS0_10empty_typeEbEEZZNS1_14partition_implILS5_8ELb0ES3_jPlPS6_PKS6_NS0_5tupleIJS9_S6_EEENSD_IJSA_SA_EEENS0_18inequality_wrapperIZN2at6native12_GLOBAL__N_124unique_dim_cuda_templateIbEESt5tupleIJNSH_6TensorESM_SM_EERKSM_lbbbEUlllE0_EEPmJS6_EEE10hipError_tPvRmT3_T4_T5_T6_T7_T9_mT8_P12ihipStream_tbDpT10_ENKUlT_T0_E_clISt17integral_constantIbLb1EES1C_EEDaS17_S18_EUlS17_E_NS1_11comp_targetILNS1_3genE4ELNS1_11target_archE910ELNS1_3gpuE8ELNS1_3repE0EEENS1_30default_config_static_selectorELNS0_4arch9wavefront6targetE1EEEvT1_.private_seg_size, 0
	.set _ZN7rocprim17ROCPRIM_400000_NS6detail17trampoline_kernelINS0_14default_configENS1_25partition_config_selectorILNS1_17partition_subalgoE8ElNS0_10empty_typeEbEEZZNS1_14partition_implILS5_8ELb0ES3_jPlPS6_PKS6_NS0_5tupleIJS9_S6_EEENSD_IJSA_SA_EEENS0_18inequality_wrapperIZN2at6native12_GLOBAL__N_124unique_dim_cuda_templateIbEESt5tupleIJNSH_6TensorESM_SM_EERKSM_lbbbEUlllE0_EEPmJS6_EEE10hipError_tPvRmT3_T4_T5_T6_T7_T9_mT8_P12ihipStream_tbDpT10_ENKUlT_T0_E_clISt17integral_constantIbLb1EES1C_EEDaS17_S18_EUlS17_E_NS1_11comp_targetILNS1_3genE4ELNS1_11target_archE910ELNS1_3gpuE8ELNS1_3repE0EEENS1_30default_config_static_selectorELNS0_4arch9wavefront6targetE1EEEvT1_.uses_vcc, 0
	.set _ZN7rocprim17ROCPRIM_400000_NS6detail17trampoline_kernelINS0_14default_configENS1_25partition_config_selectorILNS1_17partition_subalgoE8ElNS0_10empty_typeEbEEZZNS1_14partition_implILS5_8ELb0ES3_jPlPS6_PKS6_NS0_5tupleIJS9_S6_EEENSD_IJSA_SA_EEENS0_18inequality_wrapperIZN2at6native12_GLOBAL__N_124unique_dim_cuda_templateIbEESt5tupleIJNSH_6TensorESM_SM_EERKSM_lbbbEUlllE0_EEPmJS6_EEE10hipError_tPvRmT3_T4_T5_T6_T7_T9_mT8_P12ihipStream_tbDpT10_ENKUlT_T0_E_clISt17integral_constantIbLb1EES1C_EEDaS17_S18_EUlS17_E_NS1_11comp_targetILNS1_3genE4ELNS1_11target_archE910ELNS1_3gpuE8ELNS1_3repE0EEENS1_30default_config_static_selectorELNS0_4arch9wavefront6targetE1EEEvT1_.uses_flat_scratch, 0
	.set _ZN7rocprim17ROCPRIM_400000_NS6detail17trampoline_kernelINS0_14default_configENS1_25partition_config_selectorILNS1_17partition_subalgoE8ElNS0_10empty_typeEbEEZZNS1_14partition_implILS5_8ELb0ES3_jPlPS6_PKS6_NS0_5tupleIJS9_S6_EEENSD_IJSA_SA_EEENS0_18inequality_wrapperIZN2at6native12_GLOBAL__N_124unique_dim_cuda_templateIbEESt5tupleIJNSH_6TensorESM_SM_EERKSM_lbbbEUlllE0_EEPmJS6_EEE10hipError_tPvRmT3_T4_T5_T6_T7_T9_mT8_P12ihipStream_tbDpT10_ENKUlT_T0_E_clISt17integral_constantIbLb1EES1C_EEDaS17_S18_EUlS17_E_NS1_11comp_targetILNS1_3genE4ELNS1_11target_archE910ELNS1_3gpuE8ELNS1_3repE0EEENS1_30default_config_static_selectorELNS0_4arch9wavefront6targetE1EEEvT1_.has_dyn_sized_stack, 0
	.set _ZN7rocprim17ROCPRIM_400000_NS6detail17trampoline_kernelINS0_14default_configENS1_25partition_config_selectorILNS1_17partition_subalgoE8ElNS0_10empty_typeEbEEZZNS1_14partition_implILS5_8ELb0ES3_jPlPS6_PKS6_NS0_5tupleIJS9_S6_EEENSD_IJSA_SA_EEENS0_18inequality_wrapperIZN2at6native12_GLOBAL__N_124unique_dim_cuda_templateIbEESt5tupleIJNSH_6TensorESM_SM_EERKSM_lbbbEUlllE0_EEPmJS6_EEE10hipError_tPvRmT3_T4_T5_T6_T7_T9_mT8_P12ihipStream_tbDpT10_ENKUlT_T0_E_clISt17integral_constantIbLb1EES1C_EEDaS17_S18_EUlS17_E_NS1_11comp_targetILNS1_3genE4ELNS1_11target_archE910ELNS1_3gpuE8ELNS1_3repE0EEENS1_30default_config_static_selectorELNS0_4arch9wavefront6targetE1EEEvT1_.has_recursion, 0
	.set _ZN7rocprim17ROCPRIM_400000_NS6detail17trampoline_kernelINS0_14default_configENS1_25partition_config_selectorILNS1_17partition_subalgoE8ElNS0_10empty_typeEbEEZZNS1_14partition_implILS5_8ELb0ES3_jPlPS6_PKS6_NS0_5tupleIJS9_S6_EEENSD_IJSA_SA_EEENS0_18inequality_wrapperIZN2at6native12_GLOBAL__N_124unique_dim_cuda_templateIbEESt5tupleIJNSH_6TensorESM_SM_EERKSM_lbbbEUlllE0_EEPmJS6_EEE10hipError_tPvRmT3_T4_T5_T6_T7_T9_mT8_P12ihipStream_tbDpT10_ENKUlT_T0_E_clISt17integral_constantIbLb1EES1C_EEDaS17_S18_EUlS17_E_NS1_11comp_targetILNS1_3genE4ELNS1_11target_archE910ELNS1_3gpuE8ELNS1_3repE0EEENS1_30default_config_static_selectorELNS0_4arch9wavefront6targetE1EEEvT1_.has_indirect_call, 0
	.section	.AMDGPU.csdata,"",@progbits
; Kernel info:
; codeLenInByte = 0
; TotalNumSgprs: 6
; NumVgprs: 0
; NumAgprs: 0
; TotalNumVgprs: 0
; ScratchSize: 0
; MemoryBound: 0
; FloatMode: 240
; IeeeMode: 1
; LDSByteSize: 0 bytes/workgroup (compile time only)
; SGPRBlocks: 0
; VGPRBlocks: 0
; NumSGPRsForWavesPerEU: 6
; NumVGPRsForWavesPerEU: 1
; AccumOffset: 4
; Occupancy: 8
; WaveLimiterHint : 0
; COMPUTE_PGM_RSRC2:SCRATCH_EN: 0
; COMPUTE_PGM_RSRC2:USER_SGPR: 2
; COMPUTE_PGM_RSRC2:TRAP_HANDLER: 0
; COMPUTE_PGM_RSRC2:TGID_X_EN: 1
; COMPUTE_PGM_RSRC2:TGID_Y_EN: 0
; COMPUTE_PGM_RSRC2:TGID_Z_EN: 0
; COMPUTE_PGM_RSRC2:TIDIG_COMP_CNT: 0
; COMPUTE_PGM_RSRC3_GFX90A:ACCUM_OFFSET: 0
; COMPUTE_PGM_RSRC3_GFX90A:TG_SPLIT: 0
	.section	.text._ZN7rocprim17ROCPRIM_400000_NS6detail17trampoline_kernelINS0_14default_configENS1_25partition_config_selectorILNS1_17partition_subalgoE8ElNS0_10empty_typeEbEEZZNS1_14partition_implILS5_8ELb0ES3_jPlPS6_PKS6_NS0_5tupleIJS9_S6_EEENSD_IJSA_SA_EEENS0_18inequality_wrapperIZN2at6native12_GLOBAL__N_124unique_dim_cuda_templateIbEESt5tupleIJNSH_6TensorESM_SM_EERKSM_lbbbEUlllE0_EEPmJS6_EEE10hipError_tPvRmT3_T4_T5_T6_T7_T9_mT8_P12ihipStream_tbDpT10_ENKUlT_T0_E_clISt17integral_constantIbLb1EES1C_EEDaS17_S18_EUlS17_E_NS1_11comp_targetILNS1_3genE3ELNS1_11target_archE908ELNS1_3gpuE7ELNS1_3repE0EEENS1_30default_config_static_selectorELNS0_4arch9wavefront6targetE1EEEvT1_,"axG",@progbits,_ZN7rocprim17ROCPRIM_400000_NS6detail17trampoline_kernelINS0_14default_configENS1_25partition_config_selectorILNS1_17partition_subalgoE8ElNS0_10empty_typeEbEEZZNS1_14partition_implILS5_8ELb0ES3_jPlPS6_PKS6_NS0_5tupleIJS9_S6_EEENSD_IJSA_SA_EEENS0_18inequality_wrapperIZN2at6native12_GLOBAL__N_124unique_dim_cuda_templateIbEESt5tupleIJNSH_6TensorESM_SM_EERKSM_lbbbEUlllE0_EEPmJS6_EEE10hipError_tPvRmT3_T4_T5_T6_T7_T9_mT8_P12ihipStream_tbDpT10_ENKUlT_T0_E_clISt17integral_constantIbLb1EES1C_EEDaS17_S18_EUlS17_E_NS1_11comp_targetILNS1_3genE3ELNS1_11target_archE908ELNS1_3gpuE7ELNS1_3repE0EEENS1_30default_config_static_selectorELNS0_4arch9wavefront6targetE1EEEvT1_,comdat
	.globl	_ZN7rocprim17ROCPRIM_400000_NS6detail17trampoline_kernelINS0_14default_configENS1_25partition_config_selectorILNS1_17partition_subalgoE8ElNS0_10empty_typeEbEEZZNS1_14partition_implILS5_8ELb0ES3_jPlPS6_PKS6_NS0_5tupleIJS9_S6_EEENSD_IJSA_SA_EEENS0_18inequality_wrapperIZN2at6native12_GLOBAL__N_124unique_dim_cuda_templateIbEESt5tupleIJNSH_6TensorESM_SM_EERKSM_lbbbEUlllE0_EEPmJS6_EEE10hipError_tPvRmT3_T4_T5_T6_T7_T9_mT8_P12ihipStream_tbDpT10_ENKUlT_T0_E_clISt17integral_constantIbLb1EES1C_EEDaS17_S18_EUlS17_E_NS1_11comp_targetILNS1_3genE3ELNS1_11target_archE908ELNS1_3gpuE7ELNS1_3repE0EEENS1_30default_config_static_selectorELNS0_4arch9wavefront6targetE1EEEvT1_ ; -- Begin function _ZN7rocprim17ROCPRIM_400000_NS6detail17trampoline_kernelINS0_14default_configENS1_25partition_config_selectorILNS1_17partition_subalgoE8ElNS0_10empty_typeEbEEZZNS1_14partition_implILS5_8ELb0ES3_jPlPS6_PKS6_NS0_5tupleIJS9_S6_EEENSD_IJSA_SA_EEENS0_18inequality_wrapperIZN2at6native12_GLOBAL__N_124unique_dim_cuda_templateIbEESt5tupleIJNSH_6TensorESM_SM_EERKSM_lbbbEUlllE0_EEPmJS6_EEE10hipError_tPvRmT3_T4_T5_T6_T7_T9_mT8_P12ihipStream_tbDpT10_ENKUlT_T0_E_clISt17integral_constantIbLb1EES1C_EEDaS17_S18_EUlS17_E_NS1_11comp_targetILNS1_3genE3ELNS1_11target_archE908ELNS1_3gpuE7ELNS1_3repE0EEENS1_30default_config_static_selectorELNS0_4arch9wavefront6targetE1EEEvT1_
	.p2align	8
	.type	_ZN7rocprim17ROCPRIM_400000_NS6detail17trampoline_kernelINS0_14default_configENS1_25partition_config_selectorILNS1_17partition_subalgoE8ElNS0_10empty_typeEbEEZZNS1_14partition_implILS5_8ELb0ES3_jPlPS6_PKS6_NS0_5tupleIJS9_S6_EEENSD_IJSA_SA_EEENS0_18inequality_wrapperIZN2at6native12_GLOBAL__N_124unique_dim_cuda_templateIbEESt5tupleIJNSH_6TensorESM_SM_EERKSM_lbbbEUlllE0_EEPmJS6_EEE10hipError_tPvRmT3_T4_T5_T6_T7_T9_mT8_P12ihipStream_tbDpT10_ENKUlT_T0_E_clISt17integral_constantIbLb1EES1C_EEDaS17_S18_EUlS17_E_NS1_11comp_targetILNS1_3genE3ELNS1_11target_archE908ELNS1_3gpuE7ELNS1_3repE0EEENS1_30default_config_static_selectorELNS0_4arch9wavefront6targetE1EEEvT1_,@function
_ZN7rocprim17ROCPRIM_400000_NS6detail17trampoline_kernelINS0_14default_configENS1_25partition_config_selectorILNS1_17partition_subalgoE8ElNS0_10empty_typeEbEEZZNS1_14partition_implILS5_8ELb0ES3_jPlPS6_PKS6_NS0_5tupleIJS9_S6_EEENSD_IJSA_SA_EEENS0_18inequality_wrapperIZN2at6native12_GLOBAL__N_124unique_dim_cuda_templateIbEESt5tupleIJNSH_6TensorESM_SM_EERKSM_lbbbEUlllE0_EEPmJS6_EEE10hipError_tPvRmT3_T4_T5_T6_T7_T9_mT8_P12ihipStream_tbDpT10_ENKUlT_T0_E_clISt17integral_constantIbLb1EES1C_EEDaS17_S18_EUlS17_E_NS1_11comp_targetILNS1_3genE3ELNS1_11target_archE908ELNS1_3gpuE7ELNS1_3repE0EEENS1_30default_config_static_selectorELNS0_4arch9wavefront6targetE1EEEvT1_: ; @_ZN7rocprim17ROCPRIM_400000_NS6detail17trampoline_kernelINS0_14default_configENS1_25partition_config_selectorILNS1_17partition_subalgoE8ElNS0_10empty_typeEbEEZZNS1_14partition_implILS5_8ELb0ES3_jPlPS6_PKS6_NS0_5tupleIJS9_S6_EEENSD_IJSA_SA_EEENS0_18inequality_wrapperIZN2at6native12_GLOBAL__N_124unique_dim_cuda_templateIbEESt5tupleIJNSH_6TensorESM_SM_EERKSM_lbbbEUlllE0_EEPmJS6_EEE10hipError_tPvRmT3_T4_T5_T6_T7_T9_mT8_P12ihipStream_tbDpT10_ENKUlT_T0_E_clISt17integral_constantIbLb1EES1C_EEDaS17_S18_EUlS17_E_NS1_11comp_targetILNS1_3genE3ELNS1_11target_archE908ELNS1_3gpuE7ELNS1_3repE0EEENS1_30default_config_static_selectorELNS0_4arch9wavefront6targetE1EEEvT1_
; %bb.0:
	.section	.rodata,"a",@progbits
	.p2align	6, 0x0
	.amdhsa_kernel _ZN7rocprim17ROCPRIM_400000_NS6detail17trampoline_kernelINS0_14default_configENS1_25partition_config_selectorILNS1_17partition_subalgoE8ElNS0_10empty_typeEbEEZZNS1_14partition_implILS5_8ELb0ES3_jPlPS6_PKS6_NS0_5tupleIJS9_S6_EEENSD_IJSA_SA_EEENS0_18inequality_wrapperIZN2at6native12_GLOBAL__N_124unique_dim_cuda_templateIbEESt5tupleIJNSH_6TensorESM_SM_EERKSM_lbbbEUlllE0_EEPmJS6_EEE10hipError_tPvRmT3_T4_T5_T6_T7_T9_mT8_P12ihipStream_tbDpT10_ENKUlT_T0_E_clISt17integral_constantIbLb1EES1C_EEDaS17_S18_EUlS17_E_NS1_11comp_targetILNS1_3genE3ELNS1_11target_archE908ELNS1_3gpuE7ELNS1_3repE0EEENS1_30default_config_static_selectorELNS0_4arch9wavefront6targetE1EEEvT1_
		.amdhsa_group_segment_fixed_size 0
		.amdhsa_private_segment_fixed_size 0
		.amdhsa_kernarg_size 136
		.amdhsa_user_sgpr_count 2
		.amdhsa_user_sgpr_dispatch_ptr 0
		.amdhsa_user_sgpr_queue_ptr 0
		.amdhsa_user_sgpr_kernarg_segment_ptr 1
		.amdhsa_user_sgpr_dispatch_id 0
		.amdhsa_user_sgpr_kernarg_preload_length 0
		.amdhsa_user_sgpr_kernarg_preload_offset 0
		.amdhsa_user_sgpr_private_segment_size 0
		.amdhsa_uses_dynamic_stack 0
		.amdhsa_enable_private_segment 0
		.amdhsa_system_sgpr_workgroup_id_x 1
		.amdhsa_system_sgpr_workgroup_id_y 0
		.amdhsa_system_sgpr_workgroup_id_z 0
		.amdhsa_system_sgpr_workgroup_info 0
		.amdhsa_system_vgpr_workitem_id 0
		.amdhsa_next_free_vgpr 1
		.amdhsa_next_free_sgpr 0
		.amdhsa_accum_offset 4
		.amdhsa_reserve_vcc 0
		.amdhsa_float_round_mode_32 0
		.amdhsa_float_round_mode_16_64 0
		.amdhsa_float_denorm_mode_32 3
		.amdhsa_float_denorm_mode_16_64 3
		.amdhsa_dx10_clamp 1
		.amdhsa_ieee_mode 1
		.amdhsa_fp16_overflow 0
		.amdhsa_tg_split 0
		.amdhsa_exception_fp_ieee_invalid_op 0
		.amdhsa_exception_fp_denorm_src 0
		.amdhsa_exception_fp_ieee_div_zero 0
		.amdhsa_exception_fp_ieee_overflow 0
		.amdhsa_exception_fp_ieee_underflow 0
		.amdhsa_exception_fp_ieee_inexact 0
		.amdhsa_exception_int_div_zero 0
	.end_amdhsa_kernel
	.section	.text._ZN7rocprim17ROCPRIM_400000_NS6detail17trampoline_kernelINS0_14default_configENS1_25partition_config_selectorILNS1_17partition_subalgoE8ElNS0_10empty_typeEbEEZZNS1_14partition_implILS5_8ELb0ES3_jPlPS6_PKS6_NS0_5tupleIJS9_S6_EEENSD_IJSA_SA_EEENS0_18inequality_wrapperIZN2at6native12_GLOBAL__N_124unique_dim_cuda_templateIbEESt5tupleIJNSH_6TensorESM_SM_EERKSM_lbbbEUlllE0_EEPmJS6_EEE10hipError_tPvRmT3_T4_T5_T6_T7_T9_mT8_P12ihipStream_tbDpT10_ENKUlT_T0_E_clISt17integral_constantIbLb1EES1C_EEDaS17_S18_EUlS17_E_NS1_11comp_targetILNS1_3genE3ELNS1_11target_archE908ELNS1_3gpuE7ELNS1_3repE0EEENS1_30default_config_static_selectorELNS0_4arch9wavefront6targetE1EEEvT1_,"axG",@progbits,_ZN7rocprim17ROCPRIM_400000_NS6detail17trampoline_kernelINS0_14default_configENS1_25partition_config_selectorILNS1_17partition_subalgoE8ElNS0_10empty_typeEbEEZZNS1_14partition_implILS5_8ELb0ES3_jPlPS6_PKS6_NS0_5tupleIJS9_S6_EEENSD_IJSA_SA_EEENS0_18inequality_wrapperIZN2at6native12_GLOBAL__N_124unique_dim_cuda_templateIbEESt5tupleIJNSH_6TensorESM_SM_EERKSM_lbbbEUlllE0_EEPmJS6_EEE10hipError_tPvRmT3_T4_T5_T6_T7_T9_mT8_P12ihipStream_tbDpT10_ENKUlT_T0_E_clISt17integral_constantIbLb1EES1C_EEDaS17_S18_EUlS17_E_NS1_11comp_targetILNS1_3genE3ELNS1_11target_archE908ELNS1_3gpuE7ELNS1_3repE0EEENS1_30default_config_static_selectorELNS0_4arch9wavefront6targetE1EEEvT1_,comdat
.Lfunc_end1062:
	.size	_ZN7rocprim17ROCPRIM_400000_NS6detail17trampoline_kernelINS0_14default_configENS1_25partition_config_selectorILNS1_17partition_subalgoE8ElNS0_10empty_typeEbEEZZNS1_14partition_implILS5_8ELb0ES3_jPlPS6_PKS6_NS0_5tupleIJS9_S6_EEENSD_IJSA_SA_EEENS0_18inequality_wrapperIZN2at6native12_GLOBAL__N_124unique_dim_cuda_templateIbEESt5tupleIJNSH_6TensorESM_SM_EERKSM_lbbbEUlllE0_EEPmJS6_EEE10hipError_tPvRmT3_T4_T5_T6_T7_T9_mT8_P12ihipStream_tbDpT10_ENKUlT_T0_E_clISt17integral_constantIbLb1EES1C_EEDaS17_S18_EUlS17_E_NS1_11comp_targetILNS1_3genE3ELNS1_11target_archE908ELNS1_3gpuE7ELNS1_3repE0EEENS1_30default_config_static_selectorELNS0_4arch9wavefront6targetE1EEEvT1_, .Lfunc_end1062-_ZN7rocprim17ROCPRIM_400000_NS6detail17trampoline_kernelINS0_14default_configENS1_25partition_config_selectorILNS1_17partition_subalgoE8ElNS0_10empty_typeEbEEZZNS1_14partition_implILS5_8ELb0ES3_jPlPS6_PKS6_NS0_5tupleIJS9_S6_EEENSD_IJSA_SA_EEENS0_18inequality_wrapperIZN2at6native12_GLOBAL__N_124unique_dim_cuda_templateIbEESt5tupleIJNSH_6TensorESM_SM_EERKSM_lbbbEUlllE0_EEPmJS6_EEE10hipError_tPvRmT3_T4_T5_T6_T7_T9_mT8_P12ihipStream_tbDpT10_ENKUlT_T0_E_clISt17integral_constantIbLb1EES1C_EEDaS17_S18_EUlS17_E_NS1_11comp_targetILNS1_3genE3ELNS1_11target_archE908ELNS1_3gpuE7ELNS1_3repE0EEENS1_30default_config_static_selectorELNS0_4arch9wavefront6targetE1EEEvT1_
                                        ; -- End function
	.set _ZN7rocprim17ROCPRIM_400000_NS6detail17trampoline_kernelINS0_14default_configENS1_25partition_config_selectorILNS1_17partition_subalgoE8ElNS0_10empty_typeEbEEZZNS1_14partition_implILS5_8ELb0ES3_jPlPS6_PKS6_NS0_5tupleIJS9_S6_EEENSD_IJSA_SA_EEENS0_18inequality_wrapperIZN2at6native12_GLOBAL__N_124unique_dim_cuda_templateIbEESt5tupleIJNSH_6TensorESM_SM_EERKSM_lbbbEUlllE0_EEPmJS6_EEE10hipError_tPvRmT3_T4_T5_T6_T7_T9_mT8_P12ihipStream_tbDpT10_ENKUlT_T0_E_clISt17integral_constantIbLb1EES1C_EEDaS17_S18_EUlS17_E_NS1_11comp_targetILNS1_3genE3ELNS1_11target_archE908ELNS1_3gpuE7ELNS1_3repE0EEENS1_30default_config_static_selectorELNS0_4arch9wavefront6targetE1EEEvT1_.num_vgpr, 0
	.set _ZN7rocprim17ROCPRIM_400000_NS6detail17trampoline_kernelINS0_14default_configENS1_25partition_config_selectorILNS1_17partition_subalgoE8ElNS0_10empty_typeEbEEZZNS1_14partition_implILS5_8ELb0ES3_jPlPS6_PKS6_NS0_5tupleIJS9_S6_EEENSD_IJSA_SA_EEENS0_18inequality_wrapperIZN2at6native12_GLOBAL__N_124unique_dim_cuda_templateIbEESt5tupleIJNSH_6TensorESM_SM_EERKSM_lbbbEUlllE0_EEPmJS6_EEE10hipError_tPvRmT3_T4_T5_T6_T7_T9_mT8_P12ihipStream_tbDpT10_ENKUlT_T0_E_clISt17integral_constantIbLb1EES1C_EEDaS17_S18_EUlS17_E_NS1_11comp_targetILNS1_3genE3ELNS1_11target_archE908ELNS1_3gpuE7ELNS1_3repE0EEENS1_30default_config_static_selectorELNS0_4arch9wavefront6targetE1EEEvT1_.num_agpr, 0
	.set _ZN7rocprim17ROCPRIM_400000_NS6detail17trampoline_kernelINS0_14default_configENS1_25partition_config_selectorILNS1_17partition_subalgoE8ElNS0_10empty_typeEbEEZZNS1_14partition_implILS5_8ELb0ES3_jPlPS6_PKS6_NS0_5tupleIJS9_S6_EEENSD_IJSA_SA_EEENS0_18inequality_wrapperIZN2at6native12_GLOBAL__N_124unique_dim_cuda_templateIbEESt5tupleIJNSH_6TensorESM_SM_EERKSM_lbbbEUlllE0_EEPmJS6_EEE10hipError_tPvRmT3_T4_T5_T6_T7_T9_mT8_P12ihipStream_tbDpT10_ENKUlT_T0_E_clISt17integral_constantIbLb1EES1C_EEDaS17_S18_EUlS17_E_NS1_11comp_targetILNS1_3genE3ELNS1_11target_archE908ELNS1_3gpuE7ELNS1_3repE0EEENS1_30default_config_static_selectorELNS0_4arch9wavefront6targetE1EEEvT1_.numbered_sgpr, 0
	.set _ZN7rocprim17ROCPRIM_400000_NS6detail17trampoline_kernelINS0_14default_configENS1_25partition_config_selectorILNS1_17partition_subalgoE8ElNS0_10empty_typeEbEEZZNS1_14partition_implILS5_8ELb0ES3_jPlPS6_PKS6_NS0_5tupleIJS9_S6_EEENSD_IJSA_SA_EEENS0_18inequality_wrapperIZN2at6native12_GLOBAL__N_124unique_dim_cuda_templateIbEESt5tupleIJNSH_6TensorESM_SM_EERKSM_lbbbEUlllE0_EEPmJS6_EEE10hipError_tPvRmT3_T4_T5_T6_T7_T9_mT8_P12ihipStream_tbDpT10_ENKUlT_T0_E_clISt17integral_constantIbLb1EES1C_EEDaS17_S18_EUlS17_E_NS1_11comp_targetILNS1_3genE3ELNS1_11target_archE908ELNS1_3gpuE7ELNS1_3repE0EEENS1_30default_config_static_selectorELNS0_4arch9wavefront6targetE1EEEvT1_.num_named_barrier, 0
	.set _ZN7rocprim17ROCPRIM_400000_NS6detail17trampoline_kernelINS0_14default_configENS1_25partition_config_selectorILNS1_17partition_subalgoE8ElNS0_10empty_typeEbEEZZNS1_14partition_implILS5_8ELb0ES3_jPlPS6_PKS6_NS0_5tupleIJS9_S6_EEENSD_IJSA_SA_EEENS0_18inequality_wrapperIZN2at6native12_GLOBAL__N_124unique_dim_cuda_templateIbEESt5tupleIJNSH_6TensorESM_SM_EERKSM_lbbbEUlllE0_EEPmJS6_EEE10hipError_tPvRmT3_T4_T5_T6_T7_T9_mT8_P12ihipStream_tbDpT10_ENKUlT_T0_E_clISt17integral_constantIbLb1EES1C_EEDaS17_S18_EUlS17_E_NS1_11comp_targetILNS1_3genE3ELNS1_11target_archE908ELNS1_3gpuE7ELNS1_3repE0EEENS1_30default_config_static_selectorELNS0_4arch9wavefront6targetE1EEEvT1_.private_seg_size, 0
	.set _ZN7rocprim17ROCPRIM_400000_NS6detail17trampoline_kernelINS0_14default_configENS1_25partition_config_selectorILNS1_17partition_subalgoE8ElNS0_10empty_typeEbEEZZNS1_14partition_implILS5_8ELb0ES3_jPlPS6_PKS6_NS0_5tupleIJS9_S6_EEENSD_IJSA_SA_EEENS0_18inequality_wrapperIZN2at6native12_GLOBAL__N_124unique_dim_cuda_templateIbEESt5tupleIJNSH_6TensorESM_SM_EERKSM_lbbbEUlllE0_EEPmJS6_EEE10hipError_tPvRmT3_T4_T5_T6_T7_T9_mT8_P12ihipStream_tbDpT10_ENKUlT_T0_E_clISt17integral_constantIbLb1EES1C_EEDaS17_S18_EUlS17_E_NS1_11comp_targetILNS1_3genE3ELNS1_11target_archE908ELNS1_3gpuE7ELNS1_3repE0EEENS1_30default_config_static_selectorELNS0_4arch9wavefront6targetE1EEEvT1_.uses_vcc, 0
	.set _ZN7rocprim17ROCPRIM_400000_NS6detail17trampoline_kernelINS0_14default_configENS1_25partition_config_selectorILNS1_17partition_subalgoE8ElNS0_10empty_typeEbEEZZNS1_14partition_implILS5_8ELb0ES3_jPlPS6_PKS6_NS0_5tupleIJS9_S6_EEENSD_IJSA_SA_EEENS0_18inequality_wrapperIZN2at6native12_GLOBAL__N_124unique_dim_cuda_templateIbEESt5tupleIJNSH_6TensorESM_SM_EERKSM_lbbbEUlllE0_EEPmJS6_EEE10hipError_tPvRmT3_T4_T5_T6_T7_T9_mT8_P12ihipStream_tbDpT10_ENKUlT_T0_E_clISt17integral_constantIbLb1EES1C_EEDaS17_S18_EUlS17_E_NS1_11comp_targetILNS1_3genE3ELNS1_11target_archE908ELNS1_3gpuE7ELNS1_3repE0EEENS1_30default_config_static_selectorELNS0_4arch9wavefront6targetE1EEEvT1_.uses_flat_scratch, 0
	.set _ZN7rocprim17ROCPRIM_400000_NS6detail17trampoline_kernelINS0_14default_configENS1_25partition_config_selectorILNS1_17partition_subalgoE8ElNS0_10empty_typeEbEEZZNS1_14partition_implILS5_8ELb0ES3_jPlPS6_PKS6_NS0_5tupleIJS9_S6_EEENSD_IJSA_SA_EEENS0_18inequality_wrapperIZN2at6native12_GLOBAL__N_124unique_dim_cuda_templateIbEESt5tupleIJNSH_6TensorESM_SM_EERKSM_lbbbEUlllE0_EEPmJS6_EEE10hipError_tPvRmT3_T4_T5_T6_T7_T9_mT8_P12ihipStream_tbDpT10_ENKUlT_T0_E_clISt17integral_constantIbLb1EES1C_EEDaS17_S18_EUlS17_E_NS1_11comp_targetILNS1_3genE3ELNS1_11target_archE908ELNS1_3gpuE7ELNS1_3repE0EEENS1_30default_config_static_selectorELNS0_4arch9wavefront6targetE1EEEvT1_.has_dyn_sized_stack, 0
	.set _ZN7rocprim17ROCPRIM_400000_NS6detail17trampoline_kernelINS0_14default_configENS1_25partition_config_selectorILNS1_17partition_subalgoE8ElNS0_10empty_typeEbEEZZNS1_14partition_implILS5_8ELb0ES3_jPlPS6_PKS6_NS0_5tupleIJS9_S6_EEENSD_IJSA_SA_EEENS0_18inequality_wrapperIZN2at6native12_GLOBAL__N_124unique_dim_cuda_templateIbEESt5tupleIJNSH_6TensorESM_SM_EERKSM_lbbbEUlllE0_EEPmJS6_EEE10hipError_tPvRmT3_T4_T5_T6_T7_T9_mT8_P12ihipStream_tbDpT10_ENKUlT_T0_E_clISt17integral_constantIbLb1EES1C_EEDaS17_S18_EUlS17_E_NS1_11comp_targetILNS1_3genE3ELNS1_11target_archE908ELNS1_3gpuE7ELNS1_3repE0EEENS1_30default_config_static_selectorELNS0_4arch9wavefront6targetE1EEEvT1_.has_recursion, 0
	.set _ZN7rocprim17ROCPRIM_400000_NS6detail17trampoline_kernelINS0_14default_configENS1_25partition_config_selectorILNS1_17partition_subalgoE8ElNS0_10empty_typeEbEEZZNS1_14partition_implILS5_8ELb0ES3_jPlPS6_PKS6_NS0_5tupleIJS9_S6_EEENSD_IJSA_SA_EEENS0_18inequality_wrapperIZN2at6native12_GLOBAL__N_124unique_dim_cuda_templateIbEESt5tupleIJNSH_6TensorESM_SM_EERKSM_lbbbEUlllE0_EEPmJS6_EEE10hipError_tPvRmT3_T4_T5_T6_T7_T9_mT8_P12ihipStream_tbDpT10_ENKUlT_T0_E_clISt17integral_constantIbLb1EES1C_EEDaS17_S18_EUlS17_E_NS1_11comp_targetILNS1_3genE3ELNS1_11target_archE908ELNS1_3gpuE7ELNS1_3repE0EEENS1_30default_config_static_selectorELNS0_4arch9wavefront6targetE1EEEvT1_.has_indirect_call, 0
	.section	.AMDGPU.csdata,"",@progbits
; Kernel info:
; codeLenInByte = 0
; TotalNumSgprs: 6
; NumVgprs: 0
; NumAgprs: 0
; TotalNumVgprs: 0
; ScratchSize: 0
; MemoryBound: 0
; FloatMode: 240
; IeeeMode: 1
; LDSByteSize: 0 bytes/workgroup (compile time only)
; SGPRBlocks: 0
; VGPRBlocks: 0
; NumSGPRsForWavesPerEU: 6
; NumVGPRsForWavesPerEU: 1
; AccumOffset: 4
; Occupancy: 8
; WaveLimiterHint : 0
; COMPUTE_PGM_RSRC2:SCRATCH_EN: 0
; COMPUTE_PGM_RSRC2:USER_SGPR: 2
; COMPUTE_PGM_RSRC2:TRAP_HANDLER: 0
; COMPUTE_PGM_RSRC2:TGID_X_EN: 1
; COMPUTE_PGM_RSRC2:TGID_Y_EN: 0
; COMPUTE_PGM_RSRC2:TGID_Z_EN: 0
; COMPUTE_PGM_RSRC2:TIDIG_COMP_CNT: 0
; COMPUTE_PGM_RSRC3_GFX90A:ACCUM_OFFSET: 0
; COMPUTE_PGM_RSRC3_GFX90A:TG_SPLIT: 0
	.section	.text._ZN7rocprim17ROCPRIM_400000_NS6detail17trampoline_kernelINS0_14default_configENS1_25partition_config_selectorILNS1_17partition_subalgoE8ElNS0_10empty_typeEbEEZZNS1_14partition_implILS5_8ELb0ES3_jPlPS6_PKS6_NS0_5tupleIJS9_S6_EEENSD_IJSA_SA_EEENS0_18inequality_wrapperIZN2at6native12_GLOBAL__N_124unique_dim_cuda_templateIbEESt5tupleIJNSH_6TensorESM_SM_EERKSM_lbbbEUlllE0_EEPmJS6_EEE10hipError_tPvRmT3_T4_T5_T6_T7_T9_mT8_P12ihipStream_tbDpT10_ENKUlT_T0_E_clISt17integral_constantIbLb1EES1C_EEDaS17_S18_EUlS17_E_NS1_11comp_targetILNS1_3genE2ELNS1_11target_archE906ELNS1_3gpuE6ELNS1_3repE0EEENS1_30default_config_static_selectorELNS0_4arch9wavefront6targetE1EEEvT1_,"axG",@progbits,_ZN7rocprim17ROCPRIM_400000_NS6detail17trampoline_kernelINS0_14default_configENS1_25partition_config_selectorILNS1_17partition_subalgoE8ElNS0_10empty_typeEbEEZZNS1_14partition_implILS5_8ELb0ES3_jPlPS6_PKS6_NS0_5tupleIJS9_S6_EEENSD_IJSA_SA_EEENS0_18inequality_wrapperIZN2at6native12_GLOBAL__N_124unique_dim_cuda_templateIbEESt5tupleIJNSH_6TensorESM_SM_EERKSM_lbbbEUlllE0_EEPmJS6_EEE10hipError_tPvRmT3_T4_T5_T6_T7_T9_mT8_P12ihipStream_tbDpT10_ENKUlT_T0_E_clISt17integral_constantIbLb1EES1C_EEDaS17_S18_EUlS17_E_NS1_11comp_targetILNS1_3genE2ELNS1_11target_archE906ELNS1_3gpuE6ELNS1_3repE0EEENS1_30default_config_static_selectorELNS0_4arch9wavefront6targetE1EEEvT1_,comdat
	.globl	_ZN7rocprim17ROCPRIM_400000_NS6detail17trampoline_kernelINS0_14default_configENS1_25partition_config_selectorILNS1_17partition_subalgoE8ElNS0_10empty_typeEbEEZZNS1_14partition_implILS5_8ELb0ES3_jPlPS6_PKS6_NS0_5tupleIJS9_S6_EEENSD_IJSA_SA_EEENS0_18inequality_wrapperIZN2at6native12_GLOBAL__N_124unique_dim_cuda_templateIbEESt5tupleIJNSH_6TensorESM_SM_EERKSM_lbbbEUlllE0_EEPmJS6_EEE10hipError_tPvRmT3_T4_T5_T6_T7_T9_mT8_P12ihipStream_tbDpT10_ENKUlT_T0_E_clISt17integral_constantIbLb1EES1C_EEDaS17_S18_EUlS17_E_NS1_11comp_targetILNS1_3genE2ELNS1_11target_archE906ELNS1_3gpuE6ELNS1_3repE0EEENS1_30default_config_static_selectorELNS0_4arch9wavefront6targetE1EEEvT1_ ; -- Begin function _ZN7rocprim17ROCPRIM_400000_NS6detail17trampoline_kernelINS0_14default_configENS1_25partition_config_selectorILNS1_17partition_subalgoE8ElNS0_10empty_typeEbEEZZNS1_14partition_implILS5_8ELb0ES3_jPlPS6_PKS6_NS0_5tupleIJS9_S6_EEENSD_IJSA_SA_EEENS0_18inequality_wrapperIZN2at6native12_GLOBAL__N_124unique_dim_cuda_templateIbEESt5tupleIJNSH_6TensorESM_SM_EERKSM_lbbbEUlllE0_EEPmJS6_EEE10hipError_tPvRmT3_T4_T5_T6_T7_T9_mT8_P12ihipStream_tbDpT10_ENKUlT_T0_E_clISt17integral_constantIbLb1EES1C_EEDaS17_S18_EUlS17_E_NS1_11comp_targetILNS1_3genE2ELNS1_11target_archE906ELNS1_3gpuE6ELNS1_3repE0EEENS1_30default_config_static_selectorELNS0_4arch9wavefront6targetE1EEEvT1_
	.p2align	8
	.type	_ZN7rocprim17ROCPRIM_400000_NS6detail17trampoline_kernelINS0_14default_configENS1_25partition_config_selectorILNS1_17partition_subalgoE8ElNS0_10empty_typeEbEEZZNS1_14partition_implILS5_8ELb0ES3_jPlPS6_PKS6_NS0_5tupleIJS9_S6_EEENSD_IJSA_SA_EEENS0_18inequality_wrapperIZN2at6native12_GLOBAL__N_124unique_dim_cuda_templateIbEESt5tupleIJNSH_6TensorESM_SM_EERKSM_lbbbEUlllE0_EEPmJS6_EEE10hipError_tPvRmT3_T4_T5_T6_T7_T9_mT8_P12ihipStream_tbDpT10_ENKUlT_T0_E_clISt17integral_constantIbLb1EES1C_EEDaS17_S18_EUlS17_E_NS1_11comp_targetILNS1_3genE2ELNS1_11target_archE906ELNS1_3gpuE6ELNS1_3repE0EEENS1_30default_config_static_selectorELNS0_4arch9wavefront6targetE1EEEvT1_,@function
_ZN7rocprim17ROCPRIM_400000_NS6detail17trampoline_kernelINS0_14default_configENS1_25partition_config_selectorILNS1_17partition_subalgoE8ElNS0_10empty_typeEbEEZZNS1_14partition_implILS5_8ELb0ES3_jPlPS6_PKS6_NS0_5tupleIJS9_S6_EEENSD_IJSA_SA_EEENS0_18inequality_wrapperIZN2at6native12_GLOBAL__N_124unique_dim_cuda_templateIbEESt5tupleIJNSH_6TensorESM_SM_EERKSM_lbbbEUlllE0_EEPmJS6_EEE10hipError_tPvRmT3_T4_T5_T6_T7_T9_mT8_P12ihipStream_tbDpT10_ENKUlT_T0_E_clISt17integral_constantIbLb1EES1C_EEDaS17_S18_EUlS17_E_NS1_11comp_targetILNS1_3genE2ELNS1_11target_archE906ELNS1_3gpuE6ELNS1_3repE0EEENS1_30default_config_static_selectorELNS0_4arch9wavefront6targetE1EEEvT1_: ; @_ZN7rocprim17ROCPRIM_400000_NS6detail17trampoline_kernelINS0_14default_configENS1_25partition_config_selectorILNS1_17partition_subalgoE8ElNS0_10empty_typeEbEEZZNS1_14partition_implILS5_8ELb0ES3_jPlPS6_PKS6_NS0_5tupleIJS9_S6_EEENSD_IJSA_SA_EEENS0_18inequality_wrapperIZN2at6native12_GLOBAL__N_124unique_dim_cuda_templateIbEESt5tupleIJNSH_6TensorESM_SM_EERKSM_lbbbEUlllE0_EEPmJS6_EEE10hipError_tPvRmT3_T4_T5_T6_T7_T9_mT8_P12ihipStream_tbDpT10_ENKUlT_T0_E_clISt17integral_constantIbLb1EES1C_EEDaS17_S18_EUlS17_E_NS1_11comp_targetILNS1_3genE2ELNS1_11target_archE906ELNS1_3gpuE6ELNS1_3repE0EEENS1_30default_config_static_selectorELNS0_4arch9wavefront6targetE1EEEvT1_
; %bb.0:
	.section	.rodata,"a",@progbits
	.p2align	6, 0x0
	.amdhsa_kernel _ZN7rocprim17ROCPRIM_400000_NS6detail17trampoline_kernelINS0_14default_configENS1_25partition_config_selectorILNS1_17partition_subalgoE8ElNS0_10empty_typeEbEEZZNS1_14partition_implILS5_8ELb0ES3_jPlPS6_PKS6_NS0_5tupleIJS9_S6_EEENSD_IJSA_SA_EEENS0_18inequality_wrapperIZN2at6native12_GLOBAL__N_124unique_dim_cuda_templateIbEESt5tupleIJNSH_6TensorESM_SM_EERKSM_lbbbEUlllE0_EEPmJS6_EEE10hipError_tPvRmT3_T4_T5_T6_T7_T9_mT8_P12ihipStream_tbDpT10_ENKUlT_T0_E_clISt17integral_constantIbLb1EES1C_EEDaS17_S18_EUlS17_E_NS1_11comp_targetILNS1_3genE2ELNS1_11target_archE906ELNS1_3gpuE6ELNS1_3repE0EEENS1_30default_config_static_selectorELNS0_4arch9wavefront6targetE1EEEvT1_
		.amdhsa_group_segment_fixed_size 0
		.amdhsa_private_segment_fixed_size 0
		.amdhsa_kernarg_size 136
		.amdhsa_user_sgpr_count 2
		.amdhsa_user_sgpr_dispatch_ptr 0
		.amdhsa_user_sgpr_queue_ptr 0
		.amdhsa_user_sgpr_kernarg_segment_ptr 1
		.amdhsa_user_sgpr_dispatch_id 0
		.amdhsa_user_sgpr_kernarg_preload_length 0
		.amdhsa_user_sgpr_kernarg_preload_offset 0
		.amdhsa_user_sgpr_private_segment_size 0
		.amdhsa_uses_dynamic_stack 0
		.amdhsa_enable_private_segment 0
		.amdhsa_system_sgpr_workgroup_id_x 1
		.amdhsa_system_sgpr_workgroup_id_y 0
		.amdhsa_system_sgpr_workgroup_id_z 0
		.amdhsa_system_sgpr_workgroup_info 0
		.amdhsa_system_vgpr_workitem_id 0
		.amdhsa_next_free_vgpr 1
		.amdhsa_next_free_sgpr 0
		.amdhsa_accum_offset 4
		.amdhsa_reserve_vcc 0
		.amdhsa_float_round_mode_32 0
		.amdhsa_float_round_mode_16_64 0
		.amdhsa_float_denorm_mode_32 3
		.amdhsa_float_denorm_mode_16_64 3
		.amdhsa_dx10_clamp 1
		.amdhsa_ieee_mode 1
		.amdhsa_fp16_overflow 0
		.amdhsa_tg_split 0
		.amdhsa_exception_fp_ieee_invalid_op 0
		.amdhsa_exception_fp_denorm_src 0
		.amdhsa_exception_fp_ieee_div_zero 0
		.amdhsa_exception_fp_ieee_overflow 0
		.amdhsa_exception_fp_ieee_underflow 0
		.amdhsa_exception_fp_ieee_inexact 0
		.amdhsa_exception_int_div_zero 0
	.end_amdhsa_kernel
	.section	.text._ZN7rocprim17ROCPRIM_400000_NS6detail17trampoline_kernelINS0_14default_configENS1_25partition_config_selectorILNS1_17partition_subalgoE8ElNS0_10empty_typeEbEEZZNS1_14partition_implILS5_8ELb0ES3_jPlPS6_PKS6_NS0_5tupleIJS9_S6_EEENSD_IJSA_SA_EEENS0_18inequality_wrapperIZN2at6native12_GLOBAL__N_124unique_dim_cuda_templateIbEESt5tupleIJNSH_6TensorESM_SM_EERKSM_lbbbEUlllE0_EEPmJS6_EEE10hipError_tPvRmT3_T4_T5_T6_T7_T9_mT8_P12ihipStream_tbDpT10_ENKUlT_T0_E_clISt17integral_constantIbLb1EES1C_EEDaS17_S18_EUlS17_E_NS1_11comp_targetILNS1_3genE2ELNS1_11target_archE906ELNS1_3gpuE6ELNS1_3repE0EEENS1_30default_config_static_selectorELNS0_4arch9wavefront6targetE1EEEvT1_,"axG",@progbits,_ZN7rocprim17ROCPRIM_400000_NS6detail17trampoline_kernelINS0_14default_configENS1_25partition_config_selectorILNS1_17partition_subalgoE8ElNS0_10empty_typeEbEEZZNS1_14partition_implILS5_8ELb0ES3_jPlPS6_PKS6_NS0_5tupleIJS9_S6_EEENSD_IJSA_SA_EEENS0_18inequality_wrapperIZN2at6native12_GLOBAL__N_124unique_dim_cuda_templateIbEESt5tupleIJNSH_6TensorESM_SM_EERKSM_lbbbEUlllE0_EEPmJS6_EEE10hipError_tPvRmT3_T4_T5_T6_T7_T9_mT8_P12ihipStream_tbDpT10_ENKUlT_T0_E_clISt17integral_constantIbLb1EES1C_EEDaS17_S18_EUlS17_E_NS1_11comp_targetILNS1_3genE2ELNS1_11target_archE906ELNS1_3gpuE6ELNS1_3repE0EEENS1_30default_config_static_selectorELNS0_4arch9wavefront6targetE1EEEvT1_,comdat
.Lfunc_end1063:
	.size	_ZN7rocprim17ROCPRIM_400000_NS6detail17trampoline_kernelINS0_14default_configENS1_25partition_config_selectorILNS1_17partition_subalgoE8ElNS0_10empty_typeEbEEZZNS1_14partition_implILS5_8ELb0ES3_jPlPS6_PKS6_NS0_5tupleIJS9_S6_EEENSD_IJSA_SA_EEENS0_18inequality_wrapperIZN2at6native12_GLOBAL__N_124unique_dim_cuda_templateIbEESt5tupleIJNSH_6TensorESM_SM_EERKSM_lbbbEUlllE0_EEPmJS6_EEE10hipError_tPvRmT3_T4_T5_T6_T7_T9_mT8_P12ihipStream_tbDpT10_ENKUlT_T0_E_clISt17integral_constantIbLb1EES1C_EEDaS17_S18_EUlS17_E_NS1_11comp_targetILNS1_3genE2ELNS1_11target_archE906ELNS1_3gpuE6ELNS1_3repE0EEENS1_30default_config_static_selectorELNS0_4arch9wavefront6targetE1EEEvT1_, .Lfunc_end1063-_ZN7rocprim17ROCPRIM_400000_NS6detail17trampoline_kernelINS0_14default_configENS1_25partition_config_selectorILNS1_17partition_subalgoE8ElNS0_10empty_typeEbEEZZNS1_14partition_implILS5_8ELb0ES3_jPlPS6_PKS6_NS0_5tupleIJS9_S6_EEENSD_IJSA_SA_EEENS0_18inequality_wrapperIZN2at6native12_GLOBAL__N_124unique_dim_cuda_templateIbEESt5tupleIJNSH_6TensorESM_SM_EERKSM_lbbbEUlllE0_EEPmJS6_EEE10hipError_tPvRmT3_T4_T5_T6_T7_T9_mT8_P12ihipStream_tbDpT10_ENKUlT_T0_E_clISt17integral_constantIbLb1EES1C_EEDaS17_S18_EUlS17_E_NS1_11comp_targetILNS1_3genE2ELNS1_11target_archE906ELNS1_3gpuE6ELNS1_3repE0EEENS1_30default_config_static_selectorELNS0_4arch9wavefront6targetE1EEEvT1_
                                        ; -- End function
	.set _ZN7rocprim17ROCPRIM_400000_NS6detail17trampoline_kernelINS0_14default_configENS1_25partition_config_selectorILNS1_17partition_subalgoE8ElNS0_10empty_typeEbEEZZNS1_14partition_implILS5_8ELb0ES3_jPlPS6_PKS6_NS0_5tupleIJS9_S6_EEENSD_IJSA_SA_EEENS0_18inequality_wrapperIZN2at6native12_GLOBAL__N_124unique_dim_cuda_templateIbEESt5tupleIJNSH_6TensorESM_SM_EERKSM_lbbbEUlllE0_EEPmJS6_EEE10hipError_tPvRmT3_T4_T5_T6_T7_T9_mT8_P12ihipStream_tbDpT10_ENKUlT_T0_E_clISt17integral_constantIbLb1EES1C_EEDaS17_S18_EUlS17_E_NS1_11comp_targetILNS1_3genE2ELNS1_11target_archE906ELNS1_3gpuE6ELNS1_3repE0EEENS1_30default_config_static_selectorELNS0_4arch9wavefront6targetE1EEEvT1_.num_vgpr, 0
	.set _ZN7rocprim17ROCPRIM_400000_NS6detail17trampoline_kernelINS0_14default_configENS1_25partition_config_selectorILNS1_17partition_subalgoE8ElNS0_10empty_typeEbEEZZNS1_14partition_implILS5_8ELb0ES3_jPlPS6_PKS6_NS0_5tupleIJS9_S6_EEENSD_IJSA_SA_EEENS0_18inequality_wrapperIZN2at6native12_GLOBAL__N_124unique_dim_cuda_templateIbEESt5tupleIJNSH_6TensorESM_SM_EERKSM_lbbbEUlllE0_EEPmJS6_EEE10hipError_tPvRmT3_T4_T5_T6_T7_T9_mT8_P12ihipStream_tbDpT10_ENKUlT_T0_E_clISt17integral_constantIbLb1EES1C_EEDaS17_S18_EUlS17_E_NS1_11comp_targetILNS1_3genE2ELNS1_11target_archE906ELNS1_3gpuE6ELNS1_3repE0EEENS1_30default_config_static_selectorELNS0_4arch9wavefront6targetE1EEEvT1_.num_agpr, 0
	.set _ZN7rocprim17ROCPRIM_400000_NS6detail17trampoline_kernelINS0_14default_configENS1_25partition_config_selectorILNS1_17partition_subalgoE8ElNS0_10empty_typeEbEEZZNS1_14partition_implILS5_8ELb0ES3_jPlPS6_PKS6_NS0_5tupleIJS9_S6_EEENSD_IJSA_SA_EEENS0_18inequality_wrapperIZN2at6native12_GLOBAL__N_124unique_dim_cuda_templateIbEESt5tupleIJNSH_6TensorESM_SM_EERKSM_lbbbEUlllE0_EEPmJS6_EEE10hipError_tPvRmT3_T4_T5_T6_T7_T9_mT8_P12ihipStream_tbDpT10_ENKUlT_T0_E_clISt17integral_constantIbLb1EES1C_EEDaS17_S18_EUlS17_E_NS1_11comp_targetILNS1_3genE2ELNS1_11target_archE906ELNS1_3gpuE6ELNS1_3repE0EEENS1_30default_config_static_selectorELNS0_4arch9wavefront6targetE1EEEvT1_.numbered_sgpr, 0
	.set _ZN7rocprim17ROCPRIM_400000_NS6detail17trampoline_kernelINS0_14default_configENS1_25partition_config_selectorILNS1_17partition_subalgoE8ElNS0_10empty_typeEbEEZZNS1_14partition_implILS5_8ELb0ES3_jPlPS6_PKS6_NS0_5tupleIJS9_S6_EEENSD_IJSA_SA_EEENS0_18inequality_wrapperIZN2at6native12_GLOBAL__N_124unique_dim_cuda_templateIbEESt5tupleIJNSH_6TensorESM_SM_EERKSM_lbbbEUlllE0_EEPmJS6_EEE10hipError_tPvRmT3_T4_T5_T6_T7_T9_mT8_P12ihipStream_tbDpT10_ENKUlT_T0_E_clISt17integral_constantIbLb1EES1C_EEDaS17_S18_EUlS17_E_NS1_11comp_targetILNS1_3genE2ELNS1_11target_archE906ELNS1_3gpuE6ELNS1_3repE0EEENS1_30default_config_static_selectorELNS0_4arch9wavefront6targetE1EEEvT1_.num_named_barrier, 0
	.set _ZN7rocprim17ROCPRIM_400000_NS6detail17trampoline_kernelINS0_14default_configENS1_25partition_config_selectorILNS1_17partition_subalgoE8ElNS0_10empty_typeEbEEZZNS1_14partition_implILS5_8ELb0ES3_jPlPS6_PKS6_NS0_5tupleIJS9_S6_EEENSD_IJSA_SA_EEENS0_18inequality_wrapperIZN2at6native12_GLOBAL__N_124unique_dim_cuda_templateIbEESt5tupleIJNSH_6TensorESM_SM_EERKSM_lbbbEUlllE0_EEPmJS6_EEE10hipError_tPvRmT3_T4_T5_T6_T7_T9_mT8_P12ihipStream_tbDpT10_ENKUlT_T0_E_clISt17integral_constantIbLb1EES1C_EEDaS17_S18_EUlS17_E_NS1_11comp_targetILNS1_3genE2ELNS1_11target_archE906ELNS1_3gpuE6ELNS1_3repE0EEENS1_30default_config_static_selectorELNS0_4arch9wavefront6targetE1EEEvT1_.private_seg_size, 0
	.set _ZN7rocprim17ROCPRIM_400000_NS6detail17trampoline_kernelINS0_14default_configENS1_25partition_config_selectorILNS1_17partition_subalgoE8ElNS0_10empty_typeEbEEZZNS1_14partition_implILS5_8ELb0ES3_jPlPS6_PKS6_NS0_5tupleIJS9_S6_EEENSD_IJSA_SA_EEENS0_18inequality_wrapperIZN2at6native12_GLOBAL__N_124unique_dim_cuda_templateIbEESt5tupleIJNSH_6TensorESM_SM_EERKSM_lbbbEUlllE0_EEPmJS6_EEE10hipError_tPvRmT3_T4_T5_T6_T7_T9_mT8_P12ihipStream_tbDpT10_ENKUlT_T0_E_clISt17integral_constantIbLb1EES1C_EEDaS17_S18_EUlS17_E_NS1_11comp_targetILNS1_3genE2ELNS1_11target_archE906ELNS1_3gpuE6ELNS1_3repE0EEENS1_30default_config_static_selectorELNS0_4arch9wavefront6targetE1EEEvT1_.uses_vcc, 0
	.set _ZN7rocprim17ROCPRIM_400000_NS6detail17trampoline_kernelINS0_14default_configENS1_25partition_config_selectorILNS1_17partition_subalgoE8ElNS0_10empty_typeEbEEZZNS1_14partition_implILS5_8ELb0ES3_jPlPS6_PKS6_NS0_5tupleIJS9_S6_EEENSD_IJSA_SA_EEENS0_18inequality_wrapperIZN2at6native12_GLOBAL__N_124unique_dim_cuda_templateIbEESt5tupleIJNSH_6TensorESM_SM_EERKSM_lbbbEUlllE0_EEPmJS6_EEE10hipError_tPvRmT3_T4_T5_T6_T7_T9_mT8_P12ihipStream_tbDpT10_ENKUlT_T0_E_clISt17integral_constantIbLb1EES1C_EEDaS17_S18_EUlS17_E_NS1_11comp_targetILNS1_3genE2ELNS1_11target_archE906ELNS1_3gpuE6ELNS1_3repE0EEENS1_30default_config_static_selectorELNS0_4arch9wavefront6targetE1EEEvT1_.uses_flat_scratch, 0
	.set _ZN7rocprim17ROCPRIM_400000_NS6detail17trampoline_kernelINS0_14default_configENS1_25partition_config_selectorILNS1_17partition_subalgoE8ElNS0_10empty_typeEbEEZZNS1_14partition_implILS5_8ELb0ES3_jPlPS6_PKS6_NS0_5tupleIJS9_S6_EEENSD_IJSA_SA_EEENS0_18inequality_wrapperIZN2at6native12_GLOBAL__N_124unique_dim_cuda_templateIbEESt5tupleIJNSH_6TensorESM_SM_EERKSM_lbbbEUlllE0_EEPmJS6_EEE10hipError_tPvRmT3_T4_T5_T6_T7_T9_mT8_P12ihipStream_tbDpT10_ENKUlT_T0_E_clISt17integral_constantIbLb1EES1C_EEDaS17_S18_EUlS17_E_NS1_11comp_targetILNS1_3genE2ELNS1_11target_archE906ELNS1_3gpuE6ELNS1_3repE0EEENS1_30default_config_static_selectorELNS0_4arch9wavefront6targetE1EEEvT1_.has_dyn_sized_stack, 0
	.set _ZN7rocprim17ROCPRIM_400000_NS6detail17trampoline_kernelINS0_14default_configENS1_25partition_config_selectorILNS1_17partition_subalgoE8ElNS0_10empty_typeEbEEZZNS1_14partition_implILS5_8ELb0ES3_jPlPS6_PKS6_NS0_5tupleIJS9_S6_EEENSD_IJSA_SA_EEENS0_18inequality_wrapperIZN2at6native12_GLOBAL__N_124unique_dim_cuda_templateIbEESt5tupleIJNSH_6TensorESM_SM_EERKSM_lbbbEUlllE0_EEPmJS6_EEE10hipError_tPvRmT3_T4_T5_T6_T7_T9_mT8_P12ihipStream_tbDpT10_ENKUlT_T0_E_clISt17integral_constantIbLb1EES1C_EEDaS17_S18_EUlS17_E_NS1_11comp_targetILNS1_3genE2ELNS1_11target_archE906ELNS1_3gpuE6ELNS1_3repE0EEENS1_30default_config_static_selectorELNS0_4arch9wavefront6targetE1EEEvT1_.has_recursion, 0
	.set _ZN7rocprim17ROCPRIM_400000_NS6detail17trampoline_kernelINS0_14default_configENS1_25partition_config_selectorILNS1_17partition_subalgoE8ElNS0_10empty_typeEbEEZZNS1_14partition_implILS5_8ELb0ES3_jPlPS6_PKS6_NS0_5tupleIJS9_S6_EEENSD_IJSA_SA_EEENS0_18inequality_wrapperIZN2at6native12_GLOBAL__N_124unique_dim_cuda_templateIbEESt5tupleIJNSH_6TensorESM_SM_EERKSM_lbbbEUlllE0_EEPmJS6_EEE10hipError_tPvRmT3_T4_T5_T6_T7_T9_mT8_P12ihipStream_tbDpT10_ENKUlT_T0_E_clISt17integral_constantIbLb1EES1C_EEDaS17_S18_EUlS17_E_NS1_11comp_targetILNS1_3genE2ELNS1_11target_archE906ELNS1_3gpuE6ELNS1_3repE0EEENS1_30default_config_static_selectorELNS0_4arch9wavefront6targetE1EEEvT1_.has_indirect_call, 0
	.section	.AMDGPU.csdata,"",@progbits
; Kernel info:
; codeLenInByte = 0
; TotalNumSgprs: 6
; NumVgprs: 0
; NumAgprs: 0
; TotalNumVgprs: 0
; ScratchSize: 0
; MemoryBound: 0
; FloatMode: 240
; IeeeMode: 1
; LDSByteSize: 0 bytes/workgroup (compile time only)
; SGPRBlocks: 0
; VGPRBlocks: 0
; NumSGPRsForWavesPerEU: 6
; NumVGPRsForWavesPerEU: 1
; AccumOffset: 4
; Occupancy: 8
; WaveLimiterHint : 0
; COMPUTE_PGM_RSRC2:SCRATCH_EN: 0
; COMPUTE_PGM_RSRC2:USER_SGPR: 2
; COMPUTE_PGM_RSRC2:TRAP_HANDLER: 0
; COMPUTE_PGM_RSRC2:TGID_X_EN: 1
; COMPUTE_PGM_RSRC2:TGID_Y_EN: 0
; COMPUTE_PGM_RSRC2:TGID_Z_EN: 0
; COMPUTE_PGM_RSRC2:TIDIG_COMP_CNT: 0
; COMPUTE_PGM_RSRC3_GFX90A:ACCUM_OFFSET: 0
; COMPUTE_PGM_RSRC3_GFX90A:TG_SPLIT: 0
	.section	.text._ZN7rocprim17ROCPRIM_400000_NS6detail17trampoline_kernelINS0_14default_configENS1_25partition_config_selectorILNS1_17partition_subalgoE8ElNS0_10empty_typeEbEEZZNS1_14partition_implILS5_8ELb0ES3_jPlPS6_PKS6_NS0_5tupleIJS9_S6_EEENSD_IJSA_SA_EEENS0_18inequality_wrapperIZN2at6native12_GLOBAL__N_124unique_dim_cuda_templateIbEESt5tupleIJNSH_6TensorESM_SM_EERKSM_lbbbEUlllE0_EEPmJS6_EEE10hipError_tPvRmT3_T4_T5_T6_T7_T9_mT8_P12ihipStream_tbDpT10_ENKUlT_T0_E_clISt17integral_constantIbLb1EES1C_EEDaS17_S18_EUlS17_E_NS1_11comp_targetILNS1_3genE10ELNS1_11target_archE1200ELNS1_3gpuE4ELNS1_3repE0EEENS1_30default_config_static_selectorELNS0_4arch9wavefront6targetE1EEEvT1_,"axG",@progbits,_ZN7rocprim17ROCPRIM_400000_NS6detail17trampoline_kernelINS0_14default_configENS1_25partition_config_selectorILNS1_17partition_subalgoE8ElNS0_10empty_typeEbEEZZNS1_14partition_implILS5_8ELb0ES3_jPlPS6_PKS6_NS0_5tupleIJS9_S6_EEENSD_IJSA_SA_EEENS0_18inequality_wrapperIZN2at6native12_GLOBAL__N_124unique_dim_cuda_templateIbEESt5tupleIJNSH_6TensorESM_SM_EERKSM_lbbbEUlllE0_EEPmJS6_EEE10hipError_tPvRmT3_T4_T5_T6_T7_T9_mT8_P12ihipStream_tbDpT10_ENKUlT_T0_E_clISt17integral_constantIbLb1EES1C_EEDaS17_S18_EUlS17_E_NS1_11comp_targetILNS1_3genE10ELNS1_11target_archE1200ELNS1_3gpuE4ELNS1_3repE0EEENS1_30default_config_static_selectorELNS0_4arch9wavefront6targetE1EEEvT1_,comdat
	.globl	_ZN7rocprim17ROCPRIM_400000_NS6detail17trampoline_kernelINS0_14default_configENS1_25partition_config_selectorILNS1_17partition_subalgoE8ElNS0_10empty_typeEbEEZZNS1_14partition_implILS5_8ELb0ES3_jPlPS6_PKS6_NS0_5tupleIJS9_S6_EEENSD_IJSA_SA_EEENS0_18inequality_wrapperIZN2at6native12_GLOBAL__N_124unique_dim_cuda_templateIbEESt5tupleIJNSH_6TensorESM_SM_EERKSM_lbbbEUlllE0_EEPmJS6_EEE10hipError_tPvRmT3_T4_T5_T6_T7_T9_mT8_P12ihipStream_tbDpT10_ENKUlT_T0_E_clISt17integral_constantIbLb1EES1C_EEDaS17_S18_EUlS17_E_NS1_11comp_targetILNS1_3genE10ELNS1_11target_archE1200ELNS1_3gpuE4ELNS1_3repE0EEENS1_30default_config_static_selectorELNS0_4arch9wavefront6targetE1EEEvT1_ ; -- Begin function _ZN7rocprim17ROCPRIM_400000_NS6detail17trampoline_kernelINS0_14default_configENS1_25partition_config_selectorILNS1_17partition_subalgoE8ElNS0_10empty_typeEbEEZZNS1_14partition_implILS5_8ELb0ES3_jPlPS6_PKS6_NS0_5tupleIJS9_S6_EEENSD_IJSA_SA_EEENS0_18inequality_wrapperIZN2at6native12_GLOBAL__N_124unique_dim_cuda_templateIbEESt5tupleIJNSH_6TensorESM_SM_EERKSM_lbbbEUlllE0_EEPmJS6_EEE10hipError_tPvRmT3_T4_T5_T6_T7_T9_mT8_P12ihipStream_tbDpT10_ENKUlT_T0_E_clISt17integral_constantIbLb1EES1C_EEDaS17_S18_EUlS17_E_NS1_11comp_targetILNS1_3genE10ELNS1_11target_archE1200ELNS1_3gpuE4ELNS1_3repE0EEENS1_30default_config_static_selectorELNS0_4arch9wavefront6targetE1EEEvT1_
	.p2align	8
	.type	_ZN7rocprim17ROCPRIM_400000_NS6detail17trampoline_kernelINS0_14default_configENS1_25partition_config_selectorILNS1_17partition_subalgoE8ElNS0_10empty_typeEbEEZZNS1_14partition_implILS5_8ELb0ES3_jPlPS6_PKS6_NS0_5tupleIJS9_S6_EEENSD_IJSA_SA_EEENS0_18inequality_wrapperIZN2at6native12_GLOBAL__N_124unique_dim_cuda_templateIbEESt5tupleIJNSH_6TensorESM_SM_EERKSM_lbbbEUlllE0_EEPmJS6_EEE10hipError_tPvRmT3_T4_T5_T6_T7_T9_mT8_P12ihipStream_tbDpT10_ENKUlT_T0_E_clISt17integral_constantIbLb1EES1C_EEDaS17_S18_EUlS17_E_NS1_11comp_targetILNS1_3genE10ELNS1_11target_archE1200ELNS1_3gpuE4ELNS1_3repE0EEENS1_30default_config_static_selectorELNS0_4arch9wavefront6targetE1EEEvT1_,@function
_ZN7rocprim17ROCPRIM_400000_NS6detail17trampoline_kernelINS0_14default_configENS1_25partition_config_selectorILNS1_17partition_subalgoE8ElNS0_10empty_typeEbEEZZNS1_14partition_implILS5_8ELb0ES3_jPlPS6_PKS6_NS0_5tupleIJS9_S6_EEENSD_IJSA_SA_EEENS0_18inequality_wrapperIZN2at6native12_GLOBAL__N_124unique_dim_cuda_templateIbEESt5tupleIJNSH_6TensorESM_SM_EERKSM_lbbbEUlllE0_EEPmJS6_EEE10hipError_tPvRmT3_T4_T5_T6_T7_T9_mT8_P12ihipStream_tbDpT10_ENKUlT_T0_E_clISt17integral_constantIbLb1EES1C_EEDaS17_S18_EUlS17_E_NS1_11comp_targetILNS1_3genE10ELNS1_11target_archE1200ELNS1_3gpuE4ELNS1_3repE0EEENS1_30default_config_static_selectorELNS0_4arch9wavefront6targetE1EEEvT1_: ; @_ZN7rocprim17ROCPRIM_400000_NS6detail17trampoline_kernelINS0_14default_configENS1_25partition_config_selectorILNS1_17partition_subalgoE8ElNS0_10empty_typeEbEEZZNS1_14partition_implILS5_8ELb0ES3_jPlPS6_PKS6_NS0_5tupleIJS9_S6_EEENSD_IJSA_SA_EEENS0_18inequality_wrapperIZN2at6native12_GLOBAL__N_124unique_dim_cuda_templateIbEESt5tupleIJNSH_6TensorESM_SM_EERKSM_lbbbEUlllE0_EEPmJS6_EEE10hipError_tPvRmT3_T4_T5_T6_T7_T9_mT8_P12ihipStream_tbDpT10_ENKUlT_T0_E_clISt17integral_constantIbLb1EES1C_EEDaS17_S18_EUlS17_E_NS1_11comp_targetILNS1_3genE10ELNS1_11target_archE1200ELNS1_3gpuE4ELNS1_3repE0EEENS1_30default_config_static_selectorELNS0_4arch9wavefront6targetE1EEEvT1_
; %bb.0:
	.section	.rodata,"a",@progbits
	.p2align	6, 0x0
	.amdhsa_kernel _ZN7rocprim17ROCPRIM_400000_NS6detail17trampoline_kernelINS0_14default_configENS1_25partition_config_selectorILNS1_17partition_subalgoE8ElNS0_10empty_typeEbEEZZNS1_14partition_implILS5_8ELb0ES3_jPlPS6_PKS6_NS0_5tupleIJS9_S6_EEENSD_IJSA_SA_EEENS0_18inequality_wrapperIZN2at6native12_GLOBAL__N_124unique_dim_cuda_templateIbEESt5tupleIJNSH_6TensorESM_SM_EERKSM_lbbbEUlllE0_EEPmJS6_EEE10hipError_tPvRmT3_T4_T5_T6_T7_T9_mT8_P12ihipStream_tbDpT10_ENKUlT_T0_E_clISt17integral_constantIbLb1EES1C_EEDaS17_S18_EUlS17_E_NS1_11comp_targetILNS1_3genE10ELNS1_11target_archE1200ELNS1_3gpuE4ELNS1_3repE0EEENS1_30default_config_static_selectorELNS0_4arch9wavefront6targetE1EEEvT1_
		.amdhsa_group_segment_fixed_size 0
		.amdhsa_private_segment_fixed_size 0
		.amdhsa_kernarg_size 136
		.amdhsa_user_sgpr_count 2
		.amdhsa_user_sgpr_dispatch_ptr 0
		.amdhsa_user_sgpr_queue_ptr 0
		.amdhsa_user_sgpr_kernarg_segment_ptr 1
		.amdhsa_user_sgpr_dispatch_id 0
		.amdhsa_user_sgpr_kernarg_preload_length 0
		.amdhsa_user_sgpr_kernarg_preload_offset 0
		.amdhsa_user_sgpr_private_segment_size 0
		.amdhsa_uses_dynamic_stack 0
		.amdhsa_enable_private_segment 0
		.amdhsa_system_sgpr_workgroup_id_x 1
		.amdhsa_system_sgpr_workgroup_id_y 0
		.amdhsa_system_sgpr_workgroup_id_z 0
		.amdhsa_system_sgpr_workgroup_info 0
		.amdhsa_system_vgpr_workitem_id 0
		.amdhsa_next_free_vgpr 1
		.amdhsa_next_free_sgpr 0
		.amdhsa_accum_offset 4
		.amdhsa_reserve_vcc 0
		.amdhsa_float_round_mode_32 0
		.amdhsa_float_round_mode_16_64 0
		.amdhsa_float_denorm_mode_32 3
		.amdhsa_float_denorm_mode_16_64 3
		.amdhsa_dx10_clamp 1
		.amdhsa_ieee_mode 1
		.amdhsa_fp16_overflow 0
		.amdhsa_tg_split 0
		.amdhsa_exception_fp_ieee_invalid_op 0
		.amdhsa_exception_fp_denorm_src 0
		.amdhsa_exception_fp_ieee_div_zero 0
		.amdhsa_exception_fp_ieee_overflow 0
		.amdhsa_exception_fp_ieee_underflow 0
		.amdhsa_exception_fp_ieee_inexact 0
		.amdhsa_exception_int_div_zero 0
	.end_amdhsa_kernel
	.section	.text._ZN7rocprim17ROCPRIM_400000_NS6detail17trampoline_kernelINS0_14default_configENS1_25partition_config_selectorILNS1_17partition_subalgoE8ElNS0_10empty_typeEbEEZZNS1_14partition_implILS5_8ELb0ES3_jPlPS6_PKS6_NS0_5tupleIJS9_S6_EEENSD_IJSA_SA_EEENS0_18inequality_wrapperIZN2at6native12_GLOBAL__N_124unique_dim_cuda_templateIbEESt5tupleIJNSH_6TensorESM_SM_EERKSM_lbbbEUlllE0_EEPmJS6_EEE10hipError_tPvRmT3_T4_T5_T6_T7_T9_mT8_P12ihipStream_tbDpT10_ENKUlT_T0_E_clISt17integral_constantIbLb1EES1C_EEDaS17_S18_EUlS17_E_NS1_11comp_targetILNS1_3genE10ELNS1_11target_archE1200ELNS1_3gpuE4ELNS1_3repE0EEENS1_30default_config_static_selectorELNS0_4arch9wavefront6targetE1EEEvT1_,"axG",@progbits,_ZN7rocprim17ROCPRIM_400000_NS6detail17trampoline_kernelINS0_14default_configENS1_25partition_config_selectorILNS1_17partition_subalgoE8ElNS0_10empty_typeEbEEZZNS1_14partition_implILS5_8ELb0ES3_jPlPS6_PKS6_NS0_5tupleIJS9_S6_EEENSD_IJSA_SA_EEENS0_18inequality_wrapperIZN2at6native12_GLOBAL__N_124unique_dim_cuda_templateIbEESt5tupleIJNSH_6TensorESM_SM_EERKSM_lbbbEUlllE0_EEPmJS6_EEE10hipError_tPvRmT3_T4_T5_T6_T7_T9_mT8_P12ihipStream_tbDpT10_ENKUlT_T0_E_clISt17integral_constantIbLb1EES1C_EEDaS17_S18_EUlS17_E_NS1_11comp_targetILNS1_3genE10ELNS1_11target_archE1200ELNS1_3gpuE4ELNS1_3repE0EEENS1_30default_config_static_selectorELNS0_4arch9wavefront6targetE1EEEvT1_,comdat
.Lfunc_end1064:
	.size	_ZN7rocprim17ROCPRIM_400000_NS6detail17trampoline_kernelINS0_14default_configENS1_25partition_config_selectorILNS1_17partition_subalgoE8ElNS0_10empty_typeEbEEZZNS1_14partition_implILS5_8ELb0ES3_jPlPS6_PKS6_NS0_5tupleIJS9_S6_EEENSD_IJSA_SA_EEENS0_18inequality_wrapperIZN2at6native12_GLOBAL__N_124unique_dim_cuda_templateIbEESt5tupleIJNSH_6TensorESM_SM_EERKSM_lbbbEUlllE0_EEPmJS6_EEE10hipError_tPvRmT3_T4_T5_T6_T7_T9_mT8_P12ihipStream_tbDpT10_ENKUlT_T0_E_clISt17integral_constantIbLb1EES1C_EEDaS17_S18_EUlS17_E_NS1_11comp_targetILNS1_3genE10ELNS1_11target_archE1200ELNS1_3gpuE4ELNS1_3repE0EEENS1_30default_config_static_selectorELNS0_4arch9wavefront6targetE1EEEvT1_, .Lfunc_end1064-_ZN7rocprim17ROCPRIM_400000_NS6detail17trampoline_kernelINS0_14default_configENS1_25partition_config_selectorILNS1_17partition_subalgoE8ElNS0_10empty_typeEbEEZZNS1_14partition_implILS5_8ELb0ES3_jPlPS6_PKS6_NS0_5tupleIJS9_S6_EEENSD_IJSA_SA_EEENS0_18inequality_wrapperIZN2at6native12_GLOBAL__N_124unique_dim_cuda_templateIbEESt5tupleIJNSH_6TensorESM_SM_EERKSM_lbbbEUlllE0_EEPmJS6_EEE10hipError_tPvRmT3_T4_T5_T6_T7_T9_mT8_P12ihipStream_tbDpT10_ENKUlT_T0_E_clISt17integral_constantIbLb1EES1C_EEDaS17_S18_EUlS17_E_NS1_11comp_targetILNS1_3genE10ELNS1_11target_archE1200ELNS1_3gpuE4ELNS1_3repE0EEENS1_30default_config_static_selectorELNS0_4arch9wavefront6targetE1EEEvT1_
                                        ; -- End function
	.set _ZN7rocprim17ROCPRIM_400000_NS6detail17trampoline_kernelINS0_14default_configENS1_25partition_config_selectorILNS1_17partition_subalgoE8ElNS0_10empty_typeEbEEZZNS1_14partition_implILS5_8ELb0ES3_jPlPS6_PKS6_NS0_5tupleIJS9_S6_EEENSD_IJSA_SA_EEENS0_18inequality_wrapperIZN2at6native12_GLOBAL__N_124unique_dim_cuda_templateIbEESt5tupleIJNSH_6TensorESM_SM_EERKSM_lbbbEUlllE0_EEPmJS6_EEE10hipError_tPvRmT3_T4_T5_T6_T7_T9_mT8_P12ihipStream_tbDpT10_ENKUlT_T0_E_clISt17integral_constantIbLb1EES1C_EEDaS17_S18_EUlS17_E_NS1_11comp_targetILNS1_3genE10ELNS1_11target_archE1200ELNS1_3gpuE4ELNS1_3repE0EEENS1_30default_config_static_selectorELNS0_4arch9wavefront6targetE1EEEvT1_.num_vgpr, 0
	.set _ZN7rocprim17ROCPRIM_400000_NS6detail17trampoline_kernelINS0_14default_configENS1_25partition_config_selectorILNS1_17partition_subalgoE8ElNS0_10empty_typeEbEEZZNS1_14partition_implILS5_8ELb0ES3_jPlPS6_PKS6_NS0_5tupleIJS9_S6_EEENSD_IJSA_SA_EEENS0_18inequality_wrapperIZN2at6native12_GLOBAL__N_124unique_dim_cuda_templateIbEESt5tupleIJNSH_6TensorESM_SM_EERKSM_lbbbEUlllE0_EEPmJS6_EEE10hipError_tPvRmT3_T4_T5_T6_T7_T9_mT8_P12ihipStream_tbDpT10_ENKUlT_T0_E_clISt17integral_constantIbLb1EES1C_EEDaS17_S18_EUlS17_E_NS1_11comp_targetILNS1_3genE10ELNS1_11target_archE1200ELNS1_3gpuE4ELNS1_3repE0EEENS1_30default_config_static_selectorELNS0_4arch9wavefront6targetE1EEEvT1_.num_agpr, 0
	.set _ZN7rocprim17ROCPRIM_400000_NS6detail17trampoline_kernelINS0_14default_configENS1_25partition_config_selectorILNS1_17partition_subalgoE8ElNS0_10empty_typeEbEEZZNS1_14partition_implILS5_8ELb0ES3_jPlPS6_PKS6_NS0_5tupleIJS9_S6_EEENSD_IJSA_SA_EEENS0_18inequality_wrapperIZN2at6native12_GLOBAL__N_124unique_dim_cuda_templateIbEESt5tupleIJNSH_6TensorESM_SM_EERKSM_lbbbEUlllE0_EEPmJS6_EEE10hipError_tPvRmT3_T4_T5_T6_T7_T9_mT8_P12ihipStream_tbDpT10_ENKUlT_T0_E_clISt17integral_constantIbLb1EES1C_EEDaS17_S18_EUlS17_E_NS1_11comp_targetILNS1_3genE10ELNS1_11target_archE1200ELNS1_3gpuE4ELNS1_3repE0EEENS1_30default_config_static_selectorELNS0_4arch9wavefront6targetE1EEEvT1_.numbered_sgpr, 0
	.set _ZN7rocprim17ROCPRIM_400000_NS6detail17trampoline_kernelINS0_14default_configENS1_25partition_config_selectorILNS1_17partition_subalgoE8ElNS0_10empty_typeEbEEZZNS1_14partition_implILS5_8ELb0ES3_jPlPS6_PKS6_NS0_5tupleIJS9_S6_EEENSD_IJSA_SA_EEENS0_18inequality_wrapperIZN2at6native12_GLOBAL__N_124unique_dim_cuda_templateIbEESt5tupleIJNSH_6TensorESM_SM_EERKSM_lbbbEUlllE0_EEPmJS6_EEE10hipError_tPvRmT3_T4_T5_T6_T7_T9_mT8_P12ihipStream_tbDpT10_ENKUlT_T0_E_clISt17integral_constantIbLb1EES1C_EEDaS17_S18_EUlS17_E_NS1_11comp_targetILNS1_3genE10ELNS1_11target_archE1200ELNS1_3gpuE4ELNS1_3repE0EEENS1_30default_config_static_selectorELNS0_4arch9wavefront6targetE1EEEvT1_.num_named_barrier, 0
	.set _ZN7rocprim17ROCPRIM_400000_NS6detail17trampoline_kernelINS0_14default_configENS1_25partition_config_selectorILNS1_17partition_subalgoE8ElNS0_10empty_typeEbEEZZNS1_14partition_implILS5_8ELb0ES3_jPlPS6_PKS6_NS0_5tupleIJS9_S6_EEENSD_IJSA_SA_EEENS0_18inequality_wrapperIZN2at6native12_GLOBAL__N_124unique_dim_cuda_templateIbEESt5tupleIJNSH_6TensorESM_SM_EERKSM_lbbbEUlllE0_EEPmJS6_EEE10hipError_tPvRmT3_T4_T5_T6_T7_T9_mT8_P12ihipStream_tbDpT10_ENKUlT_T0_E_clISt17integral_constantIbLb1EES1C_EEDaS17_S18_EUlS17_E_NS1_11comp_targetILNS1_3genE10ELNS1_11target_archE1200ELNS1_3gpuE4ELNS1_3repE0EEENS1_30default_config_static_selectorELNS0_4arch9wavefront6targetE1EEEvT1_.private_seg_size, 0
	.set _ZN7rocprim17ROCPRIM_400000_NS6detail17trampoline_kernelINS0_14default_configENS1_25partition_config_selectorILNS1_17partition_subalgoE8ElNS0_10empty_typeEbEEZZNS1_14partition_implILS5_8ELb0ES3_jPlPS6_PKS6_NS0_5tupleIJS9_S6_EEENSD_IJSA_SA_EEENS0_18inequality_wrapperIZN2at6native12_GLOBAL__N_124unique_dim_cuda_templateIbEESt5tupleIJNSH_6TensorESM_SM_EERKSM_lbbbEUlllE0_EEPmJS6_EEE10hipError_tPvRmT3_T4_T5_T6_T7_T9_mT8_P12ihipStream_tbDpT10_ENKUlT_T0_E_clISt17integral_constantIbLb1EES1C_EEDaS17_S18_EUlS17_E_NS1_11comp_targetILNS1_3genE10ELNS1_11target_archE1200ELNS1_3gpuE4ELNS1_3repE0EEENS1_30default_config_static_selectorELNS0_4arch9wavefront6targetE1EEEvT1_.uses_vcc, 0
	.set _ZN7rocprim17ROCPRIM_400000_NS6detail17trampoline_kernelINS0_14default_configENS1_25partition_config_selectorILNS1_17partition_subalgoE8ElNS0_10empty_typeEbEEZZNS1_14partition_implILS5_8ELb0ES3_jPlPS6_PKS6_NS0_5tupleIJS9_S6_EEENSD_IJSA_SA_EEENS0_18inequality_wrapperIZN2at6native12_GLOBAL__N_124unique_dim_cuda_templateIbEESt5tupleIJNSH_6TensorESM_SM_EERKSM_lbbbEUlllE0_EEPmJS6_EEE10hipError_tPvRmT3_T4_T5_T6_T7_T9_mT8_P12ihipStream_tbDpT10_ENKUlT_T0_E_clISt17integral_constantIbLb1EES1C_EEDaS17_S18_EUlS17_E_NS1_11comp_targetILNS1_3genE10ELNS1_11target_archE1200ELNS1_3gpuE4ELNS1_3repE0EEENS1_30default_config_static_selectorELNS0_4arch9wavefront6targetE1EEEvT1_.uses_flat_scratch, 0
	.set _ZN7rocprim17ROCPRIM_400000_NS6detail17trampoline_kernelINS0_14default_configENS1_25partition_config_selectorILNS1_17partition_subalgoE8ElNS0_10empty_typeEbEEZZNS1_14partition_implILS5_8ELb0ES3_jPlPS6_PKS6_NS0_5tupleIJS9_S6_EEENSD_IJSA_SA_EEENS0_18inequality_wrapperIZN2at6native12_GLOBAL__N_124unique_dim_cuda_templateIbEESt5tupleIJNSH_6TensorESM_SM_EERKSM_lbbbEUlllE0_EEPmJS6_EEE10hipError_tPvRmT3_T4_T5_T6_T7_T9_mT8_P12ihipStream_tbDpT10_ENKUlT_T0_E_clISt17integral_constantIbLb1EES1C_EEDaS17_S18_EUlS17_E_NS1_11comp_targetILNS1_3genE10ELNS1_11target_archE1200ELNS1_3gpuE4ELNS1_3repE0EEENS1_30default_config_static_selectorELNS0_4arch9wavefront6targetE1EEEvT1_.has_dyn_sized_stack, 0
	.set _ZN7rocprim17ROCPRIM_400000_NS6detail17trampoline_kernelINS0_14default_configENS1_25partition_config_selectorILNS1_17partition_subalgoE8ElNS0_10empty_typeEbEEZZNS1_14partition_implILS5_8ELb0ES3_jPlPS6_PKS6_NS0_5tupleIJS9_S6_EEENSD_IJSA_SA_EEENS0_18inequality_wrapperIZN2at6native12_GLOBAL__N_124unique_dim_cuda_templateIbEESt5tupleIJNSH_6TensorESM_SM_EERKSM_lbbbEUlllE0_EEPmJS6_EEE10hipError_tPvRmT3_T4_T5_T6_T7_T9_mT8_P12ihipStream_tbDpT10_ENKUlT_T0_E_clISt17integral_constantIbLb1EES1C_EEDaS17_S18_EUlS17_E_NS1_11comp_targetILNS1_3genE10ELNS1_11target_archE1200ELNS1_3gpuE4ELNS1_3repE0EEENS1_30default_config_static_selectorELNS0_4arch9wavefront6targetE1EEEvT1_.has_recursion, 0
	.set _ZN7rocprim17ROCPRIM_400000_NS6detail17trampoline_kernelINS0_14default_configENS1_25partition_config_selectorILNS1_17partition_subalgoE8ElNS0_10empty_typeEbEEZZNS1_14partition_implILS5_8ELb0ES3_jPlPS6_PKS6_NS0_5tupleIJS9_S6_EEENSD_IJSA_SA_EEENS0_18inequality_wrapperIZN2at6native12_GLOBAL__N_124unique_dim_cuda_templateIbEESt5tupleIJNSH_6TensorESM_SM_EERKSM_lbbbEUlllE0_EEPmJS6_EEE10hipError_tPvRmT3_T4_T5_T6_T7_T9_mT8_P12ihipStream_tbDpT10_ENKUlT_T0_E_clISt17integral_constantIbLb1EES1C_EEDaS17_S18_EUlS17_E_NS1_11comp_targetILNS1_3genE10ELNS1_11target_archE1200ELNS1_3gpuE4ELNS1_3repE0EEENS1_30default_config_static_selectorELNS0_4arch9wavefront6targetE1EEEvT1_.has_indirect_call, 0
	.section	.AMDGPU.csdata,"",@progbits
; Kernel info:
; codeLenInByte = 0
; TotalNumSgprs: 6
; NumVgprs: 0
; NumAgprs: 0
; TotalNumVgprs: 0
; ScratchSize: 0
; MemoryBound: 0
; FloatMode: 240
; IeeeMode: 1
; LDSByteSize: 0 bytes/workgroup (compile time only)
; SGPRBlocks: 0
; VGPRBlocks: 0
; NumSGPRsForWavesPerEU: 6
; NumVGPRsForWavesPerEU: 1
; AccumOffset: 4
; Occupancy: 8
; WaveLimiterHint : 0
; COMPUTE_PGM_RSRC2:SCRATCH_EN: 0
; COMPUTE_PGM_RSRC2:USER_SGPR: 2
; COMPUTE_PGM_RSRC2:TRAP_HANDLER: 0
; COMPUTE_PGM_RSRC2:TGID_X_EN: 1
; COMPUTE_PGM_RSRC2:TGID_Y_EN: 0
; COMPUTE_PGM_RSRC2:TGID_Z_EN: 0
; COMPUTE_PGM_RSRC2:TIDIG_COMP_CNT: 0
; COMPUTE_PGM_RSRC3_GFX90A:ACCUM_OFFSET: 0
; COMPUTE_PGM_RSRC3_GFX90A:TG_SPLIT: 0
	.section	.text._ZN7rocprim17ROCPRIM_400000_NS6detail17trampoline_kernelINS0_14default_configENS1_25partition_config_selectorILNS1_17partition_subalgoE8ElNS0_10empty_typeEbEEZZNS1_14partition_implILS5_8ELb0ES3_jPlPS6_PKS6_NS0_5tupleIJS9_S6_EEENSD_IJSA_SA_EEENS0_18inequality_wrapperIZN2at6native12_GLOBAL__N_124unique_dim_cuda_templateIbEESt5tupleIJNSH_6TensorESM_SM_EERKSM_lbbbEUlllE0_EEPmJS6_EEE10hipError_tPvRmT3_T4_T5_T6_T7_T9_mT8_P12ihipStream_tbDpT10_ENKUlT_T0_E_clISt17integral_constantIbLb1EES1C_EEDaS17_S18_EUlS17_E_NS1_11comp_targetILNS1_3genE9ELNS1_11target_archE1100ELNS1_3gpuE3ELNS1_3repE0EEENS1_30default_config_static_selectorELNS0_4arch9wavefront6targetE1EEEvT1_,"axG",@progbits,_ZN7rocprim17ROCPRIM_400000_NS6detail17trampoline_kernelINS0_14default_configENS1_25partition_config_selectorILNS1_17partition_subalgoE8ElNS0_10empty_typeEbEEZZNS1_14partition_implILS5_8ELb0ES3_jPlPS6_PKS6_NS0_5tupleIJS9_S6_EEENSD_IJSA_SA_EEENS0_18inequality_wrapperIZN2at6native12_GLOBAL__N_124unique_dim_cuda_templateIbEESt5tupleIJNSH_6TensorESM_SM_EERKSM_lbbbEUlllE0_EEPmJS6_EEE10hipError_tPvRmT3_T4_T5_T6_T7_T9_mT8_P12ihipStream_tbDpT10_ENKUlT_T0_E_clISt17integral_constantIbLb1EES1C_EEDaS17_S18_EUlS17_E_NS1_11comp_targetILNS1_3genE9ELNS1_11target_archE1100ELNS1_3gpuE3ELNS1_3repE0EEENS1_30default_config_static_selectorELNS0_4arch9wavefront6targetE1EEEvT1_,comdat
	.globl	_ZN7rocprim17ROCPRIM_400000_NS6detail17trampoline_kernelINS0_14default_configENS1_25partition_config_selectorILNS1_17partition_subalgoE8ElNS0_10empty_typeEbEEZZNS1_14partition_implILS5_8ELb0ES3_jPlPS6_PKS6_NS0_5tupleIJS9_S6_EEENSD_IJSA_SA_EEENS0_18inequality_wrapperIZN2at6native12_GLOBAL__N_124unique_dim_cuda_templateIbEESt5tupleIJNSH_6TensorESM_SM_EERKSM_lbbbEUlllE0_EEPmJS6_EEE10hipError_tPvRmT3_T4_T5_T6_T7_T9_mT8_P12ihipStream_tbDpT10_ENKUlT_T0_E_clISt17integral_constantIbLb1EES1C_EEDaS17_S18_EUlS17_E_NS1_11comp_targetILNS1_3genE9ELNS1_11target_archE1100ELNS1_3gpuE3ELNS1_3repE0EEENS1_30default_config_static_selectorELNS0_4arch9wavefront6targetE1EEEvT1_ ; -- Begin function _ZN7rocprim17ROCPRIM_400000_NS6detail17trampoline_kernelINS0_14default_configENS1_25partition_config_selectorILNS1_17partition_subalgoE8ElNS0_10empty_typeEbEEZZNS1_14partition_implILS5_8ELb0ES3_jPlPS6_PKS6_NS0_5tupleIJS9_S6_EEENSD_IJSA_SA_EEENS0_18inequality_wrapperIZN2at6native12_GLOBAL__N_124unique_dim_cuda_templateIbEESt5tupleIJNSH_6TensorESM_SM_EERKSM_lbbbEUlllE0_EEPmJS6_EEE10hipError_tPvRmT3_T4_T5_T6_T7_T9_mT8_P12ihipStream_tbDpT10_ENKUlT_T0_E_clISt17integral_constantIbLb1EES1C_EEDaS17_S18_EUlS17_E_NS1_11comp_targetILNS1_3genE9ELNS1_11target_archE1100ELNS1_3gpuE3ELNS1_3repE0EEENS1_30default_config_static_selectorELNS0_4arch9wavefront6targetE1EEEvT1_
	.p2align	8
	.type	_ZN7rocprim17ROCPRIM_400000_NS6detail17trampoline_kernelINS0_14default_configENS1_25partition_config_selectorILNS1_17partition_subalgoE8ElNS0_10empty_typeEbEEZZNS1_14partition_implILS5_8ELb0ES3_jPlPS6_PKS6_NS0_5tupleIJS9_S6_EEENSD_IJSA_SA_EEENS0_18inequality_wrapperIZN2at6native12_GLOBAL__N_124unique_dim_cuda_templateIbEESt5tupleIJNSH_6TensorESM_SM_EERKSM_lbbbEUlllE0_EEPmJS6_EEE10hipError_tPvRmT3_T4_T5_T6_T7_T9_mT8_P12ihipStream_tbDpT10_ENKUlT_T0_E_clISt17integral_constantIbLb1EES1C_EEDaS17_S18_EUlS17_E_NS1_11comp_targetILNS1_3genE9ELNS1_11target_archE1100ELNS1_3gpuE3ELNS1_3repE0EEENS1_30default_config_static_selectorELNS0_4arch9wavefront6targetE1EEEvT1_,@function
_ZN7rocprim17ROCPRIM_400000_NS6detail17trampoline_kernelINS0_14default_configENS1_25partition_config_selectorILNS1_17partition_subalgoE8ElNS0_10empty_typeEbEEZZNS1_14partition_implILS5_8ELb0ES3_jPlPS6_PKS6_NS0_5tupleIJS9_S6_EEENSD_IJSA_SA_EEENS0_18inequality_wrapperIZN2at6native12_GLOBAL__N_124unique_dim_cuda_templateIbEESt5tupleIJNSH_6TensorESM_SM_EERKSM_lbbbEUlllE0_EEPmJS6_EEE10hipError_tPvRmT3_T4_T5_T6_T7_T9_mT8_P12ihipStream_tbDpT10_ENKUlT_T0_E_clISt17integral_constantIbLb1EES1C_EEDaS17_S18_EUlS17_E_NS1_11comp_targetILNS1_3genE9ELNS1_11target_archE1100ELNS1_3gpuE3ELNS1_3repE0EEENS1_30default_config_static_selectorELNS0_4arch9wavefront6targetE1EEEvT1_: ; @_ZN7rocprim17ROCPRIM_400000_NS6detail17trampoline_kernelINS0_14default_configENS1_25partition_config_selectorILNS1_17partition_subalgoE8ElNS0_10empty_typeEbEEZZNS1_14partition_implILS5_8ELb0ES3_jPlPS6_PKS6_NS0_5tupleIJS9_S6_EEENSD_IJSA_SA_EEENS0_18inequality_wrapperIZN2at6native12_GLOBAL__N_124unique_dim_cuda_templateIbEESt5tupleIJNSH_6TensorESM_SM_EERKSM_lbbbEUlllE0_EEPmJS6_EEE10hipError_tPvRmT3_T4_T5_T6_T7_T9_mT8_P12ihipStream_tbDpT10_ENKUlT_T0_E_clISt17integral_constantIbLb1EES1C_EEDaS17_S18_EUlS17_E_NS1_11comp_targetILNS1_3genE9ELNS1_11target_archE1100ELNS1_3gpuE3ELNS1_3repE0EEENS1_30default_config_static_selectorELNS0_4arch9wavefront6targetE1EEEvT1_
; %bb.0:
	.section	.rodata,"a",@progbits
	.p2align	6, 0x0
	.amdhsa_kernel _ZN7rocprim17ROCPRIM_400000_NS6detail17trampoline_kernelINS0_14default_configENS1_25partition_config_selectorILNS1_17partition_subalgoE8ElNS0_10empty_typeEbEEZZNS1_14partition_implILS5_8ELb0ES3_jPlPS6_PKS6_NS0_5tupleIJS9_S6_EEENSD_IJSA_SA_EEENS0_18inequality_wrapperIZN2at6native12_GLOBAL__N_124unique_dim_cuda_templateIbEESt5tupleIJNSH_6TensorESM_SM_EERKSM_lbbbEUlllE0_EEPmJS6_EEE10hipError_tPvRmT3_T4_T5_T6_T7_T9_mT8_P12ihipStream_tbDpT10_ENKUlT_T0_E_clISt17integral_constantIbLb1EES1C_EEDaS17_S18_EUlS17_E_NS1_11comp_targetILNS1_3genE9ELNS1_11target_archE1100ELNS1_3gpuE3ELNS1_3repE0EEENS1_30default_config_static_selectorELNS0_4arch9wavefront6targetE1EEEvT1_
		.amdhsa_group_segment_fixed_size 0
		.amdhsa_private_segment_fixed_size 0
		.amdhsa_kernarg_size 136
		.amdhsa_user_sgpr_count 2
		.amdhsa_user_sgpr_dispatch_ptr 0
		.amdhsa_user_sgpr_queue_ptr 0
		.amdhsa_user_sgpr_kernarg_segment_ptr 1
		.amdhsa_user_sgpr_dispatch_id 0
		.amdhsa_user_sgpr_kernarg_preload_length 0
		.amdhsa_user_sgpr_kernarg_preload_offset 0
		.amdhsa_user_sgpr_private_segment_size 0
		.amdhsa_uses_dynamic_stack 0
		.amdhsa_enable_private_segment 0
		.amdhsa_system_sgpr_workgroup_id_x 1
		.amdhsa_system_sgpr_workgroup_id_y 0
		.amdhsa_system_sgpr_workgroup_id_z 0
		.amdhsa_system_sgpr_workgroup_info 0
		.amdhsa_system_vgpr_workitem_id 0
		.amdhsa_next_free_vgpr 1
		.amdhsa_next_free_sgpr 0
		.amdhsa_accum_offset 4
		.amdhsa_reserve_vcc 0
		.amdhsa_float_round_mode_32 0
		.amdhsa_float_round_mode_16_64 0
		.amdhsa_float_denorm_mode_32 3
		.amdhsa_float_denorm_mode_16_64 3
		.amdhsa_dx10_clamp 1
		.amdhsa_ieee_mode 1
		.amdhsa_fp16_overflow 0
		.amdhsa_tg_split 0
		.amdhsa_exception_fp_ieee_invalid_op 0
		.amdhsa_exception_fp_denorm_src 0
		.amdhsa_exception_fp_ieee_div_zero 0
		.amdhsa_exception_fp_ieee_overflow 0
		.amdhsa_exception_fp_ieee_underflow 0
		.amdhsa_exception_fp_ieee_inexact 0
		.amdhsa_exception_int_div_zero 0
	.end_amdhsa_kernel
	.section	.text._ZN7rocprim17ROCPRIM_400000_NS6detail17trampoline_kernelINS0_14default_configENS1_25partition_config_selectorILNS1_17partition_subalgoE8ElNS0_10empty_typeEbEEZZNS1_14partition_implILS5_8ELb0ES3_jPlPS6_PKS6_NS0_5tupleIJS9_S6_EEENSD_IJSA_SA_EEENS0_18inequality_wrapperIZN2at6native12_GLOBAL__N_124unique_dim_cuda_templateIbEESt5tupleIJNSH_6TensorESM_SM_EERKSM_lbbbEUlllE0_EEPmJS6_EEE10hipError_tPvRmT3_T4_T5_T6_T7_T9_mT8_P12ihipStream_tbDpT10_ENKUlT_T0_E_clISt17integral_constantIbLb1EES1C_EEDaS17_S18_EUlS17_E_NS1_11comp_targetILNS1_3genE9ELNS1_11target_archE1100ELNS1_3gpuE3ELNS1_3repE0EEENS1_30default_config_static_selectorELNS0_4arch9wavefront6targetE1EEEvT1_,"axG",@progbits,_ZN7rocprim17ROCPRIM_400000_NS6detail17trampoline_kernelINS0_14default_configENS1_25partition_config_selectorILNS1_17partition_subalgoE8ElNS0_10empty_typeEbEEZZNS1_14partition_implILS5_8ELb0ES3_jPlPS6_PKS6_NS0_5tupleIJS9_S6_EEENSD_IJSA_SA_EEENS0_18inequality_wrapperIZN2at6native12_GLOBAL__N_124unique_dim_cuda_templateIbEESt5tupleIJNSH_6TensorESM_SM_EERKSM_lbbbEUlllE0_EEPmJS6_EEE10hipError_tPvRmT3_T4_T5_T6_T7_T9_mT8_P12ihipStream_tbDpT10_ENKUlT_T0_E_clISt17integral_constantIbLb1EES1C_EEDaS17_S18_EUlS17_E_NS1_11comp_targetILNS1_3genE9ELNS1_11target_archE1100ELNS1_3gpuE3ELNS1_3repE0EEENS1_30default_config_static_selectorELNS0_4arch9wavefront6targetE1EEEvT1_,comdat
.Lfunc_end1065:
	.size	_ZN7rocprim17ROCPRIM_400000_NS6detail17trampoline_kernelINS0_14default_configENS1_25partition_config_selectorILNS1_17partition_subalgoE8ElNS0_10empty_typeEbEEZZNS1_14partition_implILS5_8ELb0ES3_jPlPS6_PKS6_NS0_5tupleIJS9_S6_EEENSD_IJSA_SA_EEENS0_18inequality_wrapperIZN2at6native12_GLOBAL__N_124unique_dim_cuda_templateIbEESt5tupleIJNSH_6TensorESM_SM_EERKSM_lbbbEUlllE0_EEPmJS6_EEE10hipError_tPvRmT3_T4_T5_T6_T7_T9_mT8_P12ihipStream_tbDpT10_ENKUlT_T0_E_clISt17integral_constantIbLb1EES1C_EEDaS17_S18_EUlS17_E_NS1_11comp_targetILNS1_3genE9ELNS1_11target_archE1100ELNS1_3gpuE3ELNS1_3repE0EEENS1_30default_config_static_selectorELNS0_4arch9wavefront6targetE1EEEvT1_, .Lfunc_end1065-_ZN7rocprim17ROCPRIM_400000_NS6detail17trampoline_kernelINS0_14default_configENS1_25partition_config_selectorILNS1_17partition_subalgoE8ElNS0_10empty_typeEbEEZZNS1_14partition_implILS5_8ELb0ES3_jPlPS6_PKS6_NS0_5tupleIJS9_S6_EEENSD_IJSA_SA_EEENS0_18inequality_wrapperIZN2at6native12_GLOBAL__N_124unique_dim_cuda_templateIbEESt5tupleIJNSH_6TensorESM_SM_EERKSM_lbbbEUlllE0_EEPmJS6_EEE10hipError_tPvRmT3_T4_T5_T6_T7_T9_mT8_P12ihipStream_tbDpT10_ENKUlT_T0_E_clISt17integral_constantIbLb1EES1C_EEDaS17_S18_EUlS17_E_NS1_11comp_targetILNS1_3genE9ELNS1_11target_archE1100ELNS1_3gpuE3ELNS1_3repE0EEENS1_30default_config_static_selectorELNS0_4arch9wavefront6targetE1EEEvT1_
                                        ; -- End function
	.set _ZN7rocprim17ROCPRIM_400000_NS6detail17trampoline_kernelINS0_14default_configENS1_25partition_config_selectorILNS1_17partition_subalgoE8ElNS0_10empty_typeEbEEZZNS1_14partition_implILS5_8ELb0ES3_jPlPS6_PKS6_NS0_5tupleIJS9_S6_EEENSD_IJSA_SA_EEENS0_18inequality_wrapperIZN2at6native12_GLOBAL__N_124unique_dim_cuda_templateIbEESt5tupleIJNSH_6TensorESM_SM_EERKSM_lbbbEUlllE0_EEPmJS6_EEE10hipError_tPvRmT3_T4_T5_T6_T7_T9_mT8_P12ihipStream_tbDpT10_ENKUlT_T0_E_clISt17integral_constantIbLb1EES1C_EEDaS17_S18_EUlS17_E_NS1_11comp_targetILNS1_3genE9ELNS1_11target_archE1100ELNS1_3gpuE3ELNS1_3repE0EEENS1_30default_config_static_selectorELNS0_4arch9wavefront6targetE1EEEvT1_.num_vgpr, 0
	.set _ZN7rocprim17ROCPRIM_400000_NS6detail17trampoline_kernelINS0_14default_configENS1_25partition_config_selectorILNS1_17partition_subalgoE8ElNS0_10empty_typeEbEEZZNS1_14partition_implILS5_8ELb0ES3_jPlPS6_PKS6_NS0_5tupleIJS9_S6_EEENSD_IJSA_SA_EEENS0_18inequality_wrapperIZN2at6native12_GLOBAL__N_124unique_dim_cuda_templateIbEESt5tupleIJNSH_6TensorESM_SM_EERKSM_lbbbEUlllE0_EEPmJS6_EEE10hipError_tPvRmT3_T4_T5_T6_T7_T9_mT8_P12ihipStream_tbDpT10_ENKUlT_T0_E_clISt17integral_constantIbLb1EES1C_EEDaS17_S18_EUlS17_E_NS1_11comp_targetILNS1_3genE9ELNS1_11target_archE1100ELNS1_3gpuE3ELNS1_3repE0EEENS1_30default_config_static_selectorELNS0_4arch9wavefront6targetE1EEEvT1_.num_agpr, 0
	.set _ZN7rocprim17ROCPRIM_400000_NS6detail17trampoline_kernelINS0_14default_configENS1_25partition_config_selectorILNS1_17partition_subalgoE8ElNS0_10empty_typeEbEEZZNS1_14partition_implILS5_8ELb0ES3_jPlPS6_PKS6_NS0_5tupleIJS9_S6_EEENSD_IJSA_SA_EEENS0_18inequality_wrapperIZN2at6native12_GLOBAL__N_124unique_dim_cuda_templateIbEESt5tupleIJNSH_6TensorESM_SM_EERKSM_lbbbEUlllE0_EEPmJS6_EEE10hipError_tPvRmT3_T4_T5_T6_T7_T9_mT8_P12ihipStream_tbDpT10_ENKUlT_T0_E_clISt17integral_constantIbLb1EES1C_EEDaS17_S18_EUlS17_E_NS1_11comp_targetILNS1_3genE9ELNS1_11target_archE1100ELNS1_3gpuE3ELNS1_3repE0EEENS1_30default_config_static_selectorELNS0_4arch9wavefront6targetE1EEEvT1_.numbered_sgpr, 0
	.set _ZN7rocprim17ROCPRIM_400000_NS6detail17trampoline_kernelINS0_14default_configENS1_25partition_config_selectorILNS1_17partition_subalgoE8ElNS0_10empty_typeEbEEZZNS1_14partition_implILS5_8ELb0ES3_jPlPS6_PKS6_NS0_5tupleIJS9_S6_EEENSD_IJSA_SA_EEENS0_18inequality_wrapperIZN2at6native12_GLOBAL__N_124unique_dim_cuda_templateIbEESt5tupleIJNSH_6TensorESM_SM_EERKSM_lbbbEUlllE0_EEPmJS6_EEE10hipError_tPvRmT3_T4_T5_T6_T7_T9_mT8_P12ihipStream_tbDpT10_ENKUlT_T0_E_clISt17integral_constantIbLb1EES1C_EEDaS17_S18_EUlS17_E_NS1_11comp_targetILNS1_3genE9ELNS1_11target_archE1100ELNS1_3gpuE3ELNS1_3repE0EEENS1_30default_config_static_selectorELNS0_4arch9wavefront6targetE1EEEvT1_.num_named_barrier, 0
	.set _ZN7rocprim17ROCPRIM_400000_NS6detail17trampoline_kernelINS0_14default_configENS1_25partition_config_selectorILNS1_17partition_subalgoE8ElNS0_10empty_typeEbEEZZNS1_14partition_implILS5_8ELb0ES3_jPlPS6_PKS6_NS0_5tupleIJS9_S6_EEENSD_IJSA_SA_EEENS0_18inequality_wrapperIZN2at6native12_GLOBAL__N_124unique_dim_cuda_templateIbEESt5tupleIJNSH_6TensorESM_SM_EERKSM_lbbbEUlllE0_EEPmJS6_EEE10hipError_tPvRmT3_T4_T5_T6_T7_T9_mT8_P12ihipStream_tbDpT10_ENKUlT_T0_E_clISt17integral_constantIbLb1EES1C_EEDaS17_S18_EUlS17_E_NS1_11comp_targetILNS1_3genE9ELNS1_11target_archE1100ELNS1_3gpuE3ELNS1_3repE0EEENS1_30default_config_static_selectorELNS0_4arch9wavefront6targetE1EEEvT1_.private_seg_size, 0
	.set _ZN7rocprim17ROCPRIM_400000_NS6detail17trampoline_kernelINS0_14default_configENS1_25partition_config_selectorILNS1_17partition_subalgoE8ElNS0_10empty_typeEbEEZZNS1_14partition_implILS5_8ELb0ES3_jPlPS6_PKS6_NS0_5tupleIJS9_S6_EEENSD_IJSA_SA_EEENS0_18inequality_wrapperIZN2at6native12_GLOBAL__N_124unique_dim_cuda_templateIbEESt5tupleIJNSH_6TensorESM_SM_EERKSM_lbbbEUlllE0_EEPmJS6_EEE10hipError_tPvRmT3_T4_T5_T6_T7_T9_mT8_P12ihipStream_tbDpT10_ENKUlT_T0_E_clISt17integral_constantIbLb1EES1C_EEDaS17_S18_EUlS17_E_NS1_11comp_targetILNS1_3genE9ELNS1_11target_archE1100ELNS1_3gpuE3ELNS1_3repE0EEENS1_30default_config_static_selectorELNS0_4arch9wavefront6targetE1EEEvT1_.uses_vcc, 0
	.set _ZN7rocprim17ROCPRIM_400000_NS6detail17trampoline_kernelINS0_14default_configENS1_25partition_config_selectorILNS1_17partition_subalgoE8ElNS0_10empty_typeEbEEZZNS1_14partition_implILS5_8ELb0ES3_jPlPS6_PKS6_NS0_5tupleIJS9_S6_EEENSD_IJSA_SA_EEENS0_18inequality_wrapperIZN2at6native12_GLOBAL__N_124unique_dim_cuda_templateIbEESt5tupleIJNSH_6TensorESM_SM_EERKSM_lbbbEUlllE0_EEPmJS6_EEE10hipError_tPvRmT3_T4_T5_T6_T7_T9_mT8_P12ihipStream_tbDpT10_ENKUlT_T0_E_clISt17integral_constantIbLb1EES1C_EEDaS17_S18_EUlS17_E_NS1_11comp_targetILNS1_3genE9ELNS1_11target_archE1100ELNS1_3gpuE3ELNS1_3repE0EEENS1_30default_config_static_selectorELNS0_4arch9wavefront6targetE1EEEvT1_.uses_flat_scratch, 0
	.set _ZN7rocprim17ROCPRIM_400000_NS6detail17trampoline_kernelINS0_14default_configENS1_25partition_config_selectorILNS1_17partition_subalgoE8ElNS0_10empty_typeEbEEZZNS1_14partition_implILS5_8ELb0ES3_jPlPS6_PKS6_NS0_5tupleIJS9_S6_EEENSD_IJSA_SA_EEENS0_18inequality_wrapperIZN2at6native12_GLOBAL__N_124unique_dim_cuda_templateIbEESt5tupleIJNSH_6TensorESM_SM_EERKSM_lbbbEUlllE0_EEPmJS6_EEE10hipError_tPvRmT3_T4_T5_T6_T7_T9_mT8_P12ihipStream_tbDpT10_ENKUlT_T0_E_clISt17integral_constantIbLb1EES1C_EEDaS17_S18_EUlS17_E_NS1_11comp_targetILNS1_3genE9ELNS1_11target_archE1100ELNS1_3gpuE3ELNS1_3repE0EEENS1_30default_config_static_selectorELNS0_4arch9wavefront6targetE1EEEvT1_.has_dyn_sized_stack, 0
	.set _ZN7rocprim17ROCPRIM_400000_NS6detail17trampoline_kernelINS0_14default_configENS1_25partition_config_selectorILNS1_17partition_subalgoE8ElNS0_10empty_typeEbEEZZNS1_14partition_implILS5_8ELb0ES3_jPlPS6_PKS6_NS0_5tupleIJS9_S6_EEENSD_IJSA_SA_EEENS0_18inequality_wrapperIZN2at6native12_GLOBAL__N_124unique_dim_cuda_templateIbEESt5tupleIJNSH_6TensorESM_SM_EERKSM_lbbbEUlllE0_EEPmJS6_EEE10hipError_tPvRmT3_T4_T5_T6_T7_T9_mT8_P12ihipStream_tbDpT10_ENKUlT_T0_E_clISt17integral_constantIbLb1EES1C_EEDaS17_S18_EUlS17_E_NS1_11comp_targetILNS1_3genE9ELNS1_11target_archE1100ELNS1_3gpuE3ELNS1_3repE0EEENS1_30default_config_static_selectorELNS0_4arch9wavefront6targetE1EEEvT1_.has_recursion, 0
	.set _ZN7rocprim17ROCPRIM_400000_NS6detail17trampoline_kernelINS0_14default_configENS1_25partition_config_selectorILNS1_17partition_subalgoE8ElNS0_10empty_typeEbEEZZNS1_14partition_implILS5_8ELb0ES3_jPlPS6_PKS6_NS0_5tupleIJS9_S6_EEENSD_IJSA_SA_EEENS0_18inequality_wrapperIZN2at6native12_GLOBAL__N_124unique_dim_cuda_templateIbEESt5tupleIJNSH_6TensorESM_SM_EERKSM_lbbbEUlllE0_EEPmJS6_EEE10hipError_tPvRmT3_T4_T5_T6_T7_T9_mT8_P12ihipStream_tbDpT10_ENKUlT_T0_E_clISt17integral_constantIbLb1EES1C_EEDaS17_S18_EUlS17_E_NS1_11comp_targetILNS1_3genE9ELNS1_11target_archE1100ELNS1_3gpuE3ELNS1_3repE0EEENS1_30default_config_static_selectorELNS0_4arch9wavefront6targetE1EEEvT1_.has_indirect_call, 0
	.section	.AMDGPU.csdata,"",@progbits
; Kernel info:
; codeLenInByte = 0
; TotalNumSgprs: 6
; NumVgprs: 0
; NumAgprs: 0
; TotalNumVgprs: 0
; ScratchSize: 0
; MemoryBound: 0
; FloatMode: 240
; IeeeMode: 1
; LDSByteSize: 0 bytes/workgroup (compile time only)
; SGPRBlocks: 0
; VGPRBlocks: 0
; NumSGPRsForWavesPerEU: 6
; NumVGPRsForWavesPerEU: 1
; AccumOffset: 4
; Occupancy: 8
; WaveLimiterHint : 0
; COMPUTE_PGM_RSRC2:SCRATCH_EN: 0
; COMPUTE_PGM_RSRC2:USER_SGPR: 2
; COMPUTE_PGM_RSRC2:TRAP_HANDLER: 0
; COMPUTE_PGM_RSRC2:TGID_X_EN: 1
; COMPUTE_PGM_RSRC2:TGID_Y_EN: 0
; COMPUTE_PGM_RSRC2:TGID_Z_EN: 0
; COMPUTE_PGM_RSRC2:TIDIG_COMP_CNT: 0
; COMPUTE_PGM_RSRC3_GFX90A:ACCUM_OFFSET: 0
; COMPUTE_PGM_RSRC3_GFX90A:TG_SPLIT: 0
	.section	.text._ZN7rocprim17ROCPRIM_400000_NS6detail17trampoline_kernelINS0_14default_configENS1_25partition_config_selectorILNS1_17partition_subalgoE8ElNS0_10empty_typeEbEEZZNS1_14partition_implILS5_8ELb0ES3_jPlPS6_PKS6_NS0_5tupleIJS9_S6_EEENSD_IJSA_SA_EEENS0_18inequality_wrapperIZN2at6native12_GLOBAL__N_124unique_dim_cuda_templateIbEESt5tupleIJNSH_6TensorESM_SM_EERKSM_lbbbEUlllE0_EEPmJS6_EEE10hipError_tPvRmT3_T4_T5_T6_T7_T9_mT8_P12ihipStream_tbDpT10_ENKUlT_T0_E_clISt17integral_constantIbLb1EES1C_EEDaS17_S18_EUlS17_E_NS1_11comp_targetILNS1_3genE8ELNS1_11target_archE1030ELNS1_3gpuE2ELNS1_3repE0EEENS1_30default_config_static_selectorELNS0_4arch9wavefront6targetE1EEEvT1_,"axG",@progbits,_ZN7rocprim17ROCPRIM_400000_NS6detail17trampoline_kernelINS0_14default_configENS1_25partition_config_selectorILNS1_17partition_subalgoE8ElNS0_10empty_typeEbEEZZNS1_14partition_implILS5_8ELb0ES3_jPlPS6_PKS6_NS0_5tupleIJS9_S6_EEENSD_IJSA_SA_EEENS0_18inequality_wrapperIZN2at6native12_GLOBAL__N_124unique_dim_cuda_templateIbEESt5tupleIJNSH_6TensorESM_SM_EERKSM_lbbbEUlllE0_EEPmJS6_EEE10hipError_tPvRmT3_T4_T5_T6_T7_T9_mT8_P12ihipStream_tbDpT10_ENKUlT_T0_E_clISt17integral_constantIbLb1EES1C_EEDaS17_S18_EUlS17_E_NS1_11comp_targetILNS1_3genE8ELNS1_11target_archE1030ELNS1_3gpuE2ELNS1_3repE0EEENS1_30default_config_static_selectorELNS0_4arch9wavefront6targetE1EEEvT1_,comdat
	.globl	_ZN7rocprim17ROCPRIM_400000_NS6detail17trampoline_kernelINS0_14default_configENS1_25partition_config_selectorILNS1_17partition_subalgoE8ElNS0_10empty_typeEbEEZZNS1_14partition_implILS5_8ELb0ES3_jPlPS6_PKS6_NS0_5tupleIJS9_S6_EEENSD_IJSA_SA_EEENS0_18inequality_wrapperIZN2at6native12_GLOBAL__N_124unique_dim_cuda_templateIbEESt5tupleIJNSH_6TensorESM_SM_EERKSM_lbbbEUlllE0_EEPmJS6_EEE10hipError_tPvRmT3_T4_T5_T6_T7_T9_mT8_P12ihipStream_tbDpT10_ENKUlT_T0_E_clISt17integral_constantIbLb1EES1C_EEDaS17_S18_EUlS17_E_NS1_11comp_targetILNS1_3genE8ELNS1_11target_archE1030ELNS1_3gpuE2ELNS1_3repE0EEENS1_30default_config_static_selectorELNS0_4arch9wavefront6targetE1EEEvT1_ ; -- Begin function _ZN7rocprim17ROCPRIM_400000_NS6detail17trampoline_kernelINS0_14default_configENS1_25partition_config_selectorILNS1_17partition_subalgoE8ElNS0_10empty_typeEbEEZZNS1_14partition_implILS5_8ELb0ES3_jPlPS6_PKS6_NS0_5tupleIJS9_S6_EEENSD_IJSA_SA_EEENS0_18inequality_wrapperIZN2at6native12_GLOBAL__N_124unique_dim_cuda_templateIbEESt5tupleIJNSH_6TensorESM_SM_EERKSM_lbbbEUlllE0_EEPmJS6_EEE10hipError_tPvRmT3_T4_T5_T6_T7_T9_mT8_P12ihipStream_tbDpT10_ENKUlT_T0_E_clISt17integral_constantIbLb1EES1C_EEDaS17_S18_EUlS17_E_NS1_11comp_targetILNS1_3genE8ELNS1_11target_archE1030ELNS1_3gpuE2ELNS1_3repE0EEENS1_30default_config_static_selectorELNS0_4arch9wavefront6targetE1EEEvT1_
	.p2align	8
	.type	_ZN7rocprim17ROCPRIM_400000_NS6detail17trampoline_kernelINS0_14default_configENS1_25partition_config_selectorILNS1_17partition_subalgoE8ElNS0_10empty_typeEbEEZZNS1_14partition_implILS5_8ELb0ES3_jPlPS6_PKS6_NS0_5tupleIJS9_S6_EEENSD_IJSA_SA_EEENS0_18inequality_wrapperIZN2at6native12_GLOBAL__N_124unique_dim_cuda_templateIbEESt5tupleIJNSH_6TensorESM_SM_EERKSM_lbbbEUlllE0_EEPmJS6_EEE10hipError_tPvRmT3_T4_T5_T6_T7_T9_mT8_P12ihipStream_tbDpT10_ENKUlT_T0_E_clISt17integral_constantIbLb1EES1C_EEDaS17_S18_EUlS17_E_NS1_11comp_targetILNS1_3genE8ELNS1_11target_archE1030ELNS1_3gpuE2ELNS1_3repE0EEENS1_30default_config_static_selectorELNS0_4arch9wavefront6targetE1EEEvT1_,@function
_ZN7rocprim17ROCPRIM_400000_NS6detail17trampoline_kernelINS0_14default_configENS1_25partition_config_selectorILNS1_17partition_subalgoE8ElNS0_10empty_typeEbEEZZNS1_14partition_implILS5_8ELb0ES3_jPlPS6_PKS6_NS0_5tupleIJS9_S6_EEENSD_IJSA_SA_EEENS0_18inequality_wrapperIZN2at6native12_GLOBAL__N_124unique_dim_cuda_templateIbEESt5tupleIJNSH_6TensorESM_SM_EERKSM_lbbbEUlllE0_EEPmJS6_EEE10hipError_tPvRmT3_T4_T5_T6_T7_T9_mT8_P12ihipStream_tbDpT10_ENKUlT_T0_E_clISt17integral_constantIbLb1EES1C_EEDaS17_S18_EUlS17_E_NS1_11comp_targetILNS1_3genE8ELNS1_11target_archE1030ELNS1_3gpuE2ELNS1_3repE0EEENS1_30default_config_static_selectorELNS0_4arch9wavefront6targetE1EEEvT1_: ; @_ZN7rocprim17ROCPRIM_400000_NS6detail17trampoline_kernelINS0_14default_configENS1_25partition_config_selectorILNS1_17partition_subalgoE8ElNS0_10empty_typeEbEEZZNS1_14partition_implILS5_8ELb0ES3_jPlPS6_PKS6_NS0_5tupleIJS9_S6_EEENSD_IJSA_SA_EEENS0_18inequality_wrapperIZN2at6native12_GLOBAL__N_124unique_dim_cuda_templateIbEESt5tupleIJNSH_6TensorESM_SM_EERKSM_lbbbEUlllE0_EEPmJS6_EEE10hipError_tPvRmT3_T4_T5_T6_T7_T9_mT8_P12ihipStream_tbDpT10_ENKUlT_T0_E_clISt17integral_constantIbLb1EES1C_EEDaS17_S18_EUlS17_E_NS1_11comp_targetILNS1_3genE8ELNS1_11target_archE1030ELNS1_3gpuE2ELNS1_3repE0EEENS1_30default_config_static_selectorELNS0_4arch9wavefront6targetE1EEEvT1_
; %bb.0:
	.section	.rodata,"a",@progbits
	.p2align	6, 0x0
	.amdhsa_kernel _ZN7rocprim17ROCPRIM_400000_NS6detail17trampoline_kernelINS0_14default_configENS1_25partition_config_selectorILNS1_17partition_subalgoE8ElNS0_10empty_typeEbEEZZNS1_14partition_implILS5_8ELb0ES3_jPlPS6_PKS6_NS0_5tupleIJS9_S6_EEENSD_IJSA_SA_EEENS0_18inequality_wrapperIZN2at6native12_GLOBAL__N_124unique_dim_cuda_templateIbEESt5tupleIJNSH_6TensorESM_SM_EERKSM_lbbbEUlllE0_EEPmJS6_EEE10hipError_tPvRmT3_T4_T5_T6_T7_T9_mT8_P12ihipStream_tbDpT10_ENKUlT_T0_E_clISt17integral_constantIbLb1EES1C_EEDaS17_S18_EUlS17_E_NS1_11comp_targetILNS1_3genE8ELNS1_11target_archE1030ELNS1_3gpuE2ELNS1_3repE0EEENS1_30default_config_static_selectorELNS0_4arch9wavefront6targetE1EEEvT1_
		.amdhsa_group_segment_fixed_size 0
		.amdhsa_private_segment_fixed_size 0
		.amdhsa_kernarg_size 136
		.amdhsa_user_sgpr_count 2
		.amdhsa_user_sgpr_dispatch_ptr 0
		.amdhsa_user_sgpr_queue_ptr 0
		.amdhsa_user_sgpr_kernarg_segment_ptr 1
		.amdhsa_user_sgpr_dispatch_id 0
		.amdhsa_user_sgpr_kernarg_preload_length 0
		.amdhsa_user_sgpr_kernarg_preload_offset 0
		.amdhsa_user_sgpr_private_segment_size 0
		.amdhsa_uses_dynamic_stack 0
		.amdhsa_enable_private_segment 0
		.amdhsa_system_sgpr_workgroup_id_x 1
		.amdhsa_system_sgpr_workgroup_id_y 0
		.amdhsa_system_sgpr_workgroup_id_z 0
		.amdhsa_system_sgpr_workgroup_info 0
		.amdhsa_system_vgpr_workitem_id 0
		.amdhsa_next_free_vgpr 1
		.amdhsa_next_free_sgpr 0
		.amdhsa_accum_offset 4
		.amdhsa_reserve_vcc 0
		.amdhsa_float_round_mode_32 0
		.amdhsa_float_round_mode_16_64 0
		.amdhsa_float_denorm_mode_32 3
		.amdhsa_float_denorm_mode_16_64 3
		.amdhsa_dx10_clamp 1
		.amdhsa_ieee_mode 1
		.amdhsa_fp16_overflow 0
		.amdhsa_tg_split 0
		.amdhsa_exception_fp_ieee_invalid_op 0
		.amdhsa_exception_fp_denorm_src 0
		.amdhsa_exception_fp_ieee_div_zero 0
		.amdhsa_exception_fp_ieee_overflow 0
		.amdhsa_exception_fp_ieee_underflow 0
		.amdhsa_exception_fp_ieee_inexact 0
		.amdhsa_exception_int_div_zero 0
	.end_amdhsa_kernel
	.section	.text._ZN7rocprim17ROCPRIM_400000_NS6detail17trampoline_kernelINS0_14default_configENS1_25partition_config_selectorILNS1_17partition_subalgoE8ElNS0_10empty_typeEbEEZZNS1_14partition_implILS5_8ELb0ES3_jPlPS6_PKS6_NS0_5tupleIJS9_S6_EEENSD_IJSA_SA_EEENS0_18inequality_wrapperIZN2at6native12_GLOBAL__N_124unique_dim_cuda_templateIbEESt5tupleIJNSH_6TensorESM_SM_EERKSM_lbbbEUlllE0_EEPmJS6_EEE10hipError_tPvRmT3_T4_T5_T6_T7_T9_mT8_P12ihipStream_tbDpT10_ENKUlT_T0_E_clISt17integral_constantIbLb1EES1C_EEDaS17_S18_EUlS17_E_NS1_11comp_targetILNS1_3genE8ELNS1_11target_archE1030ELNS1_3gpuE2ELNS1_3repE0EEENS1_30default_config_static_selectorELNS0_4arch9wavefront6targetE1EEEvT1_,"axG",@progbits,_ZN7rocprim17ROCPRIM_400000_NS6detail17trampoline_kernelINS0_14default_configENS1_25partition_config_selectorILNS1_17partition_subalgoE8ElNS0_10empty_typeEbEEZZNS1_14partition_implILS5_8ELb0ES3_jPlPS6_PKS6_NS0_5tupleIJS9_S6_EEENSD_IJSA_SA_EEENS0_18inequality_wrapperIZN2at6native12_GLOBAL__N_124unique_dim_cuda_templateIbEESt5tupleIJNSH_6TensorESM_SM_EERKSM_lbbbEUlllE0_EEPmJS6_EEE10hipError_tPvRmT3_T4_T5_T6_T7_T9_mT8_P12ihipStream_tbDpT10_ENKUlT_T0_E_clISt17integral_constantIbLb1EES1C_EEDaS17_S18_EUlS17_E_NS1_11comp_targetILNS1_3genE8ELNS1_11target_archE1030ELNS1_3gpuE2ELNS1_3repE0EEENS1_30default_config_static_selectorELNS0_4arch9wavefront6targetE1EEEvT1_,comdat
.Lfunc_end1066:
	.size	_ZN7rocprim17ROCPRIM_400000_NS6detail17trampoline_kernelINS0_14default_configENS1_25partition_config_selectorILNS1_17partition_subalgoE8ElNS0_10empty_typeEbEEZZNS1_14partition_implILS5_8ELb0ES3_jPlPS6_PKS6_NS0_5tupleIJS9_S6_EEENSD_IJSA_SA_EEENS0_18inequality_wrapperIZN2at6native12_GLOBAL__N_124unique_dim_cuda_templateIbEESt5tupleIJNSH_6TensorESM_SM_EERKSM_lbbbEUlllE0_EEPmJS6_EEE10hipError_tPvRmT3_T4_T5_T6_T7_T9_mT8_P12ihipStream_tbDpT10_ENKUlT_T0_E_clISt17integral_constantIbLb1EES1C_EEDaS17_S18_EUlS17_E_NS1_11comp_targetILNS1_3genE8ELNS1_11target_archE1030ELNS1_3gpuE2ELNS1_3repE0EEENS1_30default_config_static_selectorELNS0_4arch9wavefront6targetE1EEEvT1_, .Lfunc_end1066-_ZN7rocprim17ROCPRIM_400000_NS6detail17trampoline_kernelINS0_14default_configENS1_25partition_config_selectorILNS1_17partition_subalgoE8ElNS0_10empty_typeEbEEZZNS1_14partition_implILS5_8ELb0ES3_jPlPS6_PKS6_NS0_5tupleIJS9_S6_EEENSD_IJSA_SA_EEENS0_18inequality_wrapperIZN2at6native12_GLOBAL__N_124unique_dim_cuda_templateIbEESt5tupleIJNSH_6TensorESM_SM_EERKSM_lbbbEUlllE0_EEPmJS6_EEE10hipError_tPvRmT3_T4_T5_T6_T7_T9_mT8_P12ihipStream_tbDpT10_ENKUlT_T0_E_clISt17integral_constantIbLb1EES1C_EEDaS17_S18_EUlS17_E_NS1_11comp_targetILNS1_3genE8ELNS1_11target_archE1030ELNS1_3gpuE2ELNS1_3repE0EEENS1_30default_config_static_selectorELNS0_4arch9wavefront6targetE1EEEvT1_
                                        ; -- End function
	.set _ZN7rocprim17ROCPRIM_400000_NS6detail17trampoline_kernelINS0_14default_configENS1_25partition_config_selectorILNS1_17partition_subalgoE8ElNS0_10empty_typeEbEEZZNS1_14partition_implILS5_8ELb0ES3_jPlPS6_PKS6_NS0_5tupleIJS9_S6_EEENSD_IJSA_SA_EEENS0_18inequality_wrapperIZN2at6native12_GLOBAL__N_124unique_dim_cuda_templateIbEESt5tupleIJNSH_6TensorESM_SM_EERKSM_lbbbEUlllE0_EEPmJS6_EEE10hipError_tPvRmT3_T4_T5_T6_T7_T9_mT8_P12ihipStream_tbDpT10_ENKUlT_T0_E_clISt17integral_constantIbLb1EES1C_EEDaS17_S18_EUlS17_E_NS1_11comp_targetILNS1_3genE8ELNS1_11target_archE1030ELNS1_3gpuE2ELNS1_3repE0EEENS1_30default_config_static_selectorELNS0_4arch9wavefront6targetE1EEEvT1_.num_vgpr, 0
	.set _ZN7rocprim17ROCPRIM_400000_NS6detail17trampoline_kernelINS0_14default_configENS1_25partition_config_selectorILNS1_17partition_subalgoE8ElNS0_10empty_typeEbEEZZNS1_14partition_implILS5_8ELb0ES3_jPlPS6_PKS6_NS0_5tupleIJS9_S6_EEENSD_IJSA_SA_EEENS0_18inequality_wrapperIZN2at6native12_GLOBAL__N_124unique_dim_cuda_templateIbEESt5tupleIJNSH_6TensorESM_SM_EERKSM_lbbbEUlllE0_EEPmJS6_EEE10hipError_tPvRmT3_T4_T5_T6_T7_T9_mT8_P12ihipStream_tbDpT10_ENKUlT_T0_E_clISt17integral_constantIbLb1EES1C_EEDaS17_S18_EUlS17_E_NS1_11comp_targetILNS1_3genE8ELNS1_11target_archE1030ELNS1_3gpuE2ELNS1_3repE0EEENS1_30default_config_static_selectorELNS0_4arch9wavefront6targetE1EEEvT1_.num_agpr, 0
	.set _ZN7rocprim17ROCPRIM_400000_NS6detail17trampoline_kernelINS0_14default_configENS1_25partition_config_selectorILNS1_17partition_subalgoE8ElNS0_10empty_typeEbEEZZNS1_14partition_implILS5_8ELb0ES3_jPlPS6_PKS6_NS0_5tupleIJS9_S6_EEENSD_IJSA_SA_EEENS0_18inequality_wrapperIZN2at6native12_GLOBAL__N_124unique_dim_cuda_templateIbEESt5tupleIJNSH_6TensorESM_SM_EERKSM_lbbbEUlllE0_EEPmJS6_EEE10hipError_tPvRmT3_T4_T5_T6_T7_T9_mT8_P12ihipStream_tbDpT10_ENKUlT_T0_E_clISt17integral_constantIbLb1EES1C_EEDaS17_S18_EUlS17_E_NS1_11comp_targetILNS1_3genE8ELNS1_11target_archE1030ELNS1_3gpuE2ELNS1_3repE0EEENS1_30default_config_static_selectorELNS0_4arch9wavefront6targetE1EEEvT1_.numbered_sgpr, 0
	.set _ZN7rocprim17ROCPRIM_400000_NS6detail17trampoline_kernelINS0_14default_configENS1_25partition_config_selectorILNS1_17partition_subalgoE8ElNS0_10empty_typeEbEEZZNS1_14partition_implILS5_8ELb0ES3_jPlPS6_PKS6_NS0_5tupleIJS9_S6_EEENSD_IJSA_SA_EEENS0_18inequality_wrapperIZN2at6native12_GLOBAL__N_124unique_dim_cuda_templateIbEESt5tupleIJNSH_6TensorESM_SM_EERKSM_lbbbEUlllE0_EEPmJS6_EEE10hipError_tPvRmT3_T4_T5_T6_T7_T9_mT8_P12ihipStream_tbDpT10_ENKUlT_T0_E_clISt17integral_constantIbLb1EES1C_EEDaS17_S18_EUlS17_E_NS1_11comp_targetILNS1_3genE8ELNS1_11target_archE1030ELNS1_3gpuE2ELNS1_3repE0EEENS1_30default_config_static_selectorELNS0_4arch9wavefront6targetE1EEEvT1_.num_named_barrier, 0
	.set _ZN7rocprim17ROCPRIM_400000_NS6detail17trampoline_kernelINS0_14default_configENS1_25partition_config_selectorILNS1_17partition_subalgoE8ElNS0_10empty_typeEbEEZZNS1_14partition_implILS5_8ELb0ES3_jPlPS6_PKS6_NS0_5tupleIJS9_S6_EEENSD_IJSA_SA_EEENS0_18inequality_wrapperIZN2at6native12_GLOBAL__N_124unique_dim_cuda_templateIbEESt5tupleIJNSH_6TensorESM_SM_EERKSM_lbbbEUlllE0_EEPmJS6_EEE10hipError_tPvRmT3_T4_T5_T6_T7_T9_mT8_P12ihipStream_tbDpT10_ENKUlT_T0_E_clISt17integral_constantIbLb1EES1C_EEDaS17_S18_EUlS17_E_NS1_11comp_targetILNS1_3genE8ELNS1_11target_archE1030ELNS1_3gpuE2ELNS1_3repE0EEENS1_30default_config_static_selectorELNS0_4arch9wavefront6targetE1EEEvT1_.private_seg_size, 0
	.set _ZN7rocprim17ROCPRIM_400000_NS6detail17trampoline_kernelINS0_14default_configENS1_25partition_config_selectorILNS1_17partition_subalgoE8ElNS0_10empty_typeEbEEZZNS1_14partition_implILS5_8ELb0ES3_jPlPS6_PKS6_NS0_5tupleIJS9_S6_EEENSD_IJSA_SA_EEENS0_18inequality_wrapperIZN2at6native12_GLOBAL__N_124unique_dim_cuda_templateIbEESt5tupleIJNSH_6TensorESM_SM_EERKSM_lbbbEUlllE0_EEPmJS6_EEE10hipError_tPvRmT3_T4_T5_T6_T7_T9_mT8_P12ihipStream_tbDpT10_ENKUlT_T0_E_clISt17integral_constantIbLb1EES1C_EEDaS17_S18_EUlS17_E_NS1_11comp_targetILNS1_3genE8ELNS1_11target_archE1030ELNS1_3gpuE2ELNS1_3repE0EEENS1_30default_config_static_selectorELNS0_4arch9wavefront6targetE1EEEvT1_.uses_vcc, 0
	.set _ZN7rocprim17ROCPRIM_400000_NS6detail17trampoline_kernelINS0_14default_configENS1_25partition_config_selectorILNS1_17partition_subalgoE8ElNS0_10empty_typeEbEEZZNS1_14partition_implILS5_8ELb0ES3_jPlPS6_PKS6_NS0_5tupleIJS9_S6_EEENSD_IJSA_SA_EEENS0_18inequality_wrapperIZN2at6native12_GLOBAL__N_124unique_dim_cuda_templateIbEESt5tupleIJNSH_6TensorESM_SM_EERKSM_lbbbEUlllE0_EEPmJS6_EEE10hipError_tPvRmT3_T4_T5_T6_T7_T9_mT8_P12ihipStream_tbDpT10_ENKUlT_T0_E_clISt17integral_constantIbLb1EES1C_EEDaS17_S18_EUlS17_E_NS1_11comp_targetILNS1_3genE8ELNS1_11target_archE1030ELNS1_3gpuE2ELNS1_3repE0EEENS1_30default_config_static_selectorELNS0_4arch9wavefront6targetE1EEEvT1_.uses_flat_scratch, 0
	.set _ZN7rocprim17ROCPRIM_400000_NS6detail17trampoline_kernelINS0_14default_configENS1_25partition_config_selectorILNS1_17partition_subalgoE8ElNS0_10empty_typeEbEEZZNS1_14partition_implILS5_8ELb0ES3_jPlPS6_PKS6_NS0_5tupleIJS9_S6_EEENSD_IJSA_SA_EEENS0_18inequality_wrapperIZN2at6native12_GLOBAL__N_124unique_dim_cuda_templateIbEESt5tupleIJNSH_6TensorESM_SM_EERKSM_lbbbEUlllE0_EEPmJS6_EEE10hipError_tPvRmT3_T4_T5_T6_T7_T9_mT8_P12ihipStream_tbDpT10_ENKUlT_T0_E_clISt17integral_constantIbLb1EES1C_EEDaS17_S18_EUlS17_E_NS1_11comp_targetILNS1_3genE8ELNS1_11target_archE1030ELNS1_3gpuE2ELNS1_3repE0EEENS1_30default_config_static_selectorELNS0_4arch9wavefront6targetE1EEEvT1_.has_dyn_sized_stack, 0
	.set _ZN7rocprim17ROCPRIM_400000_NS6detail17trampoline_kernelINS0_14default_configENS1_25partition_config_selectorILNS1_17partition_subalgoE8ElNS0_10empty_typeEbEEZZNS1_14partition_implILS5_8ELb0ES3_jPlPS6_PKS6_NS0_5tupleIJS9_S6_EEENSD_IJSA_SA_EEENS0_18inequality_wrapperIZN2at6native12_GLOBAL__N_124unique_dim_cuda_templateIbEESt5tupleIJNSH_6TensorESM_SM_EERKSM_lbbbEUlllE0_EEPmJS6_EEE10hipError_tPvRmT3_T4_T5_T6_T7_T9_mT8_P12ihipStream_tbDpT10_ENKUlT_T0_E_clISt17integral_constantIbLb1EES1C_EEDaS17_S18_EUlS17_E_NS1_11comp_targetILNS1_3genE8ELNS1_11target_archE1030ELNS1_3gpuE2ELNS1_3repE0EEENS1_30default_config_static_selectorELNS0_4arch9wavefront6targetE1EEEvT1_.has_recursion, 0
	.set _ZN7rocprim17ROCPRIM_400000_NS6detail17trampoline_kernelINS0_14default_configENS1_25partition_config_selectorILNS1_17partition_subalgoE8ElNS0_10empty_typeEbEEZZNS1_14partition_implILS5_8ELb0ES3_jPlPS6_PKS6_NS0_5tupleIJS9_S6_EEENSD_IJSA_SA_EEENS0_18inequality_wrapperIZN2at6native12_GLOBAL__N_124unique_dim_cuda_templateIbEESt5tupleIJNSH_6TensorESM_SM_EERKSM_lbbbEUlllE0_EEPmJS6_EEE10hipError_tPvRmT3_T4_T5_T6_T7_T9_mT8_P12ihipStream_tbDpT10_ENKUlT_T0_E_clISt17integral_constantIbLb1EES1C_EEDaS17_S18_EUlS17_E_NS1_11comp_targetILNS1_3genE8ELNS1_11target_archE1030ELNS1_3gpuE2ELNS1_3repE0EEENS1_30default_config_static_selectorELNS0_4arch9wavefront6targetE1EEEvT1_.has_indirect_call, 0
	.section	.AMDGPU.csdata,"",@progbits
; Kernel info:
; codeLenInByte = 0
; TotalNumSgprs: 6
; NumVgprs: 0
; NumAgprs: 0
; TotalNumVgprs: 0
; ScratchSize: 0
; MemoryBound: 0
; FloatMode: 240
; IeeeMode: 1
; LDSByteSize: 0 bytes/workgroup (compile time only)
; SGPRBlocks: 0
; VGPRBlocks: 0
; NumSGPRsForWavesPerEU: 6
; NumVGPRsForWavesPerEU: 1
; AccumOffset: 4
; Occupancy: 8
; WaveLimiterHint : 0
; COMPUTE_PGM_RSRC2:SCRATCH_EN: 0
; COMPUTE_PGM_RSRC2:USER_SGPR: 2
; COMPUTE_PGM_RSRC2:TRAP_HANDLER: 0
; COMPUTE_PGM_RSRC2:TGID_X_EN: 1
; COMPUTE_PGM_RSRC2:TGID_Y_EN: 0
; COMPUTE_PGM_RSRC2:TGID_Z_EN: 0
; COMPUTE_PGM_RSRC2:TIDIG_COMP_CNT: 0
; COMPUTE_PGM_RSRC3_GFX90A:ACCUM_OFFSET: 0
; COMPUTE_PGM_RSRC3_GFX90A:TG_SPLIT: 0
	.section	.text._ZN7rocprim17ROCPRIM_400000_NS6detail17trampoline_kernelINS0_14default_configENS1_25partition_config_selectorILNS1_17partition_subalgoE8ElNS0_10empty_typeEbEEZZNS1_14partition_implILS5_8ELb0ES3_jPlPS6_PKS6_NS0_5tupleIJS9_S6_EEENSD_IJSA_SA_EEENS0_18inequality_wrapperIZN2at6native12_GLOBAL__N_124unique_dim_cuda_templateIbEESt5tupleIJNSH_6TensorESM_SM_EERKSM_lbbbEUlllE0_EEPmJS6_EEE10hipError_tPvRmT3_T4_T5_T6_T7_T9_mT8_P12ihipStream_tbDpT10_ENKUlT_T0_E_clISt17integral_constantIbLb1EES1B_IbLb0EEEEDaS17_S18_EUlS17_E_NS1_11comp_targetILNS1_3genE0ELNS1_11target_archE4294967295ELNS1_3gpuE0ELNS1_3repE0EEENS1_30default_config_static_selectorELNS0_4arch9wavefront6targetE1EEEvT1_,"axG",@progbits,_ZN7rocprim17ROCPRIM_400000_NS6detail17trampoline_kernelINS0_14default_configENS1_25partition_config_selectorILNS1_17partition_subalgoE8ElNS0_10empty_typeEbEEZZNS1_14partition_implILS5_8ELb0ES3_jPlPS6_PKS6_NS0_5tupleIJS9_S6_EEENSD_IJSA_SA_EEENS0_18inequality_wrapperIZN2at6native12_GLOBAL__N_124unique_dim_cuda_templateIbEESt5tupleIJNSH_6TensorESM_SM_EERKSM_lbbbEUlllE0_EEPmJS6_EEE10hipError_tPvRmT3_T4_T5_T6_T7_T9_mT8_P12ihipStream_tbDpT10_ENKUlT_T0_E_clISt17integral_constantIbLb1EES1B_IbLb0EEEEDaS17_S18_EUlS17_E_NS1_11comp_targetILNS1_3genE0ELNS1_11target_archE4294967295ELNS1_3gpuE0ELNS1_3repE0EEENS1_30default_config_static_selectorELNS0_4arch9wavefront6targetE1EEEvT1_,comdat
	.globl	_ZN7rocprim17ROCPRIM_400000_NS6detail17trampoline_kernelINS0_14default_configENS1_25partition_config_selectorILNS1_17partition_subalgoE8ElNS0_10empty_typeEbEEZZNS1_14partition_implILS5_8ELb0ES3_jPlPS6_PKS6_NS0_5tupleIJS9_S6_EEENSD_IJSA_SA_EEENS0_18inequality_wrapperIZN2at6native12_GLOBAL__N_124unique_dim_cuda_templateIbEESt5tupleIJNSH_6TensorESM_SM_EERKSM_lbbbEUlllE0_EEPmJS6_EEE10hipError_tPvRmT3_T4_T5_T6_T7_T9_mT8_P12ihipStream_tbDpT10_ENKUlT_T0_E_clISt17integral_constantIbLb1EES1B_IbLb0EEEEDaS17_S18_EUlS17_E_NS1_11comp_targetILNS1_3genE0ELNS1_11target_archE4294967295ELNS1_3gpuE0ELNS1_3repE0EEENS1_30default_config_static_selectorELNS0_4arch9wavefront6targetE1EEEvT1_ ; -- Begin function _ZN7rocprim17ROCPRIM_400000_NS6detail17trampoline_kernelINS0_14default_configENS1_25partition_config_selectorILNS1_17partition_subalgoE8ElNS0_10empty_typeEbEEZZNS1_14partition_implILS5_8ELb0ES3_jPlPS6_PKS6_NS0_5tupleIJS9_S6_EEENSD_IJSA_SA_EEENS0_18inequality_wrapperIZN2at6native12_GLOBAL__N_124unique_dim_cuda_templateIbEESt5tupleIJNSH_6TensorESM_SM_EERKSM_lbbbEUlllE0_EEPmJS6_EEE10hipError_tPvRmT3_T4_T5_T6_T7_T9_mT8_P12ihipStream_tbDpT10_ENKUlT_T0_E_clISt17integral_constantIbLb1EES1B_IbLb0EEEEDaS17_S18_EUlS17_E_NS1_11comp_targetILNS1_3genE0ELNS1_11target_archE4294967295ELNS1_3gpuE0ELNS1_3repE0EEENS1_30default_config_static_selectorELNS0_4arch9wavefront6targetE1EEEvT1_
	.p2align	8
	.type	_ZN7rocprim17ROCPRIM_400000_NS6detail17trampoline_kernelINS0_14default_configENS1_25partition_config_selectorILNS1_17partition_subalgoE8ElNS0_10empty_typeEbEEZZNS1_14partition_implILS5_8ELb0ES3_jPlPS6_PKS6_NS0_5tupleIJS9_S6_EEENSD_IJSA_SA_EEENS0_18inequality_wrapperIZN2at6native12_GLOBAL__N_124unique_dim_cuda_templateIbEESt5tupleIJNSH_6TensorESM_SM_EERKSM_lbbbEUlllE0_EEPmJS6_EEE10hipError_tPvRmT3_T4_T5_T6_T7_T9_mT8_P12ihipStream_tbDpT10_ENKUlT_T0_E_clISt17integral_constantIbLb1EES1B_IbLb0EEEEDaS17_S18_EUlS17_E_NS1_11comp_targetILNS1_3genE0ELNS1_11target_archE4294967295ELNS1_3gpuE0ELNS1_3repE0EEENS1_30default_config_static_selectorELNS0_4arch9wavefront6targetE1EEEvT1_,@function
_ZN7rocprim17ROCPRIM_400000_NS6detail17trampoline_kernelINS0_14default_configENS1_25partition_config_selectorILNS1_17partition_subalgoE8ElNS0_10empty_typeEbEEZZNS1_14partition_implILS5_8ELb0ES3_jPlPS6_PKS6_NS0_5tupleIJS9_S6_EEENSD_IJSA_SA_EEENS0_18inequality_wrapperIZN2at6native12_GLOBAL__N_124unique_dim_cuda_templateIbEESt5tupleIJNSH_6TensorESM_SM_EERKSM_lbbbEUlllE0_EEPmJS6_EEE10hipError_tPvRmT3_T4_T5_T6_T7_T9_mT8_P12ihipStream_tbDpT10_ENKUlT_T0_E_clISt17integral_constantIbLb1EES1B_IbLb0EEEEDaS17_S18_EUlS17_E_NS1_11comp_targetILNS1_3genE0ELNS1_11target_archE4294967295ELNS1_3gpuE0ELNS1_3repE0EEENS1_30default_config_static_selectorELNS0_4arch9wavefront6targetE1EEEvT1_: ; @_ZN7rocprim17ROCPRIM_400000_NS6detail17trampoline_kernelINS0_14default_configENS1_25partition_config_selectorILNS1_17partition_subalgoE8ElNS0_10empty_typeEbEEZZNS1_14partition_implILS5_8ELb0ES3_jPlPS6_PKS6_NS0_5tupleIJS9_S6_EEENSD_IJSA_SA_EEENS0_18inequality_wrapperIZN2at6native12_GLOBAL__N_124unique_dim_cuda_templateIbEESt5tupleIJNSH_6TensorESM_SM_EERKSM_lbbbEUlllE0_EEPmJS6_EEE10hipError_tPvRmT3_T4_T5_T6_T7_T9_mT8_P12ihipStream_tbDpT10_ENKUlT_T0_E_clISt17integral_constantIbLb1EES1B_IbLb0EEEEDaS17_S18_EUlS17_E_NS1_11comp_targetILNS1_3genE0ELNS1_11target_archE4294967295ELNS1_3gpuE0ELNS1_3repE0EEENS1_30default_config_static_selectorELNS0_4arch9wavefront6targetE1EEEvT1_
; %bb.0:
	s_endpgm
	.section	.rodata,"a",@progbits
	.p2align	6, 0x0
	.amdhsa_kernel _ZN7rocprim17ROCPRIM_400000_NS6detail17trampoline_kernelINS0_14default_configENS1_25partition_config_selectorILNS1_17partition_subalgoE8ElNS0_10empty_typeEbEEZZNS1_14partition_implILS5_8ELb0ES3_jPlPS6_PKS6_NS0_5tupleIJS9_S6_EEENSD_IJSA_SA_EEENS0_18inequality_wrapperIZN2at6native12_GLOBAL__N_124unique_dim_cuda_templateIbEESt5tupleIJNSH_6TensorESM_SM_EERKSM_lbbbEUlllE0_EEPmJS6_EEE10hipError_tPvRmT3_T4_T5_T6_T7_T9_mT8_P12ihipStream_tbDpT10_ENKUlT_T0_E_clISt17integral_constantIbLb1EES1B_IbLb0EEEEDaS17_S18_EUlS17_E_NS1_11comp_targetILNS1_3genE0ELNS1_11target_archE4294967295ELNS1_3gpuE0ELNS1_3repE0EEENS1_30default_config_static_selectorELNS0_4arch9wavefront6targetE1EEEvT1_
		.amdhsa_group_segment_fixed_size 0
		.amdhsa_private_segment_fixed_size 0
		.amdhsa_kernarg_size 120
		.amdhsa_user_sgpr_count 2
		.amdhsa_user_sgpr_dispatch_ptr 0
		.amdhsa_user_sgpr_queue_ptr 0
		.amdhsa_user_sgpr_kernarg_segment_ptr 1
		.amdhsa_user_sgpr_dispatch_id 0
		.amdhsa_user_sgpr_kernarg_preload_length 0
		.amdhsa_user_sgpr_kernarg_preload_offset 0
		.amdhsa_user_sgpr_private_segment_size 0
		.amdhsa_uses_dynamic_stack 0
		.amdhsa_enable_private_segment 0
		.amdhsa_system_sgpr_workgroup_id_x 1
		.amdhsa_system_sgpr_workgroup_id_y 0
		.amdhsa_system_sgpr_workgroup_id_z 0
		.amdhsa_system_sgpr_workgroup_info 0
		.amdhsa_system_vgpr_workitem_id 0
		.amdhsa_next_free_vgpr 1
		.amdhsa_next_free_sgpr 0
		.amdhsa_accum_offset 4
		.amdhsa_reserve_vcc 0
		.amdhsa_float_round_mode_32 0
		.amdhsa_float_round_mode_16_64 0
		.amdhsa_float_denorm_mode_32 3
		.amdhsa_float_denorm_mode_16_64 3
		.amdhsa_dx10_clamp 1
		.amdhsa_ieee_mode 1
		.amdhsa_fp16_overflow 0
		.amdhsa_tg_split 0
		.amdhsa_exception_fp_ieee_invalid_op 0
		.amdhsa_exception_fp_denorm_src 0
		.amdhsa_exception_fp_ieee_div_zero 0
		.amdhsa_exception_fp_ieee_overflow 0
		.amdhsa_exception_fp_ieee_underflow 0
		.amdhsa_exception_fp_ieee_inexact 0
		.amdhsa_exception_int_div_zero 0
	.end_amdhsa_kernel
	.section	.text._ZN7rocprim17ROCPRIM_400000_NS6detail17trampoline_kernelINS0_14default_configENS1_25partition_config_selectorILNS1_17partition_subalgoE8ElNS0_10empty_typeEbEEZZNS1_14partition_implILS5_8ELb0ES3_jPlPS6_PKS6_NS0_5tupleIJS9_S6_EEENSD_IJSA_SA_EEENS0_18inequality_wrapperIZN2at6native12_GLOBAL__N_124unique_dim_cuda_templateIbEESt5tupleIJNSH_6TensorESM_SM_EERKSM_lbbbEUlllE0_EEPmJS6_EEE10hipError_tPvRmT3_T4_T5_T6_T7_T9_mT8_P12ihipStream_tbDpT10_ENKUlT_T0_E_clISt17integral_constantIbLb1EES1B_IbLb0EEEEDaS17_S18_EUlS17_E_NS1_11comp_targetILNS1_3genE0ELNS1_11target_archE4294967295ELNS1_3gpuE0ELNS1_3repE0EEENS1_30default_config_static_selectorELNS0_4arch9wavefront6targetE1EEEvT1_,"axG",@progbits,_ZN7rocprim17ROCPRIM_400000_NS6detail17trampoline_kernelINS0_14default_configENS1_25partition_config_selectorILNS1_17partition_subalgoE8ElNS0_10empty_typeEbEEZZNS1_14partition_implILS5_8ELb0ES3_jPlPS6_PKS6_NS0_5tupleIJS9_S6_EEENSD_IJSA_SA_EEENS0_18inequality_wrapperIZN2at6native12_GLOBAL__N_124unique_dim_cuda_templateIbEESt5tupleIJNSH_6TensorESM_SM_EERKSM_lbbbEUlllE0_EEPmJS6_EEE10hipError_tPvRmT3_T4_T5_T6_T7_T9_mT8_P12ihipStream_tbDpT10_ENKUlT_T0_E_clISt17integral_constantIbLb1EES1B_IbLb0EEEEDaS17_S18_EUlS17_E_NS1_11comp_targetILNS1_3genE0ELNS1_11target_archE4294967295ELNS1_3gpuE0ELNS1_3repE0EEENS1_30default_config_static_selectorELNS0_4arch9wavefront6targetE1EEEvT1_,comdat
.Lfunc_end1067:
	.size	_ZN7rocprim17ROCPRIM_400000_NS6detail17trampoline_kernelINS0_14default_configENS1_25partition_config_selectorILNS1_17partition_subalgoE8ElNS0_10empty_typeEbEEZZNS1_14partition_implILS5_8ELb0ES3_jPlPS6_PKS6_NS0_5tupleIJS9_S6_EEENSD_IJSA_SA_EEENS0_18inequality_wrapperIZN2at6native12_GLOBAL__N_124unique_dim_cuda_templateIbEESt5tupleIJNSH_6TensorESM_SM_EERKSM_lbbbEUlllE0_EEPmJS6_EEE10hipError_tPvRmT3_T4_T5_T6_T7_T9_mT8_P12ihipStream_tbDpT10_ENKUlT_T0_E_clISt17integral_constantIbLb1EES1B_IbLb0EEEEDaS17_S18_EUlS17_E_NS1_11comp_targetILNS1_3genE0ELNS1_11target_archE4294967295ELNS1_3gpuE0ELNS1_3repE0EEENS1_30default_config_static_selectorELNS0_4arch9wavefront6targetE1EEEvT1_, .Lfunc_end1067-_ZN7rocprim17ROCPRIM_400000_NS6detail17trampoline_kernelINS0_14default_configENS1_25partition_config_selectorILNS1_17partition_subalgoE8ElNS0_10empty_typeEbEEZZNS1_14partition_implILS5_8ELb0ES3_jPlPS6_PKS6_NS0_5tupleIJS9_S6_EEENSD_IJSA_SA_EEENS0_18inequality_wrapperIZN2at6native12_GLOBAL__N_124unique_dim_cuda_templateIbEESt5tupleIJNSH_6TensorESM_SM_EERKSM_lbbbEUlllE0_EEPmJS6_EEE10hipError_tPvRmT3_T4_T5_T6_T7_T9_mT8_P12ihipStream_tbDpT10_ENKUlT_T0_E_clISt17integral_constantIbLb1EES1B_IbLb0EEEEDaS17_S18_EUlS17_E_NS1_11comp_targetILNS1_3genE0ELNS1_11target_archE4294967295ELNS1_3gpuE0ELNS1_3repE0EEENS1_30default_config_static_selectorELNS0_4arch9wavefront6targetE1EEEvT1_
                                        ; -- End function
	.set _ZN7rocprim17ROCPRIM_400000_NS6detail17trampoline_kernelINS0_14default_configENS1_25partition_config_selectorILNS1_17partition_subalgoE8ElNS0_10empty_typeEbEEZZNS1_14partition_implILS5_8ELb0ES3_jPlPS6_PKS6_NS0_5tupleIJS9_S6_EEENSD_IJSA_SA_EEENS0_18inequality_wrapperIZN2at6native12_GLOBAL__N_124unique_dim_cuda_templateIbEESt5tupleIJNSH_6TensorESM_SM_EERKSM_lbbbEUlllE0_EEPmJS6_EEE10hipError_tPvRmT3_T4_T5_T6_T7_T9_mT8_P12ihipStream_tbDpT10_ENKUlT_T0_E_clISt17integral_constantIbLb1EES1B_IbLb0EEEEDaS17_S18_EUlS17_E_NS1_11comp_targetILNS1_3genE0ELNS1_11target_archE4294967295ELNS1_3gpuE0ELNS1_3repE0EEENS1_30default_config_static_selectorELNS0_4arch9wavefront6targetE1EEEvT1_.num_vgpr, 0
	.set _ZN7rocprim17ROCPRIM_400000_NS6detail17trampoline_kernelINS0_14default_configENS1_25partition_config_selectorILNS1_17partition_subalgoE8ElNS0_10empty_typeEbEEZZNS1_14partition_implILS5_8ELb0ES3_jPlPS6_PKS6_NS0_5tupleIJS9_S6_EEENSD_IJSA_SA_EEENS0_18inequality_wrapperIZN2at6native12_GLOBAL__N_124unique_dim_cuda_templateIbEESt5tupleIJNSH_6TensorESM_SM_EERKSM_lbbbEUlllE0_EEPmJS6_EEE10hipError_tPvRmT3_T4_T5_T6_T7_T9_mT8_P12ihipStream_tbDpT10_ENKUlT_T0_E_clISt17integral_constantIbLb1EES1B_IbLb0EEEEDaS17_S18_EUlS17_E_NS1_11comp_targetILNS1_3genE0ELNS1_11target_archE4294967295ELNS1_3gpuE0ELNS1_3repE0EEENS1_30default_config_static_selectorELNS0_4arch9wavefront6targetE1EEEvT1_.num_agpr, 0
	.set _ZN7rocprim17ROCPRIM_400000_NS6detail17trampoline_kernelINS0_14default_configENS1_25partition_config_selectorILNS1_17partition_subalgoE8ElNS0_10empty_typeEbEEZZNS1_14partition_implILS5_8ELb0ES3_jPlPS6_PKS6_NS0_5tupleIJS9_S6_EEENSD_IJSA_SA_EEENS0_18inequality_wrapperIZN2at6native12_GLOBAL__N_124unique_dim_cuda_templateIbEESt5tupleIJNSH_6TensorESM_SM_EERKSM_lbbbEUlllE0_EEPmJS6_EEE10hipError_tPvRmT3_T4_T5_T6_T7_T9_mT8_P12ihipStream_tbDpT10_ENKUlT_T0_E_clISt17integral_constantIbLb1EES1B_IbLb0EEEEDaS17_S18_EUlS17_E_NS1_11comp_targetILNS1_3genE0ELNS1_11target_archE4294967295ELNS1_3gpuE0ELNS1_3repE0EEENS1_30default_config_static_selectorELNS0_4arch9wavefront6targetE1EEEvT1_.numbered_sgpr, 0
	.set _ZN7rocprim17ROCPRIM_400000_NS6detail17trampoline_kernelINS0_14default_configENS1_25partition_config_selectorILNS1_17partition_subalgoE8ElNS0_10empty_typeEbEEZZNS1_14partition_implILS5_8ELb0ES3_jPlPS6_PKS6_NS0_5tupleIJS9_S6_EEENSD_IJSA_SA_EEENS0_18inequality_wrapperIZN2at6native12_GLOBAL__N_124unique_dim_cuda_templateIbEESt5tupleIJNSH_6TensorESM_SM_EERKSM_lbbbEUlllE0_EEPmJS6_EEE10hipError_tPvRmT3_T4_T5_T6_T7_T9_mT8_P12ihipStream_tbDpT10_ENKUlT_T0_E_clISt17integral_constantIbLb1EES1B_IbLb0EEEEDaS17_S18_EUlS17_E_NS1_11comp_targetILNS1_3genE0ELNS1_11target_archE4294967295ELNS1_3gpuE0ELNS1_3repE0EEENS1_30default_config_static_selectorELNS0_4arch9wavefront6targetE1EEEvT1_.num_named_barrier, 0
	.set _ZN7rocprim17ROCPRIM_400000_NS6detail17trampoline_kernelINS0_14default_configENS1_25partition_config_selectorILNS1_17partition_subalgoE8ElNS0_10empty_typeEbEEZZNS1_14partition_implILS5_8ELb0ES3_jPlPS6_PKS6_NS0_5tupleIJS9_S6_EEENSD_IJSA_SA_EEENS0_18inequality_wrapperIZN2at6native12_GLOBAL__N_124unique_dim_cuda_templateIbEESt5tupleIJNSH_6TensorESM_SM_EERKSM_lbbbEUlllE0_EEPmJS6_EEE10hipError_tPvRmT3_T4_T5_T6_T7_T9_mT8_P12ihipStream_tbDpT10_ENKUlT_T0_E_clISt17integral_constantIbLb1EES1B_IbLb0EEEEDaS17_S18_EUlS17_E_NS1_11comp_targetILNS1_3genE0ELNS1_11target_archE4294967295ELNS1_3gpuE0ELNS1_3repE0EEENS1_30default_config_static_selectorELNS0_4arch9wavefront6targetE1EEEvT1_.private_seg_size, 0
	.set _ZN7rocprim17ROCPRIM_400000_NS6detail17trampoline_kernelINS0_14default_configENS1_25partition_config_selectorILNS1_17partition_subalgoE8ElNS0_10empty_typeEbEEZZNS1_14partition_implILS5_8ELb0ES3_jPlPS6_PKS6_NS0_5tupleIJS9_S6_EEENSD_IJSA_SA_EEENS0_18inequality_wrapperIZN2at6native12_GLOBAL__N_124unique_dim_cuda_templateIbEESt5tupleIJNSH_6TensorESM_SM_EERKSM_lbbbEUlllE0_EEPmJS6_EEE10hipError_tPvRmT3_T4_T5_T6_T7_T9_mT8_P12ihipStream_tbDpT10_ENKUlT_T0_E_clISt17integral_constantIbLb1EES1B_IbLb0EEEEDaS17_S18_EUlS17_E_NS1_11comp_targetILNS1_3genE0ELNS1_11target_archE4294967295ELNS1_3gpuE0ELNS1_3repE0EEENS1_30default_config_static_selectorELNS0_4arch9wavefront6targetE1EEEvT1_.uses_vcc, 0
	.set _ZN7rocprim17ROCPRIM_400000_NS6detail17trampoline_kernelINS0_14default_configENS1_25partition_config_selectorILNS1_17partition_subalgoE8ElNS0_10empty_typeEbEEZZNS1_14partition_implILS5_8ELb0ES3_jPlPS6_PKS6_NS0_5tupleIJS9_S6_EEENSD_IJSA_SA_EEENS0_18inequality_wrapperIZN2at6native12_GLOBAL__N_124unique_dim_cuda_templateIbEESt5tupleIJNSH_6TensorESM_SM_EERKSM_lbbbEUlllE0_EEPmJS6_EEE10hipError_tPvRmT3_T4_T5_T6_T7_T9_mT8_P12ihipStream_tbDpT10_ENKUlT_T0_E_clISt17integral_constantIbLb1EES1B_IbLb0EEEEDaS17_S18_EUlS17_E_NS1_11comp_targetILNS1_3genE0ELNS1_11target_archE4294967295ELNS1_3gpuE0ELNS1_3repE0EEENS1_30default_config_static_selectorELNS0_4arch9wavefront6targetE1EEEvT1_.uses_flat_scratch, 0
	.set _ZN7rocprim17ROCPRIM_400000_NS6detail17trampoline_kernelINS0_14default_configENS1_25partition_config_selectorILNS1_17partition_subalgoE8ElNS0_10empty_typeEbEEZZNS1_14partition_implILS5_8ELb0ES3_jPlPS6_PKS6_NS0_5tupleIJS9_S6_EEENSD_IJSA_SA_EEENS0_18inequality_wrapperIZN2at6native12_GLOBAL__N_124unique_dim_cuda_templateIbEESt5tupleIJNSH_6TensorESM_SM_EERKSM_lbbbEUlllE0_EEPmJS6_EEE10hipError_tPvRmT3_T4_T5_T6_T7_T9_mT8_P12ihipStream_tbDpT10_ENKUlT_T0_E_clISt17integral_constantIbLb1EES1B_IbLb0EEEEDaS17_S18_EUlS17_E_NS1_11comp_targetILNS1_3genE0ELNS1_11target_archE4294967295ELNS1_3gpuE0ELNS1_3repE0EEENS1_30default_config_static_selectorELNS0_4arch9wavefront6targetE1EEEvT1_.has_dyn_sized_stack, 0
	.set _ZN7rocprim17ROCPRIM_400000_NS6detail17trampoline_kernelINS0_14default_configENS1_25partition_config_selectorILNS1_17partition_subalgoE8ElNS0_10empty_typeEbEEZZNS1_14partition_implILS5_8ELb0ES3_jPlPS6_PKS6_NS0_5tupleIJS9_S6_EEENSD_IJSA_SA_EEENS0_18inequality_wrapperIZN2at6native12_GLOBAL__N_124unique_dim_cuda_templateIbEESt5tupleIJNSH_6TensorESM_SM_EERKSM_lbbbEUlllE0_EEPmJS6_EEE10hipError_tPvRmT3_T4_T5_T6_T7_T9_mT8_P12ihipStream_tbDpT10_ENKUlT_T0_E_clISt17integral_constantIbLb1EES1B_IbLb0EEEEDaS17_S18_EUlS17_E_NS1_11comp_targetILNS1_3genE0ELNS1_11target_archE4294967295ELNS1_3gpuE0ELNS1_3repE0EEENS1_30default_config_static_selectorELNS0_4arch9wavefront6targetE1EEEvT1_.has_recursion, 0
	.set _ZN7rocprim17ROCPRIM_400000_NS6detail17trampoline_kernelINS0_14default_configENS1_25partition_config_selectorILNS1_17partition_subalgoE8ElNS0_10empty_typeEbEEZZNS1_14partition_implILS5_8ELb0ES3_jPlPS6_PKS6_NS0_5tupleIJS9_S6_EEENSD_IJSA_SA_EEENS0_18inequality_wrapperIZN2at6native12_GLOBAL__N_124unique_dim_cuda_templateIbEESt5tupleIJNSH_6TensorESM_SM_EERKSM_lbbbEUlllE0_EEPmJS6_EEE10hipError_tPvRmT3_T4_T5_T6_T7_T9_mT8_P12ihipStream_tbDpT10_ENKUlT_T0_E_clISt17integral_constantIbLb1EES1B_IbLb0EEEEDaS17_S18_EUlS17_E_NS1_11comp_targetILNS1_3genE0ELNS1_11target_archE4294967295ELNS1_3gpuE0ELNS1_3repE0EEENS1_30default_config_static_selectorELNS0_4arch9wavefront6targetE1EEEvT1_.has_indirect_call, 0
	.section	.AMDGPU.csdata,"",@progbits
; Kernel info:
; codeLenInByte = 4
; TotalNumSgprs: 6
; NumVgprs: 0
; NumAgprs: 0
; TotalNumVgprs: 0
; ScratchSize: 0
; MemoryBound: 0
; FloatMode: 240
; IeeeMode: 1
; LDSByteSize: 0 bytes/workgroup (compile time only)
; SGPRBlocks: 0
; VGPRBlocks: 0
; NumSGPRsForWavesPerEU: 6
; NumVGPRsForWavesPerEU: 1
; AccumOffset: 4
; Occupancy: 8
; WaveLimiterHint : 0
; COMPUTE_PGM_RSRC2:SCRATCH_EN: 0
; COMPUTE_PGM_RSRC2:USER_SGPR: 2
; COMPUTE_PGM_RSRC2:TRAP_HANDLER: 0
; COMPUTE_PGM_RSRC2:TGID_X_EN: 1
; COMPUTE_PGM_RSRC2:TGID_Y_EN: 0
; COMPUTE_PGM_RSRC2:TGID_Z_EN: 0
; COMPUTE_PGM_RSRC2:TIDIG_COMP_CNT: 0
; COMPUTE_PGM_RSRC3_GFX90A:ACCUM_OFFSET: 0
; COMPUTE_PGM_RSRC3_GFX90A:TG_SPLIT: 0
	.section	.text._ZN7rocprim17ROCPRIM_400000_NS6detail17trampoline_kernelINS0_14default_configENS1_25partition_config_selectorILNS1_17partition_subalgoE8ElNS0_10empty_typeEbEEZZNS1_14partition_implILS5_8ELb0ES3_jPlPS6_PKS6_NS0_5tupleIJS9_S6_EEENSD_IJSA_SA_EEENS0_18inequality_wrapperIZN2at6native12_GLOBAL__N_124unique_dim_cuda_templateIbEESt5tupleIJNSH_6TensorESM_SM_EERKSM_lbbbEUlllE0_EEPmJS6_EEE10hipError_tPvRmT3_T4_T5_T6_T7_T9_mT8_P12ihipStream_tbDpT10_ENKUlT_T0_E_clISt17integral_constantIbLb1EES1B_IbLb0EEEEDaS17_S18_EUlS17_E_NS1_11comp_targetILNS1_3genE5ELNS1_11target_archE942ELNS1_3gpuE9ELNS1_3repE0EEENS1_30default_config_static_selectorELNS0_4arch9wavefront6targetE1EEEvT1_,"axG",@progbits,_ZN7rocprim17ROCPRIM_400000_NS6detail17trampoline_kernelINS0_14default_configENS1_25partition_config_selectorILNS1_17partition_subalgoE8ElNS0_10empty_typeEbEEZZNS1_14partition_implILS5_8ELb0ES3_jPlPS6_PKS6_NS0_5tupleIJS9_S6_EEENSD_IJSA_SA_EEENS0_18inequality_wrapperIZN2at6native12_GLOBAL__N_124unique_dim_cuda_templateIbEESt5tupleIJNSH_6TensorESM_SM_EERKSM_lbbbEUlllE0_EEPmJS6_EEE10hipError_tPvRmT3_T4_T5_T6_T7_T9_mT8_P12ihipStream_tbDpT10_ENKUlT_T0_E_clISt17integral_constantIbLb1EES1B_IbLb0EEEEDaS17_S18_EUlS17_E_NS1_11comp_targetILNS1_3genE5ELNS1_11target_archE942ELNS1_3gpuE9ELNS1_3repE0EEENS1_30default_config_static_selectorELNS0_4arch9wavefront6targetE1EEEvT1_,comdat
	.globl	_ZN7rocprim17ROCPRIM_400000_NS6detail17trampoline_kernelINS0_14default_configENS1_25partition_config_selectorILNS1_17partition_subalgoE8ElNS0_10empty_typeEbEEZZNS1_14partition_implILS5_8ELb0ES3_jPlPS6_PKS6_NS0_5tupleIJS9_S6_EEENSD_IJSA_SA_EEENS0_18inequality_wrapperIZN2at6native12_GLOBAL__N_124unique_dim_cuda_templateIbEESt5tupleIJNSH_6TensorESM_SM_EERKSM_lbbbEUlllE0_EEPmJS6_EEE10hipError_tPvRmT3_T4_T5_T6_T7_T9_mT8_P12ihipStream_tbDpT10_ENKUlT_T0_E_clISt17integral_constantIbLb1EES1B_IbLb0EEEEDaS17_S18_EUlS17_E_NS1_11comp_targetILNS1_3genE5ELNS1_11target_archE942ELNS1_3gpuE9ELNS1_3repE0EEENS1_30default_config_static_selectorELNS0_4arch9wavefront6targetE1EEEvT1_ ; -- Begin function _ZN7rocprim17ROCPRIM_400000_NS6detail17trampoline_kernelINS0_14default_configENS1_25partition_config_selectorILNS1_17partition_subalgoE8ElNS0_10empty_typeEbEEZZNS1_14partition_implILS5_8ELb0ES3_jPlPS6_PKS6_NS0_5tupleIJS9_S6_EEENSD_IJSA_SA_EEENS0_18inequality_wrapperIZN2at6native12_GLOBAL__N_124unique_dim_cuda_templateIbEESt5tupleIJNSH_6TensorESM_SM_EERKSM_lbbbEUlllE0_EEPmJS6_EEE10hipError_tPvRmT3_T4_T5_T6_T7_T9_mT8_P12ihipStream_tbDpT10_ENKUlT_T0_E_clISt17integral_constantIbLb1EES1B_IbLb0EEEEDaS17_S18_EUlS17_E_NS1_11comp_targetILNS1_3genE5ELNS1_11target_archE942ELNS1_3gpuE9ELNS1_3repE0EEENS1_30default_config_static_selectorELNS0_4arch9wavefront6targetE1EEEvT1_
	.p2align	8
	.type	_ZN7rocprim17ROCPRIM_400000_NS6detail17trampoline_kernelINS0_14default_configENS1_25partition_config_selectorILNS1_17partition_subalgoE8ElNS0_10empty_typeEbEEZZNS1_14partition_implILS5_8ELb0ES3_jPlPS6_PKS6_NS0_5tupleIJS9_S6_EEENSD_IJSA_SA_EEENS0_18inequality_wrapperIZN2at6native12_GLOBAL__N_124unique_dim_cuda_templateIbEESt5tupleIJNSH_6TensorESM_SM_EERKSM_lbbbEUlllE0_EEPmJS6_EEE10hipError_tPvRmT3_T4_T5_T6_T7_T9_mT8_P12ihipStream_tbDpT10_ENKUlT_T0_E_clISt17integral_constantIbLb1EES1B_IbLb0EEEEDaS17_S18_EUlS17_E_NS1_11comp_targetILNS1_3genE5ELNS1_11target_archE942ELNS1_3gpuE9ELNS1_3repE0EEENS1_30default_config_static_selectorELNS0_4arch9wavefront6targetE1EEEvT1_,@function
_ZN7rocprim17ROCPRIM_400000_NS6detail17trampoline_kernelINS0_14default_configENS1_25partition_config_selectorILNS1_17partition_subalgoE8ElNS0_10empty_typeEbEEZZNS1_14partition_implILS5_8ELb0ES3_jPlPS6_PKS6_NS0_5tupleIJS9_S6_EEENSD_IJSA_SA_EEENS0_18inequality_wrapperIZN2at6native12_GLOBAL__N_124unique_dim_cuda_templateIbEESt5tupleIJNSH_6TensorESM_SM_EERKSM_lbbbEUlllE0_EEPmJS6_EEE10hipError_tPvRmT3_T4_T5_T6_T7_T9_mT8_P12ihipStream_tbDpT10_ENKUlT_T0_E_clISt17integral_constantIbLb1EES1B_IbLb0EEEEDaS17_S18_EUlS17_E_NS1_11comp_targetILNS1_3genE5ELNS1_11target_archE942ELNS1_3gpuE9ELNS1_3repE0EEENS1_30default_config_static_selectorELNS0_4arch9wavefront6targetE1EEEvT1_: ; @_ZN7rocprim17ROCPRIM_400000_NS6detail17trampoline_kernelINS0_14default_configENS1_25partition_config_selectorILNS1_17partition_subalgoE8ElNS0_10empty_typeEbEEZZNS1_14partition_implILS5_8ELb0ES3_jPlPS6_PKS6_NS0_5tupleIJS9_S6_EEENSD_IJSA_SA_EEENS0_18inequality_wrapperIZN2at6native12_GLOBAL__N_124unique_dim_cuda_templateIbEESt5tupleIJNSH_6TensorESM_SM_EERKSM_lbbbEUlllE0_EEPmJS6_EEE10hipError_tPvRmT3_T4_T5_T6_T7_T9_mT8_P12ihipStream_tbDpT10_ENKUlT_T0_E_clISt17integral_constantIbLb1EES1B_IbLb0EEEEDaS17_S18_EUlS17_E_NS1_11comp_targetILNS1_3genE5ELNS1_11target_archE942ELNS1_3gpuE9ELNS1_3repE0EEENS1_30default_config_static_selectorELNS0_4arch9wavefront6targetE1EEEvT1_
; %bb.0:
	.section	.rodata,"a",@progbits
	.p2align	6, 0x0
	.amdhsa_kernel _ZN7rocprim17ROCPRIM_400000_NS6detail17trampoline_kernelINS0_14default_configENS1_25partition_config_selectorILNS1_17partition_subalgoE8ElNS0_10empty_typeEbEEZZNS1_14partition_implILS5_8ELb0ES3_jPlPS6_PKS6_NS0_5tupleIJS9_S6_EEENSD_IJSA_SA_EEENS0_18inequality_wrapperIZN2at6native12_GLOBAL__N_124unique_dim_cuda_templateIbEESt5tupleIJNSH_6TensorESM_SM_EERKSM_lbbbEUlllE0_EEPmJS6_EEE10hipError_tPvRmT3_T4_T5_T6_T7_T9_mT8_P12ihipStream_tbDpT10_ENKUlT_T0_E_clISt17integral_constantIbLb1EES1B_IbLb0EEEEDaS17_S18_EUlS17_E_NS1_11comp_targetILNS1_3genE5ELNS1_11target_archE942ELNS1_3gpuE9ELNS1_3repE0EEENS1_30default_config_static_selectorELNS0_4arch9wavefront6targetE1EEEvT1_
		.amdhsa_group_segment_fixed_size 0
		.amdhsa_private_segment_fixed_size 0
		.amdhsa_kernarg_size 120
		.amdhsa_user_sgpr_count 2
		.amdhsa_user_sgpr_dispatch_ptr 0
		.amdhsa_user_sgpr_queue_ptr 0
		.amdhsa_user_sgpr_kernarg_segment_ptr 1
		.amdhsa_user_sgpr_dispatch_id 0
		.amdhsa_user_sgpr_kernarg_preload_length 0
		.amdhsa_user_sgpr_kernarg_preload_offset 0
		.amdhsa_user_sgpr_private_segment_size 0
		.amdhsa_uses_dynamic_stack 0
		.amdhsa_enable_private_segment 0
		.amdhsa_system_sgpr_workgroup_id_x 1
		.amdhsa_system_sgpr_workgroup_id_y 0
		.amdhsa_system_sgpr_workgroup_id_z 0
		.amdhsa_system_sgpr_workgroup_info 0
		.amdhsa_system_vgpr_workitem_id 0
		.amdhsa_next_free_vgpr 1
		.amdhsa_next_free_sgpr 0
		.amdhsa_accum_offset 4
		.amdhsa_reserve_vcc 0
		.amdhsa_float_round_mode_32 0
		.amdhsa_float_round_mode_16_64 0
		.amdhsa_float_denorm_mode_32 3
		.amdhsa_float_denorm_mode_16_64 3
		.amdhsa_dx10_clamp 1
		.amdhsa_ieee_mode 1
		.amdhsa_fp16_overflow 0
		.amdhsa_tg_split 0
		.amdhsa_exception_fp_ieee_invalid_op 0
		.amdhsa_exception_fp_denorm_src 0
		.amdhsa_exception_fp_ieee_div_zero 0
		.amdhsa_exception_fp_ieee_overflow 0
		.amdhsa_exception_fp_ieee_underflow 0
		.amdhsa_exception_fp_ieee_inexact 0
		.amdhsa_exception_int_div_zero 0
	.end_amdhsa_kernel
	.section	.text._ZN7rocprim17ROCPRIM_400000_NS6detail17trampoline_kernelINS0_14default_configENS1_25partition_config_selectorILNS1_17partition_subalgoE8ElNS0_10empty_typeEbEEZZNS1_14partition_implILS5_8ELb0ES3_jPlPS6_PKS6_NS0_5tupleIJS9_S6_EEENSD_IJSA_SA_EEENS0_18inequality_wrapperIZN2at6native12_GLOBAL__N_124unique_dim_cuda_templateIbEESt5tupleIJNSH_6TensorESM_SM_EERKSM_lbbbEUlllE0_EEPmJS6_EEE10hipError_tPvRmT3_T4_T5_T6_T7_T9_mT8_P12ihipStream_tbDpT10_ENKUlT_T0_E_clISt17integral_constantIbLb1EES1B_IbLb0EEEEDaS17_S18_EUlS17_E_NS1_11comp_targetILNS1_3genE5ELNS1_11target_archE942ELNS1_3gpuE9ELNS1_3repE0EEENS1_30default_config_static_selectorELNS0_4arch9wavefront6targetE1EEEvT1_,"axG",@progbits,_ZN7rocprim17ROCPRIM_400000_NS6detail17trampoline_kernelINS0_14default_configENS1_25partition_config_selectorILNS1_17partition_subalgoE8ElNS0_10empty_typeEbEEZZNS1_14partition_implILS5_8ELb0ES3_jPlPS6_PKS6_NS0_5tupleIJS9_S6_EEENSD_IJSA_SA_EEENS0_18inequality_wrapperIZN2at6native12_GLOBAL__N_124unique_dim_cuda_templateIbEESt5tupleIJNSH_6TensorESM_SM_EERKSM_lbbbEUlllE0_EEPmJS6_EEE10hipError_tPvRmT3_T4_T5_T6_T7_T9_mT8_P12ihipStream_tbDpT10_ENKUlT_T0_E_clISt17integral_constantIbLb1EES1B_IbLb0EEEEDaS17_S18_EUlS17_E_NS1_11comp_targetILNS1_3genE5ELNS1_11target_archE942ELNS1_3gpuE9ELNS1_3repE0EEENS1_30default_config_static_selectorELNS0_4arch9wavefront6targetE1EEEvT1_,comdat
.Lfunc_end1068:
	.size	_ZN7rocprim17ROCPRIM_400000_NS6detail17trampoline_kernelINS0_14default_configENS1_25partition_config_selectorILNS1_17partition_subalgoE8ElNS0_10empty_typeEbEEZZNS1_14partition_implILS5_8ELb0ES3_jPlPS6_PKS6_NS0_5tupleIJS9_S6_EEENSD_IJSA_SA_EEENS0_18inequality_wrapperIZN2at6native12_GLOBAL__N_124unique_dim_cuda_templateIbEESt5tupleIJNSH_6TensorESM_SM_EERKSM_lbbbEUlllE0_EEPmJS6_EEE10hipError_tPvRmT3_T4_T5_T6_T7_T9_mT8_P12ihipStream_tbDpT10_ENKUlT_T0_E_clISt17integral_constantIbLb1EES1B_IbLb0EEEEDaS17_S18_EUlS17_E_NS1_11comp_targetILNS1_3genE5ELNS1_11target_archE942ELNS1_3gpuE9ELNS1_3repE0EEENS1_30default_config_static_selectorELNS0_4arch9wavefront6targetE1EEEvT1_, .Lfunc_end1068-_ZN7rocprim17ROCPRIM_400000_NS6detail17trampoline_kernelINS0_14default_configENS1_25partition_config_selectorILNS1_17partition_subalgoE8ElNS0_10empty_typeEbEEZZNS1_14partition_implILS5_8ELb0ES3_jPlPS6_PKS6_NS0_5tupleIJS9_S6_EEENSD_IJSA_SA_EEENS0_18inequality_wrapperIZN2at6native12_GLOBAL__N_124unique_dim_cuda_templateIbEESt5tupleIJNSH_6TensorESM_SM_EERKSM_lbbbEUlllE0_EEPmJS6_EEE10hipError_tPvRmT3_T4_T5_T6_T7_T9_mT8_P12ihipStream_tbDpT10_ENKUlT_T0_E_clISt17integral_constantIbLb1EES1B_IbLb0EEEEDaS17_S18_EUlS17_E_NS1_11comp_targetILNS1_3genE5ELNS1_11target_archE942ELNS1_3gpuE9ELNS1_3repE0EEENS1_30default_config_static_selectorELNS0_4arch9wavefront6targetE1EEEvT1_
                                        ; -- End function
	.set _ZN7rocprim17ROCPRIM_400000_NS6detail17trampoline_kernelINS0_14default_configENS1_25partition_config_selectorILNS1_17partition_subalgoE8ElNS0_10empty_typeEbEEZZNS1_14partition_implILS5_8ELb0ES3_jPlPS6_PKS6_NS0_5tupleIJS9_S6_EEENSD_IJSA_SA_EEENS0_18inequality_wrapperIZN2at6native12_GLOBAL__N_124unique_dim_cuda_templateIbEESt5tupleIJNSH_6TensorESM_SM_EERKSM_lbbbEUlllE0_EEPmJS6_EEE10hipError_tPvRmT3_T4_T5_T6_T7_T9_mT8_P12ihipStream_tbDpT10_ENKUlT_T0_E_clISt17integral_constantIbLb1EES1B_IbLb0EEEEDaS17_S18_EUlS17_E_NS1_11comp_targetILNS1_3genE5ELNS1_11target_archE942ELNS1_3gpuE9ELNS1_3repE0EEENS1_30default_config_static_selectorELNS0_4arch9wavefront6targetE1EEEvT1_.num_vgpr, 0
	.set _ZN7rocprim17ROCPRIM_400000_NS6detail17trampoline_kernelINS0_14default_configENS1_25partition_config_selectorILNS1_17partition_subalgoE8ElNS0_10empty_typeEbEEZZNS1_14partition_implILS5_8ELb0ES3_jPlPS6_PKS6_NS0_5tupleIJS9_S6_EEENSD_IJSA_SA_EEENS0_18inequality_wrapperIZN2at6native12_GLOBAL__N_124unique_dim_cuda_templateIbEESt5tupleIJNSH_6TensorESM_SM_EERKSM_lbbbEUlllE0_EEPmJS6_EEE10hipError_tPvRmT3_T4_T5_T6_T7_T9_mT8_P12ihipStream_tbDpT10_ENKUlT_T0_E_clISt17integral_constantIbLb1EES1B_IbLb0EEEEDaS17_S18_EUlS17_E_NS1_11comp_targetILNS1_3genE5ELNS1_11target_archE942ELNS1_3gpuE9ELNS1_3repE0EEENS1_30default_config_static_selectorELNS0_4arch9wavefront6targetE1EEEvT1_.num_agpr, 0
	.set _ZN7rocprim17ROCPRIM_400000_NS6detail17trampoline_kernelINS0_14default_configENS1_25partition_config_selectorILNS1_17partition_subalgoE8ElNS0_10empty_typeEbEEZZNS1_14partition_implILS5_8ELb0ES3_jPlPS6_PKS6_NS0_5tupleIJS9_S6_EEENSD_IJSA_SA_EEENS0_18inequality_wrapperIZN2at6native12_GLOBAL__N_124unique_dim_cuda_templateIbEESt5tupleIJNSH_6TensorESM_SM_EERKSM_lbbbEUlllE0_EEPmJS6_EEE10hipError_tPvRmT3_T4_T5_T6_T7_T9_mT8_P12ihipStream_tbDpT10_ENKUlT_T0_E_clISt17integral_constantIbLb1EES1B_IbLb0EEEEDaS17_S18_EUlS17_E_NS1_11comp_targetILNS1_3genE5ELNS1_11target_archE942ELNS1_3gpuE9ELNS1_3repE0EEENS1_30default_config_static_selectorELNS0_4arch9wavefront6targetE1EEEvT1_.numbered_sgpr, 0
	.set _ZN7rocprim17ROCPRIM_400000_NS6detail17trampoline_kernelINS0_14default_configENS1_25partition_config_selectorILNS1_17partition_subalgoE8ElNS0_10empty_typeEbEEZZNS1_14partition_implILS5_8ELb0ES3_jPlPS6_PKS6_NS0_5tupleIJS9_S6_EEENSD_IJSA_SA_EEENS0_18inequality_wrapperIZN2at6native12_GLOBAL__N_124unique_dim_cuda_templateIbEESt5tupleIJNSH_6TensorESM_SM_EERKSM_lbbbEUlllE0_EEPmJS6_EEE10hipError_tPvRmT3_T4_T5_T6_T7_T9_mT8_P12ihipStream_tbDpT10_ENKUlT_T0_E_clISt17integral_constantIbLb1EES1B_IbLb0EEEEDaS17_S18_EUlS17_E_NS1_11comp_targetILNS1_3genE5ELNS1_11target_archE942ELNS1_3gpuE9ELNS1_3repE0EEENS1_30default_config_static_selectorELNS0_4arch9wavefront6targetE1EEEvT1_.num_named_barrier, 0
	.set _ZN7rocprim17ROCPRIM_400000_NS6detail17trampoline_kernelINS0_14default_configENS1_25partition_config_selectorILNS1_17partition_subalgoE8ElNS0_10empty_typeEbEEZZNS1_14partition_implILS5_8ELb0ES3_jPlPS6_PKS6_NS0_5tupleIJS9_S6_EEENSD_IJSA_SA_EEENS0_18inequality_wrapperIZN2at6native12_GLOBAL__N_124unique_dim_cuda_templateIbEESt5tupleIJNSH_6TensorESM_SM_EERKSM_lbbbEUlllE0_EEPmJS6_EEE10hipError_tPvRmT3_T4_T5_T6_T7_T9_mT8_P12ihipStream_tbDpT10_ENKUlT_T0_E_clISt17integral_constantIbLb1EES1B_IbLb0EEEEDaS17_S18_EUlS17_E_NS1_11comp_targetILNS1_3genE5ELNS1_11target_archE942ELNS1_3gpuE9ELNS1_3repE0EEENS1_30default_config_static_selectorELNS0_4arch9wavefront6targetE1EEEvT1_.private_seg_size, 0
	.set _ZN7rocprim17ROCPRIM_400000_NS6detail17trampoline_kernelINS0_14default_configENS1_25partition_config_selectorILNS1_17partition_subalgoE8ElNS0_10empty_typeEbEEZZNS1_14partition_implILS5_8ELb0ES3_jPlPS6_PKS6_NS0_5tupleIJS9_S6_EEENSD_IJSA_SA_EEENS0_18inequality_wrapperIZN2at6native12_GLOBAL__N_124unique_dim_cuda_templateIbEESt5tupleIJNSH_6TensorESM_SM_EERKSM_lbbbEUlllE0_EEPmJS6_EEE10hipError_tPvRmT3_T4_T5_T6_T7_T9_mT8_P12ihipStream_tbDpT10_ENKUlT_T0_E_clISt17integral_constantIbLb1EES1B_IbLb0EEEEDaS17_S18_EUlS17_E_NS1_11comp_targetILNS1_3genE5ELNS1_11target_archE942ELNS1_3gpuE9ELNS1_3repE0EEENS1_30default_config_static_selectorELNS0_4arch9wavefront6targetE1EEEvT1_.uses_vcc, 0
	.set _ZN7rocprim17ROCPRIM_400000_NS6detail17trampoline_kernelINS0_14default_configENS1_25partition_config_selectorILNS1_17partition_subalgoE8ElNS0_10empty_typeEbEEZZNS1_14partition_implILS5_8ELb0ES3_jPlPS6_PKS6_NS0_5tupleIJS9_S6_EEENSD_IJSA_SA_EEENS0_18inequality_wrapperIZN2at6native12_GLOBAL__N_124unique_dim_cuda_templateIbEESt5tupleIJNSH_6TensorESM_SM_EERKSM_lbbbEUlllE0_EEPmJS6_EEE10hipError_tPvRmT3_T4_T5_T6_T7_T9_mT8_P12ihipStream_tbDpT10_ENKUlT_T0_E_clISt17integral_constantIbLb1EES1B_IbLb0EEEEDaS17_S18_EUlS17_E_NS1_11comp_targetILNS1_3genE5ELNS1_11target_archE942ELNS1_3gpuE9ELNS1_3repE0EEENS1_30default_config_static_selectorELNS0_4arch9wavefront6targetE1EEEvT1_.uses_flat_scratch, 0
	.set _ZN7rocprim17ROCPRIM_400000_NS6detail17trampoline_kernelINS0_14default_configENS1_25partition_config_selectorILNS1_17partition_subalgoE8ElNS0_10empty_typeEbEEZZNS1_14partition_implILS5_8ELb0ES3_jPlPS6_PKS6_NS0_5tupleIJS9_S6_EEENSD_IJSA_SA_EEENS0_18inequality_wrapperIZN2at6native12_GLOBAL__N_124unique_dim_cuda_templateIbEESt5tupleIJNSH_6TensorESM_SM_EERKSM_lbbbEUlllE0_EEPmJS6_EEE10hipError_tPvRmT3_T4_T5_T6_T7_T9_mT8_P12ihipStream_tbDpT10_ENKUlT_T0_E_clISt17integral_constantIbLb1EES1B_IbLb0EEEEDaS17_S18_EUlS17_E_NS1_11comp_targetILNS1_3genE5ELNS1_11target_archE942ELNS1_3gpuE9ELNS1_3repE0EEENS1_30default_config_static_selectorELNS0_4arch9wavefront6targetE1EEEvT1_.has_dyn_sized_stack, 0
	.set _ZN7rocprim17ROCPRIM_400000_NS6detail17trampoline_kernelINS0_14default_configENS1_25partition_config_selectorILNS1_17partition_subalgoE8ElNS0_10empty_typeEbEEZZNS1_14partition_implILS5_8ELb0ES3_jPlPS6_PKS6_NS0_5tupleIJS9_S6_EEENSD_IJSA_SA_EEENS0_18inequality_wrapperIZN2at6native12_GLOBAL__N_124unique_dim_cuda_templateIbEESt5tupleIJNSH_6TensorESM_SM_EERKSM_lbbbEUlllE0_EEPmJS6_EEE10hipError_tPvRmT3_T4_T5_T6_T7_T9_mT8_P12ihipStream_tbDpT10_ENKUlT_T0_E_clISt17integral_constantIbLb1EES1B_IbLb0EEEEDaS17_S18_EUlS17_E_NS1_11comp_targetILNS1_3genE5ELNS1_11target_archE942ELNS1_3gpuE9ELNS1_3repE0EEENS1_30default_config_static_selectorELNS0_4arch9wavefront6targetE1EEEvT1_.has_recursion, 0
	.set _ZN7rocprim17ROCPRIM_400000_NS6detail17trampoline_kernelINS0_14default_configENS1_25partition_config_selectorILNS1_17partition_subalgoE8ElNS0_10empty_typeEbEEZZNS1_14partition_implILS5_8ELb0ES3_jPlPS6_PKS6_NS0_5tupleIJS9_S6_EEENSD_IJSA_SA_EEENS0_18inequality_wrapperIZN2at6native12_GLOBAL__N_124unique_dim_cuda_templateIbEESt5tupleIJNSH_6TensorESM_SM_EERKSM_lbbbEUlllE0_EEPmJS6_EEE10hipError_tPvRmT3_T4_T5_T6_T7_T9_mT8_P12ihipStream_tbDpT10_ENKUlT_T0_E_clISt17integral_constantIbLb1EES1B_IbLb0EEEEDaS17_S18_EUlS17_E_NS1_11comp_targetILNS1_3genE5ELNS1_11target_archE942ELNS1_3gpuE9ELNS1_3repE0EEENS1_30default_config_static_selectorELNS0_4arch9wavefront6targetE1EEEvT1_.has_indirect_call, 0
	.section	.AMDGPU.csdata,"",@progbits
; Kernel info:
; codeLenInByte = 0
; TotalNumSgprs: 6
; NumVgprs: 0
; NumAgprs: 0
; TotalNumVgprs: 0
; ScratchSize: 0
; MemoryBound: 0
; FloatMode: 240
; IeeeMode: 1
; LDSByteSize: 0 bytes/workgroup (compile time only)
; SGPRBlocks: 0
; VGPRBlocks: 0
; NumSGPRsForWavesPerEU: 6
; NumVGPRsForWavesPerEU: 1
; AccumOffset: 4
; Occupancy: 8
; WaveLimiterHint : 0
; COMPUTE_PGM_RSRC2:SCRATCH_EN: 0
; COMPUTE_PGM_RSRC2:USER_SGPR: 2
; COMPUTE_PGM_RSRC2:TRAP_HANDLER: 0
; COMPUTE_PGM_RSRC2:TGID_X_EN: 1
; COMPUTE_PGM_RSRC2:TGID_Y_EN: 0
; COMPUTE_PGM_RSRC2:TGID_Z_EN: 0
; COMPUTE_PGM_RSRC2:TIDIG_COMP_CNT: 0
; COMPUTE_PGM_RSRC3_GFX90A:ACCUM_OFFSET: 0
; COMPUTE_PGM_RSRC3_GFX90A:TG_SPLIT: 0
	.section	.text._ZN7rocprim17ROCPRIM_400000_NS6detail17trampoline_kernelINS0_14default_configENS1_25partition_config_selectorILNS1_17partition_subalgoE8ElNS0_10empty_typeEbEEZZNS1_14partition_implILS5_8ELb0ES3_jPlPS6_PKS6_NS0_5tupleIJS9_S6_EEENSD_IJSA_SA_EEENS0_18inequality_wrapperIZN2at6native12_GLOBAL__N_124unique_dim_cuda_templateIbEESt5tupleIJNSH_6TensorESM_SM_EERKSM_lbbbEUlllE0_EEPmJS6_EEE10hipError_tPvRmT3_T4_T5_T6_T7_T9_mT8_P12ihipStream_tbDpT10_ENKUlT_T0_E_clISt17integral_constantIbLb1EES1B_IbLb0EEEEDaS17_S18_EUlS17_E_NS1_11comp_targetILNS1_3genE4ELNS1_11target_archE910ELNS1_3gpuE8ELNS1_3repE0EEENS1_30default_config_static_selectorELNS0_4arch9wavefront6targetE1EEEvT1_,"axG",@progbits,_ZN7rocprim17ROCPRIM_400000_NS6detail17trampoline_kernelINS0_14default_configENS1_25partition_config_selectorILNS1_17partition_subalgoE8ElNS0_10empty_typeEbEEZZNS1_14partition_implILS5_8ELb0ES3_jPlPS6_PKS6_NS0_5tupleIJS9_S6_EEENSD_IJSA_SA_EEENS0_18inequality_wrapperIZN2at6native12_GLOBAL__N_124unique_dim_cuda_templateIbEESt5tupleIJNSH_6TensorESM_SM_EERKSM_lbbbEUlllE0_EEPmJS6_EEE10hipError_tPvRmT3_T4_T5_T6_T7_T9_mT8_P12ihipStream_tbDpT10_ENKUlT_T0_E_clISt17integral_constantIbLb1EES1B_IbLb0EEEEDaS17_S18_EUlS17_E_NS1_11comp_targetILNS1_3genE4ELNS1_11target_archE910ELNS1_3gpuE8ELNS1_3repE0EEENS1_30default_config_static_selectorELNS0_4arch9wavefront6targetE1EEEvT1_,comdat
	.globl	_ZN7rocprim17ROCPRIM_400000_NS6detail17trampoline_kernelINS0_14default_configENS1_25partition_config_selectorILNS1_17partition_subalgoE8ElNS0_10empty_typeEbEEZZNS1_14partition_implILS5_8ELb0ES3_jPlPS6_PKS6_NS0_5tupleIJS9_S6_EEENSD_IJSA_SA_EEENS0_18inequality_wrapperIZN2at6native12_GLOBAL__N_124unique_dim_cuda_templateIbEESt5tupleIJNSH_6TensorESM_SM_EERKSM_lbbbEUlllE0_EEPmJS6_EEE10hipError_tPvRmT3_T4_T5_T6_T7_T9_mT8_P12ihipStream_tbDpT10_ENKUlT_T0_E_clISt17integral_constantIbLb1EES1B_IbLb0EEEEDaS17_S18_EUlS17_E_NS1_11comp_targetILNS1_3genE4ELNS1_11target_archE910ELNS1_3gpuE8ELNS1_3repE0EEENS1_30default_config_static_selectorELNS0_4arch9wavefront6targetE1EEEvT1_ ; -- Begin function _ZN7rocprim17ROCPRIM_400000_NS6detail17trampoline_kernelINS0_14default_configENS1_25partition_config_selectorILNS1_17partition_subalgoE8ElNS0_10empty_typeEbEEZZNS1_14partition_implILS5_8ELb0ES3_jPlPS6_PKS6_NS0_5tupleIJS9_S6_EEENSD_IJSA_SA_EEENS0_18inequality_wrapperIZN2at6native12_GLOBAL__N_124unique_dim_cuda_templateIbEESt5tupleIJNSH_6TensorESM_SM_EERKSM_lbbbEUlllE0_EEPmJS6_EEE10hipError_tPvRmT3_T4_T5_T6_T7_T9_mT8_P12ihipStream_tbDpT10_ENKUlT_T0_E_clISt17integral_constantIbLb1EES1B_IbLb0EEEEDaS17_S18_EUlS17_E_NS1_11comp_targetILNS1_3genE4ELNS1_11target_archE910ELNS1_3gpuE8ELNS1_3repE0EEENS1_30default_config_static_selectorELNS0_4arch9wavefront6targetE1EEEvT1_
	.p2align	8
	.type	_ZN7rocprim17ROCPRIM_400000_NS6detail17trampoline_kernelINS0_14default_configENS1_25partition_config_selectorILNS1_17partition_subalgoE8ElNS0_10empty_typeEbEEZZNS1_14partition_implILS5_8ELb0ES3_jPlPS6_PKS6_NS0_5tupleIJS9_S6_EEENSD_IJSA_SA_EEENS0_18inequality_wrapperIZN2at6native12_GLOBAL__N_124unique_dim_cuda_templateIbEESt5tupleIJNSH_6TensorESM_SM_EERKSM_lbbbEUlllE0_EEPmJS6_EEE10hipError_tPvRmT3_T4_T5_T6_T7_T9_mT8_P12ihipStream_tbDpT10_ENKUlT_T0_E_clISt17integral_constantIbLb1EES1B_IbLb0EEEEDaS17_S18_EUlS17_E_NS1_11comp_targetILNS1_3genE4ELNS1_11target_archE910ELNS1_3gpuE8ELNS1_3repE0EEENS1_30default_config_static_selectorELNS0_4arch9wavefront6targetE1EEEvT1_,@function
_ZN7rocprim17ROCPRIM_400000_NS6detail17trampoline_kernelINS0_14default_configENS1_25partition_config_selectorILNS1_17partition_subalgoE8ElNS0_10empty_typeEbEEZZNS1_14partition_implILS5_8ELb0ES3_jPlPS6_PKS6_NS0_5tupleIJS9_S6_EEENSD_IJSA_SA_EEENS0_18inequality_wrapperIZN2at6native12_GLOBAL__N_124unique_dim_cuda_templateIbEESt5tupleIJNSH_6TensorESM_SM_EERKSM_lbbbEUlllE0_EEPmJS6_EEE10hipError_tPvRmT3_T4_T5_T6_T7_T9_mT8_P12ihipStream_tbDpT10_ENKUlT_T0_E_clISt17integral_constantIbLb1EES1B_IbLb0EEEEDaS17_S18_EUlS17_E_NS1_11comp_targetILNS1_3genE4ELNS1_11target_archE910ELNS1_3gpuE8ELNS1_3repE0EEENS1_30default_config_static_selectorELNS0_4arch9wavefront6targetE1EEEvT1_: ; @_ZN7rocprim17ROCPRIM_400000_NS6detail17trampoline_kernelINS0_14default_configENS1_25partition_config_selectorILNS1_17partition_subalgoE8ElNS0_10empty_typeEbEEZZNS1_14partition_implILS5_8ELb0ES3_jPlPS6_PKS6_NS0_5tupleIJS9_S6_EEENSD_IJSA_SA_EEENS0_18inequality_wrapperIZN2at6native12_GLOBAL__N_124unique_dim_cuda_templateIbEESt5tupleIJNSH_6TensorESM_SM_EERKSM_lbbbEUlllE0_EEPmJS6_EEE10hipError_tPvRmT3_T4_T5_T6_T7_T9_mT8_P12ihipStream_tbDpT10_ENKUlT_T0_E_clISt17integral_constantIbLb1EES1B_IbLb0EEEEDaS17_S18_EUlS17_E_NS1_11comp_targetILNS1_3genE4ELNS1_11target_archE910ELNS1_3gpuE8ELNS1_3repE0EEENS1_30default_config_static_selectorELNS0_4arch9wavefront6targetE1EEEvT1_
; %bb.0:
	.section	.rodata,"a",@progbits
	.p2align	6, 0x0
	.amdhsa_kernel _ZN7rocprim17ROCPRIM_400000_NS6detail17trampoline_kernelINS0_14default_configENS1_25partition_config_selectorILNS1_17partition_subalgoE8ElNS0_10empty_typeEbEEZZNS1_14partition_implILS5_8ELb0ES3_jPlPS6_PKS6_NS0_5tupleIJS9_S6_EEENSD_IJSA_SA_EEENS0_18inequality_wrapperIZN2at6native12_GLOBAL__N_124unique_dim_cuda_templateIbEESt5tupleIJNSH_6TensorESM_SM_EERKSM_lbbbEUlllE0_EEPmJS6_EEE10hipError_tPvRmT3_T4_T5_T6_T7_T9_mT8_P12ihipStream_tbDpT10_ENKUlT_T0_E_clISt17integral_constantIbLb1EES1B_IbLb0EEEEDaS17_S18_EUlS17_E_NS1_11comp_targetILNS1_3genE4ELNS1_11target_archE910ELNS1_3gpuE8ELNS1_3repE0EEENS1_30default_config_static_selectorELNS0_4arch9wavefront6targetE1EEEvT1_
		.amdhsa_group_segment_fixed_size 0
		.amdhsa_private_segment_fixed_size 0
		.amdhsa_kernarg_size 120
		.amdhsa_user_sgpr_count 2
		.amdhsa_user_sgpr_dispatch_ptr 0
		.amdhsa_user_sgpr_queue_ptr 0
		.amdhsa_user_sgpr_kernarg_segment_ptr 1
		.amdhsa_user_sgpr_dispatch_id 0
		.amdhsa_user_sgpr_kernarg_preload_length 0
		.amdhsa_user_sgpr_kernarg_preload_offset 0
		.amdhsa_user_sgpr_private_segment_size 0
		.amdhsa_uses_dynamic_stack 0
		.amdhsa_enable_private_segment 0
		.amdhsa_system_sgpr_workgroup_id_x 1
		.amdhsa_system_sgpr_workgroup_id_y 0
		.amdhsa_system_sgpr_workgroup_id_z 0
		.amdhsa_system_sgpr_workgroup_info 0
		.amdhsa_system_vgpr_workitem_id 0
		.amdhsa_next_free_vgpr 1
		.amdhsa_next_free_sgpr 0
		.amdhsa_accum_offset 4
		.amdhsa_reserve_vcc 0
		.amdhsa_float_round_mode_32 0
		.amdhsa_float_round_mode_16_64 0
		.amdhsa_float_denorm_mode_32 3
		.amdhsa_float_denorm_mode_16_64 3
		.amdhsa_dx10_clamp 1
		.amdhsa_ieee_mode 1
		.amdhsa_fp16_overflow 0
		.amdhsa_tg_split 0
		.amdhsa_exception_fp_ieee_invalid_op 0
		.amdhsa_exception_fp_denorm_src 0
		.amdhsa_exception_fp_ieee_div_zero 0
		.amdhsa_exception_fp_ieee_overflow 0
		.amdhsa_exception_fp_ieee_underflow 0
		.amdhsa_exception_fp_ieee_inexact 0
		.amdhsa_exception_int_div_zero 0
	.end_amdhsa_kernel
	.section	.text._ZN7rocprim17ROCPRIM_400000_NS6detail17trampoline_kernelINS0_14default_configENS1_25partition_config_selectorILNS1_17partition_subalgoE8ElNS0_10empty_typeEbEEZZNS1_14partition_implILS5_8ELb0ES3_jPlPS6_PKS6_NS0_5tupleIJS9_S6_EEENSD_IJSA_SA_EEENS0_18inequality_wrapperIZN2at6native12_GLOBAL__N_124unique_dim_cuda_templateIbEESt5tupleIJNSH_6TensorESM_SM_EERKSM_lbbbEUlllE0_EEPmJS6_EEE10hipError_tPvRmT3_T4_T5_T6_T7_T9_mT8_P12ihipStream_tbDpT10_ENKUlT_T0_E_clISt17integral_constantIbLb1EES1B_IbLb0EEEEDaS17_S18_EUlS17_E_NS1_11comp_targetILNS1_3genE4ELNS1_11target_archE910ELNS1_3gpuE8ELNS1_3repE0EEENS1_30default_config_static_selectorELNS0_4arch9wavefront6targetE1EEEvT1_,"axG",@progbits,_ZN7rocprim17ROCPRIM_400000_NS6detail17trampoline_kernelINS0_14default_configENS1_25partition_config_selectorILNS1_17partition_subalgoE8ElNS0_10empty_typeEbEEZZNS1_14partition_implILS5_8ELb0ES3_jPlPS6_PKS6_NS0_5tupleIJS9_S6_EEENSD_IJSA_SA_EEENS0_18inequality_wrapperIZN2at6native12_GLOBAL__N_124unique_dim_cuda_templateIbEESt5tupleIJNSH_6TensorESM_SM_EERKSM_lbbbEUlllE0_EEPmJS6_EEE10hipError_tPvRmT3_T4_T5_T6_T7_T9_mT8_P12ihipStream_tbDpT10_ENKUlT_T0_E_clISt17integral_constantIbLb1EES1B_IbLb0EEEEDaS17_S18_EUlS17_E_NS1_11comp_targetILNS1_3genE4ELNS1_11target_archE910ELNS1_3gpuE8ELNS1_3repE0EEENS1_30default_config_static_selectorELNS0_4arch9wavefront6targetE1EEEvT1_,comdat
.Lfunc_end1069:
	.size	_ZN7rocprim17ROCPRIM_400000_NS6detail17trampoline_kernelINS0_14default_configENS1_25partition_config_selectorILNS1_17partition_subalgoE8ElNS0_10empty_typeEbEEZZNS1_14partition_implILS5_8ELb0ES3_jPlPS6_PKS6_NS0_5tupleIJS9_S6_EEENSD_IJSA_SA_EEENS0_18inequality_wrapperIZN2at6native12_GLOBAL__N_124unique_dim_cuda_templateIbEESt5tupleIJNSH_6TensorESM_SM_EERKSM_lbbbEUlllE0_EEPmJS6_EEE10hipError_tPvRmT3_T4_T5_T6_T7_T9_mT8_P12ihipStream_tbDpT10_ENKUlT_T0_E_clISt17integral_constantIbLb1EES1B_IbLb0EEEEDaS17_S18_EUlS17_E_NS1_11comp_targetILNS1_3genE4ELNS1_11target_archE910ELNS1_3gpuE8ELNS1_3repE0EEENS1_30default_config_static_selectorELNS0_4arch9wavefront6targetE1EEEvT1_, .Lfunc_end1069-_ZN7rocprim17ROCPRIM_400000_NS6detail17trampoline_kernelINS0_14default_configENS1_25partition_config_selectorILNS1_17partition_subalgoE8ElNS0_10empty_typeEbEEZZNS1_14partition_implILS5_8ELb0ES3_jPlPS6_PKS6_NS0_5tupleIJS9_S6_EEENSD_IJSA_SA_EEENS0_18inequality_wrapperIZN2at6native12_GLOBAL__N_124unique_dim_cuda_templateIbEESt5tupleIJNSH_6TensorESM_SM_EERKSM_lbbbEUlllE0_EEPmJS6_EEE10hipError_tPvRmT3_T4_T5_T6_T7_T9_mT8_P12ihipStream_tbDpT10_ENKUlT_T0_E_clISt17integral_constantIbLb1EES1B_IbLb0EEEEDaS17_S18_EUlS17_E_NS1_11comp_targetILNS1_3genE4ELNS1_11target_archE910ELNS1_3gpuE8ELNS1_3repE0EEENS1_30default_config_static_selectorELNS0_4arch9wavefront6targetE1EEEvT1_
                                        ; -- End function
	.set _ZN7rocprim17ROCPRIM_400000_NS6detail17trampoline_kernelINS0_14default_configENS1_25partition_config_selectorILNS1_17partition_subalgoE8ElNS0_10empty_typeEbEEZZNS1_14partition_implILS5_8ELb0ES3_jPlPS6_PKS6_NS0_5tupleIJS9_S6_EEENSD_IJSA_SA_EEENS0_18inequality_wrapperIZN2at6native12_GLOBAL__N_124unique_dim_cuda_templateIbEESt5tupleIJNSH_6TensorESM_SM_EERKSM_lbbbEUlllE0_EEPmJS6_EEE10hipError_tPvRmT3_T4_T5_T6_T7_T9_mT8_P12ihipStream_tbDpT10_ENKUlT_T0_E_clISt17integral_constantIbLb1EES1B_IbLb0EEEEDaS17_S18_EUlS17_E_NS1_11comp_targetILNS1_3genE4ELNS1_11target_archE910ELNS1_3gpuE8ELNS1_3repE0EEENS1_30default_config_static_selectorELNS0_4arch9wavefront6targetE1EEEvT1_.num_vgpr, 0
	.set _ZN7rocprim17ROCPRIM_400000_NS6detail17trampoline_kernelINS0_14default_configENS1_25partition_config_selectorILNS1_17partition_subalgoE8ElNS0_10empty_typeEbEEZZNS1_14partition_implILS5_8ELb0ES3_jPlPS6_PKS6_NS0_5tupleIJS9_S6_EEENSD_IJSA_SA_EEENS0_18inequality_wrapperIZN2at6native12_GLOBAL__N_124unique_dim_cuda_templateIbEESt5tupleIJNSH_6TensorESM_SM_EERKSM_lbbbEUlllE0_EEPmJS6_EEE10hipError_tPvRmT3_T4_T5_T6_T7_T9_mT8_P12ihipStream_tbDpT10_ENKUlT_T0_E_clISt17integral_constantIbLb1EES1B_IbLb0EEEEDaS17_S18_EUlS17_E_NS1_11comp_targetILNS1_3genE4ELNS1_11target_archE910ELNS1_3gpuE8ELNS1_3repE0EEENS1_30default_config_static_selectorELNS0_4arch9wavefront6targetE1EEEvT1_.num_agpr, 0
	.set _ZN7rocprim17ROCPRIM_400000_NS6detail17trampoline_kernelINS0_14default_configENS1_25partition_config_selectorILNS1_17partition_subalgoE8ElNS0_10empty_typeEbEEZZNS1_14partition_implILS5_8ELb0ES3_jPlPS6_PKS6_NS0_5tupleIJS9_S6_EEENSD_IJSA_SA_EEENS0_18inequality_wrapperIZN2at6native12_GLOBAL__N_124unique_dim_cuda_templateIbEESt5tupleIJNSH_6TensorESM_SM_EERKSM_lbbbEUlllE0_EEPmJS6_EEE10hipError_tPvRmT3_T4_T5_T6_T7_T9_mT8_P12ihipStream_tbDpT10_ENKUlT_T0_E_clISt17integral_constantIbLb1EES1B_IbLb0EEEEDaS17_S18_EUlS17_E_NS1_11comp_targetILNS1_3genE4ELNS1_11target_archE910ELNS1_3gpuE8ELNS1_3repE0EEENS1_30default_config_static_selectorELNS0_4arch9wavefront6targetE1EEEvT1_.numbered_sgpr, 0
	.set _ZN7rocprim17ROCPRIM_400000_NS6detail17trampoline_kernelINS0_14default_configENS1_25partition_config_selectorILNS1_17partition_subalgoE8ElNS0_10empty_typeEbEEZZNS1_14partition_implILS5_8ELb0ES3_jPlPS6_PKS6_NS0_5tupleIJS9_S6_EEENSD_IJSA_SA_EEENS0_18inequality_wrapperIZN2at6native12_GLOBAL__N_124unique_dim_cuda_templateIbEESt5tupleIJNSH_6TensorESM_SM_EERKSM_lbbbEUlllE0_EEPmJS6_EEE10hipError_tPvRmT3_T4_T5_T6_T7_T9_mT8_P12ihipStream_tbDpT10_ENKUlT_T0_E_clISt17integral_constantIbLb1EES1B_IbLb0EEEEDaS17_S18_EUlS17_E_NS1_11comp_targetILNS1_3genE4ELNS1_11target_archE910ELNS1_3gpuE8ELNS1_3repE0EEENS1_30default_config_static_selectorELNS0_4arch9wavefront6targetE1EEEvT1_.num_named_barrier, 0
	.set _ZN7rocprim17ROCPRIM_400000_NS6detail17trampoline_kernelINS0_14default_configENS1_25partition_config_selectorILNS1_17partition_subalgoE8ElNS0_10empty_typeEbEEZZNS1_14partition_implILS5_8ELb0ES3_jPlPS6_PKS6_NS0_5tupleIJS9_S6_EEENSD_IJSA_SA_EEENS0_18inequality_wrapperIZN2at6native12_GLOBAL__N_124unique_dim_cuda_templateIbEESt5tupleIJNSH_6TensorESM_SM_EERKSM_lbbbEUlllE0_EEPmJS6_EEE10hipError_tPvRmT3_T4_T5_T6_T7_T9_mT8_P12ihipStream_tbDpT10_ENKUlT_T0_E_clISt17integral_constantIbLb1EES1B_IbLb0EEEEDaS17_S18_EUlS17_E_NS1_11comp_targetILNS1_3genE4ELNS1_11target_archE910ELNS1_3gpuE8ELNS1_3repE0EEENS1_30default_config_static_selectorELNS0_4arch9wavefront6targetE1EEEvT1_.private_seg_size, 0
	.set _ZN7rocprim17ROCPRIM_400000_NS6detail17trampoline_kernelINS0_14default_configENS1_25partition_config_selectorILNS1_17partition_subalgoE8ElNS0_10empty_typeEbEEZZNS1_14partition_implILS5_8ELb0ES3_jPlPS6_PKS6_NS0_5tupleIJS9_S6_EEENSD_IJSA_SA_EEENS0_18inequality_wrapperIZN2at6native12_GLOBAL__N_124unique_dim_cuda_templateIbEESt5tupleIJNSH_6TensorESM_SM_EERKSM_lbbbEUlllE0_EEPmJS6_EEE10hipError_tPvRmT3_T4_T5_T6_T7_T9_mT8_P12ihipStream_tbDpT10_ENKUlT_T0_E_clISt17integral_constantIbLb1EES1B_IbLb0EEEEDaS17_S18_EUlS17_E_NS1_11comp_targetILNS1_3genE4ELNS1_11target_archE910ELNS1_3gpuE8ELNS1_3repE0EEENS1_30default_config_static_selectorELNS0_4arch9wavefront6targetE1EEEvT1_.uses_vcc, 0
	.set _ZN7rocprim17ROCPRIM_400000_NS6detail17trampoline_kernelINS0_14default_configENS1_25partition_config_selectorILNS1_17partition_subalgoE8ElNS0_10empty_typeEbEEZZNS1_14partition_implILS5_8ELb0ES3_jPlPS6_PKS6_NS0_5tupleIJS9_S6_EEENSD_IJSA_SA_EEENS0_18inequality_wrapperIZN2at6native12_GLOBAL__N_124unique_dim_cuda_templateIbEESt5tupleIJNSH_6TensorESM_SM_EERKSM_lbbbEUlllE0_EEPmJS6_EEE10hipError_tPvRmT3_T4_T5_T6_T7_T9_mT8_P12ihipStream_tbDpT10_ENKUlT_T0_E_clISt17integral_constantIbLb1EES1B_IbLb0EEEEDaS17_S18_EUlS17_E_NS1_11comp_targetILNS1_3genE4ELNS1_11target_archE910ELNS1_3gpuE8ELNS1_3repE0EEENS1_30default_config_static_selectorELNS0_4arch9wavefront6targetE1EEEvT1_.uses_flat_scratch, 0
	.set _ZN7rocprim17ROCPRIM_400000_NS6detail17trampoline_kernelINS0_14default_configENS1_25partition_config_selectorILNS1_17partition_subalgoE8ElNS0_10empty_typeEbEEZZNS1_14partition_implILS5_8ELb0ES3_jPlPS6_PKS6_NS0_5tupleIJS9_S6_EEENSD_IJSA_SA_EEENS0_18inequality_wrapperIZN2at6native12_GLOBAL__N_124unique_dim_cuda_templateIbEESt5tupleIJNSH_6TensorESM_SM_EERKSM_lbbbEUlllE0_EEPmJS6_EEE10hipError_tPvRmT3_T4_T5_T6_T7_T9_mT8_P12ihipStream_tbDpT10_ENKUlT_T0_E_clISt17integral_constantIbLb1EES1B_IbLb0EEEEDaS17_S18_EUlS17_E_NS1_11comp_targetILNS1_3genE4ELNS1_11target_archE910ELNS1_3gpuE8ELNS1_3repE0EEENS1_30default_config_static_selectorELNS0_4arch9wavefront6targetE1EEEvT1_.has_dyn_sized_stack, 0
	.set _ZN7rocprim17ROCPRIM_400000_NS6detail17trampoline_kernelINS0_14default_configENS1_25partition_config_selectorILNS1_17partition_subalgoE8ElNS0_10empty_typeEbEEZZNS1_14partition_implILS5_8ELb0ES3_jPlPS6_PKS6_NS0_5tupleIJS9_S6_EEENSD_IJSA_SA_EEENS0_18inequality_wrapperIZN2at6native12_GLOBAL__N_124unique_dim_cuda_templateIbEESt5tupleIJNSH_6TensorESM_SM_EERKSM_lbbbEUlllE0_EEPmJS6_EEE10hipError_tPvRmT3_T4_T5_T6_T7_T9_mT8_P12ihipStream_tbDpT10_ENKUlT_T0_E_clISt17integral_constantIbLb1EES1B_IbLb0EEEEDaS17_S18_EUlS17_E_NS1_11comp_targetILNS1_3genE4ELNS1_11target_archE910ELNS1_3gpuE8ELNS1_3repE0EEENS1_30default_config_static_selectorELNS0_4arch9wavefront6targetE1EEEvT1_.has_recursion, 0
	.set _ZN7rocprim17ROCPRIM_400000_NS6detail17trampoline_kernelINS0_14default_configENS1_25partition_config_selectorILNS1_17partition_subalgoE8ElNS0_10empty_typeEbEEZZNS1_14partition_implILS5_8ELb0ES3_jPlPS6_PKS6_NS0_5tupleIJS9_S6_EEENSD_IJSA_SA_EEENS0_18inequality_wrapperIZN2at6native12_GLOBAL__N_124unique_dim_cuda_templateIbEESt5tupleIJNSH_6TensorESM_SM_EERKSM_lbbbEUlllE0_EEPmJS6_EEE10hipError_tPvRmT3_T4_T5_T6_T7_T9_mT8_P12ihipStream_tbDpT10_ENKUlT_T0_E_clISt17integral_constantIbLb1EES1B_IbLb0EEEEDaS17_S18_EUlS17_E_NS1_11comp_targetILNS1_3genE4ELNS1_11target_archE910ELNS1_3gpuE8ELNS1_3repE0EEENS1_30default_config_static_selectorELNS0_4arch9wavefront6targetE1EEEvT1_.has_indirect_call, 0
	.section	.AMDGPU.csdata,"",@progbits
; Kernel info:
; codeLenInByte = 0
; TotalNumSgprs: 6
; NumVgprs: 0
; NumAgprs: 0
; TotalNumVgprs: 0
; ScratchSize: 0
; MemoryBound: 0
; FloatMode: 240
; IeeeMode: 1
; LDSByteSize: 0 bytes/workgroup (compile time only)
; SGPRBlocks: 0
; VGPRBlocks: 0
; NumSGPRsForWavesPerEU: 6
; NumVGPRsForWavesPerEU: 1
; AccumOffset: 4
; Occupancy: 8
; WaveLimiterHint : 0
; COMPUTE_PGM_RSRC2:SCRATCH_EN: 0
; COMPUTE_PGM_RSRC2:USER_SGPR: 2
; COMPUTE_PGM_RSRC2:TRAP_HANDLER: 0
; COMPUTE_PGM_RSRC2:TGID_X_EN: 1
; COMPUTE_PGM_RSRC2:TGID_Y_EN: 0
; COMPUTE_PGM_RSRC2:TGID_Z_EN: 0
; COMPUTE_PGM_RSRC2:TIDIG_COMP_CNT: 0
; COMPUTE_PGM_RSRC3_GFX90A:ACCUM_OFFSET: 0
; COMPUTE_PGM_RSRC3_GFX90A:TG_SPLIT: 0
	.section	.text._ZN7rocprim17ROCPRIM_400000_NS6detail17trampoline_kernelINS0_14default_configENS1_25partition_config_selectorILNS1_17partition_subalgoE8ElNS0_10empty_typeEbEEZZNS1_14partition_implILS5_8ELb0ES3_jPlPS6_PKS6_NS0_5tupleIJS9_S6_EEENSD_IJSA_SA_EEENS0_18inequality_wrapperIZN2at6native12_GLOBAL__N_124unique_dim_cuda_templateIbEESt5tupleIJNSH_6TensorESM_SM_EERKSM_lbbbEUlllE0_EEPmJS6_EEE10hipError_tPvRmT3_T4_T5_T6_T7_T9_mT8_P12ihipStream_tbDpT10_ENKUlT_T0_E_clISt17integral_constantIbLb1EES1B_IbLb0EEEEDaS17_S18_EUlS17_E_NS1_11comp_targetILNS1_3genE3ELNS1_11target_archE908ELNS1_3gpuE7ELNS1_3repE0EEENS1_30default_config_static_selectorELNS0_4arch9wavefront6targetE1EEEvT1_,"axG",@progbits,_ZN7rocprim17ROCPRIM_400000_NS6detail17trampoline_kernelINS0_14default_configENS1_25partition_config_selectorILNS1_17partition_subalgoE8ElNS0_10empty_typeEbEEZZNS1_14partition_implILS5_8ELb0ES3_jPlPS6_PKS6_NS0_5tupleIJS9_S6_EEENSD_IJSA_SA_EEENS0_18inequality_wrapperIZN2at6native12_GLOBAL__N_124unique_dim_cuda_templateIbEESt5tupleIJNSH_6TensorESM_SM_EERKSM_lbbbEUlllE0_EEPmJS6_EEE10hipError_tPvRmT3_T4_T5_T6_T7_T9_mT8_P12ihipStream_tbDpT10_ENKUlT_T0_E_clISt17integral_constantIbLb1EES1B_IbLb0EEEEDaS17_S18_EUlS17_E_NS1_11comp_targetILNS1_3genE3ELNS1_11target_archE908ELNS1_3gpuE7ELNS1_3repE0EEENS1_30default_config_static_selectorELNS0_4arch9wavefront6targetE1EEEvT1_,comdat
	.globl	_ZN7rocprim17ROCPRIM_400000_NS6detail17trampoline_kernelINS0_14default_configENS1_25partition_config_selectorILNS1_17partition_subalgoE8ElNS0_10empty_typeEbEEZZNS1_14partition_implILS5_8ELb0ES3_jPlPS6_PKS6_NS0_5tupleIJS9_S6_EEENSD_IJSA_SA_EEENS0_18inequality_wrapperIZN2at6native12_GLOBAL__N_124unique_dim_cuda_templateIbEESt5tupleIJNSH_6TensorESM_SM_EERKSM_lbbbEUlllE0_EEPmJS6_EEE10hipError_tPvRmT3_T4_T5_T6_T7_T9_mT8_P12ihipStream_tbDpT10_ENKUlT_T0_E_clISt17integral_constantIbLb1EES1B_IbLb0EEEEDaS17_S18_EUlS17_E_NS1_11comp_targetILNS1_3genE3ELNS1_11target_archE908ELNS1_3gpuE7ELNS1_3repE0EEENS1_30default_config_static_selectorELNS0_4arch9wavefront6targetE1EEEvT1_ ; -- Begin function _ZN7rocprim17ROCPRIM_400000_NS6detail17trampoline_kernelINS0_14default_configENS1_25partition_config_selectorILNS1_17partition_subalgoE8ElNS0_10empty_typeEbEEZZNS1_14partition_implILS5_8ELb0ES3_jPlPS6_PKS6_NS0_5tupleIJS9_S6_EEENSD_IJSA_SA_EEENS0_18inequality_wrapperIZN2at6native12_GLOBAL__N_124unique_dim_cuda_templateIbEESt5tupleIJNSH_6TensorESM_SM_EERKSM_lbbbEUlllE0_EEPmJS6_EEE10hipError_tPvRmT3_T4_T5_T6_T7_T9_mT8_P12ihipStream_tbDpT10_ENKUlT_T0_E_clISt17integral_constantIbLb1EES1B_IbLb0EEEEDaS17_S18_EUlS17_E_NS1_11comp_targetILNS1_3genE3ELNS1_11target_archE908ELNS1_3gpuE7ELNS1_3repE0EEENS1_30default_config_static_selectorELNS0_4arch9wavefront6targetE1EEEvT1_
	.p2align	8
	.type	_ZN7rocprim17ROCPRIM_400000_NS6detail17trampoline_kernelINS0_14default_configENS1_25partition_config_selectorILNS1_17partition_subalgoE8ElNS0_10empty_typeEbEEZZNS1_14partition_implILS5_8ELb0ES3_jPlPS6_PKS6_NS0_5tupleIJS9_S6_EEENSD_IJSA_SA_EEENS0_18inequality_wrapperIZN2at6native12_GLOBAL__N_124unique_dim_cuda_templateIbEESt5tupleIJNSH_6TensorESM_SM_EERKSM_lbbbEUlllE0_EEPmJS6_EEE10hipError_tPvRmT3_T4_T5_T6_T7_T9_mT8_P12ihipStream_tbDpT10_ENKUlT_T0_E_clISt17integral_constantIbLb1EES1B_IbLb0EEEEDaS17_S18_EUlS17_E_NS1_11comp_targetILNS1_3genE3ELNS1_11target_archE908ELNS1_3gpuE7ELNS1_3repE0EEENS1_30default_config_static_selectorELNS0_4arch9wavefront6targetE1EEEvT1_,@function
_ZN7rocprim17ROCPRIM_400000_NS6detail17trampoline_kernelINS0_14default_configENS1_25partition_config_selectorILNS1_17partition_subalgoE8ElNS0_10empty_typeEbEEZZNS1_14partition_implILS5_8ELb0ES3_jPlPS6_PKS6_NS0_5tupleIJS9_S6_EEENSD_IJSA_SA_EEENS0_18inequality_wrapperIZN2at6native12_GLOBAL__N_124unique_dim_cuda_templateIbEESt5tupleIJNSH_6TensorESM_SM_EERKSM_lbbbEUlllE0_EEPmJS6_EEE10hipError_tPvRmT3_T4_T5_T6_T7_T9_mT8_P12ihipStream_tbDpT10_ENKUlT_T0_E_clISt17integral_constantIbLb1EES1B_IbLb0EEEEDaS17_S18_EUlS17_E_NS1_11comp_targetILNS1_3genE3ELNS1_11target_archE908ELNS1_3gpuE7ELNS1_3repE0EEENS1_30default_config_static_selectorELNS0_4arch9wavefront6targetE1EEEvT1_: ; @_ZN7rocprim17ROCPRIM_400000_NS6detail17trampoline_kernelINS0_14default_configENS1_25partition_config_selectorILNS1_17partition_subalgoE8ElNS0_10empty_typeEbEEZZNS1_14partition_implILS5_8ELb0ES3_jPlPS6_PKS6_NS0_5tupleIJS9_S6_EEENSD_IJSA_SA_EEENS0_18inequality_wrapperIZN2at6native12_GLOBAL__N_124unique_dim_cuda_templateIbEESt5tupleIJNSH_6TensorESM_SM_EERKSM_lbbbEUlllE0_EEPmJS6_EEE10hipError_tPvRmT3_T4_T5_T6_T7_T9_mT8_P12ihipStream_tbDpT10_ENKUlT_T0_E_clISt17integral_constantIbLb1EES1B_IbLb0EEEEDaS17_S18_EUlS17_E_NS1_11comp_targetILNS1_3genE3ELNS1_11target_archE908ELNS1_3gpuE7ELNS1_3repE0EEENS1_30default_config_static_selectorELNS0_4arch9wavefront6targetE1EEEvT1_
; %bb.0:
	.section	.rodata,"a",@progbits
	.p2align	6, 0x0
	.amdhsa_kernel _ZN7rocprim17ROCPRIM_400000_NS6detail17trampoline_kernelINS0_14default_configENS1_25partition_config_selectorILNS1_17partition_subalgoE8ElNS0_10empty_typeEbEEZZNS1_14partition_implILS5_8ELb0ES3_jPlPS6_PKS6_NS0_5tupleIJS9_S6_EEENSD_IJSA_SA_EEENS0_18inequality_wrapperIZN2at6native12_GLOBAL__N_124unique_dim_cuda_templateIbEESt5tupleIJNSH_6TensorESM_SM_EERKSM_lbbbEUlllE0_EEPmJS6_EEE10hipError_tPvRmT3_T4_T5_T6_T7_T9_mT8_P12ihipStream_tbDpT10_ENKUlT_T0_E_clISt17integral_constantIbLb1EES1B_IbLb0EEEEDaS17_S18_EUlS17_E_NS1_11comp_targetILNS1_3genE3ELNS1_11target_archE908ELNS1_3gpuE7ELNS1_3repE0EEENS1_30default_config_static_selectorELNS0_4arch9wavefront6targetE1EEEvT1_
		.amdhsa_group_segment_fixed_size 0
		.amdhsa_private_segment_fixed_size 0
		.amdhsa_kernarg_size 120
		.amdhsa_user_sgpr_count 2
		.amdhsa_user_sgpr_dispatch_ptr 0
		.amdhsa_user_sgpr_queue_ptr 0
		.amdhsa_user_sgpr_kernarg_segment_ptr 1
		.amdhsa_user_sgpr_dispatch_id 0
		.amdhsa_user_sgpr_kernarg_preload_length 0
		.amdhsa_user_sgpr_kernarg_preload_offset 0
		.amdhsa_user_sgpr_private_segment_size 0
		.amdhsa_uses_dynamic_stack 0
		.amdhsa_enable_private_segment 0
		.amdhsa_system_sgpr_workgroup_id_x 1
		.amdhsa_system_sgpr_workgroup_id_y 0
		.amdhsa_system_sgpr_workgroup_id_z 0
		.amdhsa_system_sgpr_workgroup_info 0
		.amdhsa_system_vgpr_workitem_id 0
		.amdhsa_next_free_vgpr 1
		.amdhsa_next_free_sgpr 0
		.amdhsa_accum_offset 4
		.amdhsa_reserve_vcc 0
		.amdhsa_float_round_mode_32 0
		.amdhsa_float_round_mode_16_64 0
		.amdhsa_float_denorm_mode_32 3
		.amdhsa_float_denorm_mode_16_64 3
		.amdhsa_dx10_clamp 1
		.amdhsa_ieee_mode 1
		.amdhsa_fp16_overflow 0
		.amdhsa_tg_split 0
		.amdhsa_exception_fp_ieee_invalid_op 0
		.amdhsa_exception_fp_denorm_src 0
		.amdhsa_exception_fp_ieee_div_zero 0
		.amdhsa_exception_fp_ieee_overflow 0
		.amdhsa_exception_fp_ieee_underflow 0
		.amdhsa_exception_fp_ieee_inexact 0
		.amdhsa_exception_int_div_zero 0
	.end_amdhsa_kernel
	.section	.text._ZN7rocprim17ROCPRIM_400000_NS6detail17trampoline_kernelINS0_14default_configENS1_25partition_config_selectorILNS1_17partition_subalgoE8ElNS0_10empty_typeEbEEZZNS1_14partition_implILS5_8ELb0ES3_jPlPS6_PKS6_NS0_5tupleIJS9_S6_EEENSD_IJSA_SA_EEENS0_18inequality_wrapperIZN2at6native12_GLOBAL__N_124unique_dim_cuda_templateIbEESt5tupleIJNSH_6TensorESM_SM_EERKSM_lbbbEUlllE0_EEPmJS6_EEE10hipError_tPvRmT3_T4_T5_T6_T7_T9_mT8_P12ihipStream_tbDpT10_ENKUlT_T0_E_clISt17integral_constantIbLb1EES1B_IbLb0EEEEDaS17_S18_EUlS17_E_NS1_11comp_targetILNS1_3genE3ELNS1_11target_archE908ELNS1_3gpuE7ELNS1_3repE0EEENS1_30default_config_static_selectorELNS0_4arch9wavefront6targetE1EEEvT1_,"axG",@progbits,_ZN7rocprim17ROCPRIM_400000_NS6detail17trampoline_kernelINS0_14default_configENS1_25partition_config_selectorILNS1_17partition_subalgoE8ElNS0_10empty_typeEbEEZZNS1_14partition_implILS5_8ELb0ES3_jPlPS6_PKS6_NS0_5tupleIJS9_S6_EEENSD_IJSA_SA_EEENS0_18inequality_wrapperIZN2at6native12_GLOBAL__N_124unique_dim_cuda_templateIbEESt5tupleIJNSH_6TensorESM_SM_EERKSM_lbbbEUlllE0_EEPmJS6_EEE10hipError_tPvRmT3_T4_T5_T6_T7_T9_mT8_P12ihipStream_tbDpT10_ENKUlT_T0_E_clISt17integral_constantIbLb1EES1B_IbLb0EEEEDaS17_S18_EUlS17_E_NS1_11comp_targetILNS1_3genE3ELNS1_11target_archE908ELNS1_3gpuE7ELNS1_3repE0EEENS1_30default_config_static_selectorELNS0_4arch9wavefront6targetE1EEEvT1_,comdat
.Lfunc_end1070:
	.size	_ZN7rocprim17ROCPRIM_400000_NS6detail17trampoline_kernelINS0_14default_configENS1_25partition_config_selectorILNS1_17partition_subalgoE8ElNS0_10empty_typeEbEEZZNS1_14partition_implILS5_8ELb0ES3_jPlPS6_PKS6_NS0_5tupleIJS9_S6_EEENSD_IJSA_SA_EEENS0_18inequality_wrapperIZN2at6native12_GLOBAL__N_124unique_dim_cuda_templateIbEESt5tupleIJNSH_6TensorESM_SM_EERKSM_lbbbEUlllE0_EEPmJS6_EEE10hipError_tPvRmT3_T4_T5_T6_T7_T9_mT8_P12ihipStream_tbDpT10_ENKUlT_T0_E_clISt17integral_constantIbLb1EES1B_IbLb0EEEEDaS17_S18_EUlS17_E_NS1_11comp_targetILNS1_3genE3ELNS1_11target_archE908ELNS1_3gpuE7ELNS1_3repE0EEENS1_30default_config_static_selectorELNS0_4arch9wavefront6targetE1EEEvT1_, .Lfunc_end1070-_ZN7rocprim17ROCPRIM_400000_NS6detail17trampoline_kernelINS0_14default_configENS1_25partition_config_selectorILNS1_17partition_subalgoE8ElNS0_10empty_typeEbEEZZNS1_14partition_implILS5_8ELb0ES3_jPlPS6_PKS6_NS0_5tupleIJS9_S6_EEENSD_IJSA_SA_EEENS0_18inequality_wrapperIZN2at6native12_GLOBAL__N_124unique_dim_cuda_templateIbEESt5tupleIJNSH_6TensorESM_SM_EERKSM_lbbbEUlllE0_EEPmJS6_EEE10hipError_tPvRmT3_T4_T5_T6_T7_T9_mT8_P12ihipStream_tbDpT10_ENKUlT_T0_E_clISt17integral_constantIbLb1EES1B_IbLb0EEEEDaS17_S18_EUlS17_E_NS1_11comp_targetILNS1_3genE3ELNS1_11target_archE908ELNS1_3gpuE7ELNS1_3repE0EEENS1_30default_config_static_selectorELNS0_4arch9wavefront6targetE1EEEvT1_
                                        ; -- End function
	.set _ZN7rocprim17ROCPRIM_400000_NS6detail17trampoline_kernelINS0_14default_configENS1_25partition_config_selectorILNS1_17partition_subalgoE8ElNS0_10empty_typeEbEEZZNS1_14partition_implILS5_8ELb0ES3_jPlPS6_PKS6_NS0_5tupleIJS9_S6_EEENSD_IJSA_SA_EEENS0_18inequality_wrapperIZN2at6native12_GLOBAL__N_124unique_dim_cuda_templateIbEESt5tupleIJNSH_6TensorESM_SM_EERKSM_lbbbEUlllE0_EEPmJS6_EEE10hipError_tPvRmT3_T4_T5_T6_T7_T9_mT8_P12ihipStream_tbDpT10_ENKUlT_T0_E_clISt17integral_constantIbLb1EES1B_IbLb0EEEEDaS17_S18_EUlS17_E_NS1_11comp_targetILNS1_3genE3ELNS1_11target_archE908ELNS1_3gpuE7ELNS1_3repE0EEENS1_30default_config_static_selectorELNS0_4arch9wavefront6targetE1EEEvT1_.num_vgpr, 0
	.set _ZN7rocprim17ROCPRIM_400000_NS6detail17trampoline_kernelINS0_14default_configENS1_25partition_config_selectorILNS1_17partition_subalgoE8ElNS0_10empty_typeEbEEZZNS1_14partition_implILS5_8ELb0ES3_jPlPS6_PKS6_NS0_5tupleIJS9_S6_EEENSD_IJSA_SA_EEENS0_18inequality_wrapperIZN2at6native12_GLOBAL__N_124unique_dim_cuda_templateIbEESt5tupleIJNSH_6TensorESM_SM_EERKSM_lbbbEUlllE0_EEPmJS6_EEE10hipError_tPvRmT3_T4_T5_T6_T7_T9_mT8_P12ihipStream_tbDpT10_ENKUlT_T0_E_clISt17integral_constantIbLb1EES1B_IbLb0EEEEDaS17_S18_EUlS17_E_NS1_11comp_targetILNS1_3genE3ELNS1_11target_archE908ELNS1_3gpuE7ELNS1_3repE0EEENS1_30default_config_static_selectorELNS0_4arch9wavefront6targetE1EEEvT1_.num_agpr, 0
	.set _ZN7rocprim17ROCPRIM_400000_NS6detail17trampoline_kernelINS0_14default_configENS1_25partition_config_selectorILNS1_17partition_subalgoE8ElNS0_10empty_typeEbEEZZNS1_14partition_implILS5_8ELb0ES3_jPlPS6_PKS6_NS0_5tupleIJS9_S6_EEENSD_IJSA_SA_EEENS0_18inequality_wrapperIZN2at6native12_GLOBAL__N_124unique_dim_cuda_templateIbEESt5tupleIJNSH_6TensorESM_SM_EERKSM_lbbbEUlllE0_EEPmJS6_EEE10hipError_tPvRmT3_T4_T5_T6_T7_T9_mT8_P12ihipStream_tbDpT10_ENKUlT_T0_E_clISt17integral_constantIbLb1EES1B_IbLb0EEEEDaS17_S18_EUlS17_E_NS1_11comp_targetILNS1_3genE3ELNS1_11target_archE908ELNS1_3gpuE7ELNS1_3repE0EEENS1_30default_config_static_selectorELNS0_4arch9wavefront6targetE1EEEvT1_.numbered_sgpr, 0
	.set _ZN7rocprim17ROCPRIM_400000_NS6detail17trampoline_kernelINS0_14default_configENS1_25partition_config_selectorILNS1_17partition_subalgoE8ElNS0_10empty_typeEbEEZZNS1_14partition_implILS5_8ELb0ES3_jPlPS6_PKS6_NS0_5tupleIJS9_S6_EEENSD_IJSA_SA_EEENS0_18inequality_wrapperIZN2at6native12_GLOBAL__N_124unique_dim_cuda_templateIbEESt5tupleIJNSH_6TensorESM_SM_EERKSM_lbbbEUlllE0_EEPmJS6_EEE10hipError_tPvRmT3_T4_T5_T6_T7_T9_mT8_P12ihipStream_tbDpT10_ENKUlT_T0_E_clISt17integral_constantIbLb1EES1B_IbLb0EEEEDaS17_S18_EUlS17_E_NS1_11comp_targetILNS1_3genE3ELNS1_11target_archE908ELNS1_3gpuE7ELNS1_3repE0EEENS1_30default_config_static_selectorELNS0_4arch9wavefront6targetE1EEEvT1_.num_named_barrier, 0
	.set _ZN7rocprim17ROCPRIM_400000_NS6detail17trampoline_kernelINS0_14default_configENS1_25partition_config_selectorILNS1_17partition_subalgoE8ElNS0_10empty_typeEbEEZZNS1_14partition_implILS5_8ELb0ES3_jPlPS6_PKS6_NS0_5tupleIJS9_S6_EEENSD_IJSA_SA_EEENS0_18inequality_wrapperIZN2at6native12_GLOBAL__N_124unique_dim_cuda_templateIbEESt5tupleIJNSH_6TensorESM_SM_EERKSM_lbbbEUlllE0_EEPmJS6_EEE10hipError_tPvRmT3_T4_T5_T6_T7_T9_mT8_P12ihipStream_tbDpT10_ENKUlT_T0_E_clISt17integral_constantIbLb1EES1B_IbLb0EEEEDaS17_S18_EUlS17_E_NS1_11comp_targetILNS1_3genE3ELNS1_11target_archE908ELNS1_3gpuE7ELNS1_3repE0EEENS1_30default_config_static_selectorELNS0_4arch9wavefront6targetE1EEEvT1_.private_seg_size, 0
	.set _ZN7rocprim17ROCPRIM_400000_NS6detail17trampoline_kernelINS0_14default_configENS1_25partition_config_selectorILNS1_17partition_subalgoE8ElNS0_10empty_typeEbEEZZNS1_14partition_implILS5_8ELb0ES3_jPlPS6_PKS6_NS0_5tupleIJS9_S6_EEENSD_IJSA_SA_EEENS0_18inequality_wrapperIZN2at6native12_GLOBAL__N_124unique_dim_cuda_templateIbEESt5tupleIJNSH_6TensorESM_SM_EERKSM_lbbbEUlllE0_EEPmJS6_EEE10hipError_tPvRmT3_T4_T5_T6_T7_T9_mT8_P12ihipStream_tbDpT10_ENKUlT_T0_E_clISt17integral_constantIbLb1EES1B_IbLb0EEEEDaS17_S18_EUlS17_E_NS1_11comp_targetILNS1_3genE3ELNS1_11target_archE908ELNS1_3gpuE7ELNS1_3repE0EEENS1_30default_config_static_selectorELNS0_4arch9wavefront6targetE1EEEvT1_.uses_vcc, 0
	.set _ZN7rocprim17ROCPRIM_400000_NS6detail17trampoline_kernelINS0_14default_configENS1_25partition_config_selectorILNS1_17partition_subalgoE8ElNS0_10empty_typeEbEEZZNS1_14partition_implILS5_8ELb0ES3_jPlPS6_PKS6_NS0_5tupleIJS9_S6_EEENSD_IJSA_SA_EEENS0_18inequality_wrapperIZN2at6native12_GLOBAL__N_124unique_dim_cuda_templateIbEESt5tupleIJNSH_6TensorESM_SM_EERKSM_lbbbEUlllE0_EEPmJS6_EEE10hipError_tPvRmT3_T4_T5_T6_T7_T9_mT8_P12ihipStream_tbDpT10_ENKUlT_T0_E_clISt17integral_constantIbLb1EES1B_IbLb0EEEEDaS17_S18_EUlS17_E_NS1_11comp_targetILNS1_3genE3ELNS1_11target_archE908ELNS1_3gpuE7ELNS1_3repE0EEENS1_30default_config_static_selectorELNS0_4arch9wavefront6targetE1EEEvT1_.uses_flat_scratch, 0
	.set _ZN7rocprim17ROCPRIM_400000_NS6detail17trampoline_kernelINS0_14default_configENS1_25partition_config_selectorILNS1_17partition_subalgoE8ElNS0_10empty_typeEbEEZZNS1_14partition_implILS5_8ELb0ES3_jPlPS6_PKS6_NS0_5tupleIJS9_S6_EEENSD_IJSA_SA_EEENS0_18inequality_wrapperIZN2at6native12_GLOBAL__N_124unique_dim_cuda_templateIbEESt5tupleIJNSH_6TensorESM_SM_EERKSM_lbbbEUlllE0_EEPmJS6_EEE10hipError_tPvRmT3_T4_T5_T6_T7_T9_mT8_P12ihipStream_tbDpT10_ENKUlT_T0_E_clISt17integral_constantIbLb1EES1B_IbLb0EEEEDaS17_S18_EUlS17_E_NS1_11comp_targetILNS1_3genE3ELNS1_11target_archE908ELNS1_3gpuE7ELNS1_3repE0EEENS1_30default_config_static_selectorELNS0_4arch9wavefront6targetE1EEEvT1_.has_dyn_sized_stack, 0
	.set _ZN7rocprim17ROCPRIM_400000_NS6detail17trampoline_kernelINS0_14default_configENS1_25partition_config_selectorILNS1_17partition_subalgoE8ElNS0_10empty_typeEbEEZZNS1_14partition_implILS5_8ELb0ES3_jPlPS6_PKS6_NS0_5tupleIJS9_S6_EEENSD_IJSA_SA_EEENS0_18inequality_wrapperIZN2at6native12_GLOBAL__N_124unique_dim_cuda_templateIbEESt5tupleIJNSH_6TensorESM_SM_EERKSM_lbbbEUlllE0_EEPmJS6_EEE10hipError_tPvRmT3_T4_T5_T6_T7_T9_mT8_P12ihipStream_tbDpT10_ENKUlT_T0_E_clISt17integral_constantIbLb1EES1B_IbLb0EEEEDaS17_S18_EUlS17_E_NS1_11comp_targetILNS1_3genE3ELNS1_11target_archE908ELNS1_3gpuE7ELNS1_3repE0EEENS1_30default_config_static_selectorELNS0_4arch9wavefront6targetE1EEEvT1_.has_recursion, 0
	.set _ZN7rocprim17ROCPRIM_400000_NS6detail17trampoline_kernelINS0_14default_configENS1_25partition_config_selectorILNS1_17partition_subalgoE8ElNS0_10empty_typeEbEEZZNS1_14partition_implILS5_8ELb0ES3_jPlPS6_PKS6_NS0_5tupleIJS9_S6_EEENSD_IJSA_SA_EEENS0_18inequality_wrapperIZN2at6native12_GLOBAL__N_124unique_dim_cuda_templateIbEESt5tupleIJNSH_6TensorESM_SM_EERKSM_lbbbEUlllE0_EEPmJS6_EEE10hipError_tPvRmT3_T4_T5_T6_T7_T9_mT8_P12ihipStream_tbDpT10_ENKUlT_T0_E_clISt17integral_constantIbLb1EES1B_IbLb0EEEEDaS17_S18_EUlS17_E_NS1_11comp_targetILNS1_3genE3ELNS1_11target_archE908ELNS1_3gpuE7ELNS1_3repE0EEENS1_30default_config_static_selectorELNS0_4arch9wavefront6targetE1EEEvT1_.has_indirect_call, 0
	.section	.AMDGPU.csdata,"",@progbits
; Kernel info:
; codeLenInByte = 0
; TotalNumSgprs: 6
; NumVgprs: 0
; NumAgprs: 0
; TotalNumVgprs: 0
; ScratchSize: 0
; MemoryBound: 0
; FloatMode: 240
; IeeeMode: 1
; LDSByteSize: 0 bytes/workgroup (compile time only)
; SGPRBlocks: 0
; VGPRBlocks: 0
; NumSGPRsForWavesPerEU: 6
; NumVGPRsForWavesPerEU: 1
; AccumOffset: 4
; Occupancy: 8
; WaveLimiterHint : 0
; COMPUTE_PGM_RSRC2:SCRATCH_EN: 0
; COMPUTE_PGM_RSRC2:USER_SGPR: 2
; COMPUTE_PGM_RSRC2:TRAP_HANDLER: 0
; COMPUTE_PGM_RSRC2:TGID_X_EN: 1
; COMPUTE_PGM_RSRC2:TGID_Y_EN: 0
; COMPUTE_PGM_RSRC2:TGID_Z_EN: 0
; COMPUTE_PGM_RSRC2:TIDIG_COMP_CNT: 0
; COMPUTE_PGM_RSRC3_GFX90A:ACCUM_OFFSET: 0
; COMPUTE_PGM_RSRC3_GFX90A:TG_SPLIT: 0
	.section	.text._ZN7rocprim17ROCPRIM_400000_NS6detail17trampoline_kernelINS0_14default_configENS1_25partition_config_selectorILNS1_17partition_subalgoE8ElNS0_10empty_typeEbEEZZNS1_14partition_implILS5_8ELb0ES3_jPlPS6_PKS6_NS0_5tupleIJS9_S6_EEENSD_IJSA_SA_EEENS0_18inequality_wrapperIZN2at6native12_GLOBAL__N_124unique_dim_cuda_templateIbEESt5tupleIJNSH_6TensorESM_SM_EERKSM_lbbbEUlllE0_EEPmJS6_EEE10hipError_tPvRmT3_T4_T5_T6_T7_T9_mT8_P12ihipStream_tbDpT10_ENKUlT_T0_E_clISt17integral_constantIbLb1EES1B_IbLb0EEEEDaS17_S18_EUlS17_E_NS1_11comp_targetILNS1_3genE2ELNS1_11target_archE906ELNS1_3gpuE6ELNS1_3repE0EEENS1_30default_config_static_selectorELNS0_4arch9wavefront6targetE1EEEvT1_,"axG",@progbits,_ZN7rocprim17ROCPRIM_400000_NS6detail17trampoline_kernelINS0_14default_configENS1_25partition_config_selectorILNS1_17partition_subalgoE8ElNS0_10empty_typeEbEEZZNS1_14partition_implILS5_8ELb0ES3_jPlPS6_PKS6_NS0_5tupleIJS9_S6_EEENSD_IJSA_SA_EEENS0_18inequality_wrapperIZN2at6native12_GLOBAL__N_124unique_dim_cuda_templateIbEESt5tupleIJNSH_6TensorESM_SM_EERKSM_lbbbEUlllE0_EEPmJS6_EEE10hipError_tPvRmT3_T4_T5_T6_T7_T9_mT8_P12ihipStream_tbDpT10_ENKUlT_T0_E_clISt17integral_constantIbLb1EES1B_IbLb0EEEEDaS17_S18_EUlS17_E_NS1_11comp_targetILNS1_3genE2ELNS1_11target_archE906ELNS1_3gpuE6ELNS1_3repE0EEENS1_30default_config_static_selectorELNS0_4arch9wavefront6targetE1EEEvT1_,comdat
	.globl	_ZN7rocprim17ROCPRIM_400000_NS6detail17trampoline_kernelINS0_14default_configENS1_25partition_config_selectorILNS1_17partition_subalgoE8ElNS0_10empty_typeEbEEZZNS1_14partition_implILS5_8ELb0ES3_jPlPS6_PKS6_NS0_5tupleIJS9_S6_EEENSD_IJSA_SA_EEENS0_18inequality_wrapperIZN2at6native12_GLOBAL__N_124unique_dim_cuda_templateIbEESt5tupleIJNSH_6TensorESM_SM_EERKSM_lbbbEUlllE0_EEPmJS6_EEE10hipError_tPvRmT3_T4_T5_T6_T7_T9_mT8_P12ihipStream_tbDpT10_ENKUlT_T0_E_clISt17integral_constantIbLb1EES1B_IbLb0EEEEDaS17_S18_EUlS17_E_NS1_11comp_targetILNS1_3genE2ELNS1_11target_archE906ELNS1_3gpuE6ELNS1_3repE0EEENS1_30default_config_static_selectorELNS0_4arch9wavefront6targetE1EEEvT1_ ; -- Begin function _ZN7rocprim17ROCPRIM_400000_NS6detail17trampoline_kernelINS0_14default_configENS1_25partition_config_selectorILNS1_17partition_subalgoE8ElNS0_10empty_typeEbEEZZNS1_14partition_implILS5_8ELb0ES3_jPlPS6_PKS6_NS0_5tupleIJS9_S6_EEENSD_IJSA_SA_EEENS0_18inequality_wrapperIZN2at6native12_GLOBAL__N_124unique_dim_cuda_templateIbEESt5tupleIJNSH_6TensorESM_SM_EERKSM_lbbbEUlllE0_EEPmJS6_EEE10hipError_tPvRmT3_T4_T5_T6_T7_T9_mT8_P12ihipStream_tbDpT10_ENKUlT_T0_E_clISt17integral_constantIbLb1EES1B_IbLb0EEEEDaS17_S18_EUlS17_E_NS1_11comp_targetILNS1_3genE2ELNS1_11target_archE906ELNS1_3gpuE6ELNS1_3repE0EEENS1_30default_config_static_selectorELNS0_4arch9wavefront6targetE1EEEvT1_
	.p2align	8
	.type	_ZN7rocprim17ROCPRIM_400000_NS6detail17trampoline_kernelINS0_14default_configENS1_25partition_config_selectorILNS1_17partition_subalgoE8ElNS0_10empty_typeEbEEZZNS1_14partition_implILS5_8ELb0ES3_jPlPS6_PKS6_NS0_5tupleIJS9_S6_EEENSD_IJSA_SA_EEENS0_18inequality_wrapperIZN2at6native12_GLOBAL__N_124unique_dim_cuda_templateIbEESt5tupleIJNSH_6TensorESM_SM_EERKSM_lbbbEUlllE0_EEPmJS6_EEE10hipError_tPvRmT3_T4_T5_T6_T7_T9_mT8_P12ihipStream_tbDpT10_ENKUlT_T0_E_clISt17integral_constantIbLb1EES1B_IbLb0EEEEDaS17_S18_EUlS17_E_NS1_11comp_targetILNS1_3genE2ELNS1_11target_archE906ELNS1_3gpuE6ELNS1_3repE0EEENS1_30default_config_static_selectorELNS0_4arch9wavefront6targetE1EEEvT1_,@function
_ZN7rocprim17ROCPRIM_400000_NS6detail17trampoline_kernelINS0_14default_configENS1_25partition_config_selectorILNS1_17partition_subalgoE8ElNS0_10empty_typeEbEEZZNS1_14partition_implILS5_8ELb0ES3_jPlPS6_PKS6_NS0_5tupleIJS9_S6_EEENSD_IJSA_SA_EEENS0_18inequality_wrapperIZN2at6native12_GLOBAL__N_124unique_dim_cuda_templateIbEESt5tupleIJNSH_6TensorESM_SM_EERKSM_lbbbEUlllE0_EEPmJS6_EEE10hipError_tPvRmT3_T4_T5_T6_T7_T9_mT8_P12ihipStream_tbDpT10_ENKUlT_T0_E_clISt17integral_constantIbLb1EES1B_IbLb0EEEEDaS17_S18_EUlS17_E_NS1_11comp_targetILNS1_3genE2ELNS1_11target_archE906ELNS1_3gpuE6ELNS1_3repE0EEENS1_30default_config_static_selectorELNS0_4arch9wavefront6targetE1EEEvT1_: ; @_ZN7rocprim17ROCPRIM_400000_NS6detail17trampoline_kernelINS0_14default_configENS1_25partition_config_selectorILNS1_17partition_subalgoE8ElNS0_10empty_typeEbEEZZNS1_14partition_implILS5_8ELb0ES3_jPlPS6_PKS6_NS0_5tupleIJS9_S6_EEENSD_IJSA_SA_EEENS0_18inequality_wrapperIZN2at6native12_GLOBAL__N_124unique_dim_cuda_templateIbEESt5tupleIJNSH_6TensorESM_SM_EERKSM_lbbbEUlllE0_EEPmJS6_EEE10hipError_tPvRmT3_T4_T5_T6_T7_T9_mT8_P12ihipStream_tbDpT10_ENKUlT_T0_E_clISt17integral_constantIbLb1EES1B_IbLb0EEEEDaS17_S18_EUlS17_E_NS1_11comp_targetILNS1_3genE2ELNS1_11target_archE906ELNS1_3gpuE6ELNS1_3repE0EEENS1_30default_config_static_selectorELNS0_4arch9wavefront6targetE1EEEvT1_
; %bb.0:
	.section	.rodata,"a",@progbits
	.p2align	6, 0x0
	.amdhsa_kernel _ZN7rocprim17ROCPRIM_400000_NS6detail17trampoline_kernelINS0_14default_configENS1_25partition_config_selectorILNS1_17partition_subalgoE8ElNS0_10empty_typeEbEEZZNS1_14partition_implILS5_8ELb0ES3_jPlPS6_PKS6_NS0_5tupleIJS9_S6_EEENSD_IJSA_SA_EEENS0_18inequality_wrapperIZN2at6native12_GLOBAL__N_124unique_dim_cuda_templateIbEESt5tupleIJNSH_6TensorESM_SM_EERKSM_lbbbEUlllE0_EEPmJS6_EEE10hipError_tPvRmT3_T4_T5_T6_T7_T9_mT8_P12ihipStream_tbDpT10_ENKUlT_T0_E_clISt17integral_constantIbLb1EES1B_IbLb0EEEEDaS17_S18_EUlS17_E_NS1_11comp_targetILNS1_3genE2ELNS1_11target_archE906ELNS1_3gpuE6ELNS1_3repE0EEENS1_30default_config_static_selectorELNS0_4arch9wavefront6targetE1EEEvT1_
		.amdhsa_group_segment_fixed_size 0
		.amdhsa_private_segment_fixed_size 0
		.amdhsa_kernarg_size 120
		.amdhsa_user_sgpr_count 2
		.amdhsa_user_sgpr_dispatch_ptr 0
		.amdhsa_user_sgpr_queue_ptr 0
		.amdhsa_user_sgpr_kernarg_segment_ptr 1
		.amdhsa_user_sgpr_dispatch_id 0
		.amdhsa_user_sgpr_kernarg_preload_length 0
		.amdhsa_user_sgpr_kernarg_preload_offset 0
		.amdhsa_user_sgpr_private_segment_size 0
		.amdhsa_uses_dynamic_stack 0
		.amdhsa_enable_private_segment 0
		.amdhsa_system_sgpr_workgroup_id_x 1
		.amdhsa_system_sgpr_workgroup_id_y 0
		.amdhsa_system_sgpr_workgroup_id_z 0
		.amdhsa_system_sgpr_workgroup_info 0
		.amdhsa_system_vgpr_workitem_id 0
		.amdhsa_next_free_vgpr 1
		.amdhsa_next_free_sgpr 0
		.amdhsa_accum_offset 4
		.amdhsa_reserve_vcc 0
		.amdhsa_float_round_mode_32 0
		.amdhsa_float_round_mode_16_64 0
		.amdhsa_float_denorm_mode_32 3
		.amdhsa_float_denorm_mode_16_64 3
		.amdhsa_dx10_clamp 1
		.amdhsa_ieee_mode 1
		.amdhsa_fp16_overflow 0
		.amdhsa_tg_split 0
		.amdhsa_exception_fp_ieee_invalid_op 0
		.amdhsa_exception_fp_denorm_src 0
		.amdhsa_exception_fp_ieee_div_zero 0
		.amdhsa_exception_fp_ieee_overflow 0
		.amdhsa_exception_fp_ieee_underflow 0
		.amdhsa_exception_fp_ieee_inexact 0
		.amdhsa_exception_int_div_zero 0
	.end_amdhsa_kernel
	.section	.text._ZN7rocprim17ROCPRIM_400000_NS6detail17trampoline_kernelINS0_14default_configENS1_25partition_config_selectorILNS1_17partition_subalgoE8ElNS0_10empty_typeEbEEZZNS1_14partition_implILS5_8ELb0ES3_jPlPS6_PKS6_NS0_5tupleIJS9_S6_EEENSD_IJSA_SA_EEENS0_18inequality_wrapperIZN2at6native12_GLOBAL__N_124unique_dim_cuda_templateIbEESt5tupleIJNSH_6TensorESM_SM_EERKSM_lbbbEUlllE0_EEPmJS6_EEE10hipError_tPvRmT3_T4_T5_T6_T7_T9_mT8_P12ihipStream_tbDpT10_ENKUlT_T0_E_clISt17integral_constantIbLb1EES1B_IbLb0EEEEDaS17_S18_EUlS17_E_NS1_11comp_targetILNS1_3genE2ELNS1_11target_archE906ELNS1_3gpuE6ELNS1_3repE0EEENS1_30default_config_static_selectorELNS0_4arch9wavefront6targetE1EEEvT1_,"axG",@progbits,_ZN7rocprim17ROCPRIM_400000_NS6detail17trampoline_kernelINS0_14default_configENS1_25partition_config_selectorILNS1_17partition_subalgoE8ElNS0_10empty_typeEbEEZZNS1_14partition_implILS5_8ELb0ES3_jPlPS6_PKS6_NS0_5tupleIJS9_S6_EEENSD_IJSA_SA_EEENS0_18inequality_wrapperIZN2at6native12_GLOBAL__N_124unique_dim_cuda_templateIbEESt5tupleIJNSH_6TensorESM_SM_EERKSM_lbbbEUlllE0_EEPmJS6_EEE10hipError_tPvRmT3_T4_T5_T6_T7_T9_mT8_P12ihipStream_tbDpT10_ENKUlT_T0_E_clISt17integral_constantIbLb1EES1B_IbLb0EEEEDaS17_S18_EUlS17_E_NS1_11comp_targetILNS1_3genE2ELNS1_11target_archE906ELNS1_3gpuE6ELNS1_3repE0EEENS1_30default_config_static_selectorELNS0_4arch9wavefront6targetE1EEEvT1_,comdat
.Lfunc_end1071:
	.size	_ZN7rocprim17ROCPRIM_400000_NS6detail17trampoline_kernelINS0_14default_configENS1_25partition_config_selectorILNS1_17partition_subalgoE8ElNS0_10empty_typeEbEEZZNS1_14partition_implILS5_8ELb0ES3_jPlPS6_PKS6_NS0_5tupleIJS9_S6_EEENSD_IJSA_SA_EEENS0_18inequality_wrapperIZN2at6native12_GLOBAL__N_124unique_dim_cuda_templateIbEESt5tupleIJNSH_6TensorESM_SM_EERKSM_lbbbEUlllE0_EEPmJS6_EEE10hipError_tPvRmT3_T4_T5_T6_T7_T9_mT8_P12ihipStream_tbDpT10_ENKUlT_T0_E_clISt17integral_constantIbLb1EES1B_IbLb0EEEEDaS17_S18_EUlS17_E_NS1_11comp_targetILNS1_3genE2ELNS1_11target_archE906ELNS1_3gpuE6ELNS1_3repE0EEENS1_30default_config_static_selectorELNS0_4arch9wavefront6targetE1EEEvT1_, .Lfunc_end1071-_ZN7rocprim17ROCPRIM_400000_NS6detail17trampoline_kernelINS0_14default_configENS1_25partition_config_selectorILNS1_17partition_subalgoE8ElNS0_10empty_typeEbEEZZNS1_14partition_implILS5_8ELb0ES3_jPlPS6_PKS6_NS0_5tupleIJS9_S6_EEENSD_IJSA_SA_EEENS0_18inequality_wrapperIZN2at6native12_GLOBAL__N_124unique_dim_cuda_templateIbEESt5tupleIJNSH_6TensorESM_SM_EERKSM_lbbbEUlllE0_EEPmJS6_EEE10hipError_tPvRmT3_T4_T5_T6_T7_T9_mT8_P12ihipStream_tbDpT10_ENKUlT_T0_E_clISt17integral_constantIbLb1EES1B_IbLb0EEEEDaS17_S18_EUlS17_E_NS1_11comp_targetILNS1_3genE2ELNS1_11target_archE906ELNS1_3gpuE6ELNS1_3repE0EEENS1_30default_config_static_selectorELNS0_4arch9wavefront6targetE1EEEvT1_
                                        ; -- End function
	.set _ZN7rocprim17ROCPRIM_400000_NS6detail17trampoline_kernelINS0_14default_configENS1_25partition_config_selectorILNS1_17partition_subalgoE8ElNS0_10empty_typeEbEEZZNS1_14partition_implILS5_8ELb0ES3_jPlPS6_PKS6_NS0_5tupleIJS9_S6_EEENSD_IJSA_SA_EEENS0_18inequality_wrapperIZN2at6native12_GLOBAL__N_124unique_dim_cuda_templateIbEESt5tupleIJNSH_6TensorESM_SM_EERKSM_lbbbEUlllE0_EEPmJS6_EEE10hipError_tPvRmT3_T4_T5_T6_T7_T9_mT8_P12ihipStream_tbDpT10_ENKUlT_T0_E_clISt17integral_constantIbLb1EES1B_IbLb0EEEEDaS17_S18_EUlS17_E_NS1_11comp_targetILNS1_3genE2ELNS1_11target_archE906ELNS1_3gpuE6ELNS1_3repE0EEENS1_30default_config_static_selectorELNS0_4arch9wavefront6targetE1EEEvT1_.num_vgpr, 0
	.set _ZN7rocprim17ROCPRIM_400000_NS6detail17trampoline_kernelINS0_14default_configENS1_25partition_config_selectorILNS1_17partition_subalgoE8ElNS0_10empty_typeEbEEZZNS1_14partition_implILS5_8ELb0ES3_jPlPS6_PKS6_NS0_5tupleIJS9_S6_EEENSD_IJSA_SA_EEENS0_18inequality_wrapperIZN2at6native12_GLOBAL__N_124unique_dim_cuda_templateIbEESt5tupleIJNSH_6TensorESM_SM_EERKSM_lbbbEUlllE0_EEPmJS6_EEE10hipError_tPvRmT3_T4_T5_T6_T7_T9_mT8_P12ihipStream_tbDpT10_ENKUlT_T0_E_clISt17integral_constantIbLb1EES1B_IbLb0EEEEDaS17_S18_EUlS17_E_NS1_11comp_targetILNS1_3genE2ELNS1_11target_archE906ELNS1_3gpuE6ELNS1_3repE0EEENS1_30default_config_static_selectorELNS0_4arch9wavefront6targetE1EEEvT1_.num_agpr, 0
	.set _ZN7rocprim17ROCPRIM_400000_NS6detail17trampoline_kernelINS0_14default_configENS1_25partition_config_selectorILNS1_17partition_subalgoE8ElNS0_10empty_typeEbEEZZNS1_14partition_implILS5_8ELb0ES3_jPlPS6_PKS6_NS0_5tupleIJS9_S6_EEENSD_IJSA_SA_EEENS0_18inequality_wrapperIZN2at6native12_GLOBAL__N_124unique_dim_cuda_templateIbEESt5tupleIJNSH_6TensorESM_SM_EERKSM_lbbbEUlllE0_EEPmJS6_EEE10hipError_tPvRmT3_T4_T5_T6_T7_T9_mT8_P12ihipStream_tbDpT10_ENKUlT_T0_E_clISt17integral_constantIbLb1EES1B_IbLb0EEEEDaS17_S18_EUlS17_E_NS1_11comp_targetILNS1_3genE2ELNS1_11target_archE906ELNS1_3gpuE6ELNS1_3repE0EEENS1_30default_config_static_selectorELNS0_4arch9wavefront6targetE1EEEvT1_.numbered_sgpr, 0
	.set _ZN7rocprim17ROCPRIM_400000_NS6detail17trampoline_kernelINS0_14default_configENS1_25partition_config_selectorILNS1_17partition_subalgoE8ElNS0_10empty_typeEbEEZZNS1_14partition_implILS5_8ELb0ES3_jPlPS6_PKS6_NS0_5tupleIJS9_S6_EEENSD_IJSA_SA_EEENS0_18inequality_wrapperIZN2at6native12_GLOBAL__N_124unique_dim_cuda_templateIbEESt5tupleIJNSH_6TensorESM_SM_EERKSM_lbbbEUlllE0_EEPmJS6_EEE10hipError_tPvRmT3_T4_T5_T6_T7_T9_mT8_P12ihipStream_tbDpT10_ENKUlT_T0_E_clISt17integral_constantIbLb1EES1B_IbLb0EEEEDaS17_S18_EUlS17_E_NS1_11comp_targetILNS1_3genE2ELNS1_11target_archE906ELNS1_3gpuE6ELNS1_3repE0EEENS1_30default_config_static_selectorELNS0_4arch9wavefront6targetE1EEEvT1_.num_named_barrier, 0
	.set _ZN7rocprim17ROCPRIM_400000_NS6detail17trampoline_kernelINS0_14default_configENS1_25partition_config_selectorILNS1_17partition_subalgoE8ElNS0_10empty_typeEbEEZZNS1_14partition_implILS5_8ELb0ES3_jPlPS6_PKS6_NS0_5tupleIJS9_S6_EEENSD_IJSA_SA_EEENS0_18inequality_wrapperIZN2at6native12_GLOBAL__N_124unique_dim_cuda_templateIbEESt5tupleIJNSH_6TensorESM_SM_EERKSM_lbbbEUlllE0_EEPmJS6_EEE10hipError_tPvRmT3_T4_T5_T6_T7_T9_mT8_P12ihipStream_tbDpT10_ENKUlT_T0_E_clISt17integral_constantIbLb1EES1B_IbLb0EEEEDaS17_S18_EUlS17_E_NS1_11comp_targetILNS1_3genE2ELNS1_11target_archE906ELNS1_3gpuE6ELNS1_3repE0EEENS1_30default_config_static_selectorELNS0_4arch9wavefront6targetE1EEEvT1_.private_seg_size, 0
	.set _ZN7rocprim17ROCPRIM_400000_NS6detail17trampoline_kernelINS0_14default_configENS1_25partition_config_selectorILNS1_17partition_subalgoE8ElNS0_10empty_typeEbEEZZNS1_14partition_implILS5_8ELb0ES3_jPlPS6_PKS6_NS0_5tupleIJS9_S6_EEENSD_IJSA_SA_EEENS0_18inequality_wrapperIZN2at6native12_GLOBAL__N_124unique_dim_cuda_templateIbEESt5tupleIJNSH_6TensorESM_SM_EERKSM_lbbbEUlllE0_EEPmJS6_EEE10hipError_tPvRmT3_T4_T5_T6_T7_T9_mT8_P12ihipStream_tbDpT10_ENKUlT_T0_E_clISt17integral_constantIbLb1EES1B_IbLb0EEEEDaS17_S18_EUlS17_E_NS1_11comp_targetILNS1_3genE2ELNS1_11target_archE906ELNS1_3gpuE6ELNS1_3repE0EEENS1_30default_config_static_selectorELNS0_4arch9wavefront6targetE1EEEvT1_.uses_vcc, 0
	.set _ZN7rocprim17ROCPRIM_400000_NS6detail17trampoline_kernelINS0_14default_configENS1_25partition_config_selectorILNS1_17partition_subalgoE8ElNS0_10empty_typeEbEEZZNS1_14partition_implILS5_8ELb0ES3_jPlPS6_PKS6_NS0_5tupleIJS9_S6_EEENSD_IJSA_SA_EEENS0_18inequality_wrapperIZN2at6native12_GLOBAL__N_124unique_dim_cuda_templateIbEESt5tupleIJNSH_6TensorESM_SM_EERKSM_lbbbEUlllE0_EEPmJS6_EEE10hipError_tPvRmT3_T4_T5_T6_T7_T9_mT8_P12ihipStream_tbDpT10_ENKUlT_T0_E_clISt17integral_constantIbLb1EES1B_IbLb0EEEEDaS17_S18_EUlS17_E_NS1_11comp_targetILNS1_3genE2ELNS1_11target_archE906ELNS1_3gpuE6ELNS1_3repE0EEENS1_30default_config_static_selectorELNS0_4arch9wavefront6targetE1EEEvT1_.uses_flat_scratch, 0
	.set _ZN7rocprim17ROCPRIM_400000_NS6detail17trampoline_kernelINS0_14default_configENS1_25partition_config_selectorILNS1_17partition_subalgoE8ElNS0_10empty_typeEbEEZZNS1_14partition_implILS5_8ELb0ES3_jPlPS6_PKS6_NS0_5tupleIJS9_S6_EEENSD_IJSA_SA_EEENS0_18inequality_wrapperIZN2at6native12_GLOBAL__N_124unique_dim_cuda_templateIbEESt5tupleIJNSH_6TensorESM_SM_EERKSM_lbbbEUlllE0_EEPmJS6_EEE10hipError_tPvRmT3_T4_T5_T6_T7_T9_mT8_P12ihipStream_tbDpT10_ENKUlT_T0_E_clISt17integral_constantIbLb1EES1B_IbLb0EEEEDaS17_S18_EUlS17_E_NS1_11comp_targetILNS1_3genE2ELNS1_11target_archE906ELNS1_3gpuE6ELNS1_3repE0EEENS1_30default_config_static_selectorELNS0_4arch9wavefront6targetE1EEEvT1_.has_dyn_sized_stack, 0
	.set _ZN7rocprim17ROCPRIM_400000_NS6detail17trampoline_kernelINS0_14default_configENS1_25partition_config_selectorILNS1_17partition_subalgoE8ElNS0_10empty_typeEbEEZZNS1_14partition_implILS5_8ELb0ES3_jPlPS6_PKS6_NS0_5tupleIJS9_S6_EEENSD_IJSA_SA_EEENS0_18inequality_wrapperIZN2at6native12_GLOBAL__N_124unique_dim_cuda_templateIbEESt5tupleIJNSH_6TensorESM_SM_EERKSM_lbbbEUlllE0_EEPmJS6_EEE10hipError_tPvRmT3_T4_T5_T6_T7_T9_mT8_P12ihipStream_tbDpT10_ENKUlT_T0_E_clISt17integral_constantIbLb1EES1B_IbLb0EEEEDaS17_S18_EUlS17_E_NS1_11comp_targetILNS1_3genE2ELNS1_11target_archE906ELNS1_3gpuE6ELNS1_3repE0EEENS1_30default_config_static_selectorELNS0_4arch9wavefront6targetE1EEEvT1_.has_recursion, 0
	.set _ZN7rocprim17ROCPRIM_400000_NS6detail17trampoline_kernelINS0_14default_configENS1_25partition_config_selectorILNS1_17partition_subalgoE8ElNS0_10empty_typeEbEEZZNS1_14partition_implILS5_8ELb0ES3_jPlPS6_PKS6_NS0_5tupleIJS9_S6_EEENSD_IJSA_SA_EEENS0_18inequality_wrapperIZN2at6native12_GLOBAL__N_124unique_dim_cuda_templateIbEESt5tupleIJNSH_6TensorESM_SM_EERKSM_lbbbEUlllE0_EEPmJS6_EEE10hipError_tPvRmT3_T4_T5_T6_T7_T9_mT8_P12ihipStream_tbDpT10_ENKUlT_T0_E_clISt17integral_constantIbLb1EES1B_IbLb0EEEEDaS17_S18_EUlS17_E_NS1_11comp_targetILNS1_3genE2ELNS1_11target_archE906ELNS1_3gpuE6ELNS1_3repE0EEENS1_30default_config_static_selectorELNS0_4arch9wavefront6targetE1EEEvT1_.has_indirect_call, 0
	.section	.AMDGPU.csdata,"",@progbits
; Kernel info:
; codeLenInByte = 0
; TotalNumSgprs: 6
; NumVgprs: 0
; NumAgprs: 0
; TotalNumVgprs: 0
; ScratchSize: 0
; MemoryBound: 0
; FloatMode: 240
; IeeeMode: 1
; LDSByteSize: 0 bytes/workgroup (compile time only)
; SGPRBlocks: 0
; VGPRBlocks: 0
; NumSGPRsForWavesPerEU: 6
; NumVGPRsForWavesPerEU: 1
; AccumOffset: 4
; Occupancy: 8
; WaveLimiterHint : 0
; COMPUTE_PGM_RSRC2:SCRATCH_EN: 0
; COMPUTE_PGM_RSRC2:USER_SGPR: 2
; COMPUTE_PGM_RSRC2:TRAP_HANDLER: 0
; COMPUTE_PGM_RSRC2:TGID_X_EN: 1
; COMPUTE_PGM_RSRC2:TGID_Y_EN: 0
; COMPUTE_PGM_RSRC2:TGID_Z_EN: 0
; COMPUTE_PGM_RSRC2:TIDIG_COMP_CNT: 0
; COMPUTE_PGM_RSRC3_GFX90A:ACCUM_OFFSET: 0
; COMPUTE_PGM_RSRC3_GFX90A:TG_SPLIT: 0
	.section	.text._ZN7rocprim17ROCPRIM_400000_NS6detail17trampoline_kernelINS0_14default_configENS1_25partition_config_selectorILNS1_17partition_subalgoE8ElNS0_10empty_typeEbEEZZNS1_14partition_implILS5_8ELb0ES3_jPlPS6_PKS6_NS0_5tupleIJS9_S6_EEENSD_IJSA_SA_EEENS0_18inequality_wrapperIZN2at6native12_GLOBAL__N_124unique_dim_cuda_templateIbEESt5tupleIJNSH_6TensorESM_SM_EERKSM_lbbbEUlllE0_EEPmJS6_EEE10hipError_tPvRmT3_T4_T5_T6_T7_T9_mT8_P12ihipStream_tbDpT10_ENKUlT_T0_E_clISt17integral_constantIbLb1EES1B_IbLb0EEEEDaS17_S18_EUlS17_E_NS1_11comp_targetILNS1_3genE10ELNS1_11target_archE1200ELNS1_3gpuE4ELNS1_3repE0EEENS1_30default_config_static_selectorELNS0_4arch9wavefront6targetE1EEEvT1_,"axG",@progbits,_ZN7rocprim17ROCPRIM_400000_NS6detail17trampoline_kernelINS0_14default_configENS1_25partition_config_selectorILNS1_17partition_subalgoE8ElNS0_10empty_typeEbEEZZNS1_14partition_implILS5_8ELb0ES3_jPlPS6_PKS6_NS0_5tupleIJS9_S6_EEENSD_IJSA_SA_EEENS0_18inequality_wrapperIZN2at6native12_GLOBAL__N_124unique_dim_cuda_templateIbEESt5tupleIJNSH_6TensorESM_SM_EERKSM_lbbbEUlllE0_EEPmJS6_EEE10hipError_tPvRmT3_T4_T5_T6_T7_T9_mT8_P12ihipStream_tbDpT10_ENKUlT_T0_E_clISt17integral_constantIbLb1EES1B_IbLb0EEEEDaS17_S18_EUlS17_E_NS1_11comp_targetILNS1_3genE10ELNS1_11target_archE1200ELNS1_3gpuE4ELNS1_3repE0EEENS1_30default_config_static_selectorELNS0_4arch9wavefront6targetE1EEEvT1_,comdat
	.globl	_ZN7rocprim17ROCPRIM_400000_NS6detail17trampoline_kernelINS0_14default_configENS1_25partition_config_selectorILNS1_17partition_subalgoE8ElNS0_10empty_typeEbEEZZNS1_14partition_implILS5_8ELb0ES3_jPlPS6_PKS6_NS0_5tupleIJS9_S6_EEENSD_IJSA_SA_EEENS0_18inequality_wrapperIZN2at6native12_GLOBAL__N_124unique_dim_cuda_templateIbEESt5tupleIJNSH_6TensorESM_SM_EERKSM_lbbbEUlllE0_EEPmJS6_EEE10hipError_tPvRmT3_T4_T5_T6_T7_T9_mT8_P12ihipStream_tbDpT10_ENKUlT_T0_E_clISt17integral_constantIbLb1EES1B_IbLb0EEEEDaS17_S18_EUlS17_E_NS1_11comp_targetILNS1_3genE10ELNS1_11target_archE1200ELNS1_3gpuE4ELNS1_3repE0EEENS1_30default_config_static_selectorELNS0_4arch9wavefront6targetE1EEEvT1_ ; -- Begin function _ZN7rocprim17ROCPRIM_400000_NS6detail17trampoline_kernelINS0_14default_configENS1_25partition_config_selectorILNS1_17partition_subalgoE8ElNS0_10empty_typeEbEEZZNS1_14partition_implILS5_8ELb0ES3_jPlPS6_PKS6_NS0_5tupleIJS9_S6_EEENSD_IJSA_SA_EEENS0_18inequality_wrapperIZN2at6native12_GLOBAL__N_124unique_dim_cuda_templateIbEESt5tupleIJNSH_6TensorESM_SM_EERKSM_lbbbEUlllE0_EEPmJS6_EEE10hipError_tPvRmT3_T4_T5_T6_T7_T9_mT8_P12ihipStream_tbDpT10_ENKUlT_T0_E_clISt17integral_constantIbLb1EES1B_IbLb0EEEEDaS17_S18_EUlS17_E_NS1_11comp_targetILNS1_3genE10ELNS1_11target_archE1200ELNS1_3gpuE4ELNS1_3repE0EEENS1_30default_config_static_selectorELNS0_4arch9wavefront6targetE1EEEvT1_
	.p2align	8
	.type	_ZN7rocprim17ROCPRIM_400000_NS6detail17trampoline_kernelINS0_14default_configENS1_25partition_config_selectorILNS1_17partition_subalgoE8ElNS0_10empty_typeEbEEZZNS1_14partition_implILS5_8ELb0ES3_jPlPS6_PKS6_NS0_5tupleIJS9_S6_EEENSD_IJSA_SA_EEENS0_18inequality_wrapperIZN2at6native12_GLOBAL__N_124unique_dim_cuda_templateIbEESt5tupleIJNSH_6TensorESM_SM_EERKSM_lbbbEUlllE0_EEPmJS6_EEE10hipError_tPvRmT3_T4_T5_T6_T7_T9_mT8_P12ihipStream_tbDpT10_ENKUlT_T0_E_clISt17integral_constantIbLb1EES1B_IbLb0EEEEDaS17_S18_EUlS17_E_NS1_11comp_targetILNS1_3genE10ELNS1_11target_archE1200ELNS1_3gpuE4ELNS1_3repE0EEENS1_30default_config_static_selectorELNS0_4arch9wavefront6targetE1EEEvT1_,@function
_ZN7rocprim17ROCPRIM_400000_NS6detail17trampoline_kernelINS0_14default_configENS1_25partition_config_selectorILNS1_17partition_subalgoE8ElNS0_10empty_typeEbEEZZNS1_14partition_implILS5_8ELb0ES3_jPlPS6_PKS6_NS0_5tupleIJS9_S6_EEENSD_IJSA_SA_EEENS0_18inequality_wrapperIZN2at6native12_GLOBAL__N_124unique_dim_cuda_templateIbEESt5tupleIJNSH_6TensorESM_SM_EERKSM_lbbbEUlllE0_EEPmJS6_EEE10hipError_tPvRmT3_T4_T5_T6_T7_T9_mT8_P12ihipStream_tbDpT10_ENKUlT_T0_E_clISt17integral_constantIbLb1EES1B_IbLb0EEEEDaS17_S18_EUlS17_E_NS1_11comp_targetILNS1_3genE10ELNS1_11target_archE1200ELNS1_3gpuE4ELNS1_3repE0EEENS1_30default_config_static_selectorELNS0_4arch9wavefront6targetE1EEEvT1_: ; @_ZN7rocprim17ROCPRIM_400000_NS6detail17trampoline_kernelINS0_14default_configENS1_25partition_config_selectorILNS1_17partition_subalgoE8ElNS0_10empty_typeEbEEZZNS1_14partition_implILS5_8ELb0ES3_jPlPS6_PKS6_NS0_5tupleIJS9_S6_EEENSD_IJSA_SA_EEENS0_18inequality_wrapperIZN2at6native12_GLOBAL__N_124unique_dim_cuda_templateIbEESt5tupleIJNSH_6TensorESM_SM_EERKSM_lbbbEUlllE0_EEPmJS6_EEE10hipError_tPvRmT3_T4_T5_T6_T7_T9_mT8_P12ihipStream_tbDpT10_ENKUlT_T0_E_clISt17integral_constantIbLb1EES1B_IbLb0EEEEDaS17_S18_EUlS17_E_NS1_11comp_targetILNS1_3genE10ELNS1_11target_archE1200ELNS1_3gpuE4ELNS1_3repE0EEENS1_30default_config_static_selectorELNS0_4arch9wavefront6targetE1EEEvT1_
; %bb.0:
	.section	.rodata,"a",@progbits
	.p2align	6, 0x0
	.amdhsa_kernel _ZN7rocprim17ROCPRIM_400000_NS6detail17trampoline_kernelINS0_14default_configENS1_25partition_config_selectorILNS1_17partition_subalgoE8ElNS0_10empty_typeEbEEZZNS1_14partition_implILS5_8ELb0ES3_jPlPS6_PKS6_NS0_5tupleIJS9_S6_EEENSD_IJSA_SA_EEENS0_18inequality_wrapperIZN2at6native12_GLOBAL__N_124unique_dim_cuda_templateIbEESt5tupleIJNSH_6TensorESM_SM_EERKSM_lbbbEUlllE0_EEPmJS6_EEE10hipError_tPvRmT3_T4_T5_T6_T7_T9_mT8_P12ihipStream_tbDpT10_ENKUlT_T0_E_clISt17integral_constantIbLb1EES1B_IbLb0EEEEDaS17_S18_EUlS17_E_NS1_11comp_targetILNS1_3genE10ELNS1_11target_archE1200ELNS1_3gpuE4ELNS1_3repE0EEENS1_30default_config_static_selectorELNS0_4arch9wavefront6targetE1EEEvT1_
		.amdhsa_group_segment_fixed_size 0
		.amdhsa_private_segment_fixed_size 0
		.amdhsa_kernarg_size 120
		.amdhsa_user_sgpr_count 2
		.amdhsa_user_sgpr_dispatch_ptr 0
		.amdhsa_user_sgpr_queue_ptr 0
		.amdhsa_user_sgpr_kernarg_segment_ptr 1
		.amdhsa_user_sgpr_dispatch_id 0
		.amdhsa_user_sgpr_kernarg_preload_length 0
		.amdhsa_user_sgpr_kernarg_preload_offset 0
		.amdhsa_user_sgpr_private_segment_size 0
		.amdhsa_uses_dynamic_stack 0
		.amdhsa_enable_private_segment 0
		.amdhsa_system_sgpr_workgroup_id_x 1
		.amdhsa_system_sgpr_workgroup_id_y 0
		.amdhsa_system_sgpr_workgroup_id_z 0
		.amdhsa_system_sgpr_workgroup_info 0
		.amdhsa_system_vgpr_workitem_id 0
		.amdhsa_next_free_vgpr 1
		.amdhsa_next_free_sgpr 0
		.amdhsa_accum_offset 4
		.amdhsa_reserve_vcc 0
		.amdhsa_float_round_mode_32 0
		.amdhsa_float_round_mode_16_64 0
		.amdhsa_float_denorm_mode_32 3
		.amdhsa_float_denorm_mode_16_64 3
		.amdhsa_dx10_clamp 1
		.amdhsa_ieee_mode 1
		.amdhsa_fp16_overflow 0
		.amdhsa_tg_split 0
		.amdhsa_exception_fp_ieee_invalid_op 0
		.amdhsa_exception_fp_denorm_src 0
		.amdhsa_exception_fp_ieee_div_zero 0
		.amdhsa_exception_fp_ieee_overflow 0
		.amdhsa_exception_fp_ieee_underflow 0
		.amdhsa_exception_fp_ieee_inexact 0
		.amdhsa_exception_int_div_zero 0
	.end_amdhsa_kernel
	.section	.text._ZN7rocprim17ROCPRIM_400000_NS6detail17trampoline_kernelINS0_14default_configENS1_25partition_config_selectorILNS1_17partition_subalgoE8ElNS0_10empty_typeEbEEZZNS1_14partition_implILS5_8ELb0ES3_jPlPS6_PKS6_NS0_5tupleIJS9_S6_EEENSD_IJSA_SA_EEENS0_18inequality_wrapperIZN2at6native12_GLOBAL__N_124unique_dim_cuda_templateIbEESt5tupleIJNSH_6TensorESM_SM_EERKSM_lbbbEUlllE0_EEPmJS6_EEE10hipError_tPvRmT3_T4_T5_T6_T7_T9_mT8_P12ihipStream_tbDpT10_ENKUlT_T0_E_clISt17integral_constantIbLb1EES1B_IbLb0EEEEDaS17_S18_EUlS17_E_NS1_11comp_targetILNS1_3genE10ELNS1_11target_archE1200ELNS1_3gpuE4ELNS1_3repE0EEENS1_30default_config_static_selectorELNS0_4arch9wavefront6targetE1EEEvT1_,"axG",@progbits,_ZN7rocprim17ROCPRIM_400000_NS6detail17trampoline_kernelINS0_14default_configENS1_25partition_config_selectorILNS1_17partition_subalgoE8ElNS0_10empty_typeEbEEZZNS1_14partition_implILS5_8ELb0ES3_jPlPS6_PKS6_NS0_5tupleIJS9_S6_EEENSD_IJSA_SA_EEENS0_18inequality_wrapperIZN2at6native12_GLOBAL__N_124unique_dim_cuda_templateIbEESt5tupleIJNSH_6TensorESM_SM_EERKSM_lbbbEUlllE0_EEPmJS6_EEE10hipError_tPvRmT3_T4_T5_T6_T7_T9_mT8_P12ihipStream_tbDpT10_ENKUlT_T0_E_clISt17integral_constantIbLb1EES1B_IbLb0EEEEDaS17_S18_EUlS17_E_NS1_11comp_targetILNS1_3genE10ELNS1_11target_archE1200ELNS1_3gpuE4ELNS1_3repE0EEENS1_30default_config_static_selectorELNS0_4arch9wavefront6targetE1EEEvT1_,comdat
.Lfunc_end1072:
	.size	_ZN7rocprim17ROCPRIM_400000_NS6detail17trampoline_kernelINS0_14default_configENS1_25partition_config_selectorILNS1_17partition_subalgoE8ElNS0_10empty_typeEbEEZZNS1_14partition_implILS5_8ELb0ES3_jPlPS6_PKS6_NS0_5tupleIJS9_S6_EEENSD_IJSA_SA_EEENS0_18inequality_wrapperIZN2at6native12_GLOBAL__N_124unique_dim_cuda_templateIbEESt5tupleIJNSH_6TensorESM_SM_EERKSM_lbbbEUlllE0_EEPmJS6_EEE10hipError_tPvRmT3_T4_T5_T6_T7_T9_mT8_P12ihipStream_tbDpT10_ENKUlT_T0_E_clISt17integral_constantIbLb1EES1B_IbLb0EEEEDaS17_S18_EUlS17_E_NS1_11comp_targetILNS1_3genE10ELNS1_11target_archE1200ELNS1_3gpuE4ELNS1_3repE0EEENS1_30default_config_static_selectorELNS0_4arch9wavefront6targetE1EEEvT1_, .Lfunc_end1072-_ZN7rocprim17ROCPRIM_400000_NS6detail17trampoline_kernelINS0_14default_configENS1_25partition_config_selectorILNS1_17partition_subalgoE8ElNS0_10empty_typeEbEEZZNS1_14partition_implILS5_8ELb0ES3_jPlPS6_PKS6_NS0_5tupleIJS9_S6_EEENSD_IJSA_SA_EEENS0_18inequality_wrapperIZN2at6native12_GLOBAL__N_124unique_dim_cuda_templateIbEESt5tupleIJNSH_6TensorESM_SM_EERKSM_lbbbEUlllE0_EEPmJS6_EEE10hipError_tPvRmT3_T4_T5_T6_T7_T9_mT8_P12ihipStream_tbDpT10_ENKUlT_T0_E_clISt17integral_constantIbLb1EES1B_IbLb0EEEEDaS17_S18_EUlS17_E_NS1_11comp_targetILNS1_3genE10ELNS1_11target_archE1200ELNS1_3gpuE4ELNS1_3repE0EEENS1_30default_config_static_selectorELNS0_4arch9wavefront6targetE1EEEvT1_
                                        ; -- End function
	.set _ZN7rocprim17ROCPRIM_400000_NS6detail17trampoline_kernelINS0_14default_configENS1_25partition_config_selectorILNS1_17partition_subalgoE8ElNS0_10empty_typeEbEEZZNS1_14partition_implILS5_8ELb0ES3_jPlPS6_PKS6_NS0_5tupleIJS9_S6_EEENSD_IJSA_SA_EEENS0_18inequality_wrapperIZN2at6native12_GLOBAL__N_124unique_dim_cuda_templateIbEESt5tupleIJNSH_6TensorESM_SM_EERKSM_lbbbEUlllE0_EEPmJS6_EEE10hipError_tPvRmT3_T4_T5_T6_T7_T9_mT8_P12ihipStream_tbDpT10_ENKUlT_T0_E_clISt17integral_constantIbLb1EES1B_IbLb0EEEEDaS17_S18_EUlS17_E_NS1_11comp_targetILNS1_3genE10ELNS1_11target_archE1200ELNS1_3gpuE4ELNS1_3repE0EEENS1_30default_config_static_selectorELNS0_4arch9wavefront6targetE1EEEvT1_.num_vgpr, 0
	.set _ZN7rocprim17ROCPRIM_400000_NS6detail17trampoline_kernelINS0_14default_configENS1_25partition_config_selectorILNS1_17partition_subalgoE8ElNS0_10empty_typeEbEEZZNS1_14partition_implILS5_8ELb0ES3_jPlPS6_PKS6_NS0_5tupleIJS9_S6_EEENSD_IJSA_SA_EEENS0_18inequality_wrapperIZN2at6native12_GLOBAL__N_124unique_dim_cuda_templateIbEESt5tupleIJNSH_6TensorESM_SM_EERKSM_lbbbEUlllE0_EEPmJS6_EEE10hipError_tPvRmT3_T4_T5_T6_T7_T9_mT8_P12ihipStream_tbDpT10_ENKUlT_T0_E_clISt17integral_constantIbLb1EES1B_IbLb0EEEEDaS17_S18_EUlS17_E_NS1_11comp_targetILNS1_3genE10ELNS1_11target_archE1200ELNS1_3gpuE4ELNS1_3repE0EEENS1_30default_config_static_selectorELNS0_4arch9wavefront6targetE1EEEvT1_.num_agpr, 0
	.set _ZN7rocprim17ROCPRIM_400000_NS6detail17trampoline_kernelINS0_14default_configENS1_25partition_config_selectorILNS1_17partition_subalgoE8ElNS0_10empty_typeEbEEZZNS1_14partition_implILS5_8ELb0ES3_jPlPS6_PKS6_NS0_5tupleIJS9_S6_EEENSD_IJSA_SA_EEENS0_18inequality_wrapperIZN2at6native12_GLOBAL__N_124unique_dim_cuda_templateIbEESt5tupleIJNSH_6TensorESM_SM_EERKSM_lbbbEUlllE0_EEPmJS6_EEE10hipError_tPvRmT3_T4_T5_T6_T7_T9_mT8_P12ihipStream_tbDpT10_ENKUlT_T0_E_clISt17integral_constantIbLb1EES1B_IbLb0EEEEDaS17_S18_EUlS17_E_NS1_11comp_targetILNS1_3genE10ELNS1_11target_archE1200ELNS1_3gpuE4ELNS1_3repE0EEENS1_30default_config_static_selectorELNS0_4arch9wavefront6targetE1EEEvT1_.numbered_sgpr, 0
	.set _ZN7rocprim17ROCPRIM_400000_NS6detail17trampoline_kernelINS0_14default_configENS1_25partition_config_selectorILNS1_17partition_subalgoE8ElNS0_10empty_typeEbEEZZNS1_14partition_implILS5_8ELb0ES3_jPlPS6_PKS6_NS0_5tupleIJS9_S6_EEENSD_IJSA_SA_EEENS0_18inequality_wrapperIZN2at6native12_GLOBAL__N_124unique_dim_cuda_templateIbEESt5tupleIJNSH_6TensorESM_SM_EERKSM_lbbbEUlllE0_EEPmJS6_EEE10hipError_tPvRmT3_T4_T5_T6_T7_T9_mT8_P12ihipStream_tbDpT10_ENKUlT_T0_E_clISt17integral_constantIbLb1EES1B_IbLb0EEEEDaS17_S18_EUlS17_E_NS1_11comp_targetILNS1_3genE10ELNS1_11target_archE1200ELNS1_3gpuE4ELNS1_3repE0EEENS1_30default_config_static_selectorELNS0_4arch9wavefront6targetE1EEEvT1_.num_named_barrier, 0
	.set _ZN7rocprim17ROCPRIM_400000_NS6detail17trampoline_kernelINS0_14default_configENS1_25partition_config_selectorILNS1_17partition_subalgoE8ElNS0_10empty_typeEbEEZZNS1_14partition_implILS5_8ELb0ES3_jPlPS6_PKS6_NS0_5tupleIJS9_S6_EEENSD_IJSA_SA_EEENS0_18inequality_wrapperIZN2at6native12_GLOBAL__N_124unique_dim_cuda_templateIbEESt5tupleIJNSH_6TensorESM_SM_EERKSM_lbbbEUlllE0_EEPmJS6_EEE10hipError_tPvRmT3_T4_T5_T6_T7_T9_mT8_P12ihipStream_tbDpT10_ENKUlT_T0_E_clISt17integral_constantIbLb1EES1B_IbLb0EEEEDaS17_S18_EUlS17_E_NS1_11comp_targetILNS1_3genE10ELNS1_11target_archE1200ELNS1_3gpuE4ELNS1_3repE0EEENS1_30default_config_static_selectorELNS0_4arch9wavefront6targetE1EEEvT1_.private_seg_size, 0
	.set _ZN7rocprim17ROCPRIM_400000_NS6detail17trampoline_kernelINS0_14default_configENS1_25partition_config_selectorILNS1_17partition_subalgoE8ElNS0_10empty_typeEbEEZZNS1_14partition_implILS5_8ELb0ES3_jPlPS6_PKS6_NS0_5tupleIJS9_S6_EEENSD_IJSA_SA_EEENS0_18inequality_wrapperIZN2at6native12_GLOBAL__N_124unique_dim_cuda_templateIbEESt5tupleIJNSH_6TensorESM_SM_EERKSM_lbbbEUlllE0_EEPmJS6_EEE10hipError_tPvRmT3_T4_T5_T6_T7_T9_mT8_P12ihipStream_tbDpT10_ENKUlT_T0_E_clISt17integral_constantIbLb1EES1B_IbLb0EEEEDaS17_S18_EUlS17_E_NS1_11comp_targetILNS1_3genE10ELNS1_11target_archE1200ELNS1_3gpuE4ELNS1_3repE0EEENS1_30default_config_static_selectorELNS0_4arch9wavefront6targetE1EEEvT1_.uses_vcc, 0
	.set _ZN7rocprim17ROCPRIM_400000_NS6detail17trampoline_kernelINS0_14default_configENS1_25partition_config_selectorILNS1_17partition_subalgoE8ElNS0_10empty_typeEbEEZZNS1_14partition_implILS5_8ELb0ES3_jPlPS6_PKS6_NS0_5tupleIJS9_S6_EEENSD_IJSA_SA_EEENS0_18inequality_wrapperIZN2at6native12_GLOBAL__N_124unique_dim_cuda_templateIbEESt5tupleIJNSH_6TensorESM_SM_EERKSM_lbbbEUlllE0_EEPmJS6_EEE10hipError_tPvRmT3_T4_T5_T6_T7_T9_mT8_P12ihipStream_tbDpT10_ENKUlT_T0_E_clISt17integral_constantIbLb1EES1B_IbLb0EEEEDaS17_S18_EUlS17_E_NS1_11comp_targetILNS1_3genE10ELNS1_11target_archE1200ELNS1_3gpuE4ELNS1_3repE0EEENS1_30default_config_static_selectorELNS0_4arch9wavefront6targetE1EEEvT1_.uses_flat_scratch, 0
	.set _ZN7rocprim17ROCPRIM_400000_NS6detail17trampoline_kernelINS0_14default_configENS1_25partition_config_selectorILNS1_17partition_subalgoE8ElNS0_10empty_typeEbEEZZNS1_14partition_implILS5_8ELb0ES3_jPlPS6_PKS6_NS0_5tupleIJS9_S6_EEENSD_IJSA_SA_EEENS0_18inequality_wrapperIZN2at6native12_GLOBAL__N_124unique_dim_cuda_templateIbEESt5tupleIJNSH_6TensorESM_SM_EERKSM_lbbbEUlllE0_EEPmJS6_EEE10hipError_tPvRmT3_T4_T5_T6_T7_T9_mT8_P12ihipStream_tbDpT10_ENKUlT_T0_E_clISt17integral_constantIbLb1EES1B_IbLb0EEEEDaS17_S18_EUlS17_E_NS1_11comp_targetILNS1_3genE10ELNS1_11target_archE1200ELNS1_3gpuE4ELNS1_3repE0EEENS1_30default_config_static_selectorELNS0_4arch9wavefront6targetE1EEEvT1_.has_dyn_sized_stack, 0
	.set _ZN7rocprim17ROCPRIM_400000_NS6detail17trampoline_kernelINS0_14default_configENS1_25partition_config_selectorILNS1_17partition_subalgoE8ElNS0_10empty_typeEbEEZZNS1_14partition_implILS5_8ELb0ES3_jPlPS6_PKS6_NS0_5tupleIJS9_S6_EEENSD_IJSA_SA_EEENS0_18inequality_wrapperIZN2at6native12_GLOBAL__N_124unique_dim_cuda_templateIbEESt5tupleIJNSH_6TensorESM_SM_EERKSM_lbbbEUlllE0_EEPmJS6_EEE10hipError_tPvRmT3_T4_T5_T6_T7_T9_mT8_P12ihipStream_tbDpT10_ENKUlT_T0_E_clISt17integral_constantIbLb1EES1B_IbLb0EEEEDaS17_S18_EUlS17_E_NS1_11comp_targetILNS1_3genE10ELNS1_11target_archE1200ELNS1_3gpuE4ELNS1_3repE0EEENS1_30default_config_static_selectorELNS0_4arch9wavefront6targetE1EEEvT1_.has_recursion, 0
	.set _ZN7rocprim17ROCPRIM_400000_NS6detail17trampoline_kernelINS0_14default_configENS1_25partition_config_selectorILNS1_17partition_subalgoE8ElNS0_10empty_typeEbEEZZNS1_14partition_implILS5_8ELb0ES3_jPlPS6_PKS6_NS0_5tupleIJS9_S6_EEENSD_IJSA_SA_EEENS0_18inequality_wrapperIZN2at6native12_GLOBAL__N_124unique_dim_cuda_templateIbEESt5tupleIJNSH_6TensorESM_SM_EERKSM_lbbbEUlllE0_EEPmJS6_EEE10hipError_tPvRmT3_T4_T5_T6_T7_T9_mT8_P12ihipStream_tbDpT10_ENKUlT_T0_E_clISt17integral_constantIbLb1EES1B_IbLb0EEEEDaS17_S18_EUlS17_E_NS1_11comp_targetILNS1_3genE10ELNS1_11target_archE1200ELNS1_3gpuE4ELNS1_3repE0EEENS1_30default_config_static_selectorELNS0_4arch9wavefront6targetE1EEEvT1_.has_indirect_call, 0
	.section	.AMDGPU.csdata,"",@progbits
; Kernel info:
; codeLenInByte = 0
; TotalNumSgprs: 6
; NumVgprs: 0
; NumAgprs: 0
; TotalNumVgprs: 0
; ScratchSize: 0
; MemoryBound: 0
; FloatMode: 240
; IeeeMode: 1
; LDSByteSize: 0 bytes/workgroup (compile time only)
; SGPRBlocks: 0
; VGPRBlocks: 0
; NumSGPRsForWavesPerEU: 6
; NumVGPRsForWavesPerEU: 1
; AccumOffset: 4
; Occupancy: 8
; WaveLimiterHint : 0
; COMPUTE_PGM_RSRC2:SCRATCH_EN: 0
; COMPUTE_PGM_RSRC2:USER_SGPR: 2
; COMPUTE_PGM_RSRC2:TRAP_HANDLER: 0
; COMPUTE_PGM_RSRC2:TGID_X_EN: 1
; COMPUTE_PGM_RSRC2:TGID_Y_EN: 0
; COMPUTE_PGM_RSRC2:TGID_Z_EN: 0
; COMPUTE_PGM_RSRC2:TIDIG_COMP_CNT: 0
; COMPUTE_PGM_RSRC3_GFX90A:ACCUM_OFFSET: 0
; COMPUTE_PGM_RSRC3_GFX90A:TG_SPLIT: 0
	.section	.text._ZN7rocprim17ROCPRIM_400000_NS6detail17trampoline_kernelINS0_14default_configENS1_25partition_config_selectorILNS1_17partition_subalgoE8ElNS0_10empty_typeEbEEZZNS1_14partition_implILS5_8ELb0ES3_jPlPS6_PKS6_NS0_5tupleIJS9_S6_EEENSD_IJSA_SA_EEENS0_18inequality_wrapperIZN2at6native12_GLOBAL__N_124unique_dim_cuda_templateIbEESt5tupleIJNSH_6TensorESM_SM_EERKSM_lbbbEUlllE0_EEPmJS6_EEE10hipError_tPvRmT3_T4_T5_T6_T7_T9_mT8_P12ihipStream_tbDpT10_ENKUlT_T0_E_clISt17integral_constantIbLb1EES1B_IbLb0EEEEDaS17_S18_EUlS17_E_NS1_11comp_targetILNS1_3genE9ELNS1_11target_archE1100ELNS1_3gpuE3ELNS1_3repE0EEENS1_30default_config_static_selectorELNS0_4arch9wavefront6targetE1EEEvT1_,"axG",@progbits,_ZN7rocprim17ROCPRIM_400000_NS6detail17trampoline_kernelINS0_14default_configENS1_25partition_config_selectorILNS1_17partition_subalgoE8ElNS0_10empty_typeEbEEZZNS1_14partition_implILS5_8ELb0ES3_jPlPS6_PKS6_NS0_5tupleIJS9_S6_EEENSD_IJSA_SA_EEENS0_18inequality_wrapperIZN2at6native12_GLOBAL__N_124unique_dim_cuda_templateIbEESt5tupleIJNSH_6TensorESM_SM_EERKSM_lbbbEUlllE0_EEPmJS6_EEE10hipError_tPvRmT3_T4_T5_T6_T7_T9_mT8_P12ihipStream_tbDpT10_ENKUlT_T0_E_clISt17integral_constantIbLb1EES1B_IbLb0EEEEDaS17_S18_EUlS17_E_NS1_11comp_targetILNS1_3genE9ELNS1_11target_archE1100ELNS1_3gpuE3ELNS1_3repE0EEENS1_30default_config_static_selectorELNS0_4arch9wavefront6targetE1EEEvT1_,comdat
	.globl	_ZN7rocprim17ROCPRIM_400000_NS6detail17trampoline_kernelINS0_14default_configENS1_25partition_config_selectorILNS1_17partition_subalgoE8ElNS0_10empty_typeEbEEZZNS1_14partition_implILS5_8ELb0ES3_jPlPS6_PKS6_NS0_5tupleIJS9_S6_EEENSD_IJSA_SA_EEENS0_18inequality_wrapperIZN2at6native12_GLOBAL__N_124unique_dim_cuda_templateIbEESt5tupleIJNSH_6TensorESM_SM_EERKSM_lbbbEUlllE0_EEPmJS6_EEE10hipError_tPvRmT3_T4_T5_T6_T7_T9_mT8_P12ihipStream_tbDpT10_ENKUlT_T0_E_clISt17integral_constantIbLb1EES1B_IbLb0EEEEDaS17_S18_EUlS17_E_NS1_11comp_targetILNS1_3genE9ELNS1_11target_archE1100ELNS1_3gpuE3ELNS1_3repE0EEENS1_30default_config_static_selectorELNS0_4arch9wavefront6targetE1EEEvT1_ ; -- Begin function _ZN7rocprim17ROCPRIM_400000_NS6detail17trampoline_kernelINS0_14default_configENS1_25partition_config_selectorILNS1_17partition_subalgoE8ElNS0_10empty_typeEbEEZZNS1_14partition_implILS5_8ELb0ES3_jPlPS6_PKS6_NS0_5tupleIJS9_S6_EEENSD_IJSA_SA_EEENS0_18inequality_wrapperIZN2at6native12_GLOBAL__N_124unique_dim_cuda_templateIbEESt5tupleIJNSH_6TensorESM_SM_EERKSM_lbbbEUlllE0_EEPmJS6_EEE10hipError_tPvRmT3_T4_T5_T6_T7_T9_mT8_P12ihipStream_tbDpT10_ENKUlT_T0_E_clISt17integral_constantIbLb1EES1B_IbLb0EEEEDaS17_S18_EUlS17_E_NS1_11comp_targetILNS1_3genE9ELNS1_11target_archE1100ELNS1_3gpuE3ELNS1_3repE0EEENS1_30default_config_static_selectorELNS0_4arch9wavefront6targetE1EEEvT1_
	.p2align	8
	.type	_ZN7rocprim17ROCPRIM_400000_NS6detail17trampoline_kernelINS0_14default_configENS1_25partition_config_selectorILNS1_17partition_subalgoE8ElNS0_10empty_typeEbEEZZNS1_14partition_implILS5_8ELb0ES3_jPlPS6_PKS6_NS0_5tupleIJS9_S6_EEENSD_IJSA_SA_EEENS0_18inequality_wrapperIZN2at6native12_GLOBAL__N_124unique_dim_cuda_templateIbEESt5tupleIJNSH_6TensorESM_SM_EERKSM_lbbbEUlllE0_EEPmJS6_EEE10hipError_tPvRmT3_T4_T5_T6_T7_T9_mT8_P12ihipStream_tbDpT10_ENKUlT_T0_E_clISt17integral_constantIbLb1EES1B_IbLb0EEEEDaS17_S18_EUlS17_E_NS1_11comp_targetILNS1_3genE9ELNS1_11target_archE1100ELNS1_3gpuE3ELNS1_3repE0EEENS1_30default_config_static_selectorELNS0_4arch9wavefront6targetE1EEEvT1_,@function
_ZN7rocprim17ROCPRIM_400000_NS6detail17trampoline_kernelINS0_14default_configENS1_25partition_config_selectorILNS1_17partition_subalgoE8ElNS0_10empty_typeEbEEZZNS1_14partition_implILS5_8ELb0ES3_jPlPS6_PKS6_NS0_5tupleIJS9_S6_EEENSD_IJSA_SA_EEENS0_18inequality_wrapperIZN2at6native12_GLOBAL__N_124unique_dim_cuda_templateIbEESt5tupleIJNSH_6TensorESM_SM_EERKSM_lbbbEUlllE0_EEPmJS6_EEE10hipError_tPvRmT3_T4_T5_T6_T7_T9_mT8_P12ihipStream_tbDpT10_ENKUlT_T0_E_clISt17integral_constantIbLb1EES1B_IbLb0EEEEDaS17_S18_EUlS17_E_NS1_11comp_targetILNS1_3genE9ELNS1_11target_archE1100ELNS1_3gpuE3ELNS1_3repE0EEENS1_30default_config_static_selectorELNS0_4arch9wavefront6targetE1EEEvT1_: ; @_ZN7rocprim17ROCPRIM_400000_NS6detail17trampoline_kernelINS0_14default_configENS1_25partition_config_selectorILNS1_17partition_subalgoE8ElNS0_10empty_typeEbEEZZNS1_14partition_implILS5_8ELb0ES3_jPlPS6_PKS6_NS0_5tupleIJS9_S6_EEENSD_IJSA_SA_EEENS0_18inequality_wrapperIZN2at6native12_GLOBAL__N_124unique_dim_cuda_templateIbEESt5tupleIJNSH_6TensorESM_SM_EERKSM_lbbbEUlllE0_EEPmJS6_EEE10hipError_tPvRmT3_T4_T5_T6_T7_T9_mT8_P12ihipStream_tbDpT10_ENKUlT_T0_E_clISt17integral_constantIbLb1EES1B_IbLb0EEEEDaS17_S18_EUlS17_E_NS1_11comp_targetILNS1_3genE9ELNS1_11target_archE1100ELNS1_3gpuE3ELNS1_3repE0EEENS1_30default_config_static_selectorELNS0_4arch9wavefront6targetE1EEEvT1_
; %bb.0:
	.section	.rodata,"a",@progbits
	.p2align	6, 0x0
	.amdhsa_kernel _ZN7rocprim17ROCPRIM_400000_NS6detail17trampoline_kernelINS0_14default_configENS1_25partition_config_selectorILNS1_17partition_subalgoE8ElNS0_10empty_typeEbEEZZNS1_14partition_implILS5_8ELb0ES3_jPlPS6_PKS6_NS0_5tupleIJS9_S6_EEENSD_IJSA_SA_EEENS0_18inequality_wrapperIZN2at6native12_GLOBAL__N_124unique_dim_cuda_templateIbEESt5tupleIJNSH_6TensorESM_SM_EERKSM_lbbbEUlllE0_EEPmJS6_EEE10hipError_tPvRmT3_T4_T5_T6_T7_T9_mT8_P12ihipStream_tbDpT10_ENKUlT_T0_E_clISt17integral_constantIbLb1EES1B_IbLb0EEEEDaS17_S18_EUlS17_E_NS1_11comp_targetILNS1_3genE9ELNS1_11target_archE1100ELNS1_3gpuE3ELNS1_3repE0EEENS1_30default_config_static_selectorELNS0_4arch9wavefront6targetE1EEEvT1_
		.amdhsa_group_segment_fixed_size 0
		.amdhsa_private_segment_fixed_size 0
		.amdhsa_kernarg_size 120
		.amdhsa_user_sgpr_count 2
		.amdhsa_user_sgpr_dispatch_ptr 0
		.amdhsa_user_sgpr_queue_ptr 0
		.amdhsa_user_sgpr_kernarg_segment_ptr 1
		.amdhsa_user_sgpr_dispatch_id 0
		.amdhsa_user_sgpr_kernarg_preload_length 0
		.amdhsa_user_sgpr_kernarg_preload_offset 0
		.amdhsa_user_sgpr_private_segment_size 0
		.amdhsa_uses_dynamic_stack 0
		.amdhsa_enable_private_segment 0
		.amdhsa_system_sgpr_workgroup_id_x 1
		.amdhsa_system_sgpr_workgroup_id_y 0
		.amdhsa_system_sgpr_workgroup_id_z 0
		.amdhsa_system_sgpr_workgroup_info 0
		.amdhsa_system_vgpr_workitem_id 0
		.amdhsa_next_free_vgpr 1
		.amdhsa_next_free_sgpr 0
		.amdhsa_accum_offset 4
		.amdhsa_reserve_vcc 0
		.amdhsa_float_round_mode_32 0
		.amdhsa_float_round_mode_16_64 0
		.amdhsa_float_denorm_mode_32 3
		.amdhsa_float_denorm_mode_16_64 3
		.amdhsa_dx10_clamp 1
		.amdhsa_ieee_mode 1
		.amdhsa_fp16_overflow 0
		.amdhsa_tg_split 0
		.amdhsa_exception_fp_ieee_invalid_op 0
		.amdhsa_exception_fp_denorm_src 0
		.amdhsa_exception_fp_ieee_div_zero 0
		.amdhsa_exception_fp_ieee_overflow 0
		.amdhsa_exception_fp_ieee_underflow 0
		.amdhsa_exception_fp_ieee_inexact 0
		.amdhsa_exception_int_div_zero 0
	.end_amdhsa_kernel
	.section	.text._ZN7rocprim17ROCPRIM_400000_NS6detail17trampoline_kernelINS0_14default_configENS1_25partition_config_selectorILNS1_17partition_subalgoE8ElNS0_10empty_typeEbEEZZNS1_14partition_implILS5_8ELb0ES3_jPlPS6_PKS6_NS0_5tupleIJS9_S6_EEENSD_IJSA_SA_EEENS0_18inequality_wrapperIZN2at6native12_GLOBAL__N_124unique_dim_cuda_templateIbEESt5tupleIJNSH_6TensorESM_SM_EERKSM_lbbbEUlllE0_EEPmJS6_EEE10hipError_tPvRmT3_T4_T5_T6_T7_T9_mT8_P12ihipStream_tbDpT10_ENKUlT_T0_E_clISt17integral_constantIbLb1EES1B_IbLb0EEEEDaS17_S18_EUlS17_E_NS1_11comp_targetILNS1_3genE9ELNS1_11target_archE1100ELNS1_3gpuE3ELNS1_3repE0EEENS1_30default_config_static_selectorELNS0_4arch9wavefront6targetE1EEEvT1_,"axG",@progbits,_ZN7rocprim17ROCPRIM_400000_NS6detail17trampoline_kernelINS0_14default_configENS1_25partition_config_selectorILNS1_17partition_subalgoE8ElNS0_10empty_typeEbEEZZNS1_14partition_implILS5_8ELb0ES3_jPlPS6_PKS6_NS0_5tupleIJS9_S6_EEENSD_IJSA_SA_EEENS0_18inequality_wrapperIZN2at6native12_GLOBAL__N_124unique_dim_cuda_templateIbEESt5tupleIJNSH_6TensorESM_SM_EERKSM_lbbbEUlllE0_EEPmJS6_EEE10hipError_tPvRmT3_T4_T5_T6_T7_T9_mT8_P12ihipStream_tbDpT10_ENKUlT_T0_E_clISt17integral_constantIbLb1EES1B_IbLb0EEEEDaS17_S18_EUlS17_E_NS1_11comp_targetILNS1_3genE9ELNS1_11target_archE1100ELNS1_3gpuE3ELNS1_3repE0EEENS1_30default_config_static_selectorELNS0_4arch9wavefront6targetE1EEEvT1_,comdat
.Lfunc_end1073:
	.size	_ZN7rocprim17ROCPRIM_400000_NS6detail17trampoline_kernelINS0_14default_configENS1_25partition_config_selectorILNS1_17partition_subalgoE8ElNS0_10empty_typeEbEEZZNS1_14partition_implILS5_8ELb0ES3_jPlPS6_PKS6_NS0_5tupleIJS9_S6_EEENSD_IJSA_SA_EEENS0_18inequality_wrapperIZN2at6native12_GLOBAL__N_124unique_dim_cuda_templateIbEESt5tupleIJNSH_6TensorESM_SM_EERKSM_lbbbEUlllE0_EEPmJS6_EEE10hipError_tPvRmT3_T4_T5_T6_T7_T9_mT8_P12ihipStream_tbDpT10_ENKUlT_T0_E_clISt17integral_constantIbLb1EES1B_IbLb0EEEEDaS17_S18_EUlS17_E_NS1_11comp_targetILNS1_3genE9ELNS1_11target_archE1100ELNS1_3gpuE3ELNS1_3repE0EEENS1_30default_config_static_selectorELNS0_4arch9wavefront6targetE1EEEvT1_, .Lfunc_end1073-_ZN7rocprim17ROCPRIM_400000_NS6detail17trampoline_kernelINS0_14default_configENS1_25partition_config_selectorILNS1_17partition_subalgoE8ElNS0_10empty_typeEbEEZZNS1_14partition_implILS5_8ELb0ES3_jPlPS6_PKS6_NS0_5tupleIJS9_S6_EEENSD_IJSA_SA_EEENS0_18inequality_wrapperIZN2at6native12_GLOBAL__N_124unique_dim_cuda_templateIbEESt5tupleIJNSH_6TensorESM_SM_EERKSM_lbbbEUlllE0_EEPmJS6_EEE10hipError_tPvRmT3_T4_T5_T6_T7_T9_mT8_P12ihipStream_tbDpT10_ENKUlT_T0_E_clISt17integral_constantIbLb1EES1B_IbLb0EEEEDaS17_S18_EUlS17_E_NS1_11comp_targetILNS1_3genE9ELNS1_11target_archE1100ELNS1_3gpuE3ELNS1_3repE0EEENS1_30default_config_static_selectorELNS0_4arch9wavefront6targetE1EEEvT1_
                                        ; -- End function
	.set _ZN7rocprim17ROCPRIM_400000_NS6detail17trampoline_kernelINS0_14default_configENS1_25partition_config_selectorILNS1_17partition_subalgoE8ElNS0_10empty_typeEbEEZZNS1_14partition_implILS5_8ELb0ES3_jPlPS6_PKS6_NS0_5tupleIJS9_S6_EEENSD_IJSA_SA_EEENS0_18inequality_wrapperIZN2at6native12_GLOBAL__N_124unique_dim_cuda_templateIbEESt5tupleIJNSH_6TensorESM_SM_EERKSM_lbbbEUlllE0_EEPmJS6_EEE10hipError_tPvRmT3_T4_T5_T6_T7_T9_mT8_P12ihipStream_tbDpT10_ENKUlT_T0_E_clISt17integral_constantIbLb1EES1B_IbLb0EEEEDaS17_S18_EUlS17_E_NS1_11comp_targetILNS1_3genE9ELNS1_11target_archE1100ELNS1_3gpuE3ELNS1_3repE0EEENS1_30default_config_static_selectorELNS0_4arch9wavefront6targetE1EEEvT1_.num_vgpr, 0
	.set _ZN7rocprim17ROCPRIM_400000_NS6detail17trampoline_kernelINS0_14default_configENS1_25partition_config_selectorILNS1_17partition_subalgoE8ElNS0_10empty_typeEbEEZZNS1_14partition_implILS5_8ELb0ES3_jPlPS6_PKS6_NS0_5tupleIJS9_S6_EEENSD_IJSA_SA_EEENS0_18inequality_wrapperIZN2at6native12_GLOBAL__N_124unique_dim_cuda_templateIbEESt5tupleIJNSH_6TensorESM_SM_EERKSM_lbbbEUlllE0_EEPmJS6_EEE10hipError_tPvRmT3_T4_T5_T6_T7_T9_mT8_P12ihipStream_tbDpT10_ENKUlT_T0_E_clISt17integral_constantIbLb1EES1B_IbLb0EEEEDaS17_S18_EUlS17_E_NS1_11comp_targetILNS1_3genE9ELNS1_11target_archE1100ELNS1_3gpuE3ELNS1_3repE0EEENS1_30default_config_static_selectorELNS0_4arch9wavefront6targetE1EEEvT1_.num_agpr, 0
	.set _ZN7rocprim17ROCPRIM_400000_NS6detail17trampoline_kernelINS0_14default_configENS1_25partition_config_selectorILNS1_17partition_subalgoE8ElNS0_10empty_typeEbEEZZNS1_14partition_implILS5_8ELb0ES3_jPlPS6_PKS6_NS0_5tupleIJS9_S6_EEENSD_IJSA_SA_EEENS0_18inequality_wrapperIZN2at6native12_GLOBAL__N_124unique_dim_cuda_templateIbEESt5tupleIJNSH_6TensorESM_SM_EERKSM_lbbbEUlllE0_EEPmJS6_EEE10hipError_tPvRmT3_T4_T5_T6_T7_T9_mT8_P12ihipStream_tbDpT10_ENKUlT_T0_E_clISt17integral_constantIbLb1EES1B_IbLb0EEEEDaS17_S18_EUlS17_E_NS1_11comp_targetILNS1_3genE9ELNS1_11target_archE1100ELNS1_3gpuE3ELNS1_3repE0EEENS1_30default_config_static_selectorELNS0_4arch9wavefront6targetE1EEEvT1_.numbered_sgpr, 0
	.set _ZN7rocprim17ROCPRIM_400000_NS6detail17trampoline_kernelINS0_14default_configENS1_25partition_config_selectorILNS1_17partition_subalgoE8ElNS0_10empty_typeEbEEZZNS1_14partition_implILS5_8ELb0ES3_jPlPS6_PKS6_NS0_5tupleIJS9_S6_EEENSD_IJSA_SA_EEENS0_18inequality_wrapperIZN2at6native12_GLOBAL__N_124unique_dim_cuda_templateIbEESt5tupleIJNSH_6TensorESM_SM_EERKSM_lbbbEUlllE0_EEPmJS6_EEE10hipError_tPvRmT3_T4_T5_T6_T7_T9_mT8_P12ihipStream_tbDpT10_ENKUlT_T0_E_clISt17integral_constantIbLb1EES1B_IbLb0EEEEDaS17_S18_EUlS17_E_NS1_11comp_targetILNS1_3genE9ELNS1_11target_archE1100ELNS1_3gpuE3ELNS1_3repE0EEENS1_30default_config_static_selectorELNS0_4arch9wavefront6targetE1EEEvT1_.num_named_barrier, 0
	.set _ZN7rocprim17ROCPRIM_400000_NS6detail17trampoline_kernelINS0_14default_configENS1_25partition_config_selectorILNS1_17partition_subalgoE8ElNS0_10empty_typeEbEEZZNS1_14partition_implILS5_8ELb0ES3_jPlPS6_PKS6_NS0_5tupleIJS9_S6_EEENSD_IJSA_SA_EEENS0_18inequality_wrapperIZN2at6native12_GLOBAL__N_124unique_dim_cuda_templateIbEESt5tupleIJNSH_6TensorESM_SM_EERKSM_lbbbEUlllE0_EEPmJS6_EEE10hipError_tPvRmT3_T4_T5_T6_T7_T9_mT8_P12ihipStream_tbDpT10_ENKUlT_T0_E_clISt17integral_constantIbLb1EES1B_IbLb0EEEEDaS17_S18_EUlS17_E_NS1_11comp_targetILNS1_3genE9ELNS1_11target_archE1100ELNS1_3gpuE3ELNS1_3repE0EEENS1_30default_config_static_selectorELNS0_4arch9wavefront6targetE1EEEvT1_.private_seg_size, 0
	.set _ZN7rocprim17ROCPRIM_400000_NS6detail17trampoline_kernelINS0_14default_configENS1_25partition_config_selectorILNS1_17partition_subalgoE8ElNS0_10empty_typeEbEEZZNS1_14partition_implILS5_8ELb0ES3_jPlPS6_PKS6_NS0_5tupleIJS9_S6_EEENSD_IJSA_SA_EEENS0_18inequality_wrapperIZN2at6native12_GLOBAL__N_124unique_dim_cuda_templateIbEESt5tupleIJNSH_6TensorESM_SM_EERKSM_lbbbEUlllE0_EEPmJS6_EEE10hipError_tPvRmT3_T4_T5_T6_T7_T9_mT8_P12ihipStream_tbDpT10_ENKUlT_T0_E_clISt17integral_constantIbLb1EES1B_IbLb0EEEEDaS17_S18_EUlS17_E_NS1_11comp_targetILNS1_3genE9ELNS1_11target_archE1100ELNS1_3gpuE3ELNS1_3repE0EEENS1_30default_config_static_selectorELNS0_4arch9wavefront6targetE1EEEvT1_.uses_vcc, 0
	.set _ZN7rocprim17ROCPRIM_400000_NS6detail17trampoline_kernelINS0_14default_configENS1_25partition_config_selectorILNS1_17partition_subalgoE8ElNS0_10empty_typeEbEEZZNS1_14partition_implILS5_8ELb0ES3_jPlPS6_PKS6_NS0_5tupleIJS9_S6_EEENSD_IJSA_SA_EEENS0_18inequality_wrapperIZN2at6native12_GLOBAL__N_124unique_dim_cuda_templateIbEESt5tupleIJNSH_6TensorESM_SM_EERKSM_lbbbEUlllE0_EEPmJS6_EEE10hipError_tPvRmT3_T4_T5_T6_T7_T9_mT8_P12ihipStream_tbDpT10_ENKUlT_T0_E_clISt17integral_constantIbLb1EES1B_IbLb0EEEEDaS17_S18_EUlS17_E_NS1_11comp_targetILNS1_3genE9ELNS1_11target_archE1100ELNS1_3gpuE3ELNS1_3repE0EEENS1_30default_config_static_selectorELNS0_4arch9wavefront6targetE1EEEvT1_.uses_flat_scratch, 0
	.set _ZN7rocprim17ROCPRIM_400000_NS6detail17trampoline_kernelINS0_14default_configENS1_25partition_config_selectorILNS1_17partition_subalgoE8ElNS0_10empty_typeEbEEZZNS1_14partition_implILS5_8ELb0ES3_jPlPS6_PKS6_NS0_5tupleIJS9_S6_EEENSD_IJSA_SA_EEENS0_18inequality_wrapperIZN2at6native12_GLOBAL__N_124unique_dim_cuda_templateIbEESt5tupleIJNSH_6TensorESM_SM_EERKSM_lbbbEUlllE0_EEPmJS6_EEE10hipError_tPvRmT3_T4_T5_T6_T7_T9_mT8_P12ihipStream_tbDpT10_ENKUlT_T0_E_clISt17integral_constantIbLb1EES1B_IbLb0EEEEDaS17_S18_EUlS17_E_NS1_11comp_targetILNS1_3genE9ELNS1_11target_archE1100ELNS1_3gpuE3ELNS1_3repE0EEENS1_30default_config_static_selectorELNS0_4arch9wavefront6targetE1EEEvT1_.has_dyn_sized_stack, 0
	.set _ZN7rocprim17ROCPRIM_400000_NS6detail17trampoline_kernelINS0_14default_configENS1_25partition_config_selectorILNS1_17partition_subalgoE8ElNS0_10empty_typeEbEEZZNS1_14partition_implILS5_8ELb0ES3_jPlPS6_PKS6_NS0_5tupleIJS9_S6_EEENSD_IJSA_SA_EEENS0_18inequality_wrapperIZN2at6native12_GLOBAL__N_124unique_dim_cuda_templateIbEESt5tupleIJNSH_6TensorESM_SM_EERKSM_lbbbEUlllE0_EEPmJS6_EEE10hipError_tPvRmT3_T4_T5_T6_T7_T9_mT8_P12ihipStream_tbDpT10_ENKUlT_T0_E_clISt17integral_constantIbLb1EES1B_IbLb0EEEEDaS17_S18_EUlS17_E_NS1_11comp_targetILNS1_3genE9ELNS1_11target_archE1100ELNS1_3gpuE3ELNS1_3repE0EEENS1_30default_config_static_selectorELNS0_4arch9wavefront6targetE1EEEvT1_.has_recursion, 0
	.set _ZN7rocprim17ROCPRIM_400000_NS6detail17trampoline_kernelINS0_14default_configENS1_25partition_config_selectorILNS1_17partition_subalgoE8ElNS0_10empty_typeEbEEZZNS1_14partition_implILS5_8ELb0ES3_jPlPS6_PKS6_NS0_5tupleIJS9_S6_EEENSD_IJSA_SA_EEENS0_18inequality_wrapperIZN2at6native12_GLOBAL__N_124unique_dim_cuda_templateIbEESt5tupleIJNSH_6TensorESM_SM_EERKSM_lbbbEUlllE0_EEPmJS6_EEE10hipError_tPvRmT3_T4_T5_T6_T7_T9_mT8_P12ihipStream_tbDpT10_ENKUlT_T0_E_clISt17integral_constantIbLb1EES1B_IbLb0EEEEDaS17_S18_EUlS17_E_NS1_11comp_targetILNS1_3genE9ELNS1_11target_archE1100ELNS1_3gpuE3ELNS1_3repE0EEENS1_30default_config_static_selectorELNS0_4arch9wavefront6targetE1EEEvT1_.has_indirect_call, 0
	.section	.AMDGPU.csdata,"",@progbits
; Kernel info:
; codeLenInByte = 0
; TotalNumSgprs: 6
; NumVgprs: 0
; NumAgprs: 0
; TotalNumVgprs: 0
; ScratchSize: 0
; MemoryBound: 0
; FloatMode: 240
; IeeeMode: 1
; LDSByteSize: 0 bytes/workgroup (compile time only)
; SGPRBlocks: 0
; VGPRBlocks: 0
; NumSGPRsForWavesPerEU: 6
; NumVGPRsForWavesPerEU: 1
; AccumOffset: 4
; Occupancy: 8
; WaveLimiterHint : 0
; COMPUTE_PGM_RSRC2:SCRATCH_EN: 0
; COMPUTE_PGM_RSRC2:USER_SGPR: 2
; COMPUTE_PGM_RSRC2:TRAP_HANDLER: 0
; COMPUTE_PGM_RSRC2:TGID_X_EN: 1
; COMPUTE_PGM_RSRC2:TGID_Y_EN: 0
; COMPUTE_PGM_RSRC2:TGID_Z_EN: 0
; COMPUTE_PGM_RSRC2:TIDIG_COMP_CNT: 0
; COMPUTE_PGM_RSRC3_GFX90A:ACCUM_OFFSET: 0
; COMPUTE_PGM_RSRC3_GFX90A:TG_SPLIT: 0
	.section	.text._ZN7rocprim17ROCPRIM_400000_NS6detail17trampoline_kernelINS0_14default_configENS1_25partition_config_selectorILNS1_17partition_subalgoE8ElNS0_10empty_typeEbEEZZNS1_14partition_implILS5_8ELb0ES3_jPlPS6_PKS6_NS0_5tupleIJS9_S6_EEENSD_IJSA_SA_EEENS0_18inequality_wrapperIZN2at6native12_GLOBAL__N_124unique_dim_cuda_templateIbEESt5tupleIJNSH_6TensorESM_SM_EERKSM_lbbbEUlllE0_EEPmJS6_EEE10hipError_tPvRmT3_T4_T5_T6_T7_T9_mT8_P12ihipStream_tbDpT10_ENKUlT_T0_E_clISt17integral_constantIbLb1EES1B_IbLb0EEEEDaS17_S18_EUlS17_E_NS1_11comp_targetILNS1_3genE8ELNS1_11target_archE1030ELNS1_3gpuE2ELNS1_3repE0EEENS1_30default_config_static_selectorELNS0_4arch9wavefront6targetE1EEEvT1_,"axG",@progbits,_ZN7rocprim17ROCPRIM_400000_NS6detail17trampoline_kernelINS0_14default_configENS1_25partition_config_selectorILNS1_17partition_subalgoE8ElNS0_10empty_typeEbEEZZNS1_14partition_implILS5_8ELb0ES3_jPlPS6_PKS6_NS0_5tupleIJS9_S6_EEENSD_IJSA_SA_EEENS0_18inequality_wrapperIZN2at6native12_GLOBAL__N_124unique_dim_cuda_templateIbEESt5tupleIJNSH_6TensorESM_SM_EERKSM_lbbbEUlllE0_EEPmJS6_EEE10hipError_tPvRmT3_T4_T5_T6_T7_T9_mT8_P12ihipStream_tbDpT10_ENKUlT_T0_E_clISt17integral_constantIbLb1EES1B_IbLb0EEEEDaS17_S18_EUlS17_E_NS1_11comp_targetILNS1_3genE8ELNS1_11target_archE1030ELNS1_3gpuE2ELNS1_3repE0EEENS1_30default_config_static_selectorELNS0_4arch9wavefront6targetE1EEEvT1_,comdat
	.globl	_ZN7rocprim17ROCPRIM_400000_NS6detail17trampoline_kernelINS0_14default_configENS1_25partition_config_selectorILNS1_17partition_subalgoE8ElNS0_10empty_typeEbEEZZNS1_14partition_implILS5_8ELb0ES3_jPlPS6_PKS6_NS0_5tupleIJS9_S6_EEENSD_IJSA_SA_EEENS0_18inequality_wrapperIZN2at6native12_GLOBAL__N_124unique_dim_cuda_templateIbEESt5tupleIJNSH_6TensorESM_SM_EERKSM_lbbbEUlllE0_EEPmJS6_EEE10hipError_tPvRmT3_T4_T5_T6_T7_T9_mT8_P12ihipStream_tbDpT10_ENKUlT_T0_E_clISt17integral_constantIbLb1EES1B_IbLb0EEEEDaS17_S18_EUlS17_E_NS1_11comp_targetILNS1_3genE8ELNS1_11target_archE1030ELNS1_3gpuE2ELNS1_3repE0EEENS1_30default_config_static_selectorELNS0_4arch9wavefront6targetE1EEEvT1_ ; -- Begin function _ZN7rocprim17ROCPRIM_400000_NS6detail17trampoline_kernelINS0_14default_configENS1_25partition_config_selectorILNS1_17partition_subalgoE8ElNS0_10empty_typeEbEEZZNS1_14partition_implILS5_8ELb0ES3_jPlPS6_PKS6_NS0_5tupleIJS9_S6_EEENSD_IJSA_SA_EEENS0_18inequality_wrapperIZN2at6native12_GLOBAL__N_124unique_dim_cuda_templateIbEESt5tupleIJNSH_6TensorESM_SM_EERKSM_lbbbEUlllE0_EEPmJS6_EEE10hipError_tPvRmT3_T4_T5_T6_T7_T9_mT8_P12ihipStream_tbDpT10_ENKUlT_T0_E_clISt17integral_constantIbLb1EES1B_IbLb0EEEEDaS17_S18_EUlS17_E_NS1_11comp_targetILNS1_3genE8ELNS1_11target_archE1030ELNS1_3gpuE2ELNS1_3repE0EEENS1_30default_config_static_selectorELNS0_4arch9wavefront6targetE1EEEvT1_
	.p2align	8
	.type	_ZN7rocprim17ROCPRIM_400000_NS6detail17trampoline_kernelINS0_14default_configENS1_25partition_config_selectorILNS1_17partition_subalgoE8ElNS0_10empty_typeEbEEZZNS1_14partition_implILS5_8ELb0ES3_jPlPS6_PKS6_NS0_5tupleIJS9_S6_EEENSD_IJSA_SA_EEENS0_18inequality_wrapperIZN2at6native12_GLOBAL__N_124unique_dim_cuda_templateIbEESt5tupleIJNSH_6TensorESM_SM_EERKSM_lbbbEUlllE0_EEPmJS6_EEE10hipError_tPvRmT3_T4_T5_T6_T7_T9_mT8_P12ihipStream_tbDpT10_ENKUlT_T0_E_clISt17integral_constantIbLb1EES1B_IbLb0EEEEDaS17_S18_EUlS17_E_NS1_11comp_targetILNS1_3genE8ELNS1_11target_archE1030ELNS1_3gpuE2ELNS1_3repE0EEENS1_30default_config_static_selectorELNS0_4arch9wavefront6targetE1EEEvT1_,@function
_ZN7rocprim17ROCPRIM_400000_NS6detail17trampoline_kernelINS0_14default_configENS1_25partition_config_selectorILNS1_17partition_subalgoE8ElNS0_10empty_typeEbEEZZNS1_14partition_implILS5_8ELb0ES3_jPlPS6_PKS6_NS0_5tupleIJS9_S6_EEENSD_IJSA_SA_EEENS0_18inequality_wrapperIZN2at6native12_GLOBAL__N_124unique_dim_cuda_templateIbEESt5tupleIJNSH_6TensorESM_SM_EERKSM_lbbbEUlllE0_EEPmJS6_EEE10hipError_tPvRmT3_T4_T5_T6_T7_T9_mT8_P12ihipStream_tbDpT10_ENKUlT_T0_E_clISt17integral_constantIbLb1EES1B_IbLb0EEEEDaS17_S18_EUlS17_E_NS1_11comp_targetILNS1_3genE8ELNS1_11target_archE1030ELNS1_3gpuE2ELNS1_3repE0EEENS1_30default_config_static_selectorELNS0_4arch9wavefront6targetE1EEEvT1_: ; @_ZN7rocprim17ROCPRIM_400000_NS6detail17trampoline_kernelINS0_14default_configENS1_25partition_config_selectorILNS1_17partition_subalgoE8ElNS0_10empty_typeEbEEZZNS1_14partition_implILS5_8ELb0ES3_jPlPS6_PKS6_NS0_5tupleIJS9_S6_EEENSD_IJSA_SA_EEENS0_18inequality_wrapperIZN2at6native12_GLOBAL__N_124unique_dim_cuda_templateIbEESt5tupleIJNSH_6TensorESM_SM_EERKSM_lbbbEUlllE0_EEPmJS6_EEE10hipError_tPvRmT3_T4_T5_T6_T7_T9_mT8_P12ihipStream_tbDpT10_ENKUlT_T0_E_clISt17integral_constantIbLb1EES1B_IbLb0EEEEDaS17_S18_EUlS17_E_NS1_11comp_targetILNS1_3genE8ELNS1_11target_archE1030ELNS1_3gpuE2ELNS1_3repE0EEENS1_30default_config_static_selectorELNS0_4arch9wavefront6targetE1EEEvT1_
; %bb.0:
	.section	.rodata,"a",@progbits
	.p2align	6, 0x0
	.amdhsa_kernel _ZN7rocprim17ROCPRIM_400000_NS6detail17trampoline_kernelINS0_14default_configENS1_25partition_config_selectorILNS1_17partition_subalgoE8ElNS0_10empty_typeEbEEZZNS1_14partition_implILS5_8ELb0ES3_jPlPS6_PKS6_NS0_5tupleIJS9_S6_EEENSD_IJSA_SA_EEENS0_18inequality_wrapperIZN2at6native12_GLOBAL__N_124unique_dim_cuda_templateIbEESt5tupleIJNSH_6TensorESM_SM_EERKSM_lbbbEUlllE0_EEPmJS6_EEE10hipError_tPvRmT3_T4_T5_T6_T7_T9_mT8_P12ihipStream_tbDpT10_ENKUlT_T0_E_clISt17integral_constantIbLb1EES1B_IbLb0EEEEDaS17_S18_EUlS17_E_NS1_11comp_targetILNS1_3genE8ELNS1_11target_archE1030ELNS1_3gpuE2ELNS1_3repE0EEENS1_30default_config_static_selectorELNS0_4arch9wavefront6targetE1EEEvT1_
		.amdhsa_group_segment_fixed_size 0
		.amdhsa_private_segment_fixed_size 0
		.amdhsa_kernarg_size 120
		.amdhsa_user_sgpr_count 2
		.amdhsa_user_sgpr_dispatch_ptr 0
		.amdhsa_user_sgpr_queue_ptr 0
		.amdhsa_user_sgpr_kernarg_segment_ptr 1
		.amdhsa_user_sgpr_dispatch_id 0
		.amdhsa_user_sgpr_kernarg_preload_length 0
		.amdhsa_user_sgpr_kernarg_preload_offset 0
		.amdhsa_user_sgpr_private_segment_size 0
		.amdhsa_uses_dynamic_stack 0
		.amdhsa_enable_private_segment 0
		.amdhsa_system_sgpr_workgroup_id_x 1
		.amdhsa_system_sgpr_workgroup_id_y 0
		.amdhsa_system_sgpr_workgroup_id_z 0
		.amdhsa_system_sgpr_workgroup_info 0
		.amdhsa_system_vgpr_workitem_id 0
		.amdhsa_next_free_vgpr 1
		.amdhsa_next_free_sgpr 0
		.amdhsa_accum_offset 4
		.amdhsa_reserve_vcc 0
		.amdhsa_float_round_mode_32 0
		.amdhsa_float_round_mode_16_64 0
		.amdhsa_float_denorm_mode_32 3
		.amdhsa_float_denorm_mode_16_64 3
		.amdhsa_dx10_clamp 1
		.amdhsa_ieee_mode 1
		.amdhsa_fp16_overflow 0
		.amdhsa_tg_split 0
		.amdhsa_exception_fp_ieee_invalid_op 0
		.amdhsa_exception_fp_denorm_src 0
		.amdhsa_exception_fp_ieee_div_zero 0
		.amdhsa_exception_fp_ieee_overflow 0
		.amdhsa_exception_fp_ieee_underflow 0
		.amdhsa_exception_fp_ieee_inexact 0
		.amdhsa_exception_int_div_zero 0
	.end_amdhsa_kernel
	.section	.text._ZN7rocprim17ROCPRIM_400000_NS6detail17trampoline_kernelINS0_14default_configENS1_25partition_config_selectorILNS1_17partition_subalgoE8ElNS0_10empty_typeEbEEZZNS1_14partition_implILS5_8ELb0ES3_jPlPS6_PKS6_NS0_5tupleIJS9_S6_EEENSD_IJSA_SA_EEENS0_18inequality_wrapperIZN2at6native12_GLOBAL__N_124unique_dim_cuda_templateIbEESt5tupleIJNSH_6TensorESM_SM_EERKSM_lbbbEUlllE0_EEPmJS6_EEE10hipError_tPvRmT3_T4_T5_T6_T7_T9_mT8_P12ihipStream_tbDpT10_ENKUlT_T0_E_clISt17integral_constantIbLb1EES1B_IbLb0EEEEDaS17_S18_EUlS17_E_NS1_11comp_targetILNS1_3genE8ELNS1_11target_archE1030ELNS1_3gpuE2ELNS1_3repE0EEENS1_30default_config_static_selectorELNS0_4arch9wavefront6targetE1EEEvT1_,"axG",@progbits,_ZN7rocprim17ROCPRIM_400000_NS6detail17trampoline_kernelINS0_14default_configENS1_25partition_config_selectorILNS1_17partition_subalgoE8ElNS0_10empty_typeEbEEZZNS1_14partition_implILS5_8ELb0ES3_jPlPS6_PKS6_NS0_5tupleIJS9_S6_EEENSD_IJSA_SA_EEENS0_18inequality_wrapperIZN2at6native12_GLOBAL__N_124unique_dim_cuda_templateIbEESt5tupleIJNSH_6TensorESM_SM_EERKSM_lbbbEUlllE0_EEPmJS6_EEE10hipError_tPvRmT3_T4_T5_T6_T7_T9_mT8_P12ihipStream_tbDpT10_ENKUlT_T0_E_clISt17integral_constantIbLb1EES1B_IbLb0EEEEDaS17_S18_EUlS17_E_NS1_11comp_targetILNS1_3genE8ELNS1_11target_archE1030ELNS1_3gpuE2ELNS1_3repE0EEENS1_30default_config_static_selectorELNS0_4arch9wavefront6targetE1EEEvT1_,comdat
.Lfunc_end1074:
	.size	_ZN7rocprim17ROCPRIM_400000_NS6detail17trampoline_kernelINS0_14default_configENS1_25partition_config_selectorILNS1_17partition_subalgoE8ElNS0_10empty_typeEbEEZZNS1_14partition_implILS5_8ELb0ES3_jPlPS6_PKS6_NS0_5tupleIJS9_S6_EEENSD_IJSA_SA_EEENS0_18inequality_wrapperIZN2at6native12_GLOBAL__N_124unique_dim_cuda_templateIbEESt5tupleIJNSH_6TensorESM_SM_EERKSM_lbbbEUlllE0_EEPmJS6_EEE10hipError_tPvRmT3_T4_T5_T6_T7_T9_mT8_P12ihipStream_tbDpT10_ENKUlT_T0_E_clISt17integral_constantIbLb1EES1B_IbLb0EEEEDaS17_S18_EUlS17_E_NS1_11comp_targetILNS1_3genE8ELNS1_11target_archE1030ELNS1_3gpuE2ELNS1_3repE0EEENS1_30default_config_static_selectorELNS0_4arch9wavefront6targetE1EEEvT1_, .Lfunc_end1074-_ZN7rocprim17ROCPRIM_400000_NS6detail17trampoline_kernelINS0_14default_configENS1_25partition_config_selectorILNS1_17partition_subalgoE8ElNS0_10empty_typeEbEEZZNS1_14partition_implILS5_8ELb0ES3_jPlPS6_PKS6_NS0_5tupleIJS9_S6_EEENSD_IJSA_SA_EEENS0_18inequality_wrapperIZN2at6native12_GLOBAL__N_124unique_dim_cuda_templateIbEESt5tupleIJNSH_6TensorESM_SM_EERKSM_lbbbEUlllE0_EEPmJS6_EEE10hipError_tPvRmT3_T4_T5_T6_T7_T9_mT8_P12ihipStream_tbDpT10_ENKUlT_T0_E_clISt17integral_constantIbLb1EES1B_IbLb0EEEEDaS17_S18_EUlS17_E_NS1_11comp_targetILNS1_3genE8ELNS1_11target_archE1030ELNS1_3gpuE2ELNS1_3repE0EEENS1_30default_config_static_selectorELNS0_4arch9wavefront6targetE1EEEvT1_
                                        ; -- End function
	.set _ZN7rocprim17ROCPRIM_400000_NS6detail17trampoline_kernelINS0_14default_configENS1_25partition_config_selectorILNS1_17partition_subalgoE8ElNS0_10empty_typeEbEEZZNS1_14partition_implILS5_8ELb0ES3_jPlPS6_PKS6_NS0_5tupleIJS9_S6_EEENSD_IJSA_SA_EEENS0_18inequality_wrapperIZN2at6native12_GLOBAL__N_124unique_dim_cuda_templateIbEESt5tupleIJNSH_6TensorESM_SM_EERKSM_lbbbEUlllE0_EEPmJS6_EEE10hipError_tPvRmT3_T4_T5_T6_T7_T9_mT8_P12ihipStream_tbDpT10_ENKUlT_T0_E_clISt17integral_constantIbLb1EES1B_IbLb0EEEEDaS17_S18_EUlS17_E_NS1_11comp_targetILNS1_3genE8ELNS1_11target_archE1030ELNS1_3gpuE2ELNS1_3repE0EEENS1_30default_config_static_selectorELNS0_4arch9wavefront6targetE1EEEvT1_.num_vgpr, 0
	.set _ZN7rocprim17ROCPRIM_400000_NS6detail17trampoline_kernelINS0_14default_configENS1_25partition_config_selectorILNS1_17partition_subalgoE8ElNS0_10empty_typeEbEEZZNS1_14partition_implILS5_8ELb0ES3_jPlPS6_PKS6_NS0_5tupleIJS9_S6_EEENSD_IJSA_SA_EEENS0_18inequality_wrapperIZN2at6native12_GLOBAL__N_124unique_dim_cuda_templateIbEESt5tupleIJNSH_6TensorESM_SM_EERKSM_lbbbEUlllE0_EEPmJS6_EEE10hipError_tPvRmT3_T4_T5_T6_T7_T9_mT8_P12ihipStream_tbDpT10_ENKUlT_T0_E_clISt17integral_constantIbLb1EES1B_IbLb0EEEEDaS17_S18_EUlS17_E_NS1_11comp_targetILNS1_3genE8ELNS1_11target_archE1030ELNS1_3gpuE2ELNS1_3repE0EEENS1_30default_config_static_selectorELNS0_4arch9wavefront6targetE1EEEvT1_.num_agpr, 0
	.set _ZN7rocprim17ROCPRIM_400000_NS6detail17trampoline_kernelINS0_14default_configENS1_25partition_config_selectorILNS1_17partition_subalgoE8ElNS0_10empty_typeEbEEZZNS1_14partition_implILS5_8ELb0ES3_jPlPS6_PKS6_NS0_5tupleIJS9_S6_EEENSD_IJSA_SA_EEENS0_18inequality_wrapperIZN2at6native12_GLOBAL__N_124unique_dim_cuda_templateIbEESt5tupleIJNSH_6TensorESM_SM_EERKSM_lbbbEUlllE0_EEPmJS6_EEE10hipError_tPvRmT3_T4_T5_T6_T7_T9_mT8_P12ihipStream_tbDpT10_ENKUlT_T0_E_clISt17integral_constantIbLb1EES1B_IbLb0EEEEDaS17_S18_EUlS17_E_NS1_11comp_targetILNS1_3genE8ELNS1_11target_archE1030ELNS1_3gpuE2ELNS1_3repE0EEENS1_30default_config_static_selectorELNS0_4arch9wavefront6targetE1EEEvT1_.numbered_sgpr, 0
	.set _ZN7rocprim17ROCPRIM_400000_NS6detail17trampoline_kernelINS0_14default_configENS1_25partition_config_selectorILNS1_17partition_subalgoE8ElNS0_10empty_typeEbEEZZNS1_14partition_implILS5_8ELb0ES3_jPlPS6_PKS6_NS0_5tupleIJS9_S6_EEENSD_IJSA_SA_EEENS0_18inequality_wrapperIZN2at6native12_GLOBAL__N_124unique_dim_cuda_templateIbEESt5tupleIJNSH_6TensorESM_SM_EERKSM_lbbbEUlllE0_EEPmJS6_EEE10hipError_tPvRmT3_T4_T5_T6_T7_T9_mT8_P12ihipStream_tbDpT10_ENKUlT_T0_E_clISt17integral_constantIbLb1EES1B_IbLb0EEEEDaS17_S18_EUlS17_E_NS1_11comp_targetILNS1_3genE8ELNS1_11target_archE1030ELNS1_3gpuE2ELNS1_3repE0EEENS1_30default_config_static_selectorELNS0_4arch9wavefront6targetE1EEEvT1_.num_named_barrier, 0
	.set _ZN7rocprim17ROCPRIM_400000_NS6detail17trampoline_kernelINS0_14default_configENS1_25partition_config_selectorILNS1_17partition_subalgoE8ElNS0_10empty_typeEbEEZZNS1_14partition_implILS5_8ELb0ES3_jPlPS6_PKS6_NS0_5tupleIJS9_S6_EEENSD_IJSA_SA_EEENS0_18inequality_wrapperIZN2at6native12_GLOBAL__N_124unique_dim_cuda_templateIbEESt5tupleIJNSH_6TensorESM_SM_EERKSM_lbbbEUlllE0_EEPmJS6_EEE10hipError_tPvRmT3_T4_T5_T6_T7_T9_mT8_P12ihipStream_tbDpT10_ENKUlT_T0_E_clISt17integral_constantIbLb1EES1B_IbLb0EEEEDaS17_S18_EUlS17_E_NS1_11comp_targetILNS1_3genE8ELNS1_11target_archE1030ELNS1_3gpuE2ELNS1_3repE0EEENS1_30default_config_static_selectorELNS0_4arch9wavefront6targetE1EEEvT1_.private_seg_size, 0
	.set _ZN7rocprim17ROCPRIM_400000_NS6detail17trampoline_kernelINS0_14default_configENS1_25partition_config_selectorILNS1_17partition_subalgoE8ElNS0_10empty_typeEbEEZZNS1_14partition_implILS5_8ELb0ES3_jPlPS6_PKS6_NS0_5tupleIJS9_S6_EEENSD_IJSA_SA_EEENS0_18inequality_wrapperIZN2at6native12_GLOBAL__N_124unique_dim_cuda_templateIbEESt5tupleIJNSH_6TensorESM_SM_EERKSM_lbbbEUlllE0_EEPmJS6_EEE10hipError_tPvRmT3_T4_T5_T6_T7_T9_mT8_P12ihipStream_tbDpT10_ENKUlT_T0_E_clISt17integral_constantIbLb1EES1B_IbLb0EEEEDaS17_S18_EUlS17_E_NS1_11comp_targetILNS1_3genE8ELNS1_11target_archE1030ELNS1_3gpuE2ELNS1_3repE0EEENS1_30default_config_static_selectorELNS0_4arch9wavefront6targetE1EEEvT1_.uses_vcc, 0
	.set _ZN7rocprim17ROCPRIM_400000_NS6detail17trampoline_kernelINS0_14default_configENS1_25partition_config_selectorILNS1_17partition_subalgoE8ElNS0_10empty_typeEbEEZZNS1_14partition_implILS5_8ELb0ES3_jPlPS6_PKS6_NS0_5tupleIJS9_S6_EEENSD_IJSA_SA_EEENS0_18inequality_wrapperIZN2at6native12_GLOBAL__N_124unique_dim_cuda_templateIbEESt5tupleIJNSH_6TensorESM_SM_EERKSM_lbbbEUlllE0_EEPmJS6_EEE10hipError_tPvRmT3_T4_T5_T6_T7_T9_mT8_P12ihipStream_tbDpT10_ENKUlT_T0_E_clISt17integral_constantIbLb1EES1B_IbLb0EEEEDaS17_S18_EUlS17_E_NS1_11comp_targetILNS1_3genE8ELNS1_11target_archE1030ELNS1_3gpuE2ELNS1_3repE0EEENS1_30default_config_static_selectorELNS0_4arch9wavefront6targetE1EEEvT1_.uses_flat_scratch, 0
	.set _ZN7rocprim17ROCPRIM_400000_NS6detail17trampoline_kernelINS0_14default_configENS1_25partition_config_selectorILNS1_17partition_subalgoE8ElNS0_10empty_typeEbEEZZNS1_14partition_implILS5_8ELb0ES3_jPlPS6_PKS6_NS0_5tupleIJS9_S6_EEENSD_IJSA_SA_EEENS0_18inequality_wrapperIZN2at6native12_GLOBAL__N_124unique_dim_cuda_templateIbEESt5tupleIJNSH_6TensorESM_SM_EERKSM_lbbbEUlllE0_EEPmJS6_EEE10hipError_tPvRmT3_T4_T5_T6_T7_T9_mT8_P12ihipStream_tbDpT10_ENKUlT_T0_E_clISt17integral_constantIbLb1EES1B_IbLb0EEEEDaS17_S18_EUlS17_E_NS1_11comp_targetILNS1_3genE8ELNS1_11target_archE1030ELNS1_3gpuE2ELNS1_3repE0EEENS1_30default_config_static_selectorELNS0_4arch9wavefront6targetE1EEEvT1_.has_dyn_sized_stack, 0
	.set _ZN7rocprim17ROCPRIM_400000_NS6detail17trampoline_kernelINS0_14default_configENS1_25partition_config_selectorILNS1_17partition_subalgoE8ElNS0_10empty_typeEbEEZZNS1_14partition_implILS5_8ELb0ES3_jPlPS6_PKS6_NS0_5tupleIJS9_S6_EEENSD_IJSA_SA_EEENS0_18inequality_wrapperIZN2at6native12_GLOBAL__N_124unique_dim_cuda_templateIbEESt5tupleIJNSH_6TensorESM_SM_EERKSM_lbbbEUlllE0_EEPmJS6_EEE10hipError_tPvRmT3_T4_T5_T6_T7_T9_mT8_P12ihipStream_tbDpT10_ENKUlT_T0_E_clISt17integral_constantIbLb1EES1B_IbLb0EEEEDaS17_S18_EUlS17_E_NS1_11comp_targetILNS1_3genE8ELNS1_11target_archE1030ELNS1_3gpuE2ELNS1_3repE0EEENS1_30default_config_static_selectorELNS0_4arch9wavefront6targetE1EEEvT1_.has_recursion, 0
	.set _ZN7rocprim17ROCPRIM_400000_NS6detail17trampoline_kernelINS0_14default_configENS1_25partition_config_selectorILNS1_17partition_subalgoE8ElNS0_10empty_typeEbEEZZNS1_14partition_implILS5_8ELb0ES3_jPlPS6_PKS6_NS0_5tupleIJS9_S6_EEENSD_IJSA_SA_EEENS0_18inequality_wrapperIZN2at6native12_GLOBAL__N_124unique_dim_cuda_templateIbEESt5tupleIJNSH_6TensorESM_SM_EERKSM_lbbbEUlllE0_EEPmJS6_EEE10hipError_tPvRmT3_T4_T5_T6_T7_T9_mT8_P12ihipStream_tbDpT10_ENKUlT_T0_E_clISt17integral_constantIbLb1EES1B_IbLb0EEEEDaS17_S18_EUlS17_E_NS1_11comp_targetILNS1_3genE8ELNS1_11target_archE1030ELNS1_3gpuE2ELNS1_3repE0EEENS1_30default_config_static_selectorELNS0_4arch9wavefront6targetE1EEEvT1_.has_indirect_call, 0
	.section	.AMDGPU.csdata,"",@progbits
; Kernel info:
; codeLenInByte = 0
; TotalNumSgprs: 6
; NumVgprs: 0
; NumAgprs: 0
; TotalNumVgprs: 0
; ScratchSize: 0
; MemoryBound: 0
; FloatMode: 240
; IeeeMode: 1
; LDSByteSize: 0 bytes/workgroup (compile time only)
; SGPRBlocks: 0
; VGPRBlocks: 0
; NumSGPRsForWavesPerEU: 6
; NumVGPRsForWavesPerEU: 1
; AccumOffset: 4
; Occupancy: 8
; WaveLimiterHint : 0
; COMPUTE_PGM_RSRC2:SCRATCH_EN: 0
; COMPUTE_PGM_RSRC2:USER_SGPR: 2
; COMPUTE_PGM_RSRC2:TRAP_HANDLER: 0
; COMPUTE_PGM_RSRC2:TGID_X_EN: 1
; COMPUTE_PGM_RSRC2:TGID_Y_EN: 0
; COMPUTE_PGM_RSRC2:TGID_Z_EN: 0
; COMPUTE_PGM_RSRC2:TIDIG_COMP_CNT: 0
; COMPUTE_PGM_RSRC3_GFX90A:ACCUM_OFFSET: 0
; COMPUTE_PGM_RSRC3_GFX90A:TG_SPLIT: 0
	.section	.text._ZN7rocprim17ROCPRIM_400000_NS6detail17trampoline_kernelINS0_14default_configENS1_25partition_config_selectorILNS1_17partition_subalgoE8ElNS0_10empty_typeEbEEZZNS1_14partition_implILS5_8ELb0ES3_jPlPS6_PKS6_NS0_5tupleIJS9_S6_EEENSD_IJSA_SA_EEENS0_18inequality_wrapperIZN2at6native12_GLOBAL__N_124unique_dim_cuda_templateIbEESt5tupleIJNSH_6TensorESM_SM_EERKSM_lbbbEUlllE0_EEPmJS6_EEE10hipError_tPvRmT3_T4_T5_T6_T7_T9_mT8_P12ihipStream_tbDpT10_ENKUlT_T0_E_clISt17integral_constantIbLb0EES1B_IbLb1EEEEDaS17_S18_EUlS17_E_NS1_11comp_targetILNS1_3genE0ELNS1_11target_archE4294967295ELNS1_3gpuE0ELNS1_3repE0EEENS1_30default_config_static_selectorELNS0_4arch9wavefront6targetE1EEEvT1_,"axG",@progbits,_ZN7rocprim17ROCPRIM_400000_NS6detail17trampoline_kernelINS0_14default_configENS1_25partition_config_selectorILNS1_17partition_subalgoE8ElNS0_10empty_typeEbEEZZNS1_14partition_implILS5_8ELb0ES3_jPlPS6_PKS6_NS0_5tupleIJS9_S6_EEENSD_IJSA_SA_EEENS0_18inequality_wrapperIZN2at6native12_GLOBAL__N_124unique_dim_cuda_templateIbEESt5tupleIJNSH_6TensorESM_SM_EERKSM_lbbbEUlllE0_EEPmJS6_EEE10hipError_tPvRmT3_T4_T5_T6_T7_T9_mT8_P12ihipStream_tbDpT10_ENKUlT_T0_E_clISt17integral_constantIbLb0EES1B_IbLb1EEEEDaS17_S18_EUlS17_E_NS1_11comp_targetILNS1_3genE0ELNS1_11target_archE4294967295ELNS1_3gpuE0ELNS1_3repE0EEENS1_30default_config_static_selectorELNS0_4arch9wavefront6targetE1EEEvT1_,comdat
	.globl	_ZN7rocprim17ROCPRIM_400000_NS6detail17trampoline_kernelINS0_14default_configENS1_25partition_config_selectorILNS1_17partition_subalgoE8ElNS0_10empty_typeEbEEZZNS1_14partition_implILS5_8ELb0ES3_jPlPS6_PKS6_NS0_5tupleIJS9_S6_EEENSD_IJSA_SA_EEENS0_18inequality_wrapperIZN2at6native12_GLOBAL__N_124unique_dim_cuda_templateIbEESt5tupleIJNSH_6TensorESM_SM_EERKSM_lbbbEUlllE0_EEPmJS6_EEE10hipError_tPvRmT3_T4_T5_T6_T7_T9_mT8_P12ihipStream_tbDpT10_ENKUlT_T0_E_clISt17integral_constantIbLb0EES1B_IbLb1EEEEDaS17_S18_EUlS17_E_NS1_11comp_targetILNS1_3genE0ELNS1_11target_archE4294967295ELNS1_3gpuE0ELNS1_3repE0EEENS1_30default_config_static_selectorELNS0_4arch9wavefront6targetE1EEEvT1_ ; -- Begin function _ZN7rocprim17ROCPRIM_400000_NS6detail17trampoline_kernelINS0_14default_configENS1_25partition_config_selectorILNS1_17partition_subalgoE8ElNS0_10empty_typeEbEEZZNS1_14partition_implILS5_8ELb0ES3_jPlPS6_PKS6_NS0_5tupleIJS9_S6_EEENSD_IJSA_SA_EEENS0_18inequality_wrapperIZN2at6native12_GLOBAL__N_124unique_dim_cuda_templateIbEESt5tupleIJNSH_6TensorESM_SM_EERKSM_lbbbEUlllE0_EEPmJS6_EEE10hipError_tPvRmT3_T4_T5_T6_T7_T9_mT8_P12ihipStream_tbDpT10_ENKUlT_T0_E_clISt17integral_constantIbLb0EES1B_IbLb1EEEEDaS17_S18_EUlS17_E_NS1_11comp_targetILNS1_3genE0ELNS1_11target_archE4294967295ELNS1_3gpuE0ELNS1_3repE0EEENS1_30default_config_static_selectorELNS0_4arch9wavefront6targetE1EEEvT1_
	.p2align	8
	.type	_ZN7rocprim17ROCPRIM_400000_NS6detail17trampoline_kernelINS0_14default_configENS1_25partition_config_selectorILNS1_17partition_subalgoE8ElNS0_10empty_typeEbEEZZNS1_14partition_implILS5_8ELb0ES3_jPlPS6_PKS6_NS0_5tupleIJS9_S6_EEENSD_IJSA_SA_EEENS0_18inequality_wrapperIZN2at6native12_GLOBAL__N_124unique_dim_cuda_templateIbEESt5tupleIJNSH_6TensorESM_SM_EERKSM_lbbbEUlllE0_EEPmJS6_EEE10hipError_tPvRmT3_T4_T5_T6_T7_T9_mT8_P12ihipStream_tbDpT10_ENKUlT_T0_E_clISt17integral_constantIbLb0EES1B_IbLb1EEEEDaS17_S18_EUlS17_E_NS1_11comp_targetILNS1_3genE0ELNS1_11target_archE4294967295ELNS1_3gpuE0ELNS1_3repE0EEENS1_30default_config_static_selectorELNS0_4arch9wavefront6targetE1EEEvT1_,@function
_ZN7rocprim17ROCPRIM_400000_NS6detail17trampoline_kernelINS0_14default_configENS1_25partition_config_selectorILNS1_17partition_subalgoE8ElNS0_10empty_typeEbEEZZNS1_14partition_implILS5_8ELb0ES3_jPlPS6_PKS6_NS0_5tupleIJS9_S6_EEENSD_IJSA_SA_EEENS0_18inequality_wrapperIZN2at6native12_GLOBAL__N_124unique_dim_cuda_templateIbEESt5tupleIJNSH_6TensorESM_SM_EERKSM_lbbbEUlllE0_EEPmJS6_EEE10hipError_tPvRmT3_T4_T5_T6_T7_T9_mT8_P12ihipStream_tbDpT10_ENKUlT_T0_E_clISt17integral_constantIbLb0EES1B_IbLb1EEEEDaS17_S18_EUlS17_E_NS1_11comp_targetILNS1_3genE0ELNS1_11target_archE4294967295ELNS1_3gpuE0ELNS1_3repE0EEENS1_30default_config_static_selectorELNS0_4arch9wavefront6targetE1EEEvT1_: ; @_ZN7rocprim17ROCPRIM_400000_NS6detail17trampoline_kernelINS0_14default_configENS1_25partition_config_selectorILNS1_17partition_subalgoE8ElNS0_10empty_typeEbEEZZNS1_14partition_implILS5_8ELb0ES3_jPlPS6_PKS6_NS0_5tupleIJS9_S6_EEENSD_IJSA_SA_EEENS0_18inequality_wrapperIZN2at6native12_GLOBAL__N_124unique_dim_cuda_templateIbEESt5tupleIJNSH_6TensorESM_SM_EERKSM_lbbbEUlllE0_EEPmJS6_EEE10hipError_tPvRmT3_T4_T5_T6_T7_T9_mT8_P12ihipStream_tbDpT10_ENKUlT_T0_E_clISt17integral_constantIbLb0EES1B_IbLb1EEEEDaS17_S18_EUlS17_E_NS1_11comp_targetILNS1_3genE0ELNS1_11target_archE4294967295ELNS1_3gpuE0ELNS1_3repE0EEENS1_30default_config_static_selectorELNS0_4arch9wavefront6targetE1EEEvT1_
; %bb.0:
	s_load_dwordx2 s[34:35], s[0:1], 0x28
	s_load_dwordx8 s[20:27], s[0:1], 0x40
	s_load_dwordx4 s[28:31], s[0:1], 0x60
	v_cmp_ne_u32_e64 s[2:3], 0, v0
	v_cmp_eq_u32_e64 s[18:19], 0, v0
	s_and_saveexec_b64 s[4:5], s[18:19]
	s_cbranch_execz .LBB1075_4
; %bb.1:
	s_mov_b64 s[8:9], exec
	v_mbcnt_lo_u32_b32 v1, s8, 0
	v_mbcnt_hi_u32_b32 v1, s9, v1
	v_cmp_eq_u32_e32 vcc, 0, v1
                                        ; implicit-def: $vgpr2
	s_and_saveexec_b64 s[6:7], vcc
	s_cbranch_execz .LBB1075_3
; %bb.2:
	s_load_dwordx2 s[10:11], s[0:1], 0x78
	s_bcnt1_i32_b64 s8, s[8:9]
	v_mov_b32_e32 v2, 0
	v_mov_b32_e32 v3, s8
	s_waitcnt lgkmcnt(0)
	global_atomic_add v2, v2, v3, s[10:11] sc0
.LBB1075_3:
	s_or_b64 exec, exec, s[6:7]
	s_waitcnt vmcnt(0)
	v_readfirstlane_b32 s6, v2
	v_mov_b32_e32 v2, 0
	s_nop 0
	v_add_u32_e32 v1, s6, v1
	ds_write_b32 v2, v1
.LBB1075_4:
	s_or_b64 exec, exec, s[4:5]
	v_mov_b32_e32 v3, 0
	s_load_dwordx4 s[4:7], s[0:1], 0x8
	s_load_dword s8, s[0:1], 0x70
	s_waitcnt lgkmcnt(0)
	s_barrier
	ds_read_b32 v1, v3
	s_waitcnt lgkmcnt(0)
	s_barrier
	global_load_dwordx2 v[4:5], v3, s[22:23]
	s_lshl_b64 s[10:11], s[6:7], 3
	s_mul_i32 s9, s8, 0xe00
	s_add_u32 s4, s4, s10
	s_addc_u32 s5, s5, s11
	s_add_i32 s10, s8, -1
	s_add_i32 s8, s9, s6
	s_sub_i32 s50, s24, s8
	s_add_u32 s8, s6, s9
	s_addc_u32 s9, s7, 0
	v_readfirstlane_b32 s33, v1
	v_mov_b64_e32 v[6:7], s[8:9]
	s_cmp_eq_u32 s33, s10
	s_movk_i32 s12, 0xe00
	v_cmp_le_u64_e32 vcc, s[24:25], v[6:7]
	s_cselect_b64 s[24:25], -1, 0
	v_mul_lo_u32 v2, v1, s12
	s_and_b64 s[8:9], vcc, s[24:25]
	v_lshlrev_b64 v[6:7], 3, v[2:3]
	s_xor_b64 s[36:37], s[8:9], -1
	s_mov_b64 s[0:1], -1
	v_lshlrev_b32_e32 v18, 3, v0
	v_lshl_add_u64 v[20:21], s[4:5], 0, v[6:7]
	s_and_b64 vcc, exec, s[36:37]
	s_waitcnt vmcnt(0)
	v_readfirstlane_b32 s22, v4
	v_readfirstlane_b32 s23, v5
	s_cbranch_vccz .LBB1075_6
; %bb.5:
	v_lshlrev_b32_e32 v2, 3, v0
	v_lshl_add_u64 v[4:5], v[20:21], 0, v[2:3]
	v_add_co_u32_e32 v8, vcc, 0x1000, v4
	v_readfirstlane_b32 s0, v20
	s_nop 0
	v_addc_co_u32_e32 v9, vcc, 0, v5, vcc
	v_add_co_u32_e32 v10, vcc, 0x2000, v4
	v_readfirstlane_b32 s1, v21
	s_nop 0
	v_addc_co_u32_e32 v11, vcc, 0, v5, vcc
	v_add_co_u32_e32 v12, vcc, 0x3000, v4
	s_nop 1
	v_addc_co_u32_e32 v13, vcc, 0, v5, vcc
	v_add_co_u32_e32 v14, vcc, 0x4000, v4
	global_load_dwordx2 v[6:7], v2, s[0:1]
	s_nop 0
	v_addc_co_u32_e32 v15, vcc, 0, v5, vcc
	global_load_dwordx2 v[16:17], v[8:9], off
	global_load_dwordx2 v[22:23], v[10:11], off
	;; [unrolled: 1-line block ×4, first 2 shown]
	v_add_co_u32_e32 v8, vcc, 0x5000, v4
	s_mov_b64 s[0:1], 0
	s_nop 0
	v_addc_co_u32_e32 v9, vcc, 0, v5, vcc
	v_add_co_u32_e32 v4, vcc, 0x6000, v4
	s_nop 1
	v_addc_co_u32_e32 v5, vcc, 0, v5, vcc
	global_load_dwordx2 v[10:11], v[8:9], off
	global_load_dwordx2 v[12:13], v[4:5], off
	s_waitcnt vmcnt(5)
	ds_write2st64_b64 v2, v[6:7], v[16:17] offset1:8
	s_waitcnt vmcnt(3)
	ds_write2st64_b64 v2, v[22:23], v[24:25] offset0:16 offset1:24
	s_waitcnt vmcnt(1)
	ds_write2st64_b64 v2, v[26:27], v[10:11] offset0:32 offset1:40
	s_waitcnt vmcnt(0)
	ds_write_b64 v2, v[12:13] offset:24576
	s_waitcnt lgkmcnt(0)
	s_barrier
.LBB1075_6:
	s_andn2_b64 vcc, exec, s[0:1]
	s_addk_i32 s50, 0xe00
	s_cbranch_vccnz .LBB1075_22
; %bb.7:
	v_mov_b32_e32 v2, 0
	v_cmp_gt_u32_e32 vcc, s50, v0
	v_mov_b32_e32 v3, v2
	v_mov_b32_e32 v4, v2
	;; [unrolled: 1-line block ×13, first 2 shown]
	s_and_saveexec_b64 s[0:1], vcc
	s_cbranch_execz .LBB1075_9
; %bb.8:
	v_lshlrev_b32_e32 v1, 3, v0
	v_readfirstlane_b32 s4, v20
	v_readfirstlane_b32 s5, v21
	v_mov_b32_e32 v6, v2
	v_mov_b32_e32 v7, v2
	v_mov_b32_e32 v8, v2
	v_mov_b32_e32 v9, v2
	v_mov_b32_e32 v10, v2
	global_load_dwordx2 v[4:5], v1, s[4:5]
	v_mov_b32_e32 v11, v2
	v_mov_b32_e32 v12, v2
	v_mov_b32_e32 v13, v2
	v_mov_b32_e32 v14, v2
	v_mov_b32_e32 v15, v2
	v_mov_b32_e32 v16, v2
	v_mov_b32_e32 v17, v2
	s_waitcnt vmcnt(0)
	v_mov_b64_e32 v[2:3], v[4:5]
	v_mov_b64_e32 v[4:5], v[6:7]
	;; [unrolled: 1-line block ×8, first 2 shown]
.LBB1075_9:
	s_or_b64 exec, exec, s[0:1]
	v_or_b32_e32 v1, 0x200, v0
	v_cmp_gt_u32_e32 vcc, s50, v1
	s_and_saveexec_b64 s[0:1], vcc
	s_cbranch_execz .LBB1075_11
; %bb.10:
	v_lshlrev_b32_e32 v1, 3, v1
	v_readfirstlane_b32 s4, v20
	v_readfirstlane_b32 s5, v21
	s_nop 4
	global_load_dwordx2 v[4:5], v1, s[4:5]
.LBB1075_11:
	s_or_b64 exec, exec, s[0:1]
	v_or_b32_e32 v1, 0x400, v0
	v_cmp_gt_u32_e32 vcc, s50, v1
	s_and_saveexec_b64 s[0:1], vcc
	s_cbranch_execz .LBB1075_13
; %bb.12:
	v_lshlrev_b32_e32 v1, 3, v1
	v_readfirstlane_b32 s4, v20
	v_readfirstlane_b32 s5, v21
	s_nop 4
	global_load_dwordx2 v[6:7], v1, s[4:5]
.LBB1075_13:
	;; [unrolled: 12-line block ×6, first 2 shown]
	s_or_b64 exec, exec, s[0:1]
	v_lshlrev_b32_e32 v1, 3, v0
	s_waitcnt vmcnt(0)
	ds_write2st64_b64 v1, v[2:3], v[4:5] offset1:8
	ds_write2st64_b64 v1, v[6:7], v[8:9] offset0:16 offset1:24
	ds_write2st64_b64 v1, v[10:11], v[12:13] offset0:32 offset1:40
	ds_write_b64 v1, v[14:15] offset:24576
	s_waitcnt lgkmcnt(0)
	s_barrier
.LBB1075_22:
	v_mul_u32_u24_e32 v1, 7, v0
	v_lshlrev_b32_e32 v28, 3, v1
	ds_read2_b64 v[10:13], v28 offset1:1
	ds_read2_b64 v[6:9], v28 offset0:2 offset1:3
	ds_read2_b64 v[2:5], v28 offset0:4 offset1:5
	ds_read_b64 v[14:15], v28 offset:48
	s_cmp_lg_u32 s33, 0
	s_cselect_b64 s[16:17], -1, 0
	s_cmp_lg_u64 s[6:7], 0
	s_cselect_b64 s[0:1], -1, 0
	s_or_b64 s[0:1], s[0:1], s[16:17]
	s_mov_b64 s[10:11], 0
	s_and_b64 vcc, exec, s[0:1]
	v_cmp_lt_i64_e64 s[6:7], s[26:27], 1
	v_cmp_gt_i64_e64 s[0:1], s[26:27], 0
	s_waitcnt lgkmcnt(0)
	s_barrier
	s_cbranch_vccz .LBB1075_37
; %bb.23:
	global_load_dwordx2 v[20:21], v[20:21], off offset:-8
	v_lshlrev_b32_e32 v29, 3, v0
	s_and_b64 vcc, exec, s[36:37]
	ds_write_b64 v29, v[14:15]
	s_cbranch_vccz .LBB1075_39
; %bb.24:
	v_cndmask_b32_e64 v16, 0, 1, s[0:1]
	v_cmp_ne_u32_e64 s[4:5], 1, v16
	s_andn2_b64 vcc, exec, s[0:1]
	v_mov_b32_e32 v19, 0
	s_cbranch_vccnz .LBB1075_30
; %bb.25:
	v_mov_b64_e32 v[22:23], s[28:29]
	v_mad_u64_u32 v[16:17], s[0:1], v4, s26, v[22:23]
	v_mul_lo_u32 v19, v4, s27
	v_mul_lo_u32 v24, v5, s26
	s_add_u32 s12, s26, -1
	v_add3_u32 v17, v24, v17, v19
	v_mad_u64_u32 v[22:23], s[0:1], v14, s26, v[22:23]
	v_mul_lo_u32 v19, v14, s27
	v_mul_lo_u32 v24, v15, s26
	s_addc_u32 s13, s27, -1
	v_add3_u32 v23, v24, v23, v19
	s_mov_b64 s[38:39], s[12:13]
	v_mov_b64_e32 v[24:25], v[16:17]
                                        ; implicit-def: $sgpr14_sgpr15
.LBB1075_26:                            ; =>This Inner Loop Header: Depth=1
	global_load_ubyte v19, v[24:25], off
	global_load_ubyte v26, v[22:23], off
	v_lshl_add_u64 v[24:25], v[24:25], 0, 1
	v_lshl_add_u64 v[22:23], v[22:23], 0, 1
	s_waitcnt vmcnt(1)
	v_cmp_ne_u16_e32 vcc, 0, v19
	s_waitcnt vmcnt(0)
	v_cmp_ne_u16_e64 s[0:1], 0, v26
	s_xor_b64 s[0:1], vcc, s[0:1]
	s_cmp_eq_u64 s[38:39], 0
	s_cselect_b64 s[40:41], -1, 0
	s_or_b64 s[40:41], s[0:1], s[40:41]
	s_add_u32 s38, s38, -1
	s_addc_u32 s39, s39, -1
	s_and_b64 s[40:41], exec, s[40:41]
	s_or_b64 s[10:11], s[40:41], s[10:11]
	s_andn2_b64 s[14:15], s[14:15], exec
	s_and_b64 s[0:1], s[0:1], exec
	s_or_b64 s[14:15], s[14:15], s[0:1]
	s_andn2_b64 exec, exec, s[10:11]
	s_cbranch_execnz .LBB1075_26
; %bb.27:
	s_or_b64 exec, exec, s[10:11]
	v_mov_b64_e32 v[22:23], s[28:29]
	v_mad_u64_u32 v[22:23], s[0:1], v2, s26, v[22:23]
	v_mul_lo_u32 v19, v2, s27
	v_mul_lo_u32 v24, v3, s26
	v_add3_u32 v23, v24, v23, v19
	s_mov_b64 s[38:39], 0
                                        ; implicit-def: $sgpr10_sgpr11
.LBB1075_28:                            ; =>This Inner Loop Header: Depth=1
	global_load_ubyte v19, v[22:23], off
	global_load_ubyte v24, v[16:17], off
	v_lshl_add_u64 v[22:23], v[22:23], 0, 1
	v_lshl_add_u64 v[16:17], v[16:17], 0, 1
	s_waitcnt vmcnt(1)
	v_cmp_ne_u16_e32 vcc, 0, v19
	s_waitcnt vmcnt(0)
	v_cmp_ne_u16_e64 s[0:1], 0, v24
	s_xor_b64 s[0:1], vcc, s[0:1]
	s_cmp_eq_u64 s[12:13], 0
	s_cselect_b64 s[40:41], -1, 0
	s_or_b64 s[40:41], s[0:1], s[40:41]
	s_add_u32 s12, s12, -1
	s_addc_u32 s13, s13, -1
	s_and_b64 s[40:41], exec, s[40:41]
	s_or_b64 s[38:39], s[40:41], s[38:39]
	s_andn2_b64 s[10:11], s[10:11], exec
	s_and_b64 s[0:1], s[0:1], exec
	s_or_b64 s[10:11], s[10:11], s[0:1]
	s_andn2_b64 exec, exec, s[38:39]
	s_cbranch_execnz .LBB1075_28
; %bb.29:
	s_or_b64 exec, exec, s[38:39]
	v_cndmask_b32_e64 v19, 0, 1, s[14:15]
.LBB1075_30:
	s_and_b64 vcc, exec, s[4:5]
	s_cbranch_vccnz .LBB1075_40
; %bb.31:
	v_mov_b64_e32 v[22:23], s[28:29]
	v_mad_u64_u32 v[16:17], s[0:1], v8, s26, v[22:23]
	v_mul_lo_u32 v24, v8, s27
	v_mul_lo_u32 v25, v9, s26
	s_add_u32 s14, s26, -1
	v_add3_u32 v17, v25, v17, v24
	v_mad_u64_u32 v[22:23], s[0:1], v2, s26, v[22:23]
	v_mul_lo_u32 v24, v2, s27
	v_mul_lo_u32 v25, v3, s26
	s_addc_u32 s15, s27, -1
	v_add3_u32 v23, v25, v23, v24
	s_mov_b64 s[12:13], 0
	s_mov_b64 s[40:41], s[14:15]
	v_mov_b64_e32 v[24:25], v[16:17]
                                        ; implicit-def: $sgpr38_sgpr39
.LBB1075_32:                            ; =>This Inner Loop Header: Depth=1
	global_load_ubyte v26, v[24:25], off
	global_load_ubyte v27, v[22:23], off
	v_lshl_add_u64 v[24:25], v[24:25], 0, 1
	v_lshl_add_u64 v[22:23], v[22:23], 0, 1
	s_waitcnt vmcnt(1)
	v_cmp_ne_u16_e32 vcc, 0, v26
	s_waitcnt vmcnt(0)
	v_cmp_ne_u16_e64 s[0:1], 0, v27
	s_xor_b64 s[0:1], vcc, s[0:1]
	s_cmp_eq_u64 s[40:41], 0
	s_cselect_b64 s[42:43], -1, 0
	s_or_b64 s[42:43], s[0:1], s[42:43]
	s_add_u32 s40, s40, -1
	s_addc_u32 s41, s41, -1
	s_and_b64 s[42:43], exec, s[42:43]
	s_or_b64 s[12:13], s[42:43], s[12:13]
	s_andn2_b64 s[38:39], s[38:39], exec
	s_and_b64 s[0:1], s[0:1], exec
	s_or_b64 s[38:39], s[38:39], s[0:1]
	s_andn2_b64 exec, exec, s[12:13]
	s_cbranch_execnz .LBB1075_32
; %bb.33:
	s_or_b64 exec, exec, s[12:13]
	v_mov_b64_e32 v[22:23], s[28:29]
	v_mad_u64_u32 v[22:23], s[0:1], v6, s26, v[22:23]
	v_mul_lo_u32 v24, v6, s27
	v_mul_lo_u32 v25, v7, s26
	v_add3_u32 v23, v25, v23, v24
	s_mov_b64 s[40:41], 0
                                        ; implicit-def: $sgpr12_sgpr13
.LBB1075_34:                            ; =>This Inner Loop Header: Depth=1
	global_load_ubyte v24, v[22:23], off
	global_load_ubyte v25, v[16:17], off
	v_lshl_add_u64 v[22:23], v[22:23], 0, 1
	v_lshl_add_u64 v[16:17], v[16:17], 0, 1
	s_waitcnt vmcnt(1)
	v_cmp_ne_u16_e32 vcc, 0, v24
	s_waitcnt vmcnt(0)
	v_cmp_ne_u16_e64 s[0:1], 0, v25
	s_xor_b64 s[0:1], vcc, s[0:1]
	s_cmp_eq_u64 s[14:15], 0
	s_cselect_b64 s[42:43], -1, 0
	s_or_b64 s[42:43], s[0:1], s[42:43]
	s_add_u32 s14, s14, -1
	s_addc_u32 s15, s15, -1
	s_and_b64 s[42:43], exec, s[42:43]
	s_or_b64 s[40:41], s[42:43], s[40:41]
	s_andn2_b64 s[12:13], s[12:13], exec
	s_and_b64 s[0:1], s[0:1], exec
	s_or_b64 s[12:13], s[12:13], s[0:1]
	s_andn2_b64 exec, exec, s[40:41]
	s_cbranch_execnz .LBB1075_34
; %bb.35:
	s_or_b64 exec, exec, s[40:41]
	v_cndmask_b32_e64 v17, 0, 1, s[38:39]
	s_and_b64 vcc, exec, s[4:5]
	s_cbranch_vccz .LBB1075_41
.LBB1075_36:
	v_mov_b32_e32 v22, 0
	s_mov_b64 s[40:41], 0
	s_branch .LBB1075_46
.LBB1075_37:
                                        ; implicit-def: $sgpr12_sgpr13
                                        ; implicit-def: $vgpr19
                                        ; implicit-def: $vgpr40
                                        ; implicit-def: $vgpr17
                                        ; implicit-def: $vgpr22
	s_branch .LBB1075_85
.LBB1075_38:
                                        ; implicit-def: $vgpr42
                                        ; implicit-def: $vgpr41
                                        ; implicit-def: $vgpr20
	s_branch .LBB1075_144
.LBB1075_39:
                                        ; implicit-def: $sgpr12_sgpr13
                                        ; implicit-def: $vgpr19
                                        ; implicit-def: $vgpr40
                                        ; implicit-def: $vgpr17
                                        ; implicit-def: $vgpr22
	s_cbranch_execnz .LBB1075_53
	s_branch .LBB1075_84
.LBB1075_40:
	v_mov_b32_e32 v17, 0
	s_mov_b64 s[12:13], 0
	s_and_b64 vcc, exec, s[4:5]
	s_cbranch_vccnz .LBB1075_36
.LBB1075_41:
	v_mov_b64_e32 v[24:25], s[28:29]
	v_mad_u64_u32 v[22:23], s[0:1], v12, s26, v[24:25]
	v_mul_lo_u32 v16, v12, s27
	v_mul_lo_u32 v26, v13, s26
	s_add_u32 s14, s26, -1
	v_add3_u32 v23, v26, v23, v16
	v_mad_u64_u32 v[24:25], s[0:1], v6, s26, v[24:25]
	v_mul_lo_u32 v16, v6, s27
	v_mul_lo_u32 v26, v7, s26
	s_addc_u32 s15, s27, -1
	v_add3_u32 v25, v26, v25, v16
	s_mov_b64 s[40:41], 0
	s_mov_b64 s[42:43], s[14:15]
	v_mov_b64_e32 v[26:27], v[22:23]
                                        ; implicit-def: $sgpr38_sgpr39
.LBB1075_42:                            ; =>This Inner Loop Header: Depth=1
	global_load_ubyte v16, v[26:27], off
	global_load_ubyte v30, v[24:25], off
	v_lshl_add_u64 v[26:27], v[26:27], 0, 1
	v_lshl_add_u64 v[24:25], v[24:25], 0, 1
	s_waitcnt vmcnt(1)
	v_cmp_ne_u16_e32 vcc, 0, v16
	s_waitcnt vmcnt(0)
	v_cmp_ne_u16_e64 s[0:1], 0, v30
	s_xor_b64 s[0:1], vcc, s[0:1]
	s_cmp_eq_u64 s[42:43], 0
	s_cselect_b64 s[44:45], -1, 0
	s_or_b64 s[44:45], s[0:1], s[44:45]
	s_add_u32 s42, s42, -1
	s_addc_u32 s43, s43, -1
	s_and_b64 s[44:45], exec, s[44:45]
	s_or_b64 s[40:41], s[44:45], s[40:41]
	s_andn2_b64 s[38:39], s[38:39], exec
	s_and_b64 s[0:1], s[0:1], exec
	s_or_b64 s[38:39], s[38:39], s[0:1]
	s_andn2_b64 exec, exec, s[40:41]
	s_cbranch_execnz .LBB1075_42
; %bb.43:
	s_or_b64 exec, exec, s[40:41]
	v_mov_b64_e32 v[24:25], s[28:29]
	v_mad_u64_u32 v[24:25], s[0:1], v10, s26, v[24:25]
	v_mul_lo_u32 v16, v10, s27
	v_mul_lo_u32 v26, v11, s26
	v_add3_u32 v25, v26, v25, v16
	s_mov_b64 s[42:43], 0
                                        ; implicit-def: $sgpr40_sgpr41
.LBB1075_44:                            ; =>This Inner Loop Header: Depth=1
	global_load_ubyte v16, v[24:25], off
	global_load_ubyte v26, v[22:23], off
	v_lshl_add_u64 v[24:25], v[24:25], 0, 1
	v_lshl_add_u64 v[22:23], v[22:23], 0, 1
	s_waitcnt vmcnt(1)
	v_cmp_ne_u16_e32 vcc, 0, v16
	s_waitcnt vmcnt(0)
	v_cmp_ne_u16_e64 s[0:1], 0, v26
	s_xor_b64 s[0:1], vcc, s[0:1]
	s_cmp_eq_u64 s[14:15], 0
	s_cselect_b64 s[44:45], -1, 0
	s_or_b64 s[44:45], s[0:1], s[44:45]
	s_add_u32 s14, s14, -1
	s_addc_u32 s15, s15, -1
	s_and_b64 s[44:45], exec, s[44:45]
	s_or_b64 s[42:43], s[44:45], s[42:43]
	s_andn2_b64 s[40:41], s[40:41], exec
	s_and_b64 s[0:1], s[0:1], exec
	s_or_b64 s[40:41], s[40:41], s[0:1]
	s_andn2_b64 exec, exec, s[42:43]
	s_cbranch_execnz .LBB1075_44
; %bb.45:
	s_or_b64 exec, exec, s[42:43]
	v_cndmask_b32_e64 v22, 0, 1, s[38:39]
.LBB1075_46:
	s_waitcnt vmcnt(0)
	v_mov_b64_e32 v[24:25], v[20:21]
	s_waitcnt lgkmcnt(0)
	s_barrier
	s_and_saveexec_b64 s[0:1], s[2:3]
; %bb.47:
	v_add_u32_e32 v16, -8, v29
	ds_read_b64 v[24:25], v16
; %bb.48:
	s_or_b64 exec, exec, s[0:1]
	v_cndmask_b32_e64 v23, 0, 1, s[12:13]
	v_cndmask_b32_e64 v16, 0, 1, s[40:41]
	v_lshlrev_b16_e32 v23, 8, v23
	v_lshlrev_b16_e32 v16, 8, v16
	v_or_b32_sdwa v26, v22, v23 dst_sel:WORD_1 dst_unused:UNUSED_PAD src0_sel:DWORD src1_sel:DWORD
	s_mov_b64 s[14:15], 0
	s_and_b64 vcc, exec, s[4:5]
	s_mov_b64 s[12:13], 0
	s_cbranch_vccnz .LBB1075_52
; %bb.49:
	v_mov_b64_e32 v[30:31], s[28:29]
	s_waitcnt lgkmcnt(0)
	v_mad_u64_u32 v[22:23], s[0:1], v24, s26, v[30:31]
	v_mul_lo_u32 v24, v24, s27
	v_mul_lo_u32 v25, v25, s26
	v_add3_u32 v23, v25, v23, v24
	v_mad_u64_u32 v[24:25], s[0:1], v10, s26, v[30:31]
	v_mul_lo_u32 v27, v10, s27
	v_mul_lo_u32 v30, v11, s26
	s_add_u32 s4, s26, -1
	v_add3_u32 v25, v30, v25, v27
	s_addc_u32 s5, s27, -1
	s_mov_b64 s[38:39], 0
                                        ; implicit-def: $sgpr12_sgpr13
.LBB1075_50:                            ; =>This Inner Loop Header: Depth=1
	global_load_ubyte v27, v[22:23], off
	global_load_ubyte v30, v[24:25], off
	v_lshl_add_u64 v[22:23], v[22:23], 0, 1
	v_lshl_add_u64 v[24:25], v[24:25], 0, 1
	s_waitcnt vmcnt(1)
	v_cmp_ne_u16_e32 vcc, 0, v27
	s_waitcnt vmcnt(0)
	v_cmp_ne_u16_e64 s[0:1], 0, v30
	s_xor_b64 s[0:1], vcc, s[0:1]
	s_cmp_eq_u64 s[4:5], 0
	s_cselect_b64 s[40:41], -1, 0
	s_or_b64 s[40:41], s[0:1], s[40:41]
	s_add_u32 s4, s4, -1
	s_addc_u32 s5, s5, -1
	s_and_b64 s[40:41], exec, s[40:41]
	s_or_b64 s[38:39], s[40:41], s[38:39]
	s_andn2_b64 s[12:13], s[12:13], exec
	s_and_b64 s[0:1], s[0:1], exec
	s_or_b64 s[12:13], s[12:13], s[0:1]
	s_andn2_b64 exec, exec, s[38:39]
	s_cbranch_execnz .LBB1075_50
; %bb.51:
	s_or_b64 exec, exec, s[38:39]
.LBB1075_52:
	v_cndmask_b32_e64 v40, 0, 1, s[10:11]
	v_or_b32_e32 v22, v16, v26
	s_and_b64 vcc, exec, s[14:15]
	s_cbranch_vccz .LBB1075_84
.LBB1075_53:
	v_add_u32_e32 v16, 6, v1
	v_cmp_gt_u32_e32 vcc, s50, v16
	s_xor_b64 s[6:7], s[6:7], -1
	s_and_b64 s[0:1], vcc, s[6:7]
	s_mov_b64 s[4:5], 0
	s_and_saveexec_b64 s[10:11], s[0:1]
	s_cbranch_execz .LBB1075_57
; %bb.54:
	v_mov_b64_e32 v[22:23], s[28:29]
	v_mad_u64_u32 v[16:17], s[0:1], v4, s26, v[22:23]
	v_mul_lo_u32 v19, v4, s27
	s_waitcnt lgkmcnt(0)
	v_mul_lo_u32 v24, v5, s26
	v_add3_u32 v17, v24, v17, v19
	v_mad_u64_u32 v[22:23], s[0:1], v14, s26, v[22:23]
	v_mul_lo_u32 v19, v14, s27
	v_mul_lo_u32 v24, v15, s26
	s_add_u32 s4, s26, -1
	v_add3_u32 v23, v24, v23, v19
	s_addc_u32 s5, s27, -1
	s_mov_b64 s[12:13], 0
                                        ; implicit-def: $sgpr14_sgpr15
.LBB1075_55:                            ; =>This Inner Loop Header: Depth=1
	global_load_ubyte v19, v[16:17], off
	global_load_ubyte v24, v[22:23], off
	v_lshl_add_u64 v[16:17], v[16:17], 0, 1
	v_lshl_add_u64 v[22:23], v[22:23], 0, 1
	s_waitcnt vmcnt(1)
	v_cmp_ne_u16_e32 vcc, 0, v19
	s_waitcnt vmcnt(0)
	v_cmp_ne_u16_e64 s[0:1], 0, v24
	s_xor_b64 s[0:1], vcc, s[0:1]
	s_cmp_eq_u64 s[4:5], 0
	s_cselect_b64 s[38:39], -1, 0
	s_or_b64 s[38:39], s[0:1], s[38:39]
	s_add_u32 s4, s4, -1
	s_addc_u32 s5, s5, -1
	s_and_b64 s[38:39], exec, s[38:39]
	s_or_b64 s[12:13], s[38:39], s[12:13]
	s_andn2_b64 s[14:15], s[14:15], exec
	s_and_b64 s[0:1], s[0:1], exec
	s_or_b64 s[14:15], s[14:15], s[0:1]
	s_andn2_b64 exec, exec, s[12:13]
	s_cbranch_execnz .LBB1075_55
; %bb.56:
	s_or_b64 exec, exec, s[12:13]
	s_and_b64 s[4:5], s[14:15], exec
.LBB1075_57:
	s_or_b64 exec, exec, s[10:11]
	v_add_u32_e32 v16, 5, v1
	v_cmp_gt_u32_e32 vcc, s50, v16
	s_and_b64 s[0:1], vcc, s[6:7]
	s_mov_b64 s[10:11], 0
	s_and_saveexec_b64 s[12:13], s[0:1]
	s_cbranch_execz .LBB1075_61
; %bb.58:
	v_mov_b64_e32 v[22:23], s[28:29]
	v_mad_u64_u32 v[16:17], s[0:1], v2, s26, v[22:23]
	v_mul_lo_u32 v19, v2, s27
	s_waitcnt lgkmcnt(0)
	v_mul_lo_u32 v24, v3, s26
	v_add3_u32 v17, v24, v17, v19
	v_mad_u64_u32 v[22:23], s[0:1], v4, s26, v[22:23]
	v_mul_lo_u32 v19, v4, s27
	v_mul_lo_u32 v24, v5, s26
	s_add_u32 s10, s26, -1
	v_add3_u32 v23, v24, v23, v19
	s_addc_u32 s11, s27, -1
	s_mov_b64 s[14:15], 0
                                        ; implicit-def: $sgpr38_sgpr39
.LBB1075_59:                            ; =>This Inner Loop Header: Depth=1
	global_load_ubyte v19, v[16:17], off
	global_load_ubyte v24, v[22:23], off
	v_lshl_add_u64 v[16:17], v[16:17], 0, 1
	v_lshl_add_u64 v[22:23], v[22:23], 0, 1
	s_waitcnt vmcnt(1)
	v_cmp_ne_u16_e32 vcc, 0, v19
	s_waitcnt vmcnt(0)
	v_cmp_ne_u16_e64 s[0:1], 0, v24
	s_xor_b64 s[0:1], vcc, s[0:1]
	s_cmp_eq_u64 s[10:11], 0
	s_cselect_b64 s[40:41], -1, 0
	s_or_b64 s[40:41], s[0:1], s[40:41]
	s_add_u32 s10, s10, -1
	s_addc_u32 s11, s11, -1
	s_and_b64 s[40:41], exec, s[40:41]
	s_or_b64 s[14:15], s[40:41], s[14:15]
	s_andn2_b64 s[38:39], s[38:39], exec
	s_and_b64 s[0:1], s[0:1], exec
	s_or_b64 s[38:39], s[38:39], s[0:1]
	s_andn2_b64 exec, exec, s[14:15]
	s_cbranch_execnz .LBB1075_59
; %bb.60:
	s_or_b64 exec, exec, s[14:15]
	s_and_b64 s[10:11], s[38:39], exec
.LBB1075_61:
	s_or_b64 exec, exec, s[12:13]
	v_add_u32_e32 v16, 4, v1
	v_cmp_gt_u32_e32 vcc, s50, v16
	s_and_b64 s[0:1], vcc, s[6:7]
	s_mov_b64 s[14:15], 0
	s_and_saveexec_b64 s[12:13], s[0:1]
	s_cbranch_execz .LBB1075_65
; %bb.62:
	v_mov_b64_e32 v[22:23], s[28:29]
	v_mad_u64_u32 v[16:17], s[0:1], v8, s26, v[22:23]
	v_mul_lo_u32 v19, v8, s27
	s_waitcnt lgkmcnt(0)
	v_mul_lo_u32 v24, v9, s26
	v_add3_u32 v17, v24, v17, v19
	v_mad_u64_u32 v[22:23], s[0:1], v2, s26, v[22:23]
	v_mul_lo_u32 v19, v2, s27
	v_mul_lo_u32 v24, v3, s26
	s_add_u32 s14, s26, -1
	v_add3_u32 v23, v24, v23, v19
	s_addc_u32 s15, s27, -1
	s_mov_b64 s[38:39], 0
                                        ; implicit-def: $sgpr40_sgpr41
.LBB1075_63:                            ; =>This Inner Loop Header: Depth=1
	global_load_ubyte v19, v[16:17], off
	global_load_ubyte v24, v[22:23], off
	v_lshl_add_u64 v[16:17], v[16:17], 0, 1
	v_lshl_add_u64 v[22:23], v[22:23], 0, 1
	s_waitcnt vmcnt(1)
	v_cmp_ne_u16_e32 vcc, 0, v19
	s_waitcnt vmcnt(0)
	v_cmp_ne_u16_e64 s[0:1], 0, v24
	s_xor_b64 s[0:1], vcc, s[0:1]
	s_cmp_eq_u64 s[14:15], 0
	s_cselect_b64 s[42:43], -1, 0
	s_or_b64 s[42:43], s[0:1], s[42:43]
	s_add_u32 s14, s14, -1
	s_addc_u32 s15, s15, -1
	s_and_b64 s[42:43], exec, s[42:43]
	s_or_b64 s[38:39], s[42:43], s[38:39]
	s_andn2_b64 s[40:41], s[40:41], exec
	s_and_b64 s[0:1], s[0:1], exec
	s_or_b64 s[40:41], s[40:41], s[0:1]
	s_andn2_b64 exec, exec, s[38:39]
	s_cbranch_execnz .LBB1075_63
; %bb.64:
	s_or_b64 exec, exec, s[38:39]
	s_and_b64 s[14:15], s[40:41], exec
.LBB1075_65:
	s_or_b64 exec, exec, s[12:13]
	v_add_u32_e32 v16, 3, v1
	v_cmp_gt_u32_e32 vcc, s50, v16
	s_and_b64 s[0:1], vcc, s[6:7]
	s_mov_b64 s[12:13], 0
	s_and_saveexec_b64 s[38:39], s[0:1]
	s_cbranch_execz .LBB1075_69
; %bb.66:
	v_mov_b64_e32 v[22:23], s[28:29]
	v_mad_u64_u32 v[16:17], s[0:1], v6, s26, v[22:23]
	v_mul_lo_u32 v19, v6, s27
	s_waitcnt lgkmcnt(0)
	v_mul_lo_u32 v24, v7, s26
	v_add3_u32 v17, v24, v17, v19
	v_mad_u64_u32 v[22:23], s[0:1], v8, s26, v[22:23]
	v_mul_lo_u32 v19, v8, s27
	v_mul_lo_u32 v24, v9, s26
	s_add_u32 s12, s26, -1
	v_add3_u32 v23, v24, v23, v19
	s_addc_u32 s13, s27, -1
	s_mov_b64 s[40:41], 0
                                        ; implicit-def: $sgpr42_sgpr43
.LBB1075_67:                            ; =>This Inner Loop Header: Depth=1
	global_load_ubyte v19, v[16:17], off
	global_load_ubyte v24, v[22:23], off
	v_lshl_add_u64 v[16:17], v[16:17], 0, 1
	v_lshl_add_u64 v[22:23], v[22:23], 0, 1
	s_waitcnt vmcnt(1)
	v_cmp_ne_u16_e32 vcc, 0, v19
	s_waitcnt vmcnt(0)
	v_cmp_ne_u16_e64 s[0:1], 0, v24
	s_xor_b64 s[0:1], vcc, s[0:1]
	s_cmp_eq_u64 s[12:13], 0
	s_cselect_b64 s[44:45], -1, 0
	s_or_b64 s[44:45], s[0:1], s[44:45]
	s_add_u32 s12, s12, -1
	s_addc_u32 s13, s13, -1
	s_and_b64 s[44:45], exec, s[44:45]
	s_or_b64 s[40:41], s[44:45], s[40:41]
	s_andn2_b64 s[42:43], s[42:43], exec
	s_and_b64 s[0:1], s[0:1], exec
	s_or_b64 s[42:43], s[42:43], s[0:1]
	s_andn2_b64 exec, exec, s[40:41]
	s_cbranch_execnz .LBB1075_67
; %bb.68:
	s_or_b64 exec, exec, s[40:41]
	s_and_b64 s[12:13], s[42:43], exec
.LBB1075_69:
	s_or_b64 exec, exec, s[38:39]
	v_add_u32_e32 v16, 2, v1
	v_cmp_gt_u32_e32 vcc, s50, v16
	s_and_b64 s[0:1], vcc, s[6:7]
	s_mov_b64 s[38:39], 0
	s_and_saveexec_b64 s[40:41], s[0:1]
	s_cbranch_execz .LBB1075_73
; %bb.70:
	v_mov_b64_e32 v[22:23], s[28:29]
	v_mad_u64_u32 v[16:17], s[0:1], v12, s26, v[22:23]
	v_mul_lo_u32 v19, v12, s27
	s_waitcnt lgkmcnt(0)
	v_mul_lo_u32 v24, v13, s26
	v_add3_u32 v17, v24, v17, v19
	v_mad_u64_u32 v[22:23], s[0:1], v6, s26, v[22:23]
	v_mul_lo_u32 v19, v6, s27
	v_mul_lo_u32 v24, v7, s26
	s_add_u32 s38, s26, -1
	v_add3_u32 v23, v24, v23, v19
	s_addc_u32 s39, s27, -1
	s_mov_b64 s[42:43], 0
                                        ; implicit-def: $sgpr44_sgpr45
.LBB1075_71:                            ; =>This Inner Loop Header: Depth=1
	global_load_ubyte v19, v[16:17], off
	global_load_ubyte v24, v[22:23], off
	v_lshl_add_u64 v[16:17], v[16:17], 0, 1
	v_lshl_add_u64 v[22:23], v[22:23], 0, 1
	s_waitcnt vmcnt(1)
	v_cmp_ne_u16_e32 vcc, 0, v19
	s_waitcnt vmcnt(0)
	v_cmp_ne_u16_e64 s[0:1], 0, v24
	s_xor_b64 s[0:1], vcc, s[0:1]
	s_cmp_eq_u64 s[38:39], 0
	s_cselect_b64 s[46:47], -1, 0
	s_or_b64 s[46:47], s[0:1], s[46:47]
	s_add_u32 s38, s38, -1
	s_addc_u32 s39, s39, -1
	s_and_b64 s[46:47], exec, s[46:47]
	s_or_b64 s[42:43], s[46:47], s[42:43]
	s_andn2_b64 s[44:45], s[44:45], exec
	s_and_b64 s[0:1], s[0:1], exec
	s_or_b64 s[44:45], s[44:45], s[0:1]
	s_andn2_b64 exec, exec, s[42:43]
	s_cbranch_execnz .LBB1075_71
; %bb.72:
	s_or_b64 exec, exec, s[42:43]
	s_and_b64 s[38:39], s[44:45], exec
.LBB1075_73:
	s_or_b64 exec, exec, s[40:41]
	v_add_u32_e32 v16, 1, v1
	v_cmp_gt_u32_e32 vcc, s50, v16
	s_and_b64 s[42:43], vcc, s[6:7]
	s_mov_b64 s[0:1], 0
	s_and_saveexec_b64 s[40:41], s[42:43]
	s_cbranch_execz .LBB1075_77
; %bb.74:
	v_mov_b64_e32 v[22:23], s[28:29]
	v_mad_u64_u32 v[16:17], s[0:1], v10, s26, v[22:23]
	v_mul_lo_u32 v19, v10, s27
	s_waitcnt lgkmcnt(0)
	v_mul_lo_u32 v24, v11, s26
	v_add3_u32 v17, v24, v17, v19
	v_mad_u64_u32 v[22:23], s[0:1], v12, s26, v[22:23]
	v_mul_lo_u32 v19, v12, s27
	v_mul_lo_u32 v24, v13, s26
	s_add_u32 s42, s26, -1
	v_add3_u32 v23, v24, v23, v19
	s_addc_u32 s43, s27, -1
	s_mov_b64 s[44:45], 0
                                        ; implicit-def: $sgpr46_sgpr47
.LBB1075_75:                            ; =>This Inner Loop Header: Depth=1
	global_load_ubyte v19, v[16:17], off
	global_load_ubyte v24, v[22:23], off
	v_lshl_add_u64 v[16:17], v[16:17], 0, 1
	v_lshl_add_u64 v[22:23], v[22:23], 0, 1
	s_waitcnt vmcnt(1)
	v_cmp_ne_u16_e32 vcc, 0, v19
	s_waitcnt vmcnt(0)
	v_cmp_ne_u16_e64 s[0:1], 0, v24
	s_xor_b64 s[0:1], vcc, s[0:1]
	s_cmp_eq_u64 s[42:43], 0
	s_cselect_b64 s[48:49], -1, 0
	s_or_b64 s[48:49], s[0:1], s[48:49]
	s_add_u32 s42, s42, -1
	s_addc_u32 s43, s43, -1
	s_and_b64 s[48:49], exec, s[48:49]
	s_or_b64 s[44:45], s[48:49], s[44:45]
	s_andn2_b64 s[46:47], s[46:47], exec
	s_and_b64 s[0:1], s[0:1], exec
	s_or_b64 s[46:47], s[46:47], s[0:1]
	s_andn2_b64 exec, exec, s[44:45]
	s_cbranch_execnz .LBB1075_75
; %bb.76:
	s_or_b64 exec, exec, s[44:45]
	s_and_b64 s[0:1], s[46:47], exec
.LBB1075_77:
	s_or_b64 exec, exec, s[40:41]
	s_waitcnt lgkmcnt(0)
	s_barrier
	s_and_saveexec_b64 s[40:41], s[2:3]
	s_cbranch_execz .LBB1075_79
; %bb.78:
	v_add_u32_e32 v16, -8, v29
	s_waitcnt vmcnt(0)
	ds_read_b64 v[20:21], v16
.LBB1075_79:
	s_or_b64 exec, exec, s[40:41]
	v_cndmask_b32_e64 v17, 0, 1, s[12:13]
	v_cndmask_b32_e64 v16, 0, 1, s[38:39]
	v_cndmask_b32_e64 v19, 0, 1, s[0:1]
	v_cmp_gt_u32_e32 vcc, s50, v1
	v_lshlrev_b16_e32 v17, 8, v17
	s_and_b64 s[0:1], vcc, s[6:7]
	v_lshlrev_b16_e32 v22, 8, v19
	v_or_b32_sdwa v23, v16, v17 dst_sel:WORD_1 dst_unused:UNUSED_PAD src0_sel:DWORD src1_sel:DWORD
	s_mov_b64 s[12:13], 0
	s_and_saveexec_b64 s[6:7], s[0:1]
	s_cbranch_execz .LBB1075_83
; %bb.80:
	v_mov_b64_e32 v[24:25], s[28:29]
	s_waitcnt vmcnt(0) lgkmcnt(0)
	v_mad_u64_u32 v[16:17], s[0:1], v20, s26, v[24:25]
	v_mul_lo_u32 v19, v20, s27
	v_mul_lo_u32 v20, v21, s26
	v_add3_u32 v17, v20, v17, v19
	v_mad_u64_u32 v[20:21], s[0:1], v10, s26, v[24:25]
	v_mul_lo_u32 v19, v10, s27
	v_mul_lo_u32 v24, v11, s26
	s_add_u32 s12, s26, -1
	v_add3_u32 v21, v24, v21, v19
	s_addc_u32 s13, s27, -1
	s_mov_b64 s[38:39], 0
                                        ; implicit-def: $sgpr40_sgpr41
.LBB1075_81:                            ; =>This Inner Loop Header: Depth=1
	global_load_ubyte v19, v[16:17], off
	global_load_ubyte v24, v[20:21], off
	v_lshl_add_u64 v[16:17], v[16:17], 0, 1
	v_lshl_add_u64 v[20:21], v[20:21], 0, 1
	s_waitcnt vmcnt(1)
	v_cmp_ne_u16_e32 vcc, 0, v19
	s_waitcnt vmcnt(0)
	v_cmp_ne_u16_e64 s[0:1], 0, v24
	s_xor_b64 s[0:1], vcc, s[0:1]
	s_cmp_eq_u64 s[12:13], 0
	s_cselect_b64 s[42:43], -1, 0
	s_or_b64 s[42:43], s[0:1], s[42:43]
	s_add_u32 s12, s12, -1
	s_addc_u32 s13, s13, -1
	s_and_b64 s[42:43], exec, s[42:43]
	s_or_b64 s[38:39], s[42:43], s[38:39]
	s_andn2_b64 s[40:41], s[40:41], exec
	s_and_b64 s[0:1], s[0:1], exec
	s_or_b64 s[40:41], s[40:41], s[0:1]
	s_andn2_b64 exec, exec, s[38:39]
	s_cbranch_execnz .LBB1075_81
; %bb.82:
	s_or_b64 exec, exec, s[38:39]
	s_and_b64 s[12:13], s[40:41], exec
.LBB1075_83:
	s_or_b64 exec, exec, s[6:7]
	v_cndmask_b32_e64 v17, 0, 1, s[14:15]
	v_cndmask_b32_e64 v40, 0, 1, s[10:11]
	;; [unrolled: 1-line block ×3, first 2 shown]
	v_or_b32_e32 v22, v22, v23
.LBB1075_84:
	s_mov_b64 s[10:11], -1
	s_cbranch_execnz .LBB1075_38
.LBB1075_85:
	s_movk_i32 s0, 0xffd0
	v_mad_i32_i24 v26, v0, s0, v28
	v_cmp_lt_i64_e64 s[6:7], s[26:27], 1
	s_mov_b64 s[12:13], 0
	v_cmp_gt_i64_e64 s[0:1], s[26:27], 0
	s_and_b64 vcc, exec, s[36:37]
	ds_write_b64 v26, v[14:15]
	s_cbranch_vccz .LBB1075_99
; %bb.86:
	v_cndmask_b32_e64 v16, 0, 1, s[0:1]
	v_cmp_ne_u32_e64 s[4:5], 1, v16
	s_andn2_b64 vcc, exec, s[0:1]
	v_mov_b32_e32 v19, 0
	s_cbranch_vccnz .LBB1075_92
; %bb.87:
	s_waitcnt vmcnt(0) lgkmcnt(1)
	v_mov_b64_e32 v[20:21], s[28:29]
	v_mad_u64_u32 v[16:17], s[0:1], v4, s26, v[20:21]
	v_mul_lo_u32 v19, v4, s27
	v_mul_lo_u32 v22, v5, s26
	s_add_u32 s14, s26, -1
	v_add3_u32 v17, v22, v17, v19
	v_mad_u64_u32 v[20:21], s[0:1], v14, s26, v[20:21]
	v_mul_lo_u32 v19, v14, s27
	v_mul_lo_u32 v22, v15, s26
	s_addc_u32 s15, s27, -1
	v_add3_u32 v21, v22, v21, v19
	s_mov_b64 s[40:41], s[14:15]
	v_mov_b64_e32 v[22:23], v[16:17]
                                        ; implicit-def: $sgpr38_sgpr39
.LBB1075_88:                            ; =>This Inner Loop Header: Depth=1
	global_load_ubyte v19, v[22:23], off
	global_load_ubyte v24, v[20:21], off
	v_lshl_add_u64 v[22:23], v[22:23], 0, 1
	v_lshl_add_u64 v[20:21], v[20:21], 0, 1
	s_waitcnt vmcnt(1)
	v_cmp_ne_u16_e32 vcc, 0, v19
	s_waitcnt vmcnt(0)
	v_cmp_ne_u16_e64 s[0:1], 0, v24
	s_xor_b64 s[0:1], vcc, s[0:1]
	s_cmp_eq_u64 s[40:41], 0
	s_cselect_b64 s[42:43], -1, 0
	s_or_b64 s[42:43], s[0:1], s[42:43]
	s_add_u32 s40, s40, -1
	s_addc_u32 s41, s41, -1
	s_and_b64 s[42:43], exec, s[42:43]
	s_or_b64 s[12:13], s[42:43], s[12:13]
	s_andn2_b64 s[38:39], s[38:39], exec
	s_and_b64 s[0:1], s[0:1], exec
	s_or_b64 s[38:39], s[38:39], s[0:1]
	s_andn2_b64 exec, exec, s[12:13]
	s_cbranch_execnz .LBB1075_88
; %bb.89:
	s_or_b64 exec, exec, s[12:13]
	v_mov_b64_e32 v[20:21], s[28:29]
	v_mad_u64_u32 v[20:21], s[0:1], v2, s26, v[20:21]
	v_mul_lo_u32 v19, v2, s27
	v_mul_lo_u32 v22, v3, s26
	v_add3_u32 v21, v22, v21, v19
	s_mov_b64 s[40:41], 0
                                        ; implicit-def: $sgpr12_sgpr13
.LBB1075_90:                            ; =>This Inner Loop Header: Depth=1
	global_load_ubyte v19, v[20:21], off
	global_load_ubyte v22, v[16:17], off
	v_lshl_add_u64 v[20:21], v[20:21], 0, 1
	v_lshl_add_u64 v[16:17], v[16:17], 0, 1
	s_waitcnt vmcnt(1)
	v_cmp_ne_u16_e32 vcc, 0, v19
	s_waitcnt vmcnt(0)
	v_cmp_ne_u16_e64 s[0:1], 0, v22
	s_xor_b64 s[0:1], vcc, s[0:1]
	s_cmp_eq_u64 s[14:15], 0
	s_cselect_b64 s[42:43], -1, 0
	s_or_b64 s[42:43], s[0:1], s[42:43]
	s_add_u32 s14, s14, -1
	s_addc_u32 s15, s15, -1
	s_and_b64 s[42:43], exec, s[42:43]
	s_or_b64 s[40:41], s[42:43], s[40:41]
	s_andn2_b64 s[12:13], s[12:13], exec
	s_and_b64 s[0:1], s[0:1], exec
	s_or_b64 s[12:13], s[12:13], s[0:1]
	s_andn2_b64 exec, exec, s[40:41]
	s_cbranch_execnz .LBB1075_90
; %bb.91:
	s_or_b64 exec, exec, s[40:41]
	v_cndmask_b32_e64 v19, 0, 1, s[38:39]
.LBB1075_92:
	s_and_b64 vcc, exec, s[4:5]
	s_cbranch_vccnz .LBB1075_100
; %bb.93:
	s_waitcnt vmcnt(0) lgkmcnt(1)
	v_mov_b64_e32 v[20:21], s[28:29]
	v_mad_u64_u32 v[16:17], s[0:1], v8, s26, v[20:21]
	v_mul_lo_u32 v22, v8, s27
	v_mul_lo_u32 v23, v9, s26
	s_add_u32 s38, s26, -1
	v_add3_u32 v17, v23, v17, v22
	v_mad_u64_u32 v[20:21], s[0:1], v2, s26, v[20:21]
	v_mul_lo_u32 v22, v2, s27
	v_mul_lo_u32 v23, v3, s26
	s_addc_u32 s39, s27, -1
	v_add3_u32 v21, v23, v21, v22
	s_mov_b64 s[14:15], 0
	s_mov_b64 s[42:43], s[38:39]
	v_mov_b64_e32 v[22:23], v[16:17]
                                        ; implicit-def: $sgpr40_sgpr41
.LBB1075_94:                            ; =>This Inner Loop Header: Depth=1
	global_load_ubyte v24, v[22:23], off
	global_load_ubyte v25, v[20:21], off
	v_lshl_add_u64 v[22:23], v[22:23], 0, 1
	v_lshl_add_u64 v[20:21], v[20:21], 0, 1
	s_waitcnt vmcnt(1)
	v_cmp_ne_u16_e32 vcc, 0, v24
	s_waitcnt vmcnt(0)
	v_cmp_ne_u16_e64 s[0:1], 0, v25
	s_xor_b64 s[0:1], vcc, s[0:1]
	s_cmp_eq_u64 s[42:43], 0
	s_cselect_b64 s[44:45], -1, 0
	s_or_b64 s[44:45], s[0:1], s[44:45]
	s_add_u32 s42, s42, -1
	s_addc_u32 s43, s43, -1
	s_and_b64 s[44:45], exec, s[44:45]
	s_or_b64 s[14:15], s[44:45], s[14:15]
	s_andn2_b64 s[40:41], s[40:41], exec
	s_and_b64 s[0:1], s[0:1], exec
	s_or_b64 s[40:41], s[40:41], s[0:1]
	s_andn2_b64 exec, exec, s[14:15]
	s_cbranch_execnz .LBB1075_94
; %bb.95:
	s_or_b64 exec, exec, s[14:15]
	v_mov_b64_e32 v[20:21], s[28:29]
	v_mad_u64_u32 v[20:21], s[0:1], v6, s26, v[20:21]
	v_mul_lo_u32 v22, v6, s27
	v_mul_lo_u32 v23, v7, s26
	v_add3_u32 v21, v23, v21, v22
	s_mov_b64 s[42:43], 0
                                        ; implicit-def: $sgpr14_sgpr15
.LBB1075_96:                            ; =>This Inner Loop Header: Depth=1
	global_load_ubyte v22, v[20:21], off
	global_load_ubyte v23, v[16:17], off
	v_lshl_add_u64 v[20:21], v[20:21], 0, 1
	v_lshl_add_u64 v[16:17], v[16:17], 0, 1
	s_waitcnt vmcnt(1)
	v_cmp_ne_u16_e32 vcc, 0, v22
	s_waitcnt vmcnt(0)
	v_cmp_ne_u16_e64 s[0:1], 0, v23
	s_xor_b64 s[0:1], vcc, s[0:1]
	s_cmp_eq_u64 s[38:39], 0
	s_cselect_b64 s[44:45], -1, 0
	s_or_b64 s[44:45], s[0:1], s[44:45]
	s_add_u32 s38, s38, -1
	s_addc_u32 s39, s39, -1
	s_and_b64 s[44:45], exec, s[44:45]
	s_or_b64 s[42:43], s[44:45], s[42:43]
	s_andn2_b64 s[14:15], s[14:15], exec
	s_and_b64 s[0:1], s[0:1], exec
	s_or_b64 s[14:15], s[14:15], s[0:1]
	s_andn2_b64 exec, exec, s[42:43]
	s_cbranch_execnz .LBB1075_96
; %bb.97:
	s_or_b64 exec, exec, s[42:43]
	v_cndmask_b32_e64 v17, 0, 1, s[40:41]
	s_and_b64 vcc, exec, s[4:5]
	s_cbranch_vccz .LBB1075_101
.LBB1075_98:
	v_mov_b32_e32 v41, 0
	s_mov_b64 s[42:43], 0
	s_branch .LBB1075_106
.LBB1075_99:
                                        ; implicit-def: $sgpr12_sgpr13
                                        ; implicit-def: $vgpr19
                                        ; implicit-def: $vgpr40
                                        ; implicit-def: $vgpr17
                                        ; implicit-def: $vgpr22
                                        ; implicit-def: $vgpr42
                                        ; implicit-def: $vgpr41
                                        ; implicit-def: $vgpr20
	s_cbranch_execnz .LBB1075_113
	s_branch .LBB1075_144
.LBB1075_100:
	v_mov_b32_e32 v17, 0
	s_mov_b64 s[14:15], 0
	s_and_b64 vcc, exec, s[4:5]
	s_cbranch_vccnz .LBB1075_98
.LBB1075_101:
	v_mov_b64_e32 v[22:23], s[28:29]
	s_waitcnt vmcnt(0) lgkmcnt(1)
	v_mad_u64_u32 v[20:21], s[0:1], v12, s26, v[22:23]
	v_mul_lo_u32 v16, v12, s27
	v_mul_lo_u32 v24, v13, s26
	s_add_u32 s38, s26, -1
	v_add3_u32 v21, v24, v21, v16
	v_mad_u64_u32 v[22:23], s[0:1], v6, s26, v[22:23]
	v_mul_lo_u32 v16, v6, s27
	v_mul_lo_u32 v24, v7, s26
	s_addc_u32 s39, s27, -1
	v_add3_u32 v23, v24, v23, v16
	s_mov_b64 s[42:43], 0
	s_mov_b64 s[44:45], s[38:39]
	v_mov_b64_e32 v[24:25], v[20:21]
                                        ; implicit-def: $sgpr40_sgpr41
.LBB1075_102:                           ; =>This Inner Loop Header: Depth=1
	global_load_ubyte v16, v[24:25], off
	global_load_ubyte v27, v[22:23], off
	v_lshl_add_u64 v[24:25], v[24:25], 0, 1
	v_lshl_add_u64 v[22:23], v[22:23], 0, 1
	s_waitcnt vmcnt(1)
	v_cmp_ne_u16_e32 vcc, 0, v16
	s_waitcnt vmcnt(0)
	v_cmp_ne_u16_e64 s[0:1], 0, v27
	s_xor_b64 s[0:1], vcc, s[0:1]
	s_cmp_eq_u64 s[44:45], 0
	s_cselect_b64 s[46:47], -1, 0
	s_or_b64 s[46:47], s[0:1], s[46:47]
	s_add_u32 s44, s44, -1
	s_addc_u32 s45, s45, -1
	s_and_b64 s[46:47], exec, s[46:47]
	s_or_b64 s[42:43], s[46:47], s[42:43]
	s_andn2_b64 s[40:41], s[40:41], exec
	s_and_b64 s[0:1], s[0:1], exec
	s_or_b64 s[40:41], s[40:41], s[0:1]
	s_andn2_b64 exec, exec, s[42:43]
	s_cbranch_execnz .LBB1075_102
; %bb.103:
	s_or_b64 exec, exec, s[42:43]
	v_mov_b64_e32 v[22:23], s[28:29]
	v_mad_u64_u32 v[22:23], s[0:1], v10, s26, v[22:23]
	v_mul_lo_u32 v16, v10, s27
	v_mul_lo_u32 v24, v11, s26
	v_add3_u32 v23, v24, v23, v16
	s_mov_b64 s[44:45], 0
                                        ; implicit-def: $sgpr42_sgpr43
.LBB1075_104:                           ; =>This Inner Loop Header: Depth=1
	global_load_ubyte v16, v[22:23], off
	global_load_ubyte v24, v[20:21], off
	v_lshl_add_u64 v[22:23], v[22:23], 0, 1
	v_lshl_add_u64 v[20:21], v[20:21], 0, 1
	s_waitcnt vmcnt(1)
	v_cmp_ne_u16_e32 vcc, 0, v16
	s_waitcnt vmcnt(0)
	v_cmp_ne_u16_e64 s[0:1], 0, v24
	s_xor_b64 s[0:1], vcc, s[0:1]
	s_cmp_eq_u64 s[38:39], 0
	s_cselect_b64 s[46:47], -1, 0
	s_or_b64 s[46:47], s[0:1], s[46:47]
	s_add_u32 s38, s38, -1
	s_addc_u32 s39, s39, -1
	s_and_b64 s[46:47], exec, s[46:47]
	s_or_b64 s[44:45], s[46:47], s[44:45]
	s_andn2_b64 s[42:43], s[42:43], exec
	s_and_b64 s[0:1], s[0:1], exec
	s_or_b64 s[42:43], s[42:43], s[0:1]
	s_andn2_b64 exec, exec, s[44:45]
	s_cbranch_execnz .LBB1075_104
; %bb.105:
	s_or_b64 exec, exec, s[44:45]
	v_cndmask_b32_e64 v41, 0, 1, s[40:41]
.LBB1075_106:
	v_cndmask_b32_e64 v40, 0, 1, s[12:13]
	s_waitcnt vmcnt(0) lgkmcnt(1)
	v_cndmask_b32_e64 v20, 0, 1, s[14:15]
	v_cndmask_b32_e64 v42, 0, 1, s[42:43]
	v_mov_b32_e32 v16, 1
	s_waitcnt lgkmcnt(0)
	s_barrier
                                        ; implicit-def: $sgpr12_sgpr13
                                        ; implicit-def: $vgpr22
	s_and_saveexec_b64 s[0:1], s[2:3]
	s_xor_b64 s[14:15], exec, s[0:1]
	s_cbranch_execz .LBB1075_112
; %bb.107:
	v_lshlrev_b16_e32 v21, 8, v42
	v_lshlrev_b16_e32 v22, 8, v20
	v_or_b32_e32 v21, 1, v21
	v_or_b32_sdwa v22, v41, v22 dst_sel:WORD_1 dst_unused:UNUSED_PAD src0_sel:DWORD src1_sel:DWORD
	s_mov_b32 s40, 0x3020104
	v_or_b32_sdwa v21, v21, v22 dst_sel:DWORD dst_unused:UNUSED_PAD src0_sel:WORD_0 src1_sel:DWORD
	s_and_b64 vcc, exec, s[4:5]
	s_mov_b64 s[12:13], 0
	s_cbranch_vccnz .LBB1075_111
; %bb.108:
	v_add_u32_e32 v22, -8, v26
	ds_read_b64 v[22:23], v22
	v_mov_b64_e32 v[24:25], s[28:29]
	s_add_u32 s4, s26, -1
	s_addc_u32 s5, s27, -1
	s_mov_b64 s[38:39], 0
	s_waitcnt lgkmcnt(0)
	v_mul_lo_u32 v27, v22, s27
	v_mul_lo_u32 v28, v23, s26
	v_mad_u64_u32 v[22:23], s[0:1], v22, s26, v[24:25]
	v_add3_u32 v23, v28, v23, v27
	v_mad_u64_u32 v[24:25], s[0:1], v10, s26, v[24:25]
	v_mul_lo_u32 v27, v10, s27
	v_mul_lo_u32 v28, v11, s26
	v_add3_u32 v25, v28, v25, v27
                                        ; implicit-def: $sgpr12_sgpr13
.LBB1075_109:                           ; =>This Inner Loop Header: Depth=1
	global_load_ubyte v27, v[22:23], off
	global_load_ubyte v28, v[24:25], off
	v_lshl_add_u64 v[22:23], v[22:23], 0, 1
	v_lshl_add_u64 v[24:25], v[24:25], 0, 1
	s_waitcnt vmcnt(1)
	v_cmp_ne_u16_e32 vcc, 0, v27
	s_waitcnt vmcnt(0)
	v_cmp_ne_u16_e64 s[0:1], 0, v28
	s_xor_b64 s[0:1], vcc, s[0:1]
	s_cmp_eq_u64 s[4:5], 0
	s_cselect_b64 s[42:43], -1, 0
	s_or_b64 s[42:43], s[0:1], s[42:43]
	s_add_u32 s4, s4, -1
	s_addc_u32 s5, s5, -1
	s_and_b64 s[42:43], exec, s[42:43]
	s_or_b64 s[38:39], s[42:43], s[38:39]
	s_andn2_b64 s[12:13], s[12:13], exec
	s_and_b64 s[0:1], s[0:1], exec
	s_or_b64 s[12:13], s[12:13], s[0:1]
	s_andn2_b64 exec, exec, s[38:39]
	s_cbranch_execnz .LBB1075_109
; %bb.110:
	s_or_b64 exec, exec, s[38:39]
.LBB1075_111:
	v_perm_b32 v22, v21, v21, s40
	s_or_b64 s[10:11], s[10:11], exec
.LBB1075_112:
	s_or_b64 exec, exec, s[14:15]
	s_branch .LBB1075_144
.LBB1075_113:
	v_add_u32_e32 v16, 6, v1
	v_cmp_gt_u32_e32 vcc, s50, v16
	s_xor_b64 s[4:5], s[6:7], -1
	s_and_b64 s[0:1], vcc, s[4:5]
	s_mov_b64 s[6:7], 0
	v_mul_lo_u32 v19, v4, s27
	v_mul_lo_u32 v22, v5, s26
	s_and_saveexec_b64 s[12:13], s[0:1]
	s_cbranch_execz .LBB1075_117
; %bb.114:
	s_waitcnt vmcnt(0) lgkmcnt(1)
	v_mov_b64_e32 v[20:21], s[28:29]
	v_mad_u64_u32 v[16:17], s[0:1], v4, s26, v[20:21]
	v_mad_u64_u32 v[20:21], s[0:1], v14, s26, v[20:21]
	v_mul_lo_u32 v23, v14, s27
	v_mul_lo_u32 v24, v15, s26
	s_add_u32 s6, s26, -1
	v_add3_u32 v17, v22, v17, v19
	v_add3_u32 v21, v24, v21, v23
	s_addc_u32 s7, s27, -1
	s_mov_b64 s[14:15], 0
                                        ; implicit-def: $sgpr38_sgpr39
.LBB1075_115:                           ; =>This Inner Loop Header: Depth=1
	global_load_ubyte v23, v[16:17], off
	global_load_ubyte v24, v[20:21], off
	v_lshl_add_u64 v[16:17], v[16:17], 0, 1
	v_lshl_add_u64 v[20:21], v[20:21], 0, 1
	s_waitcnt vmcnt(1)
	v_cmp_ne_u16_e32 vcc, 0, v23
	s_waitcnt vmcnt(0)
	v_cmp_ne_u16_e64 s[0:1], 0, v24
	s_xor_b64 s[0:1], vcc, s[0:1]
	s_cmp_eq_u64 s[6:7], 0
	s_cselect_b64 s[40:41], -1, 0
	s_or_b64 s[40:41], s[0:1], s[40:41]
	s_add_u32 s6, s6, -1
	s_addc_u32 s7, s7, -1
	s_and_b64 s[40:41], exec, s[40:41]
	s_or_b64 s[14:15], s[40:41], s[14:15]
	s_andn2_b64 s[38:39], s[38:39], exec
	s_and_b64 s[0:1], s[0:1], exec
	s_or_b64 s[38:39], s[38:39], s[0:1]
	s_andn2_b64 exec, exec, s[14:15]
	s_cbranch_execnz .LBB1075_115
; %bb.116:
	s_or_b64 exec, exec, s[14:15]
	s_and_b64 s[6:7], s[38:39], exec
.LBB1075_117:
	s_or_b64 exec, exec, s[12:13]
	v_add_u32_e32 v16, 5, v1
	v_cmp_gt_u32_e32 vcc, s50, v16
	s_and_b64 s[0:1], vcc, s[4:5]
	s_mov_b64 s[12:13], 0
	v_mul_lo_u32 v23, v2, s27
	s_waitcnt lgkmcnt(1)
	v_mul_lo_u32 v24, v3, s26
	s_and_saveexec_b64 s[14:15], s[0:1]
	s_cbranch_execz .LBB1075_121
; %bb.118:
	s_waitcnt vmcnt(0)
	v_mov_b64_e32 v[20:21], s[28:29]
	v_mad_u64_u32 v[16:17], s[0:1], v2, s26, v[20:21]
	v_mad_u64_u32 v[20:21], s[0:1], v4, s26, v[20:21]
	s_add_u32 s12, s26, -1
	v_add3_u32 v17, v24, v17, v23
	v_add3_u32 v21, v22, v21, v19
	s_addc_u32 s13, s27, -1
	s_mov_b64 s[38:39], 0
                                        ; implicit-def: $sgpr40_sgpr41
.LBB1075_119:                           ; =>This Inner Loop Header: Depth=1
	global_load_ubyte v19, v[16:17], off
	global_load_ubyte v22, v[20:21], off
	v_lshl_add_u64 v[16:17], v[16:17], 0, 1
	v_lshl_add_u64 v[20:21], v[20:21], 0, 1
	s_waitcnt vmcnt(1)
	v_cmp_ne_u16_e32 vcc, 0, v19
	s_waitcnt vmcnt(0)
	v_cmp_ne_u16_e64 s[0:1], 0, v22
	s_xor_b64 s[0:1], vcc, s[0:1]
	s_cmp_eq_u64 s[12:13], 0
	s_cselect_b64 s[42:43], -1, 0
	s_or_b64 s[42:43], s[0:1], s[42:43]
	s_add_u32 s12, s12, -1
	s_addc_u32 s13, s13, -1
	s_and_b64 s[42:43], exec, s[42:43]
	s_or_b64 s[38:39], s[42:43], s[38:39]
	s_andn2_b64 s[40:41], s[40:41], exec
	s_and_b64 s[0:1], s[0:1], exec
	s_or_b64 s[40:41], s[40:41], s[0:1]
	s_andn2_b64 exec, exec, s[38:39]
	s_cbranch_execnz .LBB1075_119
; %bb.120:
	s_or_b64 exec, exec, s[38:39]
	s_and_b64 s[12:13], s[40:41], exec
.LBB1075_121:
	s_or_b64 exec, exec, s[14:15]
	v_add_u32_e32 v16, 4, v1
	v_cmp_gt_u32_e32 vcc, s50, v16
	s_and_b64 s[0:1], vcc, s[4:5]
	s_mov_b64 s[14:15], 0
	v_mul_lo_u32 v19, v8, s27
	v_mul_lo_u32 v25, v9, s26
	s_and_saveexec_b64 s[38:39], s[0:1]
	s_cbranch_execz .LBB1075_125
; %bb.122:
	s_waitcnt vmcnt(0)
	v_mov_b64_e32 v[20:21], s[28:29]
	v_mad_u64_u32 v[16:17], s[0:1], v8, s26, v[20:21]
	v_mad_u64_u32 v[20:21], s[0:1], v2, s26, v[20:21]
	s_add_u32 s14, s26, -1
	v_add3_u32 v17, v25, v17, v19
	v_add3_u32 v21, v24, v21, v23
	s_addc_u32 s15, s27, -1
	s_mov_b64 s[40:41], 0
                                        ; implicit-def: $sgpr42_sgpr43
.LBB1075_123:                           ; =>This Inner Loop Header: Depth=1
	global_load_ubyte v22, v[16:17], off
	global_load_ubyte v23, v[20:21], off
	v_lshl_add_u64 v[16:17], v[16:17], 0, 1
	v_lshl_add_u64 v[20:21], v[20:21], 0, 1
	s_waitcnt vmcnt(1)
	v_cmp_ne_u16_e32 vcc, 0, v22
	s_waitcnt vmcnt(0)
	v_cmp_ne_u16_e64 s[0:1], 0, v23
	s_xor_b64 s[0:1], vcc, s[0:1]
	s_cmp_eq_u64 s[14:15], 0
	s_cselect_b64 s[44:45], -1, 0
	s_or_b64 s[44:45], s[0:1], s[44:45]
	s_add_u32 s14, s14, -1
	s_addc_u32 s15, s15, -1
	s_and_b64 s[44:45], exec, s[44:45]
	s_or_b64 s[40:41], s[44:45], s[40:41]
	s_andn2_b64 s[42:43], s[42:43], exec
	s_and_b64 s[0:1], s[0:1], exec
	s_or_b64 s[42:43], s[42:43], s[0:1]
	s_andn2_b64 exec, exec, s[40:41]
	s_cbranch_execnz .LBB1075_123
; %bb.124:
	s_or_b64 exec, exec, s[40:41]
	s_and_b64 s[14:15], s[42:43], exec
.LBB1075_125:
	s_or_b64 exec, exec, s[38:39]
	v_add_u32_e32 v16, 3, v1
	v_cmp_gt_u32_e32 vcc, s50, v16
	s_and_b64 s[0:1], vcc, s[4:5]
	s_mov_b64 s[38:39], 0
	v_mul_lo_u32 v22, v6, s27
	v_mul_lo_u32 v24, v7, s26
	s_and_saveexec_b64 s[40:41], s[0:1]
	s_cbranch_execz .LBB1075_129
; %bb.126:
	s_waitcnt vmcnt(0)
	v_mov_b64_e32 v[20:21], s[28:29]
	v_mad_u64_u32 v[16:17], s[0:1], v6, s26, v[20:21]
	v_mad_u64_u32 v[20:21], s[0:1], v8, s26, v[20:21]
	s_add_u32 s38, s26, -1
	v_add3_u32 v17, v24, v17, v22
	v_add3_u32 v21, v25, v21, v19
	s_addc_u32 s39, s27, -1
	s_mov_b64 s[42:43], 0
                                        ; implicit-def: $sgpr44_sgpr45
.LBB1075_127:                           ; =>This Inner Loop Header: Depth=1
	global_load_ubyte v19, v[16:17], off
	global_load_ubyte v23, v[20:21], off
	v_lshl_add_u64 v[16:17], v[16:17], 0, 1
	v_lshl_add_u64 v[20:21], v[20:21], 0, 1
	s_waitcnt vmcnt(1)
	v_cmp_ne_u16_e32 vcc, 0, v19
	s_waitcnt vmcnt(0)
	v_cmp_ne_u16_e64 s[0:1], 0, v23
	s_xor_b64 s[0:1], vcc, s[0:1]
	s_cmp_eq_u64 s[38:39], 0
	s_cselect_b64 s[46:47], -1, 0
	s_or_b64 s[46:47], s[0:1], s[46:47]
	s_add_u32 s38, s38, -1
	s_addc_u32 s39, s39, -1
	s_and_b64 s[46:47], exec, s[46:47]
	s_or_b64 s[42:43], s[46:47], s[42:43]
	s_andn2_b64 s[44:45], s[44:45], exec
	s_and_b64 s[0:1], s[0:1], exec
	s_or_b64 s[44:45], s[44:45], s[0:1]
	s_andn2_b64 exec, exec, s[42:43]
	s_cbranch_execnz .LBB1075_127
; %bb.128:
	s_or_b64 exec, exec, s[42:43]
	s_and_b64 s[38:39], s[44:45], exec
.LBB1075_129:
	s_or_b64 exec, exec, s[40:41]
	v_add_u32_e32 v16, 2, v1
	v_cmp_gt_u32_e32 vcc, s50, v16
	s_and_b64 s[0:1], vcc, s[4:5]
	s_mov_b64 s[40:41], 0
	v_mul_lo_u32 v19, v12, s27
	v_mul_lo_u32 v23, v13, s26
	s_and_saveexec_b64 s[42:43], s[0:1]
	s_cbranch_execz .LBB1075_133
; %bb.130:
	s_waitcnt vmcnt(0)
	v_mov_b64_e32 v[20:21], s[28:29]
	v_mad_u64_u32 v[16:17], s[0:1], v12, s26, v[20:21]
	v_mad_u64_u32 v[20:21], s[0:1], v6, s26, v[20:21]
	s_add_u32 s40, s26, -1
	v_add3_u32 v17, v23, v17, v19
	v_add3_u32 v21, v24, v21, v22
	s_addc_u32 s41, s27, -1
	s_mov_b64 s[44:45], 0
                                        ; implicit-def: $sgpr46_sgpr47
.LBB1075_131:                           ; =>This Inner Loop Header: Depth=1
	global_load_ubyte v22, v[16:17], off
	global_load_ubyte v24, v[20:21], off
	v_lshl_add_u64 v[16:17], v[16:17], 0, 1
	v_lshl_add_u64 v[20:21], v[20:21], 0, 1
	s_waitcnt vmcnt(1)
	v_cmp_ne_u16_e32 vcc, 0, v22
	s_waitcnt vmcnt(0)
	v_cmp_ne_u16_e64 s[0:1], 0, v24
	s_xor_b64 s[0:1], vcc, s[0:1]
	s_cmp_eq_u64 s[40:41], 0
	s_cselect_b64 s[48:49], -1, 0
	s_or_b64 s[48:49], s[0:1], s[48:49]
	s_add_u32 s40, s40, -1
	s_addc_u32 s41, s41, -1
	s_and_b64 s[48:49], exec, s[48:49]
	s_or_b64 s[44:45], s[48:49], s[44:45]
	s_andn2_b64 s[46:47], s[46:47], exec
	s_and_b64 s[0:1], s[0:1], exec
	s_or_b64 s[46:47], s[46:47], s[0:1]
	s_andn2_b64 exec, exec, s[44:45]
	s_cbranch_execnz .LBB1075_131
; %bb.132:
	s_or_b64 exec, exec, s[44:45]
	s_and_b64 s[40:41], s[46:47], exec
.LBB1075_133:
	s_or_b64 exec, exec, s[42:43]
	v_add_u32_e32 v16, 1, v1
	v_cmp_gt_u32_e32 vcc, s50, v16
	s_and_b64 s[44:45], vcc, s[4:5]
	s_mov_b64 s[0:1], 0
	s_and_saveexec_b64 s[42:43], s[44:45]
	s_cbranch_execz .LBB1075_137
; %bb.134:
	s_waitcnt vmcnt(0)
	v_mov_b64_e32 v[20:21], s[28:29]
	v_mad_u64_u32 v[16:17], s[0:1], v10, s26, v[20:21]
	v_mul_lo_u32 v22, v10, s27
	v_mul_lo_u32 v24, v11, s26
	v_mad_u64_u32 v[20:21], s[0:1], v12, s26, v[20:21]
	s_add_u32 s44, s26, -1
	v_add3_u32 v17, v24, v17, v22
	v_add3_u32 v21, v23, v21, v19
	s_addc_u32 s45, s27, -1
	s_mov_b64 s[46:47], 0
                                        ; implicit-def: $sgpr48_sgpr49
.LBB1075_135:                           ; =>This Inner Loop Header: Depth=1
	global_load_ubyte v19, v[16:17], off
	global_load_ubyte v22, v[20:21], off
	v_lshl_add_u64 v[16:17], v[16:17], 0, 1
	v_lshl_add_u64 v[20:21], v[20:21], 0, 1
	s_waitcnt vmcnt(1)
	v_cmp_ne_u16_e32 vcc, 0, v19
	s_waitcnt vmcnt(0)
	v_cmp_ne_u16_e64 s[0:1], 0, v22
	s_xor_b64 s[0:1], vcc, s[0:1]
	s_cmp_eq_u64 s[44:45], 0
	s_cselect_b64 s[52:53], -1, 0
	s_or_b64 s[52:53], s[0:1], s[52:53]
	s_add_u32 s44, s44, -1
	s_addc_u32 s45, s45, -1
	s_and_b64 s[52:53], exec, s[52:53]
	s_or_b64 s[46:47], s[52:53], s[46:47]
	s_andn2_b64 s[48:49], s[48:49], exec
	s_and_b64 s[0:1], s[0:1], exec
	s_or_b64 s[48:49], s[48:49], s[0:1]
	s_andn2_b64 exec, exec, s[46:47]
	s_cbranch_execnz .LBB1075_135
; %bb.136:
	s_or_b64 exec, exec, s[46:47]
	s_and_b64 s[0:1], s[48:49], exec
.LBB1075_137:
	s_or_b64 exec, exec, s[42:43]
	v_cndmask_b32_e64 v17, 0, 1, s[14:15]
	v_cndmask_b32_e64 v40, 0, 1, s[12:13]
	;; [unrolled: 1-line block ×4, first 2 shown]
	s_waitcnt vmcnt(0)
	v_cndmask_b32_e64 v20, 0, 1, s[38:39]
	v_cndmask_b32_e64 v42, 0, 1, s[0:1]
	v_mov_b32_e32 v16, 1
	s_waitcnt lgkmcnt(0)
	s_barrier
                                        ; implicit-def: $sgpr12_sgpr13
                                        ; implicit-def: $vgpr22
	s_and_saveexec_b64 s[6:7], s[2:3]
	s_cbranch_execz .LBB1075_143
; %bb.138:
	v_lshlrev_b16_e32 v21, 8, v42
	v_lshlrev_b16_e32 v22, 8, v20
	v_or_b32_e32 v21, 1, v21
	v_or_b32_sdwa v22, v41, v22 dst_sel:WORD_1 dst_unused:UNUSED_PAD src0_sel:DWORD src1_sel:DWORD
	v_cmp_gt_u32_e32 vcc, s50, v1
	v_or_b32_sdwa v21, v21, v22 dst_sel:DWORD dst_unused:UNUSED_PAD src0_sel:WORD_0 src1_sel:DWORD
	s_and_b64 s[0:1], vcc, s[4:5]
	s_mov_b32 s38, 0x3020104
	s_mov_b64 s[12:13], 0
	s_and_saveexec_b64 s[2:3], s[0:1]
	s_cbranch_execz .LBB1075_142
; %bb.139:
	v_add_u32_e32 v22, -8, v26
	ds_read_b64 v[22:23], v22
	v_mov_b64_e32 v[24:25], s[28:29]
	s_add_u32 s4, s26, -1
	s_addc_u32 s5, s27, -1
                                        ; implicit-def: $sgpr14_sgpr15
	s_waitcnt lgkmcnt(0)
	v_mul_lo_u32 v26, v22, s27
	v_mul_lo_u32 v27, v23, s26
	v_mad_u64_u32 v[22:23], s[0:1], v22, s26, v[24:25]
	v_add3_u32 v23, v27, v23, v26
	v_mad_u64_u32 v[24:25], s[0:1], v10, s26, v[24:25]
	v_mul_lo_u32 v26, v10, s27
	v_mul_lo_u32 v27, v11, s26
	v_add3_u32 v25, v27, v25, v26
.LBB1075_140:                           ; =>This Inner Loop Header: Depth=1
	global_load_ubyte v26, v[22:23], off
	global_load_ubyte v27, v[24:25], off
	v_lshl_add_u64 v[22:23], v[22:23], 0, 1
	v_lshl_add_u64 v[24:25], v[24:25], 0, 1
	s_waitcnt vmcnt(1)
	v_cmp_ne_u16_e32 vcc, 0, v26
	s_waitcnt vmcnt(0)
	v_cmp_ne_u16_e64 s[0:1], 0, v27
	s_xor_b64 s[0:1], vcc, s[0:1]
	s_cmp_eq_u64 s[4:5], 0
	s_cselect_b64 s[26:27], -1, 0
	s_or_b64 s[26:27], s[0:1], s[26:27]
	s_add_u32 s4, s4, -1
	s_addc_u32 s5, s5, -1
	s_and_b64 s[26:27], exec, s[26:27]
	s_or_b64 s[12:13], s[26:27], s[12:13]
	s_andn2_b64 s[14:15], s[14:15], exec
	s_and_b64 s[0:1], s[0:1], exec
	s_or_b64 s[14:15], s[14:15], s[0:1]
	s_andn2_b64 exec, exec, s[12:13]
	s_cbranch_execnz .LBB1075_140
; %bb.141:
	s_or_b64 exec, exec, s[12:13]
	s_and_b64 s[12:13], s[14:15], exec
.LBB1075_142:
	s_or_b64 exec, exec, s[2:3]
	v_perm_b32 v22, v21, v21, s38
	s_or_b64 s[10:11], s[10:11], exec
.LBB1075_143:
	s_or_b64 exec, exec, s[6:7]
.LBB1075_144:
	s_and_saveexec_b64 s[0:1], s[10:11]
	s_cbranch_execz .LBB1075_146
; %bb.145:
	s_waitcnt vmcnt(0) lgkmcnt(0)
	v_lshrrev_b32_e32 v20, 24, v22
	v_lshrrev_b32_e32 v41, 16, v22
	;; [unrolled: 1-line block ×3, first 2 shown]
	v_cndmask_b32_e64 v16, 0, 1, s[12:13]
.LBB1075_146:
	s_or_b64 exec, exec, s[0:1]
	s_andn2_b64 vcc, exec, s[8:9]
	s_cbranch_vccnz .LBB1075_150
; %bb.147:
	s_mov_b32 s0, 0xc0c0004
	s_waitcnt vmcnt(0) lgkmcnt(0)
	v_perm_b32 v20, v41, v20, s0
	v_perm_b32 v16, v16, v42, s0
	v_lshlrev_b32_e32 v20, 16, v20
	v_or_b32_e32 v16, v16, v20
	v_cmp_gt_u32_e32 vcc, s50, v1
	v_add_u32_e32 v22, 1, v1
	v_perm_b32 v17, v17, v40, s0
	v_cndmask_b32_e32 v20, v20, v16, vcc
	v_and_b32_e32 v20, 0xffff00ff, v20
	v_cmp_gt_u32_e32 vcc, s50, v22
	v_add_u32_e32 v22, 2, v1
	s_mov_b32 s0, 0x40c0100
	v_cndmask_b32_e32 v20, v20, v16, vcc
	v_lshrrev_b32_e32 v23, 24, v20
	v_and_b32_e32 v19, 0xff, v19
	v_perm_b32 v20, v23, v20, s0
	v_cmp_gt_u32_e32 vcc, s50, v22
	v_lshlrev_b32_e32 v19, 16, v19
	v_add_u32_e32 v22, 3, v1
	v_cndmask_b32_e32 v20, v20, v16, vcc
	s_mov_b32 s0, 0xffff00
	v_or_b32_e32 v21, v17, v19
	v_and_b32_e32 v20, 0xffffff, v20
	v_cmp_gt_u32_e32 vcc, s50, v22
	v_bitop3_b32 v17, v17, s0, v19 bitop3:0xc8
	v_add_u32_e32 v19, 4, v1
	v_cndmask_b32_e32 v20, v20, v16, vcc
	v_cmp_gt_u32_e32 vcc, s50, v19
	v_add_u32_e32 v19, 5, v1
	v_cmp_gt_u32_e64 s[0:1], s50, v19
	v_cndmask_b32_e32 v17, v17, v21, vcc
	v_and_b32_e32 v17, 0xffff00ff, v17
	s_or_b64 vcc, s[0:1], vcc
	v_cndmask_b32_e64 v17, v17, v21, s[0:1]
	v_cndmask_b32_e32 v16, v20, v16, vcc
	v_add_u32_e32 v1, 6, v1
	v_lshrrev_b32_e32 v41, 16, v16
	v_lshrrev_b32_e32 v42, 8, v16
	v_lshrrev_b64 v[20:21], 24, v[16:17]
	v_lshrrev_b32_e32 v19, 16, v17
	v_lshrrev_b32_e32 v40, 8, v17
	v_cmp_le_u32_e32 vcc, s50, v1
	s_and_saveexec_b64 s[0:1], vcc
; %bb.148:
	v_mov_b32_e32 v19, 0
; %bb.149:
	s_or_b64 exec, exec, s[0:1]
.LBB1075_150:
	v_and_b32_e32 v1, 0xff, v16
	s_waitcnt vmcnt(0) lgkmcnt(0)
	v_and_b32_e32 v21, 0xff, v42
	v_and_b32_e32 v33, 0xff, v41
	;; [unrolled: 1-line block ×4, first 2 shown]
	v_add3_u32 v23, v21, v1, v33
	v_and_b32_e32 v39, 0xff, v40
	v_and_b32_e32 v22, 0xff, v19
	v_add3_u32 v23, v23, v35, v37
	v_add3_u32 v45, v23, v39, v22
	v_mbcnt_lo_u32_b32 v22, -1, 0
	v_mbcnt_hi_u32_b32 v43, -1, v22
	v_and_b32_e32 v22, 15, v43
	v_cmp_eq_u32_e64 s[14:15], 0, v22
	v_cmp_lt_u32_e64 s[12:13], 1, v22
	v_cmp_lt_u32_e64 s[10:11], 3, v22
	;; [unrolled: 1-line block ×3, first 2 shown]
	v_and_b32_e32 v22, 16, v43
	v_cmp_eq_u32_e64 s[6:7], 0, v22
	v_or_b32_e32 v22, 63, v0
	v_cmp_lt_u32_e64 s[2:3], 31, v43
	v_lshrrev_b32_e32 v44, 6, v0
	v_cmp_eq_u32_e64 s[4:5], v0, v22
	s_and_b64 vcc, exec, s[16:17]
	s_barrier
	s_cbranch_vccz .LBB1075_172
; %bb.151:
	v_mov_b32_dpp v22, v45 row_shr:1 row_mask:0xf bank_mask:0xf
	v_cndmask_b32_e64 v22, v22, 0, s[14:15]
	v_add_u32_e32 v22, v22, v45
	s_nop 1
	v_mov_b32_dpp v23, v22 row_shr:2 row_mask:0xf bank_mask:0xf
	v_cndmask_b32_e64 v23, 0, v23, s[12:13]
	v_add_u32_e32 v22, v22, v23
	s_nop 1
	;; [unrolled: 4-line block ×4, first 2 shown]
	v_mov_b32_dpp v23, v22 row_bcast:15 row_mask:0xf bank_mask:0xf
	v_cndmask_b32_e64 v23, v23, 0, s[6:7]
	v_add_u32_e32 v22, v22, v23
	s_nop 1
	v_mov_b32_dpp v23, v22 row_bcast:31 row_mask:0xf bank_mask:0xf
	v_cndmask_b32_e64 v23, 0, v23, s[2:3]
	v_add_u32_e32 v22, v22, v23
	s_and_saveexec_b64 s[0:1], s[4:5]
; %bb.152:
	v_lshlrev_b32_e32 v23, 2, v44
	ds_write_b32 v23, v22
; %bb.153:
	s_or_b64 exec, exec, s[0:1]
	v_cmp_gt_u32_e32 vcc, 8, v0
	s_waitcnt lgkmcnt(0)
	s_barrier
	s_and_saveexec_b64 s[0:1], vcc
	s_cbranch_execz .LBB1075_155
; %bb.154:
	v_lshlrev_b32_e32 v23, 2, v0
	ds_read_b32 v24, v23
	v_and_b32_e32 v25, 7, v43
	v_cmp_ne_u32_e32 vcc, 0, v25
	s_waitcnt lgkmcnt(0)
	v_mov_b32_dpp v26, v24 row_shr:1 row_mask:0xf bank_mask:0xf
	v_cndmask_b32_e32 v26, 0, v26, vcc
	v_add_u32_e32 v24, v26, v24
	v_cmp_lt_u32_e32 vcc, 1, v25
	s_nop 0
	v_mov_b32_dpp v26, v24 row_shr:2 row_mask:0xf bank_mask:0xf
	v_cndmask_b32_e32 v26, 0, v26, vcc
	v_add_u32_e32 v24, v24, v26
	v_cmp_lt_u32_e32 vcc, 3, v25
	s_nop 0
	v_mov_b32_dpp v26, v24 row_shr:4 row_mask:0xf bank_mask:0xf
	v_cndmask_b32_e32 v25, 0, v26, vcc
	v_add_u32_e32 v24, v24, v25
	ds_write_b32 v23, v24
.LBB1075_155:
	s_or_b64 exec, exec, s[0:1]
	v_cmp_gt_u32_e32 vcc, 64, v0
	v_cmp_lt_u32_e64 s[0:1], 63, v0
	s_waitcnt lgkmcnt(0)
	s_barrier
                                        ; implicit-def: $vgpr32
	s_and_saveexec_b64 s[16:17], s[0:1]
	s_cbranch_execz .LBB1075_157
; %bb.156:
	v_lshl_add_u32 v23, v44, 2, -4
	ds_read_b32 v32, v23
	s_waitcnt lgkmcnt(0)
	v_add_u32_e32 v22, v32, v22
.LBB1075_157:
	s_or_b64 exec, exec, s[16:17]
	v_subrev_co_u32_e64 v23, s[16:17], 1, v43
	v_and_b32_e32 v24, 64, v43
	v_cmp_lt_i32_e64 s[0:1], v23, v24
	s_nop 1
	v_cndmask_b32_e64 v23, v23, v43, s[0:1]
	v_lshlrev_b32_e32 v23, 2, v23
	ds_bpermute_b32 v34, v23, v22
	s_and_saveexec_b64 s[0:1], vcc
	s_cbranch_execz .LBB1075_177
; %bb.158:
	v_mov_b32_e32 v29, 0
	ds_read_b32 v22, v29 offset:28
	s_and_saveexec_b64 s[26:27], s[16:17]
	s_cbranch_execz .LBB1075_160
; %bb.159:
	s_add_i32 s28, s33, 64
	s_mov_b32 s29, 0
	s_lshl_b64 s[28:29], s[28:29], 3
	s_add_u32 s28, s30, s28
	v_mov_b32_e32 v23, 1
	s_addc_u32 s29, s31, s29
	s_waitcnt lgkmcnt(0)
	global_store_dwordx2 v29, v[22:23], s[28:29] sc1
.LBB1075_160:
	s_or_b64 exec, exec, s[26:27]
	v_xad_u32 v24, v43, -1, s33
	v_add_u32_e32 v28, 64, v24
	v_lshl_add_u64 v[30:31], v[28:29], 3, s[30:31]
	global_load_dwordx2 v[26:27], v[30:31], off sc1
	s_waitcnt vmcnt(0)
	v_cmp_eq_u16_sdwa s[28:29], v27, v29 src0_sel:BYTE_0 src1_sel:DWORD
	s_and_saveexec_b64 s[26:27], s[28:29]
	s_cbranch_execz .LBB1075_164
; %bb.161:
	s_mov_b64 s[28:29], 0
	v_mov_b32_e32 v23, 0
.LBB1075_162:                           ; =>This Inner Loop Header: Depth=1
	global_load_dwordx2 v[26:27], v[30:31], off sc1
	s_waitcnt vmcnt(0)
	v_cmp_ne_u16_sdwa s[38:39], v27, v23 src0_sel:BYTE_0 src1_sel:DWORD
	s_or_b64 s[28:29], s[38:39], s[28:29]
	s_andn2_b64 exec, exec, s[28:29]
	s_cbranch_execnz .LBB1075_162
; %bb.163:
	s_or_b64 exec, exec, s[28:29]
.LBB1075_164:
	s_or_b64 exec, exec, s[26:27]
	v_and_b32_e32 v38, 63, v43
	v_mov_b32_e32 v36, 2
	v_cmp_ne_u32_e32 vcc, 63, v38
	v_cmp_eq_u16_sdwa s[26:27], v27, v36 src0_sel:BYTE_0 src1_sel:DWORD
	v_lshlrev_b64 v[28:29], v43, -1
	v_addc_co_u32_e32 v30, vcc, 0, v43, vcc
	v_and_b32_e32 v23, s27, v29
	v_lshlrev_b32_e32 v46, 2, v30
	v_or_b32_e32 v23, 0x80000000, v23
	ds_bpermute_b32 v30, v46, v26
	v_and_b32_e32 v25, s26, v28
	v_ffbl_b32_e32 v23, v23
	v_add_u32_e32 v23, 32, v23
	v_ffbl_b32_e32 v25, v25
	v_min_u32_e32 v23, v25, v23
	v_cmp_lt_u32_e32 vcc, v38, v23
	v_add_u32_e32 v48, 2, v38
	v_add_u32_e32 v50, 4, v38
	s_waitcnt lgkmcnt(0)
	v_cndmask_b32_e32 v25, 0, v30, vcc
	v_cmp_gt_u32_e32 vcc, 62, v38
	v_add_u32_e32 v25, v25, v26
	v_add_u32_e32 v52, 8, v38
	v_cndmask_b32_e64 v26, 0, 2, vcc
	v_add_lshl_u32 v47, v26, v43, 2
	ds_bpermute_b32 v26, v47, v25
	v_cmp_le_u32_e32 vcc, v48, v23
	v_add_u32_e32 v54, 16, v38
	v_add_u32_e32 v56, 32, v38
	s_waitcnt lgkmcnt(0)
	v_cndmask_b32_e32 v26, 0, v26, vcc
	v_cmp_gt_u32_e32 vcc, 60, v38
	v_add_u32_e32 v25, v25, v26
	s_nop 0
	v_cndmask_b32_e64 v26, 0, 4, vcc
	v_add_lshl_u32 v49, v26, v43, 2
	ds_bpermute_b32 v26, v49, v25
	v_cmp_le_u32_e32 vcc, v50, v23
	s_waitcnt lgkmcnt(0)
	s_nop 0
	v_cndmask_b32_e32 v26, 0, v26, vcc
	v_cmp_gt_u32_e32 vcc, 56, v38
	v_add_u32_e32 v25, v25, v26
	s_nop 0
	v_cndmask_b32_e64 v26, 0, 8, vcc
	v_add_lshl_u32 v51, v26, v43, 2
	ds_bpermute_b32 v26, v51, v25
	v_cmp_le_u32_e32 vcc, v52, v23
	s_waitcnt lgkmcnt(0)
	s_nop 0
	;; [unrolled: 10-line block ×3, first 2 shown]
	v_cndmask_b32_e32 v26, 0, v26, vcc
	v_add_u32_e32 v25, v25, v26
	v_mov_b32_e32 v26, 0x80
	v_lshl_or_b32 v55, v43, 2, v26
	ds_bpermute_b32 v26, v55, v25
	v_cmp_le_u32_e32 vcc, v56, v23
	s_waitcnt lgkmcnt(0)
	s_nop 0
	v_cndmask_b32_e32 v23, 0, v26, vcc
	v_add_u32_e32 v26, v25, v23
	v_mov_b32_e32 v25, 0
	s_branch .LBB1075_167
.LBB1075_165:                           ;   in Loop: Header=BB1075_167 Depth=1
	s_or_b64 exec, exec, s[26:27]
	v_cmp_eq_u16_sdwa s[26:27], v27, v36 src0_sel:BYTE_0 src1_sel:DWORD
	ds_bpermute_b32 v57, v46, v26
	v_subrev_u32_e32 v24, 64, v24
	v_and_b32_e32 v30, s27, v29
	v_or_b32_e32 v30, 0x80000000, v30
	v_and_b32_e32 v31, s26, v28
	v_ffbl_b32_e32 v30, v30
	v_add_u32_e32 v30, 32, v30
	v_ffbl_b32_e32 v31, v31
	v_min_u32_e32 v30, v31, v30
	v_cmp_lt_u32_e32 vcc, v38, v30
	s_mov_b64 s[26:27], 0
	s_waitcnt lgkmcnt(0)
	v_cndmask_b32_e32 v31, 0, v57, vcc
	v_add_u32_e32 v26, v31, v26
	ds_bpermute_b32 v31, v47, v26
	v_cmp_le_u32_e32 vcc, v48, v30
	s_waitcnt lgkmcnt(0)
	s_nop 0
	v_cndmask_b32_e32 v31, 0, v31, vcc
	v_add_u32_e32 v26, v26, v31
	ds_bpermute_b32 v31, v49, v26
	v_cmp_le_u32_e32 vcc, v50, v30
	s_waitcnt lgkmcnt(0)
	s_nop 0
	;; [unrolled: 6-line block ×5, first 2 shown]
	v_cndmask_b32_e32 v30, 0, v31, vcc
	v_add3_u32 v26, v30, v23, v26
.LBB1075_166:                           ;   in Loop: Header=BB1075_167 Depth=1
	s_and_b64 vcc, exec, s[26:27]
	s_cbranch_vccnz .LBB1075_173
.LBB1075_167:                           ; =>This Loop Header: Depth=1
                                        ;     Child Loop BB1075_170 Depth 2
	v_cmp_ne_u16_sdwa s[26:27], v27, v36 src0_sel:BYTE_0 src1_sel:DWORD
	v_mov_b32_e32 v23, v26
	s_cmp_lg_u64 s[26:27], exec
	s_mov_b64 s[26:27], -1
                                        ; implicit-def: $vgpr26
                                        ; implicit-def: $vgpr27
	s_cbranch_scc1 .LBB1075_166
; %bb.168:                              ;   in Loop: Header=BB1075_167 Depth=1
	v_lshl_add_u64 v[30:31], v[24:25], 3, s[30:31]
	global_load_dwordx2 v[26:27], v[30:31], off sc1
	s_waitcnt vmcnt(0)
	v_cmp_eq_u16_sdwa s[28:29], v27, v25 src0_sel:BYTE_0 src1_sel:DWORD
	s_and_saveexec_b64 s[26:27], s[28:29]
	s_cbranch_execz .LBB1075_165
; %bb.169:                              ;   in Loop: Header=BB1075_167 Depth=1
	s_mov_b64 s[28:29], 0
.LBB1075_170:                           ;   Parent Loop BB1075_167 Depth=1
                                        ; =>  This Inner Loop Header: Depth=2
	global_load_dwordx2 v[26:27], v[30:31], off sc1
	s_waitcnt vmcnt(0)
	v_cmp_ne_u16_sdwa s[38:39], v27, v25 src0_sel:BYTE_0 src1_sel:DWORD
	s_or_b64 s[28:29], s[38:39], s[28:29]
	s_andn2_b64 exec, exec, s[28:29]
	s_cbranch_execnz .LBB1075_170
; %bb.171:                              ;   in Loop: Header=BB1075_167 Depth=1
	s_or_b64 exec, exec, s[28:29]
	s_branch .LBB1075_165
.LBB1075_172:
                                        ; implicit-def: $vgpr26
                                        ; implicit-def: $vgpr28
                                        ; implicit-def: $vgpr30
                                        ; implicit-def: $vgpr32
                                        ; implicit-def: $vgpr34
                                        ; implicit-def: $vgpr36
                                        ; implicit-def: $vgpr38
                                        ; implicit-def: $vgpr24
                                        ; implicit-def: $vgpr22
	s_cbranch_execnz .LBB1075_178
	s_branch .LBB1075_187
.LBB1075_173:
	s_and_saveexec_b64 s[26:27], s[16:17]
	s_cbranch_execz .LBB1075_175
; %bb.174:
	s_add_i32 s28, s33, 64
	s_mov_b32 s29, 0
	s_lshl_b64 s[28:29], s[28:29], 3
	s_add_u32 s28, s30, s28
	v_add_u32_e32 v24, v23, v22
	v_mov_b32_e32 v25, 2
	s_addc_u32 s29, s31, s29
	v_mov_b32_e32 v26, 0
	global_store_dwordx2 v26, v[24:25], s[28:29] sc1
	ds_write_b64 v26, v[22:23] offset:28672
.LBB1075_175:
	s_or_b64 exec, exec, s[26:27]
	s_and_b64 exec, exec, s[18:19]
; %bb.176:
	v_mov_b32_e32 v22, 0
	ds_write_b32 v22, v23 offset:28
.LBB1075_177:
	s_or_b64 exec, exec, s[0:1]
	v_mov_b32_e32 v22, 0
	s_waitcnt lgkmcnt(0)
	s_barrier
	ds_read_b32 v23, v22 offset:28
	v_cndmask_b32_e64 v24, v34, v32, s[16:17]
	v_cndmask_b32_e64 v24, v24, 0, s[18:19]
	s_waitcnt lgkmcnt(0)
	s_barrier
	v_add_u32_e32 v38, v23, v24
	v_add_u32_e32 v36, v38, v1
	ds_read_b64 v[22:23], v22 offset:28672
	v_add_u32_e32 v34, v36, v21
	v_add_u32_e32 v32, v34, v33
	;; [unrolled: 1-line block ×5, first 2 shown]
	s_waitcnt lgkmcnt(0)
	v_mov_b32_e32 v24, v23
	s_branch .LBB1075_187
.LBB1075_178:
	v_mov_b32_dpp v22, v45 row_shr:1 row_mask:0xf bank_mask:0xf
	v_cndmask_b32_e64 v22, v22, 0, s[14:15]
	v_add_u32_e32 v22, v22, v45
	s_nop 1
	v_mov_b32_dpp v23, v22 row_shr:2 row_mask:0xf bank_mask:0xf
	v_cndmask_b32_e64 v23, 0, v23, s[12:13]
	v_add_u32_e32 v22, v22, v23
	s_nop 1
	v_mov_b32_dpp v23, v22 row_shr:4 row_mask:0xf bank_mask:0xf
	v_cndmask_b32_e64 v23, 0, v23, s[10:11]
	v_add_u32_e32 v22, v22, v23
	s_nop 1
	v_mov_b32_dpp v23, v22 row_shr:8 row_mask:0xf bank_mask:0xf
	v_cndmask_b32_e64 v23, 0, v23, s[8:9]
	v_add_u32_e32 v22, v22, v23
	s_nop 1
	v_mov_b32_dpp v23, v22 row_bcast:15 row_mask:0xf bank_mask:0xf
	v_cndmask_b32_e64 v23, v23, 0, s[6:7]
	v_add_u32_e32 v22, v22, v23
	s_nop 1
	v_mov_b32_dpp v23, v22 row_bcast:31 row_mask:0xf bank_mask:0xf
	v_cndmask_b32_e64 v23, 0, v23, s[2:3]
	v_add_u32_e32 v22, v22, v23
	s_and_saveexec_b64 s[0:1], s[4:5]
; %bb.179:
	v_lshlrev_b32_e32 v23, 2, v44
	ds_write_b32 v23, v22
; %bb.180:
	s_or_b64 exec, exec, s[0:1]
	v_cmp_gt_u32_e32 vcc, 8, v0
	s_waitcnt lgkmcnt(0)
	s_barrier
	s_and_saveexec_b64 s[0:1], vcc
	s_cbranch_execz .LBB1075_182
; %bb.181:
	v_lshlrev_b32_e32 v23, 2, v0
	ds_read_b32 v24, v23
	v_and_b32_e32 v25, 7, v43
	v_cmp_ne_u32_e32 vcc, 0, v25
	s_waitcnt lgkmcnt(0)
	v_mov_b32_dpp v26, v24 row_shr:1 row_mask:0xf bank_mask:0xf
	v_cndmask_b32_e32 v26, 0, v26, vcc
	v_add_u32_e32 v24, v26, v24
	v_cmp_lt_u32_e32 vcc, 1, v25
	s_nop 0
	v_mov_b32_dpp v26, v24 row_shr:2 row_mask:0xf bank_mask:0xf
	v_cndmask_b32_e32 v26, 0, v26, vcc
	v_add_u32_e32 v24, v24, v26
	v_cmp_lt_u32_e32 vcc, 3, v25
	s_nop 0
	v_mov_b32_dpp v26, v24 row_shr:4 row_mask:0xf bank_mask:0xf
	v_cndmask_b32_e32 v25, 0, v26, vcc
	v_add_u32_e32 v24, v24, v25
	ds_write_b32 v23, v24
.LBB1075_182:
	s_or_b64 exec, exec, s[0:1]
	v_cmp_lt_u32_e32 vcc, 63, v0
	v_mov_b32_e32 v23, 0
	v_mov_b32_e32 v24, 0
	s_waitcnt lgkmcnt(0)
	s_barrier
	s_and_saveexec_b64 s[0:1], vcc
; %bb.183:
	v_lshl_add_u32 v24, v44, 2, -4
	ds_read_b32 v24, v24
; %bb.184:
	s_or_b64 exec, exec, s[0:1]
	v_subrev_co_u32_e32 v25, vcc, 1, v43
	v_and_b32_e32 v26, 64, v43
	v_cmp_lt_i32_e64 s[0:1], v25, v26
	s_waitcnt lgkmcnt(0)
	v_add_u32_e32 v22, v24, v22
	v_cndmask_b32_e64 v25, v25, v43, s[0:1]
	v_lshlrev_b32_e32 v25, 2, v25
	ds_bpermute_b32 v25, v25, v22
	ds_read_b32 v22, v23 offset:28
	s_and_saveexec_b64 s[0:1], s[18:19]
	s_cbranch_execz .LBB1075_186
; %bb.185:
	v_mov_b32_e32 v26, 0
	v_mov_b32_e32 v23, 2
	s_waitcnt lgkmcnt(0)
	global_store_dwordx2 v26, v[22:23], s[30:31] offset:512 sc1
.LBB1075_186:
	s_or_b64 exec, exec, s[0:1]
	s_waitcnt lgkmcnt(1)
	v_cndmask_b32_e32 v23, v25, v24, vcc
	v_cndmask_b32_e64 v38, v23, 0, s[18:19]
	v_add_u32_e32 v36, v38, v1
	v_add_u32_e32 v34, v36, v21
	;; [unrolled: 1-line block ×6, first 2 shown]
	s_waitcnt lgkmcnt(0)
	s_barrier
	v_mov_b32_e32 v24, 0
.LBB1075_187:
	s_movk_i32 s0, 0x201
	v_cmp_gt_u32_e32 vcc, s0, v22
	v_and_b32_e32 v1, 1, v16
	s_mov_b64 s[2:3], -1
	v_cmp_eq_u32_e64 s[0:1], 1, v1
	s_cbranch_vccnz .LBB1075_191
; %bb.188:
	s_and_b64 vcc, exec, s[2:3]
	s_cbranch_vccnz .LBB1075_206
.LBB1075_189:
	s_and_b64 s[0:1], s[18:19], s[24:25]
	s_and_saveexec_b64 s[2:3], s[0:1]
	s_cbranch_execnz .LBB1075_223
.LBB1075_190:
	s_endpgm
.LBB1075_191:
	v_add_u32_e32 v16, v24, v22
	v_cmp_lt_u32_e32 vcc, v38, v16
	s_or_b64 s[2:3], s[36:37], vcc
	s_and_b64 s[2:3], s[2:3], s[0:1]
	s_and_saveexec_b64 s[0:1], s[2:3]
	s_cbranch_execz .LBB1075_193
; %bb.192:
	s_lshl_b64 s[2:3], s[22:23], 3
	s_add_u32 s2, s34, s2
	s_addc_u32 s3, s35, s3
	v_mov_b32_e32 v39, 0
	v_lshl_add_u64 v[44:45], v[38:39], 3, s[2:3]
	global_store_dwordx2 v[44:45], v[10:11], off
.LBB1075_193:
	s_or_b64 exec, exec, s[0:1]
	v_cmp_lt_u32_e32 vcc, v36, v16
	v_and_b32_e32 v21, 1, v42
	s_or_b64 s[0:1], s[36:37], vcc
	v_cmp_eq_u32_e32 vcc, 1, v21
	s_and_b64 s[2:3], s[0:1], vcc
	s_and_saveexec_b64 s[0:1], s[2:3]
	s_cbranch_execz .LBB1075_195
; %bb.194:
	s_lshl_b64 s[2:3], s[22:23], 3
	s_add_u32 s2, s34, s2
	s_addc_u32 s3, s35, s3
	v_mov_b32_e32 v37, 0
	v_lshl_add_u64 v[44:45], v[36:37], 3, s[2:3]
	global_store_dwordx2 v[44:45], v[12:13], off
.LBB1075_195:
	s_or_b64 exec, exec, s[0:1]
	v_cmp_lt_u32_e32 vcc, v34, v16
	v_and_b32_e32 v21, 1, v41
	s_or_b64 s[0:1], s[36:37], vcc
	v_cmp_eq_u32_e32 vcc, 1, v21
	s_and_b64 s[2:3], s[0:1], vcc
	;; [unrolled: 16-line block ×6, first 2 shown]
	s_and_saveexec_b64 s[0:1], s[2:3]
	s_cbranch_execz .LBB1075_205
; %bb.204:
	s_lshl_b64 s[2:3], s[22:23], 3
	s_add_u32 s2, s34, s2
	s_addc_u32 s3, s35, s3
	v_mov_b32_e32 v27, 0
	v_lshl_add_u64 v[44:45], v[26:27], 3, s[2:3]
	global_store_dwordx2 v[44:45], v[14:15], off
.LBB1075_205:
	s_or_b64 exec, exec, s[0:1]
	s_branch .LBB1075_189
.LBB1075_206:
	v_cmp_eq_u32_e32 vcc, 1, v1
	s_and_saveexec_b64 s[0:1], vcc
; %bb.207:
	v_sub_u32_e32 v1, v38, v24
	v_lshlrev_b32_e32 v1, 3, v1
	ds_write_b64 v1, v[10:11]
; %bb.208:
	s_or_b64 exec, exec, s[0:1]
	v_and_b32_e32 v1, 1, v42
	v_cmp_eq_u32_e32 vcc, 1, v1
	s_and_saveexec_b64 s[0:1], vcc
; %bb.209:
	v_sub_u32_e32 v1, v36, v24
	v_lshlrev_b32_e32 v1, 3, v1
	ds_write_b64 v1, v[12:13]
; %bb.210:
	s_or_b64 exec, exec, s[0:1]
	v_and_b32_e32 v1, 1, v41
	v_cmp_eq_u32_e32 vcc, 1, v1
	s_and_saveexec_b64 s[0:1], vcc
; %bb.211:
	v_sub_u32_e32 v1, v34, v24
	v_lshlrev_b32_e32 v1, 3, v1
	ds_write_b64 v1, v[6:7]
; %bb.212:
	s_or_b64 exec, exec, s[0:1]
	v_and_b32_e32 v1, 1, v20
	v_cmp_eq_u32_e32 vcc, 1, v1
	s_and_saveexec_b64 s[0:1], vcc
; %bb.213:
	v_sub_u32_e32 v1, v32, v24
	v_lshlrev_b32_e32 v1, 3, v1
	ds_write_b64 v1, v[8:9]
; %bb.214:
	s_or_b64 exec, exec, s[0:1]
	v_and_b32_e32 v1, 1, v17
	v_cmp_eq_u32_e32 vcc, 1, v1
	s_and_saveexec_b64 s[0:1], vcc
; %bb.215:
	v_sub_u32_e32 v1, v30, v24
	v_lshlrev_b32_e32 v1, 3, v1
	ds_write_b64 v1, v[2:3]
; %bb.216:
	s_or_b64 exec, exec, s[0:1]
	v_and_b32_e32 v1, 1, v40
	v_cmp_eq_u32_e32 vcc, 1, v1
	s_and_saveexec_b64 s[0:1], vcc
; %bb.217:
	v_sub_u32_e32 v1, v28, v24
	v_lshlrev_b32_e32 v1, 3, v1
	ds_write_b64 v1, v[4:5]
; %bb.218:
	s_or_b64 exec, exec, s[0:1]
	v_and_b32_e32 v1, 1, v19
	v_cmp_eq_u32_e32 vcc, 1, v1
	s_and_saveexec_b64 s[0:1], vcc
; %bb.219:
	v_sub_u32_e32 v1, v26, v24
	v_lshlrev_b32_e32 v1, 3, v1
	ds_write_b64 v1, v[14:15]
; %bb.220:
	s_or_b64 exec, exec, s[0:1]
	v_mov_b32_e32 v25, 0
	s_lshl_b64 s[0:1], s[22:23], 3
	v_lshlrev_b64 v[2:3], 3, v[24:25]
	v_lshl_add_u64 v[2:3], s[0:1], 0, v[2:3]
	v_mov_b32_e32 v19, v25
	v_lshl_add_u64 v[2:3], s[34:35], 0, v[2:3]
	v_lshl_add_u64 v[2:3], v[2:3], 0, v[18:19]
	s_mov_b64 s[0:1], 0
	s_mov_b64 s[2:3], 0x1000
	s_waitcnt lgkmcnt(0)
	s_barrier
.LBB1075_221:                           ; =>This Inner Loop Header: Depth=1
	ds_read_b64 v[4:5], v18
	v_add_u32_e32 v0, 0x200, v0
	v_cmp_ge_u32_e32 vcc, v0, v22
	v_add_u32_e32 v18, 0x1000, v18
	s_or_b64 s[0:1], vcc, s[0:1]
	s_waitcnt lgkmcnt(0)
	global_store_dwordx2 v[2:3], v[4:5], off
	v_lshl_add_u64 v[2:3], v[2:3], 0, s[2:3]
	s_andn2_b64 exec, exec, s[0:1]
	s_cbranch_execnz .LBB1075_221
; %bb.222:
	s_or_b64 exec, exec, s[0:1]
	s_and_b64 s[0:1], s[18:19], s[24:25]
	s_and_saveexec_b64 s[2:3], s[0:1]
	s_cbranch_execz .LBB1075_190
.LBB1075_223:
	v_mov_b32_e32 v23, 0
	v_lshl_add_u64 v[0:1], s[22:23], 0, v[22:23]
	v_mov_b32_e32 v25, v23
	v_lshl_add_u64 v[0:1], v[0:1], 0, v[24:25]
	global_store_dwordx2 v23, v[0:1], s[20:21]
	s_endpgm
	.section	.rodata,"a",@progbits
	.p2align	6, 0x0
	.amdhsa_kernel _ZN7rocprim17ROCPRIM_400000_NS6detail17trampoline_kernelINS0_14default_configENS1_25partition_config_selectorILNS1_17partition_subalgoE8ElNS0_10empty_typeEbEEZZNS1_14partition_implILS5_8ELb0ES3_jPlPS6_PKS6_NS0_5tupleIJS9_S6_EEENSD_IJSA_SA_EEENS0_18inequality_wrapperIZN2at6native12_GLOBAL__N_124unique_dim_cuda_templateIbEESt5tupleIJNSH_6TensorESM_SM_EERKSM_lbbbEUlllE0_EEPmJS6_EEE10hipError_tPvRmT3_T4_T5_T6_T7_T9_mT8_P12ihipStream_tbDpT10_ENKUlT_T0_E_clISt17integral_constantIbLb0EES1B_IbLb1EEEEDaS17_S18_EUlS17_E_NS1_11comp_targetILNS1_3genE0ELNS1_11target_archE4294967295ELNS1_3gpuE0ELNS1_3repE0EEENS1_30default_config_static_selectorELNS0_4arch9wavefront6targetE1EEEvT1_
		.amdhsa_group_segment_fixed_size 28680
		.amdhsa_private_segment_fixed_size 0
		.amdhsa_kernarg_size 136
		.amdhsa_user_sgpr_count 2
		.amdhsa_user_sgpr_dispatch_ptr 0
		.amdhsa_user_sgpr_queue_ptr 0
		.amdhsa_user_sgpr_kernarg_segment_ptr 1
		.amdhsa_user_sgpr_dispatch_id 0
		.amdhsa_user_sgpr_kernarg_preload_length 0
		.amdhsa_user_sgpr_kernarg_preload_offset 0
		.amdhsa_user_sgpr_private_segment_size 0
		.amdhsa_uses_dynamic_stack 0
		.amdhsa_enable_private_segment 0
		.amdhsa_system_sgpr_workgroup_id_x 1
		.amdhsa_system_sgpr_workgroup_id_y 0
		.amdhsa_system_sgpr_workgroup_id_z 0
		.amdhsa_system_sgpr_workgroup_info 0
		.amdhsa_system_vgpr_workitem_id 0
		.amdhsa_next_free_vgpr 58
		.amdhsa_next_free_sgpr 54
		.amdhsa_accum_offset 60
		.amdhsa_reserve_vcc 1
		.amdhsa_float_round_mode_32 0
		.amdhsa_float_round_mode_16_64 0
		.amdhsa_float_denorm_mode_32 3
		.amdhsa_float_denorm_mode_16_64 3
		.amdhsa_dx10_clamp 1
		.amdhsa_ieee_mode 1
		.amdhsa_fp16_overflow 0
		.amdhsa_tg_split 0
		.amdhsa_exception_fp_ieee_invalid_op 0
		.amdhsa_exception_fp_denorm_src 0
		.amdhsa_exception_fp_ieee_div_zero 0
		.amdhsa_exception_fp_ieee_overflow 0
		.amdhsa_exception_fp_ieee_underflow 0
		.amdhsa_exception_fp_ieee_inexact 0
		.amdhsa_exception_int_div_zero 0
	.end_amdhsa_kernel
	.section	.text._ZN7rocprim17ROCPRIM_400000_NS6detail17trampoline_kernelINS0_14default_configENS1_25partition_config_selectorILNS1_17partition_subalgoE8ElNS0_10empty_typeEbEEZZNS1_14partition_implILS5_8ELb0ES3_jPlPS6_PKS6_NS0_5tupleIJS9_S6_EEENSD_IJSA_SA_EEENS0_18inequality_wrapperIZN2at6native12_GLOBAL__N_124unique_dim_cuda_templateIbEESt5tupleIJNSH_6TensorESM_SM_EERKSM_lbbbEUlllE0_EEPmJS6_EEE10hipError_tPvRmT3_T4_T5_T6_T7_T9_mT8_P12ihipStream_tbDpT10_ENKUlT_T0_E_clISt17integral_constantIbLb0EES1B_IbLb1EEEEDaS17_S18_EUlS17_E_NS1_11comp_targetILNS1_3genE0ELNS1_11target_archE4294967295ELNS1_3gpuE0ELNS1_3repE0EEENS1_30default_config_static_selectorELNS0_4arch9wavefront6targetE1EEEvT1_,"axG",@progbits,_ZN7rocprim17ROCPRIM_400000_NS6detail17trampoline_kernelINS0_14default_configENS1_25partition_config_selectorILNS1_17partition_subalgoE8ElNS0_10empty_typeEbEEZZNS1_14partition_implILS5_8ELb0ES3_jPlPS6_PKS6_NS0_5tupleIJS9_S6_EEENSD_IJSA_SA_EEENS0_18inequality_wrapperIZN2at6native12_GLOBAL__N_124unique_dim_cuda_templateIbEESt5tupleIJNSH_6TensorESM_SM_EERKSM_lbbbEUlllE0_EEPmJS6_EEE10hipError_tPvRmT3_T4_T5_T6_T7_T9_mT8_P12ihipStream_tbDpT10_ENKUlT_T0_E_clISt17integral_constantIbLb0EES1B_IbLb1EEEEDaS17_S18_EUlS17_E_NS1_11comp_targetILNS1_3genE0ELNS1_11target_archE4294967295ELNS1_3gpuE0ELNS1_3repE0EEENS1_30default_config_static_selectorELNS0_4arch9wavefront6targetE1EEEvT1_,comdat
.Lfunc_end1075:
	.size	_ZN7rocprim17ROCPRIM_400000_NS6detail17trampoline_kernelINS0_14default_configENS1_25partition_config_selectorILNS1_17partition_subalgoE8ElNS0_10empty_typeEbEEZZNS1_14partition_implILS5_8ELb0ES3_jPlPS6_PKS6_NS0_5tupleIJS9_S6_EEENSD_IJSA_SA_EEENS0_18inequality_wrapperIZN2at6native12_GLOBAL__N_124unique_dim_cuda_templateIbEESt5tupleIJNSH_6TensorESM_SM_EERKSM_lbbbEUlllE0_EEPmJS6_EEE10hipError_tPvRmT3_T4_T5_T6_T7_T9_mT8_P12ihipStream_tbDpT10_ENKUlT_T0_E_clISt17integral_constantIbLb0EES1B_IbLb1EEEEDaS17_S18_EUlS17_E_NS1_11comp_targetILNS1_3genE0ELNS1_11target_archE4294967295ELNS1_3gpuE0ELNS1_3repE0EEENS1_30default_config_static_selectorELNS0_4arch9wavefront6targetE1EEEvT1_, .Lfunc_end1075-_ZN7rocprim17ROCPRIM_400000_NS6detail17trampoline_kernelINS0_14default_configENS1_25partition_config_selectorILNS1_17partition_subalgoE8ElNS0_10empty_typeEbEEZZNS1_14partition_implILS5_8ELb0ES3_jPlPS6_PKS6_NS0_5tupleIJS9_S6_EEENSD_IJSA_SA_EEENS0_18inequality_wrapperIZN2at6native12_GLOBAL__N_124unique_dim_cuda_templateIbEESt5tupleIJNSH_6TensorESM_SM_EERKSM_lbbbEUlllE0_EEPmJS6_EEE10hipError_tPvRmT3_T4_T5_T6_T7_T9_mT8_P12ihipStream_tbDpT10_ENKUlT_T0_E_clISt17integral_constantIbLb0EES1B_IbLb1EEEEDaS17_S18_EUlS17_E_NS1_11comp_targetILNS1_3genE0ELNS1_11target_archE4294967295ELNS1_3gpuE0ELNS1_3repE0EEENS1_30default_config_static_selectorELNS0_4arch9wavefront6targetE1EEEvT1_
                                        ; -- End function
	.set _ZN7rocprim17ROCPRIM_400000_NS6detail17trampoline_kernelINS0_14default_configENS1_25partition_config_selectorILNS1_17partition_subalgoE8ElNS0_10empty_typeEbEEZZNS1_14partition_implILS5_8ELb0ES3_jPlPS6_PKS6_NS0_5tupleIJS9_S6_EEENSD_IJSA_SA_EEENS0_18inequality_wrapperIZN2at6native12_GLOBAL__N_124unique_dim_cuda_templateIbEESt5tupleIJNSH_6TensorESM_SM_EERKSM_lbbbEUlllE0_EEPmJS6_EEE10hipError_tPvRmT3_T4_T5_T6_T7_T9_mT8_P12ihipStream_tbDpT10_ENKUlT_T0_E_clISt17integral_constantIbLb0EES1B_IbLb1EEEEDaS17_S18_EUlS17_E_NS1_11comp_targetILNS1_3genE0ELNS1_11target_archE4294967295ELNS1_3gpuE0ELNS1_3repE0EEENS1_30default_config_static_selectorELNS0_4arch9wavefront6targetE1EEEvT1_.num_vgpr, 58
	.set _ZN7rocprim17ROCPRIM_400000_NS6detail17trampoline_kernelINS0_14default_configENS1_25partition_config_selectorILNS1_17partition_subalgoE8ElNS0_10empty_typeEbEEZZNS1_14partition_implILS5_8ELb0ES3_jPlPS6_PKS6_NS0_5tupleIJS9_S6_EEENSD_IJSA_SA_EEENS0_18inequality_wrapperIZN2at6native12_GLOBAL__N_124unique_dim_cuda_templateIbEESt5tupleIJNSH_6TensorESM_SM_EERKSM_lbbbEUlllE0_EEPmJS6_EEE10hipError_tPvRmT3_T4_T5_T6_T7_T9_mT8_P12ihipStream_tbDpT10_ENKUlT_T0_E_clISt17integral_constantIbLb0EES1B_IbLb1EEEEDaS17_S18_EUlS17_E_NS1_11comp_targetILNS1_3genE0ELNS1_11target_archE4294967295ELNS1_3gpuE0ELNS1_3repE0EEENS1_30default_config_static_selectorELNS0_4arch9wavefront6targetE1EEEvT1_.num_agpr, 0
	.set _ZN7rocprim17ROCPRIM_400000_NS6detail17trampoline_kernelINS0_14default_configENS1_25partition_config_selectorILNS1_17partition_subalgoE8ElNS0_10empty_typeEbEEZZNS1_14partition_implILS5_8ELb0ES3_jPlPS6_PKS6_NS0_5tupleIJS9_S6_EEENSD_IJSA_SA_EEENS0_18inequality_wrapperIZN2at6native12_GLOBAL__N_124unique_dim_cuda_templateIbEESt5tupleIJNSH_6TensorESM_SM_EERKSM_lbbbEUlllE0_EEPmJS6_EEE10hipError_tPvRmT3_T4_T5_T6_T7_T9_mT8_P12ihipStream_tbDpT10_ENKUlT_T0_E_clISt17integral_constantIbLb0EES1B_IbLb1EEEEDaS17_S18_EUlS17_E_NS1_11comp_targetILNS1_3genE0ELNS1_11target_archE4294967295ELNS1_3gpuE0ELNS1_3repE0EEENS1_30default_config_static_selectorELNS0_4arch9wavefront6targetE1EEEvT1_.numbered_sgpr, 54
	.set _ZN7rocprim17ROCPRIM_400000_NS6detail17trampoline_kernelINS0_14default_configENS1_25partition_config_selectorILNS1_17partition_subalgoE8ElNS0_10empty_typeEbEEZZNS1_14partition_implILS5_8ELb0ES3_jPlPS6_PKS6_NS0_5tupleIJS9_S6_EEENSD_IJSA_SA_EEENS0_18inequality_wrapperIZN2at6native12_GLOBAL__N_124unique_dim_cuda_templateIbEESt5tupleIJNSH_6TensorESM_SM_EERKSM_lbbbEUlllE0_EEPmJS6_EEE10hipError_tPvRmT3_T4_T5_T6_T7_T9_mT8_P12ihipStream_tbDpT10_ENKUlT_T0_E_clISt17integral_constantIbLb0EES1B_IbLb1EEEEDaS17_S18_EUlS17_E_NS1_11comp_targetILNS1_3genE0ELNS1_11target_archE4294967295ELNS1_3gpuE0ELNS1_3repE0EEENS1_30default_config_static_selectorELNS0_4arch9wavefront6targetE1EEEvT1_.num_named_barrier, 0
	.set _ZN7rocprim17ROCPRIM_400000_NS6detail17trampoline_kernelINS0_14default_configENS1_25partition_config_selectorILNS1_17partition_subalgoE8ElNS0_10empty_typeEbEEZZNS1_14partition_implILS5_8ELb0ES3_jPlPS6_PKS6_NS0_5tupleIJS9_S6_EEENSD_IJSA_SA_EEENS0_18inequality_wrapperIZN2at6native12_GLOBAL__N_124unique_dim_cuda_templateIbEESt5tupleIJNSH_6TensorESM_SM_EERKSM_lbbbEUlllE0_EEPmJS6_EEE10hipError_tPvRmT3_T4_T5_T6_T7_T9_mT8_P12ihipStream_tbDpT10_ENKUlT_T0_E_clISt17integral_constantIbLb0EES1B_IbLb1EEEEDaS17_S18_EUlS17_E_NS1_11comp_targetILNS1_3genE0ELNS1_11target_archE4294967295ELNS1_3gpuE0ELNS1_3repE0EEENS1_30default_config_static_selectorELNS0_4arch9wavefront6targetE1EEEvT1_.private_seg_size, 0
	.set _ZN7rocprim17ROCPRIM_400000_NS6detail17trampoline_kernelINS0_14default_configENS1_25partition_config_selectorILNS1_17partition_subalgoE8ElNS0_10empty_typeEbEEZZNS1_14partition_implILS5_8ELb0ES3_jPlPS6_PKS6_NS0_5tupleIJS9_S6_EEENSD_IJSA_SA_EEENS0_18inequality_wrapperIZN2at6native12_GLOBAL__N_124unique_dim_cuda_templateIbEESt5tupleIJNSH_6TensorESM_SM_EERKSM_lbbbEUlllE0_EEPmJS6_EEE10hipError_tPvRmT3_T4_T5_T6_T7_T9_mT8_P12ihipStream_tbDpT10_ENKUlT_T0_E_clISt17integral_constantIbLb0EES1B_IbLb1EEEEDaS17_S18_EUlS17_E_NS1_11comp_targetILNS1_3genE0ELNS1_11target_archE4294967295ELNS1_3gpuE0ELNS1_3repE0EEENS1_30default_config_static_selectorELNS0_4arch9wavefront6targetE1EEEvT1_.uses_vcc, 1
	.set _ZN7rocprim17ROCPRIM_400000_NS6detail17trampoline_kernelINS0_14default_configENS1_25partition_config_selectorILNS1_17partition_subalgoE8ElNS0_10empty_typeEbEEZZNS1_14partition_implILS5_8ELb0ES3_jPlPS6_PKS6_NS0_5tupleIJS9_S6_EEENSD_IJSA_SA_EEENS0_18inequality_wrapperIZN2at6native12_GLOBAL__N_124unique_dim_cuda_templateIbEESt5tupleIJNSH_6TensorESM_SM_EERKSM_lbbbEUlllE0_EEPmJS6_EEE10hipError_tPvRmT3_T4_T5_T6_T7_T9_mT8_P12ihipStream_tbDpT10_ENKUlT_T0_E_clISt17integral_constantIbLb0EES1B_IbLb1EEEEDaS17_S18_EUlS17_E_NS1_11comp_targetILNS1_3genE0ELNS1_11target_archE4294967295ELNS1_3gpuE0ELNS1_3repE0EEENS1_30default_config_static_selectorELNS0_4arch9wavefront6targetE1EEEvT1_.uses_flat_scratch, 0
	.set _ZN7rocprim17ROCPRIM_400000_NS6detail17trampoline_kernelINS0_14default_configENS1_25partition_config_selectorILNS1_17partition_subalgoE8ElNS0_10empty_typeEbEEZZNS1_14partition_implILS5_8ELb0ES3_jPlPS6_PKS6_NS0_5tupleIJS9_S6_EEENSD_IJSA_SA_EEENS0_18inequality_wrapperIZN2at6native12_GLOBAL__N_124unique_dim_cuda_templateIbEESt5tupleIJNSH_6TensorESM_SM_EERKSM_lbbbEUlllE0_EEPmJS6_EEE10hipError_tPvRmT3_T4_T5_T6_T7_T9_mT8_P12ihipStream_tbDpT10_ENKUlT_T0_E_clISt17integral_constantIbLb0EES1B_IbLb1EEEEDaS17_S18_EUlS17_E_NS1_11comp_targetILNS1_3genE0ELNS1_11target_archE4294967295ELNS1_3gpuE0ELNS1_3repE0EEENS1_30default_config_static_selectorELNS0_4arch9wavefront6targetE1EEEvT1_.has_dyn_sized_stack, 0
	.set _ZN7rocprim17ROCPRIM_400000_NS6detail17trampoline_kernelINS0_14default_configENS1_25partition_config_selectorILNS1_17partition_subalgoE8ElNS0_10empty_typeEbEEZZNS1_14partition_implILS5_8ELb0ES3_jPlPS6_PKS6_NS0_5tupleIJS9_S6_EEENSD_IJSA_SA_EEENS0_18inequality_wrapperIZN2at6native12_GLOBAL__N_124unique_dim_cuda_templateIbEESt5tupleIJNSH_6TensorESM_SM_EERKSM_lbbbEUlllE0_EEPmJS6_EEE10hipError_tPvRmT3_T4_T5_T6_T7_T9_mT8_P12ihipStream_tbDpT10_ENKUlT_T0_E_clISt17integral_constantIbLb0EES1B_IbLb1EEEEDaS17_S18_EUlS17_E_NS1_11comp_targetILNS1_3genE0ELNS1_11target_archE4294967295ELNS1_3gpuE0ELNS1_3repE0EEENS1_30default_config_static_selectorELNS0_4arch9wavefront6targetE1EEEvT1_.has_recursion, 0
	.set _ZN7rocprim17ROCPRIM_400000_NS6detail17trampoline_kernelINS0_14default_configENS1_25partition_config_selectorILNS1_17partition_subalgoE8ElNS0_10empty_typeEbEEZZNS1_14partition_implILS5_8ELb0ES3_jPlPS6_PKS6_NS0_5tupleIJS9_S6_EEENSD_IJSA_SA_EEENS0_18inequality_wrapperIZN2at6native12_GLOBAL__N_124unique_dim_cuda_templateIbEESt5tupleIJNSH_6TensorESM_SM_EERKSM_lbbbEUlllE0_EEPmJS6_EEE10hipError_tPvRmT3_T4_T5_T6_T7_T9_mT8_P12ihipStream_tbDpT10_ENKUlT_T0_E_clISt17integral_constantIbLb0EES1B_IbLb1EEEEDaS17_S18_EUlS17_E_NS1_11comp_targetILNS1_3genE0ELNS1_11target_archE4294967295ELNS1_3gpuE0ELNS1_3repE0EEENS1_30default_config_static_selectorELNS0_4arch9wavefront6targetE1EEEvT1_.has_indirect_call, 0
	.section	.AMDGPU.csdata,"",@progbits
; Kernel info:
; codeLenInByte = 10712
; TotalNumSgprs: 60
; NumVgprs: 58
; NumAgprs: 0
; TotalNumVgprs: 58
; ScratchSize: 0
; MemoryBound: 0
; FloatMode: 240
; IeeeMode: 1
; LDSByteSize: 28680 bytes/workgroup (compile time only)
; SGPRBlocks: 7
; VGPRBlocks: 7
; NumSGPRsForWavesPerEU: 60
; NumVGPRsForWavesPerEU: 58
; AccumOffset: 60
; Occupancy: 8
; WaveLimiterHint : 1
; COMPUTE_PGM_RSRC2:SCRATCH_EN: 0
; COMPUTE_PGM_RSRC2:USER_SGPR: 2
; COMPUTE_PGM_RSRC2:TRAP_HANDLER: 0
; COMPUTE_PGM_RSRC2:TGID_X_EN: 1
; COMPUTE_PGM_RSRC2:TGID_Y_EN: 0
; COMPUTE_PGM_RSRC2:TGID_Z_EN: 0
; COMPUTE_PGM_RSRC2:TIDIG_COMP_CNT: 0
; COMPUTE_PGM_RSRC3_GFX90A:ACCUM_OFFSET: 14
; COMPUTE_PGM_RSRC3_GFX90A:TG_SPLIT: 0
	.section	.text._ZN7rocprim17ROCPRIM_400000_NS6detail17trampoline_kernelINS0_14default_configENS1_25partition_config_selectorILNS1_17partition_subalgoE8ElNS0_10empty_typeEbEEZZNS1_14partition_implILS5_8ELb0ES3_jPlPS6_PKS6_NS0_5tupleIJS9_S6_EEENSD_IJSA_SA_EEENS0_18inequality_wrapperIZN2at6native12_GLOBAL__N_124unique_dim_cuda_templateIbEESt5tupleIJNSH_6TensorESM_SM_EERKSM_lbbbEUlllE0_EEPmJS6_EEE10hipError_tPvRmT3_T4_T5_T6_T7_T9_mT8_P12ihipStream_tbDpT10_ENKUlT_T0_E_clISt17integral_constantIbLb0EES1B_IbLb1EEEEDaS17_S18_EUlS17_E_NS1_11comp_targetILNS1_3genE5ELNS1_11target_archE942ELNS1_3gpuE9ELNS1_3repE0EEENS1_30default_config_static_selectorELNS0_4arch9wavefront6targetE1EEEvT1_,"axG",@progbits,_ZN7rocprim17ROCPRIM_400000_NS6detail17trampoline_kernelINS0_14default_configENS1_25partition_config_selectorILNS1_17partition_subalgoE8ElNS0_10empty_typeEbEEZZNS1_14partition_implILS5_8ELb0ES3_jPlPS6_PKS6_NS0_5tupleIJS9_S6_EEENSD_IJSA_SA_EEENS0_18inequality_wrapperIZN2at6native12_GLOBAL__N_124unique_dim_cuda_templateIbEESt5tupleIJNSH_6TensorESM_SM_EERKSM_lbbbEUlllE0_EEPmJS6_EEE10hipError_tPvRmT3_T4_T5_T6_T7_T9_mT8_P12ihipStream_tbDpT10_ENKUlT_T0_E_clISt17integral_constantIbLb0EES1B_IbLb1EEEEDaS17_S18_EUlS17_E_NS1_11comp_targetILNS1_3genE5ELNS1_11target_archE942ELNS1_3gpuE9ELNS1_3repE0EEENS1_30default_config_static_selectorELNS0_4arch9wavefront6targetE1EEEvT1_,comdat
	.globl	_ZN7rocprim17ROCPRIM_400000_NS6detail17trampoline_kernelINS0_14default_configENS1_25partition_config_selectorILNS1_17partition_subalgoE8ElNS0_10empty_typeEbEEZZNS1_14partition_implILS5_8ELb0ES3_jPlPS6_PKS6_NS0_5tupleIJS9_S6_EEENSD_IJSA_SA_EEENS0_18inequality_wrapperIZN2at6native12_GLOBAL__N_124unique_dim_cuda_templateIbEESt5tupleIJNSH_6TensorESM_SM_EERKSM_lbbbEUlllE0_EEPmJS6_EEE10hipError_tPvRmT3_T4_T5_T6_T7_T9_mT8_P12ihipStream_tbDpT10_ENKUlT_T0_E_clISt17integral_constantIbLb0EES1B_IbLb1EEEEDaS17_S18_EUlS17_E_NS1_11comp_targetILNS1_3genE5ELNS1_11target_archE942ELNS1_3gpuE9ELNS1_3repE0EEENS1_30default_config_static_selectorELNS0_4arch9wavefront6targetE1EEEvT1_ ; -- Begin function _ZN7rocprim17ROCPRIM_400000_NS6detail17trampoline_kernelINS0_14default_configENS1_25partition_config_selectorILNS1_17partition_subalgoE8ElNS0_10empty_typeEbEEZZNS1_14partition_implILS5_8ELb0ES3_jPlPS6_PKS6_NS0_5tupleIJS9_S6_EEENSD_IJSA_SA_EEENS0_18inequality_wrapperIZN2at6native12_GLOBAL__N_124unique_dim_cuda_templateIbEESt5tupleIJNSH_6TensorESM_SM_EERKSM_lbbbEUlllE0_EEPmJS6_EEE10hipError_tPvRmT3_T4_T5_T6_T7_T9_mT8_P12ihipStream_tbDpT10_ENKUlT_T0_E_clISt17integral_constantIbLb0EES1B_IbLb1EEEEDaS17_S18_EUlS17_E_NS1_11comp_targetILNS1_3genE5ELNS1_11target_archE942ELNS1_3gpuE9ELNS1_3repE0EEENS1_30default_config_static_selectorELNS0_4arch9wavefront6targetE1EEEvT1_
	.p2align	8
	.type	_ZN7rocprim17ROCPRIM_400000_NS6detail17trampoline_kernelINS0_14default_configENS1_25partition_config_selectorILNS1_17partition_subalgoE8ElNS0_10empty_typeEbEEZZNS1_14partition_implILS5_8ELb0ES3_jPlPS6_PKS6_NS0_5tupleIJS9_S6_EEENSD_IJSA_SA_EEENS0_18inequality_wrapperIZN2at6native12_GLOBAL__N_124unique_dim_cuda_templateIbEESt5tupleIJNSH_6TensorESM_SM_EERKSM_lbbbEUlllE0_EEPmJS6_EEE10hipError_tPvRmT3_T4_T5_T6_T7_T9_mT8_P12ihipStream_tbDpT10_ENKUlT_T0_E_clISt17integral_constantIbLb0EES1B_IbLb1EEEEDaS17_S18_EUlS17_E_NS1_11comp_targetILNS1_3genE5ELNS1_11target_archE942ELNS1_3gpuE9ELNS1_3repE0EEENS1_30default_config_static_selectorELNS0_4arch9wavefront6targetE1EEEvT1_,@function
_ZN7rocprim17ROCPRIM_400000_NS6detail17trampoline_kernelINS0_14default_configENS1_25partition_config_selectorILNS1_17partition_subalgoE8ElNS0_10empty_typeEbEEZZNS1_14partition_implILS5_8ELb0ES3_jPlPS6_PKS6_NS0_5tupleIJS9_S6_EEENSD_IJSA_SA_EEENS0_18inequality_wrapperIZN2at6native12_GLOBAL__N_124unique_dim_cuda_templateIbEESt5tupleIJNSH_6TensorESM_SM_EERKSM_lbbbEUlllE0_EEPmJS6_EEE10hipError_tPvRmT3_T4_T5_T6_T7_T9_mT8_P12ihipStream_tbDpT10_ENKUlT_T0_E_clISt17integral_constantIbLb0EES1B_IbLb1EEEEDaS17_S18_EUlS17_E_NS1_11comp_targetILNS1_3genE5ELNS1_11target_archE942ELNS1_3gpuE9ELNS1_3repE0EEENS1_30default_config_static_selectorELNS0_4arch9wavefront6targetE1EEEvT1_: ; @_ZN7rocprim17ROCPRIM_400000_NS6detail17trampoline_kernelINS0_14default_configENS1_25partition_config_selectorILNS1_17partition_subalgoE8ElNS0_10empty_typeEbEEZZNS1_14partition_implILS5_8ELb0ES3_jPlPS6_PKS6_NS0_5tupleIJS9_S6_EEENSD_IJSA_SA_EEENS0_18inequality_wrapperIZN2at6native12_GLOBAL__N_124unique_dim_cuda_templateIbEESt5tupleIJNSH_6TensorESM_SM_EERKSM_lbbbEUlllE0_EEPmJS6_EEE10hipError_tPvRmT3_T4_T5_T6_T7_T9_mT8_P12ihipStream_tbDpT10_ENKUlT_T0_E_clISt17integral_constantIbLb0EES1B_IbLb1EEEEDaS17_S18_EUlS17_E_NS1_11comp_targetILNS1_3genE5ELNS1_11target_archE942ELNS1_3gpuE9ELNS1_3repE0EEENS1_30default_config_static_selectorELNS0_4arch9wavefront6targetE1EEEvT1_
; %bb.0:
	.section	.rodata,"a",@progbits
	.p2align	6, 0x0
	.amdhsa_kernel _ZN7rocprim17ROCPRIM_400000_NS6detail17trampoline_kernelINS0_14default_configENS1_25partition_config_selectorILNS1_17partition_subalgoE8ElNS0_10empty_typeEbEEZZNS1_14partition_implILS5_8ELb0ES3_jPlPS6_PKS6_NS0_5tupleIJS9_S6_EEENSD_IJSA_SA_EEENS0_18inequality_wrapperIZN2at6native12_GLOBAL__N_124unique_dim_cuda_templateIbEESt5tupleIJNSH_6TensorESM_SM_EERKSM_lbbbEUlllE0_EEPmJS6_EEE10hipError_tPvRmT3_T4_T5_T6_T7_T9_mT8_P12ihipStream_tbDpT10_ENKUlT_T0_E_clISt17integral_constantIbLb0EES1B_IbLb1EEEEDaS17_S18_EUlS17_E_NS1_11comp_targetILNS1_3genE5ELNS1_11target_archE942ELNS1_3gpuE9ELNS1_3repE0EEENS1_30default_config_static_selectorELNS0_4arch9wavefront6targetE1EEEvT1_
		.amdhsa_group_segment_fixed_size 0
		.amdhsa_private_segment_fixed_size 0
		.amdhsa_kernarg_size 136
		.amdhsa_user_sgpr_count 2
		.amdhsa_user_sgpr_dispatch_ptr 0
		.amdhsa_user_sgpr_queue_ptr 0
		.amdhsa_user_sgpr_kernarg_segment_ptr 1
		.amdhsa_user_sgpr_dispatch_id 0
		.amdhsa_user_sgpr_kernarg_preload_length 0
		.amdhsa_user_sgpr_kernarg_preload_offset 0
		.amdhsa_user_sgpr_private_segment_size 0
		.amdhsa_uses_dynamic_stack 0
		.amdhsa_enable_private_segment 0
		.amdhsa_system_sgpr_workgroup_id_x 1
		.amdhsa_system_sgpr_workgroup_id_y 0
		.amdhsa_system_sgpr_workgroup_id_z 0
		.amdhsa_system_sgpr_workgroup_info 0
		.amdhsa_system_vgpr_workitem_id 0
		.amdhsa_next_free_vgpr 1
		.amdhsa_next_free_sgpr 0
		.amdhsa_accum_offset 4
		.amdhsa_reserve_vcc 0
		.amdhsa_float_round_mode_32 0
		.amdhsa_float_round_mode_16_64 0
		.amdhsa_float_denorm_mode_32 3
		.amdhsa_float_denorm_mode_16_64 3
		.amdhsa_dx10_clamp 1
		.amdhsa_ieee_mode 1
		.amdhsa_fp16_overflow 0
		.amdhsa_tg_split 0
		.amdhsa_exception_fp_ieee_invalid_op 0
		.amdhsa_exception_fp_denorm_src 0
		.amdhsa_exception_fp_ieee_div_zero 0
		.amdhsa_exception_fp_ieee_overflow 0
		.amdhsa_exception_fp_ieee_underflow 0
		.amdhsa_exception_fp_ieee_inexact 0
		.amdhsa_exception_int_div_zero 0
	.end_amdhsa_kernel
	.section	.text._ZN7rocprim17ROCPRIM_400000_NS6detail17trampoline_kernelINS0_14default_configENS1_25partition_config_selectorILNS1_17partition_subalgoE8ElNS0_10empty_typeEbEEZZNS1_14partition_implILS5_8ELb0ES3_jPlPS6_PKS6_NS0_5tupleIJS9_S6_EEENSD_IJSA_SA_EEENS0_18inequality_wrapperIZN2at6native12_GLOBAL__N_124unique_dim_cuda_templateIbEESt5tupleIJNSH_6TensorESM_SM_EERKSM_lbbbEUlllE0_EEPmJS6_EEE10hipError_tPvRmT3_T4_T5_T6_T7_T9_mT8_P12ihipStream_tbDpT10_ENKUlT_T0_E_clISt17integral_constantIbLb0EES1B_IbLb1EEEEDaS17_S18_EUlS17_E_NS1_11comp_targetILNS1_3genE5ELNS1_11target_archE942ELNS1_3gpuE9ELNS1_3repE0EEENS1_30default_config_static_selectorELNS0_4arch9wavefront6targetE1EEEvT1_,"axG",@progbits,_ZN7rocprim17ROCPRIM_400000_NS6detail17trampoline_kernelINS0_14default_configENS1_25partition_config_selectorILNS1_17partition_subalgoE8ElNS0_10empty_typeEbEEZZNS1_14partition_implILS5_8ELb0ES3_jPlPS6_PKS6_NS0_5tupleIJS9_S6_EEENSD_IJSA_SA_EEENS0_18inequality_wrapperIZN2at6native12_GLOBAL__N_124unique_dim_cuda_templateIbEESt5tupleIJNSH_6TensorESM_SM_EERKSM_lbbbEUlllE0_EEPmJS6_EEE10hipError_tPvRmT3_T4_T5_T6_T7_T9_mT8_P12ihipStream_tbDpT10_ENKUlT_T0_E_clISt17integral_constantIbLb0EES1B_IbLb1EEEEDaS17_S18_EUlS17_E_NS1_11comp_targetILNS1_3genE5ELNS1_11target_archE942ELNS1_3gpuE9ELNS1_3repE0EEENS1_30default_config_static_selectorELNS0_4arch9wavefront6targetE1EEEvT1_,comdat
.Lfunc_end1076:
	.size	_ZN7rocprim17ROCPRIM_400000_NS6detail17trampoline_kernelINS0_14default_configENS1_25partition_config_selectorILNS1_17partition_subalgoE8ElNS0_10empty_typeEbEEZZNS1_14partition_implILS5_8ELb0ES3_jPlPS6_PKS6_NS0_5tupleIJS9_S6_EEENSD_IJSA_SA_EEENS0_18inequality_wrapperIZN2at6native12_GLOBAL__N_124unique_dim_cuda_templateIbEESt5tupleIJNSH_6TensorESM_SM_EERKSM_lbbbEUlllE0_EEPmJS6_EEE10hipError_tPvRmT3_T4_T5_T6_T7_T9_mT8_P12ihipStream_tbDpT10_ENKUlT_T0_E_clISt17integral_constantIbLb0EES1B_IbLb1EEEEDaS17_S18_EUlS17_E_NS1_11comp_targetILNS1_3genE5ELNS1_11target_archE942ELNS1_3gpuE9ELNS1_3repE0EEENS1_30default_config_static_selectorELNS0_4arch9wavefront6targetE1EEEvT1_, .Lfunc_end1076-_ZN7rocprim17ROCPRIM_400000_NS6detail17trampoline_kernelINS0_14default_configENS1_25partition_config_selectorILNS1_17partition_subalgoE8ElNS0_10empty_typeEbEEZZNS1_14partition_implILS5_8ELb0ES3_jPlPS6_PKS6_NS0_5tupleIJS9_S6_EEENSD_IJSA_SA_EEENS0_18inequality_wrapperIZN2at6native12_GLOBAL__N_124unique_dim_cuda_templateIbEESt5tupleIJNSH_6TensorESM_SM_EERKSM_lbbbEUlllE0_EEPmJS6_EEE10hipError_tPvRmT3_T4_T5_T6_T7_T9_mT8_P12ihipStream_tbDpT10_ENKUlT_T0_E_clISt17integral_constantIbLb0EES1B_IbLb1EEEEDaS17_S18_EUlS17_E_NS1_11comp_targetILNS1_3genE5ELNS1_11target_archE942ELNS1_3gpuE9ELNS1_3repE0EEENS1_30default_config_static_selectorELNS0_4arch9wavefront6targetE1EEEvT1_
                                        ; -- End function
	.set _ZN7rocprim17ROCPRIM_400000_NS6detail17trampoline_kernelINS0_14default_configENS1_25partition_config_selectorILNS1_17partition_subalgoE8ElNS0_10empty_typeEbEEZZNS1_14partition_implILS5_8ELb0ES3_jPlPS6_PKS6_NS0_5tupleIJS9_S6_EEENSD_IJSA_SA_EEENS0_18inequality_wrapperIZN2at6native12_GLOBAL__N_124unique_dim_cuda_templateIbEESt5tupleIJNSH_6TensorESM_SM_EERKSM_lbbbEUlllE0_EEPmJS6_EEE10hipError_tPvRmT3_T4_T5_T6_T7_T9_mT8_P12ihipStream_tbDpT10_ENKUlT_T0_E_clISt17integral_constantIbLb0EES1B_IbLb1EEEEDaS17_S18_EUlS17_E_NS1_11comp_targetILNS1_3genE5ELNS1_11target_archE942ELNS1_3gpuE9ELNS1_3repE0EEENS1_30default_config_static_selectorELNS0_4arch9wavefront6targetE1EEEvT1_.num_vgpr, 0
	.set _ZN7rocprim17ROCPRIM_400000_NS6detail17trampoline_kernelINS0_14default_configENS1_25partition_config_selectorILNS1_17partition_subalgoE8ElNS0_10empty_typeEbEEZZNS1_14partition_implILS5_8ELb0ES3_jPlPS6_PKS6_NS0_5tupleIJS9_S6_EEENSD_IJSA_SA_EEENS0_18inequality_wrapperIZN2at6native12_GLOBAL__N_124unique_dim_cuda_templateIbEESt5tupleIJNSH_6TensorESM_SM_EERKSM_lbbbEUlllE0_EEPmJS6_EEE10hipError_tPvRmT3_T4_T5_T6_T7_T9_mT8_P12ihipStream_tbDpT10_ENKUlT_T0_E_clISt17integral_constantIbLb0EES1B_IbLb1EEEEDaS17_S18_EUlS17_E_NS1_11comp_targetILNS1_3genE5ELNS1_11target_archE942ELNS1_3gpuE9ELNS1_3repE0EEENS1_30default_config_static_selectorELNS0_4arch9wavefront6targetE1EEEvT1_.num_agpr, 0
	.set _ZN7rocprim17ROCPRIM_400000_NS6detail17trampoline_kernelINS0_14default_configENS1_25partition_config_selectorILNS1_17partition_subalgoE8ElNS0_10empty_typeEbEEZZNS1_14partition_implILS5_8ELb0ES3_jPlPS6_PKS6_NS0_5tupleIJS9_S6_EEENSD_IJSA_SA_EEENS0_18inequality_wrapperIZN2at6native12_GLOBAL__N_124unique_dim_cuda_templateIbEESt5tupleIJNSH_6TensorESM_SM_EERKSM_lbbbEUlllE0_EEPmJS6_EEE10hipError_tPvRmT3_T4_T5_T6_T7_T9_mT8_P12ihipStream_tbDpT10_ENKUlT_T0_E_clISt17integral_constantIbLb0EES1B_IbLb1EEEEDaS17_S18_EUlS17_E_NS1_11comp_targetILNS1_3genE5ELNS1_11target_archE942ELNS1_3gpuE9ELNS1_3repE0EEENS1_30default_config_static_selectorELNS0_4arch9wavefront6targetE1EEEvT1_.numbered_sgpr, 0
	.set _ZN7rocprim17ROCPRIM_400000_NS6detail17trampoline_kernelINS0_14default_configENS1_25partition_config_selectorILNS1_17partition_subalgoE8ElNS0_10empty_typeEbEEZZNS1_14partition_implILS5_8ELb0ES3_jPlPS6_PKS6_NS0_5tupleIJS9_S6_EEENSD_IJSA_SA_EEENS0_18inequality_wrapperIZN2at6native12_GLOBAL__N_124unique_dim_cuda_templateIbEESt5tupleIJNSH_6TensorESM_SM_EERKSM_lbbbEUlllE0_EEPmJS6_EEE10hipError_tPvRmT3_T4_T5_T6_T7_T9_mT8_P12ihipStream_tbDpT10_ENKUlT_T0_E_clISt17integral_constantIbLb0EES1B_IbLb1EEEEDaS17_S18_EUlS17_E_NS1_11comp_targetILNS1_3genE5ELNS1_11target_archE942ELNS1_3gpuE9ELNS1_3repE0EEENS1_30default_config_static_selectorELNS0_4arch9wavefront6targetE1EEEvT1_.num_named_barrier, 0
	.set _ZN7rocprim17ROCPRIM_400000_NS6detail17trampoline_kernelINS0_14default_configENS1_25partition_config_selectorILNS1_17partition_subalgoE8ElNS0_10empty_typeEbEEZZNS1_14partition_implILS5_8ELb0ES3_jPlPS6_PKS6_NS0_5tupleIJS9_S6_EEENSD_IJSA_SA_EEENS0_18inequality_wrapperIZN2at6native12_GLOBAL__N_124unique_dim_cuda_templateIbEESt5tupleIJNSH_6TensorESM_SM_EERKSM_lbbbEUlllE0_EEPmJS6_EEE10hipError_tPvRmT3_T4_T5_T6_T7_T9_mT8_P12ihipStream_tbDpT10_ENKUlT_T0_E_clISt17integral_constantIbLb0EES1B_IbLb1EEEEDaS17_S18_EUlS17_E_NS1_11comp_targetILNS1_3genE5ELNS1_11target_archE942ELNS1_3gpuE9ELNS1_3repE0EEENS1_30default_config_static_selectorELNS0_4arch9wavefront6targetE1EEEvT1_.private_seg_size, 0
	.set _ZN7rocprim17ROCPRIM_400000_NS6detail17trampoline_kernelINS0_14default_configENS1_25partition_config_selectorILNS1_17partition_subalgoE8ElNS0_10empty_typeEbEEZZNS1_14partition_implILS5_8ELb0ES3_jPlPS6_PKS6_NS0_5tupleIJS9_S6_EEENSD_IJSA_SA_EEENS0_18inequality_wrapperIZN2at6native12_GLOBAL__N_124unique_dim_cuda_templateIbEESt5tupleIJNSH_6TensorESM_SM_EERKSM_lbbbEUlllE0_EEPmJS6_EEE10hipError_tPvRmT3_T4_T5_T6_T7_T9_mT8_P12ihipStream_tbDpT10_ENKUlT_T0_E_clISt17integral_constantIbLb0EES1B_IbLb1EEEEDaS17_S18_EUlS17_E_NS1_11comp_targetILNS1_3genE5ELNS1_11target_archE942ELNS1_3gpuE9ELNS1_3repE0EEENS1_30default_config_static_selectorELNS0_4arch9wavefront6targetE1EEEvT1_.uses_vcc, 0
	.set _ZN7rocprim17ROCPRIM_400000_NS6detail17trampoline_kernelINS0_14default_configENS1_25partition_config_selectorILNS1_17partition_subalgoE8ElNS0_10empty_typeEbEEZZNS1_14partition_implILS5_8ELb0ES3_jPlPS6_PKS6_NS0_5tupleIJS9_S6_EEENSD_IJSA_SA_EEENS0_18inequality_wrapperIZN2at6native12_GLOBAL__N_124unique_dim_cuda_templateIbEESt5tupleIJNSH_6TensorESM_SM_EERKSM_lbbbEUlllE0_EEPmJS6_EEE10hipError_tPvRmT3_T4_T5_T6_T7_T9_mT8_P12ihipStream_tbDpT10_ENKUlT_T0_E_clISt17integral_constantIbLb0EES1B_IbLb1EEEEDaS17_S18_EUlS17_E_NS1_11comp_targetILNS1_3genE5ELNS1_11target_archE942ELNS1_3gpuE9ELNS1_3repE0EEENS1_30default_config_static_selectorELNS0_4arch9wavefront6targetE1EEEvT1_.uses_flat_scratch, 0
	.set _ZN7rocprim17ROCPRIM_400000_NS6detail17trampoline_kernelINS0_14default_configENS1_25partition_config_selectorILNS1_17partition_subalgoE8ElNS0_10empty_typeEbEEZZNS1_14partition_implILS5_8ELb0ES3_jPlPS6_PKS6_NS0_5tupleIJS9_S6_EEENSD_IJSA_SA_EEENS0_18inequality_wrapperIZN2at6native12_GLOBAL__N_124unique_dim_cuda_templateIbEESt5tupleIJNSH_6TensorESM_SM_EERKSM_lbbbEUlllE0_EEPmJS6_EEE10hipError_tPvRmT3_T4_T5_T6_T7_T9_mT8_P12ihipStream_tbDpT10_ENKUlT_T0_E_clISt17integral_constantIbLb0EES1B_IbLb1EEEEDaS17_S18_EUlS17_E_NS1_11comp_targetILNS1_3genE5ELNS1_11target_archE942ELNS1_3gpuE9ELNS1_3repE0EEENS1_30default_config_static_selectorELNS0_4arch9wavefront6targetE1EEEvT1_.has_dyn_sized_stack, 0
	.set _ZN7rocprim17ROCPRIM_400000_NS6detail17trampoline_kernelINS0_14default_configENS1_25partition_config_selectorILNS1_17partition_subalgoE8ElNS0_10empty_typeEbEEZZNS1_14partition_implILS5_8ELb0ES3_jPlPS6_PKS6_NS0_5tupleIJS9_S6_EEENSD_IJSA_SA_EEENS0_18inequality_wrapperIZN2at6native12_GLOBAL__N_124unique_dim_cuda_templateIbEESt5tupleIJNSH_6TensorESM_SM_EERKSM_lbbbEUlllE0_EEPmJS6_EEE10hipError_tPvRmT3_T4_T5_T6_T7_T9_mT8_P12ihipStream_tbDpT10_ENKUlT_T0_E_clISt17integral_constantIbLb0EES1B_IbLb1EEEEDaS17_S18_EUlS17_E_NS1_11comp_targetILNS1_3genE5ELNS1_11target_archE942ELNS1_3gpuE9ELNS1_3repE0EEENS1_30default_config_static_selectorELNS0_4arch9wavefront6targetE1EEEvT1_.has_recursion, 0
	.set _ZN7rocprim17ROCPRIM_400000_NS6detail17trampoline_kernelINS0_14default_configENS1_25partition_config_selectorILNS1_17partition_subalgoE8ElNS0_10empty_typeEbEEZZNS1_14partition_implILS5_8ELb0ES3_jPlPS6_PKS6_NS0_5tupleIJS9_S6_EEENSD_IJSA_SA_EEENS0_18inequality_wrapperIZN2at6native12_GLOBAL__N_124unique_dim_cuda_templateIbEESt5tupleIJNSH_6TensorESM_SM_EERKSM_lbbbEUlllE0_EEPmJS6_EEE10hipError_tPvRmT3_T4_T5_T6_T7_T9_mT8_P12ihipStream_tbDpT10_ENKUlT_T0_E_clISt17integral_constantIbLb0EES1B_IbLb1EEEEDaS17_S18_EUlS17_E_NS1_11comp_targetILNS1_3genE5ELNS1_11target_archE942ELNS1_3gpuE9ELNS1_3repE0EEENS1_30default_config_static_selectorELNS0_4arch9wavefront6targetE1EEEvT1_.has_indirect_call, 0
	.section	.AMDGPU.csdata,"",@progbits
; Kernel info:
; codeLenInByte = 0
; TotalNumSgprs: 6
; NumVgprs: 0
; NumAgprs: 0
; TotalNumVgprs: 0
; ScratchSize: 0
; MemoryBound: 0
; FloatMode: 240
; IeeeMode: 1
; LDSByteSize: 0 bytes/workgroup (compile time only)
; SGPRBlocks: 0
; VGPRBlocks: 0
; NumSGPRsForWavesPerEU: 6
; NumVGPRsForWavesPerEU: 1
; AccumOffset: 4
; Occupancy: 8
; WaveLimiterHint : 0
; COMPUTE_PGM_RSRC2:SCRATCH_EN: 0
; COMPUTE_PGM_RSRC2:USER_SGPR: 2
; COMPUTE_PGM_RSRC2:TRAP_HANDLER: 0
; COMPUTE_PGM_RSRC2:TGID_X_EN: 1
; COMPUTE_PGM_RSRC2:TGID_Y_EN: 0
; COMPUTE_PGM_RSRC2:TGID_Z_EN: 0
; COMPUTE_PGM_RSRC2:TIDIG_COMP_CNT: 0
; COMPUTE_PGM_RSRC3_GFX90A:ACCUM_OFFSET: 0
; COMPUTE_PGM_RSRC3_GFX90A:TG_SPLIT: 0
	.section	.text._ZN7rocprim17ROCPRIM_400000_NS6detail17trampoline_kernelINS0_14default_configENS1_25partition_config_selectorILNS1_17partition_subalgoE8ElNS0_10empty_typeEbEEZZNS1_14partition_implILS5_8ELb0ES3_jPlPS6_PKS6_NS0_5tupleIJS9_S6_EEENSD_IJSA_SA_EEENS0_18inequality_wrapperIZN2at6native12_GLOBAL__N_124unique_dim_cuda_templateIbEESt5tupleIJNSH_6TensorESM_SM_EERKSM_lbbbEUlllE0_EEPmJS6_EEE10hipError_tPvRmT3_T4_T5_T6_T7_T9_mT8_P12ihipStream_tbDpT10_ENKUlT_T0_E_clISt17integral_constantIbLb0EES1B_IbLb1EEEEDaS17_S18_EUlS17_E_NS1_11comp_targetILNS1_3genE4ELNS1_11target_archE910ELNS1_3gpuE8ELNS1_3repE0EEENS1_30default_config_static_selectorELNS0_4arch9wavefront6targetE1EEEvT1_,"axG",@progbits,_ZN7rocprim17ROCPRIM_400000_NS6detail17trampoline_kernelINS0_14default_configENS1_25partition_config_selectorILNS1_17partition_subalgoE8ElNS0_10empty_typeEbEEZZNS1_14partition_implILS5_8ELb0ES3_jPlPS6_PKS6_NS0_5tupleIJS9_S6_EEENSD_IJSA_SA_EEENS0_18inequality_wrapperIZN2at6native12_GLOBAL__N_124unique_dim_cuda_templateIbEESt5tupleIJNSH_6TensorESM_SM_EERKSM_lbbbEUlllE0_EEPmJS6_EEE10hipError_tPvRmT3_T4_T5_T6_T7_T9_mT8_P12ihipStream_tbDpT10_ENKUlT_T0_E_clISt17integral_constantIbLb0EES1B_IbLb1EEEEDaS17_S18_EUlS17_E_NS1_11comp_targetILNS1_3genE4ELNS1_11target_archE910ELNS1_3gpuE8ELNS1_3repE0EEENS1_30default_config_static_selectorELNS0_4arch9wavefront6targetE1EEEvT1_,comdat
	.globl	_ZN7rocprim17ROCPRIM_400000_NS6detail17trampoline_kernelINS0_14default_configENS1_25partition_config_selectorILNS1_17partition_subalgoE8ElNS0_10empty_typeEbEEZZNS1_14partition_implILS5_8ELb0ES3_jPlPS6_PKS6_NS0_5tupleIJS9_S6_EEENSD_IJSA_SA_EEENS0_18inequality_wrapperIZN2at6native12_GLOBAL__N_124unique_dim_cuda_templateIbEESt5tupleIJNSH_6TensorESM_SM_EERKSM_lbbbEUlllE0_EEPmJS6_EEE10hipError_tPvRmT3_T4_T5_T6_T7_T9_mT8_P12ihipStream_tbDpT10_ENKUlT_T0_E_clISt17integral_constantIbLb0EES1B_IbLb1EEEEDaS17_S18_EUlS17_E_NS1_11comp_targetILNS1_3genE4ELNS1_11target_archE910ELNS1_3gpuE8ELNS1_3repE0EEENS1_30default_config_static_selectorELNS0_4arch9wavefront6targetE1EEEvT1_ ; -- Begin function _ZN7rocprim17ROCPRIM_400000_NS6detail17trampoline_kernelINS0_14default_configENS1_25partition_config_selectorILNS1_17partition_subalgoE8ElNS0_10empty_typeEbEEZZNS1_14partition_implILS5_8ELb0ES3_jPlPS6_PKS6_NS0_5tupleIJS9_S6_EEENSD_IJSA_SA_EEENS0_18inequality_wrapperIZN2at6native12_GLOBAL__N_124unique_dim_cuda_templateIbEESt5tupleIJNSH_6TensorESM_SM_EERKSM_lbbbEUlllE0_EEPmJS6_EEE10hipError_tPvRmT3_T4_T5_T6_T7_T9_mT8_P12ihipStream_tbDpT10_ENKUlT_T0_E_clISt17integral_constantIbLb0EES1B_IbLb1EEEEDaS17_S18_EUlS17_E_NS1_11comp_targetILNS1_3genE4ELNS1_11target_archE910ELNS1_3gpuE8ELNS1_3repE0EEENS1_30default_config_static_selectorELNS0_4arch9wavefront6targetE1EEEvT1_
	.p2align	8
	.type	_ZN7rocprim17ROCPRIM_400000_NS6detail17trampoline_kernelINS0_14default_configENS1_25partition_config_selectorILNS1_17partition_subalgoE8ElNS0_10empty_typeEbEEZZNS1_14partition_implILS5_8ELb0ES3_jPlPS6_PKS6_NS0_5tupleIJS9_S6_EEENSD_IJSA_SA_EEENS0_18inequality_wrapperIZN2at6native12_GLOBAL__N_124unique_dim_cuda_templateIbEESt5tupleIJNSH_6TensorESM_SM_EERKSM_lbbbEUlllE0_EEPmJS6_EEE10hipError_tPvRmT3_T4_T5_T6_T7_T9_mT8_P12ihipStream_tbDpT10_ENKUlT_T0_E_clISt17integral_constantIbLb0EES1B_IbLb1EEEEDaS17_S18_EUlS17_E_NS1_11comp_targetILNS1_3genE4ELNS1_11target_archE910ELNS1_3gpuE8ELNS1_3repE0EEENS1_30default_config_static_selectorELNS0_4arch9wavefront6targetE1EEEvT1_,@function
_ZN7rocprim17ROCPRIM_400000_NS6detail17trampoline_kernelINS0_14default_configENS1_25partition_config_selectorILNS1_17partition_subalgoE8ElNS0_10empty_typeEbEEZZNS1_14partition_implILS5_8ELb0ES3_jPlPS6_PKS6_NS0_5tupleIJS9_S6_EEENSD_IJSA_SA_EEENS0_18inequality_wrapperIZN2at6native12_GLOBAL__N_124unique_dim_cuda_templateIbEESt5tupleIJNSH_6TensorESM_SM_EERKSM_lbbbEUlllE0_EEPmJS6_EEE10hipError_tPvRmT3_T4_T5_T6_T7_T9_mT8_P12ihipStream_tbDpT10_ENKUlT_T0_E_clISt17integral_constantIbLb0EES1B_IbLb1EEEEDaS17_S18_EUlS17_E_NS1_11comp_targetILNS1_3genE4ELNS1_11target_archE910ELNS1_3gpuE8ELNS1_3repE0EEENS1_30default_config_static_selectorELNS0_4arch9wavefront6targetE1EEEvT1_: ; @_ZN7rocprim17ROCPRIM_400000_NS6detail17trampoline_kernelINS0_14default_configENS1_25partition_config_selectorILNS1_17partition_subalgoE8ElNS0_10empty_typeEbEEZZNS1_14partition_implILS5_8ELb0ES3_jPlPS6_PKS6_NS0_5tupleIJS9_S6_EEENSD_IJSA_SA_EEENS0_18inequality_wrapperIZN2at6native12_GLOBAL__N_124unique_dim_cuda_templateIbEESt5tupleIJNSH_6TensorESM_SM_EERKSM_lbbbEUlllE0_EEPmJS6_EEE10hipError_tPvRmT3_T4_T5_T6_T7_T9_mT8_P12ihipStream_tbDpT10_ENKUlT_T0_E_clISt17integral_constantIbLb0EES1B_IbLb1EEEEDaS17_S18_EUlS17_E_NS1_11comp_targetILNS1_3genE4ELNS1_11target_archE910ELNS1_3gpuE8ELNS1_3repE0EEENS1_30default_config_static_selectorELNS0_4arch9wavefront6targetE1EEEvT1_
; %bb.0:
	.section	.rodata,"a",@progbits
	.p2align	6, 0x0
	.amdhsa_kernel _ZN7rocprim17ROCPRIM_400000_NS6detail17trampoline_kernelINS0_14default_configENS1_25partition_config_selectorILNS1_17partition_subalgoE8ElNS0_10empty_typeEbEEZZNS1_14partition_implILS5_8ELb0ES3_jPlPS6_PKS6_NS0_5tupleIJS9_S6_EEENSD_IJSA_SA_EEENS0_18inequality_wrapperIZN2at6native12_GLOBAL__N_124unique_dim_cuda_templateIbEESt5tupleIJNSH_6TensorESM_SM_EERKSM_lbbbEUlllE0_EEPmJS6_EEE10hipError_tPvRmT3_T4_T5_T6_T7_T9_mT8_P12ihipStream_tbDpT10_ENKUlT_T0_E_clISt17integral_constantIbLb0EES1B_IbLb1EEEEDaS17_S18_EUlS17_E_NS1_11comp_targetILNS1_3genE4ELNS1_11target_archE910ELNS1_3gpuE8ELNS1_3repE0EEENS1_30default_config_static_selectorELNS0_4arch9wavefront6targetE1EEEvT1_
		.amdhsa_group_segment_fixed_size 0
		.amdhsa_private_segment_fixed_size 0
		.amdhsa_kernarg_size 136
		.amdhsa_user_sgpr_count 2
		.amdhsa_user_sgpr_dispatch_ptr 0
		.amdhsa_user_sgpr_queue_ptr 0
		.amdhsa_user_sgpr_kernarg_segment_ptr 1
		.amdhsa_user_sgpr_dispatch_id 0
		.amdhsa_user_sgpr_kernarg_preload_length 0
		.amdhsa_user_sgpr_kernarg_preload_offset 0
		.amdhsa_user_sgpr_private_segment_size 0
		.amdhsa_uses_dynamic_stack 0
		.amdhsa_enable_private_segment 0
		.amdhsa_system_sgpr_workgroup_id_x 1
		.amdhsa_system_sgpr_workgroup_id_y 0
		.amdhsa_system_sgpr_workgroup_id_z 0
		.amdhsa_system_sgpr_workgroup_info 0
		.amdhsa_system_vgpr_workitem_id 0
		.amdhsa_next_free_vgpr 1
		.amdhsa_next_free_sgpr 0
		.amdhsa_accum_offset 4
		.amdhsa_reserve_vcc 0
		.amdhsa_float_round_mode_32 0
		.amdhsa_float_round_mode_16_64 0
		.amdhsa_float_denorm_mode_32 3
		.amdhsa_float_denorm_mode_16_64 3
		.amdhsa_dx10_clamp 1
		.amdhsa_ieee_mode 1
		.amdhsa_fp16_overflow 0
		.amdhsa_tg_split 0
		.amdhsa_exception_fp_ieee_invalid_op 0
		.amdhsa_exception_fp_denorm_src 0
		.amdhsa_exception_fp_ieee_div_zero 0
		.amdhsa_exception_fp_ieee_overflow 0
		.amdhsa_exception_fp_ieee_underflow 0
		.amdhsa_exception_fp_ieee_inexact 0
		.amdhsa_exception_int_div_zero 0
	.end_amdhsa_kernel
	.section	.text._ZN7rocprim17ROCPRIM_400000_NS6detail17trampoline_kernelINS0_14default_configENS1_25partition_config_selectorILNS1_17partition_subalgoE8ElNS0_10empty_typeEbEEZZNS1_14partition_implILS5_8ELb0ES3_jPlPS6_PKS6_NS0_5tupleIJS9_S6_EEENSD_IJSA_SA_EEENS0_18inequality_wrapperIZN2at6native12_GLOBAL__N_124unique_dim_cuda_templateIbEESt5tupleIJNSH_6TensorESM_SM_EERKSM_lbbbEUlllE0_EEPmJS6_EEE10hipError_tPvRmT3_T4_T5_T6_T7_T9_mT8_P12ihipStream_tbDpT10_ENKUlT_T0_E_clISt17integral_constantIbLb0EES1B_IbLb1EEEEDaS17_S18_EUlS17_E_NS1_11comp_targetILNS1_3genE4ELNS1_11target_archE910ELNS1_3gpuE8ELNS1_3repE0EEENS1_30default_config_static_selectorELNS0_4arch9wavefront6targetE1EEEvT1_,"axG",@progbits,_ZN7rocprim17ROCPRIM_400000_NS6detail17trampoline_kernelINS0_14default_configENS1_25partition_config_selectorILNS1_17partition_subalgoE8ElNS0_10empty_typeEbEEZZNS1_14partition_implILS5_8ELb0ES3_jPlPS6_PKS6_NS0_5tupleIJS9_S6_EEENSD_IJSA_SA_EEENS0_18inequality_wrapperIZN2at6native12_GLOBAL__N_124unique_dim_cuda_templateIbEESt5tupleIJNSH_6TensorESM_SM_EERKSM_lbbbEUlllE0_EEPmJS6_EEE10hipError_tPvRmT3_T4_T5_T6_T7_T9_mT8_P12ihipStream_tbDpT10_ENKUlT_T0_E_clISt17integral_constantIbLb0EES1B_IbLb1EEEEDaS17_S18_EUlS17_E_NS1_11comp_targetILNS1_3genE4ELNS1_11target_archE910ELNS1_3gpuE8ELNS1_3repE0EEENS1_30default_config_static_selectorELNS0_4arch9wavefront6targetE1EEEvT1_,comdat
.Lfunc_end1077:
	.size	_ZN7rocprim17ROCPRIM_400000_NS6detail17trampoline_kernelINS0_14default_configENS1_25partition_config_selectorILNS1_17partition_subalgoE8ElNS0_10empty_typeEbEEZZNS1_14partition_implILS5_8ELb0ES3_jPlPS6_PKS6_NS0_5tupleIJS9_S6_EEENSD_IJSA_SA_EEENS0_18inequality_wrapperIZN2at6native12_GLOBAL__N_124unique_dim_cuda_templateIbEESt5tupleIJNSH_6TensorESM_SM_EERKSM_lbbbEUlllE0_EEPmJS6_EEE10hipError_tPvRmT3_T4_T5_T6_T7_T9_mT8_P12ihipStream_tbDpT10_ENKUlT_T0_E_clISt17integral_constantIbLb0EES1B_IbLb1EEEEDaS17_S18_EUlS17_E_NS1_11comp_targetILNS1_3genE4ELNS1_11target_archE910ELNS1_3gpuE8ELNS1_3repE0EEENS1_30default_config_static_selectorELNS0_4arch9wavefront6targetE1EEEvT1_, .Lfunc_end1077-_ZN7rocprim17ROCPRIM_400000_NS6detail17trampoline_kernelINS0_14default_configENS1_25partition_config_selectorILNS1_17partition_subalgoE8ElNS0_10empty_typeEbEEZZNS1_14partition_implILS5_8ELb0ES3_jPlPS6_PKS6_NS0_5tupleIJS9_S6_EEENSD_IJSA_SA_EEENS0_18inequality_wrapperIZN2at6native12_GLOBAL__N_124unique_dim_cuda_templateIbEESt5tupleIJNSH_6TensorESM_SM_EERKSM_lbbbEUlllE0_EEPmJS6_EEE10hipError_tPvRmT3_T4_T5_T6_T7_T9_mT8_P12ihipStream_tbDpT10_ENKUlT_T0_E_clISt17integral_constantIbLb0EES1B_IbLb1EEEEDaS17_S18_EUlS17_E_NS1_11comp_targetILNS1_3genE4ELNS1_11target_archE910ELNS1_3gpuE8ELNS1_3repE0EEENS1_30default_config_static_selectorELNS0_4arch9wavefront6targetE1EEEvT1_
                                        ; -- End function
	.set _ZN7rocprim17ROCPRIM_400000_NS6detail17trampoline_kernelINS0_14default_configENS1_25partition_config_selectorILNS1_17partition_subalgoE8ElNS0_10empty_typeEbEEZZNS1_14partition_implILS5_8ELb0ES3_jPlPS6_PKS6_NS0_5tupleIJS9_S6_EEENSD_IJSA_SA_EEENS0_18inequality_wrapperIZN2at6native12_GLOBAL__N_124unique_dim_cuda_templateIbEESt5tupleIJNSH_6TensorESM_SM_EERKSM_lbbbEUlllE0_EEPmJS6_EEE10hipError_tPvRmT3_T4_T5_T6_T7_T9_mT8_P12ihipStream_tbDpT10_ENKUlT_T0_E_clISt17integral_constantIbLb0EES1B_IbLb1EEEEDaS17_S18_EUlS17_E_NS1_11comp_targetILNS1_3genE4ELNS1_11target_archE910ELNS1_3gpuE8ELNS1_3repE0EEENS1_30default_config_static_selectorELNS0_4arch9wavefront6targetE1EEEvT1_.num_vgpr, 0
	.set _ZN7rocprim17ROCPRIM_400000_NS6detail17trampoline_kernelINS0_14default_configENS1_25partition_config_selectorILNS1_17partition_subalgoE8ElNS0_10empty_typeEbEEZZNS1_14partition_implILS5_8ELb0ES3_jPlPS6_PKS6_NS0_5tupleIJS9_S6_EEENSD_IJSA_SA_EEENS0_18inequality_wrapperIZN2at6native12_GLOBAL__N_124unique_dim_cuda_templateIbEESt5tupleIJNSH_6TensorESM_SM_EERKSM_lbbbEUlllE0_EEPmJS6_EEE10hipError_tPvRmT3_T4_T5_T6_T7_T9_mT8_P12ihipStream_tbDpT10_ENKUlT_T0_E_clISt17integral_constantIbLb0EES1B_IbLb1EEEEDaS17_S18_EUlS17_E_NS1_11comp_targetILNS1_3genE4ELNS1_11target_archE910ELNS1_3gpuE8ELNS1_3repE0EEENS1_30default_config_static_selectorELNS0_4arch9wavefront6targetE1EEEvT1_.num_agpr, 0
	.set _ZN7rocprim17ROCPRIM_400000_NS6detail17trampoline_kernelINS0_14default_configENS1_25partition_config_selectorILNS1_17partition_subalgoE8ElNS0_10empty_typeEbEEZZNS1_14partition_implILS5_8ELb0ES3_jPlPS6_PKS6_NS0_5tupleIJS9_S6_EEENSD_IJSA_SA_EEENS0_18inequality_wrapperIZN2at6native12_GLOBAL__N_124unique_dim_cuda_templateIbEESt5tupleIJNSH_6TensorESM_SM_EERKSM_lbbbEUlllE0_EEPmJS6_EEE10hipError_tPvRmT3_T4_T5_T6_T7_T9_mT8_P12ihipStream_tbDpT10_ENKUlT_T0_E_clISt17integral_constantIbLb0EES1B_IbLb1EEEEDaS17_S18_EUlS17_E_NS1_11comp_targetILNS1_3genE4ELNS1_11target_archE910ELNS1_3gpuE8ELNS1_3repE0EEENS1_30default_config_static_selectorELNS0_4arch9wavefront6targetE1EEEvT1_.numbered_sgpr, 0
	.set _ZN7rocprim17ROCPRIM_400000_NS6detail17trampoline_kernelINS0_14default_configENS1_25partition_config_selectorILNS1_17partition_subalgoE8ElNS0_10empty_typeEbEEZZNS1_14partition_implILS5_8ELb0ES3_jPlPS6_PKS6_NS0_5tupleIJS9_S6_EEENSD_IJSA_SA_EEENS0_18inequality_wrapperIZN2at6native12_GLOBAL__N_124unique_dim_cuda_templateIbEESt5tupleIJNSH_6TensorESM_SM_EERKSM_lbbbEUlllE0_EEPmJS6_EEE10hipError_tPvRmT3_T4_T5_T6_T7_T9_mT8_P12ihipStream_tbDpT10_ENKUlT_T0_E_clISt17integral_constantIbLb0EES1B_IbLb1EEEEDaS17_S18_EUlS17_E_NS1_11comp_targetILNS1_3genE4ELNS1_11target_archE910ELNS1_3gpuE8ELNS1_3repE0EEENS1_30default_config_static_selectorELNS0_4arch9wavefront6targetE1EEEvT1_.num_named_barrier, 0
	.set _ZN7rocprim17ROCPRIM_400000_NS6detail17trampoline_kernelINS0_14default_configENS1_25partition_config_selectorILNS1_17partition_subalgoE8ElNS0_10empty_typeEbEEZZNS1_14partition_implILS5_8ELb0ES3_jPlPS6_PKS6_NS0_5tupleIJS9_S6_EEENSD_IJSA_SA_EEENS0_18inequality_wrapperIZN2at6native12_GLOBAL__N_124unique_dim_cuda_templateIbEESt5tupleIJNSH_6TensorESM_SM_EERKSM_lbbbEUlllE0_EEPmJS6_EEE10hipError_tPvRmT3_T4_T5_T6_T7_T9_mT8_P12ihipStream_tbDpT10_ENKUlT_T0_E_clISt17integral_constantIbLb0EES1B_IbLb1EEEEDaS17_S18_EUlS17_E_NS1_11comp_targetILNS1_3genE4ELNS1_11target_archE910ELNS1_3gpuE8ELNS1_3repE0EEENS1_30default_config_static_selectorELNS0_4arch9wavefront6targetE1EEEvT1_.private_seg_size, 0
	.set _ZN7rocprim17ROCPRIM_400000_NS6detail17trampoline_kernelINS0_14default_configENS1_25partition_config_selectorILNS1_17partition_subalgoE8ElNS0_10empty_typeEbEEZZNS1_14partition_implILS5_8ELb0ES3_jPlPS6_PKS6_NS0_5tupleIJS9_S6_EEENSD_IJSA_SA_EEENS0_18inequality_wrapperIZN2at6native12_GLOBAL__N_124unique_dim_cuda_templateIbEESt5tupleIJNSH_6TensorESM_SM_EERKSM_lbbbEUlllE0_EEPmJS6_EEE10hipError_tPvRmT3_T4_T5_T6_T7_T9_mT8_P12ihipStream_tbDpT10_ENKUlT_T0_E_clISt17integral_constantIbLb0EES1B_IbLb1EEEEDaS17_S18_EUlS17_E_NS1_11comp_targetILNS1_3genE4ELNS1_11target_archE910ELNS1_3gpuE8ELNS1_3repE0EEENS1_30default_config_static_selectorELNS0_4arch9wavefront6targetE1EEEvT1_.uses_vcc, 0
	.set _ZN7rocprim17ROCPRIM_400000_NS6detail17trampoline_kernelINS0_14default_configENS1_25partition_config_selectorILNS1_17partition_subalgoE8ElNS0_10empty_typeEbEEZZNS1_14partition_implILS5_8ELb0ES3_jPlPS6_PKS6_NS0_5tupleIJS9_S6_EEENSD_IJSA_SA_EEENS0_18inequality_wrapperIZN2at6native12_GLOBAL__N_124unique_dim_cuda_templateIbEESt5tupleIJNSH_6TensorESM_SM_EERKSM_lbbbEUlllE0_EEPmJS6_EEE10hipError_tPvRmT3_T4_T5_T6_T7_T9_mT8_P12ihipStream_tbDpT10_ENKUlT_T0_E_clISt17integral_constantIbLb0EES1B_IbLb1EEEEDaS17_S18_EUlS17_E_NS1_11comp_targetILNS1_3genE4ELNS1_11target_archE910ELNS1_3gpuE8ELNS1_3repE0EEENS1_30default_config_static_selectorELNS0_4arch9wavefront6targetE1EEEvT1_.uses_flat_scratch, 0
	.set _ZN7rocprim17ROCPRIM_400000_NS6detail17trampoline_kernelINS0_14default_configENS1_25partition_config_selectorILNS1_17partition_subalgoE8ElNS0_10empty_typeEbEEZZNS1_14partition_implILS5_8ELb0ES3_jPlPS6_PKS6_NS0_5tupleIJS9_S6_EEENSD_IJSA_SA_EEENS0_18inequality_wrapperIZN2at6native12_GLOBAL__N_124unique_dim_cuda_templateIbEESt5tupleIJNSH_6TensorESM_SM_EERKSM_lbbbEUlllE0_EEPmJS6_EEE10hipError_tPvRmT3_T4_T5_T6_T7_T9_mT8_P12ihipStream_tbDpT10_ENKUlT_T0_E_clISt17integral_constantIbLb0EES1B_IbLb1EEEEDaS17_S18_EUlS17_E_NS1_11comp_targetILNS1_3genE4ELNS1_11target_archE910ELNS1_3gpuE8ELNS1_3repE0EEENS1_30default_config_static_selectorELNS0_4arch9wavefront6targetE1EEEvT1_.has_dyn_sized_stack, 0
	.set _ZN7rocprim17ROCPRIM_400000_NS6detail17trampoline_kernelINS0_14default_configENS1_25partition_config_selectorILNS1_17partition_subalgoE8ElNS0_10empty_typeEbEEZZNS1_14partition_implILS5_8ELb0ES3_jPlPS6_PKS6_NS0_5tupleIJS9_S6_EEENSD_IJSA_SA_EEENS0_18inequality_wrapperIZN2at6native12_GLOBAL__N_124unique_dim_cuda_templateIbEESt5tupleIJNSH_6TensorESM_SM_EERKSM_lbbbEUlllE0_EEPmJS6_EEE10hipError_tPvRmT3_T4_T5_T6_T7_T9_mT8_P12ihipStream_tbDpT10_ENKUlT_T0_E_clISt17integral_constantIbLb0EES1B_IbLb1EEEEDaS17_S18_EUlS17_E_NS1_11comp_targetILNS1_3genE4ELNS1_11target_archE910ELNS1_3gpuE8ELNS1_3repE0EEENS1_30default_config_static_selectorELNS0_4arch9wavefront6targetE1EEEvT1_.has_recursion, 0
	.set _ZN7rocprim17ROCPRIM_400000_NS6detail17trampoline_kernelINS0_14default_configENS1_25partition_config_selectorILNS1_17partition_subalgoE8ElNS0_10empty_typeEbEEZZNS1_14partition_implILS5_8ELb0ES3_jPlPS6_PKS6_NS0_5tupleIJS9_S6_EEENSD_IJSA_SA_EEENS0_18inequality_wrapperIZN2at6native12_GLOBAL__N_124unique_dim_cuda_templateIbEESt5tupleIJNSH_6TensorESM_SM_EERKSM_lbbbEUlllE0_EEPmJS6_EEE10hipError_tPvRmT3_T4_T5_T6_T7_T9_mT8_P12ihipStream_tbDpT10_ENKUlT_T0_E_clISt17integral_constantIbLb0EES1B_IbLb1EEEEDaS17_S18_EUlS17_E_NS1_11comp_targetILNS1_3genE4ELNS1_11target_archE910ELNS1_3gpuE8ELNS1_3repE0EEENS1_30default_config_static_selectorELNS0_4arch9wavefront6targetE1EEEvT1_.has_indirect_call, 0
	.section	.AMDGPU.csdata,"",@progbits
; Kernel info:
; codeLenInByte = 0
; TotalNumSgprs: 6
; NumVgprs: 0
; NumAgprs: 0
; TotalNumVgprs: 0
; ScratchSize: 0
; MemoryBound: 0
; FloatMode: 240
; IeeeMode: 1
; LDSByteSize: 0 bytes/workgroup (compile time only)
; SGPRBlocks: 0
; VGPRBlocks: 0
; NumSGPRsForWavesPerEU: 6
; NumVGPRsForWavesPerEU: 1
; AccumOffset: 4
; Occupancy: 8
; WaveLimiterHint : 0
; COMPUTE_PGM_RSRC2:SCRATCH_EN: 0
; COMPUTE_PGM_RSRC2:USER_SGPR: 2
; COMPUTE_PGM_RSRC2:TRAP_HANDLER: 0
; COMPUTE_PGM_RSRC2:TGID_X_EN: 1
; COMPUTE_PGM_RSRC2:TGID_Y_EN: 0
; COMPUTE_PGM_RSRC2:TGID_Z_EN: 0
; COMPUTE_PGM_RSRC2:TIDIG_COMP_CNT: 0
; COMPUTE_PGM_RSRC3_GFX90A:ACCUM_OFFSET: 0
; COMPUTE_PGM_RSRC3_GFX90A:TG_SPLIT: 0
	.section	.text._ZN7rocprim17ROCPRIM_400000_NS6detail17trampoline_kernelINS0_14default_configENS1_25partition_config_selectorILNS1_17partition_subalgoE8ElNS0_10empty_typeEbEEZZNS1_14partition_implILS5_8ELb0ES3_jPlPS6_PKS6_NS0_5tupleIJS9_S6_EEENSD_IJSA_SA_EEENS0_18inequality_wrapperIZN2at6native12_GLOBAL__N_124unique_dim_cuda_templateIbEESt5tupleIJNSH_6TensorESM_SM_EERKSM_lbbbEUlllE0_EEPmJS6_EEE10hipError_tPvRmT3_T4_T5_T6_T7_T9_mT8_P12ihipStream_tbDpT10_ENKUlT_T0_E_clISt17integral_constantIbLb0EES1B_IbLb1EEEEDaS17_S18_EUlS17_E_NS1_11comp_targetILNS1_3genE3ELNS1_11target_archE908ELNS1_3gpuE7ELNS1_3repE0EEENS1_30default_config_static_selectorELNS0_4arch9wavefront6targetE1EEEvT1_,"axG",@progbits,_ZN7rocprim17ROCPRIM_400000_NS6detail17trampoline_kernelINS0_14default_configENS1_25partition_config_selectorILNS1_17partition_subalgoE8ElNS0_10empty_typeEbEEZZNS1_14partition_implILS5_8ELb0ES3_jPlPS6_PKS6_NS0_5tupleIJS9_S6_EEENSD_IJSA_SA_EEENS0_18inequality_wrapperIZN2at6native12_GLOBAL__N_124unique_dim_cuda_templateIbEESt5tupleIJNSH_6TensorESM_SM_EERKSM_lbbbEUlllE0_EEPmJS6_EEE10hipError_tPvRmT3_T4_T5_T6_T7_T9_mT8_P12ihipStream_tbDpT10_ENKUlT_T0_E_clISt17integral_constantIbLb0EES1B_IbLb1EEEEDaS17_S18_EUlS17_E_NS1_11comp_targetILNS1_3genE3ELNS1_11target_archE908ELNS1_3gpuE7ELNS1_3repE0EEENS1_30default_config_static_selectorELNS0_4arch9wavefront6targetE1EEEvT1_,comdat
	.globl	_ZN7rocprim17ROCPRIM_400000_NS6detail17trampoline_kernelINS0_14default_configENS1_25partition_config_selectorILNS1_17partition_subalgoE8ElNS0_10empty_typeEbEEZZNS1_14partition_implILS5_8ELb0ES3_jPlPS6_PKS6_NS0_5tupleIJS9_S6_EEENSD_IJSA_SA_EEENS0_18inequality_wrapperIZN2at6native12_GLOBAL__N_124unique_dim_cuda_templateIbEESt5tupleIJNSH_6TensorESM_SM_EERKSM_lbbbEUlllE0_EEPmJS6_EEE10hipError_tPvRmT3_T4_T5_T6_T7_T9_mT8_P12ihipStream_tbDpT10_ENKUlT_T0_E_clISt17integral_constantIbLb0EES1B_IbLb1EEEEDaS17_S18_EUlS17_E_NS1_11comp_targetILNS1_3genE3ELNS1_11target_archE908ELNS1_3gpuE7ELNS1_3repE0EEENS1_30default_config_static_selectorELNS0_4arch9wavefront6targetE1EEEvT1_ ; -- Begin function _ZN7rocprim17ROCPRIM_400000_NS6detail17trampoline_kernelINS0_14default_configENS1_25partition_config_selectorILNS1_17partition_subalgoE8ElNS0_10empty_typeEbEEZZNS1_14partition_implILS5_8ELb0ES3_jPlPS6_PKS6_NS0_5tupleIJS9_S6_EEENSD_IJSA_SA_EEENS0_18inequality_wrapperIZN2at6native12_GLOBAL__N_124unique_dim_cuda_templateIbEESt5tupleIJNSH_6TensorESM_SM_EERKSM_lbbbEUlllE0_EEPmJS6_EEE10hipError_tPvRmT3_T4_T5_T6_T7_T9_mT8_P12ihipStream_tbDpT10_ENKUlT_T0_E_clISt17integral_constantIbLb0EES1B_IbLb1EEEEDaS17_S18_EUlS17_E_NS1_11comp_targetILNS1_3genE3ELNS1_11target_archE908ELNS1_3gpuE7ELNS1_3repE0EEENS1_30default_config_static_selectorELNS0_4arch9wavefront6targetE1EEEvT1_
	.p2align	8
	.type	_ZN7rocprim17ROCPRIM_400000_NS6detail17trampoline_kernelINS0_14default_configENS1_25partition_config_selectorILNS1_17partition_subalgoE8ElNS0_10empty_typeEbEEZZNS1_14partition_implILS5_8ELb0ES3_jPlPS6_PKS6_NS0_5tupleIJS9_S6_EEENSD_IJSA_SA_EEENS0_18inequality_wrapperIZN2at6native12_GLOBAL__N_124unique_dim_cuda_templateIbEESt5tupleIJNSH_6TensorESM_SM_EERKSM_lbbbEUlllE0_EEPmJS6_EEE10hipError_tPvRmT3_T4_T5_T6_T7_T9_mT8_P12ihipStream_tbDpT10_ENKUlT_T0_E_clISt17integral_constantIbLb0EES1B_IbLb1EEEEDaS17_S18_EUlS17_E_NS1_11comp_targetILNS1_3genE3ELNS1_11target_archE908ELNS1_3gpuE7ELNS1_3repE0EEENS1_30default_config_static_selectorELNS0_4arch9wavefront6targetE1EEEvT1_,@function
_ZN7rocprim17ROCPRIM_400000_NS6detail17trampoline_kernelINS0_14default_configENS1_25partition_config_selectorILNS1_17partition_subalgoE8ElNS0_10empty_typeEbEEZZNS1_14partition_implILS5_8ELb0ES3_jPlPS6_PKS6_NS0_5tupleIJS9_S6_EEENSD_IJSA_SA_EEENS0_18inequality_wrapperIZN2at6native12_GLOBAL__N_124unique_dim_cuda_templateIbEESt5tupleIJNSH_6TensorESM_SM_EERKSM_lbbbEUlllE0_EEPmJS6_EEE10hipError_tPvRmT3_T4_T5_T6_T7_T9_mT8_P12ihipStream_tbDpT10_ENKUlT_T0_E_clISt17integral_constantIbLb0EES1B_IbLb1EEEEDaS17_S18_EUlS17_E_NS1_11comp_targetILNS1_3genE3ELNS1_11target_archE908ELNS1_3gpuE7ELNS1_3repE0EEENS1_30default_config_static_selectorELNS0_4arch9wavefront6targetE1EEEvT1_: ; @_ZN7rocprim17ROCPRIM_400000_NS6detail17trampoline_kernelINS0_14default_configENS1_25partition_config_selectorILNS1_17partition_subalgoE8ElNS0_10empty_typeEbEEZZNS1_14partition_implILS5_8ELb0ES3_jPlPS6_PKS6_NS0_5tupleIJS9_S6_EEENSD_IJSA_SA_EEENS0_18inequality_wrapperIZN2at6native12_GLOBAL__N_124unique_dim_cuda_templateIbEESt5tupleIJNSH_6TensorESM_SM_EERKSM_lbbbEUlllE0_EEPmJS6_EEE10hipError_tPvRmT3_T4_T5_T6_T7_T9_mT8_P12ihipStream_tbDpT10_ENKUlT_T0_E_clISt17integral_constantIbLb0EES1B_IbLb1EEEEDaS17_S18_EUlS17_E_NS1_11comp_targetILNS1_3genE3ELNS1_11target_archE908ELNS1_3gpuE7ELNS1_3repE0EEENS1_30default_config_static_selectorELNS0_4arch9wavefront6targetE1EEEvT1_
; %bb.0:
	.section	.rodata,"a",@progbits
	.p2align	6, 0x0
	.amdhsa_kernel _ZN7rocprim17ROCPRIM_400000_NS6detail17trampoline_kernelINS0_14default_configENS1_25partition_config_selectorILNS1_17partition_subalgoE8ElNS0_10empty_typeEbEEZZNS1_14partition_implILS5_8ELb0ES3_jPlPS6_PKS6_NS0_5tupleIJS9_S6_EEENSD_IJSA_SA_EEENS0_18inequality_wrapperIZN2at6native12_GLOBAL__N_124unique_dim_cuda_templateIbEESt5tupleIJNSH_6TensorESM_SM_EERKSM_lbbbEUlllE0_EEPmJS6_EEE10hipError_tPvRmT3_T4_T5_T6_T7_T9_mT8_P12ihipStream_tbDpT10_ENKUlT_T0_E_clISt17integral_constantIbLb0EES1B_IbLb1EEEEDaS17_S18_EUlS17_E_NS1_11comp_targetILNS1_3genE3ELNS1_11target_archE908ELNS1_3gpuE7ELNS1_3repE0EEENS1_30default_config_static_selectorELNS0_4arch9wavefront6targetE1EEEvT1_
		.amdhsa_group_segment_fixed_size 0
		.amdhsa_private_segment_fixed_size 0
		.amdhsa_kernarg_size 136
		.amdhsa_user_sgpr_count 2
		.amdhsa_user_sgpr_dispatch_ptr 0
		.amdhsa_user_sgpr_queue_ptr 0
		.amdhsa_user_sgpr_kernarg_segment_ptr 1
		.amdhsa_user_sgpr_dispatch_id 0
		.amdhsa_user_sgpr_kernarg_preload_length 0
		.amdhsa_user_sgpr_kernarg_preload_offset 0
		.amdhsa_user_sgpr_private_segment_size 0
		.amdhsa_uses_dynamic_stack 0
		.amdhsa_enable_private_segment 0
		.amdhsa_system_sgpr_workgroup_id_x 1
		.amdhsa_system_sgpr_workgroup_id_y 0
		.amdhsa_system_sgpr_workgroup_id_z 0
		.amdhsa_system_sgpr_workgroup_info 0
		.amdhsa_system_vgpr_workitem_id 0
		.amdhsa_next_free_vgpr 1
		.amdhsa_next_free_sgpr 0
		.amdhsa_accum_offset 4
		.amdhsa_reserve_vcc 0
		.amdhsa_float_round_mode_32 0
		.amdhsa_float_round_mode_16_64 0
		.amdhsa_float_denorm_mode_32 3
		.amdhsa_float_denorm_mode_16_64 3
		.amdhsa_dx10_clamp 1
		.amdhsa_ieee_mode 1
		.amdhsa_fp16_overflow 0
		.amdhsa_tg_split 0
		.amdhsa_exception_fp_ieee_invalid_op 0
		.amdhsa_exception_fp_denorm_src 0
		.amdhsa_exception_fp_ieee_div_zero 0
		.amdhsa_exception_fp_ieee_overflow 0
		.amdhsa_exception_fp_ieee_underflow 0
		.amdhsa_exception_fp_ieee_inexact 0
		.amdhsa_exception_int_div_zero 0
	.end_amdhsa_kernel
	.section	.text._ZN7rocprim17ROCPRIM_400000_NS6detail17trampoline_kernelINS0_14default_configENS1_25partition_config_selectorILNS1_17partition_subalgoE8ElNS0_10empty_typeEbEEZZNS1_14partition_implILS5_8ELb0ES3_jPlPS6_PKS6_NS0_5tupleIJS9_S6_EEENSD_IJSA_SA_EEENS0_18inequality_wrapperIZN2at6native12_GLOBAL__N_124unique_dim_cuda_templateIbEESt5tupleIJNSH_6TensorESM_SM_EERKSM_lbbbEUlllE0_EEPmJS6_EEE10hipError_tPvRmT3_T4_T5_T6_T7_T9_mT8_P12ihipStream_tbDpT10_ENKUlT_T0_E_clISt17integral_constantIbLb0EES1B_IbLb1EEEEDaS17_S18_EUlS17_E_NS1_11comp_targetILNS1_3genE3ELNS1_11target_archE908ELNS1_3gpuE7ELNS1_3repE0EEENS1_30default_config_static_selectorELNS0_4arch9wavefront6targetE1EEEvT1_,"axG",@progbits,_ZN7rocprim17ROCPRIM_400000_NS6detail17trampoline_kernelINS0_14default_configENS1_25partition_config_selectorILNS1_17partition_subalgoE8ElNS0_10empty_typeEbEEZZNS1_14partition_implILS5_8ELb0ES3_jPlPS6_PKS6_NS0_5tupleIJS9_S6_EEENSD_IJSA_SA_EEENS0_18inequality_wrapperIZN2at6native12_GLOBAL__N_124unique_dim_cuda_templateIbEESt5tupleIJNSH_6TensorESM_SM_EERKSM_lbbbEUlllE0_EEPmJS6_EEE10hipError_tPvRmT3_T4_T5_T6_T7_T9_mT8_P12ihipStream_tbDpT10_ENKUlT_T0_E_clISt17integral_constantIbLb0EES1B_IbLb1EEEEDaS17_S18_EUlS17_E_NS1_11comp_targetILNS1_3genE3ELNS1_11target_archE908ELNS1_3gpuE7ELNS1_3repE0EEENS1_30default_config_static_selectorELNS0_4arch9wavefront6targetE1EEEvT1_,comdat
.Lfunc_end1078:
	.size	_ZN7rocprim17ROCPRIM_400000_NS6detail17trampoline_kernelINS0_14default_configENS1_25partition_config_selectorILNS1_17partition_subalgoE8ElNS0_10empty_typeEbEEZZNS1_14partition_implILS5_8ELb0ES3_jPlPS6_PKS6_NS0_5tupleIJS9_S6_EEENSD_IJSA_SA_EEENS0_18inequality_wrapperIZN2at6native12_GLOBAL__N_124unique_dim_cuda_templateIbEESt5tupleIJNSH_6TensorESM_SM_EERKSM_lbbbEUlllE0_EEPmJS6_EEE10hipError_tPvRmT3_T4_T5_T6_T7_T9_mT8_P12ihipStream_tbDpT10_ENKUlT_T0_E_clISt17integral_constantIbLb0EES1B_IbLb1EEEEDaS17_S18_EUlS17_E_NS1_11comp_targetILNS1_3genE3ELNS1_11target_archE908ELNS1_3gpuE7ELNS1_3repE0EEENS1_30default_config_static_selectorELNS0_4arch9wavefront6targetE1EEEvT1_, .Lfunc_end1078-_ZN7rocprim17ROCPRIM_400000_NS6detail17trampoline_kernelINS0_14default_configENS1_25partition_config_selectorILNS1_17partition_subalgoE8ElNS0_10empty_typeEbEEZZNS1_14partition_implILS5_8ELb0ES3_jPlPS6_PKS6_NS0_5tupleIJS9_S6_EEENSD_IJSA_SA_EEENS0_18inequality_wrapperIZN2at6native12_GLOBAL__N_124unique_dim_cuda_templateIbEESt5tupleIJNSH_6TensorESM_SM_EERKSM_lbbbEUlllE0_EEPmJS6_EEE10hipError_tPvRmT3_T4_T5_T6_T7_T9_mT8_P12ihipStream_tbDpT10_ENKUlT_T0_E_clISt17integral_constantIbLb0EES1B_IbLb1EEEEDaS17_S18_EUlS17_E_NS1_11comp_targetILNS1_3genE3ELNS1_11target_archE908ELNS1_3gpuE7ELNS1_3repE0EEENS1_30default_config_static_selectorELNS0_4arch9wavefront6targetE1EEEvT1_
                                        ; -- End function
	.set _ZN7rocprim17ROCPRIM_400000_NS6detail17trampoline_kernelINS0_14default_configENS1_25partition_config_selectorILNS1_17partition_subalgoE8ElNS0_10empty_typeEbEEZZNS1_14partition_implILS5_8ELb0ES3_jPlPS6_PKS6_NS0_5tupleIJS9_S6_EEENSD_IJSA_SA_EEENS0_18inequality_wrapperIZN2at6native12_GLOBAL__N_124unique_dim_cuda_templateIbEESt5tupleIJNSH_6TensorESM_SM_EERKSM_lbbbEUlllE0_EEPmJS6_EEE10hipError_tPvRmT3_T4_T5_T6_T7_T9_mT8_P12ihipStream_tbDpT10_ENKUlT_T0_E_clISt17integral_constantIbLb0EES1B_IbLb1EEEEDaS17_S18_EUlS17_E_NS1_11comp_targetILNS1_3genE3ELNS1_11target_archE908ELNS1_3gpuE7ELNS1_3repE0EEENS1_30default_config_static_selectorELNS0_4arch9wavefront6targetE1EEEvT1_.num_vgpr, 0
	.set _ZN7rocprim17ROCPRIM_400000_NS6detail17trampoline_kernelINS0_14default_configENS1_25partition_config_selectorILNS1_17partition_subalgoE8ElNS0_10empty_typeEbEEZZNS1_14partition_implILS5_8ELb0ES3_jPlPS6_PKS6_NS0_5tupleIJS9_S6_EEENSD_IJSA_SA_EEENS0_18inequality_wrapperIZN2at6native12_GLOBAL__N_124unique_dim_cuda_templateIbEESt5tupleIJNSH_6TensorESM_SM_EERKSM_lbbbEUlllE0_EEPmJS6_EEE10hipError_tPvRmT3_T4_T5_T6_T7_T9_mT8_P12ihipStream_tbDpT10_ENKUlT_T0_E_clISt17integral_constantIbLb0EES1B_IbLb1EEEEDaS17_S18_EUlS17_E_NS1_11comp_targetILNS1_3genE3ELNS1_11target_archE908ELNS1_3gpuE7ELNS1_3repE0EEENS1_30default_config_static_selectorELNS0_4arch9wavefront6targetE1EEEvT1_.num_agpr, 0
	.set _ZN7rocprim17ROCPRIM_400000_NS6detail17trampoline_kernelINS0_14default_configENS1_25partition_config_selectorILNS1_17partition_subalgoE8ElNS0_10empty_typeEbEEZZNS1_14partition_implILS5_8ELb0ES3_jPlPS6_PKS6_NS0_5tupleIJS9_S6_EEENSD_IJSA_SA_EEENS0_18inequality_wrapperIZN2at6native12_GLOBAL__N_124unique_dim_cuda_templateIbEESt5tupleIJNSH_6TensorESM_SM_EERKSM_lbbbEUlllE0_EEPmJS6_EEE10hipError_tPvRmT3_T4_T5_T6_T7_T9_mT8_P12ihipStream_tbDpT10_ENKUlT_T0_E_clISt17integral_constantIbLb0EES1B_IbLb1EEEEDaS17_S18_EUlS17_E_NS1_11comp_targetILNS1_3genE3ELNS1_11target_archE908ELNS1_3gpuE7ELNS1_3repE0EEENS1_30default_config_static_selectorELNS0_4arch9wavefront6targetE1EEEvT1_.numbered_sgpr, 0
	.set _ZN7rocprim17ROCPRIM_400000_NS6detail17trampoline_kernelINS0_14default_configENS1_25partition_config_selectorILNS1_17partition_subalgoE8ElNS0_10empty_typeEbEEZZNS1_14partition_implILS5_8ELb0ES3_jPlPS6_PKS6_NS0_5tupleIJS9_S6_EEENSD_IJSA_SA_EEENS0_18inequality_wrapperIZN2at6native12_GLOBAL__N_124unique_dim_cuda_templateIbEESt5tupleIJNSH_6TensorESM_SM_EERKSM_lbbbEUlllE0_EEPmJS6_EEE10hipError_tPvRmT3_T4_T5_T6_T7_T9_mT8_P12ihipStream_tbDpT10_ENKUlT_T0_E_clISt17integral_constantIbLb0EES1B_IbLb1EEEEDaS17_S18_EUlS17_E_NS1_11comp_targetILNS1_3genE3ELNS1_11target_archE908ELNS1_3gpuE7ELNS1_3repE0EEENS1_30default_config_static_selectorELNS0_4arch9wavefront6targetE1EEEvT1_.num_named_barrier, 0
	.set _ZN7rocprim17ROCPRIM_400000_NS6detail17trampoline_kernelINS0_14default_configENS1_25partition_config_selectorILNS1_17partition_subalgoE8ElNS0_10empty_typeEbEEZZNS1_14partition_implILS5_8ELb0ES3_jPlPS6_PKS6_NS0_5tupleIJS9_S6_EEENSD_IJSA_SA_EEENS0_18inequality_wrapperIZN2at6native12_GLOBAL__N_124unique_dim_cuda_templateIbEESt5tupleIJNSH_6TensorESM_SM_EERKSM_lbbbEUlllE0_EEPmJS6_EEE10hipError_tPvRmT3_T4_T5_T6_T7_T9_mT8_P12ihipStream_tbDpT10_ENKUlT_T0_E_clISt17integral_constantIbLb0EES1B_IbLb1EEEEDaS17_S18_EUlS17_E_NS1_11comp_targetILNS1_3genE3ELNS1_11target_archE908ELNS1_3gpuE7ELNS1_3repE0EEENS1_30default_config_static_selectorELNS0_4arch9wavefront6targetE1EEEvT1_.private_seg_size, 0
	.set _ZN7rocprim17ROCPRIM_400000_NS6detail17trampoline_kernelINS0_14default_configENS1_25partition_config_selectorILNS1_17partition_subalgoE8ElNS0_10empty_typeEbEEZZNS1_14partition_implILS5_8ELb0ES3_jPlPS6_PKS6_NS0_5tupleIJS9_S6_EEENSD_IJSA_SA_EEENS0_18inequality_wrapperIZN2at6native12_GLOBAL__N_124unique_dim_cuda_templateIbEESt5tupleIJNSH_6TensorESM_SM_EERKSM_lbbbEUlllE0_EEPmJS6_EEE10hipError_tPvRmT3_T4_T5_T6_T7_T9_mT8_P12ihipStream_tbDpT10_ENKUlT_T0_E_clISt17integral_constantIbLb0EES1B_IbLb1EEEEDaS17_S18_EUlS17_E_NS1_11comp_targetILNS1_3genE3ELNS1_11target_archE908ELNS1_3gpuE7ELNS1_3repE0EEENS1_30default_config_static_selectorELNS0_4arch9wavefront6targetE1EEEvT1_.uses_vcc, 0
	.set _ZN7rocprim17ROCPRIM_400000_NS6detail17trampoline_kernelINS0_14default_configENS1_25partition_config_selectorILNS1_17partition_subalgoE8ElNS0_10empty_typeEbEEZZNS1_14partition_implILS5_8ELb0ES3_jPlPS6_PKS6_NS0_5tupleIJS9_S6_EEENSD_IJSA_SA_EEENS0_18inequality_wrapperIZN2at6native12_GLOBAL__N_124unique_dim_cuda_templateIbEESt5tupleIJNSH_6TensorESM_SM_EERKSM_lbbbEUlllE0_EEPmJS6_EEE10hipError_tPvRmT3_T4_T5_T6_T7_T9_mT8_P12ihipStream_tbDpT10_ENKUlT_T0_E_clISt17integral_constantIbLb0EES1B_IbLb1EEEEDaS17_S18_EUlS17_E_NS1_11comp_targetILNS1_3genE3ELNS1_11target_archE908ELNS1_3gpuE7ELNS1_3repE0EEENS1_30default_config_static_selectorELNS0_4arch9wavefront6targetE1EEEvT1_.uses_flat_scratch, 0
	.set _ZN7rocprim17ROCPRIM_400000_NS6detail17trampoline_kernelINS0_14default_configENS1_25partition_config_selectorILNS1_17partition_subalgoE8ElNS0_10empty_typeEbEEZZNS1_14partition_implILS5_8ELb0ES3_jPlPS6_PKS6_NS0_5tupleIJS9_S6_EEENSD_IJSA_SA_EEENS0_18inequality_wrapperIZN2at6native12_GLOBAL__N_124unique_dim_cuda_templateIbEESt5tupleIJNSH_6TensorESM_SM_EERKSM_lbbbEUlllE0_EEPmJS6_EEE10hipError_tPvRmT3_T4_T5_T6_T7_T9_mT8_P12ihipStream_tbDpT10_ENKUlT_T0_E_clISt17integral_constantIbLb0EES1B_IbLb1EEEEDaS17_S18_EUlS17_E_NS1_11comp_targetILNS1_3genE3ELNS1_11target_archE908ELNS1_3gpuE7ELNS1_3repE0EEENS1_30default_config_static_selectorELNS0_4arch9wavefront6targetE1EEEvT1_.has_dyn_sized_stack, 0
	.set _ZN7rocprim17ROCPRIM_400000_NS6detail17trampoline_kernelINS0_14default_configENS1_25partition_config_selectorILNS1_17partition_subalgoE8ElNS0_10empty_typeEbEEZZNS1_14partition_implILS5_8ELb0ES3_jPlPS6_PKS6_NS0_5tupleIJS9_S6_EEENSD_IJSA_SA_EEENS0_18inequality_wrapperIZN2at6native12_GLOBAL__N_124unique_dim_cuda_templateIbEESt5tupleIJNSH_6TensorESM_SM_EERKSM_lbbbEUlllE0_EEPmJS6_EEE10hipError_tPvRmT3_T4_T5_T6_T7_T9_mT8_P12ihipStream_tbDpT10_ENKUlT_T0_E_clISt17integral_constantIbLb0EES1B_IbLb1EEEEDaS17_S18_EUlS17_E_NS1_11comp_targetILNS1_3genE3ELNS1_11target_archE908ELNS1_3gpuE7ELNS1_3repE0EEENS1_30default_config_static_selectorELNS0_4arch9wavefront6targetE1EEEvT1_.has_recursion, 0
	.set _ZN7rocprim17ROCPRIM_400000_NS6detail17trampoline_kernelINS0_14default_configENS1_25partition_config_selectorILNS1_17partition_subalgoE8ElNS0_10empty_typeEbEEZZNS1_14partition_implILS5_8ELb0ES3_jPlPS6_PKS6_NS0_5tupleIJS9_S6_EEENSD_IJSA_SA_EEENS0_18inequality_wrapperIZN2at6native12_GLOBAL__N_124unique_dim_cuda_templateIbEESt5tupleIJNSH_6TensorESM_SM_EERKSM_lbbbEUlllE0_EEPmJS6_EEE10hipError_tPvRmT3_T4_T5_T6_T7_T9_mT8_P12ihipStream_tbDpT10_ENKUlT_T0_E_clISt17integral_constantIbLb0EES1B_IbLb1EEEEDaS17_S18_EUlS17_E_NS1_11comp_targetILNS1_3genE3ELNS1_11target_archE908ELNS1_3gpuE7ELNS1_3repE0EEENS1_30default_config_static_selectorELNS0_4arch9wavefront6targetE1EEEvT1_.has_indirect_call, 0
	.section	.AMDGPU.csdata,"",@progbits
; Kernel info:
; codeLenInByte = 0
; TotalNumSgprs: 6
; NumVgprs: 0
; NumAgprs: 0
; TotalNumVgprs: 0
; ScratchSize: 0
; MemoryBound: 0
; FloatMode: 240
; IeeeMode: 1
; LDSByteSize: 0 bytes/workgroup (compile time only)
; SGPRBlocks: 0
; VGPRBlocks: 0
; NumSGPRsForWavesPerEU: 6
; NumVGPRsForWavesPerEU: 1
; AccumOffset: 4
; Occupancy: 8
; WaveLimiterHint : 0
; COMPUTE_PGM_RSRC2:SCRATCH_EN: 0
; COMPUTE_PGM_RSRC2:USER_SGPR: 2
; COMPUTE_PGM_RSRC2:TRAP_HANDLER: 0
; COMPUTE_PGM_RSRC2:TGID_X_EN: 1
; COMPUTE_PGM_RSRC2:TGID_Y_EN: 0
; COMPUTE_PGM_RSRC2:TGID_Z_EN: 0
; COMPUTE_PGM_RSRC2:TIDIG_COMP_CNT: 0
; COMPUTE_PGM_RSRC3_GFX90A:ACCUM_OFFSET: 0
; COMPUTE_PGM_RSRC3_GFX90A:TG_SPLIT: 0
	.section	.text._ZN7rocprim17ROCPRIM_400000_NS6detail17trampoline_kernelINS0_14default_configENS1_25partition_config_selectorILNS1_17partition_subalgoE8ElNS0_10empty_typeEbEEZZNS1_14partition_implILS5_8ELb0ES3_jPlPS6_PKS6_NS0_5tupleIJS9_S6_EEENSD_IJSA_SA_EEENS0_18inequality_wrapperIZN2at6native12_GLOBAL__N_124unique_dim_cuda_templateIbEESt5tupleIJNSH_6TensorESM_SM_EERKSM_lbbbEUlllE0_EEPmJS6_EEE10hipError_tPvRmT3_T4_T5_T6_T7_T9_mT8_P12ihipStream_tbDpT10_ENKUlT_T0_E_clISt17integral_constantIbLb0EES1B_IbLb1EEEEDaS17_S18_EUlS17_E_NS1_11comp_targetILNS1_3genE2ELNS1_11target_archE906ELNS1_3gpuE6ELNS1_3repE0EEENS1_30default_config_static_selectorELNS0_4arch9wavefront6targetE1EEEvT1_,"axG",@progbits,_ZN7rocprim17ROCPRIM_400000_NS6detail17trampoline_kernelINS0_14default_configENS1_25partition_config_selectorILNS1_17partition_subalgoE8ElNS0_10empty_typeEbEEZZNS1_14partition_implILS5_8ELb0ES3_jPlPS6_PKS6_NS0_5tupleIJS9_S6_EEENSD_IJSA_SA_EEENS0_18inequality_wrapperIZN2at6native12_GLOBAL__N_124unique_dim_cuda_templateIbEESt5tupleIJNSH_6TensorESM_SM_EERKSM_lbbbEUlllE0_EEPmJS6_EEE10hipError_tPvRmT3_T4_T5_T6_T7_T9_mT8_P12ihipStream_tbDpT10_ENKUlT_T0_E_clISt17integral_constantIbLb0EES1B_IbLb1EEEEDaS17_S18_EUlS17_E_NS1_11comp_targetILNS1_3genE2ELNS1_11target_archE906ELNS1_3gpuE6ELNS1_3repE0EEENS1_30default_config_static_selectorELNS0_4arch9wavefront6targetE1EEEvT1_,comdat
	.globl	_ZN7rocprim17ROCPRIM_400000_NS6detail17trampoline_kernelINS0_14default_configENS1_25partition_config_selectorILNS1_17partition_subalgoE8ElNS0_10empty_typeEbEEZZNS1_14partition_implILS5_8ELb0ES3_jPlPS6_PKS6_NS0_5tupleIJS9_S6_EEENSD_IJSA_SA_EEENS0_18inequality_wrapperIZN2at6native12_GLOBAL__N_124unique_dim_cuda_templateIbEESt5tupleIJNSH_6TensorESM_SM_EERKSM_lbbbEUlllE0_EEPmJS6_EEE10hipError_tPvRmT3_T4_T5_T6_T7_T9_mT8_P12ihipStream_tbDpT10_ENKUlT_T0_E_clISt17integral_constantIbLb0EES1B_IbLb1EEEEDaS17_S18_EUlS17_E_NS1_11comp_targetILNS1_3genE2ELNS1_11target_archE906ELNS1_3gpuE6ELNS1_3repE0EEENS1_30default_config_static_selectorELNS0_4arch9wavefront6targetE1EEEvT1_ ; -- Begin function _ZN7rocprim17ROCPRIM_400000_NS6detail17trampoline_kernelINS0_14default_configENS1_25partition_config_selectorILNS1_17partition_subalgoE8ElNS0_10empty_typeEbEEZZNS1_14partition_implILS5_8ELb0ES3_jPlPS6_PKS6_NS0_5tupleIJS9_S6_EEENSD_IJSA_SA_EEENS0_18inequality_wrapperIZN2at6native12_GLOBAL__N_124unique_dim_cuda_templateIbEESt5tupleIJNSH_6TensorESM_SM_EERKSM_lbbbEUlllE0_EEPmJS6_EEE10hipError_tPvRmT3_T4_T5_T6_T7_T9_mT8_P12ihipStream_tbDpT10_ENKUlT_T0_E_clISt17integral_constantIbLb0EES1B_IbLb1EEEEDaS17_S18_EUlS17_E_NS1_11comp_targetILNS1_3genE2ELNS1_11target_archE906ELNS1_3gpuE6ELNS1_3repE0EEENS1_30default_config_static_selectorELNS0_4arch9wavefront6targetE1EEEvT1_
	.p2align	8
	.type	_ZN7rocprim17ROCPRIM_400000_NS6detail17trampoline_kernelINS0_14default_configENS1_25partition_config_selectorILNS1_17partition_subalgoE8ElNS0_10empty_typeEbEEZZNS1_14partition_implILS5_8ELb0ES3_jPlPS6_PKS6_NS0_5tupleIJS9_S6_EEENSD_IJSA_SA_EEENS0_18inequality_wrapperIZN2at6native12_GLOBAL__N_124unique_dim_cuda_templateIbEESt5tupleIJNSH_6TensorESM_SM_EERKSM_lbbbEUlllE0_EEPmJS6_EEE10hipError_tPvRmT3_T4_T5_T6_T7_T9_mT8_P12ihipStream_tbDpT10_ENKUlT_T0_E_clISt17integral_constantIbLb0EES1B_IbLb1EEEEDaS17_S18_EUlS17_E_NS1_11comp_targetILNS1_3genE2ELNS1_11target_archE906ELNS1_3gpuE6ELNS1_3repE0EEENS1_30default_config_static_selectorELNS0_4arch9wavefront6targetE1EEEvT1_,@function
_ZN7rocprim17ROCPRIM_400000_NS6detail17trampoline_kernelINS0_14default_configENS1_25partition_config_selectorILNS1_17partition_subalgoE8ElNS0_10empty_typeEbEEZZNS1_14partition_implILS5_8ELb0ES3_jPlPS6_PKS6_NS0_5tupleIJS9_S6_EEENSD_IJSA_SA_EEENS0_18inequality_wrapperIZN2at6native12_GLOBAL__N_124unique_dim_cuda_templateIbEESt5tupleIJNSH_6TensorESM_SM_EERKSM_lbbbEUlllE0_EEPmJS6_EEE10hipError_tPvRmT3_T4_T5_T6_T7_T9_mT8_P12ihipStream_tbDpT10_ENKUlT_T0_E_clISt17integral_constantIbLb0EES1B_IbLb1EEEEDaS17_S18_EUlS17_E_NS1_11comp_targetILNS1_3genE2ELNS1_11target_archE906ELNS1_3gpuE6ELNS1_3repE0EEENS1_30default_config_static_selectorELNS0_4arch9wavefront6targetE1EEEvT1_: ; @_ZN7rocprim17ROCPRIM_400000_NS6detail17trampoline_kernelINS0_14default_configENS1_25partition_config_selectorILNS1_17partition_subalgoE8ElNS0_10empty_typeEbEEZZNS1_14partition_implILS5_8ELb0ES3_jPlPS6_PKS6_NS0_5tupleIJS9_S6_EEENSD_IJSA_SA_EEENS0_18inequality_wrapperIZN2at6native12_GLOBAL__N_124unique_dim_cuda_templateIbEESt5tupleIJNSH_6TensorESM_SM_EERKSM_lbbbEUlllE0_EEPmJS6_EEE10hipError_tPvRmT3_T4_T5_T6_T7_T9_mT8_P12ihipStream_tbDpT10_ENKUlT_T0_E_clISt17integral_constantIbLb0EES1B_IbLb1EEEEDaS17_S18_EUlS17_E_NS1_11comp_targetILNS1_3genE2ELNS1_11target_archE906ELNS1_3gpuE6ELNS1_3repE0EEENS1_30default_config_static_selectorELNS0_4arch9wavefront6targetE1EEEvT1_
; %bb.0:
	.section	.rodata,"a",@progbits
	.p2align	6, 0x0
	.amdhsa_kernel _ZN7rocprim17ROCPRIM_400000_NS6detail17trampoline_kernelINS0_14default_configENS1_25partition_config_selectorILNS1_17partition_subalgoE8ElNS0_10empty_typeEbEEZZNS1_14partition_implILS5_8ELb0ES3_jPlPS6_PKS6_NS0_5tupleIJS9_S6_EEENSD_IJSA_SA_EEENS0_18inequality_wrapperIZN2at6native12_GLOBAL__N_124unique_dim_cuda_templateIbEESt5tupleIJNSH_6TensorESM_SM_EERKSM_lbbbEUlllE0_EEPmJS6_EEE10hipError_tPvRmT3_T4_T5_T6_T7_T9_mT8_P12ihipStream_tbDpT10_ENKUlT_T0_E_clISt17integral_constantIbLb0EES1B_IbLb1EEEEDaS17_S18_EUlS17_E_NS1_11comp_targetILNS1_3genE2ELNS1_11target_archE906ELNS1_3gpuE6ELNS1_3repE0EEENS1_30default_config_static_selectorELNS0_4arch9wavefront6targetE1EEEvT1_
		.amdhsa_group_segment_fixed_size 0
		.amdhsa_private_segment_fixed_size 0
		.amdhsa_kernarg_size 136
		.amdhsa_user_sgpr_count 2
		.amdhsa_user_sgpr_dispatch_ptr 0
		.amdhsa_user_sgpr_queue_ptr 0
		.amdhsa_user_sgpr_kernarg_segment_ptr 1
		.amdhsa_user_sgpr_dispatch_id 0
		.amdhsa_user_sgpr_kernarg_preload_length 0
		.amdhsa_user_sgpr_kernarg_preload_offset 0
		.amdhsa_user_sgpr_private_segment_size 0
		.amdhsa_uses_dynamic_stack 0
		.amdhsa_enable_private_segment 0
		.amdhsa_system_sgpr_workgroup_id_x 1
		.amdhsa_system_sgpr_workgroup_id_y 0
		.amdhsa_system_sgpr_workgroup_id_z 0
		.amdhsa_system_sgpr_workgroup_info 0
		.amdhsa_system_vgpr_workitem_id 0
		.amdhsa_next_free_vgpr 1
		.amdhsa_next_free_sgpr 0
		.amdhsa_accum_offset 4
		.amdhsa_reserve_vcc 0
		.amdhsa_float_round_mode_32 0
		.amdhsa_float_round_mode_16_64 0
		.amdhsa_float_denorm_mode_32 3
		.amdhsa_float_denorm_mode_16_64 3
		.amdhsa_dx10_clamp 1
		.amdhsa_ieee_mode 1
		.amdhsa_fp16_overflow 0
		.amdhsa_tg_split 0
		.amdhsa_exception_fp_ieee_invalid_op 0
		.amdhsa_exception_fp_denorm_src 0
		.amdhsa_exception_fp_ieee_div_zero 0
		.amdhsa_exception_fp_ieee_overflow 0
		.amdhsa_exception_fp_ieee_underflow 0
		.amdhsa_exception_fp_ieee_inexact 0
		.amdhsa_exception_int_div_zero 0
	.end_amdhsa_kernel
	.section	.text._ZN7rocprim17ROCPRIM_400000_NS6detail17trampoline_kernelINS0_14default_configENS1_25partition_config_selectorILNS1_17partition_subalgoE8ElNS0_10empty_typeEbEEZZNS1_14partition_implILS5_8ELb0ES3_jPlPS6_PKS6_NS0_5tupleIJS9_S6_EEENSD_IJSA_SA_EEENS0_18inequality_wrapperIZN2at6native12_GLOBAL__N_124unique_dim_cuda_templateIbEESt5tupleIJNSH_6TensorESM_SM_EERKSM_lbbbEUlllE0_EEPmJS6_EEE10hipError_tPvRmT3_T4_T5_T6_T7_T9_mT8_P12ihipStream_tbDpT10_ENKUlT_T0_E_clISt17integral_constantIbLb0EES1B_IbLb1EEEEDaS17_S18_EUlS17_E_NS1_11comp_targetILNS1_3genE2ELNS1_11target_archE906ELNS1_3gpuE6ELNS1_3repE0EEENS1_30default_config_static_selectorELNS0_4arch9wavefront6targetE1EEEvT1_,"axG",@progbits,_ZN7rocprim17ROCPRIM_400000_NS6detail17trampoline_kernelINS0_14default_configENS1_25partition_config_selectorILNS1_17partition_subalgoE8ElNS0_10empty_typeEbEEZZNS1_14partition_implILS5_8ELb0ES3_jPlPS6_PKS6_NS0_5tupleIJS9_S6_EEENSD_IJSA_SA_EEENS0_18inequality_wrapperIZN2at6native12_GLOBAL__N_124unique_dim_cuda_templateIbEESt5tupleIJNSH_6TensorESM_SM_EERKSM_lbbbEUlllE0_EEPmJS6_EEE10hipError_tPvRmT3_T4_T5_T6_T7_T9_mT8_P12ihipStream_tbDpT10_ENKUlT_T0_E_clISt17integral_constantIbLb0EES1B_IbLb1EEEEDaS17_S18_EUlS17_E_NS1_11comp_targetILNS1_3genE2ELNS1_11target_archE906ELNS1_3gpuE6ELNS1_3repE0EEENS1_30default_config_static_selectorELNS0_4arch9wavefront6targetE1EEEvT1_,comdat
.Lfunc_end1079:
	.size	_ZN7rocprim17ROCPRIM_400000_NS6detail17trampoline_kernelINS0_14default_configENS1_25partition_config_selectorILNS1_17partition_subalgoE8ElNS0_10empty_typeEbEEZZNS1_14partition_implILS5_8ELb0ES3_jPlPS6_PKS6_NS0_5tupleIJS9_S6_EEENSD_IJSA_SA_EEENS0_18inequality_wrapperIZN2at6native12_GLOBAL__N_124unique_dim_cuda_templateIbEESt5tupleIJNSH_6TensorESM_SM_EERKSM_lbbbEUlllE0_EEPmJS6_EEE10hipError_tPvRmT3_T4_T5_T6_T7_T9_mT8_P12ihipStream_tbDpT10_ENKUlT_T0_E_clISt17integral_constantIbLb0EES1B_IbLb1EEEEDaS17_S18_EUlS17_E_NS1_11comp_targetILNS1_3genE2ELNS1_11target_archE906ELNS1_3gpuE6ELNS1_3repE0EEENS1_30default_config_static_selectorELNS0_4arch9wavefront6targetE1EEEvT1_, .Lfunc_end1079-_ZN7rocprim17ROCPRIM_400000_NS6detail17trampoline_kernelINS0_14default_configENS1_25partition_config_selectorILNS1_17partition_subalgoE8ElNS0_10empty_typeEbEEZZNS1_14partition_implILS5_8ELb0ES3_jPlPS6_PKS6_NS0_5tupleIJS9_S6_EEENSD_IJSA_SA_EEENS0_18inequality_wrapperIZN2at6native12_GLOBAL__N_124unique_dim_cuda_templateIbEESt5tupleIJNSH_6TensorESM_SM_EERKSM_lbbbEUlllE0_EEPmJS6_EEE10hipError_tPvRmT3_T4_T5_T6_T7_T9_mT8_P12ihipStream_tbDpT10_ENKUlT_T0_E_clISt17integral_constantIbLb0EES1B_IbLb1EEEEDaS17_S18_EUlS17_E_NS1_11comp_targetILNS1_3genE2ELNS1_11target_archE906ELNS1_3gpuE6ELNS1_3repE0EEENS1_30default_config_static_selectorELNS0_4arch9wavefront6targetE1EEEvT1_
                                        ; -- End function
	.set _ZN7rocprim17ROCPRIM_400000_NS6detail17trampoline_kernelINS0_14default_configENS1_25partition_config_selectorILNS1_17partition_subalgoE8ElNS0_10empty_typeEbEEZZNS1_14partition_implILS5_8ELb0ES3_jPlPS6_PKS6_NS0_5tupleIJS9_S6_EEENSD_IJSA_SA_EEENS0_18inequality_wrapperIZN2at6native12_GLOBAL__N_124unique_dim_cuda_templateIbEESt5tupleIJNSH_6TensorESM_SM_EERKSM_lbbbEUlllE0_EEPmJS6_EEE10hipError_tPvRmT3_T4_T5_T6_T7_T9_mT8_P12ihipStream_tbDpT10_ENKUlT_T0_E_clISt17integral_constantIbLb0EES1B_IbLb1EEEEDaS17_S18_EUlS17_E_NS1_11comp_targetILNS1_3genE2ELNS1_11target_archE906ELNS1_3gpuE6ELNS1_3repE0EEENS1_30default_config_static_selectorELNS0_4arch9wavefront6targetE1EEEvT1_.num_vgpr, 0
	.set _ZN7rocprim17ROCPRIM_400000_NS6detail17trampoline_kernelINS0_14default_configENS1_25partition_config_selectorILNS1_17partition_subalgoE8ElNS0_10empty_typeEbEEZZNS1_14partition_implILS5_8ELb0ES3_jPlPS6_PKS6_NS0_5tupleIJS9_S6_EEENSD_IJSA_SA_EEENS0_18inequality_wrapperIZN2at6native12_GLOBAL__N_124unique_dim_cuda_templateIbEESt5tupleIJNSH_6TensorESM_SM_EERKSM_lbbbEUlllE0_EEPmJS6_EEE10hipError_tPvRmT3_T4_T5_T6_T7_T9_mT8_P12ihipStream_tbDpT10_ENKUlT_T0_E_clISt17integral_constantIbLb0EES1B_IbLb1EEEEDaS17_S18_EUlS17_E_NS1_11comp_targetILNS1_3genE2ELNS1_11target_archE906ELNS1_3gpuE6ELNS1_3repE0EEENS1_30default_config_static_selectorELNS0_4arch9wavefront6targetE1EEEvT1_.num_agpr, 0
	.set _ZN7rocprim17ROCPRIM_400000_NS6detail17trampoline_kernelINS0_14default_configENS1_25partition_config_selectorILNS1_17partition_subalgoE8ElNS0_10empty_typeEbEEZZNS1_14partition_implILS5_8ELb0ES3_jPlPS6_PKS6_NS0_5tupleIJS9_S6_EEENSD_IJSA_SA_EEENS0_18inequality_wrapperIZN2at6native12_GLOBAL__N_124unique_dim_cuda_templateIbEESt5tupleIJNSH_6TensorESM_SM_EERKSM_lbbbEUlllE0_EEPmJS6_EEE10hipError_tPvRmT3_T4_T5_T6_T7_T9_mT8_P12ihipStream_tbDpT10_ENKUlT_T0_E_clISt17integral_constantIbLb0EES1B_IbLb1EEEEDaS17_S18_EUlS17_E_NS1_11comp_targetILNS1_3genE2ELNS1_11target_archE906ELNS1_3gpuE6ELNS1_3repE0EEENS1_30default_config_static_selectorELNS0_4arch9wavefront6targetE1EEEvT1_.numbered_sgpr, 0
	.set _ZN7rocprim17ROCPRIM_400000_NS6detail17trampoline_kernelINS0_14default_configENS1_25partition_config_selectorILNS1_17partition_subalgoE8ElNS0_10empty_typeEbEEZZNS1_14partition_implILS5_8ELb0ES3_jPlPS6_PKS6_NS0_5tupleIJS9_S6_EEENSD_IJSA_SA_EEENS0_18inequality_wrapperIZN2at6native12_GLOBAL__N_124unique_dim_cuda_templateIbEESt5tupleIJNSH_6TensorESM_SM_EERKSM_lbbbEUlllE0_EEPmJS6_EEE10hipError_tPvRmT3_T4_T5_T6_T7_T9_mT8_P12ihipStream_tbDpT10_ENKUlT_T0_E_clISt17integral_constantIbLb0EES1B_IbLb1EEEEDaS17_S18_EUlS17_E_NS1_11comp_targetILNS1_3genE2ELNS1_11target_archE906ELNS1_3gpuE6ELNS1_3repE0EEENS1_30default_config_static_selectorELNS0_4arch9wavefront6targetE1EEEvT1_.num_named_barrier, 0
	.set _ZN7rocprim17ROCPRIM_400000_NS6detail17trampoline_kernelINS0_14default_configENS1_25partition_config_selectorILNS1_17partition_subalgoE8ElNS0_10empty_typeEbEEZZNS1_14partition_implILS5_8ELb0ES3_jPlPS6_PKS6_NS0_5tupleIJS9_S6_EEENSD_IJSA_SA_EEENS0_18inequality_wrapperIZN2at6native12_GLOBAL__N_124unique_dim_cuda_templateIbEESt5tupleIJNSH_6TensorESM_SM_EERKSM_lbbbEUlllE0_EEPmJS6_EEE10hipError_tPvRmT3_T4_T5_T6_T7_T9_mT8_P12ihipStream_tbDpT10_ENKUlT_T0_E_clISt17integral_constantIbLb0EES1B_IbLb1EEEEDaS17_S18_EUlS17_E_NS1_11comp_targetILNS1_3genE2ELNS1_11target_archE906ELNS1_3gpuE6ELNS1_3repE0EEENS1_30default_config_static_selectorELNS0_4arch9wavefront6targetE1EEEvT1_.private_seg_size, 0
	.set _ZN7rocprim17ROCPRIM_400000_NS6detail17trampoline_kernelINS0_14default_configENS1_25partition_config_selectorILNS1_17partition_subalgoE8ElNS0_10empty_typeEbEEZZNS1_14partition_implILS5_8ELb0ES3_jPlPS6_PKS6_NS0_5tupleIJS9_S6_EEENSD_IJSA_SA_EEENS0_18inequality_wrapperIZN2at6native12_GLOBAL__N_124unique_dim_cuda_templateIbEESt5tupleIJNSH_6TensorESM_SM_EERKSM_lbbbEUlllE0_EEPmJS6_EEE10hipError_tPvRmT3_T4_T5_T6_T7_T9_mT8_P12ihipStream_tbDpT10_ENKUlT_T0_E_clISt17integral_constantIbLb0EES1B_IbLb1EEEEDaS17_S18_EUlS17_E_NS1_11comp_targetILNS1_3genE2ELNS1_11target_archE906ELNS1_3gpuE6ELNS1_3repE0EEENS1_30default_config_static_selectorELNS0_4arch9wavefront6targetE1EEEvT1_.uses_vcc, 0
	.set _ZN7rocprim17ROCPRIM_400000_NS6detail17trampoline_kernelINS0_14default_configENS1_25partition_config_selectorILNS1_17partition_subalgoE8ElNS0_10empty_typeEbEEZZNS1_14partition_implILS5_8ELb0ES3_jPlPS6_PKS6_NS0_5tupleIJS9_S6_EEENSD_IJSA_SA_EEENS0_18inequality_wrapperIZN2at6native12_GLOBAL__N_124unique_dim_cuda_templateIbEESt5tupleIJNSH_6TensorESM_SM_EERKSM_lbbbEUlllE0_EEPmJS6_EEE10hipError_tPvRmT3_T4_T5_T6_T7_T9_mT8_P12ihipStream_tbDpT10_ENKUlT_T0_E_clISt17integral_constantIbLb0EES1B_IbLb1EEEEDaS17_S18_EUlS17_E_NS1_11comp_targetILNS1_3genE2ELNS1_11target_archE906ELNS1_3gpuE6ELNS1_3repE0EEENS1_30default_config_static_selectorELNS0_4arch9wavefront6targetE1EEEvT1_.uses_flat_scratch, 0
	.set _ZN7rocprim17ROCPRIM_400000_NS6detail17trampoline_kernelINS0_14default_configENS1_25partition_config_selectorILNS1_17partition_subalgoE8ElNS0_10empty_typeEbEEZZNS1_14partition_implILS5_8ELb0ES3_jPlPS6_PKS6_NS0_5tupleIJS9_S6_EEENSD_IJSA_SA_EEENS0_18inequality_wrapperIZN2at6native12_GLOBAL__N_124unique_dim_cuda_templateIbEESt5tupleIJNSH_6TensorESM_SM_EERKSM_lbbbEUlllE0_EEPmJS6_EEE10hipError_tPvRmT3_T4_T5_T6_T7_T9_mT8_P12ihipStream_tbDpT10_ENKUlT_T0_E_clISt17integral_constantIbLb0EES1B_IbLb1EEEEDaS17_S18_EUlS17_E_NS1_11comp_targetILNS1_3genE2ELNS1_11target_archE906ELNS1_3gpuE6ELNS1_3repE0EEENS1_30default_config_static_selectorELNS0_4arch9wavefront6targetE1EEEvT1_.has_dyn_sized_stack, 0
	.set _ZN7rocprim17ROCPRIM_400000_NS6detail17trampoline_kernelINS0_14default_configENS1_25partition_config_selectorILNS1_17partition_subalgoE8ElNS0_10empty_typeEbEEZZNS1_14partition_implILS5_8ELb0ES3_jPlPS6_PKS6_NS0_5tupleIJS9_S6_EEENSD_IJSA_SA_EEENS0_18inequality_wrapperIZN2at6native12_GLOBAL__N_124unique_dim_cuda_templateIbEESt5tupleIJNSH_6TensorESM_SM_EERKSM_lbbbEUlllE0_EEPmJS6_EEE10hipError_tPvRmT3_T4_T5_T6_T7_T9_mT8_P12ihipStream_tbDpT10_ENKUlT_T0_E_clISt17integral_constantIbLb0EES1B_IbLb1EEEEDaS17_S18_EUlS17_E_NS1_11comp_targetILNS1_3genE2ELNS1_11target_archE906ELNS1_3gpuE6ELNS1_3repE0EEENS1_30default_config_static_selectorELNS0_4arch9wavefront6targetE1EEEvT1_.has_recursion, 0
	.set _ZN7rocprim17ROCPRIM_400000_NS6detail17trampoline_kernelINS0_14default_configENS1_25partition_config_selectorILNS1_17partition_subalgoE8ElNS0_10empty_typeEbEEZZNS1_14partition_implILS5_8ELb0ES3_jPlPS6_PKS6_NS0_5tupleIJS9_S6_EEENSD_IJSA_SA_EEENS0_18inequality_wrapperIZN2at6native12_GLOBAL__N_124unique_dim_cuda_templateIbEESt5tupleIJNSH_6TensorESM_SM_EERKSM_lbbbEUlllE0_EEPmJS6_EEE10hipError_tPvRmT3_T4_T5_T6_T7_T9_mT8_P12ihipStream_tbDpT10_ENKUlT_T0_E_clISt17integral_constantIbLb0EES1B_IbLb1EEEEDaS17_S18_EUlS17_E_NS1_11comp_targetILNS1_3genE2ELNS1_11target_archE906ELNS1_3gpuE6ELNS1_3repE0EEENS1_30default_config_static_selectorELNS0_4arch9wavefront6targetE1EEEvT1_.has_indirect_call, 0
	.section	.AMDGPU.csdata,"",@progbits
; Kernel info:
; codeLenInByte = 0
; TotalNumSgprs: 6
; NumVgprs: 0
; NumAgprs: 0
; TotalNumVgprs: 0
; ScratchSize: 0
; MemoryBound: 0
; FloatMode: 240
; IeeeMode: 1
; LDSByteSize: 0 bytes/workgroup (compile time only)
; SGPRBlocks: 0
; VGPRBlocks: 0
; NumSGPRsForWavesPerEU: 6
; NumVGPRsForWavesPerEU: 1
; AccumOffset: 4
; Occupancy: 8
; WaveLimiterHint : 0
; COMPUTE_PGM_RSRC2:SCRATCH_EN: 0
; COMPUTE_PGM_RSRC2:USER_SGPR: 2
; COMPUTE_PGM_RSRC2:TRAP_HANDLER: 0
; COMPUTE_PGM_RSRC2:TGID_X_EN: 1
; COMPUTE_PGM_RSRC2:TGID_Y_EN: 0
; COMPUTE_PGM_RSRC2:TGID_Z_EN: 0
; COMPUTE_PGM_RSRC2:TIDIG_COMP_CNT: 0
; COMPUTE_PGM_RSRC3_GFX90A:ACCUM_OFFSET: 0
; COMPUTE_PGM_RSRC3_GFX90A:TG_SPLIT: 0
	.section	.text._ZN7rocprim17ROCPRIM_400000_NS6detail17trampoline_kernelINS0_14default_configENS1_25partition_config_selectorILNS1_17partition_subalgoE8ElNS0_10empty_typeEbEEZZNS1_14partition_implILS5_8ELb0ES3_jPlPS6_PKS6_NS0_5tupleIJS9_S6_EEENSD_IJSA_SA_EEENS0_18inequality_wrapperIZN2at6native12_GLOBAL__N_124unique_dim_cuda_templateIbEESt5tupleIJNSH_6TensorESM_SM_EERKSM_lbbbEUlllE0_EEPmJS6_EEE10hipError_tPvRmT3_T4_T5_T6_T7_T9_mT8_P12ihipStream_tbDpT10_ENKUlT_T0_E_clISt17integral_constantIbLb0EES1B_IbLb1EEEEDaS17_S18_EUlS17_E_NS1_11comp_targetILNS1_3genE10ELNS1_11target_archE1200ELNS1_3gpuE4ELNS1_3repE0EEENS1_30default_config_static_selectorELNS0_4arch9wavefront6targetE1EEEvT1_,"axG",@progbits,_ZN7rocprim17ROCPRIM_400000_NS6detail17trampoline_kernelINS0_14default_configENS1_25partition_config_selectorILNS1_17partition_subalgoE8ElNS0_10empty_typeEbEEZZNS1_14partition_implILS5_8ELb0ES3_jPlPS6_PKS6_NS0_5tupleIJS9_S6_EEENSD_IJSA_SA_EEENS0_18inequality_wrapperIZN2at6native12_GLOBAL__N_124unique_dim_cuda_templateIbEESt5tupleIJNSH_6TensorESM_SM_EERKSM_lbbbEUlllE0_EEPmJS6_EEE10hipError_tPvRmT3_T4_T5_T6_T7_T9_mT8_P12ihipStream_tbDpT10_ENKUlT_T0_E_clISt17integral_constantIbLb0EES1B_IbLb1EEEEDaS17_S18_EUlS17_E_NS1_11comp_targetILNS1_3genE10ELNS1_11target_archE1200ELNS1_3gpuE4ELNS1_3repE0EEENS1_30default_config_static_selectorELNS0_4arch9wavefront6targetE1EEEvT1_,comdat
	.globl	_ZN7rocprim17ROCPRIM_400000_NS6detail17trampoline_kernelINS0_14default_configENS1_25partition_config_selectorILNS1_17partition_subalgoE8ElNS0_10empty_typeEbEEZZNS1_14partition_implILS5_8ELb0ES3_jPlPS6_PKS6_NS0_5tupleIJS9_S6_EEENSD_IJSA_SA_EEENS0_18inequality_wrapperIZN2at6native12_GLOBAL__N_124unique_dim_cuda_templateIbEESt5tupleIJNSH_6TensorESM_SM_EERKSM_lbbbEUlllE0_EEPmJS6_EEE10hipError_tPvRmT3_T4_T5_T6_T7_T9_mT8_P12ihipStream_tbDpT10_ENKUlT_T0_E_clISt17integral_constantIbLb0EES1B_IbLb1EEEEDaS17_S18_EUlS17_E_NS1_11comp_targetILNS1_3genE10ELNS1_11target_archE1200ELNS1_3gpuE4ELNS1_3repE0EEENS1_30default_config_static_selectorELNS0_4arch9wavefront6targetE1EEEvT1_ ; -- Begin function _ZN7rocprim17ROCPRIM_400000_NS6detail17trampoline_kernelINS0_14default_configENS1_25partition_config_selectorILNS1_17partition_subalgoE8ElNS0_10empty_typeEbEEZZNS1_14partition_implILS5_8ELb0ES3_jPlPS6_PKS6_NS0_5tupleIJS9_S6_EEENSD_IJSA_SA_EEENS0_18inequality_wrapperIZN2at6native12_GLOBAL__N_124unique_dim_cuda_templateIbEESt5tupleIJNSH_6TensorESM_SM_EERKSM_lbbbEUlllE0_EEPmJS6_EEE10hipError_tPvRmT3_T4_T5_T6_T7_T9_mT8_P12ihipStream_tbDpT10_ENKUlT_T0_E_clISt17integral_constantIbLb0EES1B_IbLb1EEEEDaS17_S18_EUlS17_E_NS1_11comp_targetILNS1_3genE10ELNS1_11target_archE1200ELNS1_3gpuE4ELNS1_3repE0EEENS1_30default_config_static_selectorELNS0_4arch9wavefront6targetE1EEEvT1_
	.p2align	8
	.type	_ZN7rocprim17ROCPRIM_400000_NS6detail17trampoline_kernelINS0_14default_configENS1_25partition_config_selectorILNS1_17partition_subalgoE8ElNS0_10empty_typeEbEEZZNS1_14partition_implILS5_8ELb0ES3_jPlPS6_PKS6_NS0_5tupleIJS9_S6_EEENSD_IJSA_SA_EEENS0_18inequality_wrapperIZN2at6native12_GLOBAL__N_124unique_dim_cuda_templateIbEESt5tupleIJNSH_6TensorESM_SM_EERKSM_lbbbEUlllE0_EEPmJS6_EEE10hipError_tPvRmT3_T4_T5_T6_T7_T9_mT8_P12ihipStream_tbDpT10_ENKUlT_T0_E_clISt17integral_constantIbLb0EES1B_IbLb1EEEEDaS17_S18_EUlS17_E_NS1_11comp_targetILNS1_3genE10ELNS1_11target_archE1200ELNS1_3gpuE4ELNS1_3repE0EEENS1_30default_config_static_selectorELNS0_4arch9wavefront6targetE1EEEvT1_,@function
_ZN7rocprim17ROCPRIM_400000_NS6detail17trampoline_kernelINS0_14default_configENS1_25partition_config_selectorILNS1_17partition_subalgoE8ElNS0_10empty_typeEbEEZZNS1_14partition_implILS5_8ELb0ES3_jPlPS6_PKS6_NS0_5tupleIJS9_S6_EEENSD_IJSA_SA_EEENS0_18inequality_wrapperIZN2at6native12_GLOBAL__N_124unique_dim_cuda_templateIbEESt5tupleIJNSH_6TensorESM_SM_EERKSM_lbbbEUlllE0_EEPmJS6_EEE10hipError_tPvRmT3_T4_T5_T6_T7_T9_mT8_P12ihipStream_tbDpT10_ENKUlT_T0_E_clISt17integral_constantIbLb0EES1B_IbLb1EEEEDaS17_S18_EUlS17_E_NS1_11comp_targetILNS1_3genE10ELNS1_11target_archE1200ELNS1_3gpuE4ELNS1_3repE0EEENS1_30default_config_static_selectorELNS0_4arch9wavefront6targetE1EEEvT1_: ; @_ZN7rocprim17ROCPRIM_400000_NS6detail17trampoline_kernelINS0_14default_configENS1_25partition_config_selectorILNS1_17partition_subalgoE8ElNS0_10empty_typeEbEEZZNS1_14partition_implILS5_8ELb0ES3_jPlPS6_PKS6_NS0_5tupleIJS9_S6_EEENSD_IJSA_SA_EEENS0_18inequality_wrapperIZN2at6native12_GLOBAL__N_124unique_dim_cuda_templateIbEESt5tupleIJNSH_6TensorESM_SM_EERKSM_lbbbEUlllE0_EEPmJS6_EEE10hipError_tPvRmT3_T4_T5_T6_T7_T9_mT8_P12ihipStream_tbDpT10_ENKUlT_T0_E_clISt17integral_constantIbLb0EES1B_IbLb1EEEEDaS17_S18_EUlS17_E_NS1_11comp_targetILNS1_3genE10ELNS1_11target_archE1200ELNS1_3gpuE4ELNS1_3repE0EEENS1_30default_config_static_selectorELNS0_4arch9wavefront6targetE1EEEvT1_
; %bb.0:
	.section	.rodata,"a",@progbits
	.p2align	6, 0x0
	.amdhsa_kernel _ZN7rocprim17ROCPRIM_400000_NS6detail17trampoline_kernelINS0_14default_configENS1_25partition_config_selectorILNS1_17partition_subalgoE8ElNS0_10empty_typeEbEEZZNS1_14partition_implILS5_8ELb0ES3_jPlPS6_PKS6_NS0_5tupleIJS9_S6_EEENSD_IJSA_SA_EEENS0_18inequality_wrapperIZN2at6native12_GLOBAL__N_124unique_dim_cuda_templateIbEESt5tupleIJNSH_6TensorESM_SM_EERKSM_lbbbEUlllE0_EEPmJS6_EEE10hipError_tPvRmT3_T4_T5_T6_T7_T9_mT8_P12ihipStream_tbDpT10_ENKUlT_T0_E_clISt17integral_constantIbLb0EES1B_IbLb1EEEEDaS17_S18_EUlS17_E_NS1_11comp_targetILNS1_3genE10ELNS1_11target_archE1200ELNS1_3gpuE4ELNS1_3repE0EEENS1_30default_config_static_selectorELNS0_4arch9wavefront6targetE1EEEvT1_
		.amdhsa_group_segment_fixed_size 0
		.amdhsa_private_segment_fixed_size 0
		.amdhsa_kernarg_size 136
		.amdhsa_user_sgpr_count 2
		.amdhsa_user_sgpr_dispatch_ptr 0
		.amdhsa_user_sgpr_queue_ptr 0
		.amdhsa_user_sgpr_kernarg_segment_ptr 1
		.amdhsa_user_sgpr_dispatch_id 0
		.amdhsa_user_sgpr_kernarg_preload_length 0
		.amdhsa_user_sgpr_kernarg_preload_offset 0
		.amdhsa_user_sgpr_private_segment_size 0
		.amdhsa_uses_dynamic_stack 0
		.amdhsa_enable_private_segment 0
		.amdhsa_system_sgpr_workgroup_id_x 1
		.amdhsa_system_sgpr_workgroup_id_y 0
		.amdhsa_system_sgpr_workgroup_id_z 0
		.amdhsa_system_sgpr_workgroup_info 0
		.amdhsa_system_vgpr_workitem_id 0
		.amdhsa_next_free_vgpr 1
		.amdhsa_next_free_sgpr 0
		.amdhsa_accum_offset 4
		.amdhsa_reserve_vcc 0
		.amdhsa_float_round_mode_32 0
		.amdhsa_float_round_mode_16_64 0
		.amdhsa_float_denorm_mode_32 3
		.amdhsa_float_denorm_mode_16_64 3
		.amdhsa_dx10_clamp 1
		.amdhsa_ieee_mode 1
		.amdhsa_fp16_overflow 0
		.amdhsa_tg_split 0
		.amdhsa_exception_fp_ieee_invalid_op 0
		.amdhsa_exception_fp_denorm_src 0
		.amdhsa_exception_fp_ieee_div_zero 0
		.amdhsa_exception_fp_ieee_overflow 0
		.amdhsa_exception_fp_ieee_underflow 0
		.amdhsa_exception_fp_ieee_inexact 0
		.amdhsa_exception_int_div_zero 0
	.end_amdhsa_kernel
	.section	.text._ZN7rocprim17ROCPRIM_400000_NS6detail17trampoline_kernelINS0_14default_configENS1_25partition_config_selectorILNS1_17partition_subalgoE8ElNS0_10empty_typeEbEEZZNS1_14partition_implILS5_8ELb0ES3_jPlPS6_PKS6_NS0_5tupleIJS9_S6_EEENSD_IJSA_SA_EEENS0_18inequality_wrapperIZN2at6native12_GLOBAL__N_124unique_dim_cuda_templateIbEESt5tupleIJNSH_6TensorESM_SM_EERKSM_lbbbEUlllE0_EEPmJS6_EEE10hipError_tPvRmT3_T4_T5_T6_T7_T9_mT8_P12ihipStream_tbDpT10_ENKUlT_T0_E_clISt17integral_constantIbLb0EES1B_IbLb1EEEEDaS17_S18_EUlS17_E_NS1_11comp_targetILNS1_3genE10ELNS1_11target_archE1200ELNS1_3gpuE4ELNS1_3repE0EEENS1_30default_config_static_selectorELNS0_4arch9wavefront6targetE1EEEvT1_,"axG",@progbits,_ZN7rocprim17ROCPRIM_400000_NS6detail17trampoline_kernelINS0_14default_configENS1_25partition_config_selectorILNS1_17partition_subalgoE8ElNS0_10empty_typeEbEEZZNS1_14partition_implILS5_8ELb0ES3_jPlPS6_PKS6_NS0_5tupleIJS9_S6_EEENSD_IJSA_SA_EEENS0_18inequality_wrapperIZN2at6native12_GLOBAL__N_124unique_dim_cuda_templateIbEESt5tupleIJNSH_6TensorESM_SM_EERKSM_lbbbEUlllE0_EEPmJS6_EEE10hipError_tPvRmT3_T4_T5_T6_T7_T9_mT8_P12ihipStream_tbDpT10_ENKUlT_T0_E_clISt17integral_constantIbLb0EES1B_IbLb1EEEEDaS17_S18_EUlS17_E_NS1_11comp_targetILNS1_3genE10ELNS1_11target_archE1200ELNS1_3gpuE4ELNS1_3repE0EEENS1_30default_config_static_selectorELNS0_4arch9wavefront6targetE1EEEvT1_,comdat
.Lfunc_end1080:
	.size	_ZN7rocprim17ROCPRIM_400000_NS6detail17trampoline_kernelINS0_14default_configENS1_25partition_config_selectorILNS1_17partition_subalgoE8ElNS0_10empty_typeEbEEZZNS1_14partition_implILS5_8ELb0ES3_jPlPS6_PKS6_NS0_5tupleIJS9_S6_EEENSD_IJSA_SA_EEENS0_18inequality_wrapperIZN2at6native12_GLOBAL__N_124unique_dim_cuda_templateIbEESt5tupleIJNSH_6TensorESM_SM_EERKSM_lbbbEUlllE0_EEPmJS6_EEE10hipError_tPvRmT3_T4_T5_T6_T7_T9_mT8_P12ihipStream_tbDpT10_ENKUlT_T0_E_clISt17integral_constantIbLb0EES1B_IbLb1EEEEDaS17_S18_EUlS17_E_NS1_11comp_targetILNS1_3genE10ELNS1_11target_archE1200ELNS1_3gpuE4ELNS1_3repE0EEENS1_30default_config_static_selectorELNS0_4arch9wavefront6targetE1EEEvT1_, .Lfunc_end1080-_ZN7rocprim17ROCPRIM_400000_NS6detail17trampoline_kernelINS0_14default_configENS1_25partition_config_selectorILNS1_17partition_subalgoE8ElNS0_10empty_typeEbEEZZNS1_14partition_implILS5_8ELb0ES3_jPlPS6_PKS6_NS0_5tupleIJS9_S6_EEENSD_IJSA_SA_EEENS0_18inequality_wrapperIZN2at6native12_GLOBAL__N_124unique_dim_cuda_templateIbEESt5tupleIJNSH_6TensorESM_SM_EERKSM_lbbbEUlllE0_EEPmJS6_EEE10hipError_tPvRmT3_T4_T5_T6_T7_T9_mT8_P12ihipStream_tbDpT10_ENKUlT_T0_E_clISt17integral_constantIbLb0EES1B_IbLb1EEEEDaS17_S18_EUlS17_E_NS1_11comp_targetILNS1_3genE10ELNS1_11target_archE1200ELNS1_3gpuE4ELNS1_3repE0EEENS1_30default_config_static_selectorELNS0_4arch9wavefront6targetE1EEEvT1_
                                        ; -- End function
	.set _ZN7rocprim17ROCPRIM_400000_NS6detail17trampoline_kernelINS0_14default_configENS1_25partition_config_selectorILNS1_17partition_subalgoE8ElNS0_10empty_typeEbEEZZNS1_14partition_implILS5_8ELb0ES3_jPlPS6_PKS6_NS0_5tupleIJS9_S6_EEENSD_IJSA_SA_EEENS0_18inequality_wrapperIZN2at6native12_GLOBAL__N_124unique_dim_cuda_templateIbEESt5tupleIJNSH_6TensorESM_SM_EERKSM_lbbbEUlllE0_EEPmJS6_EEE10hipError_tPvRmT3_T4_T5_T6_T7_T9_mT8_P12ihipStream_tbDpT10_ENKUlT_T0_E_clISt17integral_constantIbLb0EES1B_IbLb1EEEEDaS17_S18_EUlS17_E_NS1_11comp_targetILNS1_3genE10ELNS1_11target_archE1200ELNS1_3gpuE4ELNS1_3repE0EEENS1_30default_config_static_selectorELNS0_4arch9wavefront6targetE1EEEvT1_.num_vgpr, 0
	.set _ZN7rocprim17ROCPRIM_400000_NS6detail17trampoline_kernelINS0_14default_configENS1_25partition_config_selectorILNS1_17partition_subalgoE8ElNS0_10empty_typeEbEEZZNS1_14partition_implILS5_8ELb0ES3_jPlPS6_PKS6_NS0_5tupleIJS9_S6_EEENSD_IJSA_SA_EEENS0_18inequality_wrapperIZN2at6native12_GLOBAL__N_124unique_dim_cuda_templateIbEESt5tupleIJNSH_6TensorESM_SM_EERKSM_lbbbEUlllE0_EEPmJS6_EEE10hipError_tPvRmT3_T4_T5_T6_T7_T9_mT8_P12ihipStream_tbDpT10_ENKUlT_T0_E_clISt17integral_constantIbLb0EES1B_IbLb1EEEEDaS17_S18_EUlS17_E_NS1_11comp_targetILNS1_3genE10ELNS1_11target_archE1200ELNS1_3gpuE4ELNS1_3repE0EEENS1_30default_config_static_selectorELNS0_4arch9wavefront6targetE1EEEvT1_.num_agpr, 0
	.set _ZN7rocprim17ROCPRIM_400000_NS6detail17trampoline_kernelINS0_14default_configENS1_25partition_config_selectorILNS1_17partition_subalgoE8ElNS0_10empty_typeEbEEZZNS1_14partition_implILS5_8ELb0ES3_jPlPS6_PKS6_NS0_5tupleIJS9_S6_EEENSD_IJSA_SA_EEENS0_18inequality_wrapperIZN2at6native12_GLOBAL__N_124unique_dim_cuda_templateIbEESt5tupleIJNSH_6TensorESM_SM_EERKSM_lbbbEUlllE0_EEPmJS6_EEE10hipError_tPvRmT3_T4_T5_T6_T7_T9_mT8_P12ihipStream_tbDpT10_ENKUlT_T0_E_clISt17integral_constantIbLb0EES1B_IbLb1EEEEDaS17_S18_EUlS17_E_NS1_11comp_targetILNS1_3genE10ELNS1_11target_archE1200ELNS1_3gpuE4ELNS1_3repE0EEENS1_30default_config_static_selectorELNS0_4arch9wavefront6targetE1EEEvT1_.numbered_sgpr, 0
	.set _ZN7rocprim17ROCPRIM_400000_NS6detail17trampoline_kernelINS0_14default_configENS1_25partition_config_selectorILNS1_17partition_subalgoE8ElNS0_10empty_typeEbEEZZNS1_14partition_implILS5_8ELb0ES3_jPlPS6_PKS6_NS0_5tupleIJS9_S6_EEENSD_IJSA_SA_EEENS0_18inequality_wrapperIZN2at6native12_GLOBAL__N_124unique_dim_cuda_templateIbEESt5tupleIJNSH_6TensorESM_SM_EERKSM_lbbbEUlllE0_EEPmJS6_EEE10hipError_tPvRmT3_T4_T5_T6_T7_T9_mT8_P12ihipStream_tbDpT10_ENKUlT_T0_E_clISt17integral_constantIbLb0EES1B_IbLb1EEEEDaS17_S18_EUlS17_E_NS1_11comp_targetILNS1_3genE10ELNS1_11target_archE1200ELNS1_3gpuE4ELNS1_3repE0EEENS1_30default_config_static_selectorELNS0_4arch9wavefront6targetE1EEEvT1_.num_named_barrier, 0
	.set _ZN7rocprim17ROCPRIM_400000_NS6detail17trampoline_kernelINS0_14default_configENS1_25partition_config_selectorILNS1_17partition_subalgoE8ElNS0_10empty_typeEbEEZZNS1_14partition_implILS5_8ELb0ES3_jPlPS6_PKS6_NS0_5tupleIJS9_S6_EEENSD_IJSA_SA_EEENS0_18inequality_wrapperIZN2at6native12_GLOBAL__N_124unique_dim_cuda_templateIbEESt5tupleIJNSH_6TensorESM_SM_EERKSM_lbbbEUlllE0_EEPmJS6_EEE10hipError_tPvRmT3_T4_T5_T6_T7_T9_mT8_P12ihipStream_tbDpT10_ENKUlT_T0_E_clISt17integral_constantIbLb0EES1B_IbLb1EEEEDaS17_S18_EUlS17_E_NS1_11comp_targetILNS1_3genE10ELNS1_11target_archE1200ELNS1_3gpuE4ELNS1_3repE0EEENS1_30default_config_static_selectorELNS0_4arch9wavefront6targetE1EEEvT1_.private_seg_size, 0
	.set _ZN7rocprim17ROCPRIM_400000_NS6detail17trampoline_kernelINS0_14default_configENS1_25partition_config_selectorILNS1_17partition_subalgoE8ElNS0_10empty_typeEbEEZZNS1_14partition_implILS5_8ELb0ES3_jPlPS6_PKS6_NS0_5tupleIJS9_S6_EEENSD_IJSA_SA_EEENS0_18inequality_wrapperIZN2at6native12_GLOBAL__N_124unique_dim_cuda_templateIbEESt5tupleIJNSH_6TensorESM_SM_EERKSM_lbbbEUlllE0_EEPmJS6_EEE10hipError_tPvRmT3_T4_T5_T6_T7_T9_mT8_P12ihipStream_tbDpT10_ENKUlT_T0_E_clISt17integral_constantIbLb0EES1B_IbLb1EEEEDaS17_S18_EUlS17_E_NS1_11comp_targetILNS1_3genE10ELNS1_11target_archE1200ELNS1_3gpuE4ELNS1_3repE0EEENS1_30default_config_static_selectorELNS0_4arch9wavefront6targetE1EEEvT1_.uses_vcc, 0
	.set _ZN7rocprim17ROCPRIM_400000_NS6detail17trampoline_kernelINS0_14default_configENS1_25partition_config_selectorILNS1_17partition_subalgoE8ElNS0_10empty_typeEbEEZZNS1_14partition_implILS5_8ELb0ES3_jPlPS6_PKS6_NS0_5tupleIJS9_S6_EEENSD_IJSA_SA_EEENS0_18inequality_wrapperIZN2at6native12_GLOBAL__N_124unique_dim_cuda_templateIbEESt5tupleIJNSH_6TensorESM_SM_EERKSM_lbbbEUlllE0_EEPmJS6_EEE10hipError_tPvRmT3_T4_T5_T6_T7_T9_mT8_P12ihipStream_tbDpT10_ENKUlT_T0_E_clISt17integral_constantIbLb0EES1B_IbLb1EEEEDaS17_S18_EUlS17_E_NS1_11comp_targetILNS1_3genE10ELNS1_11target_archE1200ELNS1_3gpuE4ELNS1_3repE0EEENS1_30default_config_static_selectorELNS0_4arch9wavefront6targetE1EEEvT1_.uses_flat_scratch, 0
	.set _ZN7rocprim17ROCPRIM_400000_NS6detail17trampoline_kernelINS0_14default_configENS1_25partition_config_selectorILNS1_17partition_subalgoE8ElNS0_10empty_typeEbEEZZNS1_14partition_implILS5_8ELb0ES3_jPlPS6_PKS6_NS0_5tupleIJS9_S6_EEENSD_IJSA_SA_EEENS0_18inequality_wrapperIZN2at6native12_GLOBAL__N_124unique_dim_cuda_templateIbEESt5tupleIJNSH_6TensorESM_SM_EERKSM_lbbbEUlllE0_EEPmJS6_EEE10hipError_tPvRmT3_T4_T5_T6_T7_T9_mT8_P12ihipStream_tbDpT10_ENKUlT_T0_E_clISt17integral_constantIbLb0EES1B_IbLb1EEEEDaS17_S18_EUlS17_E_NS1_11comp_targetILNS1_3genE10ELNS1_11target_archE1200ELNS1_3gpuE4ELNS1_3repE0EEENS1_30default_config_static_selectorELNS0_4arch9wavefront6targetE1EEEvT1_.has_dyn_sized_stack, 0
	.set _ZN7rocprim17ROCPRIM_400000_NS6detail17trampoline_kernelINS0_14default_configENS1_25partition_config_selectorILNS1_17partition_subalgoE8ElNS0_10empty_typeEbEEZZNS1_14partition_implILS5_8ELb0ES3_jPlPS6_PKS6_NS0_5tupleIJS9_S6_EEENSD_IJSA_SA_EEENS0_18inequality_wrapperIZN2at6native12_GLOBAL__N_124unique_dim_cuda_templateIbEESt5tupleIJNSH_6TensorESM_SM_EERKSM_lbbbEUlllE0_EEPmJS6_EEE10hipError_tPvRmT3_T4_T5_T6_T7_T9_mT8_P12ihipStream_tbDpT10_ENKUlT_T0_E_clISt17integral_constantIbLb0EES1B_IbLb1EEEEDaS17_S18_EUlS17_E_NS1_11comp_targetILNS1_3genE10ELNS1_11target_archE1200ELNS1_3gpuE4ELNS1_3repE0EEENS1_30default_config_static_selectorELNS0_4arch9wavefront6targetE1EEEvT1_.has_recursion, 0
	.set _ZN7rocprim17ROCPRIM_400000_NS6detail17trampoline_kernelINS0_14default_configENS1_25partition_config_selectorILNS1_17partition_subalgoE8ElNS0_10empty_typeEbEEZZNS1_14partition_implILS5_8ELb0ES3_jPlPS6_PKS6_NS0_5tupleIJS9_S6_EEENSD_IJSA_SA_EEENS0_18inequality_wrapperIZN2at6native12_GLOBAL__N_124unique_dim_cuda_templateIbEESt5tupleIJNSH_6TensorESM_SM_EERKSM_lbbbEUlllE0_EEPmJS6_EEE10hipError_tPvRmT3_T4_T5_T6_T7_T9_mT8_P12ihipStream_tbDpT10_ENKUlT_T0_E_clISt17integral_constantIbLb0EES1B_IbLb1EEEEDaS17_S18_EUlS17_E_NS1_11comp_targetILNS1_3genE10ELNS1_11target_archE1200ELNS1_3gpuE4ELNS1_3repE0EEENS1_30default_config_static_selectorELNS0_4arch9wavefront6targetE1EEEvT1_.has_indirect_call, 0
	.section	.AMDGPU.csdata,"",@progbits
; Kernel info:
; codeLenInByte = 0
; TotalNumSgprs: 6
; NumVgprs: 0
; NumAgprs: 0
; TotalNumVgprs: 0
; ScratchSize: 0
; MemoryBound: 0
; FloatMode: 240
; IeeeMode: 1
; LDSByteSize: 0 bytes/workgroup (compile time only)
; SGPRBlocks: 0
; VGPRBlocks: 0
; NumSGPRsForWavesPerEU: 6
; NumVGPRsForWavesPerEU: 1
; AccumOffset: 4
; Occupancy: 8
; WaveLimiterHint : 0
; COMPUTE_PGM_RSRC2:SCRATCH_EN: 0
; COMPUTE_PGM_RSRC2:USER_SGPR: 2
; COMPUTE_PGM_RSRC2:TRAP_HANDLER: 0
; COMPUTE_PGM_RSRC2:TGID_X_EN: 1
; COMPUTE_PGM_RSRC2:TGID_Y_EN: 0
; COMPUTE_PGM_RSRC2:TGID_Z_EN: 0
; COMPUTE_PGM_RSRC2:TIDIG_COMP_CNT: 0
; COMPUTE_PGM_RSRC3_GFX90A:ACCUM_OFFSET: 0
; COMPUTE_PGM_RSRC3_GFX90A:TG_SPLIT: 0
	.section	.text._ZN7rocprim17ROCPRIM_400000_NS6detail17trampoline_kernelINS0_14default_configENS1_25partition_config_selectorILNS1_17partition_subalgoE8ElNS0_10empty_typeEbEEZZNS1_14partition_implILS5_8ELb0ES3_jPlPS6_PKS6_NS0_5tupleIJS9_S6_EEENSD_IJSA_SA_EEENS0_18inequality_wrapperIZN2at6native12_GLOBAL__N_124unique_dim_cuda_templateIbEESt5tupleIJNSH_6TensorESM_SM_EERKSM_lbbbEUlllE0_EEPmJS6_EEE10hipError_tPvRmT3_T4_T5_T6_T7_T9_mT8_P12ihipStream_tbDpT10_ENKUlT_T0_E_clISt17integral_constantIbLb0EES1B_IbLb1EEEEDaS17_S18_EUlS17_E_NS1_11comp_targetILNS1_3genE9ELNS1_11target_archE1100ELNS1_3gpuE3ELNS1_3repE0EEENS1_30default_config_static_selectorELNS0_4arch9wavefront6targetE1EEEvT1_,"axG",@progbits,_ZN7rocprim17ROCPRIM_400000_NS6detail17trampoline_kernelINS0_14default_configENS1_25partition_config_selectorILNS1_17partition_subalgoE8ElNS0_10empty_typeEbEEZZNS1_14partition_implILS5_8ELb0ES3_jPlPS6_PKS6_NS0_5tupleIJS9_S6_EEENSD_IJSA_SA_EEENS0_18inequality_wrapperIZN2at6native12_GLOBAL__N_124unique_dim_cuda_templateIbEESt5tupleIJNSH_6TensorESM_SM_EERKSM_lbbbEUlllE0_EEPmJS6_EEE10hipError_tPvRmT3_T4_T5_T6_T7_T9_mT8_P12ihipStream_tbDpT10_ENKUlT_T0_E_clISt17integral_constantIbLb0EES1B_IbLb1EEEEDaS17_S18_EUlS17_E_NS1_11comp_targetILNS1_3genE9ELNS1_11target_archE1100ELNS1_3gpuE3ELNS1_3repE0EEENS1_30default_config_static_selectorELNS0_4arch9wavefront6targetE1EEEvT1_,comdat
	.globl	_ZN7rocprim17ROCPRIM_400000_NS6detail17trampoline_kernelINS0_14default_configENS1_25partition_config_selectorILNS1_17partition_subalgoE8ElNS0_10empty_typeEbEEZZNS1_14partition_implILS5_8ELb0ES3_jPlPS6_PKS6_NS0_5tupleIJS9_S6_EEENSD_IJSA_SA_EEENS0_18inequality_wrapperIZN2at6native12_GLOBAL__N_124unique_dim_cuda_templateIbEESt5tupleIJNSH_6TensorESM_SM_EERKSM_lbbbEUlllE0_EEPmJS6_EEE10hipError_tPvRmT3_T4_T5_T6_T7_T9_mT8_P12ihipStream_tbDpT10_ENKUlT_T0_E_clISt17integral_constantIbLb0EES1B_IbLb1EEEEDaS17_S18_EUlS17_E_NS1_11comp_targetILNS1_3genE9ELNS1_11target_archE1100ELNS1_3gpuE3ELNS1_3repE0EEENS1_30default_config_static_selectorELNS0_4arch9wavefront6targetE1EEEvT1_ ; -- Begin function _ZN7rocprim17ROCPRIM_400000_NS6detail17trampoline_kernelINS0_14default_configENS1_25partition_config_selectorILNS1_17partition_subalgoE8ElNS0_10empty_typeEbEEZZNS1_14partition_implILS5_8ELb0ES3_jPlPS6_PKS6_NS0_5tupleIJS9_S6_EEENSD_IJSA_SA_EEENS0_18inequality_wrapperIZN2at6native12_GLOBAL__N_124unique_dim_cuda_templateIbEESt5tupleIJNSH_6TensorESM_SM_EERKSM_lbbbEUlllE0_EEPmJS6_EEE10hipError_tPvRmT3_T4_T5_T6_T7_T9_mT8_P12ihipStream_tbDpT10_ENKUlT_T0_E_clISt17integral_constantIbLb0EES1B_IbLb1EEEEDaS17_S18_EUlS17_E_NS1_11comp_targetILNS1_3genE9ELNS1_11target_archE1100ELNS1_3gpuE3ELNS1_3repE0EEENS1_30default_config_static_selectorELNS0_4arch9wavefront6targetE1EEEvT1_
	.p2align	8
	.type	_ZN7rocprim17ROCPRIM_400000_NS6detail17trampoline_kernelINS0_14default_configENS1_25partition_config_selectorILNS1_17partition_subalgoE8ElNS0_10empty_typeEbEEZZNS1_14partition_implILS5_8ELb0ES3_jPlPS6_PKS6_NS0_5tupleIJS9_S6_EEENSD_IJSA_SA_EEENS0_18inequality_wrapperIZN2at6native12_GLOBAL__N_124unique_dim_cuda_templateIbEESt5tupleIJNSH_6TensorESM_SM_EERKSM_lbbbEUlllE0_EEPmJS6_EEE10hipError_tPvRmT3_T4_T5_T6_T7_T9_mT8_P12ihipStream_tbDpT10_ENKUlT_T0_E_clISt17integral_constantIbLb0EES1B_IbLb1EEEEDaS17_S18_EUlS17_E_NS1_11comp_targetILNS1_3genE9ELNS1_11target_archE1100ELNS1_3gpuE3ELNS1_3repE0EEENS1_30default_config_static_selectorELNS0_4arch9wavefront6targetE1EEEvT1_,@function
_ZN7rocprim17ROCPRIM_400000_NS6detail17trampoline_kernelINS0_14default_configENS1_25partition_config_selectorILNS1_17partition_subalgoE8ElNS0_10empty_typeEbEEZZNS1_14partition_implILS5_8ELb0ES3_jPlPS6_PKS6_NS0_5tupleIJS9_S6_EEENSD_IJSA_SA_EEENS0_18inequality_wrapperIZN2at6native12_GLOBAL__N_124unique_dim_cuda_templateIbEESt5tupleIJNSH_6TensorESM_SM_EERKSM_lbbbEUlllE0_EEPmJS6_EEE10hipError_tPvRmT3_T4_T5_T6_T7_T9_mT8_P12ihipStream_tbDpT10_ENKUlT_T0_E_clISt17integral_constantIbLb0EES1B_IbLb1EEEEDaS17_S18_EUlS17_E_NS1_11comp_targetILNS1_3genE9ELNS1_11target_archE1100ELNS1_3gpuE3ELNS1_3repE0EEENS1_30default_config_static_selectorELNS0_4arch9wavefront6targetE1EEEvT1_: ; @_ZN7rocprim17ROCPRIM_400000_NS6detail17trampoline_kernelINS0_14default_configENS1_25partition_config_selectorILNS1_17partition_subalgoE8ElNS0_10empty_typeEbEEZZNS1_14partition_implILS5_8ELb0ES3_jPlPS6_PKS6_NS0_5tupleIJS9_S6_EEENSD_IJSA_SA_EEENS0_18inequality_wrapperIZN2at6native12_GLOBAL__N_124unique_dim_cuda_templateIbEESt5tupleIJNSH_6TensorESM_SM_EERKSM_lbbbEUlllE0_EEPmJS6_EEE10hipError_tPvRmT3_T4_T5_T6_T7_T9_mT8_P12ihipStream_tbDpT10_ENKUlT_T0_E_clISt17integral_constantIbLb0EES1B_IbLb1EEEEDaS17_S18_EUlS17_E_NS1_11comp_targetILNS1_3genE9ELNS1_11target_archE1100ELNS1_3gpuE3ELNS1_3repE0EEENS1_30default_config_static_selectorELNS0_4arch9wavefront6targetE1EEEvT1_
; %bb.0:
	.section	.rodata,"a",@progbits
	.p2align	6, 0x0
	.amdhsa_kernel _ZN7rocprim17ROCPRIM_400000_NS6detail17trampoline_kernelINS0_14default_configENS1_25partition_config_selectorILNS1_17partition_subalgoE8ElNS0_10empty_typeEbEEZZNS1_14partition_implILS5_8ELb0ES3_jPlPS6_PKS6_NS0_5tupleIJS9_S6_EEENSD_IJSA_SA_EEENS0_18inequality_wrapperIZN2at6native12_GLOBAL__N_124unique_dim_cuda_templateIbEESt5tupleIJNSH_6TensorESM_SM_EERKSM_lbbbEUlllE0_EEPmJS6_EEE10hipError_tPvRmT3_T4_T5_T6_T7_T9_mT8_P12ihipStream_tbDpT10_ENKUlT_T0_E_clISt17integral_constantIbLb0EES1B_IbLb1EEEEDaS17_S18_EUlS17_E_NS1_11comp_targetILNS1_3genE9ELNS1_11target_archE1100ELNS1_3gpuE3ELNS1_3repE0EEENS1_30default_config_static_selectorELNS0_4arch9wavefront6targetE1EEEvT1_
		.amdhsa_group_segment_fixed_size 0
		.amdhsa_private_segment_fixed_size 0
		.amdhsa_kernarg_size 136
		.amdhsa_user_sgpr_count 2
		.amdhsa_user_sgpr_dispatch_ptr 0
		.amdhsa_user_sgpr_queue_ptr 0
		.amdhsa_user_sgpr_kernarg_segment_ptr 1
		.amdhsa_user_sgpr_dispatch_id 0
		.amdhsa_user_sgpr_kernarg_preload_length 0
		.amdhsa_user_sgpr_kernarg_preload_offset 0
		.amdhsa_user_sgpr_private_segment_size 0
		.amdhsa_uses_dynamic_stack 0
		.amdhsa_enable_private_segment 0
		.amdhsa_system_sgpr_workgroup_id_x 1
		.amdhsa_system_sgpr_workgroup_id_y 0
		.amdhsa_system_sgpr_workgroup_id_z 0
		.amdhsa_system_sgpr_workgroup_info 0
		.amdhsa_system_vgpr_workitem_id 0
		.amdhsa_next_free_vgpr 1
		.amdhsa_next_free_sgpr 0
		.amdhsa_accum_offset 4
		.amdhsa_reserve_vcc 0
		.amdhsa_float_round_mode_32 0
		.amdhsa_float_round_mode_16_64 0
		.amdhsa_float_denorm_mode_32 3
		.amdhsa_float_denorm_mode_16_64 3
		.amdhsa_dx10_clamp 1
		.amdhsa_ieee_mode 1
		.amdhsa_fp16_overflow 0
		.amdhsa_tg_split 0
		.amdhsa_exception_fp_ieee_invalid_op 0
		.amdhsa_exception_fp_denorm_src 0
		.amdhsa_exception_fp_ieee_div_zero 0
		.amdhsa_exception_fp_ieee_overflow 0
		.amdhsa_exception_fp_ieee_underflow 0
		.amdhsa_exception_fp_ieee_inexact 0
		.amdhsa_exception_int_div_zero 0
	.end_amdhsa_kernel
	.section	.text._ZN7rocprim17ROCPRIM_400000_NS6detail17trampoline_kernelINS0_14default_configENS1_25partition_config_selectorILNS1_17partition_subalgoE8ElNS0_10empty_typeEbEEZZNS1_14partition_implILS5_8ELb0ES3_jPlPS6_PKS6_NS0_5tupleIJS9_S6_EEENSD_IJSA_SA_EEENS0_18inequality_wrapperIZN2at6native12_GLOBAL__N_124unique_dim_cuda_templateIbEESt5tupleIJNSH_6TensorESM_SM_EERKSM_lbbbEUlllE0_EEPmJS6_EEE10hipError_tPvRmT3_T4_T5_T6_T7_T9_mT8_P12ihipStream_tbDpT10_ENKUlT_T0_E_clISt17integral_constantIbLb0EES1B_IbLb1EEEEDaS17_S18_EUlS17_E_NS1_11comp_targetILNS1_3genE9ELNS1_11target_archE1100ELNS1_3gpuE3ELNS1_3repE0EEENS1_30default_config_static_selectorELNS0_4arch9wavefront6targetE1EEEvT1_,"axG",@progbits,_ZN7rocprim17ROCPRIM_400000_NS6detail17trampoline_kernelINS0_14default_configENS1_25partition_config_selectorILNS1_17partition_subalgoE8ElNS0_10empty_typeEbEEZZNS1_14partition_implILS5_8ELb0ES3_jPlPS6_PKS6_NS0_5tupleIJS9_S6_EEENSD_IJSA_SA_EEENS0_18inequality_wrapperIZN2at6native12_GLOBAL__N_124unique_dim_cuda_templateIbEESt5tupleIJNSH_6TensorESM_SM_EERKSM_lbbbEUlllE0_EEPmJS6_EEE10hipError_tPvRmT3_T4_T5_T6_T7_T9_mT8_P12ihipStream_tbDpT10_ENKUlT_T0_E_clISt17integral_constantIbLb0EES1B_IbLb1EEEEDaS17_S18_EUlS17_E_NS1_11comp_targetILNS1_3genE9ELNS1_11target_archE1100ELNS1_3gpuE3ELNS1_3repE0EEENS1_30default_config_static_selectorELNS0_4arch9wavefront6targetE1EEEvT1_,comdat
.Lfunc_end1081:
	.size	_ZN7rocprim17ROCPRIM_400000_NS6detail17trampoline_kernelINS0_14default_configENS1_25partition_config_selectorILNS1_17partition_subalgoE8ElNS0_10empty_typeEbEEZZNS1_14partition_implILS5_8ELb0ES3_jPlPS6_PKS6_NS0_5tupleIJS9_S6_EEENSD_IJSA_SA_EEENS0_18inequality_wrapperIZN2at6native12_GLOBAL__N_124unique_dim_cuda_templateIbEESt5tupleIJNSH_6TensorESM_SM_EERKSM_lbbbEUlllE0_EEPmJS6_EEE10hipError_tPvRmT3_T4_T5_T6_T7_T9_mT8_P12ihipStream_tbDpT10_ENKUlT_T0_E_clISt17integral_constantIbLb0EES1B_IbLb1EEEEDaS17_S18_EUlS17_E_NS1_11comp_targetILNS1_3genE9ELNS1_11target_archE1100ELNS1_3gpuE3ELNS1_3repE0EEENS1_30default_config_static_selectorELNS0_4arch9wavefront6targetE1EEEvT1_, .Lfunc_end1081-_ZN7rocprim17ROCPRIM_400000_NS6detail17trampoline_kernelINS0_14default_configENS1_25partition_config_selectorILNS1_17partition_subalgoE8ElNS0_10empty_typeEbEEZZNS1_14partition_implILS5_8ELb0ES3_jPlPS6_PKS6_NS0_5tupleIJS9_S6_EEENSD_IJSA_SA_EEENS0_18inequality_wrapperIZN2at6native12_GLOBAL__N_124unique_dim_cuda_templateIbEESt5tupleIJNSH_6TensorESM_SM_EERKSM_lbbbEUlllE0_EEPmJS6_EEE10hipError_tPvRmT3_T4_T5_T6_T7_T9_mT8_P12ihipStream_tbDpT10_ENKUlT_T0_E_clISt17integral_constantIbLb0EES1B_IbLb1EEEEDaS17_S18_EUlS17_E_NS1_11comp_targetILNS1_3genE9ELNS1_11target_archE1100ELNS1_3gpuE3ELNS1_3repE0EEENS1_30default_config_static_selectorELNS0_4arch9wavefront6targetE1EEEvT1_
                                        ; -- End function
	.set _ZN7rocprim17ROCPRIM_400000_NS6detail17trampoline_kernelINS0_14default_configENS1_25partition_config_selectorILNS1_17partition_subalgoE8ElNS0_10empty_typeEbEEZZNS1_14partition_implILS5_8ELb0ES3_jPlPS6_PKS6_NS0_5tupleIJS9_S6_EEENSD_IJSA_SA_EEENS0_18inequality_wrapperIZN2at6native12_GLOBAL__N_124unique_dim_cuda_templateIbEESt5tupleIJNSH_6TensorESM_SM_EERKSM_lbbbEUlllE0_EEPmJS6_EEE10hipError_tPvRmT3_T4_T5_T6_T7_T9_mT8_P12ihipStream_tbDpT10_ENKUlT_T0_E_clISt17integral_constantIbLb0EES1B_IbLb1EEEEDaS17_S18_EUlS17_E_NS1_11comp_targetILNS1_3genE9ELNS1_11target_archE1100ELNS1_3gpuE3ELNS1_3repE0EEENS1_30default_config_static_selectorELNS0_4arch9wavefront6targetE1EEEvT1_.num_vgpr, 0
	.set _ZN7rocprim17ROCPRIM_400000_NS6detail17trampoline_kernelINS0_14default_configENS1_25partition_config_selectorILNS1_17partition_subalgoE8ElNS0_10empty_typeEbEEZZNS1_14partition_implILS5_8ELb0ES3_jPlPS6_PKS6_NS0_5tupleIJS9_S6_EEENSD_IJSA_SA_EEENS0_18inequality_wrapperIZN2at6native12_GLOBAL__N_124unique_dim_cuda_templateIbEESt5tupleIJNSH_6TensorESM_SM_EERKSM_lbbbEUlllE0_EEPmJS6_EEE10hipError_tPvRmT3_T4_T5_T6_T7_T9_mT8_P12ihipStream_tbDpT10_ENKUlT_T0_E_clISt17integral_constantIbLb0EES1B_IbLb1EEEEDaS17_S18_EUlS17_E_NS1_11comp_targetILNS1_3genE9ELNS1_11target_archE1100ELNS1_3gpuE3ELNS1_3repE0EEENS1_30default_config_static_selectorELNS0_4arch9wavefront6targetE1EEEvT1_.num_agpr, 0
	.set _ZN7rocprim17ROCPRIM_400000_NS6detail17trampoline_kernelINS0_14default_configENS1_25partition_config_selectorILNS1_17partition_subalgoE8ElNS0_10empty_typeEbEEZZNS1_14partition_implILS5_8ELb0ES3_jPlPS6_PKS6_NS0_5tupleIJS9_S6_EEENSD_IJSA_SA_EEENS0_18inequality_wrapperIZN2at6native12_GLOBAL__N_124unique_dim_cuda_templateIbEESt5tupleIJNSH_6TensorESM_SM_EERKSM_lbbbEUlllE0_EEPmJS6_EEE10hipError_tPvRmT3_T4_T5_T6_T7_T9_mT8_P12ihipStream_tbDpT10_ENKUlT_T0_E_clISt17integral_constantIbLb0EES1B_IbLb1EEEEDaS17_S18_EUlS17_E_NS1_11comp_targetILNS1_3genE9ELNS1_11target_archE1100ELNS1_3gpuE3ELNS1_3repE0EEENS1_30default_config_static_selectorELNS0_4arch9wavefront6targetE1EEEvT1_.numbered_sgpr, 0
	.set _ZN7rocprim17ROCPRIM_400000_NS6detail17trampoline_kernelINS0_14default_configENS1_25partition_config_selectorILNS1_17partition_subalgoE8ElNS0_10empty_typeEbEEZZNS1_14partition_implILS5_8ELb0ES3_jPlPS6_PKS6_NS0_5tupleIJS9_S6_EEENSD_IJSA_SA_EEENS0_18inequality_wrapperIZN2at6native12_GLOBAL__N_124unique_dim_cuda_templateIbEESt5tupleIJNSH_6TensorESM_SM_EERKSM_lbbbEUlllE0_EEPmJS6_EEE10hipError_tPvRmT3_T4_T5_T6_T7_T9_mT8_P12ihipStream_tbDpT10_ENKUlT_T0_E_clISt17integral_constantIbLb0EES1B_IbLb1EEEEDaS17_S18_EUlS17_E_NS1_11comp_targetILNS1_3genE9ELNS1_11target_archE1100ELNS1_3gpuE3ELNS1_3repE0EEENS1_30default_config_static_selectorELNS0_4arch9wavefront6targetE1EEEvT1_.num_named_barrier, 0
	.set _ZN7rocprim17ROCPRIM_400000_NS6detail17trampoline_kernelINS0_14default_configENS1_25partition_config_selectorILNS1_17partition_subalgoE8ElNS0_10empty_typeEbEEZZNS1_14partition_implILS5_8ELb0ES3_jPlPS6_PKS6_NS0_5tupleIJS9_S6_EEENSD_IJSA_SA_EEENS0_18inequality_wrapperIZN2at6native12_GLOBAL__N_124unique_dim_cuda_templateIbEESt5tupleIJNSH_6TensorESM_SM_EERKSM_lbbbEUlllE0_EEPmJS6_EEE10hipError_tPvRmT3_T4_T5_T6_T7_T9_mT8_P12ihipStream_tbDpT10_ENKUlT_T0_E_clISt17integral_constantIbLb0EES1B_IbLb1EEEEDaS17_S18_EUlS17_E_NS1_11comp_targetILNS1_3genE9ELNS1_11target_archE1100ELNS1_3gpuE3ELNS1_3repE0EEENS1_30default_config_static_selectorELNS0_4arch9wavefront6targetE1EEEvT1_.private_seg_size, 0
	.set _ZN7rocprim17ROCPRIM_400000_NS6detail17trampoline_kernelINS0_14default_configENS1_25partition_config_selectorILNS1_17partition_subalgoE8ElNS0_10empty_typeEbEEZZNS1_14partition_implILS5_8ELb0ES3_jPlPS6_PKS6_NS0_5tupleIJS9_S6_EEENSD_IJSA_SA_EEENS0_18inequality_wrapperIZN2at6native12_GLOBAL__N_124unique_dim_cuda_templateIbEESt5tupleIJNSH_6TensorESM_SM_EERKSM_lbbbEUlllE0_EEPmJS6_EEE10hipError_tPvRmT3_T4_T5_T6_T7_T9_mT8_P12ihipStream_tbDpT10_ENKUlT_T0_E_clISt17integral_constantIbLb0EES1B_IbLb1EEEEDaS17_S18_EUlS17_E_NS1_11comp_targetILNS1_3genE9ELNS1_11target_archE1100ELNS1_3gpuE3ELNS1_3repE0EEENS1_30default_config_static_selectorELNS0_4arch9wavefront6targetE1EEEvT1_.uses_vcc, 0
	.set _ZN7rocprim17ROCPRIM_400000_NS6detail17trampoline_kernelINS0_14default_configENS1_25partition_config_selectorILNS1_17partition_subalgoE8ElNS0_10empty_typeEbEEZZNS1_14partition_implILS5_8ELb0ES3_jPlPS6_PKS6_NS0_5tupleIJS9_S6_EEENSD_IJSA_SA_EEENS0_18inequality_wrapperIZN2at6native12_GLOBAL__N_124unique_dim_cuda_templateIbEESt5tupleIJNSH_6TensorESM_SM_EERKSM_lbbbEUlllE0_EEPmJS6_EEE10hipError_tPvRmT3_T4_T5_T6_T7_T9_mT8_P12ihipStream_tbDpT10_ENKUlT_T0_E_clISt17integral_constantIbLb0EES1B_IbLb1EEEEDaS17_S18_EUlS17_E_NS1_11comp_targetILNS1_3genE9ELNS1_11target_archE1100ELNS1_3gpuE3ELNS1_3repE0EEENS1_30default_config_static_selectorELNS0_4arch9wavefront6targetE1EEEvT1_.uses_flat_scratch, 0
	.set _ZN7rocprim17ROCPRIM_400000_NS6detail17trampoline_kernelINS0_14default_configENS1_25partition_config_selectorILNS1_17partition_subalgoE8ElNS0_10empty_typeEbEEZZNS1_14partition_implILS5_8ELb0ES3_jPlPS6_PKS6_NS0_5tupleIJS9_S6_EEENSD_IJSA_SA_EEENS0_18inequality_wrapperIZN2at6native12_GLOBAL__N_124unique_dim_cuda_templateIbEESt5tupleIJNSH_6TensorESM_SM_EERKSM_lbbbEUlllE0_EEPmJS6_EEE10hipError_tPvRmT3_T4_T5_T6_T7_T9_mT8_P12ihipStream_tbDpT10_ENKUlT_T0_E_clISt17integral_constantIbLb0EES1B_IbLb1EEEEDaS17_S18_EUlS17_E_NS1_11comp_targetILNS1_3genE9ELNS1_11target_archE1100ELNS1_3gpuE3ELNS1_3repE0EEENS1_30default_config_static_selectorELNS0_4arch9wavefront6targetE1EEEvT1_.has_dyn_sized_stack, 0
	.set _ZN7rocprim17ROCPRIM_400000_NS6detail17trampoline_kernelINS0_14default_configENS1_25partition_config_selectorILNS1_17partition_subalgoE8ElNS0_10empty_typeEbEEZZNS1_14partition_implILS5_8ELb0ES3_jPlPS6_PKS6_NS0_5tupleIJS9_S6_EEENSD_IJSA_SA_EEENS0_18inequality_wrapperIZN2at6native12_GLOBAL__N_124unique_dim_cuda_templateIbEESt5tupleIJNSH_6TensorESM_SM_EERKSM_lbbbEUlllE0_EEPmJS6_EEE10hipError_tPvRmT3_T4_T5_T6_T7_T9_mT8_P12ihipStream_tbDpT10_ENKUlT_T0_E_clISt17integral_constantIbLb0EES1B_IbLb1EEEEDaS17_S18_EUlS17_E_NS1_11comp_targetILNS1_3genE9ELNS1_11target_archE1100ELNS1_3gpuE3ELNS1_3repE0EEENS1_30default_config_static_selectorELNS0_4arch9wavefront6targetE1EEEvT1_.has_recursion, 0
	.set _ZN7rocprim17ROCPRIM_400000_NS6detail17trampoline_kernelINS0_14default_configENS1_25partition_config_selectorILNS1_17partition_subalgoE8ElNS0_10empty_typeEbEEZZNS1_14partition_implILS5_8ELb0ES3_jPlPS6_PKS6_NS0_5tupleIJS9_S6_EEENSD_IJSA_SA_EEENS0_18inequality_wrapperIZN2at6native12_GLOBAL__N_124unique_dim_cuda_templateIbEESt5tupleIJNSH_6TensorESM_SM_EERKSM_lbbbEUlllE0_EEPmJS6_EEE10hipError_tPvRmT3_T4_T5_T6_T7_T9_mT8_P12ihipStream_tbDpT10_ENKUlT_T0_E_clISt17integral_constantIbLb0EES1B_IbLb1EEEEDaS17_S18_EUlS17_E_NS1_11comp_targetILNS1_3genE9ELNS1_11target_archE1100ELNS1_3gpuE3ELNS1_3repE0EEENS1_30default_config_static_selectorELNS0_4arch9wavefront6targetE1EEEvT1_.has_indirect_call, 0
	.section	.AMDGPU.csdata,"",@progbits
; Kernel info:
; codeLenInByte = 0
; TotalNumSgprs: 6
; NumVgprs: 0
; NumAgprs: 0
; TotalNumVgprs: 0
; ScratchSize: 0
; MemoryBound: 0
; FloatMode: 240
; IeeeMode: 1
; LDSByteSize: 0 bytes/workgroup (compile time only)
; SGPRBlocks: 0
; VGPRBlocks: 0
; NumSGPRsForWavesPerEU: 6
; NumVGPRsForWavesPerEU: 1
; AccumOffset: 4
; Occupancy: 8
; WaveLimiterHint : 0
; COMPUTE_PGM_RSRC2:SCRATCH_EN: 0
; COMPUTE_PGM_RSRC2:USER_SGPR: 2
; COMPUTE_PGM_RSRC2:TRAP_HANDLER: 0
; COMPUTE_PGM_RSRC2:TGID_X_EN: 1
; COMPUTE_PGM_RSRC2:TGID_Y_EN: 0
; COMPUTE_PGM_RSRC2:TGID_Z_EN: 0
; COMPUTE_PGM_RSRC2:TIDIG_COMP_CNT: 0
; COMPUTE_PGM_RSRC3_GFX90A:ACCUM_OFFSET: 0
; COMPUTE_PGM_RSRC3_GFX90A:TG_SPLIT: 0
	.section	.text._ZN7rocprim17ROCPRIM_400000_NS6detail17trampoline_kernelINS0_14default_configENS1_25partition_config_selectorILNS1_17partition_subalgoE8ElNS0_10empty_typeEbEEZZNS1_14partition_implILS5_8ELb0ES3_jPlPS6_PKS6_NS0_5tupleIJS9_S6_EEENSD_IJSA_SA_EEENS0_18inequality_wrapperIZN2at6native12_GLOBAL__N_124unique_dim_cuda_templateIbEESt5tupleIJNSH_6TensorESM_SM_EERKSM_lbbbEUlllE0_EEPmJS6_EEE10hipError_tPvRmT3_T4_T5_T6_T7_T9_mT8_P12ihipStream_tbDpT10_ENKUlT_T0_E_clISt17integral_constantIbLb0EES1B_IbLb1EEEEDaS17_S18_EUlS17_E_NS1_11comp_targetILNS1_3genE8ELNS1_11target_archE1030ELNS1_3gpuE2ELNS1_3repE0EEENS1_30default_config_static_selectorELNS0_4arch9wavefront6targetE1EEEvT1_,"axG",@progbits,_ZN7rocprim17ROCPRIM_400000_NS6detail17trampoline_kernelINS0_14default_configENS1_25partition_config_selectorILNS1_17partition_subalgoE8ElNS0_10empty_typeEbEEZZNS1_14partition_implILS5_8ELb0ES3_jPlPS6_PKS6_NS0_5tupleIJS9_S6_EEENSD_IJSA_SA_EEENS0_18inequality_wrapperIZN2at6native12_GLOBAL__N_124unique_dim_cuda_templateIbEESt5tupleIJNSH_6TensorESM_SM_EERKSM_lbbbEUlllE0_EEPmJS6_EEE10hipError_tPvRmT3_T4_T5_T6_T7_T9_mT8_P12ihipStream_tbDpT10_ENKUlT_T0_E_clISt17integral_constantIbLb0EES1B_IbLb1EEEEDaS17_S18_EUlS17_E_NS1_11comp_targetILNS1_3genE8ELNS1_11target_archE1030ELNS1_3gpuE2ELNS1_3repE0EEENS1_30default_config_static_selectorELNS0_4arch9wavefront6targetE1EEEvT1_,comdat
	.globl	_ZN7rocprim17ROCPRIM_400000_NS6detail17trampoline_kernelINS0_14default_configENS1_25partition_config_selectorILNS1_17partition_subalgoE8ElNS0_10empty_typeEbEEZZNS1_14partition_implILS5_8ELb0ES3_jPlPS6_PKS6_NS0_5tupleIJS9_S6_EEENSD_IJSA_SA_EEENS0_18inequality_wrapperIZN2at6native12_GLOBAL__N_124unique_dim_cuda_templateIbEESt5tupleIJNSH_6TensorESM_SM_EERKSM_lbbbEUlllE0_EEPmJS6_EEE10hipError_tPvRmT3_T4_T5_T6_T7_T9_mT8_P12ihipStream_tbDpT10_ENKUlT_T0_E_clISt17integral_constantIbLb0EES1B_IbLb1EEEEDaS17_S18_EUlS17_E_NS1_11comp_targetILNS1_3genE8ELNS1_11target_archE1030ELNS1_3gpuE2ELNS1_3repE0EEENS1_30default_config_static_selectorELNS0_4arch9wavefront6targetE1EEEvT1_ ; -- Begin function _ZN7rocprim17ROCPRIM_400000_NS6detail17trampoline_kernelINS0_14default_configENS1_25partition_config_selectorILNS1_17partition_subalgoE8ElNS0_10empty_typeEbEEZZNS1_14partition_implILS5_8ELb0ES3_jPlPS6_PKS6_NS0_5tupleIJS9_S6_EEENSD_IJSA_SA_EEENS0_18inequality_wrapperIZN2at6native12_GLOBAL__N_124unique_dim_cuda_templateIbEESt5tupleIJNSH_6TensorESM_SM_EERKSM_lbbbEUlllE0_EEPmJS6_EEE10hipError_tPvRmT3_T4_T5_T6_T7_T9_mT8_P12ihipStream_tbDpT10_ENKUlT_T0_E_clISt17integral_constantIbLb0EES1B_IbLb1EEEEDaS17_S18_EUlS17_E_NS1_11comp_targetILNS1_3genE8ELNS1_11target_archE1030ELNS1_3gpuE2ELNS1_3repE0EEENS1_30default_config_static_selectorELNS0_4arch9wavefront6targetE1EEEvT1_
	.p2align	8
	.type	_ZN7rocprim17ROCPRIM_400000_NS6detail17trampoline_kernelINS0_14default_configENS1_25partition_config_selectorILNS1_17partition_subalgoE8ElNS0_10empty_typeEbEEZZNS1_14partition_implILS5_8ELb0ES3_jPlPS6_PKS6_NS0_5tupleIJS9_S6_EEENSD_IJSA_SA_EEENS0_18inequality_wrapperIZN2at6native12_GLOBAL__N_124unique_dim_cuda_templateIbEESt5tupleIJNSH_6TensorESM_SM_EERKSM_lbbbEUlllE0_EEPmJS6_EEE10hipError_tPvRmT3_T4_T5_T6_T7_T9_mT8_P12ihipStream_tbDpT10_ENKUlT_T0_E_clISt17integral_constantIbLb0EES1B_IbLb1EEEEDaS17_S18_EUlS17_E_NS1_11comp_targetILNS1_3genE8ELNS1_11target_archE1030ELNS1_3gpuE2ELNS1_3repE0EEENS1_30default_config_static_selectorELNS0_4arch9wavefront6targetE1EEEvT1_,@function
_ZN7rocprim17ROCPRIM_400000_NS6detail17trampoline_kernelINS0_14default_configENS1_25partition_config_selectorILNS1_17partition_subalgoE8ElNS0_10empty_typeEbEEZZNS1_14partition_implILS5_8ELb0ES3_jPlPS6_PKS6_NS0_5tupleIJS9_S6_EEENSD_IJSA_SA_EEENS0_18inequality_wrapperIZN2at6native12_GLOBAL__N_124unique_dim_cuda_templateIbEESt5tupleIJNSH_6TensorESM_SM_EERKSM_lbbbEUlllE0_EEPmJS6_EEE10hipError_tPvRmT3_T4_T5_T6_T7_T9_mT8_P12ihipStream_tbDpT10_ENKUlT_T0_E_clISt17integral_constantIbLb0EES1B_IbLb1EEEEDaS17_S18_EUlS17_E_NS1_11comp_targetILNS1_3genE8ELNS1_11target_archE1030ELNS1_3gpuE2ELNS1_3repE0EEENS1_30default_config_static_selectorELNS0_4arch9wavefront6targetE1EEEvT1_: ; @_ZN7rocprim17ROCPRIM_400000_NS6detail17trampoline_kernelINS0_14default_configENS1_25partition_config_selectorILNS1_17partition_subalgoE8ElNS0_10empty_typeEbEEZZNS1_14partition_implILS5_8ELb0ES3_jPlPS6_PKS6_NS0_5tupleIJS9_S6_EEENSD_IJSA_SA_EEENS0_18inequality_wrapperIZN2at6native12_GLOBAL__N_124unique_dim_cuda_templateIbEESt5tupleIJNSH_6TensorESM_SM_EERKSM_lbbbEUlllE0_EEPmJS6_EEE10hipError_tPvRmT3_T4_T5_T6_T7_T9_mT8_P12ihipStream_tbDpT10_ENKUlT_T0_E_clISt17integral_constantIbLb0EES1B_IbLb1EEEEDaS17_S18_EUlS17_E_NS1_11comp_targetILNS1_3genE8ELNS1_11target_archE1030ELNS1_3gpuE2ELNS1_3repE0EEENS1_30default_config_static_selectorELNS0_4arch9wavefront6targetE1EEEvT1_
; %bb.0:
	.section	.rodata,"a",@progbits
	.p2align	6, 0x0
	.amdhsa_kernel _ZN7rocprim17ROCPRIM_400000_NS6detail17trampoline_kernelINS0_14default_configENS1_25partition_config_selectorILNS1_17partition_subalgoE8ElNS0_10empty_typeEbEEZZNS1_14partition_implILS5_8ELb0ES3_jPlPS6_PKS6_NS0_5tupleIJS9_S6_EEENSD_IJSA_SA_EEENS0_18inequality_wrapperIZN2at6native12_GLOBAL__N_124unique_dim_cuda_templateIbEESt5tupleIJNSH_6TensorESM_SM_EERKSM_lbbbEUlllE0_EEPmJS6_EEE10hipError_tPvRmT3_T4_T5_T6_T7_T9_mT8_P12ihipStream_tbDpT10_ENKUlT_T0_E_clISt17integral_constantIbLb0EES1B_IbLb1EEEEDaS17_S18_EUlS17_E_NS1_11comp_targetILNS1_3genE8ELNS1_11target_archE1030ELNS1_3gpuE2ELNS1_3repE0EEENS1_30default_config_static_selectorELNS0_4arch9wavefront6targetE1EEEvT1_
		.amdhsa_group_segment_fixed_size 0
		.amdhsa_private_segment_fixed_size 0
		.amdhsa_kernarg_size 136
		.amdhsa_user_sgpr_count 2
		.amdhsa_user_sgpr_dispatch_ptr 0
		.amdhsa_user_sgpr_queue_ptr 0
		.amdhsa_user_sgpr_kernarg_segment_ptr 1
		.amdhsa_user_sgpr_dispatch_id 0
		.amdhsa_user_sgpr_kernarg_preload_length 0
		.amdhsa_user_sgpr_kernarg_preload_offset 0
		.amdhsa_user_sgpr_private_segment_size 0
		.amdhsa_uses_dynamic_stack 0
		.amdhsa_enable_private_segment 0
		.amdhsa_system_sgpr_workgroup_id_x 1
		.amdhsa_system_sgpr_workgroup_id_y 0
		.amdhsa_system_sgpr_workgroup_id_z 0
		.amdhsa_system_sgpr_workgroup_info 0
		.amdhsa_system_vgpr_workitem_id 0
		.amdhsa_next_free_vgpr 1
		.amdhsa_next_free_sgpr 0
		.amdhsa_accum_offset 4
		.amdhsa_reserve_vcc 0
		.amdhsa_float_round_mode_32 0
		.amdhsa_float_round_mode_16_64 0
		.amdhsa_float_denorm_mode_32 3
		.amdhsa_float_denorm_mode_16_64 3
		.amdhsa_dx10_clamp 1
		.amdhsa_ieee_mode 1
		.amdhsa_fp16_overflow 0
		.amdhsa_tg_split 0
		.amdhsa_exception_fp_ieee_invalid_op 0
		.amdhsa_exception_fp_denorm_src 0
		.amdhsa_exception_fp_ieee_div_zero 0
		.amdhsa_exception_fp_ieee_overflow 0
		.amdhsa_exception_fp_ieee_underflow 0
		.amdhsa_exception_fp_ieee_inexact 0
		.amdhsa_exception_int_div_zero 0
	.end_amdhsa_kernel
	.section	.text._ZN7rocprim17ROCPRIM_400000_NS6detail17trampoline_kernelINS0_14default_configENS1_25partition_config_selectorILNS1_17partition_subalgoE8ElNS0_10empty_typeEbEEZZNS1_14partition_implILS5_8ELb0ES3_jPlPS6_PKS6_NS0_5tupleIJS9_S6_EEENSD_IJSA_SA_EEENS0_18inequality_wrapperIZN2at6native12_GLOBAL__N_124unique_dim_cuda_templateIbEESt5tupleIJNSH_6TensorESM_SM_EERKSM_lbbbEUlllE0_EEPmJS6_EEE10hipError_tPvRmT3_T4_T5_T6_T7_T9_mT8_P12ihipStream_tbDpT10_ENKUlT_T0_E_clISt17integral_constantIbLb0EES1B_IbLb1EEEEDaS17_S18_EUlS17_E_NS1_11comp_targetILNS1_3genE8ELNS1_11target_archE1030ELNS1_3gpuE2ELNS1_3repE0EEENS1_30default_config_static_selectorELNS0_4arch9wavefront6targetE1EEEvT1_,"axG",@progbits,_ZN7rocprim17ROCPRIM_400000_NS6detail17trampoline_kernelINS0_14default_configENS1_25partition_config_selectorILNS1_17partition_subalgoE8ElNS0_10empty_typeEbEEZZNS1_14partition_implILS5_8ELb0ES3_jPlPS6_PKS6_NS0_5tupleIJS9_S6_EEENSD_IJSA_SA_EEENS0_18inequality_wrapperIZN2at6native12_GLOBAL__N_124unique_dim_cuda_templateIbEESt5tupleIJNSH_6TensorESM_SM_EERKSM_lbbbEUlllE0_EEPmJS6_EEE10hipError_tPvRmT3_T4_T5_T6_T7_T9_mT8_P12ihipStream_tbDpT10_ENKUlT_T0_E_clISt17integral_constantIbLb0EES1B_IbLb1EEEEDaS17_S18_EUlS17_E_NS1_11comp_targetILNS1_3genE8ELNS1_11target_archE1030ELNS1_3gpuE2ELNS1_3repE0EEENS1_30default_config_static_selectorELNS0_4arch9wavefront6targetE1EEEvT1_,comdat
.Lfunc_end1082:
	.size	_ZN7rocprim17ROCPRIM_400000_NS6detail17trampoline_kernelINS0_14default_configENS1_25partition_config_selectorILNS1_17partition_subalgoE8ElNS0_10empty_typeEbEEZZNS1_14partition_implILS5_8ELb0ES3_jPlPS6_PKS6_NS0_5tupleIJS9_S6_EEENSD_IJSA_SA_EEENS0_18inequality_wrapperIZN2at6native12_GLOBAL__N_124unique_dim_cuda_templateIbEESt5tupleIJNSH_6TensorESM_SM_EERKSM_lbbbEUlllE0_EEPmJS6_EEE10hipError_tPvRmT3_T4_T5_T6_T7_T9_mT8_P12ihipStream_tbDpT10_ENKUlT_T0_E_clISt17integral_constantIbLb0EES1B_IbLb1EEEEDaS17_S18_EUlS17_E_NS1_11comp_targetILNS1_3genE8ELNS1_11target_archE1030ELNS1_3gpuE2ELNS1_3repE0EEENS1_30default_config_static_selectorELNS0_4arch9wavefront6targetE1EEEvT1_, .Lfunc_end1082-_ZN7rocprim17ROCPRIM_400000_NS6detail17trampoline_kernelINS0_14default_configENS1_25partition_config_selectorILNS1_17partition_subalgoE8ElNS0_10empty_typeEbEEZZNS1_14partition_implILS5_8ELb0ES3_jPlPS6_PKS6_NS0_5tupleIJS9_S6_EEENSD_IJSA_SA_EEENS0_18inequality_wrapperIZN2at6native12_GLOBAL__N_124unique_dim_cuda_templateIbEESt5tupleIJNSH_6TensorESM_SM_EERKSM_lbbbEUlllE0_EEPmJS6_EEE10hipError_tPvRmT3_T4_T5_T6_T7_T9_mT8_P12ihipStream_tbDpT10_ENKUlT_T0_E_clISt17integral_constantIbLb0EES1B_IbLb1EEEEDaS17_S18_EUlS17_E_NS1_11comp_targetILNS1_3genE8ELNS1_11target_archE1030ELNS1_3gpuE2ELNS1_3repE0EEENS1_30default_config_static_selectorELNS0_4arch9wavefront6targetE1EEEvT1_
                                        ; -- End function
	.set _ZN7rocprim17ROCPRIM_400000_NS6detail17trampoline_kernelINS0_14default_configENS1_25partition_config_selectorILNS1_17partition_subalgoE8ElNS0_10empty_typeEbEEZZNS1_14partition_implILS5_8ELb0ES3_jPlPS6_PKS6_NS0_5tupleIJS9_S6_EEENSD_IJSA_SA_EEENS0_18inequality_wrapperIZN2at6native12_GLOBAL__N_124unique_dim_cuda_templateIbEESt5tupleIJNSH_6TensorESM_SM_EERKSM_lbbbEUlllE0_EEPmJS6_EEE10hipError_tPvRmT3_T4_T5_T6_T7_T9_mT8_P12ihipStream_tbDpT10_ENKUlT_T0_E_clISt17integral_constantIbLb0EES1B_IbLb1EEEEDaS17_S18_EUlS17_E_NS1_11comp_targetILNS1_3genE8ELNS1_11target_archE1030ELNS1_3gpuE2ELNS1_3repE0EEENS1_30default_config_static_selectorELNS0_4arch9wavefront6targetE1EEEvT1_.num_vgpr, 0
	.set _ZN7rocprim17ROCPRIM_400000_NS6detail17trampoline_kernelINS0_14default_configENS1_25partition_config_selectorILNS1_17partition_subalgoE8ElNS0_10empty_typeEbEEZZNS1_14partition_implILS5_8ELb0ES3_jPlPS6_PKS6_NS0_5tupleIJS9_S6_EEENSD_IJSA_SA_EEENS0_18inequality_wrapperIZN2at6native12_GLOBAL__N_124unique_dim_cuda_templateIbEESt5tupleIJNSH_6TensorESM_SM_EERKSM_lbbbEUlllE0_EEPmJS6_EEE10hipError_tPvRmT3_T4_T5_T6_T7_T9_mT8_P12ihipStream_tbDpT10_ENKUlT_T0_E_clISt17integral_constantIbLb0EES1B_IbLb1EEEEDaS17_S18_EUlS17_E_NS1_11comp_targetILNS1_3genE8ELNS1_11target_archE1030ELNS1_3gpuE2ELNS1_3repE0EEENS1_30default_config_static_selectorELNS0_4arch9wavefront6targetE1EEEvT1_.num_agpr, 0
	.set _ZN7rocprim17ROCPRIM_400000_NS6detail17trampoline_kernelINS0_14default_configENS1_25partition_config_selectorILNS1_17partition_subalgoE8ElNS0_10empty_typeEbEEZZNS1_14partition_implILS5_8ELb0ES3_jPlPS6_PKS6_NS0_5tupleIJS9_S6_EEENSD_IJSA_SA_EEENS0_18inequality_wrapperIZN2at6native12_GLOBAL__N_124unique_dim_cuda_templateIbEESt5tupleIJNSH_6TensorESM_SM_EERKSM_lbbbEUlllE0_EEPmJS6_EEE10hipError_tPvRmT3_T4_T5_T6_T7_T9_mT8_P12ihipStream_tbDpT10_ENKUlT_T0_E_clISt17integral_constantIbLb0EES1B_IbLb1EEEEDaS17_S18_EUlS17_E_NS1_11comp_targetILNS1_3genE8ELNS1_11target_archE1030ELNS1_3gpuE2ELNS1_3repE0EEENS1_30default_config_static_selectorELNS0_4arch9wavefront6targetE1EEEvT1_.numbered_sgpr, 0
	.set _ZN7rocprim17ROCPRIM_400000_NS6detail17trampoline_kernelINS0_14default_configENS1_25partition_config_selectorILNS1_17partition_subalgoE8ElNS0_10empty_typeEbEEZZNS1_14partition_implILS5_8ELb0ES3_jPlPS6_PKS6_NS0_5tupleIJS9_S6_EEENSD_IJSA_SA_EEENS0_18inequality_wrapperIZN2at6native12_GLOBAL__N_124unique_dim_cuda_templateIbEESt5tupleIJNSH_6TensorESM_SM_EERKSM_lbbbEUlllE0_EEPmJS6_EEE10hipError_tPvRmT3_T4_T5_T6_T7_T9_mT8_P12ihipStream_tbDpT10_ENKUlT_T0_E_clISt17integral_constantIbLb0EES1B_IbLb1EEEEDaS17_S18_EUlS17_E_NS1_11comp_targetILNS1_3genE8ELNS1_11target_archE1030ELNS1_3gpuE2ELNS1_3repE0EEENS1_30default_config_static_selectorELNS0_4arch9wavefront6targetE1EEEvT1_.num_named_barrier, 0
	.set _ZN7rocprim17ROCPRIM_400000_NS6detail17trampoline_kernelINS0_14default_configENS1_25partition_config_selectorILNS1_17partition_subalgoE8ElNS0_10empty_typeEbEEZZNS1_14partition_implILS5_8ELb0ES3_jPlPS6_PKS6_NS0_5tupleIJS9_S6_EEENSD_IJSA_SA_EEENS0_18inequality_wrapperIZN2at6native12_GLOBAL__N_124unique_dim_cuda_templateIbEESt5tupleIJNSH_6TensorESM_SM_EERKSM_lbbbEUlllE0_EEPmJS6_EEE10hipError_tPvRmT3_T4_T5_T6_T7_T9_mT8_P12ihipStream_tbDpT10_ENKUlT_T0_E_clISt17integral_constantIbLb0EES1B_IbLb1EEEEDaS17_S18_EUlS17_E_NS1_11comp_targetILNS1_3genE8ELNS1_11target_archE1030ELNS1_3gpuE2ELNS1_3repE0EEENS1_30default_config_static_selectorELNS0_4arch9wavefront6targetE1EEEvT1_.private_seg_size, 0
	.set _ZN7rocprim17ROCPRIM_400000_NS6detail17trampoline_kernelINS0_14default_configENS1_25partition_config_selectorILNS1_17partition_subalgoE8ElNS0_10empty_typeEbEEZZNS1_14partition_implILS5_8ELb0ES3_jPlPS6_PKS6_NS0_5tupleIJS9_S6_EEENSD_IJSA_SA_EEENS0_18inequality_wrapperIZN2at6native12_GLOBAL__N_124unique_dim_cuda_templateIbEESt5tupleIJNSH_6TensorESM_SM_EERKSM_lbbbEUlllE0_EEPmJS6_EEE10hipError_tPvRmT3_T4_T5_T6_T7_T9_mT8_P12ihipStream_tbDpT10_ENKUlT_T0_E_clISt17integral_constantIbLb0EES1B_IbLb1EEEEDaS17_S18_EUlS17_E_NS1_11comp_targetILNS1_3genE8ELNS1_11target_archE1030ELNS1_3gpuE2ELNS1_3repE0EEENS1_30default_config_static_selectorELNS0_4arch9wavefront6targetE1EEEvT1_.uses_vcc, 0
	.set _ZN7rocprim17ROCPRIM_400000_NS6detail17trampoline_kernelINS0_14default_configENS1_25partition_config_selectorILNS1_17partition_subalgoE8ElNS0_10empty_typeEbEEZZNS1_14partition_implILS5_8ELb0ES3_jPlPS6_PKS6_NS0_5tupleIJS9_S6_EEENSD_IJSA_SA_EEENS0_18inequality_wrapperIZN2at6native12_GLOBAL__N_124unique_dim_cuda_templateIbEESt5tupleIJNSH_6TensorESM_SM_EERKSM_lbbbEUlllE0_EEPmJS6_EEE10hipError_tPvRmT3_T4_T5_T6_T7_T9_mT8_P12ihipStream_tbDpT10_ENKUlT_T0_E_clISt17integral_constantIbLb0EES1B_IbLb1EEEEDaS17_S18_EUlS17_E_NS1_11comp_targetILNS1_3genE8ELNS1_11target_archE1030ELNS1_3gpuE2ELNS1_3repE0EEENS1_30default_config_static_selectorELNS0_4arch9wavefront6targetE1EEEvT1_.uses_flat_scratch, 0
	.set _ZN7rocprim17ROCPRIM_400000_NS6detail17trampoline_kernelINS0_14default_configENS1_25partition_config_selectorILNS1_17partition_subalgoE8ElNS0_10empty_typeEbEEZZNS1_14partition_implILS5_8ELb0ES3_jPlPS6_PKS6_NS0_5tupleIJS9_S6_EEENSD_IJSA_SA_EEENS0_18inequality_wrapperIZN2at6native12_GLOBAL__N_124unique_dim_cuda_templateIbEESt5tupleIJNSH_6TensorESM_SM_EERKSM_lbbbEUlllE0_EEPmJS6_EEE10hipError_tPvRmT3_T4_T5_T6_T7_T9_mT8_P12ihipStream_tbDpT10_ENKUlT_T0_E_clISt17integral_constantIbLb0EES1B_IbLb1EEEEDaS17_S18_EUlS17_E_NS1_11comp_targetILNS1_3genE8ELNS1_11target_archE1030ELNS1_3gpuE2ELNS1_3repE0EEENS1_30default_config_static_selectorELNS0_4arch9wavefront6targetE1EEEvT1_.has_dyn_sized_stack, 0
	.set _ZN7rocprim17ROCPRIM_400000_NS6detail17trampoline_kernelINS0_14default_configENS1_25partition_config_selectorILNS1_17partition_subalgoE8ElNS0_10empty_typeEbEEZZNS1_14partition_implILS5_8ELb0ES3_jPlPS6_PKS6_NS0_5tupleIJS9_S6_EEENSD_IJSA_SA_EEENS0_18inequality_wrapperIZN2at6native12_GLOBAL__N_124unique_dim_cuda_templateIbEESt5tupleIJNSH_6TensorESM_SM_EERKSM_lbbbEUlllE0_EEPmJS6_EEE10hipError_tPvRmT3_T4_T5_T6_T7_T9_mT8_P12ihipStream_tbDpT10_ENKUlT_T0_E_clISt17integral_constantIbLb0EES1B_IbLb1EEEEDaS17_S18_EUlS17_E_NS1_11comp_targetILNS1_3genE8ELNS1_11target_archE1030ELNS1_3gpuE2ELNS1_3repE0EEENS1_30default_config_static_selectorELNS0_4arch9wavefront6targetE1EEEvT1_.has_recursion, 0
	.set _ZN7rocprim17ROCPRIM_400000_NS6detail17trampoline_kernelINS0_14default_configENS1_25partition_config_selectorILNS1_17partition_subalgoE8ElNS0_10empty_typeEbEEZZNS1_14partition_implILS5_8ELb0ES3_jPlPS6_PKS6_NS0_5tupleIJS9_S6_EEENSD_IJSA_SA_EEENS0_18inequality_wrapperIZN2at6native12_GLOBAL__N_124unique_dim_cuda_templateIbEESt5tupleIJNSH_6TensorESM_SM_EERKSM_lbbbEUlllE0_EEPmJS6_EEE10hipError_tPvRmT3_T4_T5_T6_T7_T9_mT8_P12ihipStream_tbDpT10_ENKUlT_T0_E_clISt17integral_constantIbLb0EES1B_IbLb1EEEEDaS17_S18_EUlS17_E_NS1_11comp_targetILNS1_3genE8ELNS1_11target_archE1030ELNS1_3gpuE2ELNS1_3repE0EEENS1_30default_config_static_selectorELNS0_4arch9wavefront6targetE1EEEvT1_.has_indirect_call, 0
	.section	.AMDGPU.csdata,"",@progbits
; Kernel info:
; codeLenInByte = 0
; TotalNumSgprs: 6
; NumVgprs: 0
; NumAgprs: 0
; TotalNumVgprs: 0
; ScratchSize: 0
; MemoryBound: 0
; FloatMode: 240
; IeeeMode: 1
; LDSByteSize: 0 bytes/workgroup (compile time only)
; SGPRBlocks: 0
; VGPRBlocks: 0
; NumSGPRsForWavesPerEU: 6
; NumVGPRsForWavesPerEU: 1
; AccumOffset: 4
; Occupancy: 8
; WaveLimiterHint : 0
; COMPUTE_PGM_RSRC2:SCRATCH_EN: 0
; COMPUTE_PGM_RSRC2:USER_SGPR: 2
; COMPUTE_PGM_RSRC2:TRAP_HANDLER: 0
; COMPUTE_PGM_RSRC2:TGID_X_EN: 1
; COMPUTE_PGM_RSRC2:TGID_Y_EN: 0
; COMPUTE_PGM_RSRC2:TGID_Z_EN: 0
; COMPUTE_PGM_RSRC2:TIDIG_COMP_CNT: 0
; COMPUTE_PGM_RSRC3_GFX90A:ACCUM_OFFSET: 0
; COMPUTE_PGM_RSRC3_GFX90A:TG_SPLIT: 0
	.section	.text._ZN7rocprim17ROCPRIM_400000_NS6detail17trampoline_kernelINS0_14default_configENS1_25partition_config_selectorILNS1_17partition_subalgoE9EllbEEZZNS1_14partition_implILS5_9ELb0ES3_jPlS8_PNS0_10empty_typeENS0_5tupleIJS8_S9_EEENSB_IJS8_SA_EEENS0_18inequality_wrapperIZN2at6native12_GLOBAL__N_124unique_dim_cuda_templateIbEESt5tupleIJNSF_6TensorESK_SK_EERKSK_lbbbEUlllE0_EEPmJS9_EEE10hipError_tPvRmT3_T4_T5_T6_T7_T9_mT8_P12ihipStream_tbDpT10_ENKUlT_T0_E_clISt17integral_constantIbLb0EES1A_EEDaS15_S16_EUlS15_E_NS1_11comp_targetILNS1_3genE0ELNS1_11target_archE4294967295ELNS1_3gpuE0ELNS1_3repE0EEENS1_30default_config_static_selectorELNS0_4arch9wavefront6targetE1EEEvT1_,"axG",@progbits,_ZN7rocprim17ROCPRIM_400000_NS6detail17trampoline_kernelINS0_14default_configENS1_25partition_config_selectorILNS1_17partition_subalgoE9EllbEEZZNS1_14partition_implILS5_9ELb0ES3_jPlS8_PNS0_10empty_typeENS0_5tupleIJS8_S9_EEENSB_IJS8_SA_EEENS0_18inequality_wrapperIZN2at6native12_GLOBAL__N_124unique_dim_cuda_templateIbEESt5tupleIJNSF_6TensorESK_SK_EERKSK_lbbbEUlllE0_EEPmJS9_EEE10hipError_tPvRmT3_T4_T5_T6_T7_T9_mT8_P12ihipStream_tbDpT10_ENKUlT_T0_E_clISt17integral_constantIbLb0EES1A_EEDaS15_S16_EUlS15_E_NS1_11comp_targetILNS1_3genE0ELNS1_11target_archE4294967295ELNS1_3gpuE0ELNS1_3repE0EEENS1_30default_config_static_selectorELNS0_4arch9wavefront6targetE1EEEvT1_,comdat
	.globl	_ZN7rocprim17ROCPRIM_400000_NS6detail17trampoline_kernelINS0_14default_configENS1_25partition_config_selectorILNS1_17partition_subalgoE9EllbEEZZNS1_14partition_implILS5_9ELb0ES3_jPlS8_PNS0_10empty_typeENS0_5tupleIJS8_S9_EEENSB_IJS8_SA_EEENS0_18inequality_wrapperIZN2at6native12_GLOBAL__N_124unique_dim_cuda_templateIbEESt5tupleIJNSF_6TensorESK_SK_EERKSK_lbbbEUlllE0_EEPmJS9_EEE10hipError_tPvRmT3_T4_T5_T6_T7_T9_mT8_P12ihipStream_tbDpT10_ENKUlT_T0_E_clISt17integral_constantIbLb0EES1A_EEDaS15_S16_EUlS15_E_NS1_11comp_targetILNS1_3genE0ELNS1_11target_archE4294967295ELNS1_3gpuE0ELNS1_3repE0EEENS1_30default_config_static_selectorELNS0_4arch9wavefront6targetE1EEEvT1_ ; -- Begin function _ZN7rocprim17ROCPRIM_400000_NS6detail17trampoline_kernelINS0_14default_configENS1_25partition_config_selectorILNS1_17partition_subalgoE9EllbEEZZNS1_14partition_implILS5_9ELb0ES3_jPlS8_PNS0_10empty_typeENS0_5tupleIJS8_S9_EEENSB_IJS8_SA_EEENS0_18inequality_wrapperIZN2at6native12_GLOBAL__N_124unique_dim_cuda_templateIbEESt5tupleIJNSF_6TensorESK_SK_EERKSK_lbbbEUlllE0_EEPmJS9_EEE10hipError_tPvRmT3_T4_T5_T6_T7_T9_mT8_P12ihipStream_tbDpT10_ENKUlT_T0_E_clISt17integral_constantIbLb0EES1A_EEDaS15_S16_EUlS15_E_NS1_11comp_targetILNS1_3genE0ELNS1_11target_archE4294967295ELNS1_3gpuE0ELNS1_3repE0EEENS1_30default_config_static_selectorELNS0_4arch9wavefront6targetE1EEEvT1_
	.p2align	8
	.type	_ZN7rocprim17ROCPRIM_400000_NS6detail17trampoline_kernelINS0_14default_configENS1_25partition_config_selectorILNS1_17partition_subalgoE9EllbEEZZNS1_14partition_implILS5_9ELb0ES3_jPlS8_PNS0_10empty_typeENS0_5tupleIJS8_S9_EEENSB_IJS8_SA_EEENS0_18inequality_wrapperIZN2at6native12_GLOBAL__N_124unique_dim_cuda_templateIbEESt5tupleIJNSF_6TensorESK_SK_EERKSK_lbbbEUlllE0_EEPmJS9_EEE10hipError_tPvRmT3_T4_T5_T6_T7_T9_mT8_P12ihipStream_tbDpT10_ENKUlT_T0_E_clISt17integral_constantIbLb0EES1A_EEDaS15_S16_EUlS15_E_NS1_11comp_targetILNS1_3genE0ELNS1_11target_archE4294967295ELNS1_3gpuE0ELNS1_3repE0EEENS1_30default_config_static_selectorELNS0_4arch9wavefront6targetE1EEEvT1_,@function
_ZN7rocprim17ROCPRIM_400000_NS6detail17trampoline_kernelINS0_14default_configENS1_25partition_config_selectorILNS1_17partition_subalgoE9EllbEEZZNS1_14partition_implILS5_9ELb0ES3_jPlS8_PNS0_10empty_typeENS0_5tupleIJS8_S9_EEENSB_IJS8_SA_EEENS0_18inequality_wrapperIZN2at6native12_GLOBAL__N_124unique_dim_cuda_templateIbEESt5tupleIJNSF_6TensorESK_SK_EERKSK_lbbbEUlllE0_EEPmJS9_EEE10hipError_tPvRmT3_T4_T5_T6_T7_T9_mT8_P12ihipStream_tbDpT10_ENKUlT_T0_E_clISt17integral_constantIbLb0EES1A_EEDaS15_S16_EUlS15_E_NS1_11comp_targetILNS1_3genE0ELNS1_11target_archE4294967295ELNS1_3gpuE0ELNS1_3repE0EEENS1_30default_config_static_selectorELNS0_4arch9wavefront6targetE1EEEvT1_: ; @_ZN7rocprim17ROCPRIM_400000_NS6detail17trampoline_kernelINS0_14default_configENS1_25partition_config_selectorILNS1_17partition_subalgoE9EllbEEZZNS1_14partition_implILS5_9ELb0ES3_jPlS8_PNS0_10empty_typeENS0_5tupleIJS8_S9_EEENSB_IJS8_SA_EEENS0_18inequality_wrapperIZN2at6native12_GLOBAL__N_124unique_dim_cuda_templateIbEESt5tupleIJNSF_6TensorESK_SK_EERKSK_lbbbEUlllE0_EEPmJS9_EEE10hipError_tPvRmT3_T4_T5_T6_T7_T9_mT8_P12ihipStream_tbDpT10_ENKUlT_T0_E_clISt17integral_constantIbLb0EES1A_EEDaS15_S16_EUlS15_E_NS1_11comp_targetILNS1_3genE0ELNS1_11target_archE4294967295ELNS1_3gpuE0ELNS1_3repE0EEENS1_30default_config_static_selectorELNS0_4arch9wavefront6targetE1EEEvT1_
; %bb.0:
	s_load_dwordx4 s[4:7], s[0:1], 0x8
	s_load_dwordx2 s[10:11], s[0:1], 0x18
	s_load_dwordx8 s[24:31], s[0:1], 0x40
	s_load_dword s3, s[0:1], 0x70
	s_mul_i32 s14, s2, 0x280
	s_waitcnt lgkmcnt(0)
	s_lshl_b64 s[12:13], s[6:7], 3
	s_add_u32 s18, s4, s12
	s_addc_u32 s19, s5, s13
	s_mul_i32 s4, s3, 0x280
	s_add_i32 s8, s3, -1
	s_add_i32 s3, s4, s6
	s_sub_i32 s3, s28, s3
	s_addk_i32 s3, 0x280
	s_add_u32 s4, s6, s4
	s_addc_u32 s5, s7, 0
	v_mov_b64_e32 v[2:3], s[4:5]
	s_cmp_eq_u32 s2, s8
	s_load_dwordx2 s[26:27], s[26:27], 0x0
	v_cmp_le_u64_e32 vcc, s[28:29], v[2:3]
	s_cselect_b64 s[28:29], -1, 0
	s_mov_b32 s15, 0
	s_and_b64 s[8:9], s[28:29], vcc
	s_xor_b64 s[34:35], s[8:9], -1
	s_lshl_b64 s[16:17], s[14:15], 3
	s_add_u32 s14, s18, s16
	s_mov_b64 s[4:5], -1
	s_addc_u32 s15, s19, s17
	s_and_b64 vcc, exec, s[34:35]
	v_lshlrev_b32_e32 v1, 3, v0
	s_cbranch_vccz .LBB1083_2
; %bb.1:
	v_lshlrev_b32_e32 v2, 3, v0
	v_mov_b32_e32 v3, 0
	v_lshl_add_u64 v[4:5], s[14:15], 0, v[2:3]
	v_add_co_u32_e32 v4, vcc, 0x1000, v4
	global_load_dwordx2 v[6:7], v2, s[14:15] offset:3072
	s_nop 0
	v_addc_co_u32_e32 v5, vcc, 0, v5, vcc
	global_load_dwordx2 v[8:9], v2, s[14:15]
	global_load_dwordx2 v[10:11], v2, s[14:15] offset:1024
	global_load_dwordx2 v[12:13], v2, s[14:15] offset:2048
	global_load_dwordx2 v[14:15], v[4:5], off
	s_mov_b64 s[4:5], 0
	s_waitcnt vmcnt(2)
	ds_write2st64_b64 v2, v[8:9], v[10:11] offset1:2
	s_waitcnt vmcnt(1)
	ds_write2st64_b64 v2, v[12:13], v[6:7] offset0:4 offset1:6
	s_waitcnt vmcnt(0)
	ds_write_b64 v2, v[14:15] offset:4096
	s_waitcnt lgkmcnt(0)
	s_barrier
.LBB1083_2:
	s_load_dwordx4 s[20:23], s[0:1], 0x60
	s_andn2_b64 vcc, exec, s[4:5]
	v_cmp_gt_u32_e64 s[4:5], s3, v0
	s_cbranch_vccnz .LBB1083_14
; %bb.3:
	v_mov_b32_e32 v2, 0
	v_mov_b32_e32 v3, v2
	;; [unrolled: 1-line block ×10, first 2 shown]
	s_and_saveexec_b64 s[18:19], s[4:5]
	s_cbranch_execz .LBB1083_5
; %bb.4:
	v_lshlrev_b32_e32 v3, 3, v0
	global_load_dwordx2 v[4:5], v3, s[14:15]
	v_mov_b32_e32 v6, v2
	v_mov_b32_e32 v7, v2
	;; [unrolled: 1-line block ×8, first 2 shown]
	s_waitcnt vmcnt(0)
	v_mov_b64_e32 v[2:3], v[4:5]
	v_mov_b64_e32 v[4:5], v[6:7]
	;; [unrolled: 1-line block ×8, first 2 shown]
.LBB1083_5:
	s_or_b64 exec, exec, s[18:19]
	v_or_b32_e32 v12, 0x80, v0
	v_cmp_gt_u32_e32 vcc, s3, v12
	s_and_saveexec_b64 s[4:5], vcc
	s_cbranch_execz .LBB1083_7
; %bb.6:
	v_lshlrev_b32_e32 v4, 3, v0
	global_load_dwordx2 v[4:5], v4, s[14:15] offset:1024
.LBB1083_7:
	s_or_b64 exec, exec, s[4:5]
	v_or_b32_e32 v12, 0x100, v0
	v_cmp_gt_u32_e32 vcc, s3, v12
	s_and_saveexec_b64 s[4:5], vcc
	s_cbranch_execz .LBB1083_9
; %bb.8:
	v_lshlrev_b32_e32 v6, 3, v0
	global_load_dwordx2 v[6:7], v6, s[14:15] offset:2048
.LBB1083_9:
	;; [unrolled: 9-line block ×3, first 2 shown]
	s_or_b64 exec, exec, s[4:5]
	v_or_b32_e32 v12, 0x200, v0
	v_cmp_gt_u32_e32 vcc, s3, v12
	s_and_saveexec_b64 s[4:5], vcc
	s_cbranch_execz .LBB1083_13
; %bb.12:
	v_lshlrev_b32_e32 v10, 3, v12
	global_load_dwordx2 v[10:11], v10, s[14:15]
.LBB1083_13:
	s_or_b64 exec, exec, s[4:5]
	v_lshlrev_b32_e32 v12, 3, v0
	s_waitcnt vmcnt(0)
	ds_write2st64_b64 v12, v[2:3], v[4:5] offset1:2
	ds_write2st64_b64 v12, v[6:7], v[8:9] offset0:4 offset1:6
	ds_write_b64 v12, v[10:11] offset:4096
	s_waitcnt lgkmcnt(0)
	s_barrier
.LBB1083_14:
	v_mul_u32_u24_e32 v22, 5, v0
	v_lshlrev_b32_e32 v20, 3, v22
	s_waitcnt lgkmcnt(0)
	ds_read2_b64 v[6:9], v20 offset1:1
	ds_read2_b64 v[2:5], v20 offset0:2 offset1:3
	ds_read_b64 v[12:13], v20 offset:32
	s_add_u32 s4, s10, s12
	s_addc_u32 s5, s11, s13
	s_add_u32 s4, s4, s16
	s_addc_u32 s5, s5, s17
	s_mov_b64 s[10:11], -1
	s_and_b64 vcc, exec, s[34:35]
	s_waitcnt lgkmcnt(0)
	s_barrier
	s_cbranch_vccz .LBB1083_16
; %bb.15:
	v_lshlrev_b32_e32 v10, 3, v0
	v_mov_b32_e32 v11, 0
	v_lshl_add_u64 v[14:15], s[4:5], 0, v[10:11]
	v_add_co_u32_e32 v14, vcc, 0x1000, v14
	global_load_dwordx2 v[16:17], v10, s[4:5] offset:3072
	s_nop 0
	v_addc_co_u32_e32 v15, vcc, 0, v15, vcc
	global_load_dwordx2 v[18:19], v10, s[4:5]
	global_load_dwordx2 v[24:25], v10, s[4:5] offset:1024
	global_load_dwordx2 v[26:27], v10, s[4:5] offset:2048
	global_load_dwordx2 v[28:29], v[14:15], off
	s_mov_b64 s[10:11], 0
	s_waitcnt vmcnt(2)
	ds_write2st64_b64 v10, v[18:19], v[24:25] offset1:2
	s_waitcnt vmcnt(1)
	ds_write2st64_b64 v10, v[26:27], v[16:17] offset0:4 offset1:6
	s_waitcnt vmcnt(0)
	ds_write_b64 v10, v[28:29] offset:4096
	s_waitcnt lgkmcnt(0)
	s_barrier
.LBB1083_16:
	s_andn2_b64 vcc, exec, s[10:11]
	s_cbranch_vccnz .LBB1083_28
; %bb.17:
	v_cmp_gt_u32_e32 vcc, s3, v0
                                        ; implicit-def: $vgpr10_vgpr11
	s_and_saveexec_b64 s[10:11], vcc
	s_cbranch_execz .LBB1083_19
; %bb.18:
	v_lshlrev_b32_e32 v10, 3, v0
	global_load_dwordx2 v[10:11], v10, s[4:5]
.LBB1083_19:
	s_or_b64 exec, exec, s[10:11]
	v_or_b32_e32 v14, 0x80, v0
	v_cmp_gt_u32_e32 vcc, s3, v14
                                        ; implicit-def: $vgpr14_vgpr15
	s_and_saveexec_b64 s[10:11], vcc
	s_cbranch_execz .LBB1083_21
; %bb.20:
	v_lshlrev_b32_e32 v14, 3, v0
	global_load_dwordx2 v[14:15], v14, s[4:5] offset:1024
.LBB1083_21:
	s_or_b64 exec, exec, s[10:11]
	v_or_b32_e32 v16, 0x100, v0
	v_cmp_gt_u32_e32 vcc, s3, v16
                                        ; implicit-def: $vgpr16_vgpr17
	s_and_saveexec_b64 s[10:11], vcc
	s_cbranch_execz .LBB1083_23
; %bb.22:
	v_lshlrev_b32_e32 v16, 3, v0
	global_load_dwordx2 v[16:17], v16, s[4:5] offset:2048
.LBB1083_23:
	s_or_b64 exec, exec, s[10:11]
	v_or_b32_e32 v18, 0x180, v0
	v_cmp_gt_u32_e32 vcc, s3, v18
                                        ; implicit-def: $vgpr18_vgpr19
	s_and_saveexec_b64 s[10:11], vcc
	s_cbranch_execz .LBB1083_25
; %bb.24:
	v_lshlrev_b32_e32 v18, 3, v0
	global_load_dwordx2 v[18:19], v18, s[4:5] offset:3072
.LBB1083_25:
	s_or_b64 exec, exec, s[10:11]
	v_or_b32_e32 v21, 0x200, v0
	v_cmp_gt_u32_e32 vcc, s3, v21
                                        ; implicit-def: $vgpr24_vgpr25
	s_and_saveexec_b64 s[10:11], vcc
	s_cbranch_execz .LBB1083_27
; %bb.26:
	v_lshlrev_b32_e32 v21, 3, v21
	global_load_dwordx2 v[24:25], v21, s[4:5]
.LBB1083_27:
	s_or_b64 exec, exec, s[10:11]
	v_lshlrev_b32_e32 v21, 5, v0
	v_sub_u32_e32 v21, v20, v21
	s_waitcnt vmcnt(0)
	ds_write2st64_b64 v21, v[10:11], v[14:15] offset1:2
	ds_write2st64_b64 v21, v[16:17], v[18:19] offset0:4 offset1:6
	ds_write_b64 v21, v[24:25] offset:4096
	s_waitcnt lgkmcnt(0)
	s_barrier
.LBB1083_28:
	ds_read_b64 v[10:11], v20 offset:32
	ds_read2_b64 v[52:55], v20 offset0:2 offset1:3
	ds_read2_b64 v[56:59], v20 offset1:1
	s_cmp_lg_u32 s2, 0
	s_cselect_b64 s[16:17], -1, 0
	s_cmp_lg_u64 s[6:7], 0
	s_cselect_b64 s[4:5], -1, 0
	s_or_b64 s[4:5], s[16:17], s[4:5]
	s_mov_b64 s[10:11], 0
	s_and_b64 vcc, exec, s[4:5]
	v_cmp_lt_i64_e64 s[12:13], s[30:31], 1
	v_cmp_gt_i64_e64 s[6:7], s[30:31], 0
	s_waitcnt lgkmcnt(0)
	s_barrier
	s_cbranch_vccz .LBB1083_42
; %bb.29:
	s_add_u32 s4, s14, -8
	s_addc_u32 s5, s15, -1
	s_load_dwordx2 s[10:11], s[4:5], 0x0
	v_lshlrev_b32_e32 v21, 3, v0
	s_mov_b64 s[14:15], 0
	s_and_b64 vcc, exec, s[34:35]
	ds_write_b64 v21, v[12:13]
	s_cbranch_vccz .LBB1083_44
; %bb.30:
	v_cndmask_b32_e64 v14, 0, 1, s[6:7]
	v_cmp_ne_u32_e64 s[4:5], 1, v14
	s_andn2_b64 vcc, exec, s[6:7]
	v_mov_b32_e32 v32, 0
	s_cbranch_vccnz .LBB1083_36
; %bb.31:
	v_mov_b64_e32 v[16:17], s[20:21]
	v_mad_u64_u32 v[14:15], s[6:7], v4, s30, v[16:17]
	v_mul_lo_u32 v18, v4, s31
	v_mul_lo_u32 v19, v5, s30
	s_add_u32 s18, s30, -1
	v_add3_u32 v15, v19, v15, v18
	v_mad_u64_u32 v[16:17], s[6:7], v12, s30, v[16:17]
	v_mul_lo_u32 v18, v12, s31
	v_mul_lo_u32 v19, v13, s30
	s_addc_u32 s19, s31, -1
	v_add3_u32 v17, v19, v17, v18
	s_mov_b64 s[38:39], s[18:19]
	v_mov_b64_e32 v[18:19], v[14:15]
                                        ; implicit-def: $sgpr36_sgpr37
.LBB1083_32:                            ; =>This Inner Loop Header: Depth=1
	global_load_ubyte v23, v[18:19], off
	global_load_ubyte v24, v[16:17], off
	v_lshl_add_u64 v[18:19], v[18:19], 0, 1
	v_lshl_add_u64 v[16:17], v[16:17], 0, 1
	s_waitcnt vmcnt(1)
	v_cmp_ne_u16_e32 vcc, 0, v23
	s_waitcnt vmcnt(0)
	v_cmp_ne_u16_e64 s[6:7], 0, v24
	s_xor_b64 s[6:7], vcc, s[6:7]
	s_cmp_eq_u64 s[38:39], 0
	s_cselect_b64 s[40:41], -1, 0
	s_or_b64 s[40:41], s[6:7], s[40:41]
	s_add_u32 s38, s38, -1
	s_addc_u32 s39, s39, -1
	s_and_b64 s[40:41], exec, s[40:41]
	s_or_b64 s[14:15], s[40:41], s[14:15]
	s_andn2_b64 s[36:37], s[36:37], exec
	s_and_b64 s[6:7], s[6:7], exec
	s_or_b64 s[36:37], s[36:37], s[6:7]
	s_andn2_b64 exec, exec, s[14:15]
	s_cbranch_execnz .LBB1083_32
; %bb.33:
	s_or_b64 exec, exec, s[14:15]
	v_mov_b64_e32 v[16:17], s[20:21]
	v_mad_u64_u32 v[16:17], s[6:7], v2, s30, v[16:17]
	v_mul_lo_u32 v18, v2, s31
	v_mul_lo_u32 v19, v3, s30
	v_add3_u32 v17, v19, v17, v18
	s_mov_b64 s[38:39], 0
                                        ; implicit-def: $sgpr14_sgpr15
.LBB1083_34:                            ; =>This Inner Loop Header: Depth=1
	global_load_ubyte v18, v[16:17], off
	global_load_ubyte v19, v[14:15], off
	v_lshl_add_u64 v[16:17], v[16:17], 0, 1
	v_lshl_add_u64 v[14:15], v[14:15], 0, 1
	s_waitcnt vmcnt(1)
	v_cmp_ne_u16_e32 vcc, 0, v18
	s_waitcnt vmcnt(0)
	v_cmp_ne_u16_e64 s[6:7], 0, v19
	s_xor_b64 s[6:7], vcc, s[6:7]
	s_cmp_eq_u64 s[18:19], 0
	s_cselect_b64 s[40:41], -1, 0
	s_or_b64 s[40:41], s[6:7], s[40:41]
	s_add_u32 s18, s18, -1
	s_addc_u32 s19, s19, -1
	s_and_b64 s[40:41], exec, s[40:41]
	s_or_b64 s[38:39], s[40:41], s[38:39]
	s_andn2_b64 s[14:15], s[14:15], exec
	s_and_b64 s[6:7], s[6:7], exec
	s_or_b64 s[14:15], s[14:15], s[6:7]
	s_andn2_b64 exec, exec, s[38:39]
	s_cbranch_execnz .LBB1083_34
; %bb.35:
	s_or_b64 exec, exec, s[38:39]
	v_cndmask_b32_e64 v32, 0, 1, s[36:37]
.LBB1083_36:
	s_and_b64 vcc, exec, s[4:5]
	s_cbranch_vccnz .LBB1083_45
; %bb.37:
	v_mov_b64_e32 v[16:17], s[20:21]
	v_mad_u64_u32 v[14:15], s[6:7], v8, s30, v[16:17]
	v_mul_lo_u32 v18, v8, s31
	v_mul_lo_u32 v19, v9, s30
	s_add_u32 s18, s30, -1
	v_add3_u32 v15, v19, v15, v18
	v_mad_u64_u32 v[16:17], s[6:7], v2, s30, v[16:17]
	v_mul_lo_u32 v18, v2, s31
	v_mul_lo_u32 v19, v3, s30
	s_addc_u32 s19, s31, -1
	v_add3_u32 v17, v19, v17, v18
	s_mov_b64 s[38:39], 0
	s_mov_b64 s[40:41], s[18:19]
	v_mov_b64_e32 v[18:19], v[14:15]
                                        ; implicit-def: $sgpr36_sgpr37
.LBB1083_38:                            ; =>This Inner Loop Header: Depth=1
	global_load_ubyte v23, v[18:19], off
	global_load_ubyte v24, v[16:17], off
	v_lshl_add_u64 v[18:19], v[18:19], 0, 1
	v_lshl_add_u64 v[16:17], v[16:17], 0, 1
	s_waitcnt vmcnt(1)
	v_cmp_ne_u16_e32 vcc, 0, v23
	s_waitcnt vmcnt(0)
	v_cmp_ne_u16_e64 s[6:7], 0, v24
	s_xor_b64 s[6:7], vcc, s[6:7]
	s_cmp_eq_u64 s[40:41], 0
	s_cselect_b64 s[42:43], -1, 0
	s_or_b64 s[42:43], s[6:7], s[42:43]
	s_add_u32 s40, s40, -1
	s_addc_u32 s41, s41, -1
	s_and_b64 s[42:43], exec, s[42:43]
	s_or_b64 s[38:39], s[42:43], s[38:39]
	s_andn2_b64 s[36:37], s[36:37], exec
	s_and_b64 s[6:7], s[6:7], exec
	s_or_b64 s[36:37], s[36:37], s[6:7]
	s_andn2_b64 exec, exec, s[38:39]
	s_cbranch_execnz .LBB1083_38
; %bb.39:
	s_or_b64 exec, exec, s[38:39]
	v_mov_b64_e32 v[16:17], s[20:21]
	v_mad_u64_u32 v[16:17], s[6:7], v6, s30, v[16:17]
	v_mul_lo_u32 v18, v6, s31
	v_mul_lo_u32 v19, v7, s30
	v_add3_u32 v17, v19, v17, v18
	s_mov_b64 s[40:41], 0
                                        ; implicit-def: $sgpr38_sgpr39
.LBB1083_40:                            ; =>This Inner Loop Header: Depth=1
	global_load_ubyte v18, v[16:17], off
	global_load_ubyte v19, v[14:15], off
	v_lshl_add_u64 v[16:17], v[16:17], 0, 1
	v_lshl_add_u64 v[14:15], v[14:15], 0, 1
	s_waitcnt vmcnt(1)
	v_cmp_ne_u16_e32 vcc, 0, v18
	s_waitcnt vmcnt(0)
	v_cmp_ne_u16_e64 s[6:7], 0, v19
	s_xor_b64 s[6:7], vcc, s[6:7]
	s_cmp_eq_u64 s[18:19], 0
	s_cselect_b64 s[42:43], -1, 0
	s_or_b64 s[42:43], s[6:7], s[42:43]
	s_add_u32 s18, s18, -1
	s_addc_u32 s19, s19, -1
	s_and_b64 s[42:43], exec, s[42:43]
	s_or_b64 s[40:41], s[42:43], s[40:41]
	s_andn2_b64 s[38:39], s[38:39], exec
	s_and_b64 s[6:7], s[6:7], exec
	s_or_b64 s[38:39], s[38:39], s[6:7]
	s_andn2_b64 exec, exec, s[40:41]
	s_cbranch_execnz .LBB1083_40
; %bb.41:
	s_or_b64 exec, exec, s[40:41]
	v_cndmask_b32_e64 v14, 0, 1, s[36:37]
	s_branch .LBB1083_46
.LBB1083_42:
                                        ; implicit-def: $sgpr14_sgpr15
                                        ; implicit-def: $vgpr32
                                        ; implicit-def: $vgpr15
	s_branch .LBB1083_77
.LBB1083_43:
                                        ; implicit-def: $vgpr16
                                        ; implicit-def: $vgpr34
                                        ; implicit-def: $vgpr33
                                        ; implicit-def: $vgpr14
	s_branch .LBB1083_122
.LBB1083_44:
                                        ; implicit-def: $sgpr14_sgpr15
                                        ; implicit-def: $vgpr32
                                        ; implicit-def: $vgpr15
	s_cbranch_execnz .LBB1083_53
	s_branch .LBB1083_76
.LBB1083_45:
	v_mov_b32_e32 v14, 0
	s_mov_b64 s[38:39], 0
.LBB1083_46:
	v_cmp_ne_u32_e32 vcc, 0, v0
	s_waitcnt lgkmcnt(0)
	v_mov_b64_e32 v[16:17], s[10:11]
	s_barrier
	s_and_saveexec_b64 s[6:7], vcc
; %bb.47:
	v_add_u32_e32 v15, -8, v21
	ds_read_b64 v[16:17], v15
; %bb.48:
	s_or_b64 exec, exec, s[6:7]
	v_cndmask_b32_e64 v15, 0, 1, s[14:15]
	v_cndmask_b32_e64 v18, 0, 1, s[38:39]
	v_lshlrev_b16_e32 v15, 8, v15
	v_lshlrev_b16_e32 v18, 8, v18
	v_or_b32_sdwa v19, v14, v15 dst_sel:WORD_1 dst_unused:UNUSED_PAD src0_sel:DWORD src1_sel:DWORD
	s_mov_b64 s[6:7], 0
	s_and_b64 vcc, exec, s[4:5]
	s_mov_b64 s[14:15], 0
	s_cbranch_vccnz .LBB1083_52
; %bb.49:
	v_mov_b64_e32 v[24:25], s[20:21]
	s_waitcnt lgkmcnt(0)
	v_mad_u64_u32 v[14:15], s[4:5], v16, s30, v[24:25]
	v_mul_lo_u32 v16, v16, s31
	v_mul_lo_u32 v17, v17, s30
	v_add3_u32 v15, v17, v15, v16
	v_mad_u64_u32 v[16:17], s[4:5], v6, s30, v[24:25]
	v_mul_lo_u32 v23, v6, s31
	v_mul_lo_u32 v24, v7, s30
	s_add_u32 s18, s30, -1
	v_add3_u32 v17, v24, v17, v23
	s_addc_u32 s19, s31, -1
	s_mov_b64 s[36:37], 0
                                        ; implicit-def: $sgpr14_sgpr15
.LBB1083_50:                            ; =>This Inner Loop Header: Depth=1
	global_load_ubyte v23, v[14:15], off
	global_load_ubyte v24, v[16:17], off
	v_lshl_add_u64 v[14:15], v[14:15], 0, 1
	v_lshl_add_u64 v[16:17], v[16:17], 0, 1
	s_waitcnt vmcnt(1)
	v_cmp_ne_u16_e32 vcc, 0, v23
	s_waitcnt vmcnt(0)
	v_cmp_ne_u16_e64 s[4:5], 0, v24
	s_xor_b64 s[4:5], vcc, s[4:5]
	s_cmp_eq_u64 s[18:19], 0
	s_cselect_b64 s[38:39], -1, 0
	s_or_b64 s[38:39], s[4:5], s[38:39]
	s_add_u32 s18, s18, -1
	s_addc_u32 s19, s19, -1
	s_and_b64 s[38:39], exec, s[38:39]
	s_or_b64 s[36:37], s[38:39], s[36:37]
	s_andn2_b64 s[14:15], s[14:15], exec
	s_and_b64 s[4:5], s[4:5], exec
	s_or_b64 s[14:15], s[14:15], s[4:5]
	s_andn2_b64 exec, exec, s[36:37]
	s_cbranch_execnz .LBB1083_50
; %bb.51:
	s_or_b64 exec, exec, s[36:37]
.LBB1083_52:
	v_or_b32_e32 v15, v18, v19
	s_and_b64 vcc, exec, s[6:7]
	s_cbranch_vccz .LBB1083_76
.LBB1083_53:
	v_add_u32_e32 v14, 4, v22
	v_cmp_gt_u32_e32 vcc, s3, v14
	s_xor_b64 s[12:13], s[12:13], -1
	s_and_b64 s[4:5], vcc, s[12:13]
	s_mov_b64 s[6:7], 0
	s_and_saveexec_b64 s[14:15], s[4:5]
	s_cbranch_execz .LBB1083_57
; %bb.54:
	s_waitcnt lgkmcnt(0)
	v_mov_b64_e32 v[16:17], s[20:21]
	v_mad_u64_u32 v[14:15], s[4:5], v4, s30, v[16:17]
	v_mul_lo_u32 v18, v4, s31
	v_mul_lo_u32 v19, v5, s30
	v_add3_u32 v15, v19, v15, v18
	v_mad_u64_u32 v[16:17], s[4:5], v12, s30, v[16:17]
	v_mul_lo_u32 v18, v12, s31
	v_mul_lo_u32 v19, v13, s30
	s_add_u32 s6, s30, -1
	v_add3_u32 v17, v19, v17, v18
	s_addc_u32 s7, s31, -1
	s_mov_b64 s[18:19], 0
                                        ; implicit-def: $sgpr36_sgpr37
.LBB1083_55:                            ; =>This Inner Loop Header: Depth=1
	global_load_ubyte v18, v[14:15], off
	global_load_ubyte v19, v[16:17], off
	v_lshl_add_u64 v[14:15], v[14:15], 0, 1
	v_lshl_add_u64 v[16:17], v[16:17], 0, 1
	s_waitcnt vmcnt(1)
	v_cmp_ne_u16_e32 vcc, 0, v18
	s_waitcnt vmcnt(0)
	v_cmp_ne_u16_e64 s[4:5], 0, v19
	s_xor_b64 s[4:5], vcc, s[4:5]
	s_cmp_eq_u64 s[6:7], 0
	s_cselect_b64 s[38:39], -1, 0
	s_or_b64 s[38:39], s[4:5], s[38:39]
	s_add_u32 s6, s6, -1
	s_addc_u32 s7, s7, -1
	s_and_b64 s[38:39], exec, s[38:39]
	s_or_b64 s[18:19], s[38:39], s[18:19]
	s_andn2_b64 s[36:37], s[36:37], exec
	s_and_b64 s[4:5], s[4:5], exec
	s_or_b64 s[36:37], s[36:37], s[4:5]
	s_andn2_b64 exec, exec, s[18:19]
	s_cbranch_execnz .LBB1083_55
; %bb.56:
	s_or_b64 exec, exec, s[18:19]
	s_and_b64 s[6:7], s[36:37], exec
.LBB1083_57:
	s_or_b64 exec, exec, s[14:15]
	v_add_u32_e32 v14, 3, v22
	v_cmp_gt_u32_e32 vcc, s3, v14
	s_and_b64 s[4:5], vcc, s[12:13]
	s_mov_b64 s[14:15], 0
	s_and_saveexec_b64 s[18:19], s[4:5]
	s_cbranch_execz .LBB1083_61
; %bb.58:
	s_waitcnt lgkmcnt(0)
	v_mov_b64_e32 v[16:17], s[20:21]
	v_mad_u64_u32 v[14:15], s[4:5], v2, s30, v[16:17]
	v_mul_lo_u32 v18, v2, s31
	v_mul_lo_u32 v19, v3, s30
	v_add3_u32 v15, v19, v15, v18
	v_mad_u64_u32 v[16:17], s[4:5], v4, s30, v[16:17]
	v_mul_lo_u32 v18, v4, s31
	v_mul_lo_u32 v19, v5, s30
	s_add_u32 s14, s30, -1
	v_add3_u32 v17, v19, v17, v18
	s_addc_u32 s15, s31, -1
	s_mov_b64 s[36:37], 0
                                        ; implicit-def: $sgpr38_sgpr39
.LBB1083_59:                            ; =>This Inner Loop Header: Depth=1
	global_load_ubyte v18, v[14:15], off
	global_load_ubyte v19, v[16:17], off
	v_lshl_add_u64 v[14:15], v[14:15], 0, 1
	v_lshl_add_u64 v[16:17], v[16:17], 0, 1
	s_waitcnt vmcnt(1)
	v_cmp_ne_u16_e32 vcc, 0, v18
	s_waitcnt vmcnt(0)
	v_cmp_ne_u16_e64 s[4:5], 0, v19
	s_xor_b64 s[4:5], vcc, s[4:5]
	s_cmp_eq_u64 s[14:15], 0
	s_cselect_b64 s[40:41], -1, 0
	s_or_b64 s[40:41], s[4:5], s[40:41]
	s_add_u32 s14, s14, -1
	s_addc_u32 s15, s15, -1
	s_and_b64 s[40:41], exec, s[40:41]
	s_or_b64 s[36:37], s[40:41], s[36:37]
	s_andn2_b64 s[38:39], s[38:39], exec
	s_and_b64 s[4:5], s[4:5], exec
	s_or_b64 s[38:39], s[38:39], s[4:5]
	s_andn2_b64 exec, exec, s[36:37]
	s_cbranch_execnz .LBB1083_59
; %bb.60:
	s_or_b64 exec, exec, s[36:37]
	s_and_b64 s[14:15], s[38:39], exec
.LBB1083_61:
	s_or_b64 exec, exec, s[18:19]
	v_add_u32_e32 v14, 2, v22
	v_cmp_gt_u32_e32 vcc, s3, v14
	s_and_b64 s[4:5], vcc, s[12:13]
	s_mov_b64 s[18:19], 0
	s_and_saveexec_b64 s[36:37], s[4:5]
	s_cbranch_execz .LBB1083_65
; %bb.62:
	s_waitcnt lgkmcnt(0)
	v_mov_b64_e32 v[16:17], s[20:21]
	v_mad_u64_u32 v[14:15], s[4:5], v8, s30, v[16:17]
	v_mul_lo_u32 v18, v8, s31
	v_mul_lo_u32 v19, v9, s30
	v_add3_u32 v15, v19, v15, v18
	v_mad_u64_u32 v[16:17], s[4:5], v2, s30, v[16:17]
	v_mul_lo_u32 v18, v2, s31
	v_mul_lo_u32 v19, v3, s30
	s_add_u32 s18, s30, -1
	v_add3_u32 v17, v19, v17, v18
	s_addc_u32 s19, s31, -1
	s_mov_b64 s[38:39], 0
                                        ; implicit-def: $sgpr40_sgpr41
.LBB1083_63:                            ; =>This Inner Loop Header: Depth=1
	global_load_ubyte v18, v[14:15], off
	global_load_ubyte v19, v[16:17], off
	v_lshl_add_u64 v[14:15], v[14:15], 0, 1
	v_lshl_add_u64 v[16:17], v[16:17], 0, 1
	s_waitcnt vmcnt(1)
	v_cmp_ne_u16_e32 vcc, 0, v18
	s_waitcnt vmcnt(0)
	v_cmp_ne_u16_e64 s[4:5], 0, v19
	s_xor_b64 s[4:5], vcc, s[4:5]
	s_cmp_eq_u64 s[18:19], 0
	s_cselect_b64 s[42:43], -1, 0
	s_or_b64 s[42:43], s[4:5], s[42:43]
	s_add_u32 s18, s18, -1
	s_addc_u32 s19, s19, -1
	s_and_b64 s[42:43], exec, s[42:43]
	s_or_b64 s[38:39], s[42:43], s[38:39]
	s_andn2_b64 s[40:41], s[40:41], exec
	s_and_b64 s[4:5], s[4:5], exec
	s_or_b64 s[40:41], s[40:41], s[4:5]
	s_andn2_b64 exec, exec, s[38:39]
	s_cbranch_execnz .LBB1083_63
; %bb.64:
	s_or_b64 exec, exec, s[38:39]
	s_and_b64 s[18:19], s[40:41], exec
.LBB1083_65:
	s_or_b64 exec, exec, s[36:37]
	v_add_u32_e32 v14, 1, v22
	v_cmp_gt_u32_e32 vcc, s3, v14
	s_and_b64 s[38:39], vcc, s[12:13]
	s_mov_b64 s[4:5], 0
	s_and_saveexec_b64 s[36:37], s[38:39]
	s_cbranch_execz .LBB1083_69
; %bb.66:
	s_waitcnt lgkmcnt(0)
	v_mov_b64_e32 v[16:17], s[20:21]
	v_mad_u64_u32 v[14:15], s[4:5], v6, s30, v[16:17]
	v_mul_lo_u32 v18, v6, s31
	v_mul_lo_u32 v19, v7, s30
	v_add3_u32 v15, v19, v15, v18
	v_mad_u64_u32 v[16:17], s[4:5], v8, s30, v[16:17]
	v_mul_lo_u32 v18, v8, s31
	v_mul_lo_u32 v19, v9, s30
	s_add_u32 s38, s30, -1
	v_add3_u32 v17, v19, v17, v18
	s_addc_u32 s39, s31, -1
	s_mov_b64 s[40:41], 0
                                        ; implicit-def: $sgpr42_sgpr43
.LBB1083_67:                            ; =>This Inner Loop Header: Depth=1
	global_load_ubyte v18, v[14:15], off
	global_load_ubyte v19, v[16:17], off
	v_lshl_add_u64 v[14:15], v[14:15], 0, 1
	v_lshl_add_u64 v[16:17], v[16:17], 0, 1
	s_waitcnt vmcnt(1)
	v_cmp_ne_u16_e32 vcc, 0, v18
	s_waitcnt vmcnt(0)
	v_cmp_ne_u16_e64 s[4:5], 0, v19
	s_xor_b64 s[4:5], vcc, s[4:5]
	s_cmp_eq_u64 s[38:39], 0
	s_cselect_b64 s[44:45], -1, 0
	s_or_b64 s[44:45], s[4:5], s[44:45]
	s_add_u32 s38, s38, -1
	s_addc_u32 s39, s39, -1
	s_and_b64 s[44:45], exec, s[44:45]
	s_or_b64 s[40:41], s[44:45], s[40:41]
	s_andn2_b64 s[42:43], s[42:43], exec
	s_and_b64 s[4:5], s[4:5], exec
	s_or_b64 s[42:43], s[42:43], s[4:5]
	s_andn2_b64 exec, exec, s[40:41]
	s_cbranch_execnz .LBB1083_67
; %bb.68:
	s_or_b64 exec, exec, s[40:41]
	s_and_b64 s[4:5], s[42:43], exec
.LBB1083_69:
	s_or_b64 exec, exec, s[36:37]
	v_cmp_ne_u32_e32 vcc, 0, v0
	s_waitcnt lgkmcnt(0)
	v_mov_b64_e32 v[16:17], s[10:11]
	s_barrier
	s_and_saveexec_b64 s[10:11], vcc
; %bb.70:
	v_add_u32_e32 v14, -8, v21
	ds_read_b64 v[16:17], v14
; %bb.71:
	s_or_b64 exec, exec, s[10:11]
	v_cndmask_b32_e64 v15, 0, 1, s[14:15]
	v_cndmask_b32_e64 v14, 0, 1, s[18:19]
	;; [unrolled: 1-line block ×3, first 2 shown]
	v_cmp_gt_u32_e32 vcc, s3, v22
	v_lshlrev_b16_e32 v15, 8, v15
	s_and_b64 s[4:5], vcc, s[12:13]
	v_lshlrev_b16_e32 v18, 8, v18
	v_or_b32_sdwa v19, v14, v15 dst_sel:WORD_1 dst_unused:UNUSED_PAD src0_sel:DWORD src1_sel:DWORD
	s_mov_b64 s[14:15], 0
	s_and_saveexec_b64 s[10:11], s[4:5]
	s_cbranch_execz .LBB1083_75
; %bb.72:
	v_mov_b64_e32 v[24:25], s[20:21]
	s_waitcnt lgkmcnt(0)
	v_mad_u64_u32 v[14:15], s[4:5], v16, s30, v[24:25]
	v_mul_lo_u32 v16, v16, s31
	v_mul_lo_u32 v17, v17, s30
	v_add3_u32 v15, v17, v15, v16
	v_mad_u64_u32 v[16:17], s[4:5], v6, s30, v[24:25]
	v_mul_lo_u32 v21, v6, s31
	v_mul_lo_u32 v23, v7, s30
	s_add_u32 s12, s30, -1
	v_add3_u32 v17, v23, v17, v21
	s_addc_u32 s13, s31, -1
                                        ; implicit-def: $sgpr18_sgpr19
.LBB1083_73:                            ; =>This Inner Loop Header: Depth=1
	global_load_ubyte v21, v[14:15], off
	global_load_ubyte v23, v[16:17], off
	v_lshl_add_u64 v[14:15], v[14:15], 0, 1
	v_lshl_add_u64 v[16:17], v[16:17], 0, 1
	s_waitcnt vmcnt(1)
	v_cmp_ne_u16_e32 vcc, 0, v21
	s_waitcnt vmcnt(0)
	v_cmp_ne_u16_e64 s[4:5], 0, v23
	s_xor_b64 s[4:5], vcc, s[4:5]
	s_cmp_eq_u64 s[12:13], 0
	s_cselect_b64 s[36:37], -1, 0
	s_or_b64 s[36:37], s[4:5], s[36:37]
	s_add_u32 s12, s12, -1
	s_addc_u32 s13, s13, -1
	s_and_b64 s[36:37], exec, s[36:37]
	s_or_b64 s[14:15], s[36:37], s[14:15]
	s_andn2_b64 s[18:19], s[18:19], exec
	s_and_b64 s[4:5], s[4:5], exec
	s_or_b64 s[18:19], s[18:19], s[4:5]
	s_andn2_b64 exec, exec, s[14:15]
	s_cbranch_execnz .LBB1083_73
; %bb.74:
	s_or_b64 exec, exec, s[14:15]
	s_and_b64 s[14:15], s[18:19], exec
.LBB1083_75:
	s_or_b64 exec, exec, s[10:11]
	v_cndmask_b32_e64 v32, 0, 1, s[6:7]
	v_or_b32_e32 v15, v18, v19
.LBB1083_76:
	s_waitcnt lgkmcnt(0)
	s_mov_b64 s[10:11], -1
	s_cbranch_execnz .LBB1083_43
.LBB1083_77:
	v_lshlrev_b32_e32 v14, 5, v0
	v_sub_u32_e32 v23, v20, v14
	v_cmp_lt_i64_e64 s[12:13], s[30:31], 1
	s_mov_b64 s[14:15], 0
	v_cmp_gt_i64_e64 s[6:7], s[30:31], 0
	s_and_b64 vcc, exec, s[34:35]
	ds_write_b64 v23, v[12:13]
	s_cbranch_vccz .LBB1083_90
; %bb.78:
	v_cndmask_b32_e64 v14, 0, 1, s[6:7]
	v_cmp_ne_u32_e64 s[4:5], 1, v14
	s_andn2_b64 vcc, exec, s[6:7]
	v_mov_b32_e32 v32, 0
	s_cbranch_vccnz .LBB1083_84
; %bb.79:
	v_mov_b64_e32 v[16:17], s[20:21]
	v_mad_u64_u32 v[14:15], s[6:7], v4, s30, v[16:17]
	v_mul_lo_u32 v18, v4, s31
	v_mul_lo_u32 v19, v5, s30
	s_add_u32 s18, s30, -1
	v_add3_u32 v15, v19, v15, v18
	v_mad_u64_u32 v[16:17], s[6:7], v12, s30, v[16:17]
	v_mul_lo_u32 v18, v12, s31
	v_mul_lo_u32 v19, v13, s30
	s_addc_u32 s19, s31, -1
	v_add3_u32 v17, v19, v17, v18
	s_mov_b64 s[38:39], s[18:19]
	v_mov_b64_e32 v[18:19], v[14:15]
                                        ; implicit-def: $sgpr36_sgpr37
.LBB1083_80:                            ; =>This Inner Loop Header: Depth=1
	global_load_ubyte v20, v[18:19], off
	global_load_ubyte v21, v[16:17], off
	v_lshl_add_u64 v[18:19], v[18:19], 0, 1
	v_lshl_add_u64 v[16:17], v[16:17], 0, 1
	s_waitcnt vmcnt(1)
	v_cmp_ne_u16_e32 vcc, 0, v20
	s_waitcnt vmcnt(0)
	v_cmp_ne_u16_e64 s[6:7], 0, v21
	s_xor_b64 s[6:7], vcc, s[6:7]
	s_cmp_eq_u64 s[38:39], 0
	s_cselect_b64 s[40:41], -1, 0
	s_or_b64 s[40:41], s[6:7], s[40:41]
	s_add_u32 s38, s38, -1
	s_addc_u32 s39, s39, -1
	s_and_b64 s[40:41], exec, s[40:41]
	s_or_b64 s[14:15], s[40:41], s[14:15]
	s_andn2_b64 s[36:37], s[36:37], exec
	s_and_b64 s[6:7], s[6:7], exec
	s_or_b64 s[36:37], s[36:37], s[6:7]
	s_andn2_b64 exec, exec, s[14:15]
	s_cbranch_execnz .LBB1083_80
; %bb.81:
	s_or_b64 exec, exec, s[14:15]
	v_mov_b64_e32 v[16:17], s[20:21]
	v_mad_u64_u32 v[16:17], s[6:7], v2, s30, v[16:17]
	v_mul_lo_u32 v18, v2, s31
	v_mul_lo_u32 v19, v3, s30
	v_add3_u32 v17, v19, v17, v18
	s_mov_b64 s[38:39], 0
                                        ; implicit-def: $sgpr14_sgpr15
.LBB1083_82:                            ; =>This Inner Loop Header: Depth=1
	global_load_ubyte v18, v[16:17], off
	global_load_ubyte v19, v[14:15], off
	v_lshl_add_u64 v[16:17], v[16:17], 0, 1
	v_lshl_add_u64 v[14:15], v[14:15], 0, 1
	s_waitcnt vmcnt(1)
	v_cmp_ne_u16_e32 vcc, 0, v18
	s_waitcnt vmcnt(0)
	v_cmp_ne_u16_e64 s[6:7], 0, v19
	s_xor_b64 s[6:7], vcc, s[6:7]
	s_cmp_eq_u64 s[18:19], 0
	s_cselect_b64 s[40:41], -1, 0
	s_or_b64 s[40:41], s[6:7], s[40:41]
	s_add_u32 s18, s18, -1
	s_addc_u32 s19, s19, -1
	s_and_b64 s[40:41], exec, s[40:41]
	s_or_b64 s[38:39], s[40:41], s[38:39]
	s_andn2_b64 s[14:15], s[14:15], exec
	s_and_b64 s[6:7], s[6:7], exec
	s_or_b64 s[14:15], s[14:15], s[6:7]
	s_andn2_b64 exec, exec, s[38:39]
	s_cbranch_execnz .LBB1083_82
; %bb.83:
	s_or_b64 exec, exec, s[38:39]
	v_cndmask_b32_e64 v32, 0, 1, s[36:37]
.LBB1083_84:
	s_and_b64 vcc, exec, s[4:5]
	s_cbranch_vccnz .LBB1083_91
; %bb.85:
	v_mov_b64_e32 v[16:17], s[20:21]
	v_mad_u64_u32 v[14:15], s[6:7], v8, s30, v[16:17]
	v_mul_lo_u32 v18, v8, s31
	v_mul_lo_u32 v19, v9, s30
	s_add_u32 s18, s30, -1
	v_add3_u32 v15, v19, v15, v18
	v_mad_u64_u32 v[16:17], s[6:7], v2, s30, v[16:17]
	v_mul_lo_u32 v18, v2, s31
	v_mul_lo_u32 v19, v3, s30
	s_addc_u32 s19, s31, -1
	v_add3_u32 v17, v19, v17, v18
	s_mov_b64 s[38:39], 0
	s_mov_b64 s[40:41], s[18:19]
	v_mov_b64_e32 v[18:19], v[14:15]
                                        ; implicit-def: $sgpr36_sgpr37
.LBB1083_86:                            ; =>This Inner Loop Header: Depth=1
	global_load_ubyte v20, v[18:19], off
	global_load_ubyte v21, v[16:17], off
	v_lshl_add_u64 v[18:19], v[18:19], 0, 1
	v_lshl_add_u64 v[16:17], v[16:17], 0, 1
	s_waitcnt vmcnt(1)
	v_cmp_ne_u16_e32 vcc, 0, v20
	s_waitcnt vmcnt(0)
	v_cmp_ne_u16_e64 s[6:7], 0, v21
	s_xor_b64 s[6:7], vcc, s[6:7]
	s_cmp_eq_u64 s[40:41], 0
	s_cselect_b64 s[42:43], -1, 0
	s_or_b64 s[42:43], s[6:7], s[42:43]
	s_add_u32 s40, s40, -1
	s_addc_u32 s41, s41, -1
	s_and_b64 s[42:43], exec, s[42:43]
	s_or_b64 s[38:39], s[42:43], s[38:39]
	s_andn2_b64 s[36:37], s[36:37], exec
	s_and_b64 s[6:7], s[6:7], exec
	s_or_b64 s[36:37], s[36:37], s[6:7]
	s_andn2_b64 exec, exec, s[38:39]
	s_cbranch_execnz .LBB1083_86
; %bb.87:
	s_or_b64 exec, exec, s[38:39]
	v_mov_b64_e32 v[16:17], s[20:21]
	v_mad_u64_u32 v[16:17], s[6:7], v6, s30, v[16:17]
	v_mul_lo_u32 v18, v6, s31
	v_mul_lo_u32 v19, v7, s30
	v_add3_u32 v17, v19, v17, v18
	s_mov_b64 s[40:41], 0
                                        ; implicit-def: $sgpr38_sgpr39
.LBB1083_88:                            ; =>This Inner Loop Header: Depth=1
	global_load_ubyte v18, v[16:17], off
	global_load_ubyte v19, v[14:15], off
	v_lshl_add_u64 v[16:17], v[16:17], 0, 1
	v_lshl_add_u64 v[14:15], v[14:15], 0, 1
	s_waitcnt vmcnt(1)
	v_cmp_ne_u16_e32 vcc, 0, v18
	s_waitcnt vmcnt(0)
	v_cmp_ne_u16_e64 s[6:7], 0, v19
	s_xor_b64 s[6:7], vcc, s[6:7]
	s_cmp_eq_u64 s[18:19], 0
	s_cselect_b64 s[42:43], -1, 0
	s_or_b64 s[42:43], s[6:7], s[42:43]
	s_add_u32 s18, s18, -1
	s_addc_u32 s19, s19, -1
	s_and_b64 s[42:43], exec, s[42:43]
	s_or_b64 s[40:41], s[42:43], s[40:41]
	s_andn2_b64 s[38:39], s[38:39], exec
	s_and_b64 s[6:7], s[6:7], exec
	s_or_b64 s[38:39], s[38:39], s[6:7]
	s_andn2_b64 exec, exec, s[40:41]
	s_cbranch_execnz .LBB1083_88
; %bb.89:
	s_or_b64 exec, exec, s[40:41]
	v_cndmask_b32_e64 v33, 0, 1, s[36:37]
	s_branch .LBB1083_92
.LBB1083_90:
                                        ; implicit-def: $sgpr14_sgpr15
                                        ; implicit-def: $vgpr32
                                        ; implicit-def: $vgpr15
                                        ; implicit-def: $vgpr16
                                        ; implicit-def: $vgpr34
                                        ; implicit-def: $vgpr33
                                        ; implicit-def: $vgpr14
	s_cbranch_execnz .LBB1083_99
	s_branch .LBB1083_122
.LBB1083_91:
	v_mov_b32_e32 v33, 0
	s_mov_b64 s[38:39], 0
.LBB1083_92:
	v_cndmask_b32_e64 v14, 0, 1, s[14:15]
	v_cndmask_b32_e64 v34, 0, 1, s[38:39]
	v_mov_b32_e32 v16, 1
	v_cmp_ne_u32_e32 vcc, 0, v0
	s_waitcnt lgkmcnt(0)
	s_barrier
                                        ; implicit-def: $sgpr14_sgpr15
                                        ; implicit-def: $vgpr15
	s_and_saveexec_b64 s[6:7], vcc
	s_xor_b64 s[6:7], exec, s[6:7]
	s_cbranch_execz .LBB1083_98
; %bb.93:
	v_lshlrev_b16_e32 v15, 8, v34
	v_lshlrev_b16_e32 v17, 8, v14
	v_or_b32_e32 v15, 1, v15
	v_or_b32_sdwa v17, v33, v17 dst_sel:WORD_1 dst_unused:UNUSED_PAD src0_sel:DWORD src1_sel:DWORD
	s_mov_b32 s33, 0x3020104
	v_or_b32_sdwa v15, v15, v17 dst_sel:DWORD dst_unused:UNUSED_PAD src0_sel:WORD_0 src1_sel:DWORD
	s_and_b64 vcc, exec, s[4:5]
	s_mov_b64 s[14:15], 0
	s_cbranch_vccnz .LBB1083_97
; %bb.94:
	v_add_u32_e32 v17, -8, v23
	ds_read_b64 v[18:19], v17
	v_mov_b64_e32 v[20:21], s[20:21]
	s_add_u32 s18, s30, -1
	s_addc_u32 s19, s31, -1
	s_mov_b64 s[36:37], 0
	s_waitcnt lgkmcnt(0)
	v_mul_lo_u32 v17, v18, s31
	v_mul_lo_u32 v24, v19, s30
	v_mad_u64_u32 v[18:19], s[4:5], v18, s30, v[20:21]
	v_add3_u32 v19, v24, v19, v17
	v_mad_u64_u32 v[20:21], s[4:5], v6, s30, v[20:21]
	v_mul_lo_u32 v17, v6, s31
	v_mul_lo_u32 v24, v7, s30
	v_add3_u32 v21, v24, v21, v17
                                        ; implicit-def: $sgpr14_sgpr15
.LBB1083_95:                            ; =>This Inner Loop Header: Depth=1
	global_load_ubyte v17, v[18:19], off
	global_load_ubyte v24, v[20:21], off
	v_lshl_add_u64 v[18:19], v[18:19], 0, 1
	v_lshl_add_u64 v[20:21], v[20:21], 0, 1
	s_waitcnt vmcnt(1)
	v_cmp_ne_u16_e32 vcc, 0, v17
	s_waitcnt vmcnt(0)
	v_cmp_ne_u16_e64 s[4:5], 0, v24
	s_xor_b64 s[4:5], vcc, s[4:5]
	s_cmp_eq_u64 s[18:19], 0
	s_cselect_b64 s[38:39], -1, 0
	s_or_b64 s[38:39], s[4:5], s[38:39]
	s_add_u32 s18, s18, -1
	s_addc_u32 s19, s19, -1
	s_and_b64 s[38:39], exec, s[38:39]
	s_or_b64 s[36:37], s[38:39], s[36:37]
	s_andn2_b64 s[14:15], s[14:15], exec
	s_and_b64 s[4:5], s[4:5], exec
	s_or_b64 s[14:15], s[14:15], s[4:5]
	s_andn2_b64 exec, exec, s[36:37]
	s_cbranch_execnz .LBB1083_95
; %bb.96:
	s_or_b64 exec, exec, s[36:37]
.LBB1083_97:
	v_perm_b32 v15, v15, v15, s33
	s_or_b64 s[10:11], s[10:11], exec
.LBB1083_98:
	s_or_b64 exec, exec, s[6:7]
	s_branch .LBB1083_122
.LBB1083_99:
	v_add_u32_e32 v14, 4, v22
	v_cmp_gt_u32_e32 vcc, s3, v14
	s_xor_b64 s[6:7], s[12:13], -1
	s_and_b64 s[4:5], vcc, s[6:7]
	s_mov_b64 s[12:13], 0
	v_mul_lo_u32 v18, v4, s31
	v_mul_lo_u32 v19, v5, s30
	s_and_saveexec_b64 s[14:15], s[4:5]
	s_cbranch_execz .LBB1083_103
; %bb.100:
	v_mov_b64_e32 v[16:17], s[20:21]
	v_mad_u64_u32 v[14:15], s[4:5], v4, s30, v[16:17]
	v_mad_u64_u32 v[16:17], s[4:5], v12, s30, v[16:17]
	v_mul_lo_u32 v20, v12, s31
	v_mul_lo_u32 v21, v13, s30
	s_add_u32 s12, s30, -1
	v_add3_u32 v15, v19, v15, v18
	v_add3_u32 v17, v21, v17, v20
	s_addc_u32 s13, s31, -1
	s_mov_b64 s[18:19], 0
                                        ; implicit-def: $sgpr36_sgpr37
.LBB1083_101:                           ; =>This Inner Loop Header: Depth=1
	global_load_ubyte v20, v[14:15], off
	global_load_ubyte v21, v[16:17], off
	v_lshl_add_u64 v[14:15], v[14:15], 0, 1
	v_lshl_add_u64 v[16:17], v[16:17], 0, 1
	s_waitcnt vmcnt(1)
	v_cmp_ne_u16_e32 vcc, 0, v20
	s_waitcnt vmcnt(0)
	v_cmp_ne_u16_e64 s[4:5], 0, v21
	s_xor_b64 s[4:5], vcc, s[4:5]
	s_cmp_eq_u64 s[12:13], 0
	s_cselect_b64 s[38:39], -1, 0
	s_or_b64 s[38:39], s[4:5], s[38:39]
	s_add_u32 s12, s12, -1
	s_addc_u32 s13, s13, -1
	s_and_b64 s[38:39], exec, s[38:39]
	s_or_b64 s[18:19], s[38:39], s[18:19]
	s_andn2_b64 s[36:37], s[36:37], exec
	s_and_b64 s[4:5], s[4:5], exec
	s_or_b64 s[36:37], s[36:37], s[4:5]
	s_andn2_b64 exec, exec, s[18:19]
	s_cbranch_execnz .LBB1083_101
; %bb.102:
	s_or_b64 exec, exec, s[18:19]
	s_and_b64 s[12:13], s[36:37], exec
.LBB1083_103:
	s_or_b64 exec, exec, s[14:15]
	v_add_u32_e32 v14, 3, v22
	v_cmp_gt_u32_e32 vcc, s3, v14
	s_and_b64 s[4:5], vcc, s[6:7]
	s_mov_b64 s[14:15], 0
	v_mul_lo_u32 v20, v2, s31
	v_mul_lo_u32 v21, v3, s30
	s_and_saveexec_b64 s[18:19], s[4:5]
	s_cbranch_execz .LBB1083_107
; %bb.104:
	v_mov_b64_e32 v[16:17], s[20:21]
	v_mad_u64_u32 v[14:15], s[4:5], v2, s30, v[16:17]
	v_mad_u64_u32 v[16:17], s[4:5], v4, s30, v[16:17]
	s_add_u32 s14, s30, -1
	v_add3_u32 v15, v21, v15, v20
	v_add3_u32 v17, v19, v17, v18
	s_addc_u32 s15, s31, -1
	s_mov_b64 s[36:37], 0
                                        ; implicit-def: $sgpr38_sgpr39
.LBB1083_105:                           ; =>This Inner Loop Header: Depth=1
	global_load_ubyte v18, v[14:15], off
	global_load_ubyte v19, v[16:17], off
	v_lshl_add_u64 v[14:15], v[14:15], 0, 1
	v_lshl_add_u64 v[16:17], v[16:17], 0, 1
	s_waitcnt vmcnt(1)
	v_cmp_ne_u16_e32 vcc, 0, v18
	s_waitcnt vmcnt(0)
	v_cmp_ne_u16_e64 s[4:5], 0, v19
	s_xor_b64 s[4:5], vcc, s[4:5]
	s_cmp_eq_u64 s[14:15], 0
	s_cselect_b64 s[40:41], -1, 0
	s_or_b64 s[40:41], s[4:5], s[40:41]
	s_add_u32 s14, s14, -1
	s_addc_u32 s15, s15, -1
	s_and_b64 s[40:41], exec, s[40:41]
	s_or_b64 s[36:37], s[40:41], s[36:37]
	s_andn2_b64 s[38:39], s[38:39], exec
	s_and_b64 s[4:5], s[4:5], exec
	s_or_b64 s[38:39], s[38:39], s[4:5]
	s_andn2_b64 exec, exec, s[36:37]
	s_cbranch_execnz .LBB1083_105
; %bb.106:
	s_or_b64 exec, exec, s[36:37]
	s_and_b64 s[14:15], s[38:39], exec
.LBB1083_107:
	s_or_b64 exec, exec, s[18:19]
	v_add_u32_e32 v14, 2, v22
	v_cmp_gt_u32_e32 vcc, s3, v14
	s_and_b64 s[4:5], vcc, s[6:7]
	s_mov_b64 s[18:19], 0
	v_mul_lo_u32 v18, v8, s31
	v_mul_lo_u32 v19, v9, s30
	s_and_saveexec_b64 s[36:37], s[4:5]
	s_cbranch_execz .LBB1083_111
; %bb.108:
	v_mov_b64_e32 v[16:17], s[20:21]
	v_mad_u64_u32 v[14:15], s[4:5], v8, s30, v[16:17]
	v_mad_u64_u32 v[16:17], s[4:5], v2, s30, v[16:17]
	s_add_u32 s18, s30, -1
	v_add3_u32 v15, v19, v15, v18
	v_add3_u32 v17, v21, v17, v20
	s_addc_u32 s19, s31, -1
	s_mov_b64 s[38:39], 0
                                        ; implicit-def: $sgpr40_sgpr41
.LBB1083_109:                           ; =>This Inner Loop Header: Depth=1
	global_load_ubyte v20, v[14:15], off
	global_load_ubyte v21, v[16:17], off
	v_lshl_add_u64 v[14:15], v[14:15], 0, 1
	v_lshl_add_u64 v[16:17], v[16:17], 0, 1
	s_waitcnt vmcnt(1)
	v_cmp_ne_u16_e32 vcc, 0, v20
	s_waitcnt vmcnt(0)
	v_cmp_ne_u16_e64 s[4:5], 0, v21
	s_xor_b64 s[4:5], vcc, s[4:5]
	s_cmp_eq_u64 s[18:19], 0
	s_cselect_b64 s[42:43], -1, 0
	s_or_b64 s[42:43], s[4:5], s[42:43]
	s_add_u32 s18, s18, -1
	s_addc_u32 s19, s19, -1
	s_and_b64 s[42:43], exec, s[42:43]
	s_or_b64 s[38:39], s[42:43], s[38:39]
	s_andn2_b64 s[40:41], s[40:41], exec
	s_and_b64 s[4:5], s[4:5], exec
	s_or_b64 s[40:41], s[40:41], s[4:5]
	s_andn2_b64 exec, exec, s[38:39]
	s_cbranch_execnz .LBB1083_109
; %bb.110:
	s_or_b64 exec, exec, s[38:39]
	s_and_b64 s[18:19], s[40:41], exec
.LBB1083_111:
	s_or_b64 exec, exec, s[36:37]
	v_add_u32_e32 v14, 1, v22
	v_cmp_gt_u32_e32 vcc, s3, v14
	s_and_b64 s[38:39], vcc, s[6:7]
	s_mov_b64 s[4:5], 0
	s_and_saveexec_b64 s[36:37], s[38:39]
	s_cbranch_execz .LBB1083_115
; %bb.112:
	v_mov_b64_e32 v[16:17], s[20:21]
	v_mad_u64_u32 v[14:15], s[4:5], v6, s30, v[16:17]
	v_mul_lo_u32 v20, v6, s31
	v_mul_lo_u32 v21, v7, s30
	v_mad_u64_u32 v[16:17], s[4:5], v8, s30, v[16:17]
	s_add_u32 s38, s30, -1
	v_add3_u32 v15, v21, v15, v20
	v_add3_u32 v17, v19, v17, v18
	s_addc_u32 s39, s31, -1
	s_mov_b64 s[40:41], 0
                                        ; implicit-def: $sgpr42_sgpr43
.LBB1083_113:                           ; =>This Inner Loop Header: Depth=1
	global_load_ubyte v18, v[14:15], off
	global_load_ubyte v19, v[16:17], off
	v_lshl_add_u64 v[14:15], v[14:15], 0, 1
	v_lshl_add_u64 v[16:17], v[16:17], 0, 1
	s_waitcnt vmcnt(1)
	v_cmp_ne_u16_e32 vcc, 0, v18
	s_waitcnt vmcnt(0)
	v_cmp_ne_u16_e64 s[4:5], 0, v19
	s_xor_b64 s[4:5], vcc, s[4:5]
	s_cmp_eq_u64 s[38:39], 0
	s_cselect_b64 s[44:45], -1, 0
	s_or_b64 s[44:45], s[4:5], s[44:45]
	s_add_u32 s38, s38, -1
	s_addc_u32 s39, s39, -1
	s_and_b64 s[44:45], exec, s[44:45]
	s_or_b64 s[40:41], s[44:45], s[40:41]
	s_andn2_b64 s[42:43], s[42:43], exec
	s_and_b64 s[4:5], s[4:5], exec
	s_or_b64 s[42:43], s[42:43], s[4:5]
	s_andn2_b64 exec, exec, s[40:41]
	s_cbranch_execnz .LBB1083_113
; %bb.114:
	s_or_b64 exec, exec, s[40:41]
	s_and_b64 s[4:5], s[42:43], exec
.LBB1083_115:
	s_or_b64 exec, exec, s[36:37]
	v_cndmask_b32_e64 v32, 0, 1, s[12:13]
	v_cndmask_b32_e64 v33, 0, 1, s[18:19]
	;; [unrolled: 1-line block ×4, first 2 shown]
	v_mov_b32_e32 v16, 1
	v_cmp_ne_u32_e32 vcc, 0, v0
	s_waitcnt lgkmcnt(0)
	s_barrier
                                        ; implicit-def: $sgpr14_sgpr15
                                        ; implicit-def: $vgpr15
	s_and_saveexec_b64 s[12:13], vcc
	s_cbranch_execz .LBB1083_121
; %bb.116:
	v_lshlrev_b16_e32 v15, 8, v34
	v_lshlrev_b16_e32 v17, 8, v14
	v_or_b32_e32 v15, 1, v15
	v_or_b32_sdwa v17, v33, v17 dst_sel:WORD_1 dst_unused:UNUSED_PAD src0_sel:DWORD src1_sel:DWORD
	v_cmp_gt_u32_e32 vcc, s3, v22
	v_or_b32_sdwa v15, v15, v17 dst_sel:DWORD dst_unused:UNUSED_PAD src0_sel:WORD_0 src1_sel:DWORD
	s_and_b64 s[4:5], vcc, s[6:7]
	s_mov_b32 s33, 0x3020104
	s_mov_b64 s[14:15], 0
	s_and_saveexec_b64 s[6:7], s[4:5]
	s_cbranch_execz .LBB1083_120
; %bb.117:
	v_add_u32_e32 v17, -8, v23
	ds_read_b64 v[18:19], v17
	v_mov_b64_e32 v[20:21], s[20:21]
	s_add_u32 s14, s30, -1
	s_addc_u32 s15, s31, -1
	s_mov_b64 s[18:19], 0
	s_waitcnt lgkmcnt(0)
	v_mul_lo_u32 v17, v18, s31
	v_mul_lo_u32 v23, v19, s30
	v_mad_u64_u32 v[18:19], s[4:5], v18, s30, v[20:21]
	v_add3_u32 v19, v23, v19, v17
	v_mad_u64_u32 v[20:21], s[4:5], v6, s30, v[20:21]
	v_mul_lo_u32 v17, v6, s31
	v_mul_lo_u32 v23, v7, s30
	v_add3_u32 v21, v23, v21, v17
                                        ; implicit-def: $sgpr20_sgpr21
.LBB1083_118:                           ; =>This Inner Loop Header: Depth=1
	global_load_ubyte v17, v[18:19], off
	global_load_ubyte v23, v[20:21], off
	v_lshl_add_u64 v[18:19], v[18:19], 0, 1
	v_lshl_add_u64 v[20:21], v[20:21], 0, 1
	s_waitcnt vmcnt(1)
	v_cmp_ne_u16_e32 vcc, 0, v17
	s_waitcnt vmcnt(0)
	v_cmp_ne_u16_e64 s[4:5], 0, v23
	s_xor_b64 s[4:5], vcc, s[4:5]
	s_cmp_eq_u64 s[14:15], 0
	s_cselect_b64 s[30:31], -1, 0
	s_or_b64 s[30:31], s[4:5], s[30:31]
	s_add_u32 s14, s14, -1
	s_addc_u32 s15, s15, -1
	s_and_b64 s[30:31], exec, s[30:31]
	s_or_b64 s[18:19], s[30:31], s[18:19]
	s_andn2_b64 s[20:21], s[20:21], exec
	s_and_b64 s[4:5], s[4:5], exec
	s_or_b64 s[20:21], s[20:21], s[4:5]
	s_andn2_b64 exec, exec, s[18:19]
	s_cbranch_execnz .LBB1083_118
; %bb.119:
	s_or_b64 exec, exec, s[18:19]
	s_and_b64 s[14:15], s[20:21], exec
.LBB1083_120:
	s_or_b64 exec, exec, s[6:7]
	v_perm_b32 v15, v15, v15, s33
	s_or_b64 s[10:11], s[10:11], exec
.LBB1083_121:
	s_or_b64 exec, exec, s[12:13]
.LBB1083_122:
	s_and_saveexec_b64 s[4:5], s[10:11]
; %bb.123:
	v_lshrrev_b32_e32 v14, 24, v15
	v_lshrrev_b32_e32 v33, 16, v15
	;; [unrolled: 1-line block ×3, first 2 shown]
	v_cndmask_b32_e64 v16, 0, 1, s[14:15]
; %bb.124:
	s_or_b64 exec, exec, s[4:5]
	s_andn2_b64 vcc, exec, s[8:9]
	s_cbranch_vccnz .LBB1083_128
; %bb.125:
	s_mov_b32 s4, 0xc0c0004
	v_perm_b32 v14, v33, v14, s4
	v_perm_b32 v15, v16, v34, s4
	v_lshlrev_b32_e32 v14, 16, v14
	v_or_b32_e32 v15, v15, v14
	v_cmp_gt_u32_e32 vcc, s3, v22
	v_add_u32_e32 v16, 1, v22
	s_mov_b32 s4, 0x40c0100
	v_cndmask_b32_e32 v14, v14, v15, vcc
	v_and_b32_e32 v14, 0xffff00ff, v14
	v_cmp_gt_u32_e32 vcc, s3, v16
	v_add_u32_e32 v16, 2, v22
	v_and_b32_e32 v32, 0xff, v32
	v_cndmask_b32_e32 v14, v14, v15, vcc
	v_lshrrev_b32_e32 v18, 24, v14
	v_perm_b32 v14, v18, v14, s4
	v_cmp_gt_u32_e32 vcc, s3, v16
	v_add_u32_e32 v16, 3, v22
	v_and_b32_e32 v17, 0xffff, v32
	v_cndmask_b32_e32 v14, v14, v15, vcc
	v_and_b32_e32 v14, 0xffffff, v14
	v_cmp_gt_u32_e32 vcc, s3, v16
	s_nop 1
	v_cndmask_b32_e32 v16, v14, v15, vcc
	v_lshrrev_b64 v[14:15], 24, v[16:17]
	v_add_u32_e32 v15, 4, v22
	v_lshrrev_b32_e32 v33, 16, v16
	v_lshrrev_b32_e32 v34, 8, v16
	v_cmp_le_u32_e32 vcc, s3, v15
	s_and_saveexec_b64 s[4:5], vcc
; %bb.126:
	v_mov_b32_e32 v32, 0
; %bb.127:
	s_or_b64 exec, exec, s[4:5]
.LBB1083_128:
	v_and_b32_e32 v15, 0xff, v16
	v_and_b32_e32 v17, 0xff, v34
	;; [unrolled: 1-line block ×5, first 2 shown]
	v_add3_u32 v19, v17, v15, v29
	v_add3_u32 v37, v19, v31, v18
	v_mbcnt_lo_u32_b32 v18, -1, 0
	v_mbcnt_hi_u32_b32 v35, -1, v18
	v_and_b32_e32 v18, 15, v35
	v_cmp_eq_u32_e64 s[14:15], 0, v18
	v_cmp_lt_u32_e64 s[12:13], 1, v18
	v_cmp_lt_u32_e64 s[10:11], 3, v18
	;; [unrolled: 1-line block ×3, first 2 shown]
	v_and_b32_e32 v18, 16, v35
	v_cmp_eq_u32_e64 s[6:7], 0, v18
	v_or_b32_e32 v18, 63, v0
	v_cmp_lt_u32_e64 s[18:19], 31, v35
	v_lshrrev_b32_e32 v36, 6, v0
	v_cmp_eq_u32_e64 s[4:5], v0, v18
	s_and_b64 vcc, exec, s[16:17]
	s_waitcnt lgkmcnt(0)
	s_barrier
	s_cbranch_vccz .LBB1083_150
; %bb.129:
	v_mov_b32_dpp v18, v37 row_shr:1 row_mask:0xf bank_mask:0xf
	v_cndmask_b32_e64 v18, v18, 0, s[14:15]
	v_add_u32_e32 v18, v18, v37
	s_nop 1
	v_mov_b32_dpp v19, v18 row_shr:2 row_mask:0xf bank_mask:0xf
	v_cndmask_b32_e64 v19, 0, v19, s[12:13]
	v_add_u32_e32 v18, v18, v19
	s_nop 1
	;; [unrolled: 4-line block ×4, first 2 shown]
	v_mov_b32_dpp v19, v18 row_bcast:15 row_mask:0xf bank_mask:0xf
	v_cndmask_b32_e64 v19, v19, 0, s[6:7]
	v_add_u32_e32 v18, v18, v19
	s_nop 1
	v_mov_b32_dpp v19, v18 row_bcast:31 row_mask:0xf bank_mask:0xf
	v_cndmask_b32_e64 v19, 0, v19, s[18:19]
	v_add_u32_e32 v18, v18, v19
	s_and_saveexec_b64 s[16:17], s[4:5]
; %bb.130:
	v_lshlrev_b32_e32 v19, 2, v36
	ds_write_b32 v19, v18
; %bb.131:
	s_or_b64 exec, exec, s[16:17]
	v_cmp_gt_u32_e32 vcc, 2, v0
	s_waitcnt lgkmcnt(0)
	s_barrier
	s_and_saveexec_b64 s[16:17], vcc
	s_cbranch_execz .LBB1083_133
; %bb.132:
	v_lshlrev_b32_e32 v19, 2, v0
	ds_read_b32 v20, v19
	v_bfe_i32 v21, v35, 0, 1
	s_waitcnt lgkmcnt(0)
	v_mov_b32_dpp v22, v20 row_shr:1 row_mask:0xf bank_mask:0xf
	v_and_b32_e32 v21, v21, v22
	v_add_u32_e32 v20, v21, v20
	ds_write_b32 v19, v20
.LBB1083_133:
	s_or_b64 exec, exec, s[16:17]
	v_cmp_gt_u32_e32 vcc, 64, v0
	v_cmp_lt_u32_e64 s[16:17], 63, v0
	s_waitcnt lgkmcnt(0)
	s_barrier
                                        ; implicit-def: $vgpr28
	s_and_saveexec_b64 s[20:21], s[16:17]
	s_cbranch_execz .LBB1083_135
; %bb.134:
	v_lshl_add_u32 v19, v36, 2, -4
	ds_read_b32 v28, v19
	s_waitcnt lgkmcnt(0)
	v_add_u32_e32 v18, v28, v18
.LBB1083_135:
	s_or_b64 exec, exec, s[20:21]
	v_subrev_co_u32_e64 v19, s[16:17], 1, v35
	v_and_b32_e32 v20, 64, v35
	v_cmp_lt_i32_e64 s[20:21], v19, v20
	s_nop 1
	v_cndmask_b32_e64 v19, v19, v35, s[20:21]
	v_lshlrev_b32_e32 v19, 2, v19
	ds_bpermute_b32 v30, v19, v18
	s_and_saveexec_b64 s[20:21], vcc
	s_cbranch_execz .LBB1083_155
; %bb.136:
	v_mov_b32_e32 v25, 0
	ds_read_b32 v18, v25 offset:4
	s_and_saveexec_b64 s[30:31], s[16:17]
	s_cbranch_execz .LBB1083_138
; %bb.137:
	s_add_i32 s36, s2, 64
	s_mov_b32 s37, 0
	s_lshl_b64 s[36:37], s[36:37], 3
	s_add_u32 s36, s22, s36
	v_mov_b32_e32 v19, 1
	s_addc_u32 s37, s23, s37
	s_waitcnt lgkmcnt(0)
	global_store_dwordx2 v25, v[18:19], s[36:37] sc1
.LBB1083_138:
	s_or_b64 exec, exec, s[30:31]
	v_xad_u32 v20, v35, -1, s2
	v_add_u32_e32 v24, 64, v20
	v_lshl_add_u64 v[26:27], v[24:25], 3, s[22:23]
	global_load_dwordx2 v[22:23], v[26:27], off sc1
	s_waitcnt vmcnt(0)
	v_cmp_eq_u16_sdwa s[36:37], v23, v25 src0_sel:BYTE_0 src1_sel:DWORD
	s_and_saveexec_b64 s[30:31], s[36:37]
	s_cbranch_execz .LBB1083_142
; %bb.139:
	s_mov_b64 s[36:37], 0
	v_mov_b32_e32 v19, 0
.LBB1083_140:                           ; =>This Inner Loop Header: Depth=1
	global_load_dwordx2 v[22:23], v[26:27], off sc1
	s_waitcnt vmcnt(0)
	v_cmp_ne_u16_sdwa s[38:39], v23, v19 src0_sel:BYTE_0 src1_sel:DWORD
	s_or_b64 s[36:37], s[38:39], s[36:37]
	s_andn2_b64 exec, exec, s[36:37]
	s_cbranch_execnz .LBB1083_140
; %bb.141:
	s_or_b64 exec, exec, s[36:37]
.LBB1083_142:
	s_or_b64 exec, exec, s[30:31]
	v_and_b32_e32 v39, 63, v35
	v_mov_b32_e32 v38, 2
	v_cmp_ne_u32_e32 vcc, 63, v39
	v_cmp_eq_u16_sdwa s[30:31], v23, v38 src0_sel:BYTE_0 src1_sel:DWORD
	v_lshlrev_b64 v[24:25], v35, -1
	v_addc_co_u32_e32 v26, vcc, 0, v35, vcc
	v_and_b32_e32 v19, s31, v25
	v_lshlrev_b32_e32 v40, 2, v26
	v_or_b32_e32 v19, 0x80000000, v19
	ds_bpermute_b32 v26, v40, v22
	v_and_b32_e32 v21, s30, v24
	v_ffbl_b32_e32 v19, v19
	v_add_u32_e32 v19, 32, v19
	v_ffbl_b32_e32 v21, v21
	v_min_u32_e32 v19, v21, v19
	v_cmp_lt_u32_e32 vcc, v39, v19
	v_add_u32_e32 v42, 2, v39
	v_add_u32_e32 v44, 4, v39
	s_waitcnt lgkmcnt(0)
	v_cndmask_b32_e32 v21, 0, v26, vcc
	v_cmp_gt_u32_e32 vcc, 62, v39
	v_add_u32_e32 v21, v21, v22
	v_add_u32_e32 v46, 8, v39
	v_cndmask_b32_e64 v22, 0, 2, vcc
	v_add_lshl_u32 v41, v22, v35, 2
	ds_bpermute_b32 v22, v41, v21
	v_cmp_le_u32_e32 vcc, v42, v19
	v_add_u32_e32 v48, 16, v39
	v_add_u32_e32 v50, 32, v39
	s_waitcnt lgkmcnt(0)
	v_cndmask_b32_e32 v22, 0, v22, vcc
	v_cmp_gt_u32_e32 vcc, 60, v39
	v_add_u32_e32 v21, v21, v22
	s_nop 0
	v_cndmask_b32_e64 v22, 0, 4, vcc
	v_add_lshl_u32 v43, v22, v35, 2
	ds_bpermute_b32 v22, v43, v21
	v_cmp_le_u32_e32 vcc, v44, v19
	s_waitcnt lgkmcnt(0)
	s_nop 0
	v_cndmask_b32_e32 v22, 0, v22, vcc
	v_cmp_gt_u32_e32 vcc, 56, v39
	v_add_u32_e32 v21, v21, v22
	s_nop 0
	v_cndmask_b32_e64 v22, 0, 8, vcc
	v_add_lshl_u32 v45, v22, v35, 2
	ds_bpermute_b32 v22, v45, v21
	v_cmp_le_u32_e32 vcc, v46, v19
	s_waitcnt lgkmcnt(0)
	s_nop 0
	;; [unrolled: 10-line block ×3, first 2 shown]
	v_cndmask_b32_e32 v22, 0, v22, vcc
	v_add_u32_e32 v21, v21, v22
	v_mov_b32_e32 v22, 0x80
	v_lshl_or_b32 v49, v35, 2, v22
	ds_bpermute_b32 v22, v49, v21
	v_cmp_le_u32_e32 vcc, v50, v19
	s_waitcnt lgkmcnt(0)
	s_nop 0
	v_cndmask_b32_e32 v19, 0, v22, vcc
	v_add_u32_e32 v22, v21, v19
	v_mov_b32_e32 v21, 0
	s_branch .LBB1083_145
.LBB1083_143:                           ;   in Loop: Header=BB1083_145 Depth=1
	s_or_b64 exec, exec, s[30:31]
	v_cmp_eq_u16_sdwa s[30:31], v23, v38 src0_sel:BYTE_0 src1_sel:DWORD
	ds_bpermute_b32 v51, v40, v22
	v_subrev_u32_e32 v20, 64, v20
	v_and_b32_e32 v26, s31, v25
	v_or_b32_e32 v26, 0x80000000, v26
	v_and_b32_e32 v27, s30, v24
	v_ffbl_b32_e32 v26, v26
	v_add_u32_e32 v26, 32, v26
	v_ffbl_b32_e32 v27, v27
	v_min_u32_e32 v26, v27, v26
	v_cmp_lt_u32_e32 vcc, v39, v26
	s_mov_b64 s[30:31], 0
	s_waitcnt lgkmcnt(0)
	v_cndmask_b32_e32 v27, 0, v51, vcc
	v_add_u32_e32 v22, v27, v22
	ds_bpermute_b32 v27, v41, v22
	v_cmp_le_u32_e32 vcc, v42, v26
	s_waitcnt lgkmcnt(0)
	s_nop 0
	v_cndmask_b32_e32 v27, 0, v27, vcc
	v_add_u32_e32 v22, v22, v27
	ds_bpermute_b32 v27, v43, v22
	v_cmp_le_u32_e32 vcc, v44, v26
	s_waitcnt lgkmcnt(0)
	s_nop 0
	v_cndmask_b32_e32 v27, 0, v27, vcc
	v_add_u32_e32 v22, v22, v27
	ds_bpermute_b32 v27, v45, v22
	v_cmp_le_u32_e32 vcc, v46, v26
	s_waitcnt lgkmcnt(0)
	s_nop 0
	v_cndmask_b32_e32 v27, 0, v27, vcc
	v_add_u32_e32 v22, v22, v27
	ds_bpermute_b32 v27, v47, v22
	v_cmp_le_u32_e32 vcc, v48, v26
	s_waitcnt lgkmcnt(0)
	s_nop 0
	v_cndmask_b32_e32 v27, 0, v27, vcc
	v_add_u32_e32 v22, v22, v27
	ds_bpermute_b32 v27, v49, v22
	v_cmp_le_u32_e32 vcc, v50, v26
	s_waitcnt lgkmcnt(0)
	s_nop 0
	v_cndmask_b32_e32 v26, 0, v27, vcc
	v_add3_u32 v22, v26, v19, v22
.LBB1083_144:                           ;   in Loop: Header=BB1083_145 Depth=1
	s_and_b64 vcc, exec, s[30:31]
	s_cbranch_vccnz .LBB1083_151
.LBB1083_145:                           ; =>This Loop Header: Depth=1
                                        ;     Child Loop BB1083_148 Depth 2
	v_cmp_ne_u16_sdwa s[30:31], v23, v38 src0_sel:BYTE_0 src1_sel:DWORD
	v_mov_b32_e32 v19, v22
	s_cmp_lg_u64 s[30:31], exec
	s_mov_b64 s[30:31], -1
                                        ; implicit-def: $vgpr22
                                        ; implicit-def: $vgpr23
	s_cbranch_scc1 .LBB1083_144
; %bb.146:                              ;   in Loop: Header=BB1083_145 Depth=1
	v_lshl_add_u64 v[26:27], v[20:21], 3, s[22:23]
	global_load_dwordx2 v[22:23], v[26:27], off sc1
	s_waitcnt vmcnt(0)
	v_cmp_eq_u16_sdwa s[36:37], v23, v21 src0_sel:BYTE_0 src1_sel:DWORD
	s_and_saveexec_b64 s[30:31], s[36:37]
	s_cbranch_execz .LBB1083_143
; %bb.147:                              ;   in Loop: Header=BB1083_145 Depth=1
	s_mov_b64 s[36:37], 0
.LBB1083_148:                           ;   Parent Loop BB1083_145 Depth=1
                                        ; =>  This Inner Loop Header: Depth=2
	global_load_dwordx2 v[22:23], v[26:27], off sc1
	s_waitcnt vmcnt(0)
	v_cmp_ne_u16_sdwa s[38:39], v23, v21 src0_sel:BYTE_0 src1_sel:DWORD
	s_or_b64 s[36:37], s[38:39], s[36:37]
	s_andn2_b64 exec, exec, s[36:37]
	s_cbranch_execnz .LBB1083_148
; %bb.149:                              ;   in Loop: Header=BB1083_145 Depth=1
	s_or_b64 exec, exec, s[36:37]
	s_branch .LBB1083_143
.LBB1083_150:
                                        ; implicit-def: $vgpr22
                                        ; implicit-def: $vgpr24
                                        ; implicit-def: $vgpr26
                                        ; implicit-def: $vgpr28
                                        ; implicit-def: $vgpr30
                                        ; implicit-def: $vgpr20
                                        ; implicit-def: $vgpr18
	s_cbranch_execnz .LBB1083_156
	s_branch .LBB1083_165
.LBB1083_151:
	s_and_saveexec_b64 s[30:31], s[16:17]
	s_cbranch_execz .LBB1083_153
; %bb.152:
	s_add_i32 s2, s2, 64
	s_mov_b32 s3, 0
	s_lshl_b64 s[2:3], s[2:3], 3
	s_add_u32 s2, s22, s2
	v_add_u32_e32 v20, v19, v18
	v_mov_b32_e32 v21, 2
	s_addc_u32 s3, s23, s3
	v_mov_b32_e32 v22, 0
	global_store_dwordx2 v22, v[20:21], s[2:3] sc1
	ds_write_b64 v22, v[18:19] offset:5120
.LBB1083_153:
	s_or_b64 exec, exec, s[30:31]
	v_cmp_eq_u32_e32 vcc, 0, v0
	s_and_b64 exec, exec, vcc
; %bb.154:
	v_mov_b32_e32 v18, 0
	ds_write_b32 v18, v19 offset:4
.LBB1083_155:
	s_or_b64 exec, exec, s[20:21]
	v_mov_b32_e32 v18, 0
	s_waitcnt lgkmcnt(0)
	s_barrier
	ds_read_b32 v19, v18 offset:4
	v_cndmask_b32_e64 v20, v30, v28, s[16:17]
	v_cmp_ne_u32_e32 vcc, 0, v0
	s_waitcnt lgkmcnt(0)
	s_barrier
	v_cndmask_b32_e32 v20, 0, v20, vcc
	v_add_u32_e32 v30, v19, v20
	ds_read_b64 v[18:19], v18 offset:5120
	v_add_u32_e32 v28, v30, v15
	v_add_u32_e32 v26, v28, v17
	;; [unrolled: 1-line block ×4, first 2 shown]
	s_waitcnt lgkmcnt(0)
	v_mov_b32_e32 v20, v19
	s_branch .LBB1083_165
.LBB1083_156:
	v_mov_b32_dpp v18, v37 row_shr:1 row_mask:0xf bank_mask:0xf
	v_cndmask_b32_e64 v18, v18, 0, s[14:15]
	v_add_u32_e32 v18, v18, v37
	s_nop 1
	v_mov_b32_dpp v19, v18 row_shr:2 row_mask:0xf bank_mask:0xf
	v_cndmask_b32_e64 v19, 0, v19, s[12:13]
	v_add_u32_e32 v18, v18, v19
	s_nop 1
	;; [unrolled: 4-line block ×4, first 2 shown]
	v_mov_b32_dpp v19, v18 row_bcast:15 row_mask:0xf bank_mask:0xf
	v_cndmask_b32_e64 v19, v19, 0, s[6:7]
	v_add_u32_e32 v18, v18, v19
	s_nop 1
	v_mov_b32_dpp v19, v18 row_bcast:31 row_mask:0xf bank_mask:0xf
	v_cndmask_b32_e64 v19, 0, v19, s[18:19]
	v_add_u32_e32 v18, v18, v19
	s_and_saveexec_b64 s[2:3], s[4:5]
; %bb.157:
	v_lshlrev_b32_e32 v19, 2, v36
	ds_write_b32 v19, v18
; %bb.158:
	s_or_b64 exec, exec, s[2:3]
	v_cmp_gt_u32_e32 vcc, 2, v0
	s_waitcnt lgkmcnt(0)
	s_barrier
	s_and_saveexec_b64 s[2:3], vcc
	s_cbranch_execz .LBB1083_160
; %bb.159:
	v_lshlrev_b32_e32 v19, 2, v0
	ds_read_b32 v20, v19
	v_bfe_i32 v21, v35, 0, 1
	s_waitcnt lgkmcnt(0)
	v_mov_b32_dpp v22, v20 row_shr:1 row_mask:0xf bank_mask:0xf
	v_and_b32_e32 v21, v21, v22
	v_add_u32_e32 v20, v21, v20
	ds_write_b32 v19, v20
.LBB1083_160:
	s_or_b64 exec, exec, s[2:3]
	v_cmp_lt_u32_e32 vcc, 63, v0
	v_mov_b32_e32 v19, 0
	v_mov_b32_e32 v20, 0
	s_waitcnt lgkmcnt(0)
	s_barrier
	s_and_saveexec_b64 s[2:3], vcc
; %bb.161:
	v_lshl_add_u32 v20, v36, 2, -4
	ds_read_b32 v20, v20
; %bb.162:
	s_or_b64 exec, exec, s[2:3]
	v_subrev_co_u32_e32 v21, vcc, 1, v35
	v_and_b32_e32 v22, 64, v35
	v_cmp_lt_i32_e64 s[2:3], v21, v22
	s_waitcnt lgkmcnt(0)
	v_add_u32_e32 v18, v20, v18
	v_cndmask_b32_e64 v21, v21, v35, s[2:3]
	v_lshlrev_b32_e32 v21, 2, v21
	ds_bpermute_b32 v21, v21, v18
	ds_read_b32 v18, v19 offset:4
	v_cmp_eq_u32_e64 s[2:3], 0, v0
	s_and_saveexec_b64 s[4:5], s[2:3]
	s_cbranch_execz .LBB1083_164
; %bb.163:
	v_mov_b32_e32 v22, 0
	v_mov_b32_e32 v19, 2
	s_waitcnt lgkmcnt(0)
	global_store_dwordx2 v22, v[18:19], s[22:23] offset:512 sc1
.LBB1083_164:
	s_or_b64 exec, exec, s[4:5]
	s_waitcnt lgkmcnt(1)
	v_cndmask_b32_e32 v19, v21, v20, vcc
	v_cndmask_b32_e64 v30, v19, 0, s[2:3]
	v_add_u32_e32 v28, v30, v15
	v_add_u32_e32 v26, v28, v17
	;; [unrolled: 1-line block ×4, first 2 shown]
	s_waitcnt lgkmcnt(0)
	s_barrier
	v_mov_b32_e32 v20, 0
.LBB1083_165:
	s_load_dwordx4 s[8:11], s[0:1], 0x28
	s_movk_i32 s0, 0x81
	v_cmp_gt_u32_e64 s[0:1], s0, v18
	v_add_u32_e32 v17, v20, v18
	v_and_b32_e32 v15, 1, v16
	s_mov_b64 s[6:7], -1
	s_and_b64 vcc, exec, s[0:1]
	v_cmp_lt_u32_e64 s[2:3], v30, v17
	v_cmp_eq_u32_e64 s[4:5], 1, v15
	s_cbranch_vccz .LBB1083_177
; %bb.166:
	s_or_b64 s[2:3], s[34:35], s[2:3]
	s_and_b64 s[4:5], s[2:3], s[4:5]
	s_and_saveexec_b64 s[2:3], s[4:5]
	s_cbranch_execz .LBB1083_168
; %bb.167:
	s_lshl_b64 s[4:5], s[26:27], 3
	s_waitcnt lgkmcnt(0)
	s_add_u32 s4, s8, s4
	s_addc_u32 s5, s9, s5
	v_mov_b32_e32 v31, 0
	v_lshl_add_u64 v[36:37], v[30:31], 3, s[4:5]
	global_store_dwordx2 v[36:37], v[6:7], off
.LBB1083_168:
	s_or_b64 exec, exec, s[2:3]
	v_cmp_lt_u32_e32 vcc, v28, v17
	v_and_b32_e32 v16, 1, v34
	s_or_b64 s[2:3], s[34:35], vcc
	v_cmp_eq_u32_e32 vcc, 1, v16
	s_and_b64 s[4:5], s[2:3], vcc
	s_and_saveexec_b64 s[2:3], s[4:5]
	s_cbranch_execz .LBB1083_170
; %bb.169:
	s_lshl_b64 s[4:5], s[26:27], 3
	s_waitcnt lgkmcnt(0)
	s_add_u32 s4, s8, s4
	s_addc_u32 s5, s9, s5
	v_mov_b32_e32 v29, 0
	v_lshl_add_u64 v[36:37], v[28:29], 3, s[4:5]
	global_store_dwordx2 v[36:37], v[8:9], off
.LBB1083_170:
	s_or_b64 exec, exec, s[2:3]
	v_cmp_lt_u32_e32 vcc, v26, v17
	v_and_b32_e32 v16, 1, v33
	s_or_b64 s[2:3], s[34:35], vcc
	v_cmp_eq_u32_e32 vcc, 1, v16
	s_and_b64 s[4:5], s[2:3], vcc
	;; [unrolled: 17-line block ×4, first 2 shown]
	s_and_saveexec_b64 s[2:3], s[4:5]
	s_cbranch_execz .LBB1083_176
; %bb.175:
	s_lshl_b64 s[4:5], s[26:27], 3
	s_waitcnt lgkmcnt(0)
	s_add_u32 s4, s8, s4
	s_addc_u32 s5, s9, s5
	v_mov_b32_e32 v23, 0
	v_lshl_add_u64 v[36:37], v[22:23], 3, s[4:5]
	global_store_dwordx2 v[36:37], v[12:13], off
.LBB1083_176:
	s_or_b64 exec, exec, s[2:3]
	s_mov_b64 s[6:7], 0
.LBB1083_177:
	s_and_b64 vcc, exec, s[6:7]
	s_cbranch_vccz .LBB1083_191
; %bb.178:
	v_cmp_eq_u32_e32 vcc, 1, v15
	s_and_saveexec_b64 s[2:3], vcc
; %bb.179:
	v_sub_u32_e32 v16, v30, v20
	v_lshlrev_b32_e32 v16, 3, v16
	ds_write_b64 v16, v[6:7]
; %bb.180:
	s_or_b64 exec, exec, s[2:3]
	v_and_b32_e32 v6, 1, v34
	v_cmp_eq_u32_e32 vcc, 1, v6
	s_and_saveexec_b64 s[2:3], vcc
; %bb.181:
	v_sub_u32_e32 v6, v28, v20
	v_lshlrev_b32_e32 v6, 3, v6
	ds_write_b64 v6, v[8:9]
; %bb.182:
	s_or_b64 exec, exec, s[2:3]
	v_and_b32_e32 v6, 1, v33
	;; [unrolled: 9-line block ×4, first 2 shown]
	v_cmp_eq_u32_e32 vcc, 1, v2
	s_and_saveexec_b64 s[2:3], vcc
; %bb.187:
	v_sub_u32_e32 v2, v22, v20
	v_lshlrev_b32_e32 v2, 3, v2
	ds_write_b64 v2, v[12:13]
; %bb.188:
	s_or_b64 exec, exec, s[2:3]
	v_mov_b32_e32 v3, 0
	v_mov_b32_e32 v21, v3
	v_lshlrev_b64 v[4:5], 3, v[20:21]
	s_waitcnt lgkmcnt(0)
	v_lshl_add_u64 v[4:5], s[8:9], 0, v[4:5]
	s_lshl_b64 s[2:3], s[26:27], 3
	v_lshl_add_u64 v[4:5], v[4:5], 0, s[2:3]
	v_lshlrev_b32_e32 v6, 3, v0
	s_mov_b64 s[2:3], 0
	v_mov_b32_e32 v2, v0
	s_barrier
.LBB1083_189:                           ; =>This Inner Loop Header: Depth=1
	ds_read_b64 v[8:9], v6
	v_lshl_add_u64 v[12:13], v[2:3], 3, v[4:5]
	v_add_u32_e32 v2, 0x80, v2
	v_cmp_ge_u32_e32 vcc, v2, v18
	v_add_u32_e32 v6, 0x400, v6
	s_or_b64 s[2:3], vcc, s[2:3]
	s_waitcnt lgkmcnt(0)
	global_store_dwordx2 v[12:13], v[8:9], off
	s_andn2_b64 exec, exec, s[2:3]
	s_cbranch_execnz .LBB1083_189
; %bb.190:
	s_or_b64 exec, exec, s[2:3]
.LBB1083_191:
	s_mov_b64 s[2:3], -1
	s_and_b64 vcc, exec, s[0:1]
	s_waitcnt lgkmcnt(0)
	s_barrier
	s_cbranch_vccnz .LBB1083_195
; %bb.192:
	s_and_b64 vcc, exec, s[2:3]
	s_cbranch_vccnz .LBB1083_206
.LBB1083_193:
	v_cmp_eq_u32_e32 vcc, 0, v0
	s_and_b64 s[0:1], vcc, s[28:29]
	s_and_saveexec_b64 s[2:3], s[0:1]
	s_cbranch_execnz .LBB1083_219
.LBB1083_194:
	s_endpgm
.LBB1083_195:
	v_cmp_lt_u32_e32 vcc, v30, v17
	s_or_b64 s[0:1], s[34:35], vcc
	v_cmp_eq_u32_e32 vcc, 1, v15
	s_and_b64 s[2:3], s[0:1], vcc
	s_and_saveexec_b64 s[0:1], s[2:3]
	s_cbranch_execz .LBB1083_197
; %bb.196:
	s_lshl_b64 s[2:3], s[26:27], 3
	s_add_u32 s2, s10, s2
	s_addc_u32 s3, s11, s3
	v_mov_b32_e32 v31, 0
	v_lshl_add_u64 v[2:3], v[30:31], 3, s[2:3]
	global_store_dwordx2 v[2:3], v[56:57], off
.LBB1083_197:
	s_or_b64 exec, exec, s[0:1]
	v_cmp_lt_u32_e32 vcc, v28, v17
	v_and_b32_e32 v2, 1, v34
	s_or_b64 s[0:1], s[34:35], vcc
	v_cmp_eq_u32_e32 vcc, 1, v2
	s_and_b64 s[2:3], s[0:1], vcc
	s_and_saveexec_b64 s[0:1], s[2:3]
	s_cbranch_execz .LBB1083_199
; %bb.198:
	s_lshl_b64 s[2:3], s[26:27], 3
	s_add_u32 s2, s10, s2
	s_addc_u32 s3, s11, s3
	v_mov_b32_e32 v29, 0
	v_lshl_add_u64 v[2:3], v[28:29], 3, s[2:3]
	global_store_dwordx2 v[2:3], v[58:59], off
.LBB1083_199:
	s_or_b64 exec, exec, s[0:1]
	v_cmp_lt_u32_e32 vcc, v26, v17
	v_and_b32_e32 v2, 1, v33
	;; [unrolled: 16-line block ×4, first 2 shown]
	s_or_b64 s[0:1], s[34:35], vcc
	v_cmp_eq_u32_e32 vcc, 1, v2
	s_and_b64 s[2:3], s[0:1], vcc
	s_and_saveexec_b64 s[0:1], s[2:3]
	s_cbranch_execz .LBB1083_205
; %bb.204:
	s_lshl_b64 s[2:3], s[26:27], 3
	s_add_u32 s2, s10, s2
	s_addc_u32 s3, s11, s3
	v_mov_b32_e32 v23, 0
	v_lshl_add_u64 v[2:3], v[22:23], 3, s[2:3]
	global_store_dwordx2 v[2:3], v[10:11], off
.LBB1083_205:
	s_or_b64 exec, exec, s[0:1]
	s_branch .LBB1083_193
.LBB1083_206:
	v_cmp_eq_u32_e32 vcc, 1, v15
	s_and_saveexec_b64 s[0:1], vcc
; %bb.207:
	v_sub_u32_e32 v2, v30, v20
	v_lshlrev_b32_e32 v2, 3, v2
	ds_write_b64 v2, v[56:57]
; %bb.208:
	s_or_b64 exec, exec, s[0:1]
	v_and_b32_e32 v2, 1, v34
	v_cmp_eq_u32_e32 vcc, 1, v2
	s_and_saveexec_b64 s[0:1], vcc
; %bb.209:
	v_sub_u32_e32 v2, v28, v20
	v_lshlrev_b32_e32 v2, 3, v2
	ds_write_b64 v2, v[58:59]
; %bb.210:
	s_or_b64 exec, exec, s[0:1]
	v_and_b32_e32 v2, 1, v33
	;; [unrolled: 9-line block ×4, first 2 shown]
	v_cmp_eq_u32_e32 vcc, 1, v2
	s_and_saveexec_b64 s[0:1], vcc
; %bb.215:
	v_sub_u32_e32 v2, v22, v20
	v_lshlrev_b32_e32 v2, 3, v2
	ds_write_b64 v2, v[10:11]
; %bb.216:
	s_or_b64 exec, exec, s[0:1]
	v_mov_b32_e32 v3, 0
	v_mov_b32_e32 v21, v3
	v_lshlrev_b64 v[4:5], 3, v[20:21]
	v_lshl_add_u64 v[4:5], s[10:11], 0, v[4:5]
	s_lshl_b64 s[0:1], s[26:27], 3
	v_lshl_add_u64 v[4:5], v[4:5], 0, s[0:1]
	s_mov_b64 s[0:1], 0
	v_mov_b32_e32 v2, v0
	s_waitcnt lgkmcnt(0)
	s_barrier
.LBB1083_217:                           ; =>This Inner Loop Header: Depth=1
	ds_read_b64 v[6:7], v1
	v_lshl_add_u64 v[8:9], v[2:3], 3, v[4:5]
	v_add_u32_e32 v2, 0x80, v2
	v_cmp_ge_u32_e32 vcc, v2, v18
	v_add_u32_e32 v1, 0x400, v1
	s_or_b64 s[0:1], vcc, s[0:1]
	s_waitcnt lgkmcnt(0)
	global_store_dwordx2 v[8:9], v[6:7], off
	s_andn2_b64 exec, exec, s[0:1]
	s_cbranch_execnz .LBB1083_217
; %bb.218:
	s_or_b64 exec, exec, s[0:1]
	v_cmp_eq_u32_e32 vcc, 0, v0
	s_and_b64 s[0:1], vcc, s[28:29]
	s_and_saveexec_b64 s[2:3], s[0:1]
	s_cbranch_execz .LBB1083_194
.LBB1083_219:
	v_mov_b32_e32 v19, 0
	v_lshl_add_u64 v[0:1], s[26:27], 0, v[18:19]
	v_mov_b32_e32 v21, v19
	v_lshl_add_u64 v[0:1], v[0:1], 0, v[20:21]
	global_store_dwordx2 v19, v[0:1], s[24:25]
	s_endpgm
	.section	.rodata,"a",@progbits
	.p2align	6, 0x0
	.amdhsa_kernel _ZN7rocprim17ROCPRIM_400000_NS6detail17trampoline_kernelINS0_14default_configENS1_25partition_config_selectorILNS1_17partition_subalgoE9EllbEEZZNS1_14partition_implILS5_9ELb0ES3_jPlS8_PNS0_10empty_typeENS0_5tupleIJS8_S9_EEENSB_IJS8_SA_EEENS0_18inequality_wrapperIZN2at6native12_GLOBAL__N_124unique_dim_cuda_templateIbEESt5tupleIJNSF_6TensorESK_SK_EERKSK_lbbbEUlllE0_EEPmJS9_EEE10hipError_tPvRmT3_T4_T5_T6_T7_T9_mT8_P12ihipStream_tbDpT10_ENKUlT_T0_E_clISt17integral_constantIbLb0EES1A_EEDaS15_S16_EUlS15_E_NS1_11comp_targetILNS1_3genE0ELNS1_11target_archE4294967295ELNS1_3gpuE0ELNS1_3repE0EEENS1_30default_config_static_selectorELNS0_4arch9wavefront6targetE1EEEvT1_
		.amdhsa_group_segment_fixed_size 5128
		.amdhsa_private_segment_fixed_size 0
		.amdhsa_kernarg_size 120
		.amdhsa_user_sgpr_count 2
		.amdhsa_user_sgpr_dispatch_ptr 0
		.amdhsa_user_sgpr_queue_ptr 0
		.amdhsa_user_sgpr_kernarg_segment_ptr 1
		.amdhsa_user_sgpr_dispatch_id 0
		.amdhsa_user_sgpr_kernarg_preload_length 0
		.amdhsa_user_sgpr_kernarg_preload_offset 0
		.amdhsa_user_sgpr_private_segment_size 0
		.amdhsa_uses_dynamic_stack 0
		.amdhsa_enable_private_segment 0
		.amdhsa_system_sgpr_workgroup_id_x 1
		.amdhsa_system_sgpr_workgroup_id_y 0
		.amdhsa_system_sgpr_workgroup_id_z 0
		.amdhsa_system_sgpr_workgroup_info 0
		.amdhsa_system_vgpr_workitem_id 0
		.amdhsa_next_free_vgpr 60
		.amdhsa_next_free_sgpr 46
		.amdhsa_accum_offset 60
		.amdhsa_reserve_vcc 1
		.amdhsa_float_round_mode_32 0
		.amdhsa_float_round_mode_16_64 0
		.amdhsa_float_denorm_mode_32 3
		.amdhsa_float_denorm_mode_16_64 3
		.amdhsa_dx10_clamp 1
		.amdhsa_ieee_mode 1
		.amdhsa_fp16_overflow 0
		.amdhsa_tg_split 0
		.amdhsa_exception_fp_ieee_invalid_op 0
		.amdhsa_exception_fp_denorm_src 0
		.amdhsa_exception_fp_ieee_div_zero 0
		.amdhsa_exception_fp_ieee_overflow 0
		.amdhsa_exception_fp_ieee_underflow 0
		.amdhsa_exception_fp_ieee_inexact 0
		.amdhsa_exception_int_div_zero 0
	.end_amdhsa_kernel
	.section	.text._ZN7rocprim17ROCPRIM_400000_NS6detail17trampoline_kernelINS0_14default_configENS1_25partition_config_selectorILNS1_17partition_subalgoE9EllbEEZZNS1_14partition_implILS5_9ELb0ES3_jPlS8_PNS0_10empty_typeENS0_5tupleIJS8_S9_EEENSB_IJS8_SA_EEENS0_18inequality_wrapperIZN2at6native12_GLOBAL__N_124unique_dim_cuda_templateIbEESt5tupleIJNSF_6TensorESK_SK_EERKSK_lbbbEUlllE0_EEPmJS9_EEE10hipError_tPvRmT3_T4_T5_T6_T7_T9_mT8_P12ihipStream_tbDpT10_ENKUlT_T0_E_clISt17integral_constantIbLb0EES1A_EEDaS15_S16_EUlS15_E_NS1_11comp_targetILNS1_3genE0ELNS1_11target_archE4294967295ELNS1_3gpuE0ELNS1_3repE0EEENS1_30default_config_static_selectorELNS0_4arch9wavefront6targetE1EEEvT1_,"axG",@progbits,_ZN7rocprim17ROCPRIM_400000_NS6detail17trampoline_kernelINS0_14default_configENS1_25partition_config_selectorILNS1_17partition_subalgoE9EllbEEZZNS1_14partition_implILS5_9ELb0ES3_jPlS8_PNS0_10empty_typeENS0_5tupleIJS8_S9_EEENSB_IJS8_SA_EEENS0_18inequality_wrapperIZN2at6native12_GLOBAL__N_124unique_dim_cuda_templateIbEESt5tupleIJNSF_6TensorESK_SK_EERKSK_lbbbEUlllE0_EEPmJS9_EEE10hipError_tPvRmT3_T4_T5_T6_T7_T9_mT8_P12ihipStream_tbDpT10_ENKUlT_T0_E_clISt17integral_constantIbLb0EES1A_EEDaS15_S16_EUlS15_E_NS1_11comp_targetILNS1_3genE0ELNS1_11target_archE4294967295ELNS1_3gpuE0ELNS1_3repE0EEENS1_30default_config_static_selectorELNS0_4arch9wavefront6targetE1EEEvT1_,comdat
.Lfunc_end1083:
	.size	_ZN7rocprim17ROCPRIM_400000_NS6detail17trampoline_kernelINS0_14default_configENS1_25partition_config_selectorILNS1_17partition_subalgoE9EllbEEZZNS1_14partition_implILS5_9ELb0ES3_jPlS8_PNS0_10empty_typeENS0_5tupleIJS8_S9_EEENSB_IJS8_SA_EEENS0_18inequality_wrapperIZN2at6native12_GLOBAL__N_124unique_dim_cuda_templateIbEESt5tupleIJNSF_6TensorESK_SK_EERKSK_lbbbEUlllE0_EEPmJS9_EEE10hipError_tPvRmT3_T4_T5_T6_T7_T9_mT8_P12ihipStream_tbDpT10_ENKUlT_T0_E_clISt17integral_constantIbLb0EES1A_EEDaS15_S16_EUlS15_E_NS1_11comp_targetILNS1_3genE0ELNS1_11target_archE4294967295ELNS1_3gpuE0ELNS1_3repE0EEENS1_30default_config_static_selectorELNS0_4arch9wavefront6targetE1EEEvT1_, .Lfunc_end1083-_ZN7rocprim17ROCPRIM_400000_NS6detail17trampoline_kernelINS0_14default_configENS1_25partition_config_selectorILNS1_17partition_subalgoE9EllbEEZZNS1_14partition_implILS5_9ELb0ES3_jPlS8_PNS0_10empty_typeENS0_5tupleIJS8_S9_EEENSB_IJS8_SA_EEENS0_18inequality_wrapperIZN2at6native12_GLOBAL__N_124unique_dim_cuda_templateIbEESt5tupleIJNSF_6TensorESK_SK_EERKSK_lbbbEUlllE0_EEPmJS9_EEE10hipError_tPvRmT3_T4_T5_T6_T7_T9_mT8_P12ihipStream_tbDpT10_ENKUlT_T0_E_clISt17integral_constantIbLb0EES1A_EEDaS15_S16_EUlS15_E_NS1_11comp_targetILNS1_3genE0ELNS1_11target_archE4294967295ELNS1_3gpuE0ELNS1_3repE0EEENS1_30default_config_static_selectorELNS0_4arch9wavefront6targetE1EEEvT1_
                                        ; -- End function
	.set _ZN7rocprim17ROCPRIM_400000_NS6detail17trampoline_kernelINS0_14default_configENS1_25partition_config_selectorILNS1_17partition_subalgoE9EllbEEZZNS1_14partition_implILS5_9ELb0ES3_jPlS8_PNS0_10empty_typeENS0_5tupleIJS8_S9_EEENSB_IJS8_SA_EEENS0_18inequality_wrapperIZN2at6native12_GLOBAL__N_124unique_dim_cuda_templateIbEESt5tupleIJNSF_6TensorESK_SK_EERKSK_lbbbEUlllE0_EEPmJS9_EEE10hipError_tPvRmT3_T4_T5_T6_T7_T9_mT8_P12ihipStream_tbDpT10_ENKUlT_T0_E_clISt17integral_constantIbLb0EES1A_EEDaS15_S16_EUlS15_E_NS1_11comp_targetILNS1_3genE0ELNS1_11target_archE4294967295ELNS1_3gpuE0ELNS1_3repE0EEENS1_30default_config_static_selectorELNS0_4arch9wavefront6targetE1EEEvT1_.num_vgpr, 60
	.set _ZN7rocprim17ROCPRIM_400000_NS6detail17trampoline_kernelINS0_14default_configENS1_25partition_config_selectorILNS1_17partition_subalgoE9EllbEEZZNS1_14partition_implILS5_9ELb0ES3_jPlS8_PNS0_10empty_typeENS0_5tupleIJS8_S9_EEENSB_IJS8_SA_EEENS0_18inequality_wrapperIZN2at6native12_GLOBAL__N_124unique_dim_cuda_templateIbEESt5tupleIJNSF_6TensorESK_SK_EERKSK_lbbbEUlllE0_EEPmJS9_EEE10hipError_tPvRmT3_T4_T5_T6_T7_T9_mT8_P12ihipStream_tbDpT10_ENKUlT_T0_E_clISt17integral_constantIbLb0EES1A_EEDaS15_S16_EUlS15_E_NS1_11comp_targetILNS1_3genE0ELNS1_11target_archE4294967295ELNS1_3gpuE0ELNS1_3repE0EEENS1_30default_config_static_selectorELNS0_4arch9wavefront6targetE1EEEvT1_.num_agpr, 0
	.set _ZN7rocprim17ROCPRIM_400000_NS6detail17trampoline_kernelINS0_14default_configENS1_25partition_config_selectorILNS1_17partition_subalgoE9EllbEEZZNS1_14partition_implILS5_9ELb0ES3_jPlS8_PNS0_10empty_typeENS0_5tupleIJS8_S9_EEENSB_IJS8_SA_EEENS0_18inequality_wrapperIZN2at6native12_GLOBAL__N_124unique_dim_cuda_templateIbEESt5tupleIJNSF_6TensorESK_SK_EERKSK_lbbbEUlllE0_EEPmJS9_EEE10hipError_tPvRmT3_T4_T5_T6_T7_T9_mT8_P12ihipStream_tbDpT10_ENKUlT_T0_E_clISt17integral_constantIbLb0EES1A_EEDaS15_S16_EUlS15_E_NS1_11comp_targetILNS1_3genE0ELNS1_11target_archE4294967295ELNS1_3gpuE0ELNS1_3repE0EEENS1_30default_config_static_selectorELNS0_4arch9wavefront6targetE1EEEvT1_.numbered_sgpr, 46
	.set _ZN7rocprim17ROCPRIM_400000_NS6detail17trampoline_kernelINS0_14default_configENS1_25partition_config_selectorILNS1_17partition_subalgoE9EllbEEZZNS1_14partition_implILS5_9ELb0ES3_jPlS8_PNS0_10empty_typeENS0_5tupleIJS8_S9_EEENSB_IJS8_SA_EEENS0_18inequality_wrapperIZN2at6native12_GLOBAL__N_124unique_dim_cuda_templateIbEESt5tupleIJNSF_6TensorESK_SK_EERKSK_lbbbEUlllE0_EEPmJS9_EEE10hipError_tPvRmT3_T4_T5_T6_T7_T9_mT8_P12ihipStream_tbDpT10_ENKUlT_T0_E_clISt17integral_constantIbLb0EES1A_EEDaS15_S16_EUlS15_E_NS1_11comp_targetILNS1_3genE0ELNS1_11target_archE4294967295ELNS1_3gpuE0ELNS1_3repE0EEENS1_30default_config_static_selectorELNS0_4arch9wavefront6targetE1EEEvT1_.num_named_barrier, 0
	.set _ZN7rocprim17ROCPRIM_400000_NS6detail17trampoline_kernelINS0_14default_configENS1_25partition_config_selectorILNS1_17partition_subalgoE9EllbEEZZNS1_14partition_implILS5_9ELb0ES3_jPlS8_PNS0_10empty_typeENS0_5tupleIJS8_S9_EEENSB_IJS8_SA_EEENS0_18inequality_wrapperIZN2at6native12_GLOBAL__N_124unique_dim_cuda_templateIbEESt5tupleIJNSF_6TensorESK_SK_EERKSK_lbbbEUlllE0_EEPmJS9_EEE10hipError_tPvRmT3_T4_T5_T6_T7_T9_mT8_P12ihipStream_tbDpT10_ENKUlT_T0_E_clISt17integral_constantIbLb0EES1A_EEDaS15_S16_EUlS15_E_NS1_11comp_targetILNS1_3genE0ELNS1_11target_archE4294967295ELNS1_3gpuE0ELNS1_3repE0EEENS1_30default_config_static_selectorELNS0_4arch9wavefront6targetE1EEEvT1_.private_seg_size, 0
	.set _ZN7rocprim17ROCPRIM_400000_NS6detail17trampoline_kernelINS0_14default_configENS1_25partition_config_selectorILNS1_17partition_subalgoE9EllbEEZZNS1_14partition_implILS5_9ELb0ES3_jPlS8_PNS0_10empty_typeENS0_5tupleIJS8_S9_EEENSB_IJS8_SA_EEENS0_18inequality_wrapperIZN2at6native12_GLOBAL__N_124unique_dim_cuda_templateIbEESt5tupleIJNSF_6TensorESK_SK_EERKSK_lbbbEUlllE0_EEPmJS9_EEE10hipError_tPvRmT3_T4_T5_T6_T7_T9_mT8_P12ihipStream_tbDpT10_ENKUlT_T0_E_clISt17integral_constantIbLb0EES1A_EEDaS15_S16_EUlS15_E_NS1_11comp_targetILNS1_3genE0ELNS1_11target_archE4294967295ELNS1_3gpuE0ELNS1_3repE0EEENS1_30default_config_static_selectorELNS0_4arch9wavefront6targetE1EEEvT1_.uses_vcc, 1
	.set _ZN7rocprim17ROCPRIM_400000_NS6detail17trampoline_kernelINS0_14default_configENS1_25partition_config_selectorILNS1_17partition_subalgoE9EllbEEZZNS1_14partition_implILS5_9ELb0ES3_jPlS8_PNS0_10empty_typeENS0_5tupleIJS8_S9_EEENSB_IJS8_SA_EEENS0_18inequality_wrapperIZN2at6native12_GLOBAL__N_124unique_dim_cuda_templateIbEESt5tupleIJNSF_6TensorESK_SK_EERKSK_lbbbEUlllE0_EEPmJS9_EEE10hipError_tPvRmT3_T4_T5_T6_T7_T9_mT8_P12ihipStream_tbDpT10_ENKUlT_T0_E_clISt17integral_constantIbLb0EES1A_EEDaS15_S16_EUlS15_E_NS1_11comp_targetILNS1_3genE0ELNS1_11target_archE4294967295ELNS1_3gpuE0ELNS1_3repE0EEENS1_30default_config_static_selectorELNS0_4arch9wavefront6targetE1EEEvT1_.uses_flat_scratch, 0
	.set _ZN7rocprim17ROCPRIM_400000_NS6detail17trampoline_kernelINS0_14default_configENS1_25partition_config_selectorILNS1_17partition_subalgoE9EllbEEZZNS1_14partition_implILS5_9ELb0ES3_jPlS8_PNS0_10empty_typeENS0_5tupleIJS8_S9_EEENSB_IJS8_SA_EEENS0_18inequality_wrapperIZN2at6native12_GLOBAL__N_124unique_dim_cuda_templateIbEESt5tupleIJNSF_6TensorESK_SK_EERKSK_lbbbEUlllE0_EEPmJS9_EEE10hipError_tPvRmT3_T4_T5_T6_T7_T9_mT8_P12ihipStream_tbDpT10_ENKUlT_T0_E_clISt17integral_constantIbLb0EES1A_EEDaS15_S16_EUlS15_E_NS1_11comp_targetILNS1_3genE0ELNS1_11target_archE4294967295ELNS1_3gpuE0ELNS1_3repE0EEENS1_30default_config_static_selectorELNS0_4arch9wavefront6targetE1EEEvT1_.has_dyn_sized_stack, 0
	.set _ZN7rocprim17ROCPRIM_400000_NS6detail17trampoline_kernelINS0_14default_configENS1_25partition_config_selectorILNS1_17partition_subalgoE9EllbEEZZNS1_14partition_implILS5_9ELb0ES3_jPlS8_PNS0_10empty_typeENS0_5tupleIJS8_S9_EEENSB_IJS8_SA_EEENS0_18inequality_wrapperIZN2at6native12_GLOBAL__N_124unique_dim_cuda_templateIbEESt5tupleIJNSF_6TensorESK_SK_EERKSK_lbbbEUlllE0_EEPmJS9_EEE10hipError_tPvRmT3_T4_T5_T6_T7_T9_mT8_P12ihipStream_tbDpT10_ENKUlT_T0_E_clISt17integral_constantIbLb0EES1A_EEDaS15_S16_EUlS15_E_NS1_11comp_targetILNS1_3genE0ELNS1_11target_archE4294967295ELNS1_3gpuE0ELNS1_3repE0EEENS1_30default_config_static_selectorELNS0_4arch9wavefront6targetE1EEEvT1_.has_recursion, 0
	.set _ZN7rocprim17ROCPRIM_400000_NS6detail17trampoline_kernelINS0_14default_configENS1_25partition_config_selectorILNS1_17partition_subalgoE9EllbEEZZNS1_14partition_implILS5_9ELb0ES3_jPlS8_PNS0_10empty_typeENS0_5tupleIJS8_S9_EEENSB_IJS8_SA_EEENS0_18inequality_wrapperIZN2at6native12_GLOBAL__N_124unique_dim_cuda_templateIbEESt5tupleIJNSF_6TensorESK_SK_EERKSK_lbbbEUlllE0_EEPmJS9_EEE10hipError_tPvRmT3_T4_T5_T6_T7_T9_mT8_P12ihipStream_tbDpT10_ENKUlT_T0_E_clISt17integral_constantIbLb0EES1A_EEDaS15_S16_EUlS15_E_NS1_11comp_targetILNS1_3genE0ELNS1_11target_archE4294967295ELNS1_3gpuE0ELNS1_3repE0EEENS1_30default_config_static_selectorELNS0_4arch9wavefront6targetE1EEEvT1_.has_indirect_call, 0
	.section	.AMDGPU.csdata,"",@progbits
; Kernel info:
; codeLenInByte = 9216
; TotalNumSgprs: 52
; NumVgprs: 60
; NumAgprs: 0
; TotalNumVgprs: 60
; ScratchSize: 0
; MemoryBound: 0
; FloatMode: 240
; IeeeMode: 1
; LDSByteSize: 5128 bytes/workgroup (compile time only)
; SGPRBlocks: 6
; VGPRBlocks: 7
; NumSGPRsForWavesPerEU: 52
; NumVGPRsForWavesPerEU: 60
; AccumOffset: 60
; Occupancy: 8
; WaveLimiterHint : 1
; COMPUTE_PGM_RSRC2:SCRATCH_EN: 0
; COMPUTE_PGM_RSRC2:USER_SGPR: 2
; COMPUTE_PGM_RSRC2:TRAP_HANDLER: 0
; COMPUTE_PGM_RSRC2:TGID_X_EN: 1
; COMPUTE_PGM_RSRC2:TGID_Y_EN: 0
; COMPUTE_PGM_RSRC2:TGID_Z_EN: 0
; COMPUTE_PGM_RSRC2:TIDIG_COMP_CNT: 0
; COMPUTE_PGM_RSRC3_GFX90A:ACCUM_OFFSET: 14
; COMPUTE_PGM_RSRC3_GFX90A:TG_SPLIT: 0
	.section	.text._ZN7rocprim17ROCPRIM_400000_NS6detail17trampoline_kernelINS0_14default_configENS1_25partition_config_selectorILNS1_17partition_subalgoE9EllbEEZZNS1_14partition_implILS5_9ELb0ES3_jPlS8_PNS0_10empty_typeENS0_5tupleIJS8_S9_EEENSB_IJS8_SA_EEENS0_18inequality_wrapperIZN2at6native12_GLOBAL__N_124unique_dim_cuda_templateIbEESt5tupleIJNSF_6TensorESK_SK_EERKSK_lbbbEUlllE0_EEPmJS9_EEE10hipError_tPvRmT3_T4_T5_T6_T7_T9_mT8_P12ihipStream_tbDpT10_ENKUlT_T0_E_clISt17integral_constantIbLb0EES1A_EEDaS15_S16_EUlS15_E_NS1_11comp_targetILNS1_3genE5ELNS1_11target_archE942ELNS1_3gpuE9ELNS1_3repE0EEENS1_30default_config_static_selectorELNS0_4arch9wavefront6targetE1EEEvT1_,"axG",@progbits,_ZN7rocprim17ROCPRIM_400000_NS6detail17trampoline_kernelINS0_14default_configENS1_25partition_config_selectorILNS1_17partition_subalgoE9EllbEEZZNS1_14partition_implILS5_9ELb0ES3_jPlS8_PNS0_10empty_typeENS0_5tupleIJS8_S9_EEENSB_IJS8_SA_EEENS0_18inequality_wrapperIZN2at6native12_GLOBAL__N_124unique_dim_cuda_templateIbEESt5tupleIJNSF_6TensorESK_SK_EERKSK_lbbbEUlllE0_EEPmJS9_EEE10hipError_tPvRmT3_T4_T5_T6_T7_T9_mT8_P12ihipStream_tbDpT10_ENKUlT_T0_E_clISt17integral_constantIbLb0EES1A_EEDaS15_S16_EUlS15_E_NS1_11comp_targetILNS1_3genE5ELNS1_11target_archE942ELNS1_3gpuE9ELNS1_3repE0EEENS1_30default_config_static_selectorELNS0_4arch9wavefront6targetE1EEEvT1_,comdat
	.globl	_ZN7rocprim17ROCPRIM_400000_NS6detail17trampoline_kernelINS0_14default_configENS1_25partition_config_selectorILNS1_17partition_subalgoE9EllbEEZZNS1_14partition_implILS5_9ELb0ES3_jPlS8_PNS0_10empty_typeENS0_5tupleIJS8_S9_EEENSB_IJS8_SA_EEENS0_18inequality_wrapperIZN2at6native12_GLOBAL__N_124unique_dim_cuda_templateIbEESt5tupleIJNSF_6TensorESK_SK_EERKSK_lbbbEUlllE0_EEPmJS9_EEE10hipError_tPvRmT3_T4_T5_T6_T7_T9_mT8_P12ihipStream_tbDpT10_ENKUlT_T0_E_clISt17integral_constantIbLb0EES1A_EEDaS15_S16_EUlS15_E_NS1_11comp_targetILNS1_3genE5ELNS1_11target_archE942ELNS1_3gpuE9ELNS1_3repE0EEENS1_30default_config_static_selectorELNS0_4arch9wavefront6targetE1EEEvT1_ ; -- Begin function _ZN7rocprim17ROCPRIM_400000_NS6detail17trampoline_kernelINS0_14default_configENS1_25partition_config_selectorILNS1_17partition_subalgoE9EllbEEZZNS1_14partition_implILS5_9ELb0ES3_jPlS8_PNS0_10empty_typeENS0_5tupleIJS8_S9_EEENSB_IJS8_SA_EEENS0_18inequality_wrapperIZN2at6native12_GLOBAL__N_124unique_dim_cuda_templateIbEESt5tupleIJNSF_6TensorESK_SK_EERKSK_lbbbEUlllE0_EEPmJS9_EEE10hipError_tPvRmT3_T4_T5_T6_T7_T9_mT8_P12ihipStream_tbDpT10_ENKUlT_T0_E_clISt17integral_constantIbLb0EES1A_EEDaS15_S16_EUlS15_E_NS1_11comp_targetILNS1_3genE5ELNS1_11target_archE942ELNS1_3gpuE9ELNS1_3repE0EEENS1_30default_config_static_selectorELNS0_4arch9wavefront6targetE1EEEvT1_
	.p2align	8
	.type	_ZN7rocprim17ROCPRIM_400000_NS6detail17trampoline_kernelINS0_14default_configENS1_25partition_config_selectorILNS1_17partition_subalgoE9EllbEEZZNS1_14partition_implILS5_9ELb0ES3_jPlS8_PNS0_10empty_typeENS0_5tupleIJS8_S9_EEENSB_IJS8_SA_EEENS0_18inequality_wrapperIZN2at6native12_GLOBAL__N_124unique_dim_cuda_templateIbEESt5tupleIJNSF_6TensorESK_SK_EERKSK_lbbbEUlllE0_EEPmJS9_EEE10hipError_tPvRmT3_T4_T5_T6_T7_T9_mT8_P12ihipStream_tbDpT10_ENKUlT_T0_E_clISt17integral_constantIbLb0EES1A_EEDaS15_S16_EUlS15_E_NS1_11comp_targetILNS1_3genE5ELNS1_11target_archE942ELNS1_3gpuE9ELNS1_3repE0EEENS1_30default_config_static_selectorELNS0_4arch9wavefront6targetE1EEEvT1_,@function
_ZN7rocprim17ROCPRIM_400000_NS6detail17trampoline_kernelINS0_14default_configENS1_25partition_config_selectorILNS1_17partition_subalgoE9EllbEEZZNS1_14partition_implILS5_9ELb0ES3_jPlS8_PNS0_10empty_typeENS0_5tupleIJS8_S9_EEENSB_IJS8_SA_EEENS0_18inequality_wrapperIZN2at6native12_GLOBAL__N_124unique_dim_cuda_templateIbEESt5tupleIJNSF_6TensorESK_SK_EERKSK_lbbbEUlllE0_EEPmJS9_EEE10hipError_tPvRmT3_T4_T5_T6_T7_T9_mT8_P12ihipStream_tbDpT10_ENKUlT_T0_E_clISt17integral_constantIbLb0EES1A_EEDaS15_S16_EUlS15_E_NS1_11comp_targetILNS1_3genE5ELNS1_11target_archE942ELNS1_3gpuE9ELNS1_3repE0EEENS1_30default_config_static_selectorELNS0_4arch9wavefront6targetE1EEEvT1_: ; @_ZN7rocprim17ROCPRIM_400000_NS6detail17trampoline_kernelINS0_14default_configENS1_25partition_config_selectorILNS1_17partition_subalgoE9EllbEEZZNS1_14partition_implILS5_9ELb0ES3_jPlS8_PNS0_10empty_typeENS0_5tupleIJS8_S9_EEENSB_IJS8_SA_EEENS0_18inequality_wrapperIZN2at6native12_GLOBAL__N_124unique_dim_cuda_templateIbEESt5tupleIJNSF_6TensorESK_SK_EERKSK_lbbbEUlllE0_EEPmJS9_EEE10hipError_tPvRmT3_T4_T5_T6_T7_T9_mT8_P12ihipStream_tbDpT10_ENKUlT_T0_E_clISt17integral_constantIbLb0EES1A_EEDaS15_S16_EUlS15_E_NS1_11comp_targetILNS1_3genE5ELNS1_11target_archE942ELNS1_3gpuE9ELNS1_3repE0EEENS1_30default_config_static_selectorELNS0_4arch9wavefront6targetE1EEEvT1_
; %bb.0:
	.section	.rodata,"a",@progbits
	.p2align	6, 0x0
	.amdhsa_kernel _ZN7rocprim17ROCPRIM_400000_NS6detail17trampoline_kernelINS0_14default_configENS1_25partition_config_selectorILNS1_17partition_subalgoE9EllbEEZZNS1_14partition_implILS5_9ELb0ES3_jPlS8_PNS0_10empty_typeENS0_5tupleIJS8_S9_EEENSB_IJS8_SA_EEENS0_18inequality_wrapperIZN2at6native12_GLOBAL__N_124unique_dim_cuda_templateIbEESt5tupleIJNSF_6TensorESK_SK_EERKSK_lbbbEUlllE0_EEPmJS9_EEE10hipError_tPvRmT3_T4_T5_T6_T7_T9_mT8_P12ihipStream_tbDpT10_ENKUlT_T0_E_clISt17integral_constantIbLb0EES1A_EEDaS15_S16_EUlS15_E_NS1_11comp_targetILNS1_3genE5ELNS1_11target_archE942ELNS1_3gpuE9ELNS1_3repE0EEENS1_30default_config_static_selectorELNS0_4arch9wavefront6targetE1EEEvT1_
		.amdhsa_group_segment_fixed_size 0
		.amdhsa_private_segment_fixed_size 0
		.amdhsa_kernarg_size 120
		.amdhsa_user_sgpr_count 2
		.amdhsa_user_sgpr_dispatch_ptr 0
		.amdhsa_user_sgpr_queue_ptr 0
		.amdhsa_user_sgpr_kernarg_segment_ptr 1
		.amdhsa_user_sgpr_dispatch_id 0
		.amdhsa_user_sgpr_kernarg_preload_length 0
		.amdhsa_user_sgpr_kernarg_preload_offset 0
		.amdhsa_user_sgpr_private_segment_size 0
		.amdhsa_uses_dynamic_stack 0
		.amdhsa_enable_private_segment 0
		.amdhsa_system_sgpr_workgroup_id_x 1
		.amdhsa_system_sgpr_workgroup_id_y 0
		.amdhsa_system_sgpr_workgroup_id_z 0
		.amdhsa_system_sgpr_workgroup_info 0
		.amdhsa_system_vgpr_workitem_id 0
		.amdhsa_next_free_vgpr 1
		.amdhsa_next_free_sgpr 0
		.amdhsa_accum_offset 4
		.amdhsa_reserve_vcc 0
		.amdhsa_float_round_mode_32 0
		.amdhsa_float_round_mode_16_64 0
		.amdhsa_float_denorm_mode_32 3
		.amdhsa_float_denorm_mode_16_64 3
		.amdhsa_dx10_clamp 1
		.amdhsa_ieee_mode 1
		.amdhsa_fp16_overflow 0
		.amdhsa_tg_split 0
		.amdhsa_exception_fp_ieee_invalid_op 0
		.amdhsa_exception_fp_denorm_src 0
		.amdhsa_exception_fp_ieee_div_zero 0
		.amdhsa_exception_fp_ieee_overflow 0
		.amdhsa_exception_fp_ieee_underflow 0
		.amdhsa_exception_fp_ieee_inexact 0
		.amdhsa_exception_int_div_zero 0
	.end_amdhsa_kernel
	.section	.text._ZN7rocprim17ROCPRIM_400000_NS6detail17trampoline_kernelINS0_14default_configENS1_25partition_config_selectorILNS1_17partition_subalgoE9EllbEEZZNS1_14partition_implILS5_9ELb0ES3_jPlS8_PNS0_10empty_typeENS0_5tupleIJS8_S9_EEENSB_IJS8_SA_EEENS0_18inequality_wrapperIZN2at6native12_GLOBAL__N_124unique_dim_cuda_templateIbEESt5tupleIJNSF_6TensorESK_SK_EERKSK_lbbbEUlllE0_EEPmJS9_EEE10hipError_tPvRmT3_T4_T5_T6_T7_T9_mT8_P12ihipStream_tbDpT10_ENKUlT_T0_E_clISt17integral_constantIbLb0EES1A_EEDaS15_S16_EUlS15_E_NS1_11comp_targetILNS1_3genE5ELNS1_11target_archE942ELNS1_3gpuE9ELNS1_3repE0EEENS1_30default_config_static_selectorELNS0_4arch9wavefront6targetE1EEEvT1_,"axG",@progbits,_ZN7rocprim17ROCPRIM_400000_NS6detail17trampoline_kernelINS0_14default_configENS1_25partition_config_selectorILNS1_17partition_subalgoE9EllbEEZZNS1_14partition_implILS5_9ELb0ES3_jPlS8_PNS0_10empty_typeENS0_5tupleIJS8_S9_EEENSB_IJS8_SA_EEENS0_18inequality_wrapperIZN2at6native12_GLOBAL__N_124unique_dim_cuda_templateIbEESt5tupleIJNSF_6TensorESK_SK_EERKSK_lbbbEUlllE0_EEPmJS9_EEE10hipError_tPvRmT3_T4_T5_T6_T7_T9_mT8_P12ihipStream_tbDpT10_ENKUlT_T0_E_clISt17integral_constantIbLb0EES1A_EEDaS15_S16_EUlS15_E_NS1_11comp_targetILNS1_3genE5ELNS1_11target_archE942ELNS1_3gpuE9ELNS1_3repE0EEENS1_30default_config_static_selectorELNS0_4arch9wavefront6targetE1EEEvT1_,comdat
.Lfunc_end1084:
	.size	_ZN7rocprim17ROCPRIM_400000_NS6detail17trampoline_kernelINS0_14default_configENS1_25partition_config_selectorILNS1_17partition_subalgoE9EllbEEZZNS1_14partition_implILS5_9ELb0ES3_jPlS8_PNS0_10empty_typeENS0_5tupleIJS8_S9_EEENSB_IJS8_SA_EEENS0_18inequality_wrapperIZN2at6native12_GLOBAL__N_124unique_dim_cuda_templateIbEESt5tupleIJNSF_6TensorESK_SK_EERKSK_lbbbEUlllE0_EEPmJS9_EEE10hipError_tPvRmT3_T4_T5_T6_T7_T9_mT8_P12ihipStream_tbDpT10_ENKUlT_T0_E_clISt17integral_constantIbLb0EES1A_EEDaS15_S16_EUlS15_E_NS1_11comp_targetILNS1_3genE5ELNS1_11target_archE942ELNS1_3gpuE9ELNS1_3repE0EEENS1_30default_config_static_selectorELNS0_4arch9wavefront6targetE1EEEvT1_, .Lfunc_end1084-_ZN7rocprim17ROCPRIM_400000_NS6detail17trampoline_kernelINS0_14default_configENS1_25partition_config_selectorILNS1_17partition_subalgoE9EllbEEZZNS1_14partition_implILS5_9ELb0ES3_jPlS8_PNS0_10empty_typeENS0_5tupleIJS8_S9_EEENSB_IJS8_SA_EEENS0_18inequality_wrapperIZN2at6native12_GLOBAL__N_124unique_dim_cuda_templateIbEESt5tupleIJNSF_6TensorESK_SK_EERKSK_lbbbEUlllE0_EEPmJS9_EEE10hipError_tPvRmT3_T4_T5_T6_T7_T9_mT8_P12ihipStream_tbDpT10_ENKUlT_T0_E_clISt17integral_constantIbLb0EES1A_EEDaS15_S16_EUlS15_E_NS1_11comp_targetILNS1_3genE5ELNS1_11target_archE942ELNS1_3gpuE9ELNS1_3repE0EEENS1_30default_config_static_selectorELNS0_4arch9wavefront6targetE1EEEvT1_
                                        ; -- End function
	.set _ZN7rocprim17ROCPRIM_400000_NS6detail17trampoline_kernelINS0_14default_configENS1_25partition_config_selectorILNS1_17partition_subalgoE9EllbEEZZNS1_14partition_implILS5_9ELb0ES3_jPlS8_PNS0_10empty_typeENS0_5tupleIJS8_S9_EEENSB_IJS8_SA_EEENS0_18inequality_wrapperIZN2at6native12_GLOBAL__N_124unique_dim_cuda_templateIbEESt5tupleIJNSF_6TensorESK_SK_EERKSK_lbbbEUlllE0_EEPmJS9_EEE10hipError_tPvRmT3_T4_T5_T6_T7_T9_mT8_P12ihipStream_tbDpT10_ENKUlT_T0_E_clISt17integral_constantIbLb0EES1A_EEDaS15_S16_EUlS15_E_NS1_11comp_targetILNS1_3genE5ELNS1_11target_archE942ELNS1_3gpuE9ELNS1_3repE0EEENS1_30default_config_static_selectorELNS0_4arch9wavefront6targetE1EEEvT1_.num_vgpr, 0
	.set _ZN7rocprim17ROCPRIM_400000_NS6detail17trampoline_kernelINS0_14default_configENS1_25partition_config_selectorILNS1_17partition_subalgoE9EllbEEZZNS1_14partition_implILS5_9ELb0ES3_jPlS8_PNS0_10empty_typeENS0_5tupleIJS8_S9_EEENSB_IJS8_SA_EEENS0_18inequality_wrapperIZN2at6native12_GLOBAL__N_124unique_dim_cuda_templateIbEESt5tupleIJNSF_6TensorESK_SK_EERKSK_lbbbEUlllE0_EEPmJS9_EEE10hipError_tPvRmT3_T4_T5_T6_T7_T9_mT8_P12ihipStream_tbDpT10_ENKUlT_T0_E_clISt17integral_constantIbLb0EES1A_EEDaS15_S16_EUlS15_E_NS1_11comp_targetILNS1_3genE5ELNS1_11target_archE942ELNS1_3gpuE9ELNS1_3repE0EEENS1_30default_config_static_selectorELNS0_4arch9wavefront6targetE1EEEvT1_.num_agpr, 0
	.set _ZN7rocprim17ROCPRIM_400000_NS6detail17trampoline_kernelINS0_14default_configENS1_25partition_config_selectorILNS1_17partition_subalgoE9EllbEEZZNS1_14partition_implILS5_9ELb0ES3_jPlS8_PNS0_10empty_typeENS0_5tupleIJS8_S9_EEENSB_IJS8_SA_EEENS0_18inequality_wrapperIZN2at6native12_GLOBAL__N_124unique_dim_cuda_templateIbEESt5tupleIJNSF_6TensorESK_SK_EERKSK_lbbbEUlllE0_EEPmJS9_EEE10hipError_tPvRmT3_T4_T5_T6_T7_T9_mT8_P12ihipStream_tbDpT10_ENKUlT_T0_E_clISt17integral_constantIbLb0EES1A_EEDaS15_S16_EUlS15_E_NS1_11comp_targetILNS1_3genE5ELNS1_11target_archE942ELNS1_3gpuE9ELNS1_3repE0EEENS1_30default_config_static_selectorELNS0_4arch9wavefront6targetE1EEEvT1_.numbered_sgpr, 0
	.set _ZN7rocprim17ROCPRIM_400000_NS6detail17trampoline_kernelINS0_14default_configENS1_25partition_config_selectorILNS1_17partition_subalgoE9EllbEEZZNS1_14partition_implILS5_9ELb0ES3_jPlS8_PNS0_10empty_typeENS0_5tupleIJS8_S9_EEENSB_IJS8_SA_EEENS0_18inequality_wrapperIZN2at6native12_GLOBAL__N_124unique_dim_cuda_templateIbEESt5tupleIJNSF_6TensorESK_SK_EERKSK_lbbbEUlllE0_EEPmJS9_EEE10hipError_tPvRmT3_T4_T5_T6_T7_T9_mT8_P12ihipStream_tbDpT10_ENKUlT_T0_E_clISt17integral_constantIbLb0EES1A_EEDaS15_S16_EUlS15_E_NS1_11comp_targetILNS1_3genE5ELNS1_11target_archE942ELNS1_3gpuE9ELNS1_3repE0EEENS1_30default_config_static_selectorELNS0_4arch9wavefront6targetE1EEEvT1_.num_named_barrier, 0
	.set _ZN7rocprim17ROCPRIM_400000_NS6detail17trampoline_kernelINS0_14default_configENS1_25partition_config_selectorILNS1_17partition_subalgoE9EllbEEZZNS1_14partition_implILS5_9ELb0ES3_jPlS8_PNS0_10empty_typeENS0_5tupleIJS8_S9_EEENSB_IJS8_SA_EEENS0_18inequality_wrapperIZN2at6native12_GLOBAL__N_124unique_dim_cuda_templateIbEESt5tupleIJNSF_6TensorESK_SK_EERKSK_lbbbEUlllE0_EEPmJS9_EEE10hipError_tPvRmT3_T4_T5_T6_T7_T9_mT8_P12ihipStream_tbDpT10_ENKUlT_T0_E_clISt17integral_constantIbLb0EES1A_EEDaS15_S16_EUlS15_E_NS1_11comp_targetILNS1_3genE5ELNS1_11target_archE942ELNS1_3gpuE9ELNS1_3repE0EEENS1_30default_config_static_selectorELNS0_4arch9wavefront6targetE1EEEvT1_.private_seg_size, 0
	.set _ZN7rocprim17ROCPRIM_400000_NS6detail17trampoline_kernelINS0_14default_configENS1_25partition_config_selectorILNS1_17partition_subalgoE9EllbEEZZNS1_14partition_implILS5_9ELb0ES3_jPlS8_PNS0_10empty_typeENS0_5tupleIJS8_S9_EEENSB_IJS8_SA_EEENS0_18inequality_wrapperIZN2at6native12_GLOBAL__N_124unique_dim_cuda_templateIbEESt5tupleIJNSF_6TensorESK_SK_EERKSK_lbbbEUlllE0_EEPmJS9_EEE10hipError_tPvRmT3_T4_T5_T6_T7_T9_mT8_P12ihipStream_tbDpT10_ENKUlT_T0_E_clISt17integral_constantIbLb0EES1A_EEDaS15_S16_EUlS15_E_NS1_11comp_targetILNS1_3genE5ELNS1_11target_archE942ELNS1_3gpuE9ELNS1_3repE0EEENS1_30default_config_static_selectorELNS0_4arch9wavefront6targetE1EEEvT1_.uses_vcc, 0
	.set _ZN7rocprim17ROCPRIM_400000_NS6detail17trampoline_kernelINS0_14default_configENS1_25partition_config_selectorILNS1_17partition_subalgoE9EllbEEZZNS1_14partition_implILS5_9ELb0ES3_jPlS8_PNS0_10empty_typeENS0_5tupleIJS8_S9_EEENSB_IJS8_SA_EEENS0_18inequality_wrapperIZN2at6native12_GLOBAL__N_124unique_dim_cuda_templateIbEESt5tupleIJNSF_6TensorESK_SK_EERKSK_lbbbEUlllE0_EEPmJS9_EEE10hipError_tPvRmT3_T4_T5_T6_T7_T9_mT8_P12ihipStream_tbDpT10_ENKUlT_T0_E_clISt17integral_constantIbLb0EES1A_EEDaS15_S16_EUlS15_E_NS1_11comp_targetILNS1_3genE5ELNS1_11target_archE942ELNS1_3gpuE9ELNS1_3repE0EEENS1_30default_config_static_selectorELNS0_4arch9wavefront6targetE1EEEvT1_.uses_flat_scratch, 0
	.set _ZN7rocprim17ROCPRIM_400000_NS6detail17trampoline_kernelINS0_14default_configENS1_25partition_config_selectorILNS1_17partition_subalgoE9EllbEEZZNS1_14partition_implILS5_9ELb0ES3_jPlS8_PNS0_10empty_typeENS0_5tupleIJS8_S9_EEENSB_IJS8_SA_EEENS0_18inequality_wrapperIZN2at6native12_GLOBAL__N_124unique_dim_cuda_templateIbEESt5tupleIJNSF_6TensorESK_SK_EERKSK_lbbbEUlllE0_EEPmJS9_EEE10hipError_tPvRmT3_T4_T5_T6_T7_T9_mT8_P12ihipStream_tbDpT10_ENKUlT_T0_E_clISt17integral_constantIbLb0EES1A_EEDaS15_S16_EUlS15_E_NS1_11comp_targetILNS1_3genE5ELNS1_11target_archE942ELNS1_3gpuE9ELNS1_3repE0EEENS1_30default_config_static_selectorELNS0_4arch9wavefront6targetE1EEEvT1_.has_dyn_sized_stack, 0
	.set _ZN7rocprim17ROCPRIM_400000_NS6detail17trampoline_kernelINS0_14default_configENS1_25partition_config_selectorILNS1_17partition_subalgoE9EllbEEZZNS1_14partition_implILS5_9ELb0ES3_jPlS8_PNS0_10empty_typeENS0_5tupleIJS8_S9_EEENSB_IJS8_SA_EEENS0_18inequality_wrapperIZN2at6native12_GLOBAL__N_124unique_dim_cuda_templateIbEESt5tupleIJNSF_6TensorESK_SK_EERKSK_lbbbEUlllE0_EEPmJS9_EEE10hipError_tPvRmT3_T4_T5_T6_T7_T9_mT8_P12ihipStream_tbDpT10_ENKUlT_T0_E_clISt17integral_constantIbLb0EES1A_EEDaS15_S16_EUlS15_E_NS1_11comp_targetILNS1_3genE5ELNS1_11target_archE942ELNS1_3gpuE9ELNS1_3repE0EEENS1_30default_config_static_selectorELNS0_4arch9wavefront6targetE1EEEvT1_.has_recursion, 0
	.set _ZN7rocprim17ROCPRIM_400000_NS6detail17trampoline_kernelINS0_14default_configENS1_25partition_config_selectorILNS1_17partition_subalgoE9EllbEEZZNS1_14partition_implILS5_9ELb0ES3_jPlS8_PNS0_10empty_typeENS0_5tupleIJS8_S9_EEENSB_IJS8_SA_EEENS0_18inequality_wrapperIZN2at6native12_GLOBAL__N_124unique_dim_cuda_templateIbEESt5tupleIJNSF_6TensorESK_SK_EERKSK_lbbbEUlllE0_EEPmJS9_EEE10hipError_tPvRmT3_T4_T5_T6_T7_T9_mT8_P12ihipStream_tbDpT10_ENKUlT_T0_E_clISt17integral_constantIbLb0EES1A_EEDaS15_S16_EUlS15_E_NS1_11comp_targetILNS1_3genE5ELNS1_11target_archE942ELNS1_3gpuE9ELNS1_3repE0EEENS1_30default_config_static_selectorELNS0_4arch9wavefront6targetE1EEEvT1_.has_indirect_call, 0
	.section	.AMDGPU.csdata,"",@progbits
; Kernel info:
; codeLenInByte = 0
; TotalNumSgprs: 6
; NumVgprs: 0
; NumAgprs: 0
; TotalNumVgprs: 0
; ScratchSize: 0
; MemoryBound: 0
; FloatMode: 240
; IeeeMode: 1
; LDSByteSize: 0 bytes/workgroup (compile time only)
; SGPRBlocks: 0
; VGPRBlocks: 0
; NumSGPRsForWavesPerEU: 6
; NumVGPRsForWavesPerEU: 1
; AccumOffset: 4
; Occupancy: 8
; WaveLimiterHint : 0
; COMPUTE_PGM_RSRC2:SCRATCH_EN: 0
; COMPUTE_PGM_RSRC2:USER_SGPR: 2
; COMPUTE_PGM_RSRC2:TRAP_HANDLER: 0
; COMPUTE_PGM_RSRC2:TGID_X_EN: 1
; COMPUTE_PGM_RSRC2:TGID_Y_EN: 0
; COMPUTE_PGM_RSRC2:TGID_Z_EN: 0
; COMPUTE_PGM_RSRC2:TIDIG_COMP_CNT: 0
; COMPUTE_PGM_RSRC3_GFX90A:ACCUM_OFFSET: 0
; COMPUTE_PGM_RSRC3_GFX90A:TG_SPLIT: 0
	.section	.text._ZN7rocprim17ROCPRIM_400000_NS6detail17trampoline_kernelINS0_14default_configENS1_25partition_config_selectorILNS1_17partition_subalgoE9EllbEEZZNS1_14partition_implILS5_9ELb0ES3_jPlS8_PNS0_10empty_typeENS0_5tupleIJS8_S9_EEENSB_IJS8_SA_EEENS0_18inequality_wrapperIZN2at6native12_GLOBAL__N_124unique_dim_cuda_templateIbEESt5tupleIJNSF_6TensorESK_SK_EERKSK_lbbbEUlllE0_EEPmJS9_EEE10hipError_tPvRmT3_T4_T5_T6_T7_T9_mT8_P12ihipStream_tbDpT10_ENKUlT_T0_E_clISt17integral_constantIbLb0EES1A_EEDaS15_S16_EUlS15_E_NS1_11comp_targetILNS1_3genE4ELNS1_11target_archE910ELNS1_3gpuE8ELNS1_3repE0EEENS1_30default_config_static_selectorELNS0_4arch9wavefront6targetE1EEEvT1_,"axG",@progbits,_ZN7rocprim17ROCPRIM_400000_NS6detail17trampoline_kernelINS0_14default_configENS1_25partition_config_selectorILNS1_17partition_subalgoE9EllbEEZZNS1_14partition_implILS5_9ELb0ES3_jPlS8_PNS0_10empty_typeENS0_5tupleIJS8_S9_EEENSB_IJS8_SA_EEENS0_18inequality_wrapperIZN2at6native12_GLOBAL__N_124unique_dim_cuda_templateIbEESt5tupleIJNSF_6TensorESK_SK_EERKSK_lbbbEUlllE0_EEPmJS9_EEE10hipError_tPvRmT3_T4_T5_T6_T7_T9_mT8_P12ihipStream_tbDpT10_ENKUlT_T0_E_clISt17integral_constantIbLb0EES1A_EEDaS15_S16_EUlS15_E_NS1_11comp_targetILNS1_3genE4ELNS1_11target_archE910ELNS1_3gpuE8ELNS1_3repE0EEENS1_30default_config_static_selectorELNS0_4arch9wavefront6targetE1EEEvT1_,comdat
	.globl	_ZN7rocprim17ROCPRIM_400000_NS6detail17trampoline_kernelINS0_14default_configENS1_25partition_config_selectorILNS1_17partition_subalgoE9EllbEEZZNS1_14partition_implILS5_9ELb0ES3_jPlS8_PNS0_10empty_typeENS0_5tupleIJS8_S9_EEENSB_IJS8_SA_EEENS0_18inequality_wrapperIZN2at6native12_GLOBAL__N_124unique_dim_cuda_templateIbEESt5tupleIJNSF_6TensorESK_SK_EERKSK_lbbbEUlllE0_EEPmJS9_EEE10hipError_tPvRmT3_T4_T5_T6_T7_T9_mT8_P12ihipStream_tbDpT10_ENKUlT_T0_E_clISt17integral_constantIbLb0EES1A_EEDaS15_S16_EUlS15_E_NS1_11comp_targetILNS1_3genE4ELNS1_11target_archE910ELNS1_3gpuE8ELNS1_3repE0EEENS1_30default_config_static_selectorELNS0_4arch9wavefront6targetE1EEEvT1_ ; -- Begin function _ZN7rocprim17ROCPRIM_400000_NS6detail17trampoline_kernelINS0_14default_configENS1_25partition_config_selectorILNS1_17partition_subalgoE9EllbEEZZNS1_14partition_implILS5_9ELb0ES3_jPlS8_PNS0_10empty_typeENS0_5tupleIJS8_S9_EEENSB_IJS8_SA_EEENS0_18inequality_wrapperIZN2at6native12_GLOBAL__N_124unique_dim_cuda_templateIbEESt5tupleIJNSF_6TensorESK_SK_EERKSK_lbbbEUlllE0_EEPmJS9_EEE10hipError_tPvRmT3_T4_T5_T6_T7_T9_mT8_P12ihipStream_tbDpT10_ENKUlT_T0_E_clISt17integral_constantIbLb0EES1A_EEDaS15_S16_EUlS15_E_NS1_11comp_targetILNS1_3genE4ELNS1_11target_archE910ELNS1_3gpuE8ELNS1_3repE0EEENS1_30default_config_static_selectorELNS0_4arch9wavefront6targetE1EEEvT1_
	.p2align	8
	.type	_ZN7rocprim17ROCPRIM_400000_NS6detail17trampoline_kernelINS0_14default_configENS1_25partition_config_selectorILNS1_17partition_subalgoE9EllbEEZZNS1_14partition_implILS5_9ELb0ES3_jPlS8_PNS0_10empty_typeENS0_5tupleIJS8_S9_EEENSB_IJS8_SA_EEENS0_18inequality_wrapperIZN2at6native12_GLOBAL__N_124unique_dim_cuda_templateIbEESt5tupleIJNSF_6TensorESK_SK_EERKSK_lbbbEUlllE0_EEPmJS9_EEE10hipError_tPvRmT3_T4_T5_T6_T7_T9_mT8_P12ihipStream_tbDpT10_ENKUlT_T0_E_clISt17integral_constantIbLb0EES1A_EEDaS15_S16_EUlS15_E_NS1_11comp_targetILNS1_3genE4ELNS1_11target_archE910ELNS1_3gpuE8ELNS1_3repE0EEENS1_30default_config_static_selectorELNS0_4arch9wavefront6targetE1EEEvT1_,@function
_ZN7rocprim17ROCPRIM_400000_NS6detail17trampoline_kernelINS0_14default_configENS1_25partition_config_selectorILNS1_17partition_subalgoE9EllbEEZZNS1_14partition_implILS5_9ELb0ES3_jPlS8_PNS0_10empty_typeENS0_5tupleIJS8_S9_EEENSB_IJS8_SA_EEENS0_18inequality_wrapperIZN2at6native12_GLOBAL__N_124unique_dim_cuda_templateIbEESt5tupleIJNSF_6TensorESK_SK_EERKSK_lbbbEUlllE0_EEPmJS9_EEE10hipError_tPvRmT3_T4_T5_T6_T7_T9_mT8_P12ihipStream_tbDpT10_ENKUlT_T0_E_clISt17integral_constantIbLb0EES1A_EEDaS15_S16_EUlS15_E_NS1_11comp_targetILNS1_3genE4ELNS1_11target_archE910ELNS1_3gpuE8ELNS1_3repE0EEENS1_30default_config_static_selectorELNS0_4arch9wavefront6targetE1EEEvT1_: ; @_ZN7rocprim17ROCPRIM_400000_NS6detail17trampoline_kernelINS0_14default_configENS1_25partition_config_selectorILNS1_17partition_subalgoE9EllbEEZZNS1_14partition_implILS5_9ELb0ES3_jPlS8_PNS0_10empty_typeENS0_5tupleIJS8_S9_EEENSB_IJS8_SA_EEENS0_18inequality_wrapperIZN2at6native12_GLOBAL__N_124unique_dim_cuda_templateIbEESt5tupleIJNSF_6TensorESK_SK_EERKSK_lbbbEUlllE0_EEPmJS9_EEE10hipError_tPvRmT3_T4_T5_T6_T7_T9_mT8_P12ihipStream_tbDpT10_ENKUlT_T0_E_clISt17integral_constantIbLb0EES1A_EEDaS15_S16_EUlS15_E_NS1_11comp_targetILNS1_3genE4ELNS1_11target_archE910ELNS1_3gpuE8ELNS1_3repE0EEENS1_30default_config_static_selectorELNS0_4arch9wavefront6targetE1EEEvT1_
; %bb.0:
	.section	.rodata,"a",@progbits
	.p2align	6, 0x0
	.amdhsa_kernel _ZN7rocprim17ROCPRIM_400000_NS6detail17trampoline_kernelINS0_14default_configENS1_25partition_config_selectorILNS1_17partition_subalgoE9EllbEEZZNS1_14partition_implILS5_9ELb0ES3_jPlS8_PNS0_10empty_typeENS0_5tupleIJS8_S9_EEENSB_IJS8_SA_EEENS0_18inequality_wrapperIZN2at6native12_GLOBAL__N_124unique_dim_cuda_templateIbEESt5tupleIJNSF_6TensorESK_SK_EERKSK_lbbbEUlllE0_EEPmJS9_EEE10hipError_tPvRmT3_T4_T5_T6_T7_T9_mT8_P12ihipStream_tbDpT10_ENKUlT_T0_E_clISt17integral_constantIbLb0EES1A_EEDaS15_S16_EUlS15_E_NS1_11comp_targetILNS1_3genE4ELNS1_11target_archE910ELNS1_3gpuE8ELNS1_3repE0EEENS1_30default_config_static_selectorELNS0_4arch9wavefront6targetE1EEEvT1_
		.amdhsa_group_segment_fixed_size 0
		.amdhsa_private_segment_fixed_size 0
		.amdhsa_kernarg_size 120
		.amdhsa_user_sgpr_count 2
		.amdhsa_user_sgpr_dispatch_ptr 0
		.amdhsa_user_sgpr_queue_ptr 0
		.amdhsa_user_sgpr_kernarg_segment_ptr 1
		.amdhsa_user_sgpr_dispatch_id 0
		.amdhsa_user_sgpr_kernarg_preload_length 0
		.amdhsa_user_sgpr_kernarg_preload_offset 0
		.amdhsa_user_sgpr_private_segment_size 0
		.amdhsa_uses_dynamic_stack 0
		.amdhsa_enable_private_segment 0
		.amdhsa_system_sgpr_workgroup_id_x 1
		.amdhsa_system_sgpr_workgroup_id_y 0
		.amdhsa_system_sgpr_workgroup_id_z 0
		.amdhsa_system_sgpr_workgroup_info 0
		.amdhsa_system_vgpr_workitem_id 0
		.amdhsa_next_free_vgpr 1
		.amdhsa_next_free_sgpr 0
		.amdhsa_accum_offset 4
		.amdhsa_reserve_vcc 0
		.amdhsa_float_round_mode_32 0
		.amdhsa_float_round_mode_16_64 0
		.amdhsa_float_denorm_mode_32 3
		.amdhsa_float_denorm_mode_16_64 3
		.amdhsa_dx10_clamp 1
		.amdhsa_ieee_mode 1
		.amdhsa_fp16_overflow 0
		.amdhsa_tg_split 0
		.amdhsa_exception_fp_ieee_invalid_op 0
		.amdhsa_exception_fp_denorm_src 0
		.amdhsa_exception_fp_ieee_div_zero 0
		.amdhsa_exception_fp_ieee_overflow 0
		.amdhsa_exception_fp_ieee_underflow 0
		.amdhsa_exception_fp_ieee_inexact 0
		.amdhsa_exception_int_div_zero 0
	.end_amdhsa_kernel
	.section	.text._ZN7rocprim17ROCPRIM_400000_NS6detail17trampoline_kernelINS0_14default_configENS1_25partition_config_selectorILNS1_17partition_subalgoE9EllbEEZZNS1_14partition_implILS5_9ELb0ES3_jPlS8_PNS0_10empty_typeENS0_5tupleIJS8_S9_EEENSB_IJS8_SA_EEENS0_18inequality_wrapperIZN2at6native12_GLOBAL__N_124unique_dim_cuda_templateIbEESt5tupleIJNSF_6TensorESK_SK_EERKSK_lbbbEUlllE0_EEPmJS9_EEE10hipError_tPvRmT3_T4_T5_T6_T7_T9_mT8_P12ihipStream_tbDpT10_ENKUlT_T0_E_clISt17integral_constantIbLb0EES1A_EEDaS15_S16_EUlS15_E_NS1_11comp_targetILNS1_3genE4ELNS1_11target_archE910ELNS1_3gpuE8ELNS1_3repE0EEENS1_30default_config_static_selectorELNS0_4arch9wavefront6targetE1EEEvT1_,"axG",@progbits,_ZN7rocprim17ROCPRIM_400000_NS6detail17trampoline_kernelINS0_14default_configENS1_25partition_config_selectorILNS1_17partition_subalgoE9EllbEEZZNS1_14partition_implILS5_9ELb0ES3_jPlS8_PNS0_10empty_typeENS0_5tupleIJS8_S9_EEENSB_IJS8_SA_EEENS0_18inequality_wrapperIZN2at6native12_GLOBAL__N_124unique_dim_cuda_templateIbEESt5tupleIJNSF_6TensorESK_SK_EERKSK_lbbbEUlllE0_EEPmJS9_EEE10hipError_tPvRmT3_T4_T5_T6_T7_T9_mT8_P12ihipStream_tbDpT10_ENKUlT_T0_E_clISt17integral_constantIbLb0EES1A_EEDaS15_S16_EUlS15_E_NS1_11comp_targetILNS1_3genE4ELNS1_11target_archE910ELNS1_3gpuE8ELNS1_3repE0EEENS1_30default_config_static_selectorELNS0_4arch9wavefront6targetE1EEEvT1_,comdat
.Lfunc_end1085:
	.size	_ZN7rocprim17ROCPRIM_400000_NS6detail17trampoline_kernelINS0_14default_configENS1_25partition_config_selectorILNS1_17partition_subalgoE9EllbEEZZNS1_14partition_implILS5_9ELb0ES3_jPlS8_PNS0_10empty_typeENS0_5tupleIJS8_S9_EEENSB_IJS8_SA_EEENS0_18inequality_wrapperIZN2at6native12_GLOBAL__N_124unique_dim_cuda_templateIbEESt5tupleIJNSF_6TensorESK_SK_EERKSK_lbbbEUlllE0_EEPmJS9_EEE10hipError_tPvRmT3_T4_T5_T6_T7_T9_mT8_P12ihipStream_tbDpT10_ENKUlT_T0_E_clISt17integral_constantIbLb0EES1A_EEDaS15_S16_EUlS15_E_NS1_11comp_targetILNS1_3genE4ELNS1_11target_archE910ELNS1_3gpuE8ELNS1_3repE0EEENS1_30default_config_static_selectorELNS0_4arch9wavefront6targetE1EEEvT1_, .Lfunc_end1085-_ZN7rocprim17ROCPRIM_400000_NS6detail17trampoline_kernelINS0_14default_configENS1_25partition_config_selectorILNS1_17partition_subalgoE9EllbEEZZNS1_14partition_implILS5_9ELb0ES3_jPlS8_PNS0_10empty_typeENS0_5tupleIJS8_S9_EEENSB_IJS8_SA_EEENS0_18inequality_wrapperIZN2at6native12_GLOBAL__N_124unique_dim_cuda_templateIbEESt5tupleIJNSF_6TensorESK_SK_EERKSK_lbbbEUlllE0_EEPmJS9_EEE10hipError_tPvRmT3_T4_T5_T6_T7_T9_mT8_P12ihipStream_tbDpT10_ENKUlT_T0_E_clISt17integral_constantIbLb0EES1A_EEDaS15_S16_EUlS15_E_NS1_11comp_targetILNS1_3genE4ELNS1_11target_archE910ELNS1_3gpuE8ELNS1_3repE0EEENS1_30default_config_static_selectorELNS0_4arch9wavefront6targetE1EEEvT1_
                                        ; -- End function
	.set _ZN7rocprim17ROCPRIM_400000_NS6detail17trampoline_kernelINS0_14default_configENS1_25partition_config_selectorILNS1_17partition_subalgoE9EllbEEZZNS1_14partition_implILS5_9ELb0ES3_jPlS8_PNS0_10empty_typeENS0_5tupleIJS8_S9_EEENSB_IJS8_SA_EEENS0_18inequality_wrapperIZN2at6native12_GLOBAL__N_124unique_dim_cuda_templateIbEESt5tupleIJNSF_6TensorESK_SK_EERKSK_lbbbEUlllE0_EEPmJS9_EEE10hipError_tPvRmT3_T4_T5_T6_T7_T9_mT8_P12ihipStream_tbDpT10_ENKUlT_T0_E_clISt17integral_constantIbLb0EES1A_EEDaS15_S16_EUlS15_E_NS1_11comp_targetILNS1_3genE4ELNS1_11target_archE910ELNS1_3gpuE8ELNS1_3repE0EEENS1_30default_config_static_selectorELNS0_4arch9wavefront6targetE1EEEvT1_.num_vgpr, 0
	.set _ZN7rocprim17ROCPRIM_400000_NS6detail17trampoline_kernelINS0_14default_configENS1_25partition_config_selectorILNS1_17partition_subalgoE9EllbEEZZNS1_14partition_implILS5_9ELb0ES3_jPlS8_PNS0_10empty_typeENS0_5tupleIJS8_S9_EEENSB_IJS8_SA_EEENS0_18inequality_wrapperIZN2at6native12_GLOBAL__N_124unique_dim_cuda_templateIbEESt5tupleIJNSF_6TensorESK_SK_EERKSK_lbbbEUlllE0_EEPmJS9_EEE10hipError_tPvRmT3_T4_T5_T6_T7_T9_mT8_P12ihipStream_tbDpT10_ENKUlT_T0_E_clISt17integral_constantIbLb0EES1A_EEDaS15_S16_EUlS15_E_NS1_11comp_targetILNS1_3genE4ELNS1_11target_archE910ELNS1_3gpuE8ELNS1_3repE0EEENS1_30default_config_static_selectorELNS0_4arch9wavefront6targetE1EEEvT1_.num_agpr, 0
	.set _ZN7rocprim17ROCPRIM_400000_NS6detail17trampoline_kernelINS0_14default_configENS1_25partition_config_selectorILNS1_17partition_subalgoE9EllbEEZZNS1_14partition_implILS5_9ELb0ES3_jPlS8_PNS0_10empty_typeENS0_5tupleIJS8_S9_EEENSB_IJS8_SA_EEENS0_18inequality_wrapperIZN2at6native12_GLOBAL__N_124unique_dim_cuda_templateIbEESt5tupleIJNSF_6TensorESK_SK_EERKSK_lbbbEUlllE0_EEPmJS9_EEE10hipError_tPvRmT3_T4_T5_T6_T7_T9_mT8_P12ihipStream_tbDpT10_ENKUlT_T0_E_clISt17integral_constantIbLb0EES1A_EEDaS15_S16_EUlS15_E_NS1_11comp_targetILNS1_3genE4ELNS1_11target_archE910ELNS1_3gpuE8ELNS1_3repE0EEENS1_30default_config_static_selectorELNS0_4arch9wavefront6targetE1EEEvT1_.numbered_sgpr, 0
	.set _ZN7rocprim17ROCPRIM_400000_NS6detail17trampoline_kernelINS0_14default_configENS1_25partition_config_selectorILNS1_17partition_subalgoE9EllbEEZZNS1_14partition_implILS5_9ELb0ES3_jPlS8_PNS0_10empty_typeENS0_5tupleIJS8_S9_EEENSB_IJS8_SA_EEENS0_18inequality_wrapperIZN2at6native12_GLOBAL__N_124unique_dim_cuda_templateIbEESt5tupleIJNSF_6TensorESK_SK_EERKSK_lbbbEUlllE0_EEPmJS9_EEE10hipError_tPvRmT3_T4_T5_T6_T7_T9_mT8_P12ihipStream_tbDpT10_ENKUlT_T0_E_clISt17integral_constantIbLb0EES1A_EEDaS15_S16_EUlS15_E_NS1_11comp_targetILNS1_3genE4ELNS1_11target_archE910ELNS1_3gpuE8ELNS1_3repE0EEENS1_30default_config_static_selectorELNS0_4arch9wavefront6targetE1EEEvT1_.num_named_barrier, 0
	.set _ZN7rocprim17ROCPRIM_400000_NS6detail17trampoline_kernelINS0_14default_configENS1_25partition_config_selectorILNS1_17partition_subalgoE9EllbEEZZNS1_14partition_implILS5_9ELb0ES3_jPlS8_PNS0_10empty_typeENS0_5tupleIJS8_S9_EEENSB_IJS8_SA_EEENS0_18inequality_wrapperIZN2at6native12_GLOBAL__N_124unique_dim_cuda_templateIbEESt5tupleIJNSF_6TensorESK_SK_EERKSK_lbbbEUlllE0_EEPmJS9_EEE10hipError_tPvRmT3_T4_T5_T6_T7_T9_mT8_P12ihipStream_tbDpT10_ENKUlT_T0_E_clISt17integral_constantIbLb0EES1A_EEDaS15_S16_EUlS15_E_NS1_11comp_targetILNS1_3genE4ELNS1_11target_archE910ELNS1_3gpuE8ELNS1_3repE0EEENS1_30default_config_static_selectorELNS0_4arch9wavefront6targetE1EEEvT1_.private_seg_size, 0
	.set _ZN7rocprim17ROCPRIM_400000_NS6detail17trampoline_kernelINS0_14default_configENS1_25partition_config_selectorILNS1_17partition_subalgoE9EllbEEZZNS1_14partition_implILS5_9ELb0ES3_jPlS8_PNS0_10empty_typeENS0_5tupleIJS8_S9_EEENSB_IJS8_SA_EEENS0_18inequality_wrapperIZN2at6native12_GLOBAL__N_124unique_dim_cuda_templateIbEESt5tupleIJNSF_6TensorESK_SK_EERKSK_lbbbEUlllE0_EEPmJS9_EEE10hipError_tPvRmT3_T4_T5_T6_T7_T9_mT8_P12ihipStream_tbDpT10_ENKUlT_T0_E_clISt17integral_constantIbLb0EES1A_EEDaS15_S16_EUlS15_E_NS1_11comp_targetILNS1_3genE4ELNS1_11target_archE910ELNS1_3gpuE8ELNS1_3repE0EEENS1_30default_config_static_selectorELNS0_4arch9wavefront6targetE1EEEvT1_.uses_vcc, 0
	.set _ZN7rocprim17ROCPRIM_400000_NS6detail17trampoline_kernelINS0_14default_configENS1_25partition_config_selectorILNS1_17partition_subalgoE9EllbEEZZNS1_14partition_implILS5_9ELb0ES3_jPlS8_PNS0_10empty_typeENS0_5tupleIJS8_S9_EEENSB_IJS8_SA_EEENS0_18inequality_wrapperIZN2at6native12_GLOBAL__N_124unique_dim_cuda_templateIbEESt5tupleIJNSF_6TensorESK_SK_EERKSK_lbbbEUlllE0_EEPmJS9_EEE10hipError_tPvRmT3_T4_T5_T6_T7_T9_mT8_P12ihipStream_tbDpT10_ENKUlT_T0_E_clISt17integral_constantIbLb0EES1A_EEDaS15_S16_EUlS15_E_NS1_11comp_targetILNS1_3genE4ELNS1_11target_archE910ELNS1_3gpuE8ELNS1_3repE0EEENS1_30default_config_static_selectorELNS0_4arch9wavefront6targetE1EEEvT1_.uses_flat_scratch, 0
	.set _ZN7rocprim17ROCPRIM_400000_NS6detail17trampoline_kernelINS0_14default_configENS1_25partition_config_selectorILNS1_17partition_subalgoE9EllbEEZZNS1_14partition_implILS5_9ELb0ES3_jPlS8_PNS0_10empty_typeENS0_5tupleIJS8_S9_EEENSB_IJS8_SA_EEENS0_18inequality_wrapperIZN2at6native12_GLOBAL__N_124unique_dim_cuda_templateIbEESt5tupleIJNSF_6TensorESK_SK_EERKSK_lbbbEUlllE0_EEPmJS9_EEE10hipError_tPvRmT3_T4_T5_T6_T7_T9_mT8_P12ihipStream_tbDpT10_ENKUlT_T0_E_clISt17integral_constantIbLb0EES1A_EEDaS15_S16_EUlS15_E_NS1_11comp_targetILNS1_3genE4ELNS1_11target_archE910ELNS1_3gpuE8ELNS1_3repE0EEENS1_30default_config_static_selectorELNS0_4arch9wavefront6targetE1EEEvT1_.has_dyn_sized_stack, 0
	.set _ZN7rocprim17ROCPRIM_400000_NS6detail17trampoline_kernelINS0_14default_configENS1_25partition_config_selectorILNS1_17partition_subalgoE9EllbEEZZNS1_14partition_implILS5_9ELb0ES3_jPlS8_PNS0_10empty_typeENS0_5tupleIJS8_S9_EEENSB_IJS8_SA_EEENS0_18inequality_wrapperIZN2at6native12_GLOBAL__N_124unique_dim_cuda_templateIbEESt5tupleIJNSF_6TensorESK_SK_EERKSK_lbbbEUlllE0_EEPmJS9_EEE10hipError_tPvRmT3_T4_T5_T6_T7_T9_mT8_P12ihipStream_tbDpT10_ENKUlT_T0_E_clISt17integral_constantIbLb0EES1A_EEDaS15_S16_EUlS15_E_NS1_11comp_targetILNS1_3genE4ELNS1_11target_archE910ELNS1_3gpuE8ELNS1_3repE0EEENS1_30default_config_static_selectorELNS0_4arch9wavefront6targetE1EEEvT1_.has_recursion, 0
	.set _ZN7rocprim17ROCPRIM_400000_NS6detail17trampoline_kernelINS0_14default_configENS1_25partition_config_selectorILNS1_17partition_subalgoE9EllbEEZZNS1_14partition_implILS5_9ELb0ES3_jPlS8_PNS0_10empty_typeENS0_5tupleIJS8_S9_EEENSB_IJS8_SA_EEENS0_18inequality_wrapperIZN2at6native12_GLOBAL__N_124unique_dim_cuda_templateIbEESt5tupleIJNSF_6TensorESK_SK_EERKSK_lbbbEUlllE0_EEPmJS9_EEE10hipError_tPvRmT3_T4_T5_T6_T7_T9_mT8_P12ihipStream_tbDpT10_ENKUlT_T0_E_clISt17integral_constantIbLb0EES1A_EEDaS15_S16_EUlS15_E_NS1_11comp_targetILNS1_3genE4ELNS1_11target_archE910ELNS1_3gpuE8ELNS1_3repE0EEENS1_30default_config_static_selectorELNS0_4arch9wavefront6targetE1EEEvT1_.has_indirect_call, 0
	.section	.AMDGPU.csdata,"",@progbits
; Kernel info:
; codeLenInByte = 0
; TotalNumSgprs: 6
; NumVgprs: 0
; NumAgprs: 0
; TotalNumVgprs: 0
; ScratchSize: 0
; MemoryBound: 0
; FloatMode: 240
; IeeeMode: 1
; LDSByteSize: 0 bytes/workgroup (compile time only)
; SGPRBlocks: 0
; VGPRBlocks: 0
; NumSGPRsForWavesPerEU: 6
; NumVGPRsForWavesPerEU: 1
; AccumOffset: 4
; Occupancy: 8
; WaveLimiterHint : 0
; COMPUTE_PGM_RSRC2:SCRATCH_EN: 0
; COMPUTE_PGM_RSRC2:USER_SGPR: 2
; COMPUTE_PGM_RSRC2:TRAP_HANDLER: 0
; COMPUTE_PGM_RSRC2:TGID_X_EN: 1
; COMPUTE_PGM_RSRC2:TGID_Y_EN: 0
; COMPUTE_PGM_RSRC2:TGID_Z_EN: 0
; COMPUTE_PGM_RSRC2:TIDIG_COMP_CNT: 0
; COMPUTE_PGM_RSRC3_GFX90A:ACCUM_OFFSET: 0
; COMPUTE_PGM_RSRC3_GFX90A:TG_SPLIT: 0
	.section	.text._ZN7rocprim17ROCPRIM_400000_NS6detail17trampoline_kernelINS0_14default_configENS1_25partition_config_selectorILNS1_17partition_subalgoE9EllbEEZZNS1_14partition_implILS5_9ELb0ES3_jPlS8_PNS0_10empty_typeENS0_5tupleIJS8_S9_EEENSB_IJS8_SA_EEENS0_18inequality_wrapperIZN2at6native12_GLOBAL__N_124unique_dim_cuda_templateIbEESt5tupleIJNSF_6TensorESK_SK_EERKSK_lbbbEUlllE0_EEPmJS9_EEE10hipError_tPvRmT3_T4_T5_T6_T7_T9_mT8_P12ihipStream_tbDpT10_ENKUlT_T0_E_clISt17integral_constantIbLb0EES1A_EEDaS15_S16_EUlS15_E_NS1_11comp_targetILNS1_3genE3ELNS1_11target_archE908ELNS1_3gpuE7ELNS1_3repE0EEENS1_30default_config_static_selectorELNS0_4arch9wavefront6targetE1EEEvT1_,"axG",@progbits,_ZN7rocprim17ROCPRIM_400000_NS6detail17trampoline_kernelINS0_14default_configENS1_25partition_config_selectorILNS1_17partition_subalgoE9EllbEEZZNS1_14partition_implILS5_9ELb0ES3_jPlS8_PNS0_10empty_typeENS0_5tupleIJS8_S9_EEENSB_IJS8_SA_EEENS0_18inequality_wrapperIZN2at6native12_GLOBAL__N_124unique_dim_cuda_templateIbEESt5tupleIJNSF_6TensorESK_SK_EERKSK_lbbbEUlllE0_EEPmJS9_EEE10hipError_tPvRmT3_T4_T5_T6_T7_T9_mT8_P12ihipStream_tbDpT10_ENKUlT_T0_E_clISt17integral_constantIbLb0EES1A_EEDaS15_S16_EUlS15_E_NS1_11comp_targetILNS1_3genE3ELNS1_11target_archE908ELNS1_3gpuE7ELNS1_3repE0EEENS1_30default_config_static_selectorELNS0_4arch9wavefront6targetE1EEEvT1_,comdat
	.globl	_ZN7rocprim17ROCPRIM_400000_NS6detail17trampoline_kernelINS0_14default_configENS1_25partition_config_selectorILNS1_17partition_subalgoE9EllbEEZZNS1_14partition_implILS5_9ELb0ES3_jPlS8_PNS0_10empty_typeENS0_5tupleIJS8_S9_EEENSB_IJS8_SA_EEENS0_18inequality_wrapperIZN2at6native12_GLOBAL__N_124unique_dim_cuda_templateIbEESt5tupleIJNSF_6TensorESK_SK_EERKSK_lbbbEUlllE0_EEPmJS9_EEE10hipError_tPvRmT3_T4_T5_T6_T7_T9_mT8_P12ihipStream_tbDpT10_ENKUlT_T0_E_clISt17integral_constantIbLb0EES1A_EEDaS15_S16_EUlS15_E_NS1_11comp_targetILNS1_3genE3ELNS1_11target_archE908ELNS1_3gpuE7ELNS1_3repE0EEENS1_30default_config_static_selectorELNS0_4arch9wavefront6targetE1EEEvT1_ ; -- Begin function _ZN7rocprim17ROCPRIM_400000_NS6detail17trampoline_kernelINS0_14default_configENS1_25partition_config_selectorILNS1_17partition_subalgoE9EllbEEZZNS1_14partition_implILS5_9ELb0ES3_jPlS8_PNS0_10empty_typeENS0_5tupleIJS8_S9_EEENSB_IJS8_SA_EEENS0_18inequality_wrapperIZN2at6native12_GLOBAL__N_124unique_dim_cuda_templateIbEESt5tupleIJNSF_6TensorESK_SK_EERKSK_lbbbEUlllE0_EEPmJS9_EEE10hipError_tPvRmT3_T4_T5_T6_T7_T9_mT8_P12ihipStream_tbDpT10_ENKUlT_T0_E_clISt17integral_constantIbLb0EES1A_EEDaS15_S16_EUlS15_E_NS1_11comp_targetILNS1_3genE3ELNS1_11target_archE908ELNS1_3gpuE7ELNS1_3repE0EEENS1_30default_config_static_selectorELNS0_4arch9wavefront6targetE1EEEvT1_
	.p2align	8
	.type	_ZN7rocprim17ROCPRIM_400000_NS6detail17trampoline_kernelINS0_14default_configENS1_25partition_config_selectorILNS1_17partition_subalgoE9EllbEEZZNS1_14partition_implILS5_9ELb0ES3_jPlS8_PNS0_10empty_typeENS0_5tupleIJS8_S9_EEENSB_IJS8_SA_EEENS0_18inequality_wrapperIZN2at6native12_GLOBAL__N_124unique_dim_cuda_templateIbEESt5tupleIJNSF_6TensorESK_SK_EERKSK_lbbbEUlllE0_EEPmJS9_EEE10hipError_tPvRmT3_T4_T5_T6_T7_T9_mT8_P12ihipStream_tbDpT10_ENKUlT_T0_E_clISt17integral_constantIbLb0EES1A_EEDaS15_S16_EUlS15_E_NS1_11comp_targetILNS1_3genE3ELNS1_11target_archE908ELNS1_3gpuE7ELNS1_3repE0EEENS1_30default_config_static_selectorELNS0_4arch9wavefront6targetE1EEEvT1_,@function
_ZN7rocprim17ROCPRIM_400000_NS6detail17trampoline_kernelINS0_14default_configENS1_25partition_config_selectorILNS1_17partition_subalgoE9EllbEEZZNS1_14partition_implILS5_9ELb0ES3_jPlS8_PNS0_10empty_typeENS0_5tupleIJS8_S9_EEENSB_IJS8_SA_EEENS0_18inequality_wrapperIZN2at6native12_GLOBAL__N_124unique_dim_cuda_templateIbEESt5tupleIJNSF_6TensorESK_SK_EERKSK_lbbbEUlllE0_EEPmJS9_EEE10hipError_tPvRmT3_T4_T5_T6_T7_T9_mT8_P12ihipStream_tbDpT10_ENKUlT_T0_E_clISt17integral_constantIbLb0EES1A_EEDaS15_S16_EUlS15_E_NS1_11comp_targetILNS1_3genE3ELNS1_11target_archE908ELNS1_3gpuE7ELNS1_3repE0EEENS1_30default_config_static_selectorELNS0_4arch9wavefront6targetE1EEEvT1_: ; @_ZN7rocprim17ROCPRIM_400000_NS6detail17trampoline_kernelINS0_14default_configENS1_25partition_config_selectorILNS1_17partition_subalgoE9EllbEEZZNS1_14partition_implILS5_9ELb0ES3_jPlS8_PNS0_10empty_typeENS0_5tupleIJS8_S9_EEENSB_IJS8_SA_EEENS0_18inequality_wrapperIZN2at6native12_GLOBAL__N_124unique_dim_cuda_templateIbEESt5tupleIJNSF_6TensorESK_SK_EERKSK_lbbbEUlllE0_EEPmJS9_EEE10hipError_tPvRmT3_T4_T5_T6_T7_T9_mT8_P12ihipStream_tbDpT10_ENKUlT_T0_E_clISt17integral_constantIbLb0EES1A_EEDaS15_S16_EUlS15_E_NS1_11comp_targetILNS1_3genE3ELNS1_11target_archE908ELNS1_3gpuE7ELNS1_3repE0EEENS1_30default_config_static_selectorELNS0_4arch9wavefront6targetE1EEEvT1_
; %bb.0:
	.section	.rodata,"a",@progbits
	.p2align	6, 0x0
	.amdhsa_kernel _ZN7rocprim17ROCPRIM_400000_NS6detail17trampoline_kernelINS0_14default_configENS1_25partition_config_selectorILNS1_17partition_subalgoE9EllbEEZZNS1_14partition_implILS5_9ELb0ES3_jPlS8_PNS0_10empty_typeENS0_5tupleIJS8_S9_EEENSB_IJS8_SA_EEENS0_18inequality_wrapperIZN2at6native12_GLOBAL__N_124unique_dim_cuda_templateIbEESt5tupleIJNSF_6TensorESK_SK_EERKSK_lbbbEUlllE0_EEPmJS9_EEE10hipError_tPvRmT3_T4_T5_T6_T7_T9_mT8_P12ihipStream_tbDpT10_ENKUlT_T0_E_clISt17integral_constantIbLb0EES1A_EEDaS15_S16_EUlS15_E_NS1_11comp_targetILNS1_3genE3ELNS1_11target_archE908ELNS1_3gpuE7ELNS1_3repE0EEENS1_30default_config_static_selectorELNS0_4arch9wavefront6targetE1EEEvT1_
		.amdhsa_group_segment_fixed_size 0
		.amdhsa_private_segment_fixed_size 0
		.amdhsa_kernarg_size 120
		.amdhsa_user_sgpr_count 2
		.amdhsa_user_sgpr_dispatch_ptr 0
		.amdhsa_user_sgpr_queue_ptr 0
		.amdhsa_user_sgpr_kernarg_segment_ptr 1
		.amdhsa_user_sgpr_dispatch_id 0
		.amdhsa_user_sgpr_kernarg_preload_length 0
		.amdhsa_user_sgpr_kernarg_preload_offset 0
		.amdhsa_user_sgpr_private_segment_size 0
		.amdhsa_uses_dynamic_stack 0
		.amdhsa_enable_private_segment 0
		.amdhsa_system_sgpr_workgroup_id_x 1
		.amdhsa_system_sgpr_workgroup_id_y 0
		.amdhsa_system_sgpr_workgroup_id_z 0
		.amdhsa_system_sgpr_workgroup_info 0
		.amdhsa_system_vgpr_workitem_id 0
		.amdhsa_next_free_vgpr 1
		.amdhsa_next_free_sgpr 0
		.amdhsa_accum_offset 4
		.amdhsa_reserve_vcc 0
		.amdhsa_float_round_mode_32 0
		.amdhsa_float_round_mode_16_64 0
		.amdhsa_float_denorm_mode_32 3
		.amdhsa_float_denorm_mode_16_64 3
		.amdhsa_dx10_clamp 1
		.amdhsa_ieee_mode 1
		.amdhsa_fp16_overflow 0
		.amdhsa_tg_split 0
		.amdhsa_exception_fp_ieee_invalid_op 0
		.amdhsa_exception_fp_denorm_src 0
		.amdhsa_exception_fp_ieee_div_zero 0
		.amdhsa_exception_fp_ieee_overflow 0
		.amdhsa_exception_fp_ieee_underflow 0
		.amdhsa_exception_fp_ieee_inexact 0
		.amdhsa_exception_int_div_zero 0
	.end_amdhsa_kernel
	.section	.text._ZN7rocprim17ROCPRIM_400000_NS6detail17trampoline_kernelINS0_14default_configENS1_25partition_config_selectorILNS1_17partition_subalgoE9EllbEEZZNS1_14partition_implILS5_9ELb0ES3_jPlS8_PNS0_10empty_typeENS0_5tupleIJS8_S9_EEENSB_IJS8_SA_EEENS0_18inequality_wrapperIZN2at6native12_GLOBAL__N_124unique_dim_cuda_templateIbEESt5tupleIJNSF_6TensorESK_SK_EERKSK_lbbbEUlllE0_EEPmJS9_EEE10hipError_tPvRmT3_T4_T5_T6_T7_T9_mT8_P12ihipStream_tbDpT10_ENKUlT_T0_E_clISt17integral_constantIbLb0EES1A_EEDaS15_S16_EUlS15_E_NS1_11comp_targetILNS1_3genE3ELNS1_11target_archE908ELNS1_3gpuE7ELNS1_3repE0EEENS1_30default_config_static_selectorELNS0_4arch9wavefront6targetE1EEEvT1_,"axG",@progbits,_ZN7rocprim17ROCPRIM_400000_NS6detail17trampoline_kernelINS0_14default_configENS1_25partition_config_selectorILNS1_17partition_subalgoE9EllbEEZZNS1_14partition_implILS5_9ELb0ES3_jPlS8_PNS0_10empty_typeENS0_5tupleIJS8_S9_EEENSB_IJS8_SA_EEENS0_18inequality_wrapperIZN2at6native12_GLOBAL__N_124unique_dim_cuda_templateIbEESt5tupleIJNSF_6TensorESK_SK_EERKSK_lbbbEUlllE0_EEPmJS9_EEE10hipError_tPvRmT3_T4_T5_T6_T7_T9_mT8_P12ihipStream_tbDpT10_ENKUlT_T0_E_clISt17integral_constantIbLb0EES1A_EEDaS15_S16_EUlS15_E_NS1_11comp_targetILNS1_3genE3ELNS1_11target_archE908ELNS1_3gpuE7ELNS1_3repE0EEENS1_30default_config_static_selectorELNS0_4arch9wavefront6targetE1EEEvT1_,comdat
.Lfunc_end1086:
	.size	_ZN7rocprim17ROCPRIM_400000_NS6detail17trampoline_kernelINS0_14default_configENS1_25partition_config_selectorILNS1_17partition_subalgoE9EllbEEZZNS1_14partition_implILS5_9ELb0ES3_jPlS8_PNS0_10empty_typeENS0_5tupleIJS8_S9_EEENSB_IJS8_SA_EEENS0_18inequality_wrapperIZN2at6native12_GLOBAL__N_124unique_dim_cuda_templateIbEESt5tupleIJNSF_6TensorESK_SK_EERKSK_lbbbEUlllE0_EEPmJS9_EEE10hipError_tPvRmT3_T4_T5_T6_T7_T9_mT8_P12ihipStream_tbDpT10_ENKUlT_T0_E_clISt17integral_constantIbLb0EES1A_EEDaS15_S16_EUlS15_E_NS1_11comp_targetILNS1_3genE3ELNS1_11target_archE908ELNS1_3gpuE7ELNS1_3repE0EEENS1_30default_config_static_selectorELNS0_4arch9wavefront6targetE1EEEvT1_, .Lfunc_end1086-_ZN7rocprim17ROCPRIM_400000_NS6detail17trampoline_kernelINS0_14default_configENS1_25partition_config_selectorILNS1_17partition_subalgoE9EllbEEZZNS1_14partition_implILS5_9ELb0ES3_jPlS8_PNS0_10empty_typeENS0_5tupleIJS8_S9_EEENSB_IJS8_SA_EEENS0_18inequality_wrapperIZN2at6native12_GLOBAL__N_124unique_dim_cuda_templateIbEESt5tupleIJNSF_6TensorESK_SK_EERKSK_lbbbEUlllE0_EEPmJS9_EEE10hipError_tPvRmT3_T4_T5_T6_T7_T9_mT8_P12ihipStream_tbDpT10_ENKUlT_T0_E_clISt17integral_constantIbLb0EES1A_EEDaS15_S16_EUlS15_E_NS1_11comp_targetILNS1_3genE3ELNS1_11target_archE908ELNS1_3gpuE7ELNS1_3repE0EEENS1_30default_config_static_selectorELNS0_4arch9wavefront6targetE1EEEvT1_
                                        ; -- End function
	.set _ZN7rocprim17ROCPRIM_400000_NS6detail17trampoline_kernelINS0_14default_configENS1_25partition_config_selectorILNS1_17partition_subalgoE9EllbEEZZNS1_14partition_implILS5_9ELb0ES3_jPlS8_PNS0_10empty_typeENS0_5tupleIJS8_S9_EEENSB_IJS8_SA_EEENS0_18inequality_wrapperIZN2at6native12_GLOBAL__N_124unique_dim_cuda_templateIbEESt5tupleIJNSF_6TensorESK_SK_EERKSK_lbbbEUlllE0_EEPmJS9_EEE10hipError_tPvRmT3_T4_T5_T6_T7_T9_mT8_P12ihipStream_tbDpT10_ENKUlT_T0_E_clISt17integral_constantIbLb0EES1A_EEDaS15_S16_EUlS15_E_NS1_11comp_targetILNS1_3genE3ELNS1_11target_archE908ELNS1_3gpuE7ELNS1_3repE0EEENS1_30default_config_static_selectorELNS0_4arch9wavefront6targetE1EEEvT1_.num_vgpr, 0
	.set _ZN7rocprim17ROCPRIM_400000_NS6detail17trampoline_kernelINS0_14default_configENS1_25partition_config_selectorILNS1_17partition_subalgoE9EllbEEZZNS1_14partition_implILS5_9ELb0ES3_jPlS8_PNS0_10empty_typeENS0_5tupleIJS8_S9_EEENSB_IJS8_SA_EEENS0_18inequality_wrapperIZN2at6native12_GLOBAL__N_124unique_dim_cuda_templateIbEESt5tupleIJNSF_6TensorESK_SK_EERKSK_lbbbEUlllE0_EEPmJS9_EEE10hipError_tPvRmT3_T4_T5_T6_T7_T9_mT8_P12ihipStream_tbDpT10_ENKUlT_T0_E_clISt17integral_constantIbLb0EES1A_EEDaS15_S16_EUlS15_E_NS1_11comp_targetILNS1_3genE3ELNS1_11target_archE908ELNS1_3gpuE7ELNS1_3repE0EEENS1_30default_config_static_selectorELNS0_4arch9wavefront6targetE1EEEvT1_.num_agpr, 0
	.set _ZN7rocprim17ROCPRIM_400000_NS6detail17trampoline_kernelINS0_14default_configENS1_25partition_config_selectorILNS1_17partition_subalgoE9EllbEEZZNS1_14partition_implILS5_9ELb0ES3_jPlS8_PNS0_10empty_typeENS0_5tupleIJS8_S9_EEENSB_IJS8_SA_EEENS0_18inequality_wrapperIZN2at6native12_GLOBAL__N_124unique_dim_cuda_templateIbEESt5tupleIJNSF_6TensorESK_SK_EERKSK_lbbbEUlllE0_EEPmJS9_EEE10hipError_tPvRmT3_T4_T5_T6_T7_T9_mT8_P12ihipStream_tbDpT10_ENKUlT_T0_E_clISt17integral_constantIbLb0EES1A_EEDaS15_S16_EUlS15_E_NS1_11comp_targetILNS1_3genE3ELNS1_11target_archE908ELNS1_3gpuE7ELNS1_3repE0EEENS1_30default_config_static_selectorELNS0_4arch9wavefront6targetE1EEEvT1_.numbered_sgpr, 0
	.set _ZN7rocprim17ROCPRIM_400000_NS6detail17trampoline_kernelINS0_14default_configENS1_25partition_config_selectorILNS1_17partition_subalgoE9EllbEEZZNS1_14partition_implILS5_9ELb0ES3_jPlS8_PNS0_10empty_typeENS0_5tupleIJS8_S9_EEENSB_IJS8_SA_EEENS0_18inequality_wrapperIZN2at6native12_GLOBAL__N_124unique_dim_cuda_templateIbEESt5tupleIJNSF_6TensorESK_SK_EERKSK_lbbbEUlllE0_EEPmJS9_EEE10hipError_tPvRmT3_T4_T5_T6_T7_T9_mT8_P12ihipStream_tbDpT10_ENKUlT_T0_E_clISt17integral_constantIbLb0EES1A_EEDaS15_S16_EUlS15_E_NS1_11comp_targetILNS1_3genE3ELNS1_11target_archE908ELNS1_3gpuE7ELNS1_3repE0EEENS1_30default_config_static_selectorELNS0_4arch9wavefront6targetE1EEEvT1_.num_named_barrier, 0
	.set _ZN7rocprim17ROCPRIM_400000_NS6detail17trampoline_kernelINS0_14default_configENS1_25partition_config_selectorILNS1_17partition_subalgoE9EllbEEZZNS1_14partition_implILS5_9ELb0ES3_jPlS8_PNS0_10empty_typeENS0_5tupleIJS8_S9_EEENSB_IJS8_SA_EEENS0_18inequality_wrapperIZN2at6native12_GLOBAL__N_124unique_dim_cuda_templateIbEESt5tupleIJNSF_6TensorESK_SK_EERKSK_lbbbEUlllE0_EEPmJS9_EEE10hipError_tPvRmT3_T4_T5_T6_T7_T9_mT8_P12ihipStream_tbDpT10_ENKUlT_T0_E_clISt17integral_constantIbLb0EES1A_EEDaS15_S16_EUlS15_E_NS1_11comp_targetILNS1_3genE3ELNS1_11target_archE908ELNS1_3gpuE7ELNS1_3repE0EEENS1_30default_config_static_selectorELNS0_4arch9wavefront6targetE1EEEvT1_.private_seg_size, 0
	.set _ZN7rocprim17ROCPRIM_400000_NS6detail17trampoline_kernelINS0_14default_configENS1_25partition_config_selectorILNS1_17partition_subalgoE9EllbEEZZNS1_14partition_implILS5_9ELb0ES3_jPlS8_PNS0_10empty_typeENS0_5tupleIJS8_S9_EEENSB_IJS8_SA_EEENS0_18inequality_wrapperIZN2at6native12_GLOBAL__N_124unique_dim_cuda_templateIbEESt5tupleIJNSF_6TensorESK_SK_EERKSK_lbbbEUlllE0_EEPmJS9_EEE10hipError_tPvRmT3_T4_T5_T6_T7_T9_mT8_P12ihipStream_tbDpT10_ENKUlT_T0_E_clISt17integral_constantIbLb0EES1A_EEDaS15_S16_EUlS15_E_NS1_11comp_targetILNS1_3genE3ELNS1_11target_archE908ELNS1_3gpuE7ELNS1_3repE0EEENS1_30default_config_static_selectorELNS0_4arch9wavefront6targetE1EEEvT1_.uses_vcc, 0
	.set _ZN7rocprim17ROCPRIM_400000_NS6detail17trampoline_kernelINS0_14default_configENS1_25partition_config_selectorILNS1_17partition_subalgoE9EllbEEZZNS1_14partition_implILS5_9ELb0ES3_jPlS8_PNS0_10empty_typeENS0_5tupleIJS8_S9_EEENSB_IJS8_SA_EEENS0_18inequality_wrapperIZN2at6native12_GLOBAL__N_124unique_dim_cuda_templateIbEESt5tupleIJNSF_6TensorESK_SK_EERKSK_lbbbEUlllE0_EEPmJS9_EEE10hipError_tPvRmT3_T4_T5_T6_T7_T9_mT8_P12ihipStream_tbDpT10_ENKUlT_T0_E_clISt17integral_constantIbLb0EES1A_EEDaS15_S16_EUlS15_E_NS1_11comp_targetILNS1_3genE3ELNS1_11target_archE908ELNS1_3gpuE7ELNS1_3repE0EEENS1_30default_config_static_selectorELNS0_4arch9wavefront6targetE1EEEvT1_.uses_flat_scratch, 0
	.set _ZN7rocprim17ROCPRIM_400000_NS6detail17trampoline_kernelINS0_14default_configENS1_25partition_config_selectorILNS1_17partition_subalgoE9EllbEEZZNS1_14partition_implILS5_9ELb0ES3_jPlS8_PNS0_10empty_typeENS0_5tupleIJS8_S9_EEENSB_IJS8_SA_EEENS0_18inequality_wrapperIZN2at6native12_GLOBAL__N_124unique_dim_cuda_templateIbEESt5tupleIJNSF_6TensorESK_SK_EERKSK_lbbbEUlllE0_EEPmJS9_EEE10hipError_tPvRmT3_T4_T5_T6_T7_T9_mT8_P12ihipStream_tbDpT10_ENKUlT_T0_E_clISt17integral_constantIbLb0EES1A_EEDaS15_S16_EUlS15_E_NS1_11comp_targetILNS1_3genE3ELNS1_11target_archE908ELNS1_3gpuE7ELNS1_3repE0EEENS1_30default_config_static_selectorELNS0_4arch9wavefront6targetE1EEEvT1_.has_dyn_sized_stack, 0
	.set _ZN7rocprim17ROCPRIM_400000_NS6detail17trampoline_kernelINS0_14default_configENS1_25partition_config_selectorILNS1_17partition_subalgoE9EllbEEZZNS1_14partition_implILS5_9ELb0ES3_jPlS8_PNS0_10empty_typeENS0_5tupleIJS8_S9_EEENSB_IJS8_SA_EEENS0_18inequality_wrapperIZN2at6native12_GLOBAL__N_124unique_dim_cuda_templateIbEESt5tupleIJNSF_6TensorESK_SK_EERKSK_lbbbEUlllE0_EEPmJS9_EEE10hipError_tPvRmT3_T4_T5_T6_T7_T9_mT8_P12ihipStream_tbDpT10_ENKUlT_T0_E_clISt17integral_constantIbLb0EES1A_EEDaS15_S16_EUlS15_E_NS1_11comp_targetILNS1_3genE3ELNS1_11target_archE908ELNS1_3gpuE7ELNS1_3repE0EEENS1_30default_config_static_selectorELNS0_4arch9wavefront6targetE1EEEvT1_.has_recursion, 0
	.set _ZN7rocprim17ROCPRIM_400000_NS6detail17trampoline_kernelINS0_14default_configENS1_25partition_config_selectorILNS1_17partition_subalgoE9EllbEEZZNS1_14partition_implILS5_9ELb0ES3_jPlS8_PNS0_10empty_typeENS0_5tupleIJS8_S9_EEENSB_IJS8_SA_EEENS0_18inequality_wrapperIZN2at6native12_GLOBAL__N_124unique_dim_cuda_templateIbEESt5tupleIJNSF_6TensorESK_SK_EERKSK_lbbbEUlllE0_EEPmJS9_EEE10hipError_tPvRmT3_T4_T5_T6_T7_T9_mT8_P12ihipStream_tbDpT10_ENKUlT_T0_E_clISt17integral_constantIbLb0EES1A_EEDaS15_S16_EUlS15_E_NS1_11comp_targetILNS1_3genE3ELNS1_11target_archE908ELNS1_3gpuE7ELNS1_3repE0EEENS1_30default_config_static_selectorELNS0_4arch9wavefront6targetE1EEEvT1_.has_indirect_call, 0
	.section	.AMDGPU.csdata,"",@progbits
; Kernel info:
; codeLenInByte = 0
; TotalNumSgprs: 6
; NumVgprs: 0
; NumAgprs: 0
; TotalNumVgprs: 0
; ScratchSize: 0
; MemoryBound: 0
; FloatMode: 240
; IeeeMode: 1
; LDSByteSize: 0 bytes/workgroup (compile time only)
; SGPRBlocks: 0
; VGPRBlocks: 0
; NumSGPRsForWavesPerEU: 6
; NumVGPRsForWavesPerEU: 1
; AccumOffset: 4
; Occupancy: 8
; WaveLimiterHint : 0
; COMPUTE_PGM_RSRC2:SCRATCH_EN: 0
; COMPUTE_PGM_RSRC2:USER_SGPR: 2
; COMPUTE_PGM_RSRC2:TRAP_HANDLER: 0
; COMPUTE_PGM_RSRC2:TGID_X_EN: 1
; COMPUTE_PGM_RSRC2:TGID_Y_EN: 0
; COMPUTE_PGM_RSRC2:TGID_Z_EN: 0
; COMPUTE_PGM_RSRC2:TIDIG_COMP_CNT: 0
; COMPUTE_PGM_RSRC3_GFX90A:ACCUM_OFFSET: 0
; COMPUTE_PGM_RSRC3_GFX90A:TG_SPLIT: 0
	.section	.text._ZN7rocprim17ROCPRIM_400000_NS6detail17trampoline_kernelINS0_14default_configENS1_25partition_config_selectorILNS1_17partition_subalgoE9EllbEEZZNS1_14partition_implILS5_9ELb0ES3_jPlS8_PNS0_10empty_typeENS0_5tupleIJS8_S9_EEENSB_IJS8_SA_EEENS0_18inequality_wrapperIZN2at6native12_GLOBAL__N_124unique_dim_cuda_templateIbEESt5tupleIJNSF_6TensorESK_SK_EERKSK_lbbbEUlllE0_EEPmJS9_EEE10hipError_tPvRmT3_T4_T5_T6_T7_T9_mT8_P12ihipStream_tbDpT10_ENKUlT_T0_E_clISt17integral_constantIbLb0EES1A_EEDaS15_S16_EUlS15_E_NS1_11comp_targetILNS1_3genE2ELNS1_11target_archE906ELNS1_3gpuE6ELNS1_3repE0EEENS1_30default_config_static_selectorELNS0_4arch9wavefront6targetE1EEEvT1_,"axG",@progbits,_ZN7rocprim17ROCPRIM_400000_NS6detail17trampoline_kernelINS0_14default_configENS1_25partition_config_selectorILNS1_17partition_subalgoE9EllbEEZZNS1_14partition_implILS5_9ELb0ES3_jPlS8_PNS0_10empty_typeENS0_5tupleIJS8_S9_EEENSB_IJS8_SA_EEENS0_18inequality_wrapperIZN2at6native12_GLOBAL__N_124unique_dim_cuda_templateIbEESt5tupleIJNSF_6TensorESK_SK_EERKSK_lbbbEUlllE0_EEPmJS9_EEE10hipError_tPvRmT3_T4_T5_T6_T7_T9_mT8_P12ihipStream_tbDpT10_ENKUlT_T0_E_clISt17integral_constantIbLb0EES1A_EEDaS15_S16_EUlS15_E_NS1_11comp_targetILNS1_3genE2ELNS1_11target_archE906ELNS1_3gpuE6ELNS1_3repE0EEENS1_30default_config_static_selectorELNS0_4arch9wavefront6targetE1EEEvT1_,comdat
	.globl	_ZN7rocprim17ROCPRIM_400000_NS6detail17trampoline_kernelINS0_14default_configENS1_25partition_config_selectorILNS1_17partition_subalgoE9EllbEEZZNS1_14partition_implILS5_9ELb0ES3_jPlS8_PNS0_10empty_typeENS0_5tupleIJS8_S9_EEENSB_IJS8_SA_EEENS0_18inequality_wrapperIZN2at6native12_GLOBAL__N_124unique_dim_cuda_templateIbEESt5tupleIJNSF_6TensorESK_SK_EERKSK_lbbbEUlllE0_EEPmJS9_EEE10hipError_tPvRmT3_T4_T5_T6_T7_T9_mT8_P12ihipStream_tbDpT10_ENKUlT_T0_E_clISt17integral_constantIbLb0EES1A_EEDaS15_S16_EUlS15_E_NS1_11comp_targetILNS1_3genE2ELNS1_11target_archE906ELNS1_3gpuE6ELNS1_3repE0EEENS1_30default_config_static_selectorELNS0_4arch9wavefront6targetE1EEEvT1_ ; -- Begin function _ZN7rocprim17ROCPRIM_400000_NS6detail17trampoline_kernelINS0_14default_configENS1_25partition_config_selectorILNS1_17partition_subalgoE9EllbEEZZNS1_14partition_implILS5_9ELb0ES3_jPlS8_PNS0_10empty_typeENS0_5tupleIJS8_S9_EEENSB_IJS8_SA_EEENS0_18inequality_wrapperIZN2at6native12_GLOBAL__N_124unique_dim_cuda_templateIbEESt5tupleIJNSF_6TensorESK_SK_EERKSK_lbbbEUlllE0_EEPmJS9_EEE10hipError_tPvRmT3_T4_T5_T6_T7_T9_mT8_P12ihipStream_tbDpT10_ENKUlT_T0_E_clISt17integral_constantIbLb0EES1A_EEDaS15_S16_EUlS15_E_NS1_11comp_targetILNS1_3genE2ELNS1_11target_archE906ELNS1_3gpuE6ELNS1_3repE0EEENS1_30default_config_static_selectorELNS0_4arch9wavefront6targetE1EEEvT1_
	.p2align	8
	.type	_ZN7rocprim17ROCPRIM_400000_NS6detail17trampoline_kernelINS0_14default_configENS1_25partition_config_selectorILNS1_17partition_subalgoE9EllbEEZZNS1_14partition_implILS5_9ELb0ES3_jPlS8_PNS0_10empty_typeENS0_5tupleIJS8_S9_EEENSB_IJS8_SA_EEENS0_18inequality_wrapperIZN2at6native12_GLOBAL__N_124unique_dim_cuda_templateIbEESt5tupleIJNSF_6TensorESK_SK_EERKSK_lbbbEUlllE0_EEPmJS9_EEE10hipError_tPvRmT3_T4_T5_T6_T7_T9_mT8_P12ihipStream_tbDpT10_ENKUlT_T0_E_clISt17integral_constantIbLb0EES1A_EEDaS15_S16_EUlS15_E_NS1_11comp_targetILNS1_3genE2ELNS1_11target_archE906ELNS1_3gpuE6ELNS1_3repE0EEENS1_30default_config_static_selectorELNS0_4arch9wavefront6targetE1EEEvT1_,@function
_ZN7rocprim17ROCPRIM_400000_NS6detail17trampoline_kernelINS0_14default_configENS1_25partition_config_selectorILNS1_17partition_subalgoE9EllbEEZZNS1_14partition_implILS5_9ELb0ES3_jPlS8_PNS0_10empty_typeENS0_5tupleIJS8_S9_EEENSB_IJS8_SA_EEENS0_18inequality_wrapperIZN2at6native12_GLOBAL__N_124unique_dim_cuda_templateIbEESt5tupleIJNSF_6TensorESK_SK_EERKSK_lbbbEUlllE0_EEPmJS9_EEE10hipError_tPvRmT3_T4_T5_T6_T7_T9_mT8_P12ihipStream_tbDpT10_ENKUlT_T0_E_clISt17integral_constantIbLb0EES1A_EEDaS15_S16_EUlS15_E_NS1_11comp_targetILNS1_3genE2ELNS1_11target_archE906ELNS1_3gpuE6ELNS1_3repE0EEENS1_30default_config_static_selectorELNS0_4arch9wavefront6targetE1EEEvT1_: ; @_ZN7rocprim17ROCPRIM_400000_NS6detail17trampoline_kernelINS0_14default_configENS1_25partition_config_selectorILNS1_17partition_subalgoE9EllbEEZZNS1_14partition_implILS5_9ELb0ES3_jPlS8_PNS0_10empty_typeENS0_5tupleIJS8_S9_EEENSB_IJS8_SA_EEENS0_18inequality_wrapperIZN2at6native12_GLOBAL__N_124unique_dim_cuda_templateIbEESt5tupleIJNSF_6TensorESK_SK_EERKSK_lbbbEUlllE0_EEPmJS9_EEE10hipError_tPvRmT3_T4_T5_T6_T7_T9_mT8_P12ihipStream_tbDpT10_ENKUlT_T0_E_clISt17integral_constantIbLb0EES1A_EEDaS15_S16_EUlS15_E_NS1_11comp_targetILNS1_3genE2ELNS1_11target_archE906ELNS1_3gpuE6ELNS1_3repE0EEENS1_30default_config_static_selectorELNS0_4arch9wavefront6targetE1EEEvT1_
; %bb.0:
	.section	.rodata,"a",@progbits
	.p2align	6, 0x0
	.amdhsa_kernel _ZN7rocprim17ROCPRIM_400000_NS6detail17trampoline_kernelINS0_14default_configENS1_25partition_config_selectorILNS1_17partition_subalgoE9EllbEEZZNS1_14partition_implILS5_9ELb0ES3_jPlS8_PNS0_10empty_typeENS0_5tupleIJS8_S9_EEENSB_IJS8_SA_EEENS0_18inequality_wrapperIZN2at6native12_GLOBAL__N_124unique_dim_cuda_templateIbEESt5tupleIJNSF_6TensorESK_SK_EERKSK_lbbbEUlllE0_EEPmJS9_EEE10hipError_tPvRmT3_T4_T5_T6_T7_T9_mT8_P12ihipStream_tbDpT10_ENKUlT_T0_E_clISt17integral_constantIbLb0EES1A_EEDaS15_S16_EUlS15_E_NS1_11comp_targetILNS1_3genE2ELNS1_11target_archE906ELNS1_3gpuE6ELNS1_3repE0EEENS1_30default_config_static_selectorELNS0_4arch9wavefront6targetE1EEEvT1_
		.amdhsa_group_segment_fixed_size 0
		.amdhsa_private_segment_fixed_size 0
		.amdhsa_kernarg_size 120
		.amdhsa_user_sgpr_count 2
		.amdhsa_user_sgpr_dispatch_ptr 0
		.amdhsa_user_sgpr_queue_ptr 0
		.amdhsa_user_sgpr_kernarg_segment_ptr 1
		.amdhsa_user_sgpr_dispatch_id 0
		.amdhsa_user_sgpr_kernarg_preload_length 0
		.amdhsa_user_sgpr_kernarg_preload_offset 0
		.amdhsa_user_sgpr_private_segment_size 0
		.amdhsa_uses_dynamic_stack 0
		.amdhsa_enable_private_segment 0
		.amdhsa_system_sgpr_workgroup_id_x 1
		.amdhsa_system_sgpr_workgroup_id_y 0
		.amdhsa_system_sgpr_workgroup_id_z 0
		.amdhsa_system_sgpr_workgroup_info 0
		.amdhsa_system_vgpr_workitem_id 0
		.amdhsa_next_free_vgpr 1
		.amdhsa_next_free_sgpr 0
		.amdhsa_accum_offset 4
		.amdhsa_reserve_vcc 0
		.amdhsa_float_round_mode_32 0
		.amdhsa_float_round_mode_16_64 0
		.amdhsa_float_denorm_mode_32 3
		.amdhsa_float_denorm_mode_16_64 3
		.amdhsa_dx10_clamp 1
		.amdhsa_ieee_mode 1
		.amdhsa_fp16_overflow 0
		.amdhsa_tg_split 0
		.amdhsa_exception_fp_ieee_invalid_op 0
		.amdhsa_exception_fp_denorm_src 0
		.amdhsa_exception_fp_ieee_div_zero 0
		.amdhsa_exception_fp_ieee_overflow 0
		.amdhsa_exception_fp_ieee_underflow 0
		.amdhsa_exception_fp_ieee_inexact 0
		.amdhsa_exception_int_div_zero 0
	.end_amdhsa_kernel
	.section	.text._ZN7rocprim17ROCPRIM_400000_NS6detail17trampoline_kernelINS0_14default_configENS1_25partition_config_selectorILNS1_17partition_subalgoE9EllbEEZZNS1_14partition_implILS5_9ELb0ES3_jPlS8_PNS0_10empty_typeENS0_5tupleIJS8_S9_EEENSB_IJS8_SA_EEENS0_18inequality_wrapperIZN2at6native12_GLOBAL__N_124unique_dim_cuda_templateIbEESt5tupleIJNSF_6TensorESK_SK_EERKSK_lbbbEUlllE0_EEPmJS9_EEE10hipError_tPvRmT3_T4_T5_T6_T7_T9_mT8_P12ihipStream_tbDpT10_ENKUlT_T0_E_clISt17integral_constantIbLb0EES1A_EEDaS15_S16_EUlS15_E_NS1_11comp_targetILNS1_3genE2ELNS1_11target_archE906ELNS1_3gpuE6ELNS1_3repE0EEENS1_30default_config_static_selectorELNS0_4arch9wavefront6targetE1EEEvT1_,"axG",@progbits,_ZN7rocprim17ROCPRIM_400000_NS6detail17trampoline_kernelINS0_14default_configENS1_25partition_config_selectorILNS1_17partition_subalgoE9EllbEEZZNS1_14partition_implILS5_9ELb0ES3_jPlS8_PNS0_10empty_typeENS0_5tupleIJS8_S9_EEENSB_IJS8_SA_EEENS0_18inequality_wrapperIZN2at6native12_GLOBAL__N_124unique_dim_cuda_templateIbEESt5tupleIJNSF_6TensorESK_SK_EERKSK_lbbbEUlllE0_EEPmJS9_EEE10hipError_tPvRmT3_T4_T5_T6_T7_T9_mT8_P12ihipStream_tbDpT10_ENKUlT_T0_E_clISt17integral_constantIbLb0EES1A_EEDaS15_S16_EUlS15_E_NS1_11comp_targetILNS1_3genE2ELNS1_11target_archE906ELNS1_3gpuE6ELNS1_3repE0EEENS1_30default_config_static_selectorELNS0_4arch9wavefront6targetE1EEEvT1_,comdat
.Lfunc_end1087:
	.size	_ZN7rocprim17ROCPRIM_400000_NS6detail17trampoline_kernelINS0_14default_configENS1_25partition_config_selectorILNS1_17partition_subalgoE9EllbEEZZNS1_14partition_implILS5_9ELb0ES3_jPlS8_PNS0_10empty_typeENS0_5tupleIJS8_S9_EEENSB_IJS8_SA_EEENS0_18inequality_wrapperIZN2at6native12_GLOBAL__N_124unique_dim_cuda_templateIbEESt5tupleIJNSF_6TensorESK_SK_EERKSK_lbbbEUlllE0_EEPmJS9_EEE10hipError_tPvRmT3_T4_T5_T6_T7_T9_mT8_P12ihipStream_tbDpT10_ENKUlT_T0_E_clISt17integral_constantIbLb0EES1A_EEDaS15_S16_EUlS15_E_NS1_11comp_targetILNS1_3genE2ELNS1_11target_archE906ELNS1_3gpuE6ELNS1_3repE0EEENS1_30default_config_static_selectorELNS0_4arch9wavefront6targetE1EEEvT1_, .Lfunc_end1087-_ZN7rocprim17ROCPRIM_400000_NS6detail17trampoline_kernelINS0_14default_configENS1_25partition_config_selectorILNS1_17partition_subalgoE9EllbEEZZNS1_14partition_implILS5_9ELb0ES3_jPlS8_PNS0_10empty_typeENS0_5tupleIJS8_S9_EEENSB_IJS8_SA_EEENS0_18inequality_wrapperIZN2at6native12_GLOBAL__N_124unique_dim_cuda_templateIbEESt5tupleIJNSF_6TensorESK_SK_EERKSK_lbbbEUlllE0_EEPmJS9_EEE10hipError_tPvRmT3_T4_T5_T6_T7_T9_mT8_P12ihipStream_tbDpT10_ENKUlT_T0_E_clISt17integral_constantIbLb0EES1A_EEDaS15_S16_EUlS15_E_NS1_11comp_targetILNS1_3genE2ELNS1_11target_archE906ELNS1_3gpuE6ELNS1_3repE0EEENS1_30default_config_static_selectorELNS0_4arch9wavefront6targetE1EEEvT1_
                                        ; -- End function
	.set _ZN7rocprim17ROCPRIM_400000_NS6detail17trampoline_kernelINS0_14default_configENS1_25partition_config_selectorILNS1_17partition_subalgoE9EllbEEZZNS1_14partition_implILS5_9ELb0ES3_jPlS8_PNS0_10empty_typeENS0_5tupleIJS8_S9_EEENSB_IJS8_SA_EEENS0_18inequality_wrapperIZN2at6native12_GLOBAL__N_124unique_dim_cuda_templateIbEESt5tupleIJNSF_6TensorESK_SK_EERKSK_lbbbEUlllE0_EEPmJS9_EEE10hipError_tPvRmT3_T4_T5_T6_T7_T9_mT8_P12ihipStream_tbDpT10_ENKUlT_T0_E_clISt17integral_constantIbLb0EES1A_EEDaS15_S16_EUlS15_E_NS1_11comp_targetILNS1_3genE2ELNS1_11target_archE906ELNS1_3gpuE6ELNS1_3repE0EEENS1_30default_config_static_selectorELNS0_4arch9wavefront6targetE1EEEvT1_.num_vgpr, 0
	.set _ZN7rocprim17ROCPRIM_400000_NS6detail17trampoline_kernelINS0_14default_configENS1_25partition_config_selectorILNS1_17partition_subalgoE9EllbEEZZNS1_14partition_implILS5_9ELb0ES3_jPlS8_PNS0_10empty_typeENS0_5tupleIJS8_S9_EEENSB_IJS8_SA_EEENS0_18inequality_wrapperIZN2at6native12_GLOBAL__N_124unique_dim_cuda_templateIbEESt5tupleIJNSF_6TensorESK_SK_EERKSK_lbbbEUlllE0_EEPmJS9_EEE10hipError_tPvRmT3_T4_T5_T6_T7_T9_mT8_P12ihipStream_tbDpT10_ENKUlT_T0_E_clISt17integral_constantIbLb0EES1A_EEDaS15_S16_EUlS15_E_NS1_11comp_targetILNS1_3genE2ELNS1_11target_archE906ELNS1_3gpuE6ELNS1_3repE0EEENS1_30default_config_static_selectorELNS0_4arch9wavefront6targetE1EEEvT1_.num_agpr, 0
	.set _ZN7rocprim17ROCPRIM_400000_NS6detail17trampoline_kernelINS0_14default_configENS1_25partition_config_selectorILNS1_17partition_subalgoE9EllbEEZZNS1_14partition_implILS5_9ELb0ES3_jPlS8_PNS0_10empty_typeENS0_5tupleIJS8_S9_EEENSB_IJS8_SA_EEENS0_18inequality_wrapperIZN2at6native12_GLOBAL__N_124unique_dim_cuda_templateIbEESt5tupleIJNSF_6TensorESK_SK_EERKSK_lbbbEUlllE0_EEPmJS9_EEE10hipError_tPvRmT3_T4_T5_T6_T7_T9_mT8_P12ihipStream_tbDpT10_ENKUlT_T0_E_clISt17integral_constantIbLb0EES1A_EEDaS15_S16_EUlS15_E_NS1_11comp_targetILNS1_3genE2ELNS1_11target_archE906ELNS1_3gpuE6ELNS1_3repE0EEENS1_30default_config_static_selectorELNS0_4arch9wavefront6targetE1EEEvT1_.numbered_sgpr, 0
	.set _ZN7rocprim17ROCPRIM_400000_NS6detail17trampoline_kernelINS0_14default_configENS1_25partition_config_selectorILNS1_17partition_subalgoE9EllbEEZZNS1_14partition_implILS5_9ELb0ES3_jPlS8_PNS0_10empty_typeENS0_5tupleIJS8_S9_EEENSB_IJS8_SA_EEENS0_18inequality_wrapperIZN2at6native12_GLOBAL__N_124unique_dim_cuda_templateIbEESt5tupleIJNSF_6TensorESK_SK_EERKSK_lbbbEUlllE0_EEPmJS9_EEE10hipError_tPvRmT3_T4_T5_T6_T7_T9_mT8_P12ihipStream_tbDpT10_ENKUlT_T0_E_clISt17integral_constantIbLb0EES1A_EEDaS15_S16_EUlS15_E_NS1_11comp_targetILNS1_3genE2ELNS1_11target_archE906ELNS1_3gpuE6ELNS1_3repE0EEENS1_30default_config_static_selectorELNS0_4arch9wavefront6targetE1EEEvT1_.num_named_barrier, 0
	.set _ZN7rocprim17ROCPRIM_400000_NS6detail17trampoline_kernelINS0_14default_configENS1_25partition_config_selectorILNS1_17partition_subalgoE9EllbEEZZNS1_14partition_implILS5_9ELb0ES3_jPlS8_PNS0_10empty_typeENS0_5tupleIJS8_S9_EEENSB_IJS8_SA_EEENS0_18inequality_wrapperIZN2at6native12_GLOBAL__N_124unique_dim_cuda_templateIbEESt5tupleIJNSF_6TensorESK_SK_EERKSK_lbbbEUlllE0_EEPmJS9_EEE10hipError_tPvRmT3_T4_T5_T6_T7_T9_mT8_P12ihipStream_tbDpT10_ENKUlT_T0_E_clISt17integral_constantIbLb0EES1A_EEDaS15_S16_EUlS15_E_NS1_11comp_targetILNS1_3genE2ELNS1_11target_archE906ELNS1_3gpuE6ELNS1_3repE0EEENS1_30default_config_static_selectorELNS0_4arch9wavefront6targetE1EEEvT1_.private_seg_size, 0
	.set _ZN7rocprim17ROCPRIM_400000_NS6detail17trampoline_kernelINS0_14default_configENS1_25partition_config_selectorILNS1_17partition_subalgoE9EllbEEZZNS1_14partition_implILS5_9ELb0ES3_jPlS8_PNS0_10empty_typeENS0_5tupleIJS8_S9_EEENSB_IJS8_SA_EEENS0_18inequality_wrapperIZN2at6native12_GLOBAL__N_124unique_dim_cuda_templateIbEESt5tupleIJNSF_6TensorESK_SK_EERKSK_lbbbEUlllE0_EEPmJS9_EEE10hipError_tPvRmT3_T4_T5_T6_T7_T9_mT8_P12ihipStream_tbDpT10_ENKUlT_T0_E_clISt17integral_constantIbLb0EES1A_EEDaS15_S16_EUlS15_E_NS1_11comp_targetILNS1_3genE2ELNS1_11target_archE906ELNS1_3gpuE6ELNS1_3repE0EEENS1_30default_config_static_selectorELNS0_4arch9wavefront6targetE1EEEvT1_.uses_vcc, 0
	.set _ZN7rocprim17ROCPRIM_400000_NS6detail17trampoline_kernelINS0_14default_configENS1_25partition_config_selectorILNS1_17partition_subalgoE9EllbEEZZNS1_14partition_implILS5_9ELb0ES3_jPlS8_PNS0_10empty_typeENS0_5tupleIJS8_S9_EEENSB_IJS8_SA_EEENS0_18inequality_wrapperIZN2at6native12_GLOBAL__N_124unique_dim_cuda_templateIbEESt5tupleIJNSF_6TensorESK_SK_EERKSK_lbbbEUlllE0_EEPmJS9_EEE10hipError_tPvRmT3_T4_T5_T6_T7_T9_mT8_P12ihipStream_tbDpT10_ENKUlT_T0_E_clISt17integral_constantIbLb0EES1A_EEDaS15_S16_EUlS15_E_NS1_11comp_targetILNS1_3genE2ELNS1_11target_archE906ELNS1_3gpuE6ELNS1_3repE0EEENS1_30default_config_static_selectorELNS0_4arch9wavefront6targetE1EEEvT1_.uses_flat_scratch, 0
	.set _ZN7rocprim17ROCPRIM_400000_NS6detail17trampoline_kernelINS0_14default_configENS1_25partition_config_selectorILNS1_17partition_subalgoE9EllbEEZZNS1_14partition_implILS5_9ELb0ES3_jPlS8_PNS0_10empty_typeENS0_5tupleIJS8_S9_EEENSB_IJS8_SA_EEENS0_18inequality_wrapperIZN2at6native12_GLOBAL__N_124unique_dim_cuda_templateIbEESt5tupleIJNSF_6TensorESK_SK_EERKSK_lbbbEUlllE0_EEPmJS9_EEE10hipError_tPvRmT3_T4_T5_T6_T7_T9_mT8_P12ihipStream_tbDpT10_ENKUlT_T0_E_clISt17integral_constantIbLb0EES1A_EEDaS15_S16_EUlS15_E_NS1_11comp_targetILNS1_3genE2ELNS1_11target_archE906ELNS1_3gpuE6ELNS1_3repE0EEENS1_30default_config_static_selectorELNS0_4arch9wavefront6targetE1EEEvT1_.has_dyn_sized_stack, 0
	.set _ZN7rocprim17ROCPRIM_400000_NS6detail17trampoline_kernelINS0_14default_configENS1_25partition_config_selectorILNS1_17partition_subalgoE9EllbEEZZNS1_14partition_implILS5_9ELb0ES3_jPlS8_PNS0_10empty_typeENS0_5tupleIJS8_S9_EEENSB_IJS8_SA_EEENS0_18inequality_wrapperIZN2at6native12_GLOBAL__N_124unique_dim_cuda_templateIbEESt5tupleIJNSF_6TensorESK_SK_EERKSK_lbbbEUlllE0_EEPmJS9_EEE10hipError_tPvRmT3_T4_T5_T6_T7_T9_mT8_P12ihipStream_tbDpT10_ENKUlT_T0_E_clISt17integral_constantIbLb0EES1A_EEDaS15_S16_EUlS15_E_NS1_11comp_targetILNS1_3genE2ELNS1_11target_archE906ELNS1_3gpuE6ELNS1_3repE0EEENS1_30default_config_static_selectorELNS0_4arch9wavefront6targetE1EEEvT1_.has_recursion, 0
	.set _ZN7rocprim17ROCPRIM_400000_NS6detail17trampoline_kernelINS0_14default_configENS1_25partition_config_selectorILNS1_17partition_subalgoE9EllbEEZZNS1_14partition_implILS5_9ELb0ES3_jPlS8_PNS0_10empty_typeENS0_5tupleIJS8_S9_EEENSB_IJS8_SA_EEENS0_18inequality_wrapperIZN2at6native12_GLOBAL__N_124unique_dim_cuda_templateIbEESt5tupleIJNSF_6TensorESK_SK_EERKSK_lbbbEUlllE0_EEPmJS9_EEE10hipError_tPvRmT3_T4_T5_T6_T7_T9_mT8_P12ihipStream_tbDpT10_ENKUlT_T0_E_clISt17integral_constantIbLb0EES1A_EEDaS15_S16_EUlS15_E_NS1_11comp_targetILNS1_3genE2ELNS1_11target_archE906ELNS1_3gpuE6ELNS1_3repE0EEENS1_30default_config_static_selectorELNS0_4arch9wavefront6targetE1EEEvT1_.has_indirect_call, 0
	.section	.AMDGPU.csdata,"",@progbits
; Kernel info:
; codeLenInByte = 0
; TotalNumSgprs: 6
; NumVgprs: 0
; NumAgprs: 0
; TotalNumVgprs: 0
; ScratchSize: 0
; MemoryBound: 0
; FloatMode: 240
; IeeeMode: 1
; LDSByteSize: 0 bytes/workgroup (compile time only)
; SGPRBlocks: 0
; VGPRBlocks: 0
; NumSGPRsForWavesPerEU: 6
; NumVGPRsForWavesPerEU: 1
; AccumOffset: 4
; Occupancy: 8
; WaveLimiterHint : 0
; COMPUTE_PGM_RSRC2:SCRATCH_EN: 0
; COMPUTE_PGM_RSRC2:USER_SGPR: 2
; COMPUTE_PGM_RSRC2:TRAP_HANDLER: 0
; COMPUTE_PGM_RSRC2:TGID_X_EN: 1
; COMPUTE_PGM_RSRC2:TGID_Y_EN: 0
; COMPUTE_PGM_RSRC2:TGID_Z_EN: 0
; COMPUTE_PGM_RSRC2:TIDIG_COMP_CNT: 0
; COMPUTE_PGM_RSRC3_GFX90A:ACCUM_OFFSET: 0
; COMPUTE_PGM_RSRC3_GFX90A:TG_SPLIT: 0
	.section	.text._ZN7rocprim17ROCPRIM_400000_NS6detail17trampoline_kernelINS0_14default_configENS1_25partition_config_selectorILNS1_17partition_subalgoE9EllbEEZZNS1_14partition_implILS5_9ELb0ES3_jPlS8_PNS0_10empty_typeENS0_5tupleIJS8_S9_EEENSB_IJS8_SA_EEENS0_18inequality_wrapperIZN2at6native12_GLOBAL__N_124unique_dim_cuda_templateIbEESt5tupleIJNSF_6TensorESK_SK_EERKSK_lbbbEUlllE0_EEPmJS9_EEE10hipError_tPvRmT3_T4_T5_T6_T7_T9_mT8_P12ihipStream_tbDpT10_ENKUlT_T0_E_clISt17integral_constantIbLb0EES1A_EEDaS15_S16_EUlS15_E_NS1_11comp_targetILNS1_3genE10ELNS1_11target_archE1200ELNS1_3gpuE4ELNS1_3repE0EEENS1_30default_config_static_selectorELNS0_4arch9wavefront6targetE1EEEvT1_,"axG",@progbits,_ZN7rocprim17ROCPRIM_400000_NS6detail17trampoline_kernelINS0_14default_configENS1_25partition_config_selectorILNS1_17partition_subalgoE9EllbEEZZNS1_14partition_implILS5_9ELb0ES3_jPlS8_PNS0_10empty_typeENS0_5tupleIJS8_S9_EEENSB_IJS8_SA_EEENS0_18inequality_wrapperIZN2at6native12_GLOBAL__N_124unique_dim_cuda_templateIbEESt5tupleIJNSF_6TensorESK_SK_EERKSK_lbbbEUlllE0_EEPmJS9_EEE10hipError_tPvRmT3_T4_T5_T6_T7_T9_mT8_P12ihipStream_tbDpT10_ENKUlT_T0_E_clISt17integral_constantIbLb0EES1A_EEDaS15_S16_EUlS15_E_NS1_11comp_targetILNS1_3genE10ELNS1_11target_archE1200ELNS1_3gpuE4ELNS1_3repE0EEENS1_30default_config_static_selectorELNS0_4arch9wavefront6targetE1EEEvT1_,comdat
	.globl	_ZN7rocprim17ROCPRIM_400000_NS6detail17trampoline_kernelINS0_14default_configENS1_25partition_config_selectorILNS1_17partition_subalgoE9EllbEEZZNS1_14partition_implILS5_9ELb0ES3_jPlS8_PNS0_10empty_typeENS0_5tupleIJS8_S9_EEENSB_IJS8_SA_EEENS0_18inequality_wrapperIZN2at6native12_GLOBAL__N_124unique_dim_cuda_templateIbEESt5tupleIJNSF_6TensorESK_SK_EERKSK_lbbbEUlllE0_EEPmJS9_EEE10hipError_tPvRmT3_T4_T5_T6_T7_T9_mT8_P12ihipStream_tbDpT10_ENKUlT_T0_E_clISt17integral_constantIbLb0EES1A_EEDaS15_S16_EUlS15_E_NS1_11comp_targetILNS1_3genE10ELNS1_11target_archE1200ELNS1_3gpuE4ELNS1_3repE0EEENS1_30default_config_static_selectorELNS0_4arch9wavefront6targetE1EEEvT1_ ; -- Begin function _ZN7rocprim17ROCPRIM_400000_NS6detail17trampoline_kernelINS0_14default_configENS1_25partition_config_selectorILNS1_17partition_subalgoE9EllbEEZZNS1_14partition_implILS5_9ELb0ES3_jPlS8_PNS0_10empty_typeENS0_5tupleIJS8_S9_EEENSB_IJS8_SA_EEENS0_18inequality_wrapperIZN2at6native12_GLOBAL__N_124unique_dim_cuda_templateIbEESt5tupleIJNSF_6TensorESK_SK_EERKSK_lbbbEUlllE0_EEPmJS9_EEE10hipError_tPvRmT3_T4_T5_T6_T7_T9_mT8_P12ihipStream_tbDpT10_ENKUlT_T0_E_clISt17integral_constantIbLb0EES1A_EEDaS15_S16_EUlS15_E_NS1_11comp_targetILNS1_3genE10ELNS1_11target_archE1200ELNS1_3gpuE4ELNS1_3repE0EEENS1_30default_config_static_selectorELNS0_4arch9wavefront6targetE1EEEvT1_
	.p2align	8
	.type	_ZN7rocprim17ROCPRIM_400000_NS6detail17trampoline_kernelINS0_14default_configENS1_25partition_config_selectorILNS1_17partition_subalgoE9EllbEEZZNS1_14partition_implILS5_9ELb0ES3_jPlS8_PNS0_10empty_typeENS0_5tupleIJS8_S9_EEENSB_IJS8_SA_EEENS0_18inequality_wrapperIZN2at6native12_GLOBAL__N_124unique_dim_cuda_templateIbEESt5tupleIJNSF_6TensorESK_SK_EERKSK_lbbbEUlllE0_EEPmJS9_EEE10hipError_tPvRmT3_T4_T5_T6_T7_T9_mT8_P12ihipStream_tbDpT10_ENKUlT_T0_E_clISt17integral_constantIbLb0EES1A_EEDaS15_S16_EUlS15_E_NS1_11comp_targetILNS1_3genE10ELNS1_11target_archE1200ELNS1_3gpuE4ELNS1_3repE0EEENS1_30default_config_static_selectorELNS0_4arch9wavefront6targetE1EEEvT1_,@function
_ZN7rocprim17ROCPRIM_400000_NS6detail17trampoline_kernelINS0_14default_configENS1_25partition_config_selectorILNS1_17partition_subalgoE9EllbEEZZNS1_14partition_implILS5_9ELb0ES3_jPlS8_PNS0_10empty_typeENS0_5tupleIJS8_S9_EEENSB_IJS8_SA_EEENS0_18inequality_wrapperIZN2at6native12_GLOBAL__N_124unique_dim_cuda_templateIbEESt5tupleIJNSF_6TensorESK_SK_EERKSK_lbbbEUlllE0_EEPmJS9_EEE10hipError_tPvRmT3_T4_T5_T6_T7_T9_mT8_P12ihipStream_tbDpT10_ENKUlT_T0_E_clISt17integral_constantIbLb0EES1A_EEDaS15_S16_EUlS15_E_NS1_11comp_targetILNS1_3genE10ELNS1_11target_archE1200ELNS1_3gpuE4ELNS1_3repE0EEENS1_30default_config_static_selectorELNS0_4arch9wavefront6targetE1EEEvT1_: ; @_ZN7rocprim17ROCPRIM_400000_NS6detail17trampoline_kernelINS0_14default_configENS1_25partition_config_selectorILNS1_17partition_subalgoE9EllbEEZZNS1_14partition_implILS5_9ELb0ES3_jPlS8_PNS0_10empty_typeENS0_5tupleIJS8_S9_EEENSB_IJS8_SA_EEENS0_18inequality_wrapperIZN2at6native12_GLOBAL__N_124unique_dim_cuda_templateIbEESt5tupleIJNSF_6TensorESK_SK_EERKSK_lbbbEUlllE0_EEPmJS9_EEE10hipError_tPvRmT3_T4_T5_T6_T7_T9_mT8_P12ihipStream_tbDpT10_ENKUlT_T0_E_clISt17integral_constantIbLb0EES1A_EEDaS15_S16_EUlS15_E_NS1_11comp_targetILNS1_3genE10ELNS1_11target_archE1200ELNS1_3gpuE4ELNS1_3repE0EEENS1_30default_config_static_selectorELNS0_4arch9wavefront6targetE1EEEvT1_
; %bb.0:
	.section	.rodata,"a",@progbits
	.p2align	6, 0x0
	.amdhsa_kernel _ZN7rocprim17ROCPRIM_400000_NS6detail17trampoline_kernelINS0_14default_configENS1_25partition_config_selectorILNS1_17partition_subalgoE9EllbEEZZNS1_14partition_implILS5_9ELb0ES3_jPlS8_PNS0_10empty_typeENS0_5tupleIJS8_S9_EEENSB_IJS8_SA_EEENS0_18inequality_wrapperIZN2at6native12_GLOBAL__N_124unique_dim_cuda_templateIbEESt5tupleIJNSF_6TensorESK_SK_EERKSK_lbbbEUlllE0_EEPmJS9_EEE10hipError_tPvRmT3_T4_T5_T6_T7_T9_mT8_P12ihipStream_tbDpT10_ENKUlT_T0_E_clISt17integral_constantIbLb0EES1A_EEDaS15_S16_EUlS15_E_NS1_11comp_targetILNS1_3genE10ELNS1_11target_archE1200ELNS1_3gpuE4ELNS1_3repE0EEENS1_30default_config_static_selectorELNS0_4arch9wavefront6targetE1EEEvT1_
		.amdhsa_group_segment_fixed_size 0
		.amdhsa_private_segment_fixed_size 0
		.amdhsa_kernarg_size 120
		.amdhsa_user_sgpr_count 2
		.amdhsa_user_sgpr_dispatch_ptr 0
		.amdhsa_user_sgpr_queue_ptr 0
		.amdhsa_user_sgpr_kernarg_segment_ptr 1
		.amdhsa_user_sgpr_dispatch_id 0
		.amdhsa_user_sgpr_kernarg_preload_length 0
		.amdhsa_user_sgpr_kernarg_preload_offset 0
		.amdhsa_user_sgpr_private_segment_size 0
		.amdhsa_uses_dynamic_stack 0
		.amdhsa_enable_private_segment 0
		.amdhsa_system_sgpr_workgroup_id_x 1
		.amdhsa_system_sgpr_workgroup_id_y 0
		.amdhsa_system_sgpr_workgroup_id_z 0
		.amdhsa_system_sgpr_workgroup_info 0
		.amdhsa_system_vgpr_workitem_id 0
		.amdhsa_next_free_vgpr 1
		.amdhsa_next_free_sgpr 0
		.amdhsa_accum_offset 4
		.amdhsa_reserve_vcc 0
		.amdhsa_float_round_mode_32 0
		.amdhsa_float_round_mode_16_64 0
		.amdhsa_float_denorm_mode_32 3
		.amdhsa_float_denorm_mode_16_64 3
		.amdhsa_dx10_clamp 1
		.amdhsa_ieee_mode 1
		.amdhsa_fp16_overflow 0
		.amdhsa_tg_split 0
		.amdhsa_exception_fp_ieee_invalid_op 0
		.amdhsa_exception_fp_denorm_src 0
		.amdhsa_exception_fp_ieee_div_zero 0
		.amdhsa_exception_fp_ieee_overflow 0
		.amdhsa_exception_fp_ieee_underflow 0
		.amdhsa_exception_fp_ieee_inexact 0
		.amdhsa_exception_int_div_zero 0
	.end_amdhsa_kernel
	.section	.text._ZN7rocprim17ROCPRIM_400000_NS6detail17trampoline_kernelINS0_14default_configENS1_25partition_config_selectorILNS1_17partition_subalgoE9EllbEEZZNS1_14partition_implILS5_9ELb0ES3_jPlS8_PNS0_10empty_typeENS0_5tupleIJS8_S9_EEENSB_IJS8_SA_EEENS0_18inequality_wrapperIZN2at6native12_GLOBAL__N_124unique_dim_cuda_templateIbEESt5tupleIJNSF_6TensorESK_SK_EERKSK_lbbbEUlllE0_EEPmJS9_EEE10hipError_tPvRmT3_T4_T5_T6_T7_T9_mT8_P12ihipStream_tbDpT10_ENKUlT_T0_E_clISt17integral_constantIbLb0EES1A_EEDaS15_S16_EUlS15_E_NS1_11comp_targetILNS1_3genE10ELNS1_11target_archE1200ELNS1_3gpuE4ELNS1_3repE0EEENS1_30default_config_static_selectorELNS0_4arch9wavefront6targetE1EEEvT1_,"axG",@progbits,_ZN7rocprim17ROCPRIM_400000_NS6detail17trampoline_kernelINS0_14default_configENS1_25partition_config_selectorILNS1_17partition_subalgoE9EllbEEZZNS1_14partition_implILS5_9ELb0ES3_jPlS8_PNS0_10empty_typeENS0_5tupleIJS8_S9_EEENSB_IJS8_SA_EEENS0_18inequality_wrapperIZN2at6native12_GLOBAL__N_124unique_dim_cuda_templateIbEESt5tupleIJNSF_6TensorESK_SK_EERKSK_lbbbEUlllE0_EEPmJS9_EEE10hipError_tPvRmT3_T4_T5_T6_T7_T9_mT8_P12ihipStream_tbDpT10_ENKUlT_T0_E_clISt17integral_constantIbLb0EES1A_EEDaS15_S16_EUlS15_E_NS1_11comp_targetILNS1_3genE10ELNS1_11target_archE1200ELNS1_3gpuE4ELNS1_3repE0EEENS1_30default_config_static_selectorELNS0_4arch9wavefront6targetE1EEEvT1_,comdat
.Lfunc_end1088:
	.size	_ZN7rocprim17ROCPRIM_400000_NS6detail17trampoline_kernelINS0_14default_configENS1_25partition_config_selectorILNS1_17partition_subalgoE9EllbEEZZNS1_14partition_implILS5_9ELb0ES3_jPlS8_PNS0_10empty_typeENS0_5tupleIJS8_S9_EEENSB_IJS8_SA_EEENS0_18inequality_wrapperIZN2at6native12_GLOBAL__N_124unique_dim_cuda_templateIbEESt5tupleIJNSF_6TensorESK_SK_EERKSK_lbbbEUlllE0_EEPmJS9_EEE10hipError_tPvRmT3_T4_T5_T6_T7_T9_mT8_P12ihipStream_tbDpT10_ENKUlT_T0_E_clISt17integral_constantIbLb0EES1A_EEDaS15_S16_EUlS15_E_NS1_11comp_targetILNS1_3genE10ELNS1_11target_archE1200ELNS1_3gpuE4ELNS1_3repE0EEENS1_30default_config_static_selectorELNS0_4arch9wavefront6targetE1EEEvT1_, .Lfunc_end1088-_ZN7rocprim17ROCPRIM_400000_NS6detail17trampoline_kernelINS0_14default_configENS1_25partition_config_selectorILNS1_17partition_subalgoE9EllbEEZZNS1_14partition_implILS5_9ELb0ES3_jPlS8_PNS0_10empty_typeENS0_5tupleIJS8_S9_EEENSB_IJS8_SA_EEENS0_18inequality_wrapperIZN2at6native12_GLOBAL__N_124unique_dim_cuda_templateIbEESt5tupleIJNSF_6TensorESK_SK_EERKSK_lbbbEUlllE0_EEPmJS9_EEE10hipError_tPvRmT3_T4_T5_T6_T7_T9_mT8_P12ihipStream_tbDpT10_ENKUlT_T0_E_clISt17integral_constantIbLb0EES1A_EEDaS15_S16_EUlS15_E_NS1_11comp_targetILNS1_3genE10ELNS1_11target_archE1200ELNS1_3gpuE4ELNS1_3repE0EEENS1_30default_config_static_selectorELNS0_4arch9wavefront6targetE1EEEvT1_
                                        ; -- End function
	.set _ZN7rocprim17ROCPRIM_400000_NS6detail17trampoline_kernelINS0_14default_configENS1_25partition_config_selectorILNS1_17partition_subalgoE9EllbEEZZNS1_14partition_implILS5_9ELb0ES3_jPlS8_PNS0_10empty_typeENS0_5tupleIJS8_S9_EEENSB_IJS8_SA_EEENS0_18inequality_wrapperIZN2at6native12_GLOBAL__N_124unique_dim_cuda_templateIbEESt5tupleIJNSF_6TensorESK_SK_EERKSK_lbbbEUlllE0_EEPmJS9_EEE10hipError_tPvRmT3_T4_T5_T6_T7_T9_mT8_P12ihipStream_tbDpT10_ENKUlT_T0_E_clISt17integral_constantIbLb0EES1A_EEDaS15_S16_EUlS15_E_NS1_11comp_targetILNS1_3genE10ELNS1_11target_archE1200ELNS1_3gpuE4ELNS1_3repE0EEENS1_30default_config_static_selectorELNS0_4arch9wavefront6targetE1EEEvT1_.num_vgpr, 0
	.set _ZN7rocprim17ROCPRIM_400000_NS6detail17trampoline_kernelINS0_14default_configENS1_25partition_config_selectorILNS1_17partition_subalgoE9EllbEEZZNS1_14partition_implILS5_9ELb0ES3_jPlS8_PNS0_10empty_typeENS0_5tupleIJS8_S9_EEENSB_IJS8_SA_EEENS0_18inequality_wrapperIZN2at6native12_GLOBAL__N_124unique_dim_cuda_templateIbEESt5tupleIJNSF_6TensorESK_SK_EERKSK_lbbbEUlllE0_EEPmJS9_EEE10hipError_tPvRmT3_T4_T5_T6_T7_T9_mT8_P12ihipStream_tbDpT10_ENKUlT_T0_E_clISt17integral_constantIbLb0EES1A_EEDaS15_S16_EUlS15_E_NS1_11comp_targetILNS1_3genE10ELNS1_11target_archE1200ELNS1_3gpuE4ELNS1_3repE0EEENS1_30default_config_static_selectorELNS0_4arch9wavefront6targetE1EEEvT1_.num_agpr, 0
	.set _ZN7rocprim17ROCPRIM_400000_NS6detail17trampoline_kernelINS0_14default_configENS1_25partition_config_selectorILNS1_17partition_subalgoE9EllbEEZZNS1_14partition_implILS5_9ELb0ES3_jPlS8_PNS0_10empty_typeENS0_5tupleIJS8_S9_EEENSB_IJS8_SA_EEENS0_18inequality_wrapperIZN2at6native12_GLOBAL__N_124unique_dim_cuda_templateIbEESt5tupleIJNSF_6TensorESK_SK_EERKSK_lbbbEUlllE0_EEPmJS9_EEE10hipError_tPvRmT3_T4_T5_T6_T7_T9_mT8_P12ihipStream_tbDpT10_ENKUlT_T0_E_clISt17integral_constantIbLb0EES1A_EEDaS15_S16_EUlS15_E_NS1_11comp_targetILNS1_3genE10ELNS1_11target_archE1200ELNS1_3gpuE4ELNS1_3repE0EEENS1_30default_config_static_selectorELNS0_4arch9wavefront6targetE1EEEvT1_.numbered_sgpr, 0
	.set _ZN7rocprim17ROCPRIM_400000_NS6detail17trampoline_kernelINS0_14default_configENS1_25partition_config_selectorILNS1_17partition_subalgoE9EllbEEZZNS1_14partition_implILS5_9ELb0ES3_jPlS8_PNS0_10empty_typeENS0_5tupleIJS8_S9_EEENSB_IJS8_SA_EEENS0_18inequality_wrapperIZN2at6native12_GLOBAL__N_124unique_dim_cuda_templateIbEESt5tupleIJNSF_6TensorESK_SK_EERKSK_lbbbEUlllE0_EEPmJS9_EEE10hipError_tPvRmT3_T4_T5_T6_T7_T9_mT8_P12ihipStream_tbDpT10_ENKUlT_T0_E_clISt17integral_constantIbLb0EES1A_EEDaS15_S16_EUlS15_E_NS1_11comp_targetILNS1_3genE10ELNS1_11target_archE1200ELNS1_3gpuE4ELNS1_3repE0EEENS1_30default_config_static_selectorELNS0_4arch9wavefront6targetE1EEEvT1_.num_named_barrier, 0
	.set _ZN7rocprim17ROCPRIM_400000_NS6detail17trampoline_kernelINS0_14default_configENS1_25partition_config_selectorILNS1_17partition_subalgoE9EllbEEZZNS1_14partition_implILS5_9ELb0ES3_jPlS8_PNS0_10empty_typeENS0_5tupleIJS8_S9_EEENSB_IJS8_SA_EEENS0_18inequality_wrapperIZN2at6native12_GLOBAL__N_124unique_dim_cuda_templateIbEESt5tupleIJNSF_6TensorESK_SK_EERKSK_lbbbEUlllE0_EEPmJS9_EEE10hipError_tPvRmT3_T4_T5_T6_T7_T9_mT8_P12ihipStream_tbDpT10_ENKUlT_T0_E_clISt17integral_constantIbLb0EES1A_EEDaS15_S16_EUlS15_E_NS1_11comp_targetILNS1_3genE10ELNS1_11target_archE1200ELNS1_3gpuE4ELNS1_3repE0EEENS1_30default_config_static_selectorELNS0_4arch9wavefront6targetE1EEEvT1_.private_seg_size, 0
	.set _ZN7rocprim17ROCPRIM_400000_NS6detail17trampoline_kernelINS0_14default_configENS1_25partition_config_selectorILNS1_17partition_subalgoE9EllbEEZZNS1_14partition_implILS5_9ELb0ES3_jPlS8_PNS0_10empty_typeENS0_5tupleIJS8_S9_EEENSB_IJS8_SA_EEENS0_18inequality_wrapperIZN2at6native12_GLOBAL__N_124unique_dim_cuda_templateIbEESt5tupleIJNSF_6TensorESK_SK_EERKSK_lbbbEUlllE0_EEPmJS9_EEE10hipError_tPvRmT3_T4_T5_T6_T7_T9_mT8_P12ihipStream_tbDpT10_ENKUlT_T0_E_clISt17integral_constantIbLb0EES1A_EEDaS15_S16_EUlS15_E_NS1_11comp_targetILNS1_3genE10ELNS1_11target_archE1200ELNS1_3gpuE4ELNS1_3repE0EEENS1_30default_config_static_selectorELNS0_4arch9wavefront6targetE1EEEvT1_.uses_vcc, 0
	.set _ZN7rocprim17ROCPRIM_400000_NS6detail17trampoline_kernelINS0_14default_configENS1_25partition_config_selectorILNS1_17partition_subalgoE9EllbEEZZNS1_14partition_implILS5_9ELb0ES3_jPlS8_PNS0_10empty_typeENS0_5tupleIJS8_S9_EEENSB_IJS8_SA_EEENS0_18inequality_wrapperIZN2at6native12_GLOBAL__N_124unique_dim_cuda_templateIbEESt5tupleIJNSF_6TensorESK_SK_EERKSK_lbbbEUlllE0_EEPmJS9_EEE10hipError_tPvRmT3_T4_T5_T6_T7_T9_mT8_P12ihipStream_tbDpT10_ENKUlT_T0_E_clISt17integral_constantIbLb0EES1A_EEDaS15_S16_EUlS15_E_NS1_11comp_targetILNS1_3genE10ELNS1_11target_archE1200ELNS1_3gpuE4ELNS1_3repE0EEENS1_30default_config_static_selectorELNS0_4arch9wavefront6targetE1EEEvT1_.uses_flat_scratch, 0
	.set _ZN7rocprim17ROCPRIM_400000_NS6detail17trampoline_kernelINS0_14default_configENS1_25partition_config_selectorILNS1_17partition_subalgoE9EllbEEZZNS1_14partition_implILS5_9ELb0ES3_jPlS8_PNS0_10empty_typeENS0_5tupleIJS8_S9_EEENSB_IJS8_SA_EEENS0_18inequality_wrapperIZN2at6native12_GLOBAL__N_124unique_dim_cuda_templateIbEESt5tupleIJNSF_6TensorESK_SK_EERKSK_lbbbEUlllE0_EEPmJS9_EEE10hipError_tPvRmT3_T4_T5_T6_T7_T9_mT8_P12ihipStream_tbDpT10_ENKUlT_T0_E_clISt17integral_constantIbLb0EES1A_EEDaS15_S16_EUlS15_E_NS1_11comp_targetILNS1_3genE10ELNS1_11target_archE1200ELNS1_3gpuE4ELNS1_3repE0EEENS1_30default_config_static_selectorELNS0_4arch9wavefront6targetE1EEEvT1_.has_dyn_sized_stack, 0
	.set _ZN7rocprim17ROCPRIM_400000_NS6detail17trampoline_kernelINS0_14default_configENS1_25partition_config_selectorILNS1_17partition_subalgoE9EllbEEZZNS1_14partition_implILS5_9ELb0ES3_jPlS8_PNS0_10empty_typeENS0_5tupleIJS8_S9_EEENSB_IJS8_SA_EEENS0_18inequality_wrapperIZN2at6native12_GLOBAL__N_124unique_dim_cuda_templateIbEESt5tupleIJNSF_6TensorESK_SK_EERKSK_lbbbEUlllE0_EEPmJS9_EEE10hipError_tPvRmT3_T4_T5_T6_T7_T9_mT8_P12ihipStream_tbDpT10_ENKUlT_T0_E_clISt17integral_constantIbLb0EES1A_EEDaS15_S16_EUlS15_E_NS1_11comp_targetILNS1_3genE10ELNS1_11target_archE1200ELNS1_3gpuE4ELNS1_3repE0EEENS1_30default_config_static_selectorELNS0_4arch9wavefront6targetE1EEEvT1_.has_recursion, 0
	.set _ZN7rocprim17ROCPRIM_400000_NS6detail17trampoline_kernelINS0_14default_configENS1_25partition_config_selectorILNS1_17partition_subalgoE9EllbEEZZNS1_14partition_implILS5_9ELb0ES3_jPlS8_PNS0_10empty_typeENS0_5tupleIJS8_S9_EEENSB_IJS8_SA_EEENS0_18inequality_wrapperIZN2at6native12_GLOBAL__N_124unique_dim_cuda_templateIbEESt5tupleIJNSF_6TensorESK_SK_EERKSK_lbbbEUlllE0_EEPmJS9_EEE10hipError_tPvRmT3_T4_T5_T6_T7_T9_mT8_P12ihipStream_tbDpT10_ENKUlT_T0_E_clISt17integral_constantIbLb0EES1A_EEDaS15_S16_EUlS15_E_NS1_11comp_targetILNS1_3genE10ELNS1_11target_archE1200ELNS1_3gpuE4ELNS1_3repE0EEENS1_30default_config_static_selectorELNS0_4arch9wavefront6targetE1EEEvT1_.has_indirect_call, 0
	.section	.AMDGPU.csdata,"",@progbits
; Kernel info:
; codeLenInByte = 0
; TotalNumSgprs: 6
; NumVgprs: 0
; NumAgprs: 0
; TotalNumVgprs: 0
; ScratchSize: 0
; MemoryBound: 0
; FloatMode: 240
; IeeeMode: 1
; LDSByteSize: 0 bytes/workgroup (compile time only)
; SGPRBlocks: 0
; VGPRBlocks: 0
; NumSGPRsForWavesPerEU: 6
; NumVGPRsForWavesPerEU: 1
; AccumOffset: 4
; Occupancy: 8
; WaveLimiterHint : 0
; COMPUTE_PGM_RSRC2:SCRATCH_EN: 0
; COMPUTE_PGM_RSRC2:USER_SGPR: 2
; COMPUTE_PGM_RSRC2:TRAP_HANDLER: 0
; COMPUTE_PGM_RSRC2:TGID_X_EN: 1
; COMPUTE_PGM_RSRC2:TGID_Y_EN: 0
; COMPUTE_PGM_RSRC2:TGID_Z_EN: 0
; COMPUTE_PGM_RSRC2:TIDIG_COMP_CNT: 0
; COMPUTE_PGM_RSRC3_GFX90A:ACCUM_OFFSET: 0
; COMPUTE_PGM_RSRC3_GFX90A:TG_SPLIT: 0
	.section	.text._ZN7rocprim17ROCPRIM_400000_NS6detail17trampoline_kernelINS0_14default_configENS1_25partition_config_selectorILNS1_17partition_subalgoE9EllbEEZZNS1_14partition_implILS5_9ELb0ES3_jPlS8_PNS0_10empty_typeENS0_5tupleIJS8_S9_EEENSB_IJS8_SA_EEENS0_18inequality_wrapperIZN2at6native12_GLOBAL__N_124unique_dim_cuda_templateIbEESt5tupleIJNSF_6TensorESK_SK_EERKSK_lbbbEUlllE0_EEPmJS9_EEE10hipError_tPvRmT3_T4_T5_T6_T7_T9_mT8_P12ihipStream_tbDpT10_ENKUlT_T0_E_clISt17integral_constantIbLb0EES1A_EEDaS15_S16_EUlS15_E_NS1_11comp_targetILNS1_3genE9ELNS1_11target_archE1100ELNS1_3gpuE3ELNS1_3repE0EEENS1_30default_config_static_selectorELNS0_4arch9wavefront6targetE1EEEvT1_,"axG",@progbits,_ZN7rocprim17ROCPRIM_400000_NS6detail17trampoline_kernelINS0_14default_configENS1_25partition_config_selectorILNS1_17partition_subalgoE9EllbEEZZNS1_14partition_implILS5_9ELb0ES3_jPlS8_PNS0_10empty_typeENS0_5tupleIJS8_S9_EEENSB_IJS8_SA_EEENS0_18inequality_wrapperIZN2at6native12_GLOBAL__N_124unique_dim_cuda_templateIbEESt5tupleIJNSF_6TensorESK_SK_EERKSK_lbbbEUlllE0_EEPmJS9_EEE10hipError_tPvRmT3_T4_T5_T6_T7_T9_mT8_P12ihipStream_tbDpT10_ENKUlT_T0_E_clISt17integral_constantIbLb0EES1A_EEDaS15_S16_EUlS15_E_NS1_11comp_targetILNS1_3genE9ELNS1_11target_archE1100ELNS1_3gpuE3ELNS1_3repE0EEENS1_30default_config_static_selectorELNS0_4arch9wavefront6targetE1EEEvT1_,comdat
	.globl	_ZN7rocprim17ROCPRIM_400000_NS6detail17trampoline_kernelINS0_14default_configENS1_25partition_config_selectorILNS1_17partition_subalgoE9EllbEEZZNS1_14partition_implILS5_9ELb0ES3_jPlS8_PNS0_10empty_typeENS0_5tupleIJS8_S9_EEENSB_IJS8_SA_EEENS0_18inequality_wrapperIZN2at6native12_GLOBAL__N_124unique_dim_cuda_templateIbEESt5tupleIJNSF_6TensorESK_SK_EERKSK_lbbbEUlllE0_EEPmJS9_EEE10hipError_tPvRmT3_T4_T5_T6_T7_T9_mT8_P12ihipStream_tbDpT10_ENKUlT_T0_E_clISt17integral_constantIbLb0EES1A_EEDaS15_S16_EUlS15_E_NS1_11comp_targetILNS1_3genE9ELNS1_11target_archE1100ELNS1_3gpuE3ELNS1_3repE0EEENS1_30default_config_static_selectorELNS0_4arch9wavefront6targetE1EEEvT1_ ; -- Begin function _ZN7rocprim17ROCPRIM_400000_NS6detail17trampoline_kernelINS0_14default_configENS1_25partition_config_selectorILNS1_17partition_subalgoE9EllbEEZZNS1_14partition_implILS5_9ELb0ES3_jPlS8_PNS0_10empty_typeENS0_5tupleIJS8_S9_EEENSB_IJS8_SA_EEENS0_18inequality_wrapperIZN2at6native12_GLOBAL__N_124unique_dim_cuda_templateIbEESt5tupleIJNSF_6TensorESK_SK_EERKSK_lbbbEUlllE0_EEPmJS9_EEE10hipError_tPvRmT3_T4_T5_T6_T7_T9_mT8_P12ihipStream_tbDpT10_ENKUlT_T0_E_clISt17integral_constantIbLb0EES1A_EEDaS15_S16_EUlS15_E_NS1_11comp_targetILNS1_3genE9ELNS1_11target_archE1100ELNS1_3gpuE3ELNS1_3repE0EEENS1_30default_config_static_selectorELNS0_4arch9wavefront6targetE1EEEvT1_
	.p2align	8
	.type	_ZN7rocprim17ROCPRIM_400000_NS6detail17trampoline_kernelINS0_14default_configENS1_25partition_config_selectorILNS1_17partition_subalgoE9EllbEEZZNS1_14partition_implILS5_9ELb0ES3_jPlS8_PNS0_10empty_typeENS0_5tupleIJS8_S9_EEENSB_IJS8_SA_EEENS0_18inequality_wrapperIZN2at6native12_GLOBAL__N_124unique_dim_cuda_templateIbEESt5tupleIJNSF_6TensorESK_SK_EERKSK_lbbbEUlllE0_EEPmJS9_EEE10hipError_tPvRmT3_T4_T5_T6_T7_T9_mT8_P12ihipStream_tbDpT10_ENKUlT_T0_E_clISt17integral_constantIbLb0EES1A_EEDaS15_S16_EUlS15_E_NS1_11comp_targetILNS1_3genE9ELNS1_11target_archE1100ELNS1_3gpuE3ELNS1_3repE0EEENS1_30default_config_static_selectorELNS0_4arch9wavefront6targetE1EEEvT1_,@function
_ZN7rocprim17ROCPRIM_400000_NS6detail17trampoline_kernelINS0_14default_configENS1_25partition_config_selectorILNS1_17partition_subalgoE9EllbEEZZNS1_14partition_implILS5_9ELb0ES3_jPlS8_PNS0_10empty_typeENS0_5tupleIJS8_S9_EEENSB_IJS8_SA_EEENS0_18inequality_wrapperIZN2at6native12_GLOBAL__N_124unique_dim_cuda_templateIbEESt5tupleIJNSF_6TensorESK_SK_EERKSK_lbbbEUlllE0_EEPmJS9_EEE10hipError_tPvRmT3_T4_T5_T6_T7_T9_mT8_P12ihipStream_tbDpT10_ENKUlT_T0_E_clISt17integral_constantIbLb0EES1A_EEDaS15_S16_EUlS15_E_NS1_11comp_targetILNS1_3genE9ELNS1_11target_archE1100ELNS1_3gpuE3ELNS1_3repE0EEENS1_30default_config_static_selectorELNS0_4arch9wavefront6targetE1EEEvT1_: ; @_ZN7rocprim17ROCPRIM_400000_NS6detail17trampoline_kernelINS0_14default_configENS1_25partition_config_selectorILNS1_17partition_subalgoE9EllbEEZZNS1_14partition_implILS5_9ELb0ES3_jPlS8_PNS0_10empty_typeENS0_5tupleIJS8_S9_EEENSB_IJS8_SA_EEENS0_18inequality_wrapperIZN2at6native12_GLOBAL__N_124unique_dim_cuda_templateIbEESt5tupleIJNSF_6TensorESK_SK_EERKSK_lbbbEUlllE0_EEPmJS9_EEE10hipError_tPvRmT3_T4_T5_T6_T7_T9_mT8_P12ihipStream_tbDpT10_ENKUlT_T0_E_clISt17integral_constantIbLb0EES1A_EEDaS15_S16_EUlS15_E_NS1_11comp_targetILNS1_3genE9ELNS1_11target_archE1100ELNS1_3gpuE3ELNS1_3repE0EEENS1_30default_config_static_selectorELNS0_4arch9wavefront6targetE1EEEvT1_
; %bb.0:
	.section	.rodata,"a",@progbits
	.p2align	6, 0x0
	.amdhsa_kernel _ZN7rocprim17ROCPRIM_400000_NS6detail17trampoline_kernelINS0_14default_configENS1_25partition_config_selectorILNS1_17partition_subalgoE9EllbEEZZNS1_14partition_implILS5_9ELb0ES3_jPlS8_PNS0_10empty_typeENS0_5tupleIJS8_S9_EEENSB_IJS8_SA_EEENS0_18inequality_wrapperIZN2at6native12_GLOBAL__N_124unique_dim_cuda_templateIbEESt5tupleIJNSF_6TensorESK_SK_EERKSK_lbbbEUlllE0_EEPmJS9_EEE10hipError_tPvRmT3_T4_T5_T6_T7_T9_mT8_P12ihipStream_tbDpT10_ENKUlT_T0_E_clISt17integral_constantIbLb0EES1A_EEDaS15_S16_EUlS15_E_NS1_11comp_targetILNS1_3genE9ELNS1_11target_archE1100ELNS1_3gpuE3ELNS1_3repE0EEENS1_30default_config_static_selectorELNS0_4arch9wavefront6targetE1EEEvT1_
		.amdhsa_group_segment_fixed_size 0
		.amdhsa_private_segment_fixed_size 0
		.amdhsa_kernarg_size 120
		.amdhsa_user_sgpr_count 2
		.amdhsa_user_sgpr_dispatch_ptr 0
		.amdhsa_user_sgpr_queue_ptr 0
		.amdhsa_user_sgpr_kernarg_segment_ptr 1
		.amdhsa_user_sgpr_dispatch_id 0
		.amdhsa_user_sgpr_kernarg_preload_length 0
		.amdhsa_user_sgpr_kernarg_preload_offset 0
		.amdhsa_user_sgpr_private_segment_size 0
		.amdhsa_uses_dynamic_stack 0
		.amdhsa_enable_private_segment 0
		.amdhsa_system_sgpr_workgroup_id_x 1
		.amdhsa_system_sgpr_workgroup_id_y 0
		.amdhsa_system_sgpr_workgroup_id_z 0
		.amdhsa_system_sgpr_workgroup_info 0
		.amdhsa_system_vgpr_workitem_id 0
		.amdhsa_next_free_vgpr 1
		.amdhsa_next_free_sgpr 0
		.amdhsa_accum_offset 4
		.amdhsa_reserve_vcc 0
		.amdhsa_float_round_mode_32 0
		.amdhsa_float_round_mode_16_64 0
		.amdhsa_float_denorm_mode_32 3
		.amdhsa_float_denorm_mode_16_64 3
		.amdhsa_dx10_clamp 1
		.amdhsa_ieee_mode 1
		.amdhsa_fp16_overflow 0
		.amdhsa_tg_split 0
		.amdhsa_exception_fp_ieee_invalid_op 0
		.amdhsa_exception_fp_denorm_src 0
		.amdhsa_exception_fp_ieee_div_zero 0
		.amdhsa_exception_fp_ieee_overflow 0
		.amdhsa_exception_fp_ieee_underflow 0
		.amdhsa_exception_fp_ieee_inexact 0
		.amdhsa_exception_int_div_zero 0
	.end_amdhsa_kernel
	.section	.text._ZN7rocprim17ROCPRIM_400000_NS6detail17trampoline_kernelINS0_14default_configENS1_25partition_config_selectorILNS1_17partition_subalgoE9EllbEEZZNS1_14partition_implILS5_9ELb0ES3_jPlS8_PNS0_10empty_typeENS0_5tupleIJS8_S9_EEENSB_IJS8_SA_EEENS0_18inequality_wrapperIZN2at6native12_GLOBAL__N_124unique_dim_cuda_templateIbEESt5tupleIJNSF_6TensorESK_SK_EERKSK_lbbbEUlllE0_EEPmJS9_EEE10hipError_tPvRmT3_T4_T5_T6_T7_T9_mT8_P12ihipStream_tbDpT10_ENKUlT_T0_E_clISt17integral_constantIbLb0EES1A_EEDaS15_S16_EUlS15_E_NS1_11comp_targetILNS1_3genE9ELNS1_11target_archE1100ELNS1_3gpuE3ELNS1_3repE0EEENS1_30default_config_static_selectorELNS0_4arch9wavefront6targetE1EEEvT1_,"axG",@progbits,_ZN7rocprim17ROCPRIM_400000_NS6detail17trampoline_kernelINS0_14default_configENS1_25partition_config_selectorILNS1_17partition_subalgoE9EllbEEZZNS1_14partition_implILS5_9ELb0ES3_jPlS8_PNS0_10empty_typeENS0_5tupleIJS8_S9_EEENSB_IJS8_SA_EEENS0_18inequality_wrapperIZN2at6native12_GLOBAL__N_124unique_dim_cuda_templateIbEESt5tupleIJNSF_6TensorESK_SK_EERKSK_lbbbEUlllE0_EEPmJS9_EEE10hipError_tPvRmT3_T4_T5_T6_T7_T9_mT8_P12ihipStream_tbDpT10_ENKUlT_T0_E_clISt17integral_constantIbLb0EES1A_EEDaS15_S16_EUlS15_E_NS1_11comp_targetILNS1_3genE9ELNS1_11target_archE1100ELNS1_3gpuE3ELNS1_3repE0EEENS1_30default_config_static_selectorELNS0_4arch9wavefront6targetE1EEEvT1_,comdat
.Lfunc_end1089:
	.size	_ZN7rocprim17ROCPRIM_400000_NS6detail17trampoline_kernelINS0_14default_configENS1_25partition_config_selectorILNS1_17partition_subalgoE9EllbEEZZNS1_14partition_implILS5_9ELb0ES3_jPlS8_PNS0_10empty_typeENS0_5tupleIJS8_S9_EEENSB_IJS8_SA_EEENS0_18inequality_wrapperIZN2at6native12_GLOBAL__N_124unique_dim_cuda_templateIbEESt5tupleIJNSF_6TensorESK_SK_EERKSK_lbbbEUlllE0_EEPmJS9_EEE10hipError_tPvRmT3_T4_T5_T6_T7_T9_mT8_P12ihipStream_tbDpT10_ENKUlT_T0_E_clISt17integral_constantIbLb0EES1A_EEDaS15_S16_EUlS15_E_NS1_11comp_targetILNS1_3genE9ELNS1_11target_archE1100ELNS1_3gpuE3ELNS1_3repE0EEENS1_30default_config_static_selectorELNS0_4arch9wavefront6targetE1EEEvT1_, .Lfunc_end1089-_ZN7rocprim17ROCPRIM_400000_NS6detail17trampoline_kernelINS0_14default_configENS1_25partition_config_selectorILNS1_17partition_subalgoE9EllbEEZZNS1_14partition_implILS5_9ELb0ES3_jPlS8_PNS0_10empty_typeENS0_5tupleIJS8_S9_EEENSB_IJS8_SA_EEENS0_18inequality_wrapperIZN2at6native12_GLOBAL__N_124unique_dim_cuda_templateIbEESt5tupleIJNSF_6TensorESK_SK_EERKSK_lbbbEUlllE0_EEPmJS9_EEE10hipError_tPvRmT3_T4_T5_T6_T7_T9_mT8_P12ihipStream_tbDpT10_ENKUlT_T0_E_clISt17integral_constantIbLb0EES1A_EEDaS15_S16_EUlS15_E_NS1_11comp_targetILNS1_3genE9ELNS1_11target_archE1100ELNS1_3gpuE3ELNS1_3repE0EEENS1_30default_config_static_selectorELNS0_4arch9wavefront6targetE1EEEvT1_
                                        ; -- End function
	.set _ZN7rocprim17ROCPRIM_400000_NS6detail17trampoline_kernelINS0_14default_configENS1_25partition_config_selectorILNS1_17partition_subalgoE9EllbEEZZNS1_14partition_implILS5_9ELb0ES3_jPlS8_PNS0_10empty_typeENS0_5tupleIJS8_S9_EEENSB_IJS8_SA_EEENS0_18inequality_wrapperIZN2at6native12_GLOBAL__N_124unique_dim_cuda_templateIbEESt5tupleIJNSF_6TensorESK_SK_EERKSK_lbbbEUlllE0_EEPmJS9_EEE10hipError_tPvRmT3_T4_T5_T6_T7_T9_mT8_P12ihipStream_tbDpT10_ENKUlT_T0_E_clISt17integral_constantIbLb0EES1A_EEDaS15_S16_EUlS15_E_NS1_11comp_targetILNS1_3genE9ELNS1_11target_archE1100ELNS1_3gpuE3ELNS1_3repE0EEENS1_30default_config_static_selectorELNS0_4arch9wavefront6targetE1EEEvT1_.num_vgpr, 0
	.set _ZN7rocprim17ROCPRIM_400000_NS6detail17trampoline_kernelINS0_14default_configENS1_25partition_config_selectorILNS1_17partition_subalgoE9EllbEEZZNS1_14partition_implILS5_9ELb0ES3_jPlS8_PNS0_10empty_typeENS0_5tupleIJS8_S9_EEENSB_IJS8_SA_EEENS0_18inequality_wrapperIZN2at6native12_GLOBAL__N_124unique_dim_cuda_templateIbEESt5tupleIJNSF_6TensorESK_SK_EERKSK_lbbbEUlllE0_EEPmJS9_EEE10hipError_tPvRmT3_T4_T5_T6_T7_T9_mT8_P12ihipStream_tbDpT10_ENKUlT_T0_E_clISt17integral_constantIbLb0EES1A_EEDaS15_S16_EUlS15_E_NS1_11comp_targetILNS1_3genE9ELNS1_11target_archE1100ELNS1_3gpuE3ELNS1_3repE0EEENS1_30default_config_static_selectorELNS0_4arch9wavefront6targetE1EEEvT1_.num_agpr, 0
	.set _ZN7rocprim17ROCPRIM_400000_NS6detail17trampoline_kernelINS0_14default_configENS1_25partition_config_selectorILNS1_17partition_subalgoE9EllbEEZZNS1_14partition_implILS5_9ELb0ES3_jPlS8_PNS0_10empty_typeENS0_5tupleIJS8_S9_EEENSB_IJS8_SA_EEENS0_18inequality_wrapperIZN2at6native12_GLOBAL__N_124unique_dim_cuda_templateIbEESt5tupleIJNSF_6TensorESK_SK_EERKSK_lbbbEUlllE0_EEPmJS9_EEE10hipError_tPvRmT3_T4_T5_T6_T7_T9_mT8_P12ihipStream_tbDpT10_ENKUlT_T0_E_clISt17integral_constantIbLb0EES1A_EEDaS15_S16_EUlS15_E_NS1_11comp_targetILNS1_3genE9ELNS1_11target_archE1100ELNS1_3gpuE3ELNS1_3repE0EEENS1_30default_config_static_selectorELNS0_4arch9wavefront6targetE1EEEvT1_.numbered_sgpr, 0
	.set _ZN7rocprim17ROCPRIM_400000_NS6detail17trampoline_kernelINS0_14default_configENS1_25partition_config_selectorILNS1_17partition_subalgoE9EllbEEZZNS1_14partition_implILS5_9ELb0ES3_jPlS8_PNS0_10empty_typeENS0_5tupleIJS8_S9_EEENSB_IJS8_SA_EEENS0_18inequality_wrapperIZN2at6native12_GLOBAL__N_124unique_dim_cuda_templateIbEESt5tupleIJNSF_6TensorESK_SK_EERKSK_lbbbEUlllE0_EEPmJS9_EEE10hipError_tPvRmT3_T4_T5_T6_T7_T9_mT8_P12ihipStream_tbDpT10_ENKUlT_T0_E_clISt17integral_constantIbLb0EES1A_EEDaS15_S16_EUlS15_E_NS1_11comp_targetILNS1_3genE9ELNS1_11target_archE1100ELNS1_3gpuE3ELNS1_3repE0EEENS1_30default_config_static_selectorELNS0_4arch9wavefront6targetE1EEEvT1_.num_named_barrier, 0
	.set _ZN7rocprim17ROCPRIM_400000_NS6detail17trampoline_kernelINS0_14default_configENS1_25partition_config_selectorILNS1_17partition_subalgoE9EllbEEZZNS1_14partition_implILS5_9ELb0ES3_jPlS8_PNS0_10empty_typeENS0_5tupleIJS8_S9_EEENSB_IJS8_SA_EEENS0_18inequality_wrapperIZN2at6native12_GLOBAL__N_124unique_dim_cuda_templateIbEESt5tupleIJNSF_6TensorESK_SK_EERKSK_lbbbEUlllE0_EEPmJS9_EEE10hipError_tPvRmT3_T4_T5_T6_T7_T9_mT8_P12ihipStream_tbDpT10_ENKUlT_T0_E_clISt17integral_constantIbLb0EES1A_EEDaS15_S16_EUlS15_E_NS1_11comp_targetILNS1_3genE9ELNS1_11target_archE1100ELNS1_3gpuE3ELNS1_3repE0EEENS1_30default_config_static_selectorELNS0_4arch9wavefront6targetE1EEEvT1_.private_seg_size, 0
	.set _ZN7rocprim17ROCPRIM_400000_NS6detail17trampoline_kernelINS0_14default_configENS1_25partition_config_selectorILNS1_17partition_subalgoE9EllbEEZZNS1_14partition_implILS5_9ELb0ES3_jPlS8_PNS0_10empty_typeENS0_5tupleIJS8_S9_EEENSB_IJS8_SA_EEENS0_18inequality_wrapperIZN2at6native12_GLOBAL__N_124unique_dim_cuda_templateIbEESt5tupleIJNSF_6TensorESK_SK_EERKSK_lbbbEUlllE0_EEPmJS9_EEE10hipError_tPvRmT3_T4_T5_T6_T7_T9_mT8_P12ihipStream_tbDpT10_ENKUlT_T0_E_clISt17integral_constantIbLb0EES1A_EEDaS15_S16_EUlS15_E_NS1_11comp_targetILNS1_3genE9ELNS1_11target_archE1100ELNS1_3gpuE3ELNS1_3repE0EEENS1_30default_config_static_selectorELNS0_4arch9wavefront6targetE1EEEvT1_.uses_vcc, 0
	.set _ZN7rocprim17ROCPRIM_400000_NS6detail17trampoline_kernelINS0_14default_configENS1_25partition_config_selectorILNS1_17partition_subalgoE9EllbEEZZNS1_14partition_implILS5_9ELb0ES3_jPlS8_PNS0_10empty_typeENS0_5tupleIJS8_S9_EEENSB_IJS8_SA_EEENS0_18inequality_wrapperIZN2at6native12_GLOBAL__N_124unique_dim_cuda_templateIbEESt5tupleIJNSF_6TensorESK_SK_EERKSK_lbbbEUlllE0_EEPmJS9_EEE10hipError_tPvRmT3_T4_T5_T6_T7_T9_mT8_P12ihipStream_tbDpT10_ENKUlT_T0_E_clISt17integral_constantIbLb0EES1A_EEDaS15_S16_EUlS15_E_NS1_11comp_targetILNS1_3genE9ELNS1_11target_archE1100ELNS1_3gpuE3ELNS1_3repE0EEENS1_30default_config_static_selectorELNS0_4arch9wavefront6targetE1EEEvT1_.uses_flat_scratch, 0
	.set _ZN7rocprim17ROCPRIM_400000_NS6detail17trampoline_kernelINS0_14default_configENS1_25partition_config_selectorILNS1_17partition_subalgoE9EllbEEZZNS1_14partition_implILS5_9ELb0ES3_jPlS8_PNS0_10empty_typeENS0_5tupleIJS8_S9_EEENSB_IJS8_SA_EEENS0_18inequality_wrapperIZN2at6native12_GLOBAL__N_124unique_dim_cuda_templateIbEESt5tupleIJNSF_6TensorESK_SK_EERKSK_lbbbEUlllE0_EEPmJS9_EEE10hipError_tPvRmT3_T4_T5_T6_T7_T9_mT8_P12ihipStream_tbDpT10_ENKUlT_T0_E_clISt17integral_constantIbLb0EES1A_EEDaS15_S16_EUlS15_E_NS1_11comp_targetILNS1_3genE9ELNS1_11target_archE1100ELNS1_3gpuE3ELNS1_3repE0EEENS1_30default_config_static_selectorELNS0_4arch9wavefront6targetE1EEEvT1_.has_dyn_sized_stack, 0
	.set _ZN7rocprim17ROCPRIM_400000_NS6detail17trampoline_kernelINS0_14default_configENS1_25partition_config_selectorILNS1_17partition_subalgoE9EllbEEZZNS1_14partition_implILS5_9ELb0ES3_jPlS8_PNS0_10empty_typeENS0_5tupleIJS8_S9_EEENSB_IJS8_SA_EEENS0_18inequality_wrapperIZN2at6native12_GLOBAL__N_124unique_dim_cuda_templateIbEESt5tupleIJNSF_6TensorESK_SK_EERKSK_lbbbEUlllE0_EEPmJS9_EEE10hipError_tPvRmT3_T4_T5_T6_T7_T9_mT8_P12ihipStream_tbDpT10_ENKUlT_T0_E_clISt17integral_constantIbLb0EES1A_EEDaS15_S16_EUlS15_E_NS1_11comp_targetILNS1_3genE9ELNS1_11target_archE1100ELNS1_3gpuE3ELNS1_3repE0EEENS1_30default_config_static_selectorELNS0_4arch9wavefront6targetE1EEEvT1_.has_recursion, 0
	.set _ZN7rocprim17ROCPRIM_400000_NS6detail17trampoline_kernelINS0_14default_configENS1_25partition_config_selectorILNS1_17partition_subalgoE9EllbEEZZNS1_14partition_implILS5_9ELb0ES3_jPlS8_PNS0_10empty_typeENS0_5tupleIJS8_S9_EEENSB_IJS8_SA_EEENS0_18inequality_wrapperIZN2at6native12_GLOBAL__N_124unique_dim_cuda_templateIbEESt5tupleIJNSF_6TensorESK_SK_EERKSK_lbbbEUlllE0_EEPmJS9_EEE10hipError_tPvRmT3_T4_T5_T6_T7_T9_mT8_P12ihipStream_tbDpT10_ENKUlT_T0_E_clISt17integral_constantIbLb0EES1A_EEDaS15_S16_EUlS15_E_NS1_11comp_targetILNS1_3genE9ELNS1_11target_archE1100ELNS1_3gpuE3ELNS1_3repE0EEENS1_30default_config_static_selectorELNS0_4arch9wavefront6targetE1EEEvT1_.has_indirect_call, 0
	.section	.AMDGPU.csdata,"",@progbits
; Kernel info:
; codeLenInByte = 0
; TotalNumSgprs: 6
; NumVgprs: 0
; NumAgprs: 0
; TotalNumVgprs: 0
; ScratchSize: 0
; MemoryBound: 0
; FloatMode: 240
; IeeeMode: 1
; LDSByteSize: 0 bytes/workgroup (compile time only)
; SGPRBlocks: 0
; VGPRBlocks: 0
; NumSGPRsForWavesPerEU: 6
; NumVGPRsForWavesPerEU: 1
; AccumOffset: 4
; Occupancy: 8
; WaveLimiterHint : 0
; COMPUTE_PGM_RSRC2:SCRATCH_EN: 0
; COMPUTE_PGM_RSRC2:USER_SGPR: 2
; COMPUTE_PGM_RSRC2:TRAP_HANDLER: 0
; COMPUTE_PGM_RSRC2:TGID_X_EN: 1
; COMPUTE_PGM_RSRC2:TGID_Y_EN: 0
; COMPUTE_PGM_RSRC2:TGID_Z_EN: 0
; COMPUTE_PGM_RSRC2:TIDIG_COMP_CNT: 0
; COMPUTE_PGM_RSRC3_GFX90A:ACCUM_OFFSET: 0
; COMPUTE_PGM_RSRC3_GFX90A:TG_SPLIT: 0
	.section	.text._ZN7rocprim17ROCPRIM_400000_NS6detail17trampoline_kernelINS0_14default_configENS1_25partition_config_selectorILNS1_17partition_subalgoE9EllbEEZZNS1_14partition_implILS5_9ELb0ES3_jPlS8_PNS0_10empty_typeENS0_5tupleIJS8_S9_EEENSB_IJS8_SA_EEENS0_18inequality_wrapperIZN2at6native12_GLOBAL__N_124unique_dim_cuda_templateIbEESt5tupleIJNSF_6TensorESK_SK_EERKSK_lbbbEUlllE0_EEPmJS9_EEE10hipError_tPvRmT3_T4_T5_T6_T7_T9_mT8_P12ihipStream_tbDpT10_ENKUlT_T0_E_clISt17integral_constantIbLb0EES1A_EEDaS15_S16_EUlS15_E_NS1_11comp_targetILNS1_3genE8ELNS1_11target_archE1030ELNS1_3gpuE2ELNS1_3repE0EEENS1_30default_config_static_selectorELNS0_4arch9wavefront6targetE1EEEvT1_,"axG",@progbits,_ZN7rocprim17ROCPRIM_400000_NS6detail17trampoline_kernelINS0_14default_configENS1_25partition_config_selectorILNS1_17partition_subalgoE9EllbEEZZNS1_14partition_implILS5_9ELb0ES3_jPlS8_PNS0_10empty_typeENS0_5tupleIJS8_S9_EEENSB_IJS8_SA_EEENS0_18inequality_wrapperIZN2at6native12_GLOBAL__N_124unique_dim_cuda_templateIbEESt5tupleIJNSF_6TensorESK_SK_EERKSK_lbbbEUlllE0_EEPmJS9_EEE10hipError_tPvRmT3_T4_T5_T6_T7_T9_mT8_P12ihipStream_tbDpT10_ENKUlT_T0_E_clISt17integral_constantIbLb0EES1A_EEDaS15_S16_EUlS15_E_NS1_11comp_targetILNS1_3genE8ELNS1_11target_archE1030ELNS1_3gpuE2ELNS1_3repE0EEENS1_30default_config_static_selectorELNS0_4arch9wavefront6targetE1EEEvT1_,comdat
	.globl	_ZN7rocprim17ROCPRIM_400000_NS6detail17trampoline_kernelINS0_14default_configENS1_25partition_config_selectorILNS1_17partition_subalgoE9EllbEEZZNS1_14partition_implILS5_9ELb0ES3_jPlS8_PNS0_10empty_typeENS0_5tupleIJS8_S9_EEENSB_IJS8_SA_EEENS0_18inequality_wrapperIZN2at6native12_GLOBAL__N_124unique_dim_cuda_templateIbEESt5tupleIJNSF_6TensorESK_SK_EERKSK_lbbbEUlllE0_EEPmJS9_EEE10hipError_tPvRmT3_T4_T5_T6_T7_T9_mT8_P12ihipStream_tbDpT10_ENKUlT_T0_E_clISt17integral_constantIbLb0EES1A_EEDaS15_S16_EUlS15_E_NS1_11comp_targetILNS1_3genE8ELNS1_11target_archE1030ELNS1_3gpuE2ELNS1_3repE0EEENS1_30default_config_static_selectorELNS0_4arch9wavefront6targetE1EEEvT1_ ; -- Begin function _ZN7rocprim17ROCPRIM_400000_NS6detail17trampoline_kernelINS0_14default_configENS1_25partition_config_selectorILNS1_17partition_subalgoE9EllbEEZZNS1_14partition_implILS5_9ELb0ES3_jPlS8_PNS0_10empty_typeENS0_5tupleIJS8_S9_EEENSB_IJS8_SA_EEENS0_18inequality_wrapperIZN2at6native12_GLOBAL__N_124unique_dim_cuda_templateIbEESt5tupleIJNSF_6TensorESK_SK_EERKSK_lbbbEUlllE0_EEPmJS9_EEE10hipError_tPvRmT3_T4_T5_T6_T7_T9_mT8_P12ihipStream_tbDpT10_ENKUlT_T0_E_clISt17integral_constantIbLb0EES1A_EEDaS15_S16_EUlS15_E_NS1_11comp_targetILNS1_3genE8ELNS1_11target_archE1030ELNS1_3gpuE2ELNS1_3repE0EEENS1_30default_config_static_selectorELNS0_4arch9wavefront6targetE1EEEvT1_
	.p2align	8
	.type	_ZN7rocprim17ROCPRIM_400000_NS6detail17trampoline_kernelINS0_14default_configENS1_25partition_config_selectorILNS1_17partition_subalgoE9EllbEEZZNS1_14partition_implILS5_9ELb0ES3_jPlS8_PNS0_10empty_typeENS0_5tupleIJS8_S9_EEENSB_IJS8_SA_EEENS0_18inequality_wrapperIZN2at6native12_GLOBAL__N_124unique_dim_cuda_templateIbEESt5tupleIJNSF_6TensorESK_SK_EERKSK_lbbbEUlllE0_EEPmJS9_EEE10hipError_tPvRmT3_T4_T5_T6_T7_T9_mT8_P12ihipStream_tbDpT10_ENKUlT_T0_E_clISt17integral_constantIbLb0EES1A_EEDaS15_S16_EUlS15_E_NS1_11comp_targetILNS1_3genE8ELNS1_11target_archE1030ELNS1_3gpuE2ELNS1_3repE0EEENS1_30default_config_static_selectorELNS0_4arch9wavefront6targetE1EEEvT1_,@function
_ZN7rocprim17ROCPRIM_400000_NS6detail17trampoline_kernelINS0_14default_configENS1_25partition_config_selectorILNS1_17partition_subalgoE9EllbEEZZNS1_14partition_implILS5_9ELb0ES3_jPlS8_PNS0_10empty_typeENS0_5tupleIJS8_S9_EEENSB_IJS8_SA_EEENS0_18inequality_wrapperIZN2at6native12_GLOBAL__N_124unique_dim_cuda_templateIbEESt5tupleIJNSF_6TensorESK_SK_EERKSK_lbbbEUlllE0_EEPmJS9_EEE10hipError_tPvRmT3_T4_T5_T6_T7_T9_mT8_P12ihipStream_tbDpT10_ENKUlT_T0_E_clISt17integral_constantIbLb0EES1A_EEDaS15_S16_EUlS15_E_NS1_11comp_targetILNS1_3genE8ELNS1_11target_archE1030ELNS1_3gpuE2ELNS1_3repE0EEENS1_30default_config_static_selectorELNS0_4arch9wavefront6targetE1EEEvT1_: ; @_ZN7rocprim17ROCPRIM_400000_NS6detail17trampoline_kernelINS0_14default_configENS1_25partition_config_selectorILNS1_17partition_subalgoE9EllbEEZZNS1_14partition_implILS5_9ELb0ES3_jPlS8_PNS0_10empty_typeENS0_5tupleIJS8_S9_EEENSB_IJS8_SA_EEENS0_18inequality_wrapperIZN2at6native12_GLOBAL__N_124unique_dim_cuda_templateIbEESt5tupleIJNSF_6TensorESK_SK_EERKSK_lbbbEUlllE0_EEPmJS9_EEE10hipError_tPvRmT3_T4_T5_T6_T7_T9_mT8_P12ihipStream_tbDpT10_ENKUlT_T0_E_clISt17integral_constantIbLb0EES1A_EEDaS15_S16_EUlS15_E_NS1_11comp_targetILNS1_3genE8ELNS1_11target_archE1030ELNS1_3gpuE2ELNS1_3repE0EEENS1_30default_config_static_selectorELNS0_4arch9wavefront6targetE1EEEvT1_
; %bb.0:
	.section	.rodata,"a",@progbits
	.p2align	6, 0x0
	.amdhsa_kernel _ZN7rocprim17ROCPRIM_400000_NS6detail17trampoline_kernelINS0_14default_configENS1_25partition_config_selectorILNS1_17partition_subalgoE9EllbEEZZNS1_14partition_implILS5_9ELb0ES3_jPlS8_PNS0_10empty_typeENS0_5tupleIJS8_S9_EEENSB_IJS8_SA_EEENS0_18inequality_wrapperIZN2at6native12_GLOBAL__N_124unique_dim_cuda_templateIbEESt5tupleIJNSF_6TensorESK_SK_EERKSK_lbbbEUlllE0_EEPmJS9_EEE10hipError_tPvRmT3_T4_T5_T6_T7_T9_mT8_P12ihipStream_tbDpT10_ENKUlT_T0_E_clISt17integral_constantIbLb0EES1A_EEDaS15_S16_EUlS15_E_NS1_11comp_targetILNS1_3genE8ELNS1_11target_archE1030ELNS1_3gpuE2ELNS1_3repE0EEENS1_30default_config_static_selectorELNS0_4arch9wavefront6targetE1EEEvT1_
		.amdhsa_group_segment_fixed_size 0
		.amdhsa_private_segment_fixed_size 0
		.amdhsa_kernarg_size 120
		.amdhsa_user_sgpr_count 2
		.amdhsa_user_sgpr_dispatch_ptr 0
		.amdhsa_user_sgpr_queue_ptr 0
		.amdhsa_user_sgpr_kernarg_segment_ptr 1
		.amdhsa_user_sgpr_dispatch_id 0
		.amdhsa_user_sgpr_kernarg_preload_length 0
		.amdhsa_user_sgpr_kernarg_preload_offset 0
		.amdhsa_user_sgpr_private_segment_size 0
		.amdhsa_uses_dynamic_stack 0
		.amdhsa_enable_private_segment 0
		.amdhsa_system_sgpr_workgroup_id_x 1
		.amdhsa_system_sgpr_workgroup_id_y 0
		.amdhsa_system_sgpr_workgroup_id_z 0
		.amdhsa_system_sgpr_workgroup_info 0
		.amdhsa_system_vgpr_workitem_id 0
		.amdhsa_next_free_vgpr 1
		.amdhsa_next_free_sgpr 0
		.amdhsa_accum_offset 4
		.amdhsa_reserve_vcc 0
		.amdhsa_float_round_mode_32 0
		.amdhsa_float_round_mode_16_64 0
		.amdhsa_float_denorm_mode_32 3
		.amdhsa_float_denorm_mode_16_64 3
		.amdhsa_dx10_clamp 1
		.amdhsa_ieee_mode 1
		.amdhsa_fp16_overflow 0
		.amdhsa_tg_split 0
		.amdhsa_exception_fp_ieee_invalid_op 0
		.amdhsa_exception_fp_denorm_src 0
		.amdhsa_exception_fp_ieee_div_zero 0
		.amdhsa_exception_fp_ieee_overflow 0
		.amdhsa_exception_fp_ieee_underflow 0
		.amdhsa_exception_fp_ieee_inexact 0
		.amdhsa_exception_int_div_zero 0
	.end_amdhsa_kernel
	.section	.text._ZN7rocprim17ROCPRIM_400000_NS6detail17trampoline_kernelINS0_14default_configENS1_25partition_config_selectorILNS1_17partition_subalgoE9EllbEEZZNS1_14partition_implILS5_9ELb0ES3_jPlS8_PNS0_10empty_typeENS0_5tupleIJS8_S9_EEENSB_IJS8_SA_EEENS0_18inequality_wrapperIZN2at6native12_GLOBAL__N_124unique_dim_cuda_templateIbEESt5tupleIJNSF_6TensorESK_SK_EERKSK_lbbbEUlllE0_EEPmJS9_EEE10hipError_tPvRmT3_T4_T5_T6_T7_T9_mT8_P12ihipStream_tbDpT10_ENKUlT_T0_E_clISt17integral_constantIbLb0EES1A_EEDaS15_S16_EUlS15_E_NS1_11comp_targetILNS1_3genE8ELNS1_11target_archE1030ELNS1_3gpuE2ELNS1_3repE0EEENS1_30default_config_static_selectorELNS0_4arch9wavefront6targetE1EEEvT1_,"axG",@progbits,_ZN7rocprim17ROCPRIM_400000_NS6detail17trampoline_kernelINS0_14default_configENS1_25partition_config_selectorILNS1_17partition_subalgoE9EllbEEZZNS1_14partition_implILS5_9ELb0ES3_jPlS8_PNS0_10empty_typeENS0_5tupleIJS8_S9_EEENSB_IJS8_SA_EEENS0_18inequality_wrapperIZN2at6native12_GLOBAL__N_124unique_dim_cuda_templateIbEESt5tupleIJNSF_6TensorESK_SK_EERKSK_lbbbEUlllE0_EEPmJS9_EEE10hipError_tPvRmT3_T4_T5_T6_T7_T9_mT8_P12ihipStream_tbDpT10_ENKUlT_T0_E_clISt17integral_constantIbLb0EES1A_EEDaS15_S16_EUlS15_E_NS1_11comp_targetILNS1_3genE8ELNS1_11target_archE1030ELNS1_3gpuE2ELNS1_3repE0EEENS1_30default_config_static_selectorELNS0_4arch9wavefront6targetE1EEEvT1_,comdat
.Lfunc_end1090:
	.size	_ZN7rocprim17ROCPRIM_400000_NS6detail17trampoline_kernelINS0_14default_configENS1_25partition_config_selectorILNS1_17partition_subalgoE9EllbEEZZNS1_14partition_implILS5_9ELb0ES3_jPlS8_PNS0_10empty_typeENS0_5tupleIJS8_S9_EEENSB_IJS8_SA_EEENS0_18inequality_wrapperIZN2at6native12_GLOBAL__N_124unique_dim_cuda_templateIbEESt5tupleIJNSF_6TensorESK_SK_EERKSK_lbbbEUlllE0_EEPmJS9_EEE10hipError_tPvRmT3_T4_T5_T6_T7_T9_mT8_P12ihipStream_tbDpT10_ENKUlT_T0_E_clISt17integral_constantIbLb0EES1A_EEDaS15_S16_EUlS15_E_NS1_11comp_targetILNS1_3genE8ELNS1_11target_archE1030ELNS1_3gpuE2ELNS1_3repE0EEENS1_30default_config_static_selectorELNS0_4arch9wavefront6targetE1EEEvT1_, .Lfunc_end1090-_ZN7rocprim17ROCPRIM_400000_NS6detail17trampoline_kernelINS0_14default_configENS1_25partition_config_selectorILNS1_17partition_subalgoE9EllbEEZZNS1_14partition_implILS5_9ELb0ES3_jPlS8_PNS0_10empty_typeENS0_5tupleIJS8_S9_EEENSB_IJS8_SA_EEENS0_18inequality_wrapperIZN2at6native12_GLOBAL__N_124unique_dim_cuda_templateIbEESt5tupleIJNSF_6TensorESK_SK_EERKSK_lbbbEUlllE0_EEPmJS9_EEE10hipError_tPvRmT3_T4_T5_T6_T7_T9_mT8_P12ihipStream_tbDpT10_ENKUlT_T0_E_clISt17integral_constantIbLb0EES1A_EEDaS15_S16_EUlS15_E_NS1_11comp_targetILNS1_3genE8ELNS1_11target_archE1030ELNS1_3gpuE2ELNS1_3repE0EEENS1_30default_config_static_selectorELNS0_4arch9wavefront6targetE1EEEvT1_
                                        ; -- End function
	.set _ZN7rocprim17ROCPRIM_400000_NS6detail17trampoline_kernelINS0_14default_configENS1_25partition_config_selectorILNS1_17partition_subalgoE9EllbEEZZNS1_14partition_implILS5_9ELb0ES3_jPlS8_PNS0_10empty_typeENS0_5tupleIJS8_S9_EEENSB_IJS8_SA_EEENS0_18inequality_wrapperIZN2at6native12_GLOBAL__N_124unique_dim_cuda_templateIbEESt5tupleIJNSF_6TensorESK_SK_EERKSK_lbbbEUlllE0_EEPmJS9_EEE10hipError_tPvRmT3_T4_T5_T6_T7_T9_mT8_P12ihipStream_tbDpT10_ENKUlT_T0_E_clISt17integral_constantIbLb0EES1A_EEDaS15_S16_EUlS15_E_NS1_11comp_targetILNS1_3genE8ELNS1_11target_archE1030ELNS1_3gpuE2ELNS1_3repE0EEENS1_30default_config_static_selectorELNS0_4arch9wavefront6targetE1EEEvT1_.num_vgpr, 0
	.set _ZN7rocprim17ROCPRIM_400000_NS6detail17trampoline_kernelINS0_14default_configENS1_25partition_config_selectorILNS1_17partition_subalgoE9EllbEEZZNS1_14partition_implILS5_9ELb0ES3_jPlS8_PNS0_10empty_typeENS0_5tupleIJS8_S9_EEENSB_IJS8_SA_EEENS0_18inequality_wrapperIZN2at6native12_GLOBAL__N_124unique_dim_cuda_templateIbEESt5tupleIJNSF_6TensorESK_SK_EERKSK_lbbbEUlllE0_EEPmJS9_EEE10hipError_tPvRmT3_T4_T5_T6_T7_T9_mT8_P12ihipStream_tbDpT10_ENKUlT_T0_E_clISt17integral_constantIbLb0EES1A_EEDaS15_S16_EUlS15_E_NS1_11comp_targetILNS1_3genE8ELNS1_11target_archE1030ELNS1_3gpuE2ELNS1_3repE0EEENS1_30default_config_static_selectorELNS0_4arch9wavefront6targetE1EEEvT1_.num_agpr, 0
	.set _ZN7rocprim17ROCPRIM_400000_NS6detail17trampoline_kernelINS0_14default_configENS1_25partition_config_selectorILNS1_17partition_subalgoE9EllbEEZZNS1_14partition_implILS5_9ELb0ES3_jPlS8_PNS0_10empty_typeENS0_5tupleIJS8_S9_EEENSB_IJS8_SA_EEENS0_18inequality_wrapperIZN2at6native12_GLOBAL__N_124unique_dim_cuda_templateIbEESt5tupleIJNSF_6TensorESK_SK_EERKSK_lbbbEUlllE0_EEPmJS9_EEE10hipError_tPvRmT3_T4_T5_T6_T7_T9_mT8_P12ihipStream_tbDpT10_ENKUlT_T0_E_clISt17integral_constantIbLb0EES1A_EEDaS15_S16_EUlS15_E_NS1_11comp_targetILNS1_3genE8ELNS1_11target_archE1030ELNS1_3gpuE2ELNS1_3repE0EEENS1_30default_config_static_selectorELNS0_4arch9wavefront6targetE1EEEvT1_.numbered_sgpr, 0
	.set _ZN7rocprim17ROCPRIM_400000_NS6detail17trampoline_kernelINS0_14default_configENS1_25partition_config_selectorILNS1_17partition_subalgoE9EllbEEZZNS1_14partition_implILS5_9ELb0ES3_jPlS8_PNS0_10empty_typeENS0_5tupleIJS8_S9_EEENSB_IJS8_SA_EEENS0_18inequality_wrapperIZN2at6native12_GLOBAL__N_124unique_dim_cuda_templateIbEESt5tupleIJNSF_6TensorESK_SK_EERKSK_lbbbEUlllE0_EEPmJS9_EEE10hipError_tPvRmT3_T4_T5_T6_T7_T9_mT8_P12ihipStream_tbDpT10_ENKUlT_T0_E_clISt17integral_constantIbLb0EES1A_EEDaS15_S16_EUlS15_E_NS1_11comp_targetILNS1_3genE8ELNS1_11target_archE1030ELNS1_3gpuE2ELNS1_3repE0EEENS1_30default_config_static_selectorELNS0_4arch9wavefront6targetE1EEEvT1_.num_named_barrier, 0
	.set _ZN7rocprim17ROCPRIM_400000_NS6detail17trampoline_kernelINS0_14default_configENS1_25partition_config_selectorILNS1_17partition_subalgoE9EllbEEZZNS1_14partition_implILS5_9ELb0ES3_jPlS8_PNS0_10empty_typeENS0_5tupleIJS8_S9_EEENSB_IJS8_SA_EEENS0_18inequality_wrapperIZN2at6native12_GLOBAL__N_124unique_dim_cuda_templateIbEESt5tupleIJNSF_6TensorESK_SK_EERKSK_lbbbEUlllE0_EEPmJS9_EEE10hipError_tPvRmT3_T4_T5_T6_T7_T9_mT8_P12ihipStream_tbDpT10_ENKUlT_T0_E_clISt17integral_constantIbLb0EES1A_EEDaS15_S16_EUlS15_E_NS1_11comp_targetILNS1_3genE8ELNS1_11target_archE1030ELNS1_3gpuE2ELNS1_3repE0EEENS1_30default_config_static_selectorELNS0_4arch9wavefront6targetE1EEEvT1_.private_seg_size, 0
	.set _ZN7rocprim17ROCPRIM_400000_NS6detail17trampoline_kernelINS0_14default_configENS1_25partition_config_selectorILNS1_17partition_subalgoE9EllbEEZZNS1_14partition_implILS5_9ELb0ES3_jPlS8_PNS0_10empty_typeENS0_5tupleIJS8_S9_EEENSB_IJS8_SA_EEENS0_18inequality_wrapperIZN2at6native12_GLOBAL__N_124unique_dim_cuda_templateIbEESt5tupleIJNSF_6TensorESK_SK_EERKSK_lbbbEUlllE0_EEPmJS9_EEE10hipError_tPvRmT3_T4_T5_T6_T7_T9_mT8_P12ihipStream_tbDpT10_ENKUlT_T0_E_clISt17integral_constantIbLb0EES1A_EEDaS15_S16_EUlS15_E_NS1_11comp_targetILNS1_3genE8ELNS1_11target_archE1030ELNS1_3gpuE2ELNS1_3repE0EEENS1_30default_config_static_selectorELNS0_4arch9wavefront6targetE1EEEvT1_.uses_vcc, 0
	.set _ZN7rocprim17ROCPRIM_400000_NS6detail17trampoline_kernelINS0_14default_configENS1_25partition_config_selectorILNS1_17partition_subalgoE9EllbEEZZNS1_14partition_implILS5_9ELb0ES3_jPlS8_PNS0_10empty_typeENS0_5tupleIJS8_S9_EEENSB_IJS8_SA_EEENS0_18inequality_wrapperIZN2at6native12_GLOBAL__N_124unique_dim_cuda_templateIbEESt5tupleIJNSF_6TensorESK_SK_EERKSK_lbbbEUlllE0_EEPmJS9_EEE10hipError_tPvRmT3_T4_T5_T6_T7_T9_mT8_P12ihipStream_tbDpT10_ENKUlT_T0_E_clISt17integral_constantIbLb0EES1A_EEDaS15_S16_EUlS15_E_NS1_11comp_targetILNS1_3genE8ELNS1_11target_archE1030ELNS1_3gpuE2ELNS1_3repE0EEENS1_30default_config_static_selectorELNS0_4arch9wavefront6targetE1EEEvT1_.uses_flat_scratch, 0
	.set _ZN7rocprim17ROCPRIM_400000_NS6detail17trampoline_kernelINS0_14default_configENS1_25partition_config_selectorILNS1_17partition_subalgoE9EllbEEZZNS1_14partition_implILS5_9ELb0ES3_jPlS8_PNS0_10empty_typeENS0_5tupleIJS8_S9_EEENSB_IJS8_SA_EEENS0_18inequality_wrapperIZN2at6native12_GLOBAL__N_124unique_dim_cuda_templateIbEESt5tupleIJNSF_6TensorESK_SK_EERKSK_lbbbEUlllE0_EEPmJS9_EEE10hipError_tPvRmT3_T4_T5_T6_T7_T9_mT8_P12ihipStream_tbDpT10_ENKUlT_T0_E_clISt17integral_constantIbLb0EES1A_EEDaS15_S16_EUlS15_E_NS1_11comp_targetILNS1_3genE8ELNS1_11target_archE1030ELNS1_3gpuE2ELNS1_3repE0EEENS1_30default_config_static_selectorELNS0_4arch9wavefront6targetE1EEEvT1_.has_dyn_sized_stack, 0
	.set _ZN7rocprim17ROCPRIM_400000_NS6detail17trampoline_kernelINS0_14default_configENS1_25partition_config_selectorILNS1_17partition_subalgoE9EllbEEZZNS1_14partition_implILS5_9ELb0ES3_jPlS8_PNS0_10empty_typeENS0_5tupleIJS8_S9_EEENSB_IJS8_SA_EEENS0_18inequality_wrapperIZN2at6native12_GLOBAL__N_124unique_dim_cuda_templateIbEESt5tupleIJNSF_6TensorESK_SK_EERKSK_lbbbEUlllE0_EEPmJS9_EEE10hipError_tPvRmT3_T4_T5_T6_T7_T9_mT8_P12ihipStream_tbDpT10_ENKUlT_T0_E_clISt17integral_constantIbLb0EES1A_EEDaS15_S16_EUlS15_E_NS1_11comp_targetILNS1_3genE8ELNS1_11target_archE1030ELNS1_3gpuE2ELNS1_3repE0EEENS1_30default_config_static_selectorELNS0_4arch9wavefront6targetE1EEEvT1_.has_recursion, 0
	.set _ZN7rocprim17ROCPRIM_400000_NS6detail17trampoline_kernelINS0_14default_configENS1_25partition_config_selectorILNS1_17partition_subalgoE9EllbEEZZNS1_14partition_implILS5_9ELb0ES3_jPlS8_PNS0_10empty_typeENS0_5tupleIJS8_S9_EEENSB_IJS8_SA_EEENS0_18inequality_wrapperIZN2at6native12_GLOBAL__N_124unique_dim_cuda_templateIbEESt5tupleIJNSF_6TensorESK_SK_EERKSK_lbbbEUlllE0_EEPmJS9_EEE10hipError_tPvRmT3_T4_T5_T6_T7_T9_mT8_P12ihipStream_tbDpT10_ENKUlT_T0_E_clISt17integral_constantIbLb0EES1A_EEDaS15_S16_EUlS15_E_NS1_11comp_targetILNS1_3genE8ELNS1_11target_archE1030ELNS1_3gpuE2ELNS1_3repE0EEENS1_30default_config_static_selectorELNS0_4arch9wavefront6targetE1EEEvT1_.has_indirect_call, 0
	.section	.AMDGPU.csdata,"",@progbits
; Kernel info:
; codeLenInByte = 0
; TotalNumSgprs: 6
; NumVgprs: 0
; NumAgprs: 0
; TotalNumVgprs: 0
; ScratchSize: 0
; MemoryBound: 0
; FloatMode: 240
; IeeeMode: 1
; LDSByteSize: 0 bytes/workgroup (compile time only)
; SGPRBlocks: 0
; VGPRBlocks: 0
; NumSGPRsForWavesPerEU: 6
; NumVGPRsForWavesPerEU: 1
; AccumOffset: 4
; Occupancy: 8
; WaveLimiterHint : 0
; COMPUTE_PGM_RSRC2:SCRATCH_EN: 0
; COMPUTE_PGM_RSRC2:USER_SGPR: 2
; COMPUTE_PGM_RSRC2:TRAP_HANDLER: 0
; COMPUTE_PGM_RSRC2:TGID_X_EN: 1
; COMPUTE_PGM_RSRC2:TGID_Y_EN: 0
; COMPUTE_PGM_RSRC2:TGID_Z_EN: 0
; COMPUTE_PGM_RSRC2:TIDIG_COMP_CNT: 0
; COMPUTE_PGM_RSRC3_GFX90A:ACCUM_OFFSET: 0
; COMPUTE_PGM_RSRC3_GFX90A:TG_SPLIT: 0
	.section	.text._ZN7rocprim17ROCPRIM_400000_NS6detail17trampoline_kernelINS0_14default_configENS1_25partition_config_selectorILNS1_17partition_subalgoE9EllbEEZZNS1_14partition_implILS5_9ELb0ES3_jPlS8_PNS0_10empty_typeENS0_5tupleIJS8_S9_EEENSB_IJS8_SA_EEENS0_18inequality_wrapperIZN2at6native12_GLOBAL__N_124unique_dim_cuda_templateIbEESt5tupleIJNSF_6TensorESK_SK_EERKSK_lbbbEUlllE0_EEPmJS9_EEE10hipError_tPvRmT3_T4_T5_T6_T7_T9_mT8_P12ihipStream_tbDpT10_ENKUlT_T0_E_clISt17integral_constantIbLb1EES1A_EEDaS15_S16_EUlS15_E_NS1_11comp_targetILNS1_3genE0ELNS1_11target_archE4294967295ELNS1_3gpuE0ELNS1_3repE0EEENS1_30default_config_static_selectorELNS0_4arch9wavefront6targetE1EEEvT1_,"axG",@progbits,_ZN7rocprim17ROCPRIM_400000_NS6detail17trampoline_kernelINS0_14default_configENS1_25partition_config_selectorILNS1_17partition_subalgoE9EllbEEZZNS1_14partition_implILS5_9ELb0ES3_jPlS8_PNS0_10empty_typeENS0_5tupleIJS8_S9_EEENSB_IJS8_SA_EEENS0_18inequality_wrapperIZN2at6native12_GLOBAL__N_124unique_dim_cuda_templateIbEESt5tupleIJNSF_6TensorESK_SK_EERKSK_lbbbEUlllE0_EEPmJS9_EEE10hipError_tPvRmT3_T4_T5_T6_T7_T9_mT8_P12ihipStream_tbDpT10_ENKUlT_T0_E_clISt17integral_constantIbLb1EES1A_EEDaS15_S16_EUlS15_E_NS1_11comp_targetILNS1_3genE0ELNS1_11target_archE4294967295ELNS1_3gpuE0ELNS1_3repE0EEENS1_30default_config_static_selectorELNS0_4arch9wavefront6targetE1EEEvT1_,comdat
	.globl	_ZN7rocprim17ROCPRIM_400000_NS6detail17trampoline_kernelINS0_14default_configENS1_25partition_config_selectorILNS1_17partition_subalgoE9EllbEEZZNS1_14partition_implILS5_9ELb0ES3_jPlS8_PNS0_10empty_typeENS0_5tupleIJS8_S9_EEENSB_IJS8_SA_EEENS0_18inequality_wrapperIZN2at6native12_GLOBAL__N_124unique_dim_cuda_templateIbEESt5tupleIJNSF_6TensorESK_SK_EERKSK_lbbbEUlllE0_EEPmJS9_EEE10hipError_tPvRmT3_T4_T5_T6_T7_T9_mT8_P12ihipStream_tbDpT10_ENKUlT_T0_E_clISt17integral_constantIbLb1EES1A_EEDaS15_S16_EUlS15_E_NS1_11comp_targetILNS1_3genE0ELNS1_11target_archE4294967295ELNS1_3gpuE0ELNS1_3repE0EEENS1_30default_config_static_selectorELNS0_4arch9wavefront6targetE1EEEvT1_ ; -- Begin function _ZN7rocprim17ROCPRIM_400000_NS6detail17trampoline_kernelINS0_14default_configENS1_25partition_config_selectorILNS1_17partition_subalgoE9EllbEEZZNS1_14partition_implILS5_9ELb0ES3_jPlS8_PNS0_10empty_typeENS0_5tupleIJS8_S9_EEENSB_IJS8_SA_EEENS0_18inequality_wrapperIZN2at6native12_GLOBAL__N_124unique_dim_cuda_templateIbEESt5tupleIJNSF_6TensorESK_SK_EERKSK_lbbbEUlllE0_EEPmJS9_EEE10hipError_tPvRmT3_T4_T5_T6_T7_T9_mT8_P12ihipStream_tbDpT10_ENKUlT_T0_E_clISt17integral_constantIbLb1EES1A_EEDaS15_S16_EUlS15_E_NS1_11comp_targetILNS1_3genE0ELNS1_11target_archE4294967295ELNS1_3gpuE0ELNS1_3repE0EEENS1_30default_config_static_selectorELNS0_4arch9wavefront6targetE1EEEvT1_
	.p2align	8
	.type	_ZN7rocprim17ROCPRIM_400000_NS6detail17trampoline_kernelINS0_14default_configENS1_25partition_config_selectorILNS1_17partition_subalgoE9EllbEEZZNS1_14partition_implILS5_9ELb0ES3_jPlS8_PNS0_10empty_typeENS0_5tupleIJS8_S9_EEENSB_IJS8_SA_EEENS0_18inequality_wrapperIZN2at6native12_GLOBAL__N_124unique_dim_cuda_templateIbEESt5tupleIJNSF_6TensorESK_SK_EERKSK_lbbbEUlllE0_EEPmJS9_EEE10hipError_tPvRmT3_T4_T5_T6_T7_T9_mT8_P12ihipStream_tbDpT10_ENKUlT_T0_E_clISt17integral_constantIbLb1EES1A_EEDaS15_S16_EUlS15_E_NS1_11comp_targetILNS1_3genE0ELNS1_11target_archE4294967295ELNS1_3gpuE0ELNS1_3repE0EEENS1_30default_config_static_selectorELNS0_4arch9wavefront6targetE1EEEvT1_,@function
_ZN7rocprim17ROCPRIM_400000_NS6detail17trampoline_kernelINS0_14default_configENS1_25partition_config_selectorILNS1_17partition_subalgoE9EllbEEZZNS1_14partition_implILS5_9ELb0ES3_jPlS8_PNS0_10empty_typeENS0_5tupleIJS8_S9_EEENSB_IJS8_SA_EEENS0_18inequality_wrapperIZN2at6native12_GLOBAL__N_124unique_dim_cuda_templateIbEESt5tupleIJNSF_6TensorESK_SK_EERKSK_lbbbEUlllE0_EEPmJS9_EEE10hipError_tPvRmT3_T4_T5_T6_T7_T9_mT8_P12ihipStream_tbDpT10_ENKUlT_T0_E_clISt17integral_constantIbLb1EES1A_EEDaS15_S16_EUlS15_E_NS1_11comp_targetILNS1_3genE0ELNS1_11target_archE4294967295ELNS1_3gpuE0ELNS1_3repE0EEENS1_30default_config_static_selectorELNS0_4arch9wavefront6targetE1EEEvT1_: ; @_ZN7rocprim17ROCPRIM_400000_NS6detail17trampoline_kernelINS0_14default_configENS1_25partition_config_selectorILNS1_17partition_subalgoE9EllbEEZZNS1_14partition_implILS5_9ELb0ES3_jPlS8_PNS0_10empty_typeENS0_5tupleIJS8_S9_EEENSB_IJS8_SA_EEENS0_18inequality_wrapperIZN2at6native12_GLOBAL__N_124unique_dim_cuda_templateIbEESt5tupleIJNSF_6TensorESK_SK_EERKSK_lbbbEUlllE0_EEPmJS9_EEE10hipError_tPvRmT3_T4_T5_T6_T7_T9_mT8_P12ihipStream_tbDpT10_ENKUlT_T0_E_clISt17integral_constantIbLb1EES1A_EEDaS15_S16_EUlS15_E_NS1_11comp_targetILNS1_3genE0ELNS1_11target_archE4294967295ELNS1_3gpuE0ELNS1_3repE0EEENS1_30default_config_static_selectorELNS0_4arch9wavefront6targetE1EEEvT1_
; %bb.0:
	s_endpgm
	.section	.rodata,"a",@progbits
	.p2align	6, 0x0
	.amdhsa_kernel _ZN7rocprim17ROCPRIM_400000_NS6detail17trampoline_kernelINS0_14default_configENS1_25partition_config_selectorILNS1_17partition_subalgoE9EllbEEZZNS1_14partition_implILS5_9ELb0ES3_jPlS8_PNS0_10empty_typeENS0_5tupleIJS8_S9_EEENSB_IJS8_SA_EEENS0_18inequality_wrapperIZN2at6native12_GLOBAL__N_124unique_dim_cuda_templateIbEESt5tupleIJNSF_6TensorESK_SK_EERKSK_lbbbEUlllE0_EEPmJS9_EEE10hipError_tPvRmT3_T4_T5_T6_T7_T9_mT8_P12ihipStream_tbDpT10_ENKUlT_T0_E_clISt17integral_constantIbLb1EES1A_EEDaS15_S16_EUlS15_E_NS1_11comp_targetILNS1_3genE0ELNS1_11target_archE4294967295ELNS1_3gpuE0ELNS1_3repE0EEENS1_30default_config_static_selectorELNS0_4arch9wavefront6targetE1EEEvT1_
		.amdhsa_group_segment_fixed_size 0
		.amdhsa_private_segment_fixed_size 0
		.amdhsa_kernarg_size 136
		.amdhsa_user_sgpr_count 2
		.amdhsa_user_sgpr_dispatch_ptr 0
		.amdhsa_user_sgpr_queue_ptr 0
		.amdhsa_user_sgpr_kernarg_segment_ptr 1
		.amdhsa_user_sgpr_dispatch_id 0
		.amdhsa_user_sgpr_kernarg_preload_length 0
		.amdhsa_user_sgpr_kernarg_preload_offset 0
		.amdhsa_user_sgpr_private_segment_size 0
		.amdhsa_uses_dynamic_stack 0
		.amdhsa_enable_private_segment 0
		.amdhsa_system_sgpr_workgroup_id_x 1
		.amdhsa_system_sgpr_workgroup_id_y 0
		.amdhsa_system_sgpr_workgroup_id_z 0
		.amdhsa_system_sgpr_workgroup_info 0
		.amdhsa_system_vgpr_workitem_id 0
		.amdhsa_next_free_vgpr 1
		.amdhsa_next_free_sgpr 0
		.amdhsa_accum_offset 4
		.amdhsa_reserve_vcc 0
		.amdhsa_float_round_mode_32 0
		.amdhsa_float_round_mode_16_64 0
		.amdhsa_float_denorm_mode_32 3
		.amdhsa_float_denorm_mode_16_64 3
		.amdhsa_dx10_clamp 1
		.amdhsa_ieee_mode 1
		.amdhsa_fp16_overflow 0
		.amdhsa_tg_split 0
		.amdhsa_exception_fp_ieee_invalid_op 0
		.amdhsa_exception_fp_denorm_src 0
		.amdhsa_exception_fp_ieee_div_zero 0
		.amdhsa_exception_fp_ieee_overflow 0
		.amdhsa_exception_fp_ieee_underflow 0
		.amdhsa_exception_fp_ieee_inexact 0
		.amdhsa_exception_int_div_zero 0
	.end_amdhsa_kernel
	.section	.text._ZN7rocprim17ROCPRIM_400000_NS6detail17trampoline_kernelINS0_14default_configENS1_25partition_config_selectorILNS1_17partition_subalgoE9EllbEEZZNS1_14partition_implILS5_9ELb0ES3_jPlS8_PNS0_10empty_typeENS0_5tupleIJS8_S9_EEENSB_IJS8_SA_EEENS0_18inequality_wrapperIZN2at6native12_GLOBAL__N_124unique_dim_cuda_templateIbEESt5tupleIJNSF_6TensorESK_SK_EERKSK_lbbbEUlllE0_EEPmJS9_EEE10hipError_tPvRmT3_T4_T5_T6_T7_T9_mT8_P12ihipStream_tbDpT10_ENKUlT_T0_E_clISt17integral_constantIbLb1EES1A_EEDaS15_S16_EUlS15_E_NS1_11comp_targetILNS1_3genE0ELNS1_11target_archE4294967295ELNS1_3gpuE0ELNS1_3repE0EEENS1_30default_config_static_selectorELNS0_4arch9wavefront6targetE1EEEvT1_,"axG",@progbits,_ZN7rocprim17ROCPRIM_400000_NS6detail17trampoline_kernelINS0_14default_configENS1_25partition_config_selectorILNS1_17partition_subalgoE9EllbEEZZNS1_14partition_implILS5_9ELb0ES3_jPlS8_PNS0_10empty_typeENS0_5tupleIJS8_S9_EEENSB_IJS8_SA_EEENS0_18inequality_wrapperIZN2at6native12_GLOBAL__N_124unique_dim_cuda_templateIbEESt5tupleIJNSF_6TensorESK_SK_EERKSK_lbbbEUlllE0_EEPmJS9_EEE10hipError_tPvRmT3_T4_T5_T6_T7_T9_mT8_P12ihipStream_tbDpT10_ENKUlT_T0_E_clISt17integral_constantIbLb1EES1A_EEDaS15_S16_EUlS15_E_NS1_11comp_targetILNS1_3genE0ELNS1_11target_archE4294967295ELNS1_3gpuE0ELNS1_3repE0EEENS1_30default_config_static_selectorELNS0_4arch9wavefront6targetE1EEEvT1_,comdat
.Lfunc_end1091:
	.size	_ZN7rocprim17ROCPRIM_400000_NS6detail17trampoline_kernelINS0_14default_configENS1_25partition_config_selectorILNS1_17partition_subalgoE9EllbEEZZNS1_14partition_implILS5_9ELb0ES3_jPlS8_PNS0_10empty_typeENS0_5tupleIJS8_S9_EEENSB_IJS8_SA_EEENS0_18inequality_wrapperIZN2at6native12_GLOBAL__N_124unique_dim_cuda_templateIbEESt5tupleIJNSF_6TensorESK_SK_EERKSK_lbbbEUlllE0_EEPmJS9_EEE10hipError_tPvRmT3_T4_T5_T6_T7_T9_mT8_P12ihipStream_tbDpT10_ENKUlT_T0_E_clISt17integral_constantIbLb1EES1A_EEDaS15_S16_EUlS15_E_NS1_11comp_targetILNS1_3genE0ELNS1_11target_archE4294967295ELNS1_3gpuE0ELNS1_3repE0EEENS1_30default_config_static_selectorELNS0_4arch9wavefront6targetE1EEEvT1_, .Lfunc_end1091-_ZN7rocprim17ROCPRIM_400000_NS6detail17trampoline_kernelINS0_14default_configENS1_25partition_config_selectorILNS1_17partition_subalgoE9EllbEEZZNS1_14partition_implILS5_9ELb0ES3_jPlS8_PNS0_10empty_typeENS0_5tupleIJS8_S9_EEENSB_IJS8_SA_EEENS0_18inequality_wrapperIZN2at6native12_GLOBAL__N_124unique_dim_cuda_templateIbEESt5tupleIJNSF_6TensorESK_SK_EERKSK_lbbbEUlllE0_EEPmJS9_EEE10hipError_tPvRmT3_T4_T5_T6_T7_T9_mT8_P12ihipStream_tbDpT10_ENKUlT_T0_E_clISt17integral_constantIbLb1EES1A_EEDaS15_S16_EUlS15_E_NS1_11comp_targetILNS1_3genE0ELNS1_11target_archE4294967295ELNS1_3gpuE0ELNS1_3repE0EEENS1_30default_config_static_selectorELNS0_4arch9wavefront6targetE1EEEvT1_
                                        ; -- End function
	.set _ZN7rocprim17ROCPRIM_400000_NS6detail17trampoline_kernelINS0_14default_configENS1_25partition_config_selectorILNS1_17partition_subalgoE9EllbEEZZNS1_14partition_implILS5_9ELb0ES3_jPlS8_PNS0_10empty_typeENS0_5tupleIJS8_S9_EEENSB_IJS8_SA_EEENS0_18inequality_wrapperIZN2at6native12_GLOBAL__N_124unique_dim_cuda_templateIbEESt5tupleIJNSF_6TensorESK_SK_EERKSK_lbbbEUlllE0_EEPmJS9_EEE10hipError_tPvRmT3_T4_T5_T6_T7_T9_mT8_P12ihipStream_tbDpT10_ENKUlT_T0_E_clISt17integral_constantIbLb1EES1A_EEDaS15_S16_EUlS15_E_NS1_11comp_targetILNS1_3genE0ELNS1_11target_archE4294967295ELNS1_3gpuE0ELNS1_3repE0EEENS1_30default_config_static_selectorELNS0_4arch9wavefront6targetE1EEEvT1_.num_vgpr, 0
	.set _ZN7rocprim17ROCPRIM_400000_NS6detail17trampoline_kernelINS0_14default_configENS1_25partition_config_selectorILNS1_17partition_subalgoE9EllbEEZZNS1_14partition_implILS5_9ELb0ES3_jPlS8_PNS0_10empty_typeENS0_5tupleIJS8_S9_EEENSB_IJS8_SA_EEENS0_18inequality_wrapperIZN2at6native12_GLOBAL__N_124unique_dim_cuda_templateIbEESt5tupleIJNSF_6TensorESK_SK_EERKSK_lbbbEUlllE0_EEPmJS9_EEE10hipError_tPvRmT3_T4_T5_T6_T7_T9_mT8_P12ihipStream_tbDpT10_ENKUlT_T0_E_clISt17integral_constantIbLb1EES1A_EEDaS15_S16_EUlS15_E_NS1_11comp_targetILNS1_3genE0ELNS1_11target_archE4294967295ELNS1_3gpuE0ELNS1_3repE0EEENS1_30default_config_static_selectorELNS0_4arch9wavefront6targetE1EEEvT1_.num_agpr, 0
	.set _ZN7rocprim17ROCPRIM_400000_NS6detail17trampoline_kernelINS0_14default_configENS1_25partition_config_selectorILNS1_17partition_subalgoE9EllbEEZZNS1_14partition_implILS5_9ELb0ES3_jPlS8_PNS0_10empty_typeENS0_5tupleIJS8_S9_EEENSB_IJS8_SA_EEENS0_18inequality_wrapperIZN2at6native12_GLOBAL__N_124unique_dim_cuda_templateIbEESt5tupleIJNSF_6TensorESK_SK_EERKSK_lbbbEUlllE0_EEPmJS9_EEE10hipError_tPvRmT3_T4_T5_T6_T7_T9_mT8_P12ihipStream_tbDpT10_ENKUlT_T0_E_clISt17integral_constantIbLb1EES1A_EEDaS15_S16_EUlS15_E_NS1_11comp_targetILNS1_3genE0ELNS1_11target_archE4294967295ELNS1_3gpuE0ELNS1_3repE0EEENS1_30default_config_static_selectorELNS0_4arch9wavefront6targetE1EEEvT1_.numbered_sgpr, 0
	.set _ZN7rocprim17ROCPRIM_400000_NS6detail17trampoline_kernelINS0_14default_configENS1_25partition_config_selectorILNS1_17partition_subalgoE9EllbEEZZNS1_14partition_implILS5_9ELb0ES3_jPlS8_PNS0_10empty_typeENS0_5tupleIJS8_S9_EEENSB_IJS8_SA_EEENS0_18inequality_wrapperIZN2at6native12_GLOBAL__N_124unique_dim_cuda_templateIbEESt5tupleIJNSF_6TensorESK_SK_EERKSK_lbbbEUlllE0_EEPmJS9_EEE10hipError_tPvRmT3_T4_T5_T6_T7_T9_mT8_P12ihipStream_tbDpT10_ENKUlT_T0_E_clISt17integral_constantIbLb1EES1A_EEDaS15_S16_EUlS15_E_NS1_11comp_targetILNS1_3genE0ELNS1_11target_archE4294967295ELNS1_3gpuE0ELNS1_3repE0EEENS1_30default_config_static_selectorELNS0_4arch9wavefront6targetE1EEEvT1_.num_named_barrier, 0
	.set _ZN7rocprim17ROCPRIM_400000_NS6detail17trampoline_kernelINS0_14default_configENS1_25partition_config_selectorILNS1_17partition_subalgoE9EllbEEZZNS1_14partition_implILS5_9ELb0ES3_jPlS8_PNS0_10empty_typeENS0_5tupleIJS8_S9_EEENSB_IJS8_SA_EEENS0_18inequality_wrapperIZN2at6native12_GLOBAL__N_124unique_dim_cuda_templateIbEESt5tupleIJNSF_6TensorESK_SK_EERKSK_lbbbEUlllE0_EEPmJS9_EEE10hipError_tPvRmT3_T4_T5_T6_T7_T9_mT8_P12ihipStream_tbDpT10_ENKUlT_T0_E_clISt17integral_constantIbLb1EES1A_EEDaS15_S16_EUlS15_E_NS1_11comp_targetILNS1_3genE0ELNS1_11target_archE4294967295ELNS1_3gpuE0ELNS1_3repE0EEENS1_30default_config_static_selectorELNS0_4arch9wavefront6targetE1EEEvT1_.private_seg_size, 0
	.set _ZN7rocprim17ROCPRIM_400000_NS6detail17trampoline_kernelINS0_14default_configENS1_25partition_config_selectorILNS1_17partition_subalgoE9EllbEEZZNS1_14partition_implILS5_9ELb0ES3_jPlS8_PNS0_10empty_typeENS0_5tupleIJS8_S9_EEENSB_IJS8_SA_EEENS0_18inequality_wrapperIZN2at6native12_GLOBAL__N_124unique_dim_cuda_templateIbEESt5tupleIJNSF_6TensorESK_SK_EERKSK_lbbbEUlllE0_EEPmJS9_EEE10hipError_tPvRmT3_T4_T5_T6_T7_T9_mT8_P12ihipStream_tbDpT10_ENKUlT_T0_E_clISt17integral_constantIbLb1EES1A_EEDaS15_S16_EUlS15_E_NS1_11comp_targetILNS1_3genE0ELNS1_11target_archE4294967295ELNS1_3gpuE0ELNS1_3repE0EEENS1_30default_config_static_selectorELNS0_4arch9wavefront6targetE1EEEvT1_.uses_vcc, 0
	.set _ZN7rocprim17ROCPRIM_400000_NS6detail17trampoline_kernelINS0_14default_configENS1_25partition_config_selectorILNS1_17partition_subalgoE9EllbEEZZNS1_14partition_implILS5_9ELb0ES3_jPlS8_PNS0_10empty_typeENS0_5tupleIJS8_S9_EEENSB_IJS8_SA_EEENS0_18inequality_wrapperIZN2at6native12_GLOBAL__N_124unique_dim_cuda_templateIbEESt5tupleIJNSF_6TensorESK_SK_EERKSK_lbbbEUlllE0_EEPmJS9_EEE10hipError_tPvRmT3_T4_T5_T6_T7_T9_mT8_P12ihipStream_tbDpT10_ENKUlT_T0_E_clISt17integral_constantIbLb1EES1A_EEDaS15_S16_EUlS15_E_NS1_11comp_targetILNS1_3genE0ELNS1_11target_archE4294967295ELNS1_3gpuE0ELNS1_3repE0EEENS1_30default_config_static_selectorELNS0_4arch9wavefront6targetE1EEEvT1_.uses_flat_scratch, 0
	.set _ZN7rocprim17ROCPRIM_400000_NS6detail17trampoline_kernelINS0_14default_configENS1_25partition_config_selectorILNS1_17partition_subalgoE9EllbEEZZNS1_14partition_implILS5_9ELb0ES3_jPlS8_PNS0_10empty_typeENS0_5tupleIJS8_S9_EEENSB_IJS8_SA_EEENS0_18inequality_wrapperIZN2at6native12_GLOBAL__N_124unique_dim_cuda_templateIbEESt5tupleIJNSF_6TensorESK_SK_EERKSK_lbbbEUlllE0_EEPmJS9_EEE10hipError_tPvRmT3_T4_T5_T6_T7_T9_mT8_P12ihipStream_tbDpT10_ENKUlT_T0_E_clISt17integral_constantIbLb1EES1A_EEDaS15_S16_EUlS15_E_NS1_11comp_targetILNS1_3genE0ELNS1_11target_archE4294967295ELNS1_3gpuE0ELNS1_3repE0EEENS1_30default_config_static_selectorELNS0_4arch9wavefront6targetE1EEEvT1_.has_dyn_sized_stack, 0
	.set _ZN7rocprim17ROCPRIM_400000_NS6detail17trampoline_kernelINS0_14default_configENS1_25partition_config_selectorILNS1_17partition_subalgoE9EllbEEZZNS1_14partition_implILS5_9ELb0ES3_jPlS8_PNS0_10empty_typeENS0_5tupleIJS8_S9_EEENSB_IJS8_SA_EEENS0_18inequality_wrapperIZN2at6native12_GLOBAL__N_124unique_dim_cuda_templateIbEESt5tupleIJNSF_6TensorESK_SK_EERKSK_lbbbEUlllE0_EEPmJS9_EEE10hipError_tPvRmT3_T4_T5_T6_T7_T9_mT8_P12ihipStream_tbDpT10_ENKUlT_T0_E_clISt17integral_constantIbLb1EES1A_EEDaS15_S16_EUlS15_E_NS1_11comp_targetILNS1_3genE0ELNS1_11target_archE4294967295ELNS1_3gpuE0ELNS1_3repE0EEENS1_30default_config_static_selectorELNS0_4arch9wavefront6targetE1EEEvT1_.has_recursion, 0
	.set _ZN7rocprim17ROCPRIM_400000_NS6detail17trampoline_kernelINS0_14default_configENS1_25partition_config_selectorILNS1_17partition_subalgoE9EllbEEZZNS1_14partition_implILS5_9ELb0ES3_jPlS8_PNS0_10empty_typeENS0_5tupleIJS8_S9_EEENSB_IJS8_SA_EEENS0_18inequality_wrapperIZN2at6native12_GLOBAL__N_124unique_dim_cuda_templateIbEESt5tupleIJNSF_6TensorESK_SK_EERKSK_lbbbEUlllE0_EEPmJS9_EEE10hipError_tPvRmT3_T4_T5_T6_T7_T9_mT8_P12ihipStream_tbDpT10_ENKUlT_T0_E_clISt17integral_constantIbLb1EES1A_EEDaS15_S16_EUlS15_E_NS1_11comp_targetILNS1_3genE0ELNS1_11target_archE4294967295ELNS1_3gpuE0ELNS1_3repE0EEENS1_30default_config_static_selectorELNS0_4arch9wavefront6targetE1EEEvT1_.has_indirect_call, 0
	.section	.AMDGPU.csdata,"",@progbits
; Kernel info:
; codeLenInByte = 4
; TotalNumSgprs: 6
; NumVgprs: 0
; NumAgprs: 0
; TotalNumVgprs: 0
; ScratchSize: 0
; MemoryBound: 0
; FloatMode: 240
; IeeeMode: 1
; LDSByteSize: 0 bytes/workgroup (compile time only)
; SGPRBlocks: 0
; VGPRBlocks: 0
; NumSGPRsForWavesPerEU: 6
; NumVGPRsForWavesPerEU: 1
; AccumOffset: 4
; Occupancy: 8
; WaveLimiterHint : 0
; COMPUTE_PGM_RSRC2:SCRATCH_EN: 0
; COMPUTE_PGM_RSRC2:USER_SGPR: 2
; COMPUTE_PGM_RSRC2:TRAP_HANDLER: 0
; COMPUTE_PGM_RSRC2:TGID_X_EN: 1
; COMPUTE_PGM_RSRC2:TGID_Y_EN: 0
; COMPUTE_PGM_RSRC2:TGID_Z_EN: 0
; COMPUTE_PGM_RSRC2:TIDIG_COMP_CNT: 0
; COMPUTE_PGM_RSRC3_GFX90A:ACCUM_OFFSET: 0
; COMPUTE_PGM_RSRC3_GFX90A:TG_SPLIT: 0
	.section	.text._ZN7rocprim17ROCPRIM_400000_NS6detail17trampoline_kernelINS0_14default_configENS1_25partition_config_selectorILNS1_17partition_subalgoE9EllbEEZZNS1_14partition_implILS5_9ELb0ES3_jPlS8_PNS0_10empty_typeENS0_5tupleIJS8_S9_EEENSB_IJS8_SA_EEENS0_18inequality_wrapperIZN2at6native12_GLOBAL__N_124unique_dim_cuda_templateIbEESt5tupleIJNSF_6TensorESK_SK_EERKSK_lbbbEUlllE0_EEPmJS9_EEE10hipError_tPvRmT3_T4_T5_T6_T7_T9_mT8_P12ihipStream_tbDpT10_ENKUlT_T0_E_clISt17integral_constantIbLb1EES1A_EEDaS15_S16_EUlS15_E_NS1_11comp_targetILNS1_3genE5ELNS1_11target_archE942ELNS1_3gpuE9ELNS1_3repE0EEENS1_30default_config_static_selectorELNS0_4arch9wavefront6targetE1EEEvT1_,"axG",@progbits,_ZN7rocprim17ROCPRIM_400000_NS6detail17trampoline_kernelINS0_14default_configENS1_25partition_config_selectorILNS1_17partition_subalgoE9EllbEEZZNS1_14partition_implILS5_9ELb0ES3_jPlS8_PNS0_10empty_typeENS0_5tupleIJS8_S9_EEENSB_IJS8_SA_EEENS0_18inequality_wrapperIZN2at6native12_GLOBAL__N_124unique_dim_cuda_templateIbEESt5tupleIJNSF_6TensorESK_SK_EERKSK_lbbbEUlllE0_EEPmJS9_EEE10hipError_tPvRmT3_T4_T5_T6_T7_T9_mT8_P12ihipStream_tbDpT10_ENKUlT_T0_E_clISt17integral_constantIbLb1EES1A_EEDaS15_S16_EUlS15_E_NS1_11comp_targetILNS1_3genE5ELNS1_11target_archE942ELNS1_3gpuE9ELNS1_3repE0EEENS1_30default_config_static_selectorELNS0_4arch9wavefront6targetE1EEEvT1_,comdat
	.globl	_ZN7rocprim17ROCPRIM_400000_NS6detail17trampoline_kernelINS0_14default_configENS1_25partition_config_selectorILNS1_17partition_subalgoE9EllbEEZZNS1_14partition_implILS5_9ELb0ES3_jPlS8_PNS0_10empty_typeENS0_5tupleIJS8_S9_EEENSB_IJS8_SA_EEENS0_18inequality_wrapperIZN2at6native12_GLOBAL__N_124unique_dim_cuda_templateIbEESt5tupleIJNSF_6TensorESK_SK_EERKSK_lbbbEUlllE0_EEPmJS9_EEE10hipError_tPvRmT3_T4_T5_T6_T7_T9_mT8_P12ihipStream_tbDpT10_ENKUlT_T0_E_clISt17integral_constantIbLb1EES1A_EEDaS15_S16_EUlS15_E_NS1_11comp_targetILNS1_3genE5ELNS1_11target_archE942ELNS1_3gpuE9ELNS1_3repE0EEENS1_30default_config_static_selectorELNS0_4arch9wavefront6targetE1EEEvT1_ ; -- Begin function _ZN7rocprim17ROCPRIM_400000_NS6detail17trampoline_kernelINS0_14default_configENS1_25partition_config_selectorILNS1_17partition_subalgoE9EllbEEZZNS1_14partition_implILS5_9ELb0ES3_jPlS8_PNS0_10empty_typeENS0_5tupleIJS8_S9_EEENSB_IJS8_SA_EEENS0_18inequality_wrapperIZN2at6native12_GLOBAL__N_124unique_dim_cuda_templateIbEESt5tupleIJNSF_6TensorESK_SK_EERKSK_lbbbEUlllE0_EEPmJS9_EEE10hipError_tPvRmT3_T4_T5_T6_T7_T9_mT8_P12ihipStream_tbDpT10_ENKUlT_T0_E_clISt17integral_constantIbLb1EES1A_EEDaS15_S16_EUlS15_E_NS1_11comp_targetILNS1_3genE5ELNS1_11target_archE942ELNS1_3gpuE9ELNS1_3repE0EEENS1_30default_config_static_selectorELNS0_4arch9wavefront6targetE1EEEvT1_
	.p2align	8
	.type	_ZN7rocprim17ROCPRIM_400000_NS6detail17trampoline_kernelINS0_14default_configENS1_25partition_config_selectorILNS1_17partition_subalgoE9EllbEEZZNS1_14partition_implILS5_9ELb0ES3_jPlS8_PNS0_10empty_typeENS0_5tupleIJS8_S9_EEENSB_IJS8_SA_EEENS0_18inequality_wrapperIZN2at6native12_GLOBAL__N_124unique_dim_cuda_templateIbEESt5tupleIJNSF_6TensorESK_SK_EERKSK_lbbbEUlllE0_EEPmJS9_EEE10hipError_tPvRmT3_T4_T5_T6_T7_T9_mT8_P12ihipStream_tbDpT10_ENKUlT_T0_E_clISt17integral_constantIbLb1EES1A_EEDaS15_S16_EUlS15_E_NS1_11comp_targetILNS1_3genE5ELNS1_11target_archE942ELNS1_3gpuE9ELNS1_3repE0EEENS1_30default_config_static_selectorELNS0_4arch9wavefront6targetE1EEEvT1_,@function
_ZN7rocprim17ROCPRIM_400000_NS6detail17trampoline_kernelINS0_14default_configENS1_25partition_config_selectorILNS1_17partition_subalgoE9EllbEEZZNS1_14partition_implILS5_9ELb0ES3_jPlS8_PNS0_10empty_typeENS0_5tupleIJS8_S9_EEENSB_IJS8_SA_EEENS0_18inequality_wrapperIZN2at6native12_GLOBAL__N_124unique_dim_cuda_templateIbEESt5tupleIJNSF_6TensorESK_SK_EERKSK_lbbbEUlllE0_EEPmJS9_EEE10hipError_tPvRmT3_T4_T5_T6_T7_T9_mT8_P12ihipStream_tbDpT10_ENKUlT_T0_E_clISt17integral_constantIbLb1EES1A_EEDaS15_S16_EUlS15_E_NS1_11comp_targetILNS1_3genE5ELNS1_11target_archE942ELNS1_3gpuE9ELNS1_3repE0EEENS1_30default_config_static_selectorELNS0_4arch9wavefront6targetE1EEEvT1_: ; @_ZN7rocprim17ROCPRIM_400000_NS6detail17trampoline_kernelINS0_14default_configENS1_25partition_config_selectorILNS1_17partition_subalgoE9EllbEEZZNS1_14partition_implILS5_9ELb0ES3_jPlS8_PNS0_10empty_typeENS0_5tupleIJS8_S9_EEENSB_IJS8_SA_EEENS0_18inequality_wrapperIZN2at6native12_GLOBAL__N_124unique_dim_cuda_templateIbEESt5tupleIJNSF_6TensorESK_SK_EERKSK_lbbbEUlllE0_EEPmJS9_EEE10hipError_tPvRmT3_T4_T5_T6_T7_T9_mT8_P12ihipStream_tbDpT10_ENKUlT_T0_E_clISt17integral_constantIbLb1EES1A_EEDaS15_S16_EUlS15_E_NS1_11comp_targetILNS1_3genE5ELNS1_11target_archE942ELNS1_3gpuE9ELNS1_3repE0EEENS1_30default_config_static_selectorELNS0_4arch9wavefront6targetE1EEEvT1_
; %bb.0:
	.section	.rodata,"a",@progbits
	.p2align	6, 0x0
	.amdhsa_kernel _ZN7rocprim17ROCPRIM_400000_NS6detail17trampoline_kernelINS0_14default_configENS1_25partition_config_selectorILNS1_17partition_subalgoE9EllbEEZZNS1_14partition_implILS5_9ELb0ES3_jPlS8_PNS0_10empty_typeENS0_5tupleIJS8_S9_EEENSB_IJS8_SA_EEENS0_18inequality_wrapperIZN2at6native12_GLOBAL__N_124unique_dim_cuda_templateIbEESt5tupleIJNSF_6TensorESK_SK_EERKSK_lbbbEUlllE0_EEPmJS9_EEE10hipError_tPvRmT3_T4_T5_T6_T7_T9_mT8_P12ihipStream_tbDpT10_ENKUlT_T0_E_clISt17integral_constantIbLb1EES1A_EEDaS15_S16_EUlS15_E_NS1_11comp_targetILNS1_3genE5ELNS1_11target_archE942ELNS1_3gpuE9ELNS1_3repE0EEENS1_30default_config_static_selectorELNS0_4arch9wavefront6targetE1EEEvT1_
		.amdhsa_group_segment_fixed_size 0
		.amdhsa_private_segment_fixed_size 0
		.amdhsa_kernarg_size 136
		.amdhsa_user_sgpr_count 2
		.amdhsa_user_sgpr_dispatch_ptr 0
		.amdhsa_user_sgpr_queue_ptr 0
		.amdhsa_user_sgpr_kernarg_segment_ptr 1
		.amdhsa_user_sgpr_dispatch_id 0
		.amdhsa_user_sgpr_kernarg_preload_length 0
		.amdhsa_user_sgpr_kernarg_preload_offset 0
		.amdhsa_user_sgpr_private_segment_size 0
		.amdhsa_uses_dynamic_stack 0
		.amdhsa_enable_private_segment 0
		.amdhsa_system_sgpr_workgroup_id_x 1
		.amdhsa_system_sgpr_workgroup_id_y 0
		.amdhsa_system_sgpr_workgroup_id_z 0
		.amdhsa_system_sgpr_workgroup_info 0
		.amdhsa_system_vgpr_workitem_id 0
		.amdhsa_next_free_vgpr 1
		.amdhsa_next_free_sgpr 0
		.amdhsa_accum_offset 4
		.amdhsa_reserve_vcc 0
		.amdhsa_float_round_mode_32 0
		.amdhsa_float_round_mode_16_64 0
		.amdhsa_float_denorm_mode_32 3
		.amdhsa_float_denorm_mode_16_64 3
		.amdhsa_dx10_clamp 1
		.amdhsa_ieee_mode 1
		.amdhsa_fp16_overflow 0
		.amdhsa_tg_split 0
		.amdhsa_exception_fp_ieee_invalid_op 0
		.amdhsa_exception_fp_denorm_src 0
		.amdhsa_exception_fp_ieee_div_zero 0
		.amdhsa_exception_fp_ieee_overflow 0
		.amdhsa_exception_fp_ieee_underflow 0
		.amdhsa_exception_fp_ieee_inexact 0
		.amdhsa_exception_int_div_zero 0
	.end_amdhsa_kernel
	.section	.text._ZN7rocprim17ROCPRIM_400000_NS6detail17trampoline_kernelINS0_14default_configENS1_25partition_config_selectorILNS1_17partition_subalgoE9EllbEEZZNS1_14partition_implILS5_9ELb0ES3_jPlS8_PNS0_10empty_typeENS0_5tupleIJS8_S9_EEENSB_IJS8_SA_EEENS0_18inequality_wrapperIZN2at6native12_GLOBAL__N_124unique_dim_cuda_templateIbEESt5tupleIJNSF_6TensorESK_SK_EERKSK_lbbbEUlllE0_EEPmJS9_EEE10hipError_tPvRmT3_T4_T5_T6_T7_T9_mT8_P12ihipStream_tbDpT10_ENKUlT_T0_E_clISt17integral_constantIbLb1EES1A_EEDaS15_S16_EUlS15_E_NS1_11comp_targetILNS1_3genE5ELNS1_11target_archE942ELNS1_3gpuE9ELNS1_3repE0EEENS1_30default_config_static_selectorELNS0_4arch9wavefront6targetE1EEEvT1_,"axG",@progbits,_ZN7rocprim17ROCPRIM_400000_NS6detail17trampoline_kernelINS0_14default_configENS1_25partition_config_selectorILNS1_17partition_subalgoE9EllbEEZZNS1_14partition_implILS5_9ELb0ES3_jPlS8_PNS0_10empty_typeENS0_5tupleIJS8_S9_EEENSB_IJS8_SA_EEENS0_18inequality_wrapperIZN2at6native12_GLOBAL__N_124unique_dim_cuda_templateIbEESt5tupleIJNSF_6TensorESK_SK_EERKSK_lbbbEUlllE0_EEPmJS9_EEE10hipError_tPvRmT3_T4_T5_T6_T7_T9_mT8_P12ihipStream_tbDpT10_ENKUlT_T0_E_clISt17integral_constantIbLb1EES1A_EEDaS15_S16_EUlS15_E_NS1_11comp_targetILNS1_3genE5ELNS1_11target_archE942ELNS1_3gpuE9ELNS1_3repE0EEENS1_30default_config_static_selectorELNS0_4arch9wavefront6targetE1EEEvT1_,comdat
.Lfunc_end1092:
	.size	_ZN7rocprim17ROCPRIM_400000_NS6detail17trampoline_kernelINS0_14default_configENS1_25partition_config_selectorILNS1_17partition_subalgoE9EllbEEZZNS1_14partition_implILS5_9ELb0ES3_jPlS8_PNS0_10empty_typeENS0_5tupleIJS8_S9_EEENSB_IJS8_SA_EEENS0_18inequality_wrapperIZN2at6native12_GLOBAL__N_124unique_dim_cuda_templateIbEESt5tupleIJNSF_6TensorESK_SK_EERKSK_lbbbEUlllE0_EEPmJS9_EEE10hipError_tPvRmT3_T4_T5_T6_T7_T9_mT8_P12ihipStream_tbDpT10_ENKUlT_T0_E_clISt17integral_constantIbLb1EES1A_EEDaS15_S16_EUlS15_E_NS1_11comp_targetILNS1_3genE5ELNS1_11target_archE942ELNS1_3gpuE9ELNS1_3repE0EEENS1_30default_config_static_selectorELNS0_4arch9wavefront6targetE1EEEvT1_, .Lfunc_end1092-_ZN7rocprim17ROCPRIM_400000_NS6detail17trampoline_kernelINS0_14default_configENS1_25partition_config_selectorILNS1_17partition_subalgoE9EllbEEZZNS1_14partition_implILS5_9ELb0ES3_jPlS8_PNS0_10empty_typeENS0_5tupleIJS8_S9_EEENSB_IJS8_SA_EEENS0_18inequality_wrapperIZN2at6native12_GLOBAL__N_124unique_dim_cuda_templateIbEESt5tupleIJNSF_6TensorESK_SK_EERKSK_lbbbEUlllE0_EEPmJS9_EEE10hipError_tPvRmT3_T4_T5_T6_T7_T9_mT8_P12ihipStream_tbDpT10_ENKUlT_T0_E_clISt17integral_constantIbLb1EES1A_EEDaS15_S16_EUlS15_E_NS1_11comp_targetILNS1_3genE5ELNS1_11target_archE942ELNS1_3gpuE9ELNS1_3repE0EEENS1_30default_config_static_selectorELNS0_4arch9wavefront6targetE1EEEvT1_
                                        ; -- End function
	.set _ZN7rocprim17ROCPRIM_400000_NS6detail17trampoline_kernelINS0_14default_configENS1_25partition_config_selectorILNS1_17partition_subalgoE9EllbEEZZNS1_14partition_implILS5_9ELb0ES3_jPlS8_PNS0_10empty_typeENS0_5tupleIJS8_S9_EEENSB_IJS8_SA_EEENS0_18inequality_wrapperIZN2at6native12_GLOBAL__N_124unique_dim_cuda_templateIbEESt5tupleIJNSF_6TensorESK_SK_EERKSK_lbbbEUlllE0_EEPmJS9_EEE10hipError_tPvRmT3_T4_T5_T6_T7_T9_mT8_P12ihipStream_tbDpT10_ENKUlT_T0_E_clISt17integral_constantIbLb1EES1A_EEDaS15_S16_EUlS15_E_NS1_11comp_targetILNS1_3genE5ELNS1_11target_archE942ELNS1_3gpuE9ELNS1_3repE0EEENS1_30default_config_static_selectorELNS0_4arch9wavefront6targetE1EEEvT1_.num_vgpr, 0
	.set _ZN7rocprim17ROCPRIM_400000_NS6detail17trampoline_kernelINS0_14default_configENS1_25partition_config_selectorILNS1_17partition_subalgoE9EllbEEZZNS1_14partition_implILS5_9ELb0ES3_jPlS8_PNS0_10empty_typeENS0_5tupleIJS8_S9_EEENSB_IJS8_SA_EEENS0_18inequality_wrapperIZN2at6native12_GLOBAL__N_124unique_dim_cuda_templateIbEESt5tupleIJNSF_6TensorESK_SK_EERKSK_lbbbEUlllE0_EEPmJS9_EEE10hipError_tPvRmT3_T4_T5_T6_T7_T9_mT8_P12ihipStream_tbDpT10_ENKUlT_T0_E_clISt17integral_constantIbLb1EES1A_EEDaS15_S16_EUlS15_E_NS1_11comp_targetILNS1_3genE5ELNS1_11target_archE942ELNS1_3gpuE9ELNS1_3repE0EEENS1_30default_config_static_selectorELNS0_4arch9wavefront6targetE1EEEvT1_.num_agpr, 0
	.set _ZN7rocprim17ROCPRIM_400000_NS6detail17trampoline_kernelINS0_14default_configENS1_25partition_config_selectorILNS1_17partition_subalgoE9EllbEEZZNS1_14partition_implILS5_9ELb0ES3_jPlS8_PNS0_10empty_typeENS0_5tupleIJS8_S9_EEENSB_IJS8_SA_EEENS0_18inequality_wrapperIZN2at6native12_GLOBAL__N_124unique_dim_cuda_templateIbEESt5tupleIJNSF_6TensorESK_SK_EERKSK_lbbbEUlllE0_EEPmJS9_EEE10hipError_tPvRmT3_T4_T5_T6_T7_T9_mT8_P12ihipStream_tbDpT10_ENKUlT_T0_E_clISt17integral_constantIbLb1EES1A_EEDaS15_S16_EUlS15_E_NS1_11comp_targetILNS1_3genE5ELNS1_11target_archE942ELNS1_3gpuE9ELNS1_3repE0EEENS1_30default_config_static_selectorELNS0_4arch9wavefront6targetE1EEEvT1_.numbered_sgpr, 0
	.set _ZN7rocprim17ROCPRIM_400000_NS6detail17trampoline_kernelINS0_14default_configENS1_25partition_config_selectorILNS1_17partition_subalgoE9EllbEEZZNS1_14partition_implILS5_9ELb0ES3_jPlS8_PNS0_10empty_typeENS0_5tupleIJS8_S9_EEENSB_IJS8_SA_EEENS0_18inequality_wrapperIZN2at6native12_GLOBAL__N_124unique_dim_cuda_templateIbEESt5tupleIJNSF_6TensorESK_SK_EERKSK_lbbbEUlllE0_EEPmJS9_EEE10hipError_tPvRmT3_T4_T5_T6_T7_T9_mT8_P12ihipStream_tbDpT10_ENKUlT_T0_E_clISt17integral_constantIbLb1EES1A_EEDaS15_S16_EUlS15_E_NS1_11comp_targetILNS1_3genE5ELNS1_11target_archE942ELNS1_3gpuE9ELNS1_3repE0EEENS1_30default_config_static_selectorELNS0_4arch9wavefront6targetE1EEEvT1_.num_named_barrier, 0
	.set _ZN7rocprim17ROCPRIM_400000_NS6detail17trampoline_kernelINS0_14default_configENS1_25partition_config_selectorILNS1_17partition_subalgoE9EllbEEZZNS1_14partition_implILS5_9ELb0ES3_jPlS8_PNS0_10empty_typeENS0_5tupleIJS8_S9_EEENSB_IJS8_SA_EEENS0_18inequality_wrapperIZN2at6native12_GLOBAL__N_124unique_dim_cuda_templateIbEESt5tupleIJNSF_6TensorESK_SK_EERKSK_lbbbEUlllE0_EEPmJS9_EEE10hipError_tPvRmT3_T4_T5_T6_T7_T9_mT8_P12ihipStream_tbDpT10_ENKUlT_T0_E_clISt17integral_constantIbLb1EES1A_EEDaS15_S16_EUlS15_E_NS1_11comp_targetILNS1_3genE5ELNS1_11target_archE942ELNS1_3gpuE9ELNS1_3repE0EEENS1_30default_config_static_selectorELNS0_4arch9wavefront6targetE1EEEvT1_.private_seg_size, 0
	.set _ZN7rocprim17ROCPRIM_400000_NS6detail17trampoline_kernelINS0_14default_configENS1_25partition_config_selectorILNS1_17partition_subalgoE9EllbEEZZNS1_14partition_implILS5_9ELb0ES3_jPlS8_PNS0_10empty_typeENS0_5tupleIJS8_S9_EEENSB_IJS8_SA_EEENS0_18inequality_wrapperIZN2at6native12_GLOBAL__N_124unique_dim_cuda_templateIbEESt5tupleIJNSF_6TensorESK_SK_EERKSK_lbbbEUlllE0_EEPmJS9_EEE10hipError_tPvRmT3_T4_T5_T6_T7_T9_mT8_P12ihipStream_tbDpT10_ENKUlT_T0_E_clISt17integral_constantIbLb1EES1A_EEDaS15_S16_EUlS15_E_NS1_11comp_targetILNS1_3genE5ELNS1_11target_archE942ELNS1_3gpuE9ELNS1_3repE0EEENS1_30default_config_static_selectorELNS0_4arch9wavefront6targetE1EEEvT1_.uses_vcc, 0
	.set _ZN7rocprim17ROCPRIM_400000_NS6detail17trampoline_kernelINS0_14default_configENS1_25partition_config_selectorILNS1_17partition_subalgoE9EllbEEZZNS1_14partition_implILS5_9ELb0ES3_jPlS8_PNS0_10empty_typeENS0_5tupleIJS8_S9_EEENSB_IJS8_SA_EEENS0_18inequality_wrapperIZN2at6native12_GLOBAL__N_124unique_dim_cuda_templateIbEESt5tupleIJNSF_6TensorESK_SK_EERKSK_lbbbEUlllE0_EEPmJS9_EEE10hipError_tPvRmT3_T4_T5_T6_T7_T9_mT8_P12ihipStream_tbDpT10_ENKUlT_T0_E_clISt17integral_constantIbLb1EES1A_EEDaS15_S16_EUlS15_E_NS1_11comp_targetILNS1_3genE5ELNS1_11target_archE942ELNS1_3gpuE9ELNS1_3repE0EEENS1_30default_config_static_selectorELNS0_4arch9wavefront6targetE1EEEvT1_.uses_flat_scratch, 0
	.set _ZN7rocprim17ROCPRIM_400000_NS6detail17trampoline_kernelINS0_14default_configENS1_25partition_config_selectorILNS1_17partition_subalgoE9EllbEEZZNS1_14partition_implILS5_9ELb0ES3_jPlS8_PNS0_10empty_typeENS0_5tupleIJS8_S9_EEENSB_IJS8_SA_EEENS0_18inequality_wrapperIZN2at6native12_GLOBAL__N_124unique_dim_cuda_templateIbEESt5tupleIJNSF_6TensorESK_SK_EERKSK_lbbbEUlllE0_EEPmJS9_EEE10hipError_tPvRmT3_T4_T5_T6_T7_T9_mT8_P12ihipStream_tbDpT10_ENKUlT_T0_E_clISt17integral_constantIbLb1EES1A_EEDaS15_S16_EUlS15_E_NS1_11comp_targetILNS1_3genE5ELNS1_11target_archE942ELNS1_3gpuE9ELNS1_3repE0EEENS1_30default_config_static_selectorELNS0_4arch9wavefront6targetE1EEEvT1_.has_dyn_sized_stack, 0
	.set _ZN7rocprim17ROCPRIM_400000_NS6detail17trampoline_kernelINS0_14default_configENS1_25partition_config_selectorILNS1_17partition_subalgoE9EllbEEZZNS1_14partition_implILS5_9ELb0ES3_jPlS8_PNS0_10empty_typeENS0_5tupleIJS8_S9_EEENSB_IJS8_SA_EEENS0_18inequality_wrapperIZN2at6native12_GLOBAL__N_124unique_dim_cuda_templateIbEESt5tupleIJNSF_6TensorESK_SK_EERKSK_lbbbEUlllE0_EEPmJS9_EEE10hipError_tPvRmT3_T4_T5_T6_T7_T9_mT8_P12ihipStream_tbDpT10_ENKUlT_T0_E_clISt17integral_constantIbLb1EES1A_EEDaS15_S16_EUlS15_E_NS1_11comp_targetILNS1_3genE5ELNS1_11target_archE942ELNS1_3gpuE9ELNS1_3repE0EEENS1_30default_config_static_selectorELNS0_4arch9wavefront6targetE1EEEvT1_.has_recursion, 0
	.set _ZN7rocprim17ROCPRIM_400000_NS6detail17trampoline_kernelINS0_14default_configENS1_25partition_config_selectorILNS1_17partition_subalgoE9EllbEEZZNS1_14partition_implILS5_9ELb0ES3_jPlS8_PNS0_10empty_typeENS0_5tupleIJS8_S9_EEENSB_IJS8_SA_EEENS0_18inequality_wrapperIZN2at6native12_GLOBAL__N_124unique_dim_cuda_templateIbEESt5tupleIJNSF_6TensorESK_SK_EERKSK_lbbbEUlllE0_EEPmJS9_EEE10hipError_tPvRmT3_T4_T5_T6_T7_T9_mT8_P12ihipStream_tbDpT10_ENKUlT_T0_E_clISt17integral_constantIbLb1EES1A_EEDaS15_S16_EUlS15_E_NS1_11comp_targetILNS1_3genE5ELNS1_11target_archE942ELNS1_3gpuE9ELNS1_3repE0EEENS1_30default_config_static_selectorELNS0_4arch9wavefront6targetE1EEEvT1_.has_indirect_call, 0
	.section	.AMDGPU.csdata,"",@progbits
; Kernel info:
; codeLenInByte = 0
; TotalNumSgprs: 6
; NumVgprs: 0
; NumAgprs: 0
; TotalNumVgprs: 0
; ScratchSize: 0
; MemoryBound: 0
; FloatMode: 240
; IeeeMode: 1
; LDSByteSize: 0 bytes/workgroup (compile time only)
; SGPRBlocks: 0
; VGPRBlocks: 0
; NumSGPRsForWavesPerEU: 6
; NumVGPRsForWavesPerEU: 1
; AccumOffset: 4
; Occupancy: 8
; WaveLimiterHint : 0
; COMPUTE_PGM_RSRC2:SCRATCH_EN: 0
; COMPUTE_PGM_RSRC2:USER_SGPR: 2
; COMPUTE_PGM_RSRC2:TRAP_HANDLER: 0
; COMPUTE_PGM_RSRC2:TGID_X_EN: 1
; COMPUTE_PGM_RSRC2:TGID_Y_EN: 0
; COMPUTE_PGM_RSRC2:TGID_Z_EN: 0
; COMPUTE_PGM_RSRC2:TIDIG_COMP_CNT: 0
; COMPUTE_PGM_RSRC3_GFX90A:ACCUM_OFFSET: 0
; COMPUTE_PGM_RSRC3_GFX90A:TG_SPLIT: 0
	.section	.text._ZN7rocprim17ROCPRIM_400000_NS6detail17trampoline_kernelINS0_14default_configENS1_25partition_config_selectorILNS1_17partition_subalgoE9EllbEEZZNS1_14partition_implILS5_9ELb0ES3_jPlS8_PNS0_10empty_typeENS0_5tupleIJS8_S9_EEENSB_IJS8_SA_EEENS0_18inequality_wrapperIZN2at6native12_GLOBAL__N_124unique_dim_cuda_templateIbEESt5tupleIJNSF_6TensorESK_SK_EERKSK_lbbbEUlllE0_EEPmJS9_EEE10hipError_tPvRmT3_T4_T5_T6_T7_T9_mT8_P12ihipStream_tbDpT10_ENKUlT_T0_E_clISt17integral_constantIbLb1EES1A_EEDaS15_S16_EUlS15_E_NS1_11comp_targetILNS1_3genE4ELNS1_11target_archE910ELNS1_3gpuE8ELNS1_3repE0EEENS1_30default_config_static_selectorELNS0_4arch9wavefront6targetE1EEEvT1_,"axG",@progbits,_ZN7rocprim17ROCPRIM_400000_NS6detail17trampoline_kernelINS0_14default_configENS1_25partition_config_selectorILNS1_17partition_subalgoE9EllbEEZZNS1_14partition_implILS5_9ELb0ES3_jPlS8_PNS0_10empty_typeENS0_5tupleIJS8_S9_EEENSB_IJS8_SA_EEENS0_18inequality_wrapperIZN2at6native12_GLOBAL__N_124unique_dim_cuda_templateIbEESt5tupleIJNSF_6TensorESK_SK_EERKSK_lbbbEUlllE0_EEPmJS9_EEE10hipError_tPvRmT3_T4_T5_T6_T7_T9_mT8_P12ihipStream_tbDpT10_ENKUlT_T0_E_clISt17integral_constantIbLb1EES1A_EEDaS15_S16_EUlS15_E_NS1_11comp_targetILNS1_3genE4ELNS1_11target_archE910ELNS1_3gpuE8ELNS1_3repE0EEENS1_30default_config_static_selectorELNS0_4arch9wavefront6targetE1EEEvT1_,comdat
	.globl	_ZN7rocprim17ROCPRIM_400000_NS6detail17trampoline_kernelINS0_14default_configENS1_25partition_config_selectorILNS1_17partition_subalgoE9EllbEEZZNS1_14partition_implILS5_9ELb0ES3_jPlS8_PNS0_10empty_typeENS0_5tupleIJS8_S9_EEENSB_IJS8_SA_EEENS0_18inequality_wrapperIZN2at6native12_GLOBAL__N_124unique_dim_cuda_templateIbEESt5tupleIJNSF_6TensorESK_SK_EERKSK_lbbbEUlllE0_EEPmJS9_EEE10hipError_tPvRmT3_T4_T5_T6_T7_T9_mT8_P12ihipStream_tbDpT10_ENKUlT_T0_E_clISt17integral_constantIbLb1EES1A_EEDaS15_S16_EUlS15_E_NS1_11comp_targetILNS1_3genE4ELNS1_11target_archE910ELNS1_3gpuE8ELNS1_3repE0EEENS1_30default_config_static_selectorELNS0_4arch9wavefront6targetE1EEEvT1_ ; -- Begin function _ZN7rocprim17ROCPRIM_400000_NS6detail17trampoline_kernelINS0_14default_configENS1_25partition_config_selectorILNS1_17partition_subalgoE9EllbEEZZNS1_14partition_implILS5_9ELb0ES3_jPlS8_PNS0_10empty_typeENS0_5tupleIJS8_S9_EEENSB_IJS8_SA_EEENS0_18inequality_wrapperIZN2at6native12_GLOBAL__N_124unique_dim_cuda_templateIbEESt5tupleIJNSF_6TensorESK_SK_EERKSK_lbbbEUlllE0_EEPmJS9_EEE10hipError_tPvRmT3_T4_T5_T6_T7_T9_mT8_P12ihipStream_tbDpT10_ENKUlT_T0_E_clISt17integral_constantIbLb1EES1A_EEDaS15_S16_EUlS15_E_NS1_11comp_targetILNS1_3genE4ELNS1_11target_archE910ELNS1_3gpuE8ELNS1_3repE0EEENS1_30default_config_static_selectorELNS0_4arch9wavefront6targetE1EEEvT1_
	.p2align	8
	.type	_ZN7rocprim17ROCPRIM_400000_NS6detail17trampoline_kernelINS0_14default_configENS1_25partition_config_selectorILNS1_17partition_subalgoE9EllbEEZZNS1_14partition_implILS5_9ELb0ES3_jPlS8_PNS0_10empty_typeENS0_5tupleIJS8_S9_EEENSB_IJS8_SA_EEENS0_18inequality_wrapperIZN2at6native12_GLOBAL__N_124unique_dim_cuda_templateIbEESt5tupleIJNSF_6TensorESK_SK_EERKSK_lbbbEUlllE0_EEPmJS9_EEE10hipError_tPvRmT3_T4_T5_T6_T7_T9_mT8_P12ihipStream_tbDpT10_ENKUlT_T0_E_clISt17integral_constantIbLb1EES1A_EEDaS15_S16_EUlS15_E_NS1_11comp_targetILNS1_3genE4ELNS1_11target_archE910ELNS1_3gpuE8ELNS1_3repE0EEENS1_30default_config_static_selectorELNS0_4arch9wavefront6targetE1EEEvT1_,@function
_ZN7rocprim17ROCPRIM_400000_NS6detail17trampoline_kernelINS0_14default_configENS1_25partition_config_selectorILNS1_17partition_subalgoE9EllbEEZZNS1_14partition_implILS5_9ELb0ES3_jPlS8_PNS0_10empty_typeENS0_5tupleIJS8_S9_EEENSB_IJS8_SA_EEENS0_18inequality_wrapperIZN2at6native12_GLOBAL__N_124unique_dim_cuda_templateIbEESt5tupleIJNSF_6TensorESK_SK_EERKSK_lbbbEUlllE0_EEPmJS9_EEE10hipError_tPvRmT3_T4_T5_T6_T7_T9_mT8_P12ihipStream_tbDpT10_ENKUlT_T0_E_clISt17integral_constantIbLb1EES1A_EEDaS15_S16_EUlS15_E_NS1_11comp_targetILNS1_3genE4ELNS1_11target_archE910ELNS1_3gpuE8ELNS1_3repE0EEENS1_30default_config_static_selectorELNS0_4arch9wavefront6targetE1EEEvT1_: ; @_ZN7rocprim17ROCPRIM_400000_NS6detail17trampoline_kernelINS0_14default_configENS1_25partition_config_selectorILNS1_17partition_subalgoE9EllbEEZZNS1_14partition_implILS5_9ELb0ES3_jPlS8_PNS0_10empty_typeENS0_5tupleIJS8_S9_EEENSB_IJS8_SA_EEENS0_18inequality_wrapperIZN2at6native12_GLOBAL__N_124unique_dim_cuda_templateIbEESt5tupleIJNSF_6TensorESK_SK_EERKSK_lbbbEUlllE0_EEPmJS9_EEE10hipError_tPvRmT3_T4_T5_T6_T7_T9_mT8_P12ihipStream_tbDpT10_ENKUlT_T0_E_clISt17integral_constantIbLb1EES1A_EEDaS15_S16_EUlS15_E_NS1_11comp_targetILNS1_3genE4ELNS1_11target_archE910ELNS1_3gpuE8ELNS1_3repE0EEENS1_30default_config_static_selectorELNS0_4arch9wavefront6targetE1EEEvT1_
; %bb.0:
	.section	.rodata,"a",@progbits
	.p2align	6, 0x0
	.amdhsa_kernel _ZN7rocprim17ROCPRIM_400000_NS6detail17trampoline_kernelINS0_14default_configENS1_25partition_config_selectorILNS1_17partition_subalgoE9EllbEEZZNS1_14partition_implILS5_9ELb0ES3_jPlS8_PNS0_10empty_typeENS0_5tupleIJS8_S9_EEENSB_IJS8_SA_EEENS0_18inequality_wrapperIZN2at6native12_GLOBAL__N_124unique_dim_cuda_templateIbEESt5tupleIJNSF_6TensorESK_SK_EERKSK_lbbbEUlllE0_EEPmJS9_EEE10hipError_tPvRmT3_T4_T5_T6_T7_T9_mT8_P12ihipStream_tbDpT10_ENKUlT_T0_E_clISt17integral_constantIbLb1EES1A_EEDaS15_S16_EUlS15_E_NS1_11comp_targetILNS1_3genE4ELNS1_11target_archE910ELNS1_3gpuE8ELNS1_3repE0EEENS1_30default_config_static_selectorELNS0_4arch9wavefront6targetE1EEEvT1_
		.amdhsa_group_segment_fixed_size 0
		.amdhsa_private_segment_fixed_size 0
		.amdhsa_kernarg_size 136
		.amdhsa_user_sgpr_count 2
		.amdhsa_user_sgpr_dispatch_ptr 0
		.amdhsa_user_sgpr_queue_ptr 0
		.amdhsa_user_sgpr_kernarg_segment_ptr 1
		.amdhsa_user_sgpr_dispatch_id 0
		.amdhsa_user_sgpr_kernarg_preload_length 0
		.amdhsa_user_sgpr_kernarg_preload_offset 0
		.amdhsa_user_sgpr_private_segment_size 0
		.amdhsa_uses_dynamic_stack 0
		.amdhsa_enable_private_segment 0
		.amdhsa_system_sgpr_workgroup_id_x 1
		.amdhsa_system_sgpr_workgroup_id_y 0
		.amdhsa_system_sgpr_workgroup_id_z 0
		.amdhsa_system_sgpr_workgroup_info 0
		.amdhsa_system_vgpr_workitem_id 0
		.amdhsa_next_free_vgpr 1
		.amdhsa_next_free_sgpr 0
		.amdhsa_accum_offset 4
		.amdhsa_reserve_vcc 0
		.amdhsa_float_round_mode_32 0
		.amdhsa_float_round_mode_16_64 0
		.amdhsa_float_denorm_mode_32 3
		.amdhsa_float_denorm_mode_16_64 3
		.amdhsa_dx10_clamp 1
		.amdhsa_ieee_mode 1
		.amdhsa_fp16_overflow 0
		.amdhsa_tg_split 0
		.amdhsa_exception_fp_ieee_invalid_op 0
		.amdhsa_exception_fp_denorm_src 0
		.amdhsa_exception_fp_ieee_div_zero 0
		.amdhsa_exception_fp_ieee_overflow 0
		.amdhsa_exception_fp_ieee_underflow 0
		.amdhsa_exception_fp_ieee_inexact 0
		.amdhsa_exception_int_div_zero 0
	.end_amdhsa_kernel
	.section	.text._ZN7rocprim17ROCPRIM_400000_NS6detail17trampoline_kernelINS0_14default_configENS1_25partition_config_selectorILNS1_17partition_subalgoE9EllbEEZZNS1_14partition_implILS5_9ELb0ES3_jPlS8_PNS0_10empty_typeENS0_5tupleIJS8_S9_EEENSB_IJS8_SA_EEENS0_18inequality_wrapperIZN2at6native12_GLOBAL__N_124unique_dim_cuda_templateIbEESt5tupleIJNSF_6TensorESK_SK_EERKSK_lbbbEUlllE0_EEPmJS9_EEE10hipError_tPvRmT3_T4_T5_T6_T7_T9_mT8_P12ihipStream_tbDpT10_ENKUlT_T0_E_clISt17integral_constantIbLb1EES1A_EEDaS15_S16_EUlS15_E_NS1_11comp_targetILNS1_3genE4ELNS1_11target_archE910ELNS1_3gpuE8ELNS1_3repE0EEENS1_30default_config_static_selectorELNS0_4arch9wavefront6targetE1EEEvT1_,"axG",@progbits,_ZN7rocprim17ROCPRIM_400000_NS6detail17trampoline_kernelINS0_14default_configENS1_25partition_config_selectorILNS1_17partition_subalgoE9EllbEEZZNS1_14partition_implILS5_9ELb0ES3_jPlS8_PNS0_10empty_typeENS0_5tupleIJS8_S9_EEENSB_IJS8_SA_EEENS0_18inequality_wrapperIZN2at6native12_GLOBAL__N_124unique_dim_cuda_templateIbEESt5tupleIJNSF_6TensorESK_SK_EERKSK_lbbbEUlllE0_EEPmJS9_EEE10hipError_tPvRmT3_T4_T5_T6_T7_T9_mT8_P12ihipStream_tbDpT10_ENKUlT_T0_E_clISt17integral_constantIbLb1EES1A_EEDaS15_S16_EUlS15_E_NS1_11comp_targetILNS1_3genE4ELNS1_11target_archE910ELNS1_3gpuE8ELNS1_3repE0EEENS1_30default_config_static_selectorELNS0_4arch9wavefront6targetE1EEEvT1_,comdat
.Lfunc_end1093:
	.size	_ZN7rocprim17ROCPRIM_400000_NS6detail17trampoline_kernelINS0_14default_configENS1_25partition_config_selectorILNS1_17partition_subalgoE9EllbEEZZNS1_14partition_implILS5_9ELb0ES3_jPlS8_PNS0_10empty_typeENS0_5tupleIJS8_S9_EEENSB_IJS8_SA_EEENS0_18inequality_wrapperIZN2at6native12_GLOBAL__N_124unique_dim_cuda_templateIbEESt5tupleIJNSF_6TensorESK_SK_EERKSK_lbbbEUlllE0_EEPmJS9_EEE10hipError_tPvRmT3_T4_T5_T6_T7_T9_mT8_P12ihipStream_tbDpT10_ENKUlT_T0_E_clISt17integral_constantIbLb1EES1A_EEDaS15_S16_EUlS15_E_NS1_11comp_targetILNS1_3genE4ELNS1_11target_archE910ELNS1_3gpuE8ELNS1_3repE0EEENS1_30default_config_static_selectorELNS0_4arch9wavefront6targetE1EEEvT1_, .Lfunc_end1093-_ZN7rocprim17ROCPRIM_400000_NS6detail17trampoline_kernelINS0_14default_configENS1_25partition_config_selectorILNS1_17partition_subalgoE9EllbEEZZNS1_14partition_implILS5_9ELb0ES3_jPlS8_PNS0_10empty_typeENS0_5tupleIJS8_S9_EEENSB_IJS8_SA_EEENS0_18inequality_wrapperIZN2at6native12_GLOBAL__N_124unique_dim_cuda_templateIbEESt5tupleIJNSF_6TensorESK_SK_EERKSK_lbbbEUlllE0_EEPmJS9_EEE10hipError_tPvRmT3_T4_T5_T6_T7_T9_mT8_P12ihipStream_tbDpT10_ENKUlT_T0_E_clISt17integral_constantIbLb1EES1A_EEDaS15_S16_EUlS15_E_NS1_11comp_targetILNS1_3genE4ELNS1_11target_archE910ELNS1_3gpuE8ELNS1_3repE0EEENS1_30default_config_static_selectorELNS0_4arch9wavefront6targetE1EEEvT1_
                                        ; -- End function
	.set _ZN7rocprim17ROCPRIM_400000_NS6detail17trampoline_kernelINS0_14default_configENS1_25partition_config_selectorILNS1_17partition_subalgoE9EllbEEZZNS1_14partition_implILS5_9ELb0ES3_jPlS8_PNS0_10empty_typeENS0_5tupleIJS8_S9_EEENSB_IJS8_SA_EEENS0_18inequality_wrapperIZN2at6native12_GLOBAL__N_124unique_dim_cuda_templateIbEESt5tupleIJNSF_6TensorESK_SK_EERKSK_lbbbEUlllE0_EEPmJS9_EEE10hipError_tPvRmT3_T4_T5_T6_T7_T9_mT8_P12ihipStream_tbDpT10_ENKUlT_T0_E_clISt17integral_constantIbLb1EES1A_EEDaS15_S16_EUlS15_E_NS1_11comp_targetILNS1_3genE4ELNS1_11target_archE910ELNS1_3gpuE8ELNS1_3repE0EEENS1_30default_config_static_selectorELNS0_4arch9wavefront6targetE1EEEvT1_.num_vgpr, 0
	.set _ZN7rocprim17ROCPRIM_400000_NS6detail17trampoline_kernelINS0_14default_configENS1_25partition_config_selectorILNS1_17partition_subalgoE9EllbEEZZNS1_14partition_implILS5_9ELb0ES3_jPlS8_PNS0_10empty_typeENS0_5tupleIJS8_S9_EEENSB_IJS8_SA_EEENS0_18inequality_wrapperIZN2at6native12_GLOBAL__N_124unique_dim_cuda_templateIbEESt5tupleIJNSF_6TensorESK_SK_EERKSK_lbbbEUlllE0_EEPmJS9_EEE10hipError_tPvRmT3_T4_T5_T6_T7_T9_mT8_P12ihipStream_tbDpT10_ENKUlT_T0_E_clISt17integral_constantIbLb1EES1A_EEDaS15_S16_EUlS15_E_NS1_11comp_targetILNS1_3genE4ELNS1_11target_archE910ELNS1_3gpuE8ELNS1_3repE0EEENS1_30default_config_static_selectorELNS0_4arch9wavefront6targetE1EEEvT1_.num_agpr, 0
	.set _ZN7rocprim17ROCPRIM_400000_NS6detail17trampoline_kernelINS0_14default_configENS1_25partition_config_selectorILNS1_17partition_subalgoE9EllbEEZZNS1_14partition_implILS5_9ELb0ES3_jPlS8_PNS0_10empty_typeENS0_5tupleIJS8_S9_EEENSB_IJS8_SA_EEENS0_18inequality_wrapperIZN2at6native12_GLOBAL__N_124unique_dim_cuda_templateIbEESt5tupleIJNSF_6TensorESK_SK_EERKSK_lbbbEUlllE0_EEPmJS9_EEE10hipError_tPvRmT3_T4_T5_T6_T7_T9_mT8_P12ihipStream_tbDpT10_ENKUlT_T0_E_clISt17integral_constantIbLb1EES1A_EEDaS15_S16_EUlS15_E_NS1_11comp_targetILNS1_3genE4ELNS1_11target_archE910ELNS1_3gpuE8ELNS1_3repE0EEENS1_30default_config_static_selectorELNS0_4arch9wavefront6targetE1EEEvT1_.numbered_sgpr, 0
	.set _ZN7rocprim17ROCPRIM_400000_NS6detail17trampoline_kernelINS0_14default_configENS1_25partition_config_selectorILNS1_17partition_subalgoE9EllbEEZZNS1_14partition_implILS5_9ELb0ES3_jPlS8_PNS0_10empty_typeENS0_5tupleIJS8_S9_EEENSB_IJS8_SA_EEENS0_18inequality_wrapperIZN2at6native12_GLOBAL__N_124unique_dim_cuda_templateIbEESt5tupleIJNSF_6TensorESK_SK_EERKSK_lbbbEUlllE0_EEPmJS9_EEE10hipError_tPvRmT3_T4_T5_T6_T7_T9_mT8_P12ihipStream_tbDpT10_ENKUlT_T0_E_clISt17integral_constantIbLb1EES1A_EEDaS15_S16_EUlS15_E_NS1_11comp_targetILNS1_3genE4ELNS1_11target_archE910ELNS1_3gpuE8ELNS1_3repE0EEENS1_30default_config_static_selectorELNS0_4arch9wavefront6targetE1EEEvT1_.num_named_barrier, 0
	.set _ZN7rocprim17ROCPRIM_400000_NS6detail17trampoline_kernelINS0_14default_configENS1_25partition_config_selectorILNS1_17partition_subalgoE9EllbEEZZNS1_14partition_implILS5_9ELb0ES3_jPlS8_PNS0_10empty_typeENS0_5tupleIJS8_S9_EEENSB_IJS8_SA_EEENS0_18inequality_wrapperIZN2at6native12_GLOBAL__N_124unique_dim_cuda_templateIbEESt5tupleIJNSF_6TensorESK_SK_EERKSK_lbbbEUlllE0_EEPmJS9_EEE10hipError_tPvRmT3_T4_T5_T6_T7_T9_mT8_P12ihipStream_tbDpT10_ENKUlT_T0_E_clISt17integral_constantIbLb1EES1A_EEDaS15_S16_EUlS15_E_NS1_11comp_targetILNS1_3genE4ELNS1_11target_archE910ELNS1_3gpuE8ELNS1_3repE0EEENS1_30default_config_static_selectorELNS0_4arch9wavefront6targetE1EEEvT1_.private_seg_size, 0
	.set _ZN7rocprim17ROCPRIM_400000_NS6detail17trampoline_kernelINS0_14default_configENS1_25partition_config_selectorILNS1_17partition_subalgoE9EllbEEZZNS1_14partition_implILS5_9ELb0ES3_jPlS8_PNS0_10empty_typeENS0_5tupleIJS8_S9_EEENSB_IJS8_SA_EEENS0_18inequality_wrapperIZN2at6native12_GLOBAL__N_124unique_dim_cuda_templateIbEESt5tupleIJNSF_6TensorESK_SK_EERKSK_lbbbEUlllE0_EEPmJS9_EEE10hipError_tPvRmT3_T4_T5_T6_T7_T9_mT8_P12ihipStream_tbDpT10_ENKUlT_T0_E_clISt17integral_constantIbLb1EES1A_EEDaS15_S16_EUlS15_E_NS1_11comp_targetILNS1_3genE4ELNS1_11target_archE910ELNS1_3gpuE8ELNS1_3repE0EEENS1_30default_config_static_selectorELNS0_4arch9wavefront6targetE1EEEvT1_.uses_vcc, 0
	.set _ZN7rocprim17ROCPRIM_400000_NS6detail17trampoline_kernelINS0_14default_configENS1_25partition_config_selectorILNS1_17partition_subalgoE9EllbEEZZNS1_14partition_implILS5_9ELb0ES3_jPlS8_PNS0_10empty_typeENS0_5tupleIJS8_S9_EEENSB_IJS8_SA_EEENS0_18inequality_wrapperIZN2at6native12_GLOBAL__N_124unique_dim_cuda_templateIbEESt5tupleIJNSF_6TensorESK_SK_EERKSK_lbbbEUlllE0_EEPmJS9_EEE10hipError_tPvRmT3_T4_T5_T6_T7_T9_mT8_P12ihipStream_tbDpT10_ENKUlT_T0_E_clISt17integral_constantIbLb1EES1A_EEDaS15_S16_EUlS15_E_NS1_11comp_targetILNS1_3genE4ELNS1_11target_archE910ELNS1_3gpuE8ELNS1_3repE0EEENS1_30default_config_static_selectorELNS0_4arch9wavefront6targetE1EEEvT1_.uses_flat_scratch, 0
	.set _ZN7rocprim17ROCPRIM_400000_NS6detail17trampoline_kernelINS0_14default_configENS1_25partition_config_selectorILNS1_17partition_subalgoE9EllbEEZZNS1_14partition_implILS5_9ELb0ES3_jPlS8_PNS0_10empty_typeENS0_5tupleIJS8_S9_EEENSB_IJS8_SA_EEENS0_18inequality_wrapperIZN2at6native12_GLOBAL__N_124unique_dim_cuda_templateIbEESt5tupleIJNSF_6TensorESK_SK_EERKSK_lbbbEUlllE0_EEPmJS9_EEE10hipError_tPvRmT3_T4_T5_T6_T7_T9_mT8_P12ihipStream_tbDpT10_ENKUlT_T0_E_clISt17integral_constantIbLb1EES1A_EEDaS15_S16_EUlS15_E_NS1_11comp_targetILNS1_3genE4ELNS1_11target_archE910ELNS1_3gpuE8ELNS1_3repE0EEENS1_30default_config_static_selectorELNS0_4arch9wavefront6targetE1EEEvT1_.has_dyn_sized_stack, 0
	.set _ZN7rocprim17ROCPRIM_400000_NS6detail17trampoline_kernelINS0_14default_configENS1_25partition_config_selectorILNS1_17partition_subalgoE9EllbEEZZNS1_14partition_implILS5_9ELb0ES3_jPlS8_PNS0_10empty_typeENS0_5tupleIJS8_S9_EEENSB_IJS8_SA_EEENS0_18inequality_wrapperIZN2at6native12_GLOBAL__N_124unique_dim_cuda_templateIbEESt5tupleIJNSF_6TensorESK_SK_EERKSK_lbbbEUlllE0_EEPmJS9_EEE10hipError_tPvRmT3_T4_T5_T6_T7_T9_mT8_P12ihipStream_tbDpT10_ENKUlT_T0_E_clISt17integral_constantIbLb1EES1A_EEDaS15_S16_EUlS15_E_NS1_11comp_targetILNS1_3genE4ELNS1_11target_archE910ELNS1_3gpuE8ELNS1_3repE0EEENS1_30default_config_static_selectorELNS0_4arch9wavefront6targetE1EEEvT1_.has_recursion, 0
	.set _ZN7rocprim17ROCPRIM_400000_NS6detail17trampoline_kernelINS0_14default_configENS1_25partition_config_selectorILNS1_17partition_subalgoE9EllbEEZZNS1_14partition_implILS5_9ELb0ES3_jPlS8_PNS0_10empty_typeENS0_5tupleIJS8_S9_EEENSB_IJS8_SA_EEENS0_18inequality_wrapperIZN2at6native12_GLOBAL__N_124unique_dim_cuda_templateIbEESt5tupleIJNSF_6TensorESK_SK_EERKSK_lbbbEUlllE0_EEPmJS9_EEE10hipError_tPvRmT3_T4_T5_T6_T7_T9_mT8_P12ihipStream_tbDpT10_ENKUlT_T0_E_clISt17integral_constantIbLb1EES1A_EEDaS15_S16_EUlS15_E_NS1_11comp_targetILNS1_3genE4ELNS1_11target_archE910ELNS1_3gpuE8ELNS1_3repE0EEENS1_30default_config_static_selectorELNS0_4arch9wavefront6targetE1EEEvT1_.has_indirect_call, 0
	.section	.AMDGPU.csdata,"",@progbits
; Kernel info:
; codeLenInByte = 0
; TotalNumSgprs: 6
; NumVgprs: 0
; NumAgprs: 0
; TotalNumVgprs: 0
; ScratchSize: 0
; MemoryBound: 0
; FloatMode: 240
; IeeeMode: 1
; LDSByteSize: 0 bytes/workgroup (compile time only)
; SGPRBlocks: 0
; VGPRBlocks: 0
; NumSGPRsForWavesPerEU: 6
; NumVGPRsForWavesPerEU: 1
; AccumOffset: 4
; Occupancy: 8
; WaveLimiterHint : 0
; COMPUTE_PGM_RSRC2:SCRATCH_EN: 0
; COMPUTE_PGM_RSRC2:USER_SGPR: 2
; COMPUTE_PGM_RSRC2:TRAP_HANDLER: 0
; COMPUTE_PGM_RSRC2:TGID_X_EN: 1
; COMPUTE_PGM_RSRC2:TGID_Y_EN: 0
; COMPUTE_PGM_RSRC2:TGID_Z_EN: 0
; COMPUTE_PGM_RSRC2:TIDIG_COMP_CNT: 0
; COMPUTE_PGM_RSRC3_GFX90A:ACCUM_OFFSET: 0
; COMPUTE_PGM_RSRC3_GFX90A:TG_SPLIT: 0
	.section	.text._ZN7rocprim17ROCPRIM_400000_NS6detail17trampoline_kernelINS0_14default_configENS1_25partition_config_selectorILNS1_17partition_subalgoE9EllbEEZZNS1_14partition_implILS5_9ELb0ES3_jPlS8_PNS0_10empty_typeENS0_5tupleIJS8_S9_EEENSB_IJS8_SA_EEENS0_18inequality_wrapperIZN2at6native12_GLOBAL__N_124unique_dim_cuda_templateIbEESt5tupleIJNSF_6TensorESK_SK_EERKSK_lbbbEUlllE0_EEPmJS9_EEE10hipError_tPvRmT3_T4_T5_T6_T7_T9_mT8_P12ihipStream_tbDpT10_ENKUlT_T0_E_clISt17integral_constantIbLb1EES1A_EEDaS15_S16_EUlS15_E_NS1_11comp_targetILNS1_3genE3ELNS1_11target_archE908ELNS1_3gpuE7ELNS1_3repE0EEENS1_30default_config_static_selectorELNS0_4arch9wavefront6targetE1EEEvT1_,"axG",@progbits,_ZN7rocprim17ROCPRIM_400000_NS6detail17trampoline_kernelINS0_14default_configENS1_25partition_config_selectorILNS1_17partition_subalgoE9EllbEEZZNS1_14partition_implILS5_9ELb0ES3_jPlS8_PNS0_10empty_typeENS0_5tupleIJS8_S9_EEENSB_IJS8_SA_EEENS0_18inequality_wrapperIZN2at6native12_GLOBAL__N_124unique_dim_cuda_templateIbEESt5tupleIJNSF_6TensorESK_SK_EERKSK_lbbbEUlllE0_EEPmJS9_EEE10hipError_tPvRmT3_T4_T5_T6_T7_T9_mT8_P12ihipStream_tbDpT10_ENKUlT_T0_E_clISt17integral_constantIbLb1EES1A_EEDaS15_S16_EUlS15_E_NS1_11comp_targetILNS1_3genE3ELNS1_11target_archE908ELNS1_3gpuE7ELNS1_3repE0EEENS1_30default_config_static_selectorELNS0_4arch9wavefront6targetE1EEEvT1_,comdat
	.globl	_ZN7rocprim17ROCPRIM_400000_NS6detail17trampoline_kernelINS0_14default_configENS1_25partition_config_selectorILNS1_17partition_subalgoE9EllbEEZZNS1_14partition_implILS5_9ELb0ES3_jPlS8_PNS0_10empty_typeENS0_5tupleIJS8_S9_EEENSB_IJS8_SA_EEENS0_18inequality_wrapperIZN2at6native12_GLOBAL__N_124unique_dim_cuda_templateIbEESt5tupleIJNSF_6TensorESK_SK_EERKSK_lbbbEUlllE0_EEPmJS9_EEE10hipError_tPvRmT3_T4_T5_T6_T7_T9_mT8_P12ihipStream_tbDpT10_ENKUlT_T0_E_clISt17integral_constantIbLb1EES1A_EEDaS15_S16_EUlS15_E_NS1_11comp_targetILNS1_3genE3ELNS1_11target_archE908ELNS1_3gpuE7ELNS1_3repE0EEENS1_30default_config_static_selectorELNS0_4arch9wavefront6targetE1EEEvT1_ ; -- Begin function _ZN7rocprim17ROCPRIM_400000_NS6detail17trampoline_kernelINS0_14default_configENS1_25partition_config_selectorILNS1_17partition_subalgoE9EllbEEZZNS1_14partition_implILS5_9ELb0ES3_jPlS8_PNS0_10empty_typeENS0_5tupleIJS8_S9_EEENSB_IJS8_SA_EEENS0_18inequality_wrapperIZN2at6native12_GLOBAL__N_124unique_dim_cuda_templateIbEESt5tupleIJNSF_6TensorESK_SK_EERKSK_lbbbEUlllE0_EEPmJS9_EEE10hipError_tPvRmT3_T4_T5_T6_T7_T9_mT8_P12ihipStream_tbDpT10_ENKUlT_T0_E_clISt17integral_constantIbLb1EES1A_EEDaS15_S16_EUlS15_E_NS1_11comp_targetILNS1_3genE3ELNS1_11target_archE908ELNS1_3gpuE7ELNS1_3repE0EEENS1_30default_config_static_selectorELNS0_4arch9wavefront6targetE1EEEvT1_
	.p2align	8
	.type	_ZN7rocprim17ROCPRIM_400000_NS6detail17trampoline_kernelINS0_14default_configENS1_25partition_config_selectorILNS1_17partition_subalgoE9EllbEEZZNS1_14partition_implILS5_9ELb0ES3_jPlS8_PNS0_10empty_typeENS0_5tupleIJS8_S9_EEENSB_IJS8_SA_EEENS0_18inequality_wrapperIZN2at6native12_GLOBAL__N_124unique_dim_cuda_templateIbEESt5tupleIJNSF_6TensorESK_SK_EERKSK_lbbbEUlllE0_EEPmJS9_EEE10hipError_tPvRmT3_T4_T5_T6_T7_T9_mT8_P12ihipStream_tbDpT10_ENKUlT_T0_E_clISt17integral_constantIbLb1EES1A_EEDaS15_S16_EUlS15_E_NS1_11comp_targetILNS1_3genE3ELNS1_11target_archE908ELNS1_3gpuE7ELNS1_3repE0EEENS1_30default_config_static_selectorELNS0_4arch9wavefront6targetE1EEEvT1_,@function
_ZN7rocprim17ROCPRIM_400000_NS6detail17trampoline_kernelINS0_14default_configENS1_25partition_config_selectorILNS1_17partition_subalgoE9EllbEEZZNS1_14partition_implILS5_9ELb0ES3_jPlS8_PNS0_10empty_typeENS0_5tupleIJS8_S9_EEENSB_IJS8_SA_EEENS0_18inequality_wrapperIZN2at6native12_GLOBAL__N_124unique_dim_cuda_templateIbEESt5tupleIJNSF_6TensorESK_SK_EERKSK_lbbbEUlllE0_EEPmJS9_EEE10hipError_tPvRmT3_T4_T5_T6_T7_T9_mT8_P12ihipStream_tbDpT10_ENKUlT_T0_E_clISt17integral_constantIbLb1EES1A_EEDaS15_S16_EUlS15_E_NS1_11comp_targetILNS1_3genE3ELNS1_11target_archE908ELNS1_3gpuE7ELNS1_3repE0EEENS1_30default_config_static_selectorELNS0_4arch9wavefront6targetE1EEEvT1_: ; @_ZN7rocprim17ROCPRIM_400000_NS6detail17trampoline_kernelINS0_14default_configENS1_25partition_config_selectorILNS1_17partition_subalgoE9EllbEEZZNS1_14partition_implILS5_9ELb0ES3_jPlS8_PNS0_10empty_typeENS0_5tupleIJS8_S9_EEENSB_IJS8_SA_EEENS0_18inequality_wrapperIZN2at6native12_GLOBAL__N_124unique_dim_cuda_templateIbEESt5tupleIJNSF_6TensorESK_SK_EERKSK_lbbbEUlllE0_EEPmJS9_EEE10hipError_tPvRmT3_T4_T5_T6_T7_T9_mT8_P12ihipStream_tbDpT10_ENKUlT_T0_E_clISt17integral_constantIbLb1EES1A_EEDaS15_S16_EUlS15_E_NS1_11comp_targetILNS1_3genE3ELNS1_11target_archE908ELNS1_3gpuE7ELNS1_3repE0EEENS1_30default_config_static_selectorELNS0_4arch9wavefront6targetE1EEEvT1_
; %bb.0:
	.section	.rodata,"a",@progbits
	.p2align	6, 0x0
	.amdhsa_kernel _ZN7rocprim17ROCPRIM_400000_NS6detail17trampoline_kernelINS0_14default_configENS1_25partition_config_selectorILNS1_17partition_subalgoE9EllbEEZZNS1_14partition_implILS5_9ELb0ES3_jPlS8_PNS0_10empty_typeENS0_5tupleIJS8_S9_EEENSB_IJS8_SA_EEENS0_18inequality_wrapperIZN2at6native12_GLOBAL__N_124unique_dim_cuda_templateIbEESt5tupleIJNSF_6TensorESK_SK_EERKSK_lbbbEUlllE0_EEPmJS9_EEE10hipError_tPvRmT3_T4_T5_T6_T7_T9_mT8_P12ihipStream_tbDpT10_ENKUlT_T0_E_clISt17integral_constantIbLb1EES1A_EEDaS15_S16_EUlS15_E_NS1_11comp_targetILNS1_3genE3ELNS1_11target_archE908ELNS1_3gpuE7ELNS1_3repE0EEENS1_30default_config_static_selectorELNS0_4arch9wavefront6targetE1EEEvT1_
		.amdhsa_group_segment_fixed_size 0
		.amdhsa_private_segment_fixed_size 0
		.amdhsa_kernarg_size 136
		.amdhsa_user_sgpr_count 2
		.amdhsa_user_sgpr_dispatch_ptr 0
		.amdhsa_user_sgpr_queue_ptr 0
		.amdhsa_user_sgpr_kernarg_segment_ptr 1
		.amdhsa_user_sgpr_dispatch_id 0
		.amdhsa_user_sgpr_kernarg_preload_length 0
		.amdhsa_user_sgpr_kernarg_preload_offset 0
		.amdhsa_user_sgpr_private_segment_size 0
		.amdhsa_uses_dynamic_stack 0
		.amdhsa_enable_private_segment 0
		.amdhsa_system_sgpr_workgroup_id_x 1
		.amdhsa_system_sgpr_workgroup_id_y 0
		.amdhsa_system_sgpr_workgroup_id_z 0
		.amdhsa_system_sgpr_workgroup_info 0
		.amdhsa_system_vgpr_workitem_id 0
		.amdhsa_next_free_vgpr 1
		.amdhsa_next_free_sgpr 0
		.amdhsa_accum_offset 4
		.amdhsa_reserve_vcc 0
		.amdhsa_float_round_mode_32 0
		.amdhsa_float_round_mode_16_64 0
		.amdhsa_float_denorm_mode_32 3
		.amdhsa_float_denorm_mode_16_64 3
		.amdhsa_dx10_clamp 1
		.amdhsa_ieee_mode 1
		.amdhsa_fp16_overflow 0
		.amdhsa_tg_split 0
		.amdhsa_exception_fp_ieee_invalid_op 0
		.amdhsa_exception_fp_denorm_src 0
		.amdhsa_exception_fp_ieee_div_zero 0
		.amdhsa_exception_fp_ieee_overflow 0
		.amdhsa_exception_fp_ieee_underflow 0
		.amdhsa_exception_fp_ieee_inexact 0
		.amdhsa_exception_int_div_zero 0
	.end_amdhsa_kernel
	.section	.text._ZN7rocprim17ROCPRIM_400000_NS6detail17trampoline_kernelINS0_14default_configENS1_25partition_config_selectorILNS1_17partition_subalgoE9EllbEEZZNS1_14partition_implILS5_9ELb0ES3_jPlS8_PNS0_10empty_typeENS0_5tupleIJS8_S9_EEENSB_IJS8_SA_EEENS0_18inequality_wrapperIZN2at6native12_GLOBAL__N_124unique_dim_cuda_templateIbEESt5tupleIJNSF_6TensorESK_SK_EERKSK_lbbbEUlllE0_EEPmJS9_EEE10hipError_tPvRmT3_T4_T5_T6_T7_T9_mT8_P12ihipStream_tbDpT10_ENKUlT_T0_E_clISt17integral_constantIbLb1EES1A_EEDaS15_S16_EUlS15_E_NS1_11comp_targetILNS1_3genE3ELNS1_11target_archE908ELNS1_3gpuE7ELNS1_3repE0EEENS1_30default_config_static_selectorELNS0_4arch9wavefront6targetE1EEEvT1_,"axG",@progbits,_ZN7rocprim17ROCPRIM_400000_NS6detail17trampoline_kernelINS0_14default_configENS1_25partition_config_selectorILNS1_17partition_subalgoE9EllbEEZZNS1_14partition_implILS5_9ELb0ES3_jPlS8_PNS0_10empty_typeENS0_5tupleIJS8_S9_EEENSB_IJS8_SA_EEENS0_18inequality_wrapperIZN2at6native12_GLOBAL__N_124unique_dim_cuda_templateIbEESt5tupleIJNSF_6TensorESK_SK_EERKSK_lbbbEUlllE0_EEPmJS9_EEE10hipError_tPvRmT3_T4_T5_T6_T7_T9_mT8_P12ihipStream_tbDpT10_ENKUlT_T0_E_clISt17integral_constantIbLb1EES1A_EEDaS15_S16_EUlS15_E_NS1_11comp_targetILNS1_3genE3ELNS1_11target_archE908ELNS1_3gpuE7ELNS1_3repE0EEENS1_30default_config_static_selectorELNS0_4arch9wavefront6targetE1EEEvT1_,comdat
.Lfunc_end1094:
	.size	_ZN7rocprim17ROCPRIM_400000_NS6detail17trampoline_kernelINS0_14default_configENS1_25partition_config_selectorILNS1_17partition_subalgoE9EllbEEZZNS1_14partition_implILS5_9ELb0ES3_jPlS8_PNS0_10empty_typeENS0_5tupleIJS8_S9_EEENSB_IJS8_SA_EEENS0_18inequality_wrapperIZN2at6native12_GLOBAL__N_124unique_dim_cuda_templateIbEESt5tupleIJNSF_6TensorESK_SK_EERKSK_lbbbEUlllE0_EEPmJS9_EEE10hipError_tPvRmT3_T4_T5_T6_T7_T9_mT8_P12ihipStream_tbDpT10_ENKUlT_T0_E_clISt17integral_constantIbLb1EES1A_EEDaS15_S16_EUlS15_E_NS1_11comp_targetILNS1_3genE3ELNS1_11target_archE908ELNS1_3gpuE7ELNS1_3repE0EEENS1_30default_config_static_selectorELNS0_4arch9wavefront6targetE1EEEvT1_, .Lfunc_end1094-_ZN7rocprim17ROCPRIM_400000_NS6detail17trampoline_kernelINS0_14default_configENS1_25partition_config_selectorILNS1_17partition_subalgoE9EllbEEZZNS1_14partition_implILS5_9ELb0ES3_jPlS8_PNS0_10empty_typeENS0_5tupleIJS8_S9_EEENSB_IJS8_SA_EEENS0_18inequality_wrapperIZN2at6native12_GLOBAL__N_124unique_dim_cuda_templateIbEESt5tupleIJNSF_6TensorESK_SK_EERKSK_lbbbEUlllE0_EEPmJS9_EEE10hipError_tPvRmT3_T4_T5_T6_T7_T9_mT8_P12ihipStream_tbDpT10_ENKUlT_T0_E_clISt17integral_constantIbLb1EES1A_EEDaS15_S16_EUlS15_E_NS1_11comp_targetILNS1_3genE3ELNS1_11target_archE908ELNS1_3gpuE7ELNS1_3repE0EEENS1_30default_config_static_selectorELNS0_4arch9wavefront6targetE1EEEvT1_
                                        ; -- End function
	.set _ZN7rocprim17ROCPRIM_400000_NS6detail17trampoline_kernelINS0_14default_configENS1_25partition_config_selectorILNS1_17partition_subalgoE9EllbEEZZNS1_14partition_implILS5_9ELb0ES3_jPlS8_PNS0_10empty_typeENS0_5tupleIJS8_S9_EEENSB_IJS8_SA_EEENS0_18inequality_wrapperIZN2at6native12_GLOBAL__N_124unique_dim_cuda_templateIbEESt5tupleIJNSF_6TensorESK_SK_EERKSK_lbbbEUlllE0_EEPmJS9_EEE10hipError_tPvRmT3_T4_T5_T6_T7_T9_mT8_P12ihipStream_tbDpT10_ENKUlT_T0_E_clISt17integral_constantIbLb1EES1A_EEDaS15_S16_EUlS15_E_NS1_11comp_targetILNS1_3genE3ELNS1_11target_archE908ELNS1_3gpuE7ELNS1_3repE0EEENS1_30default_config_static_selectorELNS0_4arch9wavefront6targetE1EEEvT1_.num_vgpr, 0
	.set _ZN7rocprim17ROCPRIM_400000_NS6detail17trampoline_kernelINS0_14default_configENS1_25partition_config_selectorILNS1_17partition_subalgoE9EllbEEZZNS1_14partition_implILS5_9ELb0ES3_jPlS8_PNS0_10empty_typeENS0_5tupleIJS8_S9_EEENSB_IJS8_SA_EEENS0_18inequality_wrapperIZN2at6native12_GLOBAL__N_124unique_dim_cuda_templateIbEESt5tupleIJNSF_6TensorESK_SK_EERKSK_lbbbEUlllE0_EEPmJS9_EEE10hipError_tPvRmT3_T4_T5_T6_T7_T9_mT8_P12ihipStream_tbDpT10_ENKUlT_T0_E_clISt17integral_constantIbLb1EES1A_EEDaS15_S16_EUlS15_E_NS1_11comp_targetILNS1_3genE3ELNS1_11target_archE908ELNS1_3gpuE7ELNS1_3repE0EEENS1_30default_config_static_selectorELNS0_4arch9wavefront6targetE1EEEvT1_.num_agpr, 0
	.set _ZN7rocprim17ROCPRIM_400000_NS6detail17trampoline_kernelINS0_14default_configENS1_25partition_config_selectorILNS1_17partition_subalgoE9EllbEEZZNS1_14partition_implILS5_9ELb0ES3_jPlS8_PNS0_10empty_typeENS0_5tupleIJS8_S9_EEENSB_IJS8_SA_EEENS0_18inequality_wrapperIZN2at6native12_GLOBAL__N_124unique_dim_cuda_templateIbEESt5tupleIJNSF_6TensorESK_SK_EERKSK_lbbbEUlllE0_EEPmJS9_EEE10hipError_tPvRmT3_T4_T5_T6_T7_T9_mT8_P12ihipStream_tbDpT10_ENKUlT_T0_E_clISt17integral_constantIbLb1EES1A_EEDaS15_S16_EUlS15_E_NS1_11comp_targetILNS1_3genE3ELNS1_11target_archE908ELNS1_3gpuE7ELNS1_3repE0EEENS1_30default_config_static_selectorELNS0_4arch9wavefront6targetE1EEEvT1_.numbered_sgpr, 0
	.set _ZN7rocprim17ROCPRIM_400000_NS6detail17trampoline_kernelINS0_14default_configENS1_25partition_config_selectorILNS1_17partition_subalgoE9EllbEEZZNS1_14partition_implILS5_9ELb0ES3_jPlS8_PNS0_10empty_typeENS0_5tupleIJS8_S9_EEENSB_IJS8_SA_EEENS0_18inequality_wrapperIZN2at6native12_GLOBAL__N_124unique_dim_cuda_templateIbEESt5tupleIJNSF_6TensorESK_SK_EERKSK_lbbbEUlllE0_EEPmJS9_EEE10hipError_tPvRmT3_T4_T5_T6_T7_T9_mT8_P12ihipStream_tbDpT10_ENKUlT_T0_E_clISt17integral_constantIbLb1EES1A_EEDaS15_S16_EUlS15_E_NS1_11comp_targetILNS1_3genE3ELNS1_11target_archE908ELNS1_3gpuE7ELNS1_3repE0EEENS1_30default_config_static_selectorELNS0_4arch9wavefront6targetE1EEEvT1_.num_named_barrier, 0
	.set _ZN7rocprim17ROCPRIM_400000_NS6detail17trampoline_kernelINS0_14default_configENS1_25partition_config_selectorILNS1_17partition_subalgoE9EllbEEZZNS1_14partition_implILS5_9ELb0ES3_jPlS8_PNS0_10empty_typeENS0_5tupleIJS8_S9_EEENSB_IJS8_SA_EEENS0_18inequality_wrapperIZN2at6native12_GLOBAL__N_124unique_dim_cuda_templateIbEESt5tupleIJNSF_6TensorESK_SK_EERKSK_lbbbEUlllE0_EEPmJS9_EEE10hipError_tPvRmT3_T4_T5_T6_T7_T9_mT8_P12ihipStream_tbDpT10_ENKUlT_T0_E_clISt17integral_constantIbLb1EES1A_EEDaS15_S16_EUlS15_E_NS1_11comp_targetILNS1_3genE3ELNS1_11target_archE908ELNS1_3gpuE7ELNS1_3repE0EEENS1_30default_config_static_selectorELNS0_4arch9wavefront6targetE1EEEvT1_.private_seg_size, 0
	.set _ZN7rocprim17ROCPRIM_400000_NS6detail17trampoline_kernelINS0_14default_configENS1_25partition_config_selectorILNS1_17partition_subalgoE9EllbEEZZNS1_14partition_implILS5_9ELb0ES3_jPlS8_PNS0_10empty_typeENS0_5tupleIJS8_S9_EEENSB_IJS8_SA_EEENS0_18inequality_wrapperIZN2at6native12_GLOBAL__N_124unique_dim_cuda_templateIbEESt5tupleIJNSF_6TensorESK_SK_EERKSK_lbbbEUlllE0_EEPmJS9_EEE10hipError_tPvRmT3_T4_T5_T6_T7_T9_mT8_P12ihipStream_tbDpT10_ENKUlT_T0_E_clISt17integral_constantIbLb1EES1A_EEDaS15_S16_EUlS15_E_NS1_11comp_targetILNS1_3genE3ELNS1_11target_archE908ELNS1_3gpuE7ELNS1_3repE0EEENS1_30default_config_static_selectorELNS0_4arch9wavefront6targetE1EEEvT1_.uses_vcc, 0
	.set _ZN7rocprim17ROCPRIM_400000_NS6detail17trampoline_kernelINS0_14default_configENS1_25partition_config_selectorILNS1_17partition_subalgoE9EllbEEZZNS1_14partition_implILS5_9ELb0ES3_jPlS8_PNS0_10empty_typeENS0_5tupleIJS8_S9_EEENSB_IJS8_SA_EEENS0_18inequality_wrapperIZN2at6native12_GLOBAL__N_124unique_dim_cuda_templateIbEESt5tupleIJNSF_6TensorESK_SK_EERKSK_lbbbEUlllE0_EEPmJS9_EEE10hipError_tPvRmT3_T4_T5_T6_T7_T9_mT8_P12ihipStream_tbDpT10_ENKUlT_T0_E_clISt17integral_constantIbLb1EES1A_EEDaS15_S16_EUlS15_E_NS1_11comp_targetILNS1_3genE3ELNS1_11target_archE908ELNS1_3gpuE7ELNS1_3repE0EEENS1_30default_config_static_selectorELNS0_4arch9wavefront6targetE1EEEvT1_.uses_flat_scratch, 0
	.set _ZN7rocprim17ROCPRIM_400000_NS6detail17trampoline_kernelINS0_14default_configENS1_25partition_config_selectorILNS1_17partition_subalgoE9EllbEEZZNS1_14partition_implILS5_9ELb0ES3_jPlS8_PNS0_10empty_typeENS0_5tupleIJS8_S9_EEENSB_IJS8_SA_EEENS0_18inequality_wrapperIZN2at6native12_GLOBAL__N_124unique_dim_cuda_templateIbEESt5tupleIJNSF_6TensorESK_SK_EERKSK_lbbbEUlllE0_EEPmJS9_EEE10hipError_tPvRmT3_T4_T5_T6_T7_T9_mT8_P12ihipStream_tbDpT10_ENKUlT_T0_E_clISt17integral_constantIbLb1EES1A_EEDaS15_S16_EUlS15_E_NS1_11comp_targetILNS1_3genE3ELNS1_11target_archE908ELNS1_3gpuE7ELNS1_3repE0EEENS1_30default_config_static_selectorELNS0_4arch9wavefront6targetE1EEEvT1_.has_dyn_sized_stack, 0
	.set _ZN7rocprim17ROCPRIM_400000_NS6detail17trampoline_kernelINS0_14default_configENS1_25partition_config_selectorILNS1_17partition_subalgoE9EllbEEZZNS1_14partition_implILS5_9ELb0ES3_jPlS8_PNS0_10empty_typeENS0_5tupleIJS8_S9_EEENSB_IJS8_SA_EEENS0_18inequality_wrapperIZN2at6native12_GLOBAL__N_124unique_dim_cuda_templateIbEESt5tupleIJNSF_6TensorESK_SK_EERKSK_lbbbEUlllE0_EEPmJS9_EEE10hipError_tPvRmT3_T4_T5_T6_T7_T9_mT8_P12ihipStream_tbDpT10_ENKUlT_T0_E_clISt17integral_constantIbLb1EES1A_EEDaS15_S16_EUlS15_E_NS1_11comp_targetILNS1_3genE3ELNS1_11target_archE908ELNS1_3gpuE7ELNS1_3repE0EEENS1_30default_config_static_selectorELNS0_4arch9wavefront6targetE1EEEvT1_.has_recursion, 0
	.set _ZN7rocprim17ROCPRIM_400000_NS6detail17trampoline_kernelINS0_14default_configENS1_25partition_config_selectorILNS1_17partition_subalgoE9EllbEEZZNS1_14partition_implILS5_9ELb0ES3_jPlS8_PNS0_10empty_typeENS0_5tupleIJS8_S9_EEENSB_IJS8_SA_EEENS0_18inequality_wrapperIZN2at6native12_GLOBAL__N_124unique_dim_cuda_templateIbEESt5tupleIJNSF_6TensorESK_SK_EERKSK_lbbbEUlllE0_EEPmJS9_EEE10hipError_tPvRmT3_T4_T5_T6_T7_T9_mT8_P12ihipStream_tbDpT10_ENKUlT_T0_E_clISt17integral_constantIbLb1EES1A_EEDaS15_S16_EUlS15_E_NS1_11comp_targetILNS1_3genE3ELNS1_11target_archE908ELNS1_3gpuE7ELNS1_3repE0EEENS1_30default_config_static_selectorELNS0_4arch9wavefront6targetE1EEEvT1_.has_indirect_call, 0
	.section	.AMDGPU.csdata,"",@progbits
; Kernel info:
; codeLenInByte = 0
; TotalNumSgprs: 6
; NumVgprs: 0
; NumAgprs: 0
; TotalNumVgprs: 0
; ScratchSize: 0
; MemoryBound: 0
; FloatMode: 240
; IeeeMode: 1
; LDSByteSize: 0 bytes/workgroup (compile time only)
; SGPRBlocks: 0
; VGPRBlocks: 0
; NumSGPRsForWavesPerEU: 6
; NumVGPRsForWavesPerEU: 1
; AccumOffset: 4
; Occupancy: 8
; WaveLimiterHint : 0
; COMPUTE_PGM_RSRC2:SCRATCH_EN: 0
; COMPUTE_PGM_RSRC2:USER_SGPR: 2
; COMPUTE_PGM_RSRC2:TRAP_HANDLER: 0
; COMPUTE_PGM_RSRC2:TGID_X_EN: 1
; COMPUTE_PGM_RSRC2:TGID_Y_EN: 0
; COMPUTE_PGM_RSRC2:TGID_Z_EN: 0
; COMPUTE_PGM_RSRC2:TIDIG_COMP_CNT: 0
; COMPUTE_PGM_RSRC3_GFX90A:ACCUM_OFFSET: 0
; COMPUTE_PGM_RSRC3_GFX90A:TG_SPLIT: 0
	.section	.text._ZN7rocprim17ROCPRIM_400000_NS6detail17trampoline_kernelINS0_14default_configENS1_25partition_config_selectorILNS1_17partition_subalgoE9EllbEEZZNS1_14partition_implILS5_9ELb0ES3_jPlS8_PNS0_10empty_typeENS0_5tupleIJS8_S9_EEENSB_IJS8_SA_EEENS0_18inequality_wrapperIZN2at6native12_GLOBAL__N_124unique_dim_cuda_templateIbEESt5tupleIJNSF_6TensorESK_SK_EERKSK_lbbbEUlllE0_EEPmJS9_EEE10hipError_tPvRmT3_T4_T5_T6_T7_T9_mT8_P12ihipStream_tbDpT10_ENKUlT_T0_E_clISt17integral_constantIbLb1EES1A_EEDaS15_S16_EUlS15_E_NS1_11comp_targetILNS1_3genE2ELNS1_11target_archE906ELNS1_3gpuE6ELNS1_3repE0EEENS1_30default_config_static_selectorELNS0_4arch9wavefront6targetE1EEEvT1_,"axG",@progbits,_ZN7rocprim17ROCPRIM_400000_NS6detail17trampoline_kernelINS0_14default_configENS1_25partition_config_selectorILNS1_17partition_subalgoE9EllbEEZZNS1_14partition_implILS5_9ELb0ES3_jPlS8_PNS0_10empty_typeENS0_5tupleIJS8_S9_EEENSB_IJS8_SA_EEENS0_18inequality_wrapperIZN2at6native12_GLOBAL__N_124unique_dim_cuda_templateIbEESt5tupleIJNSF_6TensorESK_SK_EERKSK_lbbbEUlllE0_EEPmJS9_EEE10hipError_tPvRmT3_T4_T5_T6_T7_T9_mT8_P12ihipStream_tbDpT10_ENKUlT_T0_E_clISt17integral_constantIbLb1EES1A_EEDaS15_S16_EUlS15_E_NS1_11comp_targetILNS1_3genE2ELNS1_11target_archE906ELNS1_3gpuE6ELNS1_3repE0EEENS1_30default_config_static_selectorELNS0_4arch9wavefront6targetE1EEEvT1_,comdat
	.globl	_ZN7rocprim17ROCPRIM_400000_NS6detail17trampoline_kernelINS0_14default_configENS1_25partition_config_selectorILNS1_17partition_subalgoE9EllbEEZZNS1_14partition_implILS5_9ELb0ES3_jPlS8_PNS0_10empty_typeENS0_5tupleIJS8_S9_EEENSB_IJS8_SA_EEENS0_18inequality_wrapperIZN2at6native12_GLOBAL__N_124unique_dim_cuda_templateIbEESt5tupleIJNSF_6TensorESK_SK_EERKSK_lbbbEUlllE0_EEPmJS9_EEE10hipError_tPvRmT3_T4_T5_T6_T7_T9_mT8_P12ihipStream_tbDpT10_ENKUlT_T0_E_clISt17integral_constantIbLb1EES1A_EEDaS15_S16_EUlS15_E_NS1_11comp_targetILNS1_3genE2ELNS1_11target_archE906ELNS1_3gpuE6ELNS1_3repE0EEENS1_30default_config_static_selectorELNS0_4arch9wavefront6targetE1EEEvT1_ ; -- Begin function _ZN7rocprim17ROCPRIM_400000_NS6detail17trampoline_kernelINS0_14default_configENS1_25partition_config_selectorILNS1_17partition_subalgoE9EllbEEZZNS1_14partition_implILS5_9ELb0ES3_jPlS8_PNS0_10empty_typeENS0_5tupleIJS8_S9_EEENSB_IJS8_SA_EEENS0_18inequality_wrapperIZN2at6native12_GLOBAL__N_124unique_dim_cuda_templateIbEESt5tupleIJNSF_6TensorESK_SK_EERKSK_lbbbEUlllE0_EEPmJS9_EEE10hipError_tPvRmT3_T4_T5_T6_T7_T9_mT8_P12ihipStream_tbDpT10_ENKUlT_T0_E_clISt17integral_constantIbLb1EES1A_EEDaS15_S16_EUlS15_E_NS1_11comp_targetILNS1_3genE2ELNS1_11target_archE906ELNS1_3gpuE6ELNS1_3repE0EEENS1_30default_config_static_selectorELNS0_4arch9wavefront6targetE1EEEvT1_
	.p2align	8
	.type	_ZN7rocprim17ROCPRIM_400000_NS6detail17trampoline_kernelINS0_14default_configENS1_25partition_config_selectorILNS1_17partition_subalgoE9EllbEEZZNS1_14partition_implILS5_9ELb0ES3_jPlS8_PNS0_10empty_typeENS0_5tupleIJS8_S9_EEENSB_IJS8_SA_EEENS0_18inequality_wrapperIZN2at6native12_GLOBAL__N_124unique_dim_cuda_templateIbEESt5tupleIJNSF_6TensorESK_SK_EERKSK_lbbbEUlllE0_EEPmJS9_EEE10hipError_tPvRmT3_T4_T5_T6_T7_T9_mT8_P12ihipStream_tbDpT10_ENKUlT_T0_E_clISt17integral_constantIbLb1EES1A_EEDaS15_S16_EUlS15_E_NS1_11comp_targetILNS1_3genE2ELNS1_11target_archE906ELNS1_3gpuE6ELNS1_3repE0EEENS1_30default_config_static_selectorELNS0_4arch9wavefront6targetE1EEEvT1_,@function
_ZN7rocprim17ROCPRIM_400000_NS6detail17trampoline_kernelINS0_14default_configENS1_25partition_config_selectorILNS1_17partition_subalgoE9EllbEEZZNS1_14partition_implILS5_9ELb0ES3_jPlS8_PNS0_10empty_typeENS0_5tupleIJS8_S9_EEENSB_IJS8_SA_EEENS0_18inequality_wrapperIZN2at6native12_GLOBAL__N_124unique_dim_cuda_templateIbEESt5tupleIJNSF_6TensorESK_SK_EERKSK_lbbbEUlllE0_EEPmJS9_EEE10hipError_tPvRmT3_T4_T5_T6_T7_T9_mT8_P12ihipStream_tbDpT10_ENKUlT_T0_E_clISt17integral_constantIbLb1EES1A_EEDaS15_S16_EUlS15_E_NS1_11comp_targetILNS1_3genE2ELNS1_11target_archE906ELNS1_3gpuE6ELNS1_3repE0EEENS1_30default_config_static_selectorELNS0_4arch9wavefront6targetE1EEEvT1_: ; @_ZN7rocprim17ROCPRIM_400000_NS6detail17trampoline_kernelINS0_14default_configENS1_25partition_config_selectorILNS1_17partition_subalgoE9EllbEEZZNS1_14partition_implILS5_9ELb0ES3_jPlS8_PNS0_10empty_typeENS0_5tupleIJS8_S9_EEENSB_IJS8_SA_EEENS0_18inequality_wrapperIZN2at6native12_GLOBAL__N_124unique_dim_cuda_templateIbEESt5tupleIJNSF_6TensorESK_SK_EERKSK_lbbbEUlllE0_EEPmJS9_EEE10hipError_tPvRmT3_T4_T5_T6_T7_T9_mT8_P12ihipStream_tbDpT10_ENKUlT_T0_E_clISt17integral_constantIbLb1EES1A_EEDaS15_S16_EUlS15_E_NS1_11comp_targetILNS1_3genE2ELNS1_11target_archE906ELNS1_3gpuE6ELNS1_3repE0EEENS1_30default_config_static_selectorELNS0_4arch9wavefront6targetE1EEEvT1_
; %bb.0:
	.section	.rodata,"a",@progbits
	.p2align	6, 0x0
	.amdhsa_kernel _ZN7rocprim17ROCPRIM_400000_NS6detail17trampoline_kernelINS0_14default_configENS1_25partition_config_selectorILNS1_17partition_subalgoE9EllbEEZZNS1_14partition_implILS5_9ELb0ES3_jPlS8_PNS0_10empty_typeENS0_5tupleIJS8_S9_EEENSB_IJS8_SA_EEENS0_18inequality_wrapperIZN2at6native12_GLOBAL__N_124unique_dim_cuda_templateIbEESt5tupleIJNSF_6TensorESK_SK_EERKSK_lbbbEUlllE0_EEPmJS9_EEE10hipError_tPvRmT3_T4_T5_T6_T7_T9_mT8_P12ihipStream_tbDpT10_ENKUlT_T0_E_clISt17integral_constantIbLb1EES1A_EEDaS15_S16_EUlS15_E_NS1_11comp_targetILNS1_3genE2ELNS1_11target_archE906ELNS1_3gpuE6ELNS1_3repE0EEENS1_30default_config_static_selectorELNS0_4arch9wavefront6targetE1EEEvT1_
		.amdhsa_group_segment_fixed_size 0
		.amdhsa_private_segment_fixed_size 0
		.amdhsa_kernarg_size 136
		.amdhsa_user_sgpr_count 2
		.amdhsa_user_sgpr_dispatch_ptr 0
		.amdhsa_user_sgpr_queue_ptr 0
		.amdhsa_user_sgpr_kernarg_segment_ptr 1
		.amdhsa_user_sgpr_dispatch_id 0
		.amdhsa_user_sgpr_kernarg_preload_length 0
		.amdhsa_user_sgpr_kernarg_preload_offset 0
		.amdhsa_user_sgpr_private_segment_size 0
		.amdhsa_uses_dynamic_stack 0
		.amdhsa_enable_private_segment 0
		.amdhsa_system_sgpr_workgroup_id_x 1
		.amdhsa_system_sgpr_workgroup_id_y 0
		.amdhsa_system_sgpr_workgroup_id_z 0
		.amdhsa_system_sgpr_workgroup_info 0
		.amdhsa_system_vgpr_workitem_id 0
		.amdhsa_next_free_vgpr 1
		.amdhsa_next_free_sgpr 0
		.amdhsa_accum_offset 4
		.amdhsa_reserve_vcc 0
		.amdhsa_float_round_mode_32 0
		.amdhsa_float_round_mode_16_64 0
		.amdhsa_float_denorm_mode_32 3
		.amdhsa_float_denorm_mode_16_64 3
		.amdhsa_dx10_clamp 1
		.amdhsa_ieee_mode 1
		.amdhsa_fp16_overflow 0
		.amdhsa_tg_split 0
		.amdhsa_exception_fp_ieee_invalid_op 0
		.amdhsa_exception_fp_denorm_src 0
		.amdhsa_exception_fp_ieee_div_zero 0
		.amdhsa_exception_fp_ieee_overflow 0
		.amdhsa_exception_fp_ieee_underflow 0
		.amdhsa_exception_fp_ieee_inexact 0
		.amdhsa_exception_int_div_zero 0
	.end_amdhsa_kernel
	.section	.text._ZN7rocprim17ROCPRIM_400000_NS6detail17trampoline_kernelINS0_14default_configENS1_25partition_config_selectorILNS1_17partition_subalgoE9EllbEEZZNS1_14partition_implILS5_9ELb0ES3_jPlS8_PNS0_10empty_typeENS0_5tupleIJS8_S9_EEENSB_IJS8_SA_EEENS0_18inequality_wrapperIZN2at6native12_GLOBAL__N_124unique_dim_cuda_templateIbEESt5tupleIJNSF_6TensorESK_SK_EERKSK_lbbbEUlllE0_EEPmJS9_EEE10hipError_tPvRmT3_T4_T5_T6_T7_T9_mT8_P12ihipStream_tbDpT10_ENKUlT_T0_E_clISt17integral_constantIbLb1EES1A_EEDaS15_S16_EUlS15_E_NS1_11comp_targetILNS1_3genE2ELNS1_11target_archE906ELNS1_3gpuE6ELNS1_3repE0EEENS1_30default_config_static_selectorELNS0_4arch9wavefront6targetE1EEEvT1_,"axG",@progbits,_ZN7rocprim17ROCPRIM_400000_NS6detail17trampoline_kernelINS0_14default_configENS1_25partition_config_selectorILNS1_17partition_subalgoE9EllbEEZZNS1_14partition_implILS5_9ELb0ES3_jPlS8_PNS0_10empty_typeENS0_5tupleIJS8_S9_EEENSB_IJS8_SA_EEENS0_18inequality_wrapperIZN2at6native12_GLOBAL__N_124unique_dim_cuda_templateIbEESt5tupleIJNSF_6TensorESK_SK_EERKSK_lbbbEUlllE0_EEPmJS9_EEE10hipError_tPvRmT3_T4_T5_T6_T7_T9_mT8_P12ihipStream_tbDpT10_ENKUlT_T0_E_clISt17integral_constantIbLb1EES1A_EEDaS15_S16_EUlS15_E_NS1_11comp_targetILNS1_3genE2ELNS1_11target_archE906ELNS1_3gpuE6ELNS1_3repE0EEENS1_30default_config_static_selectorELNS0_4arch9wavefront6targetE1EEEvT1_,comdat
.Lfunc_end1095:
	.size	_ZN7rocprim17ROCPRIM_400000_NS6detail17trampoline_kernelINS0_14default_configENS1_25partition_config_selectorILNS1_17partition_subalgoE9EllbEEZZNS1_14partition_implILS5_9ELb0ES3_jPlS8_PNS0_10empty_typeENS0_5tupleIJS8_S9_EEENSB_IJS8_SA_EEENS0_18inequality_wrapperIZN2at6native12_GLOBAL__N_124unique_dim_cuda_templateIbEESt5tupleIJNSF_6TensorESK_SK_EERKSK_lbbbEUlllE0_EEPmJS9_EEE10hipError_tPvRmT3_T4_T5_T6_T7_T9_mT8_P12ihipStream_tbDpT10_ENKUlT_T0_E_clISt17integral_constantIbLb1EES1A_EEDaS15_S16_EUlS15_E_NS1_11comp_targetILNS1_3genE2ELNS1_11target_archE906ELNS1_3gpuE6ELNS1_3repE0EEENS1_30default_config_static_selectorELNS0_4arch9wavefront6targetE1EEEvT1_, .Lfunc_end1095-_ZN7rocprim17ROCPRIM_400000_NS6detail17trampoline_kernelINS0_14default_configENS1_25partition_config_selectorILNS1_17partition_subalgoE9EllbEEZZNS1_14partition_implILS5_9ELb0ES3_jPlS8_PNS0_10empty_typeENS0_5tupleIJS8_S9_EEENSB_IJS8_SA_EEENS0_18inequality_wrapperIZN2at6native12_GLOBAL__N_124unique_dim_cuda_templateIbEESt5tupleIJNSF_6TensorESK_SK_EERKSK_lbbbEUlllE0_EEPmJS9_EEE10hipError_tPvRmT3_T4_T5_T6_T7_T9_mT8_P12ihipStream_tbDpT10_ENKUlT_T0_E_clISt17integral_constantIbLb1EES1A_EEDaS15_S16_EUlS15_E_NS1_11comp_targetILNS1_3genE2ELNS1_11target_archE906ELNS1_3gpuE6ELNS1_3repE0EEENS1_30default_config_static_selectorELNS0_4arch9wavefront6targetE1EEEvT1_
                                        ; -- End function
	.set _ZN7rocprim17ROCPRIM_400000_NS6detail17trampoline_kernelINS0_14default_configENS1_25partition_config_selectorILNS1_17partition_subalgoE9EllbEEZZNS1_14partition_implILS5_9ELb0ES3_jPlS8_PNS0_10empty_typeENS0_5tupleIJS8_S9_EEENSB_IJS8_SA_EEENS0_18inequality_wrapperIZN2at6native12_GLOBAL__N_124unique_dim_cuda_templateIbEESt5tupleIJNSF_6TensorESK_SK_EERKSK_lbbbEUlllE0_EEPmJS9_EEE10hipError_tPvRmT3_T4_T5_T6_T7_T9_mT8_P12ihipStream_tbDpT10_ENKUlT_T0_E_clISt17integral_constantIbLb1EES1A_EEDaS15_S16_EUlS15_E_NS1_11comp_targetILNS1_3genE2ELNS1_11target_archE906ELNS1_3gpuE6ELNS1_3repE0EEENS1_30default_config_static_selectorELNS0_4arch9wavefront6targetE1EEEvT1_.num_vgpr, 0
	.set _ZN7rocprim17ROCPRIM_400000_NS6detail17trampoline_kernelINS0_14default_configENS1_25partition_config_selectorILNS1_17partition_subalgoE9EllbEEZZNS1_14partition_implILS5_9ELb0ES3_jPlS8_PNS0_10empty_typeENS0_5tupleIJS8_S9_EEENSB_IJS8_SA_EEENS0_18inequality_wrapperIZN2at6native12_GLOBAL__N_124unique_dim_cuda_templateIbEESt5tupleIJNSF_6TensorESK_SK_EERKSK_lbbbEUlllE0_EEPmJS9_EEE10hipError_tPvRmT3_T4_T5_T6_T7_T9_mT8_P12ihipStream_tbDpT10_ENKUlT_T0_E_clISt17integral_constantIbLb1EES1A_EEDaS15_S16_EUlS15_E_NS1_11comp_targetILNS1_3genE2ELNS1_11target_archE906ELNS1_3gpuE6ELNS1_3repE0EEENS1_30default_config_static_selectorELNS0_4arch9wavefront6targetE1EEEvT1_.num_agpr, 0
	.set _ZN7rocprim17ROCPRIM_400000_NS6detail17trampoline_kernelINS0_14default_configENS1_25partition_config_selectorILNS1_17partition_subalgoE9EllbEEZZNS1_14partition_implILS5_9ELb0ES3_jPlS8_PNS0_10empty_typeENS0_5tupleIJS8_S9_EEENSB_IJS8_SA_EEENS0_18inequality_wrapperIZN2at6native12_GLOBAL__N_124unique_dim_cuda_templateIbEESt5tupleIJNSF_6TensorESK_SK_EERKSK_lbbbEUlllE0_EEPmJS9_EEE10hipError_tPvRmT3_T4_T5_T6_T7_T9_mT8_P12ihipStream_tbDpT10_ENKUlT_T0_E_clISt17integral_constantIbLb1EES1A_EEDaS15_S16_EUlS15_E_NS1_11comp_targetILNS1_3genE2ELNS1_11target_archE906ELNS1_3gpuE6ELNS1_3repE0EEENS1_30default_config_static_selectorELNS0_4arch9wavefront6targetE1EEEvT1_.numbered_sgpr, 0
	.set _ZN7rocprim17ROCPRIM_400000_NS6detail17trampoline_kernelINS0_14default_configENS1_25partition_config_selectorILNS1_17partition_subalgoE9EllbEEZZNS1_14partition_implILS5_9ELb0ES3_jPlS8_PNS0_10empty_typeENS0_5tupleIJS8_S9_EEENSB_IJS8_SA_EEENS0_18inequality_wrapperIZN2at6native12_GLOBAL__N_124unique_dim_cuda_templateIbEESt5tupleIJNSF_6TensorESK_SK_EERKSK_lbbbEUlllE0_EEPmJS9_EEE10hipError_tPvRmT3_T4_T5_T6_T7_T9_mT8_P12ihipStream_tbDpT10_ENKUlT_T0_E_clISt17integral_constantIbLb1EES1A_EEDaS15_S16_EUlS15_E_NS1_11comp_targetILNS1_3genE2ELNS1_11target_archE906ELNS1_3gpuE6ELNS1_3repE0EEENS1_30default_config_static_selectorELNS0_4arch9wavefront6targetE1EEEvT1_.num_named_barrier, 0
	.set _ZN7rocprim17ROCPRIM_400000_NS6detail17trampoline_kernelINS0_14default_configENS1_25partition_config_selectorILNS1_17partition_subalgoE9EllbEEZZNS1_14partition_implILS5_9ELb0ES3_jPlS8_PNS0_10empty_typeENS0_5tupleIJS8_S9_EEENSB_IJS8_SA_EEENS0_18inequality_wrapperIZN2at6native12_GLOBAL__N_124unique_dim_cuda_templateIbEESt5tupleIJNSF_6TensorESK_SK_EERKSK_lbbbEUlllE0_EEPmJS9_EEE10hipError_tPvRmT3_T4_T5_T6_T7_T9_mT8_P12ihipStream_tbDpT10_ENKUlT_T0_E_clISt17integral_constantIbLb1EES1A_EEDaS15_S16_EUlS15_E_NS1_11comp_targetILNS1_3genE2ELNS1_11target_archE906ELNS1_3gpuE6ELNS1_3repE0EEENS1_30default_config_static_selectorELNS0_4arch9wavefront6targetE1EEEvT1_.private_seg_size, 0
	.set _ZN7rocprim17ROCPRIM_400000_NS6detail17trampoline_kernelINS0_14default_configENS1_25partition_config_selectorILNS1_17partition_subalgoE9EllbEEZZNS1_14partition_implILS5_9ELb0ES3_jPlS8_PNS0_10empty_typeENS0_5tupleIJS8_S9_EEENSB_IJS8_SA_EEENS0_18inequality_wrapperIZN2at6native12_GLOBAL__N_124unique_dim_cuda_templateIbEESt5tupleIJNSF_6TensorESK_SK_EERKSK_lbbbEUlllE0_EEPmJS9_EEE10hipError_tPvRmT3_T4_T5_T6_T7_T9_mT8_P12ihipStream_tbDpT10_ENKUlT_T0_E_clISt17integral_constantIbLb1EES1A_EEDaS15_S16_EUlS15_E_NS1_11comp_targetILNS1_3genE2ELNS1_11target_archE906ELNS1_3gpuE6ELNS1_3repE0EEENS1_30default_config_static_selectorELNS0_4arch9wavefront6targetE1EEEvT1_.uses_vcc, 0
	.set _ZN7rocprim17ROCPRIM_400000_NS6detail17trampoline_kernelINS0_14default_configENS1_25partition_config_selectorILNS1_17partition_subalgoE9EllbEEZZNS1_14partition_implILS5_9ELb0ES3_jPlS8_PNS0_10empty_typeENS0_5tupleIJS8_S9_EEENSB_IJS8_SA_EEENS0_18inequality_wrapperIZN2at6native12_GLOBAL__N_124unique_dim_cuda_templateIbEESt5tupleIJNSF_6TensorESK_SK_EERKSK_lbbbEUlllE0_EEPmJS9_EEE10hipError_tPvRmT3_T4_T5_T6_T7_T9_mT8_P12ihipStream_tbDpT10_ENKUlT_T0_E_clISt17integral_constantIbLb1EES1A_EEDaS15_S16_EUlS15_E_NS1_11comp_targetILNS1_3genE2ELNS1_11target_archE906ELNS1_3gpuE6ELNS1_3repE0EEENS1_30default_config_static_selectorELNS0_4arch9wavefront6targetE1EEEvT1_.uses_flat_scratch, 0
	.set _ZN7rocprim17ROCPRIM_400000_NS6detail17trampoline_kernelINS0_14default_configENS1_25partition_config_selectorILNS1_17partition_subalgoE9EllbEEZZNS1_14partition_implILS5_9ELb0ES3_jPlS8_PNS0_10empty_typeENS0_5tupleIJS8_S9_EEENSB_IJS8_SA_EEENS0_18inequality_wrapperIZN2at6native12_GLOBAL__N_124unique_dim_cuda_templateIbEESt5tupleIJNSF_6TensorESK_SK_EERKSK_lbbbEUlllE0_EEPmJS9_EEE10hipError_tPvRmT3_T4_T5_T6_T7_T9_mT8_P12ihipStream_tbDpT10_ENKUlT_T0_E_clISt17integral_constantIbLb1EES1A_EEDaS15_S16_EUlS15_E_NS1_11comp_targetILNS1_3genE2ELNS1_11target_archE906ELNS1_3gpuE6ELNS1_3repE0EEENS1_30default_config_static_selectorELNS0_4arch9wavefront6targetE1EEEvT1_.has_dyn_sized_stack, 0
	.set _ZN7rocprim17ROCPRIM_400000_NS6detail17trampoline_kernelINS0_14default_configENS1_25partition_config_selectorILNS1_17partition_subalgoE9EllbEEZZNS1_14partition_implILS5_9ELb0ES3_jPlS8_PNS0_10empty_typeENS0_5tupleIJS8_S9_EEENSB_IJS8_SA_EEENS0_18inequality_wrapperIZN2at6native12_GLOBAL__N_124unique_dim_cuda_templateIbEESt5tupleIJNSF_6TensorESK_SK_EERKSK_lbbbEUlllE0_EEPmJS9_EEE10hipError_tPvRmT3_T4_T5_T6_T7_T9_mT8_P12ihipStream_tbDpT10_ENKUlT_T0_E_clISt17integral_constantIbLb1EES1A_EEDaS15_S16_EUlS15_E_NS1_11comp_targetILNS1_3genE2ELNS1_11target_archE906ELNS1_3gpuE6ELNS1_3repE0EEENS1_30default_config_static_selectorELNS0_4arch9wavefront6targetE1EEEvT1_.has_recursion, 0
	.set _ZN7rocprim17ROCPRIM_400000_NS6detail17trampoline_kernelINS0_14default_configENS1_25partition_config_selectorILNS1_17partition_subalgoE9EllbEEZZNS1_14partition_implILS5_9ELb0ES3_jPlS8_PNS0_10empty_typeENS0_5tupleIJS8_S9_EEENSB_IJS8_SA_EEENS0_18inequality_wrapperIZN2at6native12_GLOBAL__N_124unique_dim_cuda_templateIbEESt5tupleIJNSF_6TensorESK_SK_EERKSK_lbbbEUlllE0_EEPmJS9_EEE10hipError_tPvRmT3_T4_T5_T6_T7_T9_mT8_P12ihipStream_tbDpT10_ENKUlT_T0_E_clISt17integral_constantIbLb1EES1A_EEDaS15_S16_EUlS15_E_NS1_11comp_targetILNS1_3genE2ELNS1_11target_archE906ELNS1_3gpuE6ELNS1_3repE0EEENS1_30default_config_static_selectorELNS0_4arch9wavefront6targetE1EEEvT1_.has_indirect_call, 0
	.section	.AMDGPU.csdata,"",@progbits
; Kernel info:
; codeLenInByte = 0
; TotalNumSgprs: 6
; NumVgprs: 0
; NumAgprs: 0
; TotalNumVgprs: 0
; ScratchSize: 0
; MemoryBound: 0
; FloatMode: 240
; IeeeMode: 1
; LDSByteSize: 0 bytes/workgroup (compile time only)
; SGPRBlocks: 0
; VGPRBlocks: 0
; NumSGPRsForWavesPerEU: 6
; NumVGPRsForWavesPerEU: 1
; AccumOffset: 4
; Occupancy: 8
; WaveLimiterHint : 0
; COMPUTE_PGM_RSRC2:SCRATCH_EN: 0
; COMPUTE_PGM_RSRC2:USER_SGPR: 2
; COMPUTE_PGM_RSRC2:TRAP_HANDLER: 0
; COMPUTE_PGM_RSRC2:TGID_X_EN: 1
; COMPUTE_PGM_RSRC2:TGID_Y_EN: 0
; COMPUTE_PGM_RSRC2:TGID_Z_EN: 0
; COMPUTE_PGM_RSRC2:TIDIG_COMP_CNT: 0
; COMPUTE_PGM_RSRC3_GFX90A:ACCUM_OFFSET: 0
; COMPUTE_PGM_RSRC3_GFX90A:TG_SPLIT: 0
	.section	.text._ZN7rocprim17ROCPRIM_400000_NS6detail17trampoline_kernelINS0_14default_configENS1_25partition_config_selectorILNS1_17partition_subalgoE9EllbEEZZNS1_14partition_implILS5_9ELb0ES3_jPlS8_PNS0_10empty_typeENS0_5tupleIJS8_S9_EEENSB_IJS8_SA_EEENS0_18inequality_wrapperIZN2at6native12_GLOBAL__N_124unique_dim_cuda_templateIbEESt5tupleIJNSF_6TensorESK_SK_EERKSK_lbbbEUlllE0_EEPmJS9_EEE10hipError_tPvRmT3_T4_T5_T6_T7_T9_mT8_P12ihipStream_tbDpT10_ENKUlT_T0_E_clISt17integral_constantIbLb1EES1A_EEDaS15_S16_EUlS15_E_NS1_11comp_targetILNS1_3genE10ELNS1_11target_archE1200ELNS1_3gpuE4ELNS1_3repE0EEENS1_30default_config_static_selectorELNS0_4arch9wavefront6targetE1EEEvT1_,"axG",@progbits,_ZN7rocprim17ROCPRIM_400000_NS6detail17trampoline_kernelINS0_14default_configENS1_25partition_config_selectorILNS1_17partition_subalgoE9EllbEEZZNS1_14partition_implILS5_9ELb0ES3_jPlS8_PNS0_10empty_typeENS0_5tupleIJS8_S9_EEENSB_IJS8_SA_EEENS0_18inequality_wrapperIZN2at6native12_GLOBAL__N_124unique_dim_cuda_templateIbEESt5tupleIJNSF_6TensorESK_SK_EERKSK_lbbbEUlllE0_EEPmJS9_EEE10hipError_tPvRmT3_T4_T5_T6_T7_T9_mT8_P12ihipStream_tbDpT10_ENKUlT_T0_E_clISt17integral_constantIbLb1EES1A_EEDaS15_S16_EUlS15_E_NS1_11comp_targetILNS1_3genE10ELNS1_11target_archE1200ELNS1_3gpuE4ELNS1_3repE0EEENS1_30default_config_static_selectorELNS0_4arch9wavefront6targetE1EEEvT1_,comdat
	.globl	_ZN7rocprim17ROCPRIM_400000_NS6detail17trampoline_kernelINS0_14default_configENS1_25partition_config_selectorILNS1_17partition_subalgoE9EllbEEZZNS1_14partition_implILS5_9ELb0ES3_jPlS8_PNS0_10empty_typeENS0_5tupleIJS8_S9_EEENSB_IJS8_SA_EEENS0_18inequality_wrapperIZN2at6native12_GLOBAL__N_124unique_dim_cuda_templateIbEESt5tupleIJNSF_6TensorESK_SK_EERKSK_lbbbEUlllE0_EEPmJS9_EEE10hipError_tPvRmT3_T4_T5_T6_T7_T9_mT8_P12ihipStream_tbDpT10_ENKUlT_T0_E_clISt17integral_constantIbLb1EES1A_EEDaS15_S16_EUlS15_E_NS1_11comp_targetILNS1_3genE10ELNS1_11target_archE1200ELNS1_3gpuE4ELNS1_3repE0EEENS1_30default_config_static_selectorELNS0_4arch9wavefront6targetE1EEEvT1_ ; -- Begin function _ZN7rocprim17ROCPRIM_400000_NS6detail17trampoline_kernelINS0_14default_configENS1_25partition_config_selectorILNS1_17partition_subalgoE9EllbEEZZNS1_14partition_implILS5_9ELb0ES3_jPlS8_PNS0_10empty_typeENS0_5tupleIJS8_S9_EEENSB_IJS8_SA_EEENS0_18inequality_wrapperIZN2at6native12_GLOBAL__N_124unique_dim_cuda_templateIbEESt5tupleIJNSF_6TensorESK_SK_EERKSK_lbbbEUlllE0_EEPmJS9_EEE10hipError_tPvRmT3_T4_T5_T6_T7_T9_mT8_P12ihipStream_tbDpT10_ENKUlT_T0_E_clISt17integral_constantIbLb1EES1A_EEDaS15_S16_EUlS15_E_NS1_11comp_targetILNS1_3genE10ELNS1_11target_archE1200ELNS1_3gpuE4ELNS1_3repE0EEENS1_30default_config_static_selectorELNS0_4arch9wavefront6targetE1EEEvT1_
	.p2align	8
	.type	_ZN7rocprim17ROCPRIM_400000_NS6detail17trampoline_kernelINS0_14default_configENS1_25partition_config_selectorILNS1_17partition_subalgoE9EllbEEZZNS1_14partition_implILS5_9ELb0ES3_jPlS8_PNS0_10empty_typeENS0_5tupleIJS8_S9_EEENSB_IJS8_SA_EEENS0_18inequality_wrapperIZN2at6native12_GLOBAL__N_124unique_dim_cuda_templateIbEESt5tupleIJNSF_6TensorESK_SK_EERKSK_lbbbEUlllE0_EEPmJS9_EEE10hipError_tPvRmT3_T4_T5_T6_T7_T9_mT8_P12ihipStream_tbDpT10_ENKUlT_T0_E_clISt17integral_constantIbLb1EES1A_EEDaS15_S16_EUlS15_E_NS1_11comp_targetILNS1_3genE10ELNS1_11target_archE1200ELNS1_3gpuE4ELNS1_3repE0EEENS1_30default_config_static_selectorELNS0_4arch9wavefront6targetE1EEEvT1_,@function
_ZN7rocprim17ROCPRIM_400000_NS6detail17trampoline_kernelINS0_14default_configENS1_25partition_config_selectorILNS1_17partition_subalgoE9EllbEEZZNS1_14partition_implILS5_9ELb0ES3_jPlS8_PNS0_10empty_typeENS0_5tupleIJS8_S9_EEENSB_IJS8_SA_EEENS0_18inequality_wrapperIZN2at6native12_GLOBAL__N_124unique_dim_cuda_templateIbEESt5tupleIJNSF_6TensorESK_SK_EERKSK_lbbbEUlllE0_EEPmJS9_EEE10hipError_tPvRmT3_T4_T5_T6_T7_T9_mT8_P12ihipStream_tbDpT10_ENKUlT_T0_E_clISt17integral_constantIbLb1EES1A_EEDaS15_S16_EUlS15_E_NS1_11comp_targetILNS1_3genE10ELNS1_11target_archE1200ELNS1_3gpuE4ELNS1_3repE0EEENS1_30default_config_static_selectorELNS0_4arch9wavefront6targetE1EEEvT1_: ; @_ZN7rocprim17ROCPRIM_400000_NS6detail17trampoline_kernelINS0_14default_configENS1_25partition_config_selectorILNS1_17partition_subalgoE9EllbEEZZNS1_14partition_implILS5_9ELb0ES3_jPlS8_PNS0_10empty_typeENS0_5tupleIJS8_S9_EEENSB_IJS8_SA_EEENS0_18inequality_wrapperIZN2at6native12_GLOBAL__N_124unique_dim_cuda_templateIbEESt5tupleIJNSF_6TensorESK_SK_EERKSK_lbbbEUlllE0_EEPmJS9_EEE10hipError_tPvRmT3_T4_T5_T6_T7_T9_mT8_P12ihipStream_tbDpT10_ENKUlT_T0_E_clISt17integral_constantIbLb1EES1A_EEDaS15_S16_EUlS15_E_NS1_11comp_targetILNS1_3genE10ELNS1_11target_archE1200ELNS1_3gpuE4ELNS1_3repE0EEENS1_30default_config_static_selectorELNS0_4arch9wavefront6targetE1EEEvT1_
; %bb.0:
	.section	.rodata,"a",@progbits
	.p2align	6, 0x0
	.amdhsa_kernel _ZN7rocprim17ROCPRIM_400000_NS6detail17trampoline_kernelINS0_14default_configENS1_25partition_config_selectorILNS1_17partition_subalgoE9EllbEEZZNS1_14partition_implILS5_9ELb0ES3_jPlS8_PNS0_10empty_typeENS0_5tupleIJS8_S9_EEENSB_IJS8_SA_EEENS0_18inequality_wrapperIZN2at6native12_GLOBAL__N_124unique_dim_cuda_templateIbEESt5tupleIJNSF_6TensorESK_SK_EERKSK_lbbbEUlllE0_EEPmJS9_EEE10hipError_tPvRmT3_T4_T5_T6_T7_T9_mT8_P12ihipStream_tbDpT10_ENKUlT_T0_E_clISt17integral_constantIbLb1EES1A_EEDaS15_S16_EUlS15_E_NS1_11comp_targetILNS1_3genE10ELNS1_11target_archE1200ELNS1_3gpuE4ELNS1_3repE0EEENS1_30default_config_static_selectorELNS0_4arch9wavefront6targetE1EEEvT1_
		.amdhsa_group_segment_fixed_size 0
		.amdhsa_private_segment_fixed_size 0
		.amdhsa_kernarg_size 136
		.amdhsa_user_sgpr_count 2
		.amdhsa_user_sgpr_dispatch_ptr 0
		.amdhsa_user_sgpr_queue_ptr 0
		.amdhsa_user_sgpr_kernarg_segment_ptr 1
		.amdhsa_user_sgpr_dispatch_id 0
		.amdhsa_user_sgpr_kernarg_preload_length 0
		.amdhsa_user_sgpr_kernarg_preload_offset 0
		.amdhsa_user_sgpr_private_segment_size 0
		.amdhsa_uses_dynamic_stack 0
		.amdhsa_enable_private_segment 0
		.amdhsa_system_sgpr_workgroup_id_x 1
		.amdhsa_system_sgpr_workgroup_id_y 0
		.amdhsa_system_sgpr_workgroup_id_z 0
		.amdhsa_system_sgpr_workgroup_info 0
		.amdhsa_system_vgpr_workitem_id 0
		.amdhsa_next_free_vgpr 1
		.amdhsa_next_free_sgpr 0
		.amdhsa_accum_offset 4
		.amdhsa_reserve_vcc 0
		.amdhsa_float_round_mode_32 0
		.amdhsa_float_round_mode_16_64 0
		.amdhsa_float_denorm_mode_32 3
		.amdhsa_float_denorm_mode_16_64 3
		.amdhsa_dx10_clamp 1
		.amdhsa_ieee_mode 1
		.amdhsa_fp16_overflow 0
		.amdhsa_tg_split 0
		.amdhsa_exception_fp_ieee_invalid_op 0
		.amdhsa_exception_fp_denorm_src 0
		.amdhsa_exception_fp_ieee_div_zero 0
		.amdhsa_exception_fp_ieee_overflow 0
		.amdhsa_exception_fp_ieee_underflow 0
		.amdhsa_exception_fp_ieee_inexact 0
		.amdhsa_exception_int_div_zero 0
	.end_amdhsa_kernel
	.section	.text._ZN7rocprim17ROCPRIM_400000_NS6detail17trampoline_kernelINS0_14default_configENS1_25partition_config_selectorILNS1_17partition_subalgoE9EllbEEZZNS1_14partition_implILS5_9ELb0ES3_jPlS8_PNS0_10empty_typeENS0_5tupleIJS8_S9_EEENSB_IJS8_SA_EEENS0_18inequality_wrapperIZN2at6native12_GLOBAL__N_124unique_dim_cuda_templateIbEESt5tupleIJNSF_6TensorESK_SK_EERKSK_lbbbEUlllE0_EEPmJS9_EEE10hipError_tPvRmT3_T4_T5_T6_T7_T9_mT8_P12ihipStream_tbDpT10_ENKUlT_T0_E_clISt17integral_constantIbLb1EES1A_EEDaS15_S16_EUlS15_E_NS1_11comp_targetILNS1_3genE10ELNS1_11target_archE1200ELNS1_3gpuE4ELNS1_3repE0EEENS1_30default_config_static_selectorELNS0_4arch9wavefront6targetE1EEEvT1_,"axG",@progbits,_ZN7rocprim17ROCPRIM_400000_NS6detail17trampoline_kernelINS0_14default_configENS1_25partition_config_selectorILNS1_17partition_subalgoE9EllbEEZZNS1_14partition_implILS5_9ELb0ES3_jPlS8_PNS0_10empty_typeENS0_5tupleIJS8_S9_EEENSB_IJS8_SA_EEENS0_18inequality_wrapperIZN2at6native12_GLOBAL__N_124unique_dim_cuda_templateIbEESt5tupleIJNSF_6TensorESK_SK_EERKSK_lbbbEUlllE0_EEPmJS9_EEE10hipError_tPvRmT3_T4_T5_T6_T7_T9_mT8_P12ihipStream_tbDpT10_ENKUlT_T0_E_clISt17integral_constantIbLb1EES1A_EEDaS15_S16_EUlS15_E_NS1_11comp_targetILNS1_3genE10ELNS1_11target_archE1200ELNS1_3gpuE4ELNS1_3repE0EEENS1_30default_config_static_selectorELNS0_4arch9wavefront6targetE1EEEvT1_,comdat
.Lfunc_end1096:
	.size	_ZN7rocprim17ROCPRIM_400000_NS6detail17trampoline_kernelINS0_14default_configENS1_25partition_config_selectorILNS1_17partition_subalgoE9EllbEEZZNS1_14partition_implILS5_9ELb0ES3_jPlS8_PNS0_10empty_typeENS0_5tupleIJS8_S9_EEENSB_IJS8_SA_EEENS0_18inequality_wrapperIZN2at6native12_GLOBAL__N_124unique_dim_cuda_templateIbEESt5tupleIJNSF_6TensorESK_SK_EERKSK_lbbbEUlllE0_EEPmJS9_EEE10hipError_tPvRmT3_T4_T5_T6_T7_T9_mT8_P12ihipStream_tbDpT10_ENKUlT_T0_E_clISt17integral_constantIbLb1EES1A_EEDaS15_S16_EUlS15_E_NS1_11comp_targetILNS1_3genE10ELNS1_11target_archE1200ELNS1_3gpuE4ELNS1_3repE0EEENS1_30default_config_static_selectorELNS0_4arch9wavefront6targetE1EEEvT1_, .Lfunc_end1096-_ZN7rocprim17ROCPRIM_400000_NS6detail17trampoline_kernelINS0_14default_configENS1_25partition_config_selectorILNS1_17partition_subalgoE9EllbEEZZNS1_14partition_implILS5_9ELb0ES3_jPlS8_PNS0_10empty_typeENS0_5tupleIJS8_S9_EEENSB_IJS8_SA_EEENS0_18inequality_wrapperIZN2at6native12_GLOBAL__N_124unique_dim_cuda_templateIbEESt5tupleIJNSF_6TensorESK_SK_EERKSK_lbbbEUlllE0_EEPmJS9_EEE10hipError_tPvRmT3_T4_T5_T6_T7_T9_mT8_P12ihipStream_tbDpT10_ENKUlT_T0_E_clISt17integral_constantIbLb1EES1A_EEDaS15_S16_EUlS15_E_NS1_11comp_targetILNS1_3genE10ELNS1_11target_archE1200ELNS1_3gpuE4ELNS1_3repE0EEENS1_30default_config_static_selectorELNS0_4arch9wavefront6targetE1EEEvT1_
                                        ; -- End function
	.set _ZN7rocprim17ROCPRIM_400000_NS6detail17trampoline_kernelINS0_14default_configENS1_25partition_config_selectorILNS1_17partition_subalgoE9EllbEEZZNS1_14partition_implILS5_9ELb0ES3_jPlS8_PNS0_10empty_typeENS0_5tupleIJS8_S9_EEENSB_IJS8_SA_EEENS0_18inequality_wrapperIZN2at6native12_GLOBAL__N_124unique_dim_cuda_templateIbEESt5tupleIJNSF_6TensorESK_SK_EERKSK_lbbbEUlllE0_EEPmJS9_EEE10hipError_tPvRmT3_T4_T5_T6_T7_T9_mT8_P12ihipStream_tbDpT10_ENKUlT_T0_E_clISt17integral_constantIbLb1EES1A_EEDaS15_S16_EUlS15_E_NS1_11comp_targetILNS1_3genE10ELNS1_11target_archE1200ELNS1_3gpuE4ELNS1_3repE0EEENS1_30default_config_static_selectorELNS0_4arch9wavefront6targetE1EEEvT1_.num_vgpr, 0
	.set _ZN7rocprim17ROCPRIM_400000_NS6detail17trampoline_kernelINS0_14default_configENS1_25partition_config_selectorILNS1_17partition_subalgoE9EllbEEZZNS1_14partition_implILS5_9ELb0ES3_jPlS8_PNS0_10empty_typeENS0_5tupleIJS8_S9_EEENSB_IJS8_SA_EEENS0_18inequality_wrapperIZN2at6native12_GLOBAL__N_124unique_dim_cuda_templateIbEESt5tupleIJNSF_6TensorESK_SK_EERKSK_lbbbEUlllE0_EEPmJS9_EEE10hipError_tPvRmT3_T4_T5_T6_T7_T9_mT8_P12ihipStream_tbDpT10_ENKUlT_T0_E_clISt17integral_constantIbLb1EES1A_EEDaS15_S16_EUlS15_E_NS1_11comp_targetILNS1_3genE10ELNS1_11target_archE1200ELNS1_3gpuE4ELNS1_3repE0EEENS1_30default_config_static_selectorELNS0_4arch9wavefront6targetE1EEEvT1_.num_agpr, 0
	.set _ZN7rocprim17ROCPRIM_400000_NS6detail17trampoline_kernelINS0_14default_configENS1_25partition_config_selectorILNS1_17partition_subalgoE9EllbEEZZNS1_14partition_implILS5_9ELb0ES3_jPlS8_PNS0_10empty_typeENS0_5tupleIJS8_S9_EEENSB_IJS8_SA_EEENS0_18inequality_wrapperIZN2at6native12_GLOBAL__N_124unique_dim_cuda_templateIbEESt5tupleIJNSF_6TensorESK_SK_EERKSK_lbbbEUlllE0_EEPmJS9_EEE10hipError_tPvRmT3_T4_T5_T6_T7_T9_mT8_P12ihipStream_tbDpT10_ENKUlT_T0_E_clISt17integral_constantIbLb1EES1A_EEDaS15_S16_EUlS15_E_NS1_11comp_targetILNS1_3genE10ELNS1_11target_archE1200ELNS1_3gpuE4ELNS1_3repE0EEENS1_30default_config_static_selectorELNS0_4arch9wavefront6targetE1EEEvT1_.numbered_sgpr, 0
	.set _ZN7rocprim17ROCPRIM_400000_NS6detail17trampoline_kernelINS0_14default_configENS1_25partition_config_selectorILNS1_17partition_subalgoE9EllbEEZZNS1_14partition_implILS5_9ELb0ES3_jPlS8_PNS0_10empty_typeENS0_5tupleIJS8_S9_EEENSB_IJS8_SA_EEENS0_18inequality_wrapperIZN2at6native12_GLOBAL__N_124unique_dim_cuda_templateIbEESt5tupleIJNSF_6TensorESK_SK_EERKSK_lbbbEUlllE0_EEPmJS9_EEE10hipError_tPvRmT3_T4_T5_T6_T7_T9_mT8_P12ihipStream_tbDpT10_ENKUlT_T0_E_clISt17integral_constantIbLb1EES1A_EEDaS15_S16_EUlS15_E_NS1_11comp_targetILNS1_3genE10ELNS1_11target_archE1200ELNS1_3gpuE4ELNS1_3repE0EEENS1_30default_config_static_selectorELNS0_4arch9wavefront6targetE1EEEvT1_.num_named_barrier, 0
	.set _ZN7rocprim17ROCPRIM_400000_NS6detail17trampoline_kernelINS0_14default_configENS1_25partition_config_selectorILNS1_17partition_subalgoE9EllbEEZZNS1_14partition_implILS5_9ELb0ES3_jPlS8_PNS0_10empty_typeENS0_5tupleIJS8_S9_EEENSB_IJS8_SA_EEENS0_18inequality_wrapperIZN2at6native12_GLOBAL__N_124unique_dim_cuda_templateIbEESt5tupleIJNSF_6TensorESK_SK_EERKSK_lbbbEUlllE0_EEPmJS9_EEE10hipError_tPvRmT3_T4_T5_T6_T7_T9_mT8_P12ihipStream_tbDpT10_ENKUlT_T0_E_clISt17integral_constantIbLb1EES1A_EEDaS15_S16_EUlS15_E_NS1_11comp_targetILNS1_3genE10ELNS1_11target_archE1200ELNS1_3gpuE4ELNS1_3repE0EEENS1_30default_config_static_selectorELNS0_4arch9wavefront6targetE1EEEvT1_.private_seg_size, 0
	.set _ZN7rocprim17ROCPRIM_400000_NS6detail17trampoline_kernelINS0_14default_configENS1_25partition_config_selectorILNS1_17partition_subalgoE9EllbEEZZNS1_14partition_implILS5_9ELb0ES3_jPlS8_PNS0_10empty_typeENS0_5tupleIJS8_S9_EEENSB_IJS8_SA_EEENS0_18inequality_wrapperIZN2at6native12_GLOBAL__N_124unique_dim_cuda_templateIbEESt5tupleIJNSF_6TensorESK_SK_EERKSK_lbbbEUlllE0_EEPmJS9_EEE10hipError_tPvRmT3_T4_T5_T6_T7_T9_mT8_P12ihipStream_tbDpT10_ENKUlT_T0_E_clISt17integral_constantIbLb1EES1A_EEDaS15_S16_EUlS15_E_NS1_11comp_targetILNS1_3genE10ELNS1_11target_archE1200ELNS1_3gpuE4ELNS1_3repE0EEENS1_30default_config_static_selectorELNS0_4arch9wavefront6targetE1EEEvT1_.uses_vcc, 0
	.set _ZN7rocprim17ROCPRIM_400000_NS6detail17trampoline_kernelINS0_14default_configENS1_25partition_config_selectorILNS1_17partition_subalgoE9EllbEEZZNS1_14partition_implILS5_9ELb0ES3_jPlS8_PNS0_10empty_typeENS0_5tupleIJS8_S9_EEENSB_IJS8_SA_EEENS0_18inequality_wrapperIZN2at6native12_GLOBAL__N_124unique_dim_cuda_templateIbEESt5tupleIJNSF_6TensorESK_SK_EERKSK_lbbbEUlllE0_EEPmJS9_EEE10hipError_tPvRmT3_T4_T5_T6_T7_T9_mT8_P12ihipStream_tbDpT10_ENKUlT_T0_E_clISt17integral_constantIbLb1EES1A_EEDaS15_S16_EUlS15_E_NS1_11comp_targetILNS1_3genE10ELNS1_11target_archE1200ELNS1_3gpuE4ELNS1_3repE0EEENS1_30default_config_static_selectorELNS0_4arch9wavefront6targetE1EEEvT1_.uses_flat_scratch, 0
	.set _ZN7rocprim17ROCPRIM_400000_NS6detail17trampoline_kernelINS0_14default_configENS1_25partition_config_selectorILNS1_17partition_subalgoE9EllbEEZZNS1_14partition_implILS5_9ELb0ES3_jPlS8_PNS0_10empty_typeENS0_5tupleIJS8_S9_EEENSB_IJS8_SA_EEENS0_18inequality_wrapperIZN2at6native12_GLOBAL__N_124unique_dim_cuda_templateIbEESt5tupleIJNSF_6TensorESK_SK_EERKSK_lbbbEUlllE0_EEPmJS9_EEE10hipError_tPvRmT3_T4_T5_T6_T7_T9_mT8_P12ihipStream_tbDpT10_ENKUlT_T0_E_clISt17integral_constantIbLb1EES1A_EEDaS15_S16_EUlS15_E_NS1_11comp_targetILNS1_3genE10ELNS1_11target_archE1200ELNS1_3gpuE4ELNS1_3repE0EEENS1_30default_config_static_selectorELNS0_4arch9wavefront6targetE1EEEvT1_.has_dyn_sized_stack, 0
	.set _ZN7rocprim17ROCPRIM_400000_NS6detail17trampoline_kernelINS0_14default_configENS1_25partition_config_selectorILNS1_17partition_subalgoE9EllbEEZZNS1_14partition_implILS5_9ELb0ES3_jPlS8_PNS0_10empty_typeENS0_5tupleIJS8_S9_EEENSB_IJS8_SA_EEENS0_18inequality_wrapperIZN2at6native12_GLOBAL__N_124unique_dim_cuda_templateIbEESt5tupleIJNSF_6TensorESK_SK_EERKSK_lbbbEUlllE0_EEPmJS9_EEE10hipError_tPvRmT3_T4_T5_T6_T7_T9_mT8_P12ihipStream_tbDpT10_ENKUlT_T0_E_clISt17integral_constantIbLb1EES1A_EEDaS15_S16_EUlS15_E_NS1_11comp_targetILNS1_3genE10ELNS1_11target_archE1200ELNS1_3gpuE4ELNS1_3repE0EEENS1_30default_config_static_selectorELNS0_4arch9wavefront6targetE1EEEvT1_.has_recursion, 0
	.set _ZN7rocprim17ROCPRIM_400000_NS6detail17trampoline_kernelINS0_14default_configENS1_25partition_config_selectorILNS1_17partition_subalgoE9EllbEEZZNS1_14partition_implILS5_9ELb0ES3_jPlS8_PNS0_10empty_typeENS0_5tupleIJS8_S9_EEENSB_IJS8_SA_EEENS0_18inequality_wrapperIZN2at6native12_GLOBAL__N_124unique_dim_cuda_templateIbEESt5tupleIJNSF_6TensorESK_SK_EERKSK_lbbbEUlllE0_EEPmJS9_EEE10hipError_tPvRmT3_T4_T5_T6_T7_T9_mT8_P12ihipStream_tbDpT10_ENKUlT_T0_E_clISt17integral_constantIbLb1EES1A_EEDaS15_S16_EUlS15_E_NS1_11comp_targetILNS1_3genE10ELNS1_11target_archE1200ELNS1_3gpuE4ELNS1_3repE0EEENS1_30default_config_static_selectorELNS0_4arch9wavefront6targetE1EEEvT1_.has_indirect_call, 0
	.section	.AMDGPU.csdata,"",@progbits
; Kernel info:
; codeLenInByte = 0
; TotalNumSgprs: 6
; NumVgprs: 0
; NumAgprs: 0
; TotalNumVgprs: 0
; ScratchSize: 0
; MemoryBound: 0
; FloatMode: 240
; IeeeMode: 1
; LDSByteSize: 0 bytes/workgroup (compile time only)
; SGPRBlocks: 0
; VGPRBlocks: 0
; NumSGPRsForWavesPerEU: 6
; NumVGPRsForWavesPerEU: 1
; AccumOffset: 4
; Occupancy: 8
; WaveLimiterHint : 0
; COMPUTE_PGM_RSRC2:SCRATCH_EN: 0
; COMPUTE_PGM_RSRC2:USER_SGPR: 2
; COMPUTE_PGM_RSRC2:TRAP_HANDLER: 0
; COMPUTE_PGM_RSRC2:TGID_X_EN: 1
; COMPUTE_PGM_RSRC2:TGID_Y_EN: 0
; COMPUTE_PGM_RSRC2:TGID_Z_EN: 0
; COMPUTE_PGM_RSRC2:TIDIG_COMP_CNT: 0
; COMPUTE_PGM_RSRC3_GFX90A:ACCUM_OFFSET: 0
; COMPUTE_PGM_RSRC3_GFX90A:TG_SPLIT: 0
	.section	.text._ZN7rocprim17ROCPRIM_400000_NS6detail17trampoline_kernelINS0_14default_configENS1_25partition_config_selectorILNS1_17partition_subalgoE9EllbEEZZNS1_14partition_implILS5_9ELb0ES3_jPlS8_PNS0_10empty_typeENS0_5tupleIJS8_S9_EEENSB_IJS8_SA_EEENS0_18inequality_wrapperIZN2at6native12_GLOBAL__N_124unique_dim_cuda_templateIbEESt5tupleIJNSF_6TensorESK_SK_EERKSK_lbbbEUlllE0_EEPmJS9_EEE10hipError_tPvRmT3_T4_T5_T6_T7_T9_mT8_P12ihipStream_tbDpT10_ENKUlT_T0_E_clISt17integral_constantIbLb1EES1A_EEDaS15_S16_EUlS15_E_NS1_11comp_targetILNS1_3genE9ELNS1_11target_archE1100ELNS1_3gpuE3ELNS1_3repE0EEENS1_30default_config_static_selectorELNS0_4arch9wavefront6targetE1EEEvT1_,"axG",@progbits,_ZN7rocprim17ROCPRIM_400000_NS6detail17trampoline_kernelINS0_14default_configENS1_25partition_config_selectorILNS1_17partition_subalgoE9EllbEEZZNS1_14partition_implILS5_9ELb0ES3_jPlS8_PNS0_10empty_typeENS0_5tupleIJS8_S9_EEENSB_IJS8_SA_EEENS0_18inequality_wrapperIZN2at6native12_GLOBAL__N_124unique_dim_cuda_templateIbEESt5tupleIJNSF_6TensorESK_SK_EERKSK_lbbbEUlllE0_EEPmJS9_EEE10hipError_tPvRmT3_T4_T5_T6_T7_T9_mT8_P12ihipStream_tbDpT10_ENKUlT_T0_E_clISt17integral_constantIbLb1EES1A_EEDaS15_S16_EUlS15_E_NS1_11comp_targetILNS1_3genE9ELNS1_11target_archE1100ELNS1_3gpuE3ELNS1_3repE0EEENS1_30default_config_static_selectorELNS0_4arch9wavefront6targetE1EEEvT1_,comdat
	.globl	_ZN7rocprim17ROCPRIM_400000_NS6detail17trampoline_kernelINS0_14default_configENS1_25partition_config_selectorILNS1_17partition_subalgoE9EllbEEZZNS1_14partition_implILS5_9ELb0ES3_jPlS8_PNS0_10empty_typeENS0_5tupleIJS8_S9_EEENSB_IJS8_SA_EEENS0_18inequality_wrapperIZN2at6native12_GLOBAL__N_124unique_dim_cuda_templateIbEESt5tupleIJNSF_6TensorESK_SK_EERKSK_lbbbEUlllE0_EEPmJS9_EEE10hipError_tPvRmT3_T4_T5_T6_T7_T9_mT8_P12ihipStream_tbDpT10_ENKUlT_T0_E_clISt17integral_constantIbLb1EES1A_EEDaS15_S16_EUlS15_E_NS1_11comp_targetILNS1_3genE9ELNS1_11target_archE1100ELNS1_3gpuE3ELNS1_3repE0EEENS1_30default_config_static_selectorELNS0_4arch9wavefront6targetE1EEEvT1_ ; -- Begin function _ZN7rocprim17ROCPRIM_400000_NS6detail17trampoline_kernelINS0_14default_configENS1_25partition_config_selectorILNS1_17partition_subalgoE9EllbEEZZNS1_14partition_implILS5_9ELb0ES3_jPlS8_PNS0_10empty_typeENS0_5tupleIJS8_S9_EEENSB_IJS8_SA_EEENS0_18inequality_wrapperIZN2at6native12_GLOBAL__N_124unique_dim_cuda_templateIbEESt5tupleIJNSF_6TensorESK_SK_EERKSK_lbbbEUlllE0_EEPmJS9_EEE10hipError_tPvRmT3_T4_T5_T6_T7_T9_mT8_P12ihipStream_tbDpT10_ENKUlT_T0_E_clISt17integral_constantIbLb1EES1A_EEDaS15_S16_EUlS15_E_NS1_11comp_targetILNS1_3genE9ELNS1_11target_archE1100ELNS1_3gpuE3ELNS1_3repE0EEENS1_30default_config_static_selectorELNS0_4arch9wavefront6targetE1EEEvT1_
	.p2align	8
	.type	_ZN7rocprim17ROCPRIM_400000_NS6detail17trampoline_kernelINS0_14default_configENS1_25partition_config_selectorILNS1_17partition_subalgoE9EllbEEZZNS1_14partition_implILS5_9ELb0ES3_jPlS8_PNS0_10empty_typeENS0_5tupleIJS8_S9_EEENSB_IJS8_SA_EEENS0_18inequality_wrapperIZN2at6native12_GLOBAL__N_124unique_dim_cuda_templateIbEESt5tupleIJNSF_6TensorESK_SK_EERKSK_lbbbEUlllE0_EEPmJS9_EEE10hipError_tPvRmT3_T4_T5_T6_T7_T9_mT8_P12ihipStream_tbDpT10_ENKUlT_T0_E_clISt17integral_constantIbLb1EES1A_EEDaS15_S16_EUlS15_E_NS1_11comp_targetILNS1_3genE9ELNS1_11target_archE1100ELNS1_3gpuE3ELNS1_3repE0EEENS1_30default_config_static_selectorELNS0_4arch9wavefront6targetE1EEEvT1_,@function
_ZN7rocprim17ROCPRIM_400000_NS6detail17trampoline_kernelINS0_14default_configENS1_25partition_config_selectorILNS1_17partition_subalgoE9EllbEEZZNS1_14partition_implILS5_9ELb0ES3_jPlS8_PNS0_10empty_typeENS0_5tupleIJS8_S9_EEENSB_IJS8_SA_EEENS0_18inequality_wrapperIZN2at6native12_GLOBAL__N_124unique_dim_cuda_templateIbEESt5tupleIJNSF_6TensorESK_SK_EERKSK_lbbbEUlllE0_EEPmJS9_EEE10hipError_tPvRmT3_T4_T5_T6_T7_T9_mT8_P12ihipStream_tbDpT10_ENKUlT_T0_E_clISt17integral_constantIbLb1EES1A_EEDaS15_S16_EUlS15_E_NS1_11comp_targetILNS1_3genE9ELNS1_11target_archE1100ELNS1_3gpuE3ELNS1_3repE0EEENS1_30default_config_static_selectorELNS0_4arch9wavefront6targetE1EEEvT1_: ; @_ZN7rocprim17ROCPRIM_400000_NS6detail17trampoline_kernelINS0_14default_configENS1_25partition_config_selectorILNS1_17partition_subalgoE9EllbEEZZNS1_14partition_implILS5_9ELb0ES3_jPlS8_PNS0_10empty_typeENS0_5tupleIJS8_S9_EEENSB_IJS8_SA_EEENS0_18inequality_wrapperIZN2at6native12_GLOBAL__N_124unique_dim_cuda_templateIbEESt5tupleIJNSF_6TensorESK_SK_EERKSK_lbbbEUlllE0_EEPmJS9_EEE10hipError_tPvRmT3_T4_T5_T6_T7_T9_mT8_P12ihipStream_tbDpT10_ENKUlT_T0_E_clISt17integral_constantIbLb1EES1A_EEDaS15_S16_EUlS15_E_NS1_11comp_targetILNS1_3genE9ELNS1_11target_archE1100ELNS1_3gpuE3ELNS1_3repE0EEENS1_30default_config_static_selectorELNS0_4arch9wavefront6targetE1EEEvT1_
; %bb.0:
	.section	.rodata,"a",@progbits
	.p2align	6, 0x0
	.amdhsa_kernel _ZN7rocprim17ROCPRIM_400000_NS6detail17trampoline_kernelINS0_14default_configENS1_25partition_config_selectorILNS1_17partition_subalgoE9EllbEEZZNS1_14partition_implILS5_9ELb0ES3_jPlS8_PNS0_10empty_typeENS0_5tupleIJS8_S9_EEENSB_IJS8_SA_EEENS0_18inequality_wrapperIZN2at6native12_GLOBAL__N_124unique_dim_cuda_templateIbEESt5tupleIJNSF_6TensorESK_SK_EERKSK_lbbbEUlllE0_EEPmJS9_EEE10hipError_tPvRmT3_T4_T5_T6_T7_T9_mT8_P12ihipStream_tbDpT10_ENKUlT_T0_E_clISt17integral_constantIbLb1EES1A_EEDaS15_S16_EUlS15_E_NS1_11comp_targetILNS1_3genE9ELNS1_11target_archE1100ELNS1_3gpuE3ELNS1_3repE0EEENS1_30default_config_static_selectorELNS0_4arch9wavefront6targetE1EEEvT1_
		.amdhsa_group_segment_fixed_size 0
		.amdhsa_private_segment_fixed_size 0
		.amdhsa_kernarg_size 136
		.amdhsa_user_sgpr_count 2
		.amdhsa_user_sgpr_dispatch_ptr 0
		.amdhsa_user_sgpr_queue_ptr 0
		.amdhsa_user_sgpr_kernarg_segment_ptr 1
		.amdhsa_user_sgpr_dispatch_id 0
		.amdhsa_user_sgpr_kernarg_preload_length 0
		.amdhsa_user_sgpr_kernarg_preload_offset 0
		.amdhsa_user_sgpr_private_segment_size 0
		.amdhsa_uses_dynamic_stack 0
		.amdhsa_enable_private_segment 0
		.amdhsa_system_sgpr_workgroup_id_x 1
		.amdhsa_system_sgpr_workgroup_id_y 0
		.amdhsa_system_sgpr_workgroup_id_z 0
		.amdhsa_system_sgpr_workgroup_info 0
		.amdhsa_system_vgpr_workitem_id 0
		.amdhsa_next_free_vgpr 1
		.amdhsa_next_free_sgpr 0
		.amdhsa_accum_offset 4
		.amdhsa_reserve_vcc 0
		.amdhsa_float_round_mode_32 0
		.amdhsa_float_round_mode_16_64 0
		.amdhsa_float_denorm_mode_32 3
		.amdhsa_float_denorm_mode_16_64 3
		.amdhsa_dx10_clamp 1
		.amdhsa_ieee_mode 1
		.amdhsa_fp16_overflow 0
		.amdhsa_tg_split 0
		.amdhsa_exception_fp_ieee_invalid_op 0
		.amdhsa_exception_fp_denorm_src 0
		.amdhsa_exception_fp_ieee_div_zero 0
		.amdhsa_exception_fp_ieee_overflow 0
		.amdhsa_exception_fp_ieee_underflow 0
		.amdhsa_exception_fp_ieee_inexact 0
		.amdhsa_exception_int_div_zero 0
	.end_amdhsa_kernel
	.section	.text._ZN7rocprim17ROCPRIM_400000_NS6detail17trampoline_kernelINS0_14default_configENS1_25partition_config_selectorILNS1_17partition_subalgoE9EllbEEZZNS1_14partition_implILS5_9ELb0ES3_jPlS8_PNS0_10empty_typeENS0_5tupleIJS8_S9_EEENSB_IJS8_SA_EEENS0_18inequality_wrapperIZN2at6native12_GLOBAL__N_124unique_dim_cuda_templateIbEESt5tupleIJNSF_6TensorESK_SK_EERKSK_lbbbEUlllE0_EEPmJS9_EEE10hipError_tPvRmT3_T4_T5_T6_T7_T9_mT8_P12ihipStream_tbDpT10_ENKUlT_T0_E_clISt17integral_constantIbLb1EES1A_EEDaS15_S16_EUlS15_E_NS1_11comp_targetILNS1_3genE9ELNS1_11target_archE1100ELNS1_3gpuE3ELNS1_3repE0EEENS1_30default_config_static_selectorELNS0_4arch9wavefront6targetE1EEEvT1_,"axG",@progbits,_ZN7rocprim17ROCPRIM_400000_NS6detail17trampoline_kernelINS0_14default_configENS1_25partition_config_selectorILNS1_17partition_subalgoE9EllbEEZZNS1_14partition_implILS5_9ELb0ES3_jPlS8_PNS0_10empty_typeENS0_5tupleIJS8_S9_EEENSB_IJS8_SA_EEENS0_18inequality_wrapperIZN2at6native12_GLOBAL__N_124unique_dim_cuda_templateIbEESt5tupleIJNSF_6TensorESK_SK_EERKSK_lbbbEUlllE0_EEPmJS9_EEE10hipError_tPvRmT3_T4_T5_T6_T7_T9_mT8_P12ihipStream_tbDpT10_ENKUlT_T0_E_clISt17integral_constantIbLb1EES1A_EEDaS15_S16_EUlS15_E_NS1_11comp_targetILNS1_3genE9ELNS1_11target_archE1100ELNS1_3gpuE3ELNS1_3repE0EEENS1_30default_config_static_selectorELNS0_4arch9wavefront6targetE1EEEvT1_,comdat
.Lfunc_end1097:
	.size	_ZN7rocprim17ROCPRIM_400000_NS6detail17trampoline_kernelINS0_14default_configENS1_25partition_config_selectorILNS1_17partition_subalgoE9EllbEEZZNS1_14partition_implILS5_9ELb0ES3_jPlS8_PNS0_10empty_typeENS0_5tupleIJS8_S9_EEENSB_IJS8_SA_EEENS0_18inequality_wrapperIZN2at6native12_GLOBAL__N_124unique_dim_cuda_templateIbEESt5tupleIJNSF_6TensorESK_SK_EERKSK_lbbbEUlllE0_EEPmJS9_EEE10hipError_tPvRmT3_T4_T5_T6_T7_T9_mT8_P12ihipStream_tbDpT10_ENKUlT_T0_E_clISt17integral_constantIbLb1EES1A_EEDaS15_S16_EUlS15_E_NS1_11comp_targetILNS1_3genE9ELNS1_11target_archE1100ELNS1_3gpuE3ELNS1_3repE0EEENS1_30default_config_static_selectorELNS0_4arch9wavefront6targetE1EEEvT1_, .Lfunc_end1097-_ZN7rocprim17ROCPRIM_400000_NS6detail17trampoline_kernelINS0_14default_configENS1_25partition_config_selectorILNS1_17partition_subalgoE9EllbEEZZNS1_14partition_implILS5_9ELb0ES3_jPlS8_PNS0_10empty_typeENS0_5tupleIJS8_S9_EEENSB_IJS8_SA_EEENS0_18inequality_wrapperIZN2at6native12_GLOBAL__N_124unique_dim_cuda_templateIbEESt5tupleIJNSF_6TensorESK_SK_EERKSK_lbbbEUlllE0_EEPmJS9_EEE10hipError_tPvRmT3_T4_T5_T6_T7_T9_mT8_P12ihipStream_tbDpT10_ENKUlT_T0_E_clISt17integral_constantIbLb1EES1A_EEDaS15_S16_EUlS15_E_NS1_11comp_targetILNS1_3genE9ELNS1_11target_archE1100ELNS1_3gpuE3ELNS1_3repE0EEENS1_30default_config_static_selectorELNS0_4arch9wavefront6targetE1EEEvT1_
                                        ; -- End function
	.set _ZN7rocprim17ROCPRIM_400000_NS6detail17trampoline_kernelINS0_14default_configENS1_25partition_config_selectorILNS1_17partition_subalgoE9EllbEEZZNS1_14partition_implILS5_9ELb0ES3_jPlS8_PNS0_10empty_typeENS0_5tupleIJS8_S9_EEENSB_IJS8_SA_EEENS0_18inequality_wrapperIZN2at6native12_GLOBAL__N_124unique_dim_cuda_templateIbEESt5tupleIJNSF_6TensorESK_SK_EERKSK_lbbbEUlllE0_EEPmJS9_EEE10hipError_tPvRmT3_T4_T5_T6_T7_T9_mT8_P12ihipStream_tbDpT10_ENKUlT_T0_E_clISt17integral_constantIbLb1EES1A_EEDaS15_S16_EUlS15_E_NS1_11comp_targetILNS1_3genE9ELNS1_11target_archE1100ELNS1_3gpuE3ELNS1_3repE0EEENS1_30default_config_static_selectorELNS0_4arch9wavefront6targetE1EEEvT1_.num_vgpr, 0
	.set _ZN7rocprim17ROCPRIM_400000_NS6detail17trampoline_kernelINS0_14default_configENS1_25partition_config_selectorILNS1_17partition_subalgoE9EllbEEZZNS1_14partition_implILS5_9ELb0ES3_jPlS8_PNS0_10empty_typeENS0_5tupleIJS8_S9_EEENSB_IJS8_SA_EEENS0_18inequality_wrapperIZN2at6native12_GLOBAL__N_124unique_dim_cuda_templateIbEESt5tupleIJNSF_6TensorESK_SK_EERKSK_lbbbEUlllE0_EEPmJS9_EEE10hipError_tPvRmT3_T4_T5_T6_T7_T9_mT8_P12ihipStream_tbDpT10_ENKUlT_T0_E_clISt17integral_constantIbLb1EES1A_EEDaS15_S16_EUlS15_E_NS1_11comp_targetILNS1_3genE9ELNS1_11target_archE1100ELNS1_3gpuE3ELNS1_3repE0EEENS1_30default_config_static_selectorELNS0_4arch9wavefront6targetE1EEEvT1_.num_agpr, 0
	.set _ZN7rocprim17ROCPRIM_400000_NS6detail17trampoline_kernelINS0_14default_configENS1_25partition_config_selectorILNS1_17partition_subalgoE9EllbEEZZNS1_14partition_implILS5_9ELb0ES3_jPlS8_PNS0_10empty_typeENS0_5tupleIJS8_S9_EEENSB_IJS8_SA_EEENS0_18inequality_wrapperIZN2at6native12_GLOBAL__N_124unique_dim_cuda_templateIbEESt5tupleIJNSF_6TensorESK_SK_EERKSK_lbbbEUlllE0_EEPmJS9_EEE10hipError_tPvRmT3_T4_T5_T6_T7_T9_mT8_P12ihipStream_tbDpT10_ENKUlT_T0_E_clISt17integral_constantIbLb1EES1A_EEDaS15_S16_EUlS15_E_NS1_11comp_targetILNS1_3genE9ELNS1_11target_archE1100ELNS1_3gpuE3ELNS1_3repE0EEENS1_30default_config_static_selectorELNS0_4arch9wavefront6targetE1EEEvT1_.numbered_sgpr, 0
	.set _ZN7rocprim17ROCPRIM_400000_NS6detail17trampoline_kernelINS0_14default_configENS1_25partition_config_selectorILNS1_17partition_subalgoE9EllbEEZZNS1_14partition_implILS5_9ELb0ES3_jPlS8_PNS0_10empty_typeENS0_5tupleIJS8_S9_EEENSB_IJS8_SA_EEENS0_18inequality_wrapperIZN2at6native12_GLOBAL__N_124unique_dim_cuda_templateIbEESt5tupleIJNSF_6TensorESK_SK_EERKSK_lbbbEUlllE0_EEPmJS9_EEE10hipError_tPvRmT3_T4_T5_T6_T7_T9_mT8_P12ihipStream_tbDpT10_ENKUlT_T0_E_clISt17integral_constantIbLb1EES1A_EEDaS15_S16_EUlS15_E_NS1_11comp_targetILNS1_3genE9ELNS1_11target_archE1100ELNS1_3gpuE3ELNS1_3repE0EEENS1_30default_config_static_selectorELNS0_4arch9wavefront6targetE1EEEvT1_.num_named_barrier, 0
	.set _ZN7rocprim17ROCPRIM_400000_NS6detail17trampoline_kernelINS0_14default_configENS1_25partition_config_selectorILNS1_17partition_subalgoE9EllbEEZZNS1_14partition_implILS5_9ELb0ES3_jPlS8_PNS0_10empty_typeENS0_5tupleIJS8_S9_EEENSB_IJS8_SA_EEENS0_18inequality_wrapperIZN2at6native12_GLOBAL__N_124unique_dim_cuda_templateIbEESt5tupleIJNSF_6TensorESK_SK_EERKSK_lbbbEUlllE0_EEPmJS9_EEE10hipError_tPvRmT3_T4_T5_T6_T7_T9_mT8_P12ihipStream_tbDpT10_ENKUlT_T0_E_clISt17integral_constantIbLb1EES1A_EEDaS15_S16_EUlS15_E_NS1_11comp_targetILNS1_3genE9ELNS1_11target_archE1100ELNS1_3gpuE3ELNS1_3repE0EEENS1_30default_config_static_selectorELNS0_4arch9wavefront6targetE1EEEvT1_.private_seg_size, 0
	.set _ZN7rocprim17ROCPRIM_400000_NS6detail17trampoline_kernelINS0_14default_configENS1_25partition_config_selectorILNS1_17partition_subalgoE9EllbEEZZNS1_14partition_implILS5_9ELb0ES3_jPlS8_PNS0_10empty_typeENS0_5tupleIJS8_S9_EEENSB_IJS8_SA_EEENS0_18inequality_wrapperIZN2at6native12_GLOBAL__N_124unique_dim_cuda_templateIbEESt5tupleIJNSF_6TensorESK_SK_EERKSK_lbbbEUlllE0_EEPmJS9_EEE10hipError_tPvRmT3_T4_T5_T6_T7_T9_mT8_P12ihipStream_tbDpT10_ENKUlT_T0_E_clISt17integral_constantIbLb1EES1A_EEDaS15_S16_EUlS15_E_NS1_11comp_targetILNS1_3genE9ELNS1_11target_archE1100ELNS1_3gpuE3ELNS1_3repE0EEENS1_30default_config_static_selectorELNS0_4arch9wavefront6targetE1EEEvT1_.uses_vcc, 0
	.set _ZN7rocprim17ROCPRIM_400000_NS6detail17trampoline_kernelINS0_14default_configENS1_25partition_config_selectorILNS1_17partition_subalgoE9EllbEEZZNS1_14partition_implILS5_9ELb0ES3_jPlS8_PNS0_10empty_typeENS0_5tupleIJS8_S9_EEENSB_IJS8_SA_EEENS0_18inequality_wrapperIZN2at6native12_GLOBAL__N_124unique_dim_cuda_templateIbEESt5tupleIJNSF_6TensorESK_SK_EERKSK_lbbbEUlllE0_EEPmJS9_EEE10hipError_tPvRmT3_T4_T5_T6_T7_T9_mT8_P12ihipStream_tbDpT10_ENKUlT_T0_E_clISt17integral_constantIbLb1EES1A_EEDaS15_S16_EUlS15_E_NS1_11comp_targetILNS1_3genE9ELNS1_11target_archE1100ELNS1_3gpuE3ELNS1_3repE0EEENS1_30default_config_static_selectorELNS0_4arch9wavefront6targetE1EEEvT1_.uses_flat_scratch, 0
	.set _ZN7rocprim17ROCPRIM_400000_NS6detail17trampoline_kernelINS0_14default_configENS1_25partition_config_selectorILNS1_17partition_subalgoE9EllbEEZZNS1_14partition_implILS5_9ELb0ES3_jPlS8_PNS0_10empty_typeENS0_5tupleIJS8_S9_EEENSB_IJS8_SA_EEENS0_18inequality_wrapperIZN2at6native12_GLOBAL__N_124unique_dim_cuda_templateIbEESt5tupleIJNSF_6TensorESK_SK_EERKSK_lbbbEUlllE0_EEPmJS9_EEE10hipError_tPvRmT3_T4_T5_T6_T7_T9_mT8_P12ihipStream_tbDpT10_ENKUlT_T0_E_clISt17integral_constantIbLb1EES1A_EEDaS15_S16_EUlS15_E_NS1_11comp_targetILNS1_3genE9ELNS1_11target_archE1100ELNS1_3gpuE3ELNS1_3repE0EEENS1_30default_config_static_selectorELNS0_4arch9wavefront6targetE1EEEvT1_.has_dyn_sized_stack, 0
	.set _ZN7rocprim17ROCPRIM_400000_NS6detail17trampoline_kernelINS0_14default_configENS1_25partition_config_selectorILNS1_17partition_subalgoE9EllbEEZZNS1_14partition_implILS5_9ELb0ES3_jPlS8_PNS0_10empty_typeENS0_5tupleIJS8_S9_EEENSB_IJS8_SA_EEENS0_18inequality_wrapperIZN2at6native12_GLOBAL__N_124unique_dim_cuda_templateIbEESt5tupleIJNSF_6TensorESK_SK_EERKSK_lbbbEUlllE0_EEPmJS9_EEE10hipError_tPvRmT3_T4_T5_T6_T7_T9_mT8_P12ihipStream_tbDpT10_ENKUlT_T0_E_clISt17integral_constantIbLb1EES1A_EEDaS15_S16_EUlS15_E_NS1_11comp_targetILNS1_3genE9ELNS1_11target_archE1100ELNS1_3gpuE3ELNS1_3repE0EEENS1_30default_config_static_selectorELNS0_4arch9wavefront6targetE1EEEvT1_.has_recursion, 0
	.set _ZN7rocprim17ROCPRIM_400000_NS6detail17trampoline_kernelINS0_14default_configENS1_25partition_config_selectorILNS1_17partition_subalgoE9EllbEEZZNS1_14partition_implILS5_9ELb0ES3_jPlS8_PNS0_10empty_typeENS0_5tupleIJS8_S9_EEENSB_IJS8_SA_EEENS0_18inequality_wrapperIZN2at6native12_GLOBAL__N_124unique_dim_cuda_templateIbEESt5tupleIJNSF_6TensorESK_SK_EERKSK_lbbbEUlllE0_EEPmJS9_EEE10hipError_tPvRmT3_T4_T5_T6_T7_T9_mT8_P12ihipStream_tbDpT10_ENKUlT_T0_E_clISt17integral_constantIbLb1EES1A_EEDaS15_S16_EUlS15_E_NS1_11comp_targetILNS1_3genE9ELNS1_11target_archE1100ELNS1_3gpuE3ELNS1_3repE0EEENS1_30default_config_static_selectorELNS0_4arch9wavefront6targetE1EEEvT1_.has_indirect_call, 0
	.section	.AMDGPU.csdata,"",@progbits
; Kernel info:
; codeLenInByte = 0
; TotalNumSgprs: 6
; NumVgprs: 0
; NumAgprs: 0
; TotalNumVgprs: 0
; ScratchSize: 0
; MemoryBound: 0
; FloatMode: 240
; IeeeMode: 1
; LDSByteSize: 0 bytes/workgroup (compile time only)
; SGPRBlocks: 0
; VGPRBlocks: 0
; NumSGPRsForWavesPerEU: 6
; NumVGPRsForWavesPerEU: 1
; AccumOffset: 4
; Occupancy: 8
; WaveLimiterHint : 0
; COMPUTE_PGM_RSRC2:SCRATCH_EN: 0
; COMPUTE_PGM_RSRC2:USER_SGPR: 2
; COMPUTE_PGM_RSRC2:TRAP_HANDLER: 0
; COMPUTE_PGM_RSRC2:TGID_X_EN: 1
; COMPUTE_PGM_RSRC2:TGID_Y_EN: 0
; COMPUTE_PGM_RSRC2:TGID_Z_EN: 0
; COMPUTE_PGM_RSRC2:TIDIG_COMP_CNT: 0
; COMPUTE_PGM_RSRC3_GFX90A:ACCUM_OFFSET: 0
; COMPUTE_PGM_RSRC3_GFX90A:TG_SPLIT: 0
	.section	.text._ZN7rocprim17ROCPRIM_400000_NS6detail17trampoline_kernelINS0_14default_configENS1_25partition_config_selectorILNS1_17partition_subalgoE9EllbEEZZNS1_14partition_implILS5_9ELb0ES3_jPlS8_PNS0_10empty_typeENS0_5tupleIJS8_S9_EEENSB_IJS8_SA_EEENS0_18inequality_wrapperIZN2at6native12_GLOBAL__N_124unique_dim_cuda_templateIbEESt5tupleIJNSF_6TensorESK_SK_EERKSK_lbbbEUlllE0_EEPmJS9_EEE10hipError_tPvRmT3_T4_T5_T6_T7_T9_mT8_P12ihipStream_tbDpT10_ENKUlT_T0_E_clISt17integral_constantIbLb1EES1A_EEDaS15_S16_EUlS15_E_NS1_11comp_targetILNS1_3genE8ELNS1_11target_archE1030ELNS1_3gpuE2ELNS1_3repE0EEENS1_30default_config_static_selectorELNS0_4arch9wavefront6targetE1EEEvT1_,"axG",@progbits,_ZN7rocprim17ROCPRIM_400000_NS6detail17trampoline_kernelINS0_14default_configENS1_25partition_config_selectorILNS1_17partition_subalgoE9EllbEEZZNS1_14partition_implILS5_9ELb0ES3_jPlS8_PNS0_10empty_typeENS0_5tupleIJS8_S9_EEENSB_IJS8_SA_EEENS0_18inequality_wrapperIZN2at6native12_GLOBAL__N_124unique_dim_cuda_templateIbEESt5tupleIJNSF_6TensorESK_SK_EERKSK_lbbbEUlllE0_EEPmJS9_EEE10hipError_tPvRmT3_T4_T5_T6_T7_T9_mT8_P12ihipStream_tbDpT10_ENKUlT_T0_E_clISt17integral_constantIbLb1EES1A_EEDaS15_S16_EUlS15_E_NS1_11comp_targetILNS1_3genE8ELNS1_11target_archE1030ELNS1_3gpuE2ELNS1_3repE0EEENS1_30default_config_static_selectorELNS0_4arch9wavefront6targetE1EEEvT1_,comdat
	.globl	_ZN7rocprim17ROCPRIM_400000_NS6detail17trampoline_kernelINS0_14default_configENS1_25partition_config_selectorILNS1_17partition_subalgoE9EllbEEZZNS1_14partition_implILS5_9ELb0ES3_jPlS8_PNS0_10empty_typeENS0_5tupleIJS8_S9_EEENSB_IJS8_SA_EEENS0_18inequality_wrapperIZN2at6native12_GLOBAL__N_124unique_dim_cuda_templateIbEESt5tupleIJNSF_6TensorESK_SK_EERKSK_lbbbEUlllE0_EEPmJS9_EEE10hipError_tPvRmT3_T4_T5_T6_T7_T9_mT8_P12ihipStream_tbDpT10_ENKUlT_T0_E_clISt17integral_constantIbLb1EES1A_EEDaS15_S16_EUlS15_E_NS1_11comp_targetILNS1_3genE8ELNS1_11target_archE1030ELNS1_3gpuE2ELNS1_3repE0EEENS1_30default_config_static_selectorELNS0_4arch9wavefront6targetE1EEEvT1_ ; -- Begin function _ZN7rocprim17ROCPRIM_400000_NS6detail17trampoline_kernelINS0_14default_configENS1_25partition_config_selectorILNS1_17partition_subalgoE9EllbEEZZNS1_14partition_implILS5_9ELb0ES3_jPlS8_PNS0_10empty_typeENS0_5tupleIJS8_S9_EEENSB_IJS8_SA_EEENS0_18inequality_wrapperIZN2at6native12_GLOBAL__N_124unique_dim_cuda_templateIbEESt5tupleIJNSF_6TensorESK_SK_EERKSK_lbbbEUlllE0_EEPmJS9_EEE10hipError_tPvRmT3_T4_T5_T6_T7_T9_mT8_P12ihipStream_tbDpT10_ENKUlT_T0_E_clISt17integral_constantIbLb1EES1A_EEDaS15_S16_EUlS15_E_NS1_11comp_targetILNS1_3genE8ELNS1_11target_archE1030ELNS1_3gpuE2ELNS1_3repE0EEENS1_30default_config_static_selectorELNS0_4arch9wavefront6targetE1EEEvT1_
	.p2align	8
	.type	_ZN7rocprim17ROCPRIM_400000_NS6detail17trampoline_kernelINS0_14default_configENS1_25partition_config_selectorILNS1_17partition_subalgoE9EllbEEZZNS1_14partition_implILS5_9ELb0ES3_jPlS8_PNS0_10empty_typeENS0_5tupleIJS8_S9_EEENSB_IJS8_SA_EEENS0_18inequality_wrapperIZN2at6native12_GLOBAL__N_124unique_dim_cuda_templateIbEESt5tupleIJNSF_6TensorESK_SK_EERKSK_lbbbEUlllE0_EEPmJS9_EEE10hipError_tPvRmT3_T4_T5_T6_T7_T9_mT8_P12ihipStream_tbDpT10_ENKUlT_T0_E_clISt17integral_constantIbLb1EES1A_EEDaS15_S16_EUlS15_E_NS1_11comp_targetILNS1_3genE8ELNS1_11target_archE1030ELNS1_3gpuE2ELNS1_3repE0EEENS1_30default_config_static_selectorELNS0_4arch9wavefront6targetE1EEEvT1_,@function
_ZN7rocprim17ROCPRIM_400000_NS6detail17trampoline_kernelINS0_14default_configENS1_25partition_config_selectorILNS1_17partition_subalgoE9EllbEEZZNS1_14partition_implILS5_9ELb0ES3_jPlS8_PNS0_10empty_typeENS0_5tupleIJS8_S9_EEENSB_IJS8_SA_EEENS0_18inequality_wrapperIZN2at6native12_GLOBAL__N_124unique_dim_cuda_templateIbEESt5tupleIJNSF_6TensorESK_SK_EERKSK_lbbbEUlllE0_EEPmJS9_EEE10hipError_tPvRmT3_T4_T5_T6_T7_T9_mT8_P12ihipStream_tbDpT10_ENKUlT_T0_E_clISt17integral_constantIbLb1EES1A_EEDaS15_S16_EUlS15_E_NS1_11comp_targetILNS1_3genE8ELNS1_11target_archE1030ELNS1_3gpuE2ELNS1_3repE0EEENS1_30default_config_static_selectorELNS0_4arch9wavefront6targetE1EEEvT1_: ; @_ZN7rocprim17ROCPRIM_400000_NS6detail17trampoline_kernelINS0_14default_configENS1_25partition_config_selectorILNS1_17partition_subalgoE9EllbEEZZNS1_14partition_implILS5_9ELb0ES3_jPlS8_PNS0_10empty_typeENS0_5tupleIJS8_S9_EEENSB_IJS8_SA_EEENS0_18inequality_wrapperIZN2at6native12_GLOBAL__N_124unique_dim_cuda_templateIbEESt5tupleIJNSF_6TensorESK_SK_EERKSK_lbbbEUlllE0_EEPmJS9_EEE10hipError_tPvRmT3_T4_T5_T6_T7_T9_mT8_P12ihipStream_tbDpT10_ENKUlT_T0_E_clISt17integral_constantIbLb1EES1A_EEDaS15_S16_EUlS15_E_NS1_11comp_targetILNS1_3genE8ELNS1_11target_archE1030ELNS1_3gpuE2ELNS1_3repE0EEENS1_30default_config_static_selectorELNS0_4arch9wavefront6targetE1EEEvT1_
; %bb.0:
	.section	.rodata,"a",@progbits
	.p2align	6, 0x0
	.amdhsa_kernel _ZN7rocprim17ROCPRIM_400000_NS6detail17trampoline_kernelINS0_14default_configENS1_25partition_config_selectorILNS1_17partition_subalgoE9EllbEEZZNS1_14partition_implILS5_9ELb0ES3_jPlS8_PNS0_10empty_typeENS0_5tupleIJS8_S9_EEENSB_IJS8_SA_EEENS0_18inequality_wrapperIZN2at6native12_GLOBAL__N_124unique_dim_cuda_templateIbEESt5tupleIJNSF_6TensorESK_SK_EERKSK_lbbbEUlllE0_EEPmJS9_EEE10hipError_tPvRmT3_T4_T5_T6_T7_T9_mT8_P12ihipStream_tbDpT10_ENKUlT_T0_E_clISt17integral_constantIbLb1EES1A_EEDaS15_S16_EUlS15_E_NS1_11comp_targetILNS1_3genE8ELNS1_11target_archE1030ELNS1_3gpuE2ELNS1_3repE0EEENS1_30default_config_static_selectorELNS0_4arch9wavefront6targetE1EEEvT1_
		.amdhsa_group_segment_fixed_size 0
		.amdhsa_private_segment_fixed_size 0
		.amdhsa_kernarg_size 136
		.amdhsa_user_sgpr_count 2
		.amdhsa_user_sgpr_dispatch_ptr 0
		.amdhsa_user_sgpr_queue_ptr 0
		.amdhsa_user_sgpr_kernarg_segment_ptr 1
		.amdhsa_user_sgpr_dispatch_id 0
		.amdhsa_user_sgpr_kernarg_preload_length 0
		.amdhsa_user_sgpr_kernarg_preload_offset 0
		.amdhsa_user_sgpr_private_segment_size 0
		.amdhsa_uses_dynamic_stack 0
		.amdhsa_enable_private_segment 0
		.amdhsa_system_sgpr_workgroup_id_x 1
		.amdhsa_system_sgpr_workgroup_id_y 0
		.amdhsa_system_sgpr_workgroup_id_z 0
		.amdhsa_system_sgpr_workgroup_info 0
		.amdhsa_system_vgpr_workitem_id 0
		.amdhsa_next_free_vgpr 1
		.amdhsa_next_free_sgpr 0
		.amdhsa_accum_offset 4
		.amdhsa_reserve_vcc 0
		.amdhsa_float_round_mode_32 0
		.amdhsa_float_round_mode_16_64 0
		.amdhsa_float_denorm_mode_32 3
		.amdhsa_float_denorm_mode_16_64 3
		.amdhsa_dx10_clamp 1
		.amdhsa_ieee_mode 1
		.amdhsa_fp16_overflow 0
		.amdhsa_tg_split 0
		.amdhsa_exception_fp_ieee_invalid_op 0
		.amdhsa_exception_fp_denorm_src 0
		.amdhsa_exception_fp_ieee_div_zero 0
		.amdhsa_exception_fp_ieee_overflow 0
		.amdhsa_exception_fp_ieee_underflow 0
		.amdhsa_exception_fp_ieee_inexact 0
		.amdhsa_exception_int_div_zero 0
	.end_amdhsa_kernel
	.section	.text._ZN7rocprim17ROCPRIM_400000_NS6detail17trampoline_kernelINS0_14default_configENS1_25partition_config_selectorILNS1_17partition_subalgoE9EllbEEZZNS1_14partition_implILS5_9ELb0ES3_jPlS8_PNS0_10empty_typeENS0_5tupleIJS8_S9_EEENSB_IJS8_SA_EEENS0_18inequality_wrapperIZN2at6native12_GLOBAL__N_124unique_dim_cuda_templateIbEESt5tupleIJNSF_6TensorESK_SK_EERKSK_lbbbEUlllE0_EEPmJS9_EEE10hipError_tPvRmT3_T4_T5_T6_T7_T9_mT8_P12ihipStream_tbDpT10_ENKUlT_T0_E_clISt17integral_constantIbLb1EES1A_EEDaS15_S16_EUlS15_E_NS1_11comp_targetILNS1_3genE8ELNS1_11target_archE1030ELNS1_3gpuE2ELNS1_3repE0EEENS1_30default_config_static_selectorELNS0_4arch9wavefront6targetE1EEEvT1_,"axG",@progbits,_ZN7rocprim17ROCPRIM_400000_NS6detail17trampoline_kernelINS0_14default_configENS1_25partition_config_selectorILNS1_17partition_subalgoE9EllbEEZZNS1_14partition_implILS5_9ELb0ES3_jPlS8_PNS0_10empty_typeENS0_5tupleIJS8_S9_EEENSB_IJS8_SA_EEENS0_18inequality_wrapperIZN2at6native12_GLOBAL__N_124unique_dim_cuda_templateIbEESt5tupleIJNSF_6TensorESK_SK_EERKSK_lbbbEUlllE0_EEPmJS9_EEE10hipError_tPvRmT3_T4_T5_T6_T7_T9_mT8_P12ihipStream_tbDpT10_ENKUlT_T0_E_clISt17integral_constantIbLb1EES1A_EEDaS15_S16_EUlS15_E_NS1_11comp_targetILNS1_3genE8ELNS1_11target_archE1030ELNS1_3gpuE2ELNS1_3repE0EEENS1_30default_config_static_selectorELNS0_4arch9wavefront6targetE1EEEvT1_,comdat
.Lfunc_end1098:
	.size	_ZN7rocprim17ROCPRIM_400000_NS6detail17trampoline_kernelINS0_14default_configENS1_25partition_config_selectorILNS1_17partition_subalgoE9EllbEEZZNS1_14partition_implILS5_9ELb0ES3_jPlS8_PNS0_10empty_typeENS0_5tupleIJS8_S9_EEENSB_IJS8_SA_EEENS0_18inequality_wrapperIZN2at6native12_GLOBAL__N_124unique_dim_cuda_templateIbEESt5tupleIJNSF_6TensorESK_SK_EERKSK_lbbbEUlllE0_EEPmJS9_EEE10hipError_tPvRmT3_T4_T5_T6_T7_T9_mT8_P12ihipStream_tbDpT10_ENKUlT_T0_E_clISt17integral_constantIbLb1EES1A_EEDaS15_S16_EUlS15_E_NS1_11comp_targetILNS1_3genE8ELNS1_11target_archE1030ELNS1_3gpuE2ELNS1_3repE0EEENS1_30default_config_static_selectorELNS0_4arch9wavefront6targetE1EEEvT1_, .Lfunc_end1098-_ZN7rocprim17ROCPRIM_400000_NS6detail17trampoline_kernelINS0_14default_configENS1_25partition_config_selectorILNS1_17partition_subalgoE9EllbEEZZNS1_14partition_implILS5_9ELb0ES3_jPlS8_PNS0_10empty_typeENS0_5tupleIJS8_S9_EEENSB_IJS8_SA_EEENS0_18inequality_wrapperIZN2at6native12_GLOBAL__N_124unique_dim_cuda_templateIbEESt5tupleIJNSF_6TensorESK_SK_EERKSK_lbbbEUlllE0_EEPmJS9_EEE10hipError_tPvRmT3_T4_T5_T6_T7_T9_mT8_P12ihipStream_tbDpT10_ENKUlT_T0_E_clISt17integral_constantIbLb1EES1A_EEDaS15_S16_EUlS15_E_NS1_11comp_targetILNS1_3genE8ELNS1_11target_archE1030ELNS1_3gpuE2ELNS1_3repE0EEENS1_30default_config_static_selectorELNS0_4arch9wavefront6targetE1EEEvT1_
                                        ; -- End function
	.set _ZN7rocprim17ROCPRIM_400000_NS6detail17trampoline_kernelINS0_14default_configENS1_25partition_config_selectorILNS1_17partition_subalgoE9EllbEEZZNS1_14partition_implILS5_9ELb0ES3_jPlS8_PNS0_10empty_typeENS0_5tupleIJS8_S9_EEENSB_IJS8_SA_EEENS0_18inequality_wrapperIZN2at6native12_GLOBAL__N_124unique_dim_cuda_templateIbEESt5tupleIJNSF_6TensorESK_SK_EERKSK_lbbbEUlllE0_EEPmJS9_EEE10hipError_tPvRmT3_T4_T5_T6_T7_T9_mT8_P12ihipStream_tbDpT10_ENKUlT_T0_E_clISt17integral_constantIbLb1EES1A_EEDaS15_S16_EUlS15_E_NS1_11comp_targetILNS1_3genE8ELNS1_11target_archE1030ELNS1_3gpuE2ELNS1_3repE0EEENS1_30default_config_static_selectorELNS0_4arch9wavefront6targetE1EEEvT1_.num_vgpr, 0
	.set _ZN7rocprim17ROCPRIM_400000_NS6detail17trampoline_kernelINS0_14default_configENS1_25partition_config_selectorILNS1_17partition_subalgoE9EllbEEZZNS1_14partition_implILS5_9ELb0ES3_jPlS8_PNS0_10empty_typeENS0_5tupleIJS8_S9_EEENSB_IJS8_SA_EEENS0_18inequality_wrapperIZN2at6native12_GLOBAL__N_124unique_dim_cuda_templateIbEESt5tupleIJNSF_6TensorESK_SK_EERKSK_lbbbEUlllE0_EEPmJS9_EEE10hipError_tPvRmT3_T4_T5_T6_T7_T9_mT8_P12ihipStream_tbDpT10_ENKUlT_T0_E_clISt17integral_constantIbLb1EES1A_EEDaS15_S16_EUlS15_E_NS1_11comp_targetILNS1_3genE8ELNS1_11target_archE1030ELNS1_3gpuE2ELNS1_3repE0EEENS1_30default_config_static_selectorELNS0_4arch9wavefront6targetE1EEEvT1_.num_agpr, 0
	.set _ZN7rocprim17ROCPRIM_400000_NS6detail17trampoline_kernelINS0_14default_configENS1_25partition_config_selectorILNS1_17partition_subalgoE9EllbEEZZNS1_14partition_implILS5_9ELb0ES3_jPlS8_PNS0_10empty_typeENS0_5tupleIJS8_S9_EEENSB_IJS8_SA_EEENS0_18inequality_wrapperIZN2at6native12_GLOBAL__N_124unique_dim_cuda_templateIbEESt5tupleIJNSF_6TensorESK_SK_EERKSK_lbbbEUlllE0_EEPmJS9_EEE10hipError_tPvRmT3_T4_T5_T6_T7_T9_mT8_P12ihipStream_tbDpT10_ENKUlT_T0_E_clISt17integral_constantIbLb1EES1A_EEDaS15_S16_EUlS15_E_NS1_11comp_targetILNS1_3genE8ELNS1_11target_archE1030ELNS1_3gpuE2ELNS1_3repE0EEENS1_30default_config_static_selectorELNS0_4arch9wavefront6targetE1EEEvT1_.numbered_sgpr, 0
	.set _ZN7rocprim17ROCPRIM_400000_NS6detail17trampoline_kernelINS0_14default_configENS1_25partition_config_selectorILNS1_17partition_subalgoE9EllbEEZZNS1_14partition_implILS5_9ELb0ES3_jPlS8_PNS0_10empty_typeENS0_5tupleIJS8_S9_EEENSB_IJS8_SA_EEENS0_18inequality_wrapperIZN2at6native12_GLOBAL__N_124unique_dim_cuda_templateIbEESt5tupleIJNSF_6TensorESK_SK_EERKSK_lbbbEUlllE0_EEPmJS9_EEE10hipError_tPvRmT3_T4_T5_T6_T7_T9_mT8_P12ihipStream_tbDpT10_ENKUlT_T0_E_clISt17integral_constantIbLb1EES1A_EEDaS15_S16_EUlS15_E_NS1_11comp_targetILNS1_3genE8ELNS1_11target_archE1030ELNS1_3gpuE2ELNS1_3repE0EEENS1_30default_config_static_selectorELNS0_4arch9wavefront6targetE1EEEvT1_.num_named_barrier, 0
	.set _ZN7rocprim17ROCPRIM_400000_NS6detail17trampoline_kernelINS0_14default_configENS1_25partition_config_selectorILNS1_17partition_subalgoE9EllbEEZZNS1_14partition_implILS5_9ELb0ES3_jPlS8_PNS0_10empty_typeENS0_5tupleIJS8_S9_EEENSB_IJS8_SA_EEENS0_18inequality_wrapperIZN2at6native12_GLOBAL__N_124unique_dim_cuda_templateIbEESt5tupleIJNSF_6TensorESK_SK_EERKSK_lbbbEUlllE0_EEPmJS9_EEE10hipError_tPvRmT3_T4_T5_T6_T7_T9_mT8_P12ihipStream_tbDpT10_ENKUlT_T0_E_clISt17integral_constantIbLb1EES1A_EEDaS15_S16_EUlS15_E_NS1_11comp_targetILNS1_3genE8ELNS1_11target_archE1030ELNS1_3gpuE2ELNS1_3repE0EEENS1_30default_config_static_selectorELNS0_4arch9wavefront6targetE1EEEvT1_.private_seg_size, 0
	.set _ZN7rocprim17ROCPRIM_400000_NS6detail17trampoline_kernelINS0_14default_configENS1_25partition_config_selectorILNS1_17partition_subalgoE9EllbEEZZNS1_14partition_implILS5_9ELb0ES3_jPlS8_PNS0_10empty_typeENS0_5tupleIJS8_S9_EEENSB_IJS8_SA_EEENS0_18inequality_wrapperIZN2at6native12_GLOBAL__N_124unique_dim_cuda_templateIbEESt5tupleIJNSF_6TensorESK_SK_EERKSK_lbbbEUlllE0_EEPmJS9_EEE10hipError_tPvRmT3_T4_T5_T6_T7_T9_mT8_P12ihipStream_tbDpT10_ENKUlT_T0_E_clISt17integral_constantIbLb1EES1A_EEDaS15_S16_EUlS15_E_NS1_11comp_targetILNS1_3genE8ELNS1_11target_archE1030ELNS1_3gpuE2ELNS1_3repE0EEENS1_30default_config_static_selectorELNS0_4arch9wavefront6targetE1EEEvT1_.uses_vcc, 0
	.set _ZN7rocprim17ROCPRIM_400000_NS6detail17trampoline_kernelINS0_14default_configENS1_25partition_config_selectorILNS1_17partition_subalgoE9EllbEEZZNS1_14partition_implILS5_9ELb0ES3_jPlS8_PNS0_10empty_typeENS0_5tupleIJS8_S9_EEENSB_IJS8_SA_EEENS0_18inequality_wrapperIZN2at6native12_GLOBAL__N_124unique_dim_cuda_templateIbEESt5tupleIJNSF_6TensorESK_SK_EERKSK_lbbbEUlllE0_EEPmJS9_EEE10hipError_tPvRmT3_T4_T5_T6_T7_T9_mT8_P12ihipStream_tbDpT10_ENKUlT_T0_E_clISt17integral_constantIbLb1EES1A_EEDaS15_S16_EUlS15_E_NS1_11comp_targetILNS1_3genE8ELNS1_11target_archE1030ELNS1_3gpuE2ELNS1_3repE0EEENS1_30default_config_static_selectorELNS0_4arch9wavefront6targetE1EEEvT1_.uses_flat_scratch, 0
	.set _ZN7rocprim17ROCPRIM_400000_NS6detail17trampoline_kernelINS0_14default_configENS1_25partition_config_selectorILNS1_17partition_subalgoE9EllbEEZZNS1_14partition_implILS5_9ELb0ES3_jPlS8_PNS0_10empty_typeENS0_5tupleIJS8_S9_EEENSB_IJS8_SA_EEENS0_18inequality_wrapperIZN2at6native12_GLOBAL__N_124unique_dim_cuda_templateIbEESt5tupleIJNSF_6TensorESK_SK_EERKSK_lbbbEUlllE0_EEPmJS9_EEE10hipError_tPvRmT3_T4_T5_T6_T7_T9_mT8_P12ihipStream_tbDpT10_ENKUlT_T0_E_clISt17integral_constantIbLb1EES1A_EEDaS15_S16_EUlS15_E_NS1_11comp_targetILNS1_3genE8ELNS1_11target_archE1030ELNS1_3gpuE2ELNS1_3repE0EEENS1_30default_config_static_selectorELNS0_4arch9wavefront6targetE1EEEvT1_.has_dyn_sized_stack, 0
	.set _ZN7rocprim17ROCPRIM_400000_NS6detail17trampoline_kernelINS0_14default_configENS1_25partition_config_selectorILNS1_17partition_subalgoE9EllbEEZZNS1_14partition_implILS5_9ELb0ES3_jPlS8_PNS0_10empty_typeENS0_5tupleIJS8_S9_EEENSB_IJS8_SA_EEENS0_18inequality_wrapperIZN2at6native12_GLOBAL__N_124unique_dim_cuda_templateIbEESt5tupleIJNSF_6TensorESK_SK_EERKSK_lbbbEUlllE0_EEPmJS9_EEE10hipError_tPvRmT3_T4_T5_T6_T7_T9_mT8_P12ihipStream_tbDpT10_ENKUlT_T0_E_clISt17integral_constantIbLb1EES1A_EEDaS15_S16_EUlS15_E_NS1_11comp_targetILNS1_3genE8ELNS1_11target_archE1030ELNS1_3gpuE2ELNS1_3repE0EEENS1_30default_config_static_selectorELNS0_4arch9wavefront6targetE1EEEvT1_.has_recursion, 0
	.set _ZN7rocprim17ROCPRIM_400000_NS6detail17trampoline_kernelINS0_14default_configENS1_25partition_config_selectorILNS1_17partition_subalgoE9EllbEEZZNS1_14partition_implILS5_9ELb0ES3_jPlS8_PNS0_10empty_typeENS0_5tupleIJS8_S9_EEENSB_IJS8_SA_EEENS0_18inequality_wrapperIZN2at6native12_GLOBAL__N_124unique_dim_cuda_templateIbEESt5tupleIJNSF_6TensorESK_SK_EERKSK_lbbbEUlllE0_EEPmJS9_EEE10hipError_tPvRmT3_T4_T5_T6_T7_T9_mT8_P12ihipStream_tbDpT10_ENKUlT_T0_E_clISt17integral_constantIbLb1EES1A_EEDaS15_S16_EUlS15_E_NS1_11comp_targetILNS1_3genE8ELNS1_11target_archE1030ELNS1_3gpuE2ELNS1_3repE0EEENS1_30default_config_static_selectorELNS0_4arch9wavefront6targetE1EEEvT1_.has_indirect_call, 0
	.section	.AMDGPU.csdata,"",@progbits
; Kernel info:
; codeLenInByte = 0
; TotalNumSgprs: 6
; NumVgprs: 0
; NumAgprs: 0
; TotalNumVgprs: 0
; ScratchSize: 0
; MemoryBound: 0
; FloatMode: 240
; IeeeMode: 1
; LDSByteSize: 0 bytes/workgroup (compile time only)
; SGPRBlocks: 0
; VGPRBlocks: 0
; NumSGPRsForWavesPerEU: 6
; NumVGPRsForWavesPerEU: 1
; AccumOffset: 4
; Occupancy: 8
; WaveLimiterHint : 0
; COMPUTE_PGM_RSRC2:SCRATCH_EN: 0
; COMPUTE_PGM_RSRC2:USER_SGPR: 2
; COMPUTE_PGM_RSRC2:TRAP_HANDLER: 0
; COMPUTE_PGM_RSRC2:TGID_X_EN: 1
; COMPUTE_PGM_RSRC2:TGID_Y_EN: 0
; COMPUTE_PGM_RSRC2:TGID_Z_EN: 0
; COMPUTE_PGM_RSRC2:TIDIG_COMP_CNT: 0
; COMPUTE_PGM_RSRC3_GFX90A:ACCUM_OFFSET: 0
; COMPUTE_PGM_RSRC3_GFX90A:TG_SPLIT: 0
	.section	.text._ZN7rocprim17ROCPRIM_400000_NS6detail17trampoline_kernelINS0_14default_configENS1_25partition_config_selectorILNS1_17partition_subalgoE9EllbEEZZNS1_14partition_implILS5_9ELb0ES3_jPlS8_PNS0_10empty_typeENS0_5tupleIJS8_S9_EEENSB_IJS8_SA_EEENS0_18inequality_wrapperIZN2at6native12_GLOBAL__N_124unique_dim_cuda_templateIbEESt5tupleIJNSF_6TensorESK_SK_EERKSK_lbbbEUlllE0_EEPmJS9_EEE10hipError_tPvRmT3_T4_T5_T6_T7_T9_mT8_P12ihipStream_tbDpT10_ENKUlT_T0_E_clISt17integral_constantIbLb1EES19_IbLb0EEEEDaS15_S16_EUlS15_E_NS1_11comp_targetILNS1_3genE0ELNS1_11target_archE4294967295ELNS1_3gpuE0ELNS1_3repE0EEENS1_30default_config_static_selectorELNS0_4arch9wavefront6targetE1EEEvT1_,"axG",@progbits,_ZN7rocprim17ROCPRIM_400000_NS6detail17trampoline_kernelINS0_14default_configENS1_25partition_config_selectorILNS1_17partition_subalgoE9EllbEEZZNS1_14partition_implILS5_9ELb0ES3_jPlS8_PNS0_10empty_typeENS0_5tupleIJS8_S9_EEENSB_IJS8_SA_EEENS0_18inequality_wrapperIZN2at6native12_GLOBAL__N_124unique_dim_cuda_templateIbEESt5tupleIJNSF_6TensorESK_SK_EERKSK_lbbbEUlllE0_EEPmJS9_EEE10hipError_tPvRmT3_T4_T5_T6_T7_T9_mT8_P12ihipStream_tbDpT10_ENKUlT_T0_E_clISt17integral_constantIbLb1EES19_IbLb0EEEEDaS15_S16_EUlS15_E_NS1_11comp_targetILNS1_3genE0ELNS1_11target_archE4294967295ELNS1_3gpuE0ELNS1_3repE0EEENS1_30default_config_static_selectorELNS0_4arch9wavefront6targetE1EEEvT1_,comdat
	.globl	_ZN7rocprim17ROCPRIM_400000_NS6detail17trampoline_kernelINS0_14default_configENS1_25partition_config_selectorILNS1_17partition_subalgoE9EllbEEZZNS1_14partition_implILS5_9ELb0ES3_jPlS8_PNS0_10empty_typeENS0_5tupleIJS8_S9_EEENSB_IJS8_SA_EEENS0_18inequality_wrapperIZN2at6native12_GLOBAL__N_124unique_dim_cuda_templateIbEESt5tupleIJNSF_6TensorESK_SK_EERKSK_lbbbEUlllE0_EEPmJS9_EEE10hipError_tPvRmT3_T4_T5_T6_T7_T9_mT8_P12ihipStream_tbDpT10_ENKUlT_T0_E_clISt17integral_constantIbLb1EES19_IbLb0EEEEDaS15_S16_EUlS15_E_NS1_11comp_targetILNS1_3genE0ELNS1_11target_archE4294967295ELNS1_3gpuE0ELNS1_3repE0EEENS1_30default_config_static_selectorELNS0_4arch9wavefront6targetE1EEEvT1_ ; -- Begin function _ZN7rocprim17ROCPRIM_400000_NS6detail17trampoline_kernelINS0_14default_configENS1_25partition_config_selectorILNS1_17partition_subalgoE9EllbEEZZNS1_14partition_implILS5_9ELb0ES3_jPlS8_PNS0_10empty_typeENS0_5tupleIJS8_S9_EEENSB_IJS8_SA_EEENS0_18inequality_wrapperIZN2at6native12_GLOBAL__N_124unique_dim_cuda_templateIbEESt5tupleIJNSF_6TensorESK_SK_EERKSK_lbbbEUlllE0_EEPmJS9_EEE10hipError_tPvRmT3_T4_T5_T6_T7_T9_mT8_P12ihipStream_tbDpT10_ENKUlT_T0_E_clISt17integral_constantIbLb1EES19_IbLb0EEEEDaS15_S16_EUlS15_E_NS1_11comp_targetILNS1_3genE0ELNS1_11target_archE4294967295ELNS1_3gpuE0ELNS1_3repE0EEENS1_30default_config_static_selectorELNS0_4arch9wavefront6targetE1EEEvT1_
	.p2align	8
	.type	_ZN7rocprim17ROCPRIM_400000_NS6detail17trampoline_kernelINS0_14default_configENS1_25partition_config_selectorILNS1_17partition_subalgoE9EllbEEZZNS1_14partition_implILS5_9ELb0ES3_jPlS8_PNS0_10empty_typeENS0_5tupleIJS8_S9_EEENSB_IJS8_SA_EEENS0_18inequality_wrapperIZN2at6native12_GLOBAL__N_124unique_dim_cuda_templateIbEESt5tupleIJNSF_6TensorESK_SK_EERKSK_lbbbEUlllE0_EEPmJS9_EEE10hipError_tPvRmT3_T4_T5_T6_T7_T9_mT8_P12ihipStream_tbDpT10_ENKUlT_T0_E_clISt17integral_constantIbLb1EES19_IbLb0EEEEDaS15_S16_EUlS15_E_NS1_11comp_targetILNS1_3genE0ELNS1_11target_archE4294967295ELNS1_3gpuE0ELNS1_3repE0EEENS1_30default_config_static_selectorELNS0_4arch9wavefront6targetE1EEEvT1_,@function
_ZN7rocprim17ROCPRIM_400000_NS6detail17trampoline_kernelINS0_14default_configENS1_25partition_config_selectorILNS1_17partition_subalgoE9EllbEEZZNS1_14partition_implILS5_9ELb0ES3_jPlS8_PNS0_10empty_typeENS0_5tupleIJS8_S9_EEENSB_IJS8_SA_EEENS0_18inequality_wrapperIZN2at6native12_GLOBAL__N_124unique_dim_cuda_templateIbEESt5tupleIJNSF_6TensorESK_SK_EERKSK_lbbbEUlllE0_EEPmJS9_EEE10hipError_tPvRmT3_T4_T5_T6_T7_T9_mT8_P12ihipStream_tbDpT10_ENKUlT_T0_E_clISt17integral_constantIbLb1EES19_IbLb0EEEEDaS15_S16_EUlS15_E_NS1_11comp_targetILNS1_3genE0ELNS1_11target_archE4294967295ELNS1_3gpuE0ELNS1_3repE0EEENS1_30default_config_static_selectorELNS0_4arch9wavefront6targetE1EEEvT1_: ; @_ZN7rocprim17ROCPRIM_400000_NS6detail17trampoline_kernelINS0_14default_configENS1_25partition_config_selectorILNS1_17partition_subalgoE9EllbEEZZNS1_14partition_implILS5_9ELb0ES3_jPlS8_PNS0_10empty_typeENS0_5tupleIJS8_S9_EEENSB_IJS8_SA_EEENS0_18inequality_wrapperIZN2at6native12_GLOBAL__N_124unique_dim_cuda_templateIbEESt5tupleIJNSF_6TensorESK_SK_EERKSK_lbbbEUlllE0_EEPmJS9_EEE10hipError_tPvRmT3_T4_T5_T6_T7_T9_mT8_P12ihipStream_tbDpT10_ENKUlT_T0_E_clISt17integral_constantIbLb1EES19_IbLb0EEEEDaS15_S16_EUlS15_E_NS1_11comp_targetILNS1_3genE0ELNS1_11target_archE4294967295ELNS1_3gpuE0ELNS1_3repE0EEENS1_30default_config_static_selectorELNS0_4arch9wavefront6targetE1EEEvT1_
; %bb.0:
	s_endpgm
	.section	.rodata,"a",@progbits
	.p2align	6, 0x0
	.amdhsa_kernel _ZN7rocprim17ROCPRIM_400000_NS6detail17trampoline_kernelINS0_14default_configENS1_25partition_config_selectorILNS1_17partition_subalgoE9EllbEEZZNS1_14partition_implILS5_9ELb0ES3_jPlS8_PNS0_10empty_typeENS0_5tupleIJS8_S9_EEENSB_IJS8_SA_EEENS0_18inequality_wrapperIZN2at6native12_GLOBAL__N_124unique_dim_cuda_templateIbEESt5tupleIJNSF_6TensorESK_SK_EERKSK_lbbbEUlllE0_EEPmJS9_EEE10hipError_tPvRmT3_T4_T5_T6_T7_T9_mT8_P12ihipStream_tbDpT10_ENKUlT_T0_E_clISt17integral_constantIbLb1EES19_IbLb0EEEEDaS15_S16_EUlS15_E_NS1_11comp_targetILNS1_3genE0ELNS1_11target_archE4294967295ELNS1_3gpuE0ELNS1_3repE0EEENS1_30default_config_static_selectorELNS0_4arch9wavefront6targetE1EEEvT1_
		.amdhsa_group_segment_fixed_size 0
		.amdhsa_private_segment_fixed_size 0
		.amdhsa_kernarg_size 120
		.amdhsa_user_sgpr_count 2
		.amdhsa_user_sgpr_dispatch_ptr 0
		.amdhsa_user_sgpr_queue_ptr 0
		.amdhsa_user_sgpr_kernarg_segment_ptr 1
		.amdhsa_user_sgpr_dispatch_id 0
		.amdhsa_user_sgpr_kernarg_preload_length 0
		.amdhsa_user_sgpr_kernarg_preload_offset 0
		.amdhsa_user_sgpr_private_segment_size 0
		.amdhsa_uses_dynamic_stack 0
		.amdhsa_enable_private_segment 0
		.amdhsa_system_sgpr_workgroup_id_x 1
		.amdhsa_system_sgpr_workgroup_id_y 0
		.amdhsa_system_sgpr_workgroup_id_z 0
		.amdhsa_system_sgpr_workgroup_info 0
		.amdhsa_system_vgpr_workitem_id 0
		.amdhsa_next_free_vgpr 1
		.amdhsa_next_free_sgpr 0
		.amdhsa_accum_offset 4
		.amdhsa_reserve_vcc 0
		.amdhsa_float_round_mode_32 0
		.amdhsa_float_round_mode_16_64 0
		.amdhsa_float_denorm_mode_32 3
		.amdhsa_float_denorm_mode_16_64 3
		.amdhsa_dx10_clamp 1
		.amdhsa_ieee_mode 1
		.amdhsa_fp16_overflow 0
		.amdhsa_tg_split 0
		.amdhsa_exception_fp_ieee_invalid_op 0
		.amdhsa_exception_fp_denorm_src 0
		.amdhsa_exception_fp_ieee_div_zero 0
		.amdhsa_exception_fp_ieee_overflow 0
		.amdhsa_exception_fp_ieee_underflow 0
		.amdhsa_exception_fp_ieee_inexact 0
		.amdhsa_exception_int_div_zero 0
	.end_amdhsa_kernel
	.section	.text._ZN7rocprim17ROCPRIM_400000_NS6detail17trampoline_kernelINS0_14default_configENS1_25partition_config_selectorILNS1_17partition_subalgoE9EllbEEZZNS1_14partition_implILS5_9ELb0ES3_jPlS8_PNS0_10empty_typeENS0_5tupleIJS8_S9_EEENSB_IJS8_SA_EEENS0_18inequality_wrapperIZN2at6native12_GLOBAL__N_124unique_dim_cuda_templateIbEESt5tupleIJNSF_6TensorESK_SK_EERKSK_lbbbEUlllE0_EEPmJS9_EEE10hipError_tPvRmT3_T4_T5_T6_T7_T9_mT8_P12ihipStream_tbDpT10_ENKUlT_T0_E_clISt17integral_constantIbLb1EES19_IbLb0EEEEDaS15_S16_EUlS15_E_NS1_11comp_targetILNS1_3genE0ELNS1_11target_archE4294967295ELNS1_3gpuE0ELNS1_3repE0EEENS1_30default_config_static_selectorELNS0_4arch9wavefront6targetE1EEEvT1_,"axG",@progbits,_ZN7rocprim17ROCPRIM_400000_NS6detail17trampoline_kernelINS0_14default_configENS1_25partition_config_selectorILNS1_17partition_subalgoE9EllbEEZZNS1_14partition_implILS5_9ELb0ES3_jPlS8_PNS0_10empty_typeENS0_5tupleIJS8_S9_EEENSB_IJS8_SA_EEENS0_18inequality_wrapperIZN2at6native12_GLOBAL__N_124unique_dim_cuda_templateIbEESt5tupleIJNSF_6TensorESK_SK_EERKSK_lbbbEUlllE0_EEPmJS9_EEE10hipError_tPvRmT3_T4_T5_T6_T7_T9_mT8_P12ihipStream_tbDpT10_ENKUlT_T0_E_clISt17integral_constantIbLb1EES19_IbLb0EEEEDaS15_S16_EUlS15_E_NS1_11comp_targetILNS1_3genE0ELNS1_11target_archE4294967295ELNS1_3gpuE0ELNS1_3repE0EEENS1_30default_config_static_selectorELNS0_4arch9wavefront6targetE1EEEvT1_,comdat
.Lfunc_end1099:
	.size	_ZN7rocprim17ROCPRIM_400000_NS6detail17trampoline_kernelINS0_14default_configENS1_25partition_config_selectorILNS1_17partition_subalgoE9EllbEEZZNS1_14partition_implILS5_9ELb0ES3_jPlS8_PNS0_10empty_typeENS0_5tupleIJS8_S9_EEENSB_IJS8_SA_EEENS0_18inequality_wrapperIZN2at6native12_GLOBAL__N_124unique_dim_cuda_templateIbEESt5tupleIJNSF_6TensorESK_SK_EERKSK_lbbbEUlllE0_EEPmJS9_EEE10hipError_tPvRmT3_T4_T5_T6_T7_T9_mT8_P12ihipStream_tbDpT10_ENKUlT_T0_E_clISt17integral_constantIbLb1EES19_IbLb0EEEEDaS15_S16_EUlS15_E_NS1_11comp_targetILNS1_3genE0ELNS1_11target_archE4294967295ELNS1_3gpuE0ELNS1_3repE0EEENS1_30default_config_static_selectorELNS0_4arch9wavefront6targetE1EEEvT1_, .Lfunc_end1099-_ZN7rocprim17ROCPRIM_400000_NS6detail17trampoline_kernelINS0_14default_configENS1_25partition_config_selectorILNS1_17partition_subalgoE9EllbEEZZNS1_14partition_implILS5_9ELb0ES3_jPlS8_PNS0_10empty_typeENS0_5tupleIJS8_S9_EEENSB_IJS8_SA_EEENS0_18inequality_wrapperIZN2at6native12_GLOBAL__N_124unique_dim_cuda_templateIbEESt5tupleIJNSF_6TensorESK_SK_EERKSK_lbbbEUlllE0_EEPmJS9_EEE10hipError_tPvRmT3_T4_T5_T6_T7_T9_mT8_P12ihipStream_tbDpT10_ENKUlT_T0_E_clISt17integral_constantIbLb1EES19_IbLb0EEEEDaS15_S16_EUlS15_E_NS1_11comp_targetILNS1_3genE0ELNS1_11target_archE4294967295ELNS1_3gpuE0ELNS1_3repE0EEENS1_30default_config_static_selectorELNS0_4arch9wavefront6targetE1EEEvT1_
                                        ; -- End function
	.set _ZN7rocprim17ROCPRIM_400000_NS6detail17trampoline_kernelINS0_14default_configENS1_25partition_config_selectorILNS1_17partition_subalgoE9EllbEEZZNS1_14partition_implILS5_9ELb0ES3_jPlS8_PNS0_10empty_typeENS0_5tupleIJS8_S9_EEENSB_IJS8_SA_EEENS0_18inequality_wrapperIZN2at6native12_GLOBAL__N_124unique_dim_cuda_templateIbEESt5tupleIJNSF_6TensorESK_SK_EERKSK_lbbbEUlllE0_EEPmJS9_EEE10hipError_tPvRmT3_T4_T5_T6_T7_T9_mT8_P12ihipStream_tbDpT10_ENKUlT_T0_E_clISt17integral_constantIbLb1EES19_IbLb0EEEEDaS15_S16_EUlS15_E_NS1_11comp_targetILNS1_3genE0ELNS1_11target_archE4294967295ELNS1_3gpuE0ELNS1_3repE0EEENS1_30default_config_static_selectorELNS0_4arch9wavefront6targetE1EEEvT1_.num_vgpr, 0
	.set _ZN7rocprim17ROCPRIM_400000_NS6detail17trampoline_kernelINS0_14default_configENS1_25partition_config_selectorILNS1_17partition_subalgoE9EllbEEZZNS1_14partition_implILS5_9ELb0ES3_jPlS8_PNS0_10empty_typeENS0_5tupleIJS8_S9_EEENSB_IJS8_SA_EEENS0_18inequality_wrapperIZN2at6native12_GLOBAL__N_124unique_dim_cuda_templateIbEESt5tupleIJNSF_6TensorESK_SK_EERKSK_lbbbEUlllE0_EEPmJS9_EEE10hipError_tPvRmT3_T4_T5_T6_T7_T9_mT8_P12ihipStream_tbDpT10_ENKUlT_T0_E_clISt17integral_constantIbLb1EES19_IbLb0EEEEDaS15_S16_EUlS15_E_NS1_11comp_targetILNS1_3genE0ELNS1_11target_archE4294967295ELNS1_3gpuE0ELNS1_3repE0EEENS1_30default_config_static_selectorELNS0_4arch9wavefront6targetE1EEEvT1_.num_agpr, 0
	.set _ZN7rocprim17ROCPRIM_400000_NS6detail17trampoline_kernelINS0_14default_configENS1_25partition_config_selectorILNS1_17partition_subalgoE9EllbEEZZNS1_14partition_implILS5_9ELb0ES3_jPlS8_PNS0_10empty_typeENS0_5tupleIJS8_S9_EEENSB_IJS8_SA_EEENS0_18inequality_wrapperIZN2at6native12_GLOBAL__N_124unique_dim_cuda_templateIbEESt5tupleIJNSF_6TensorESK_SK_EERKSK_lbbbEUlllE0_EEPmJS9_EEE10hipError_tPvRmT3_T4_T5_T6_T7_T9_mT8_P12ihipStream_tbDpT10_ENKUlT_T0_E_clISt17integral_constantIbLb1EES19_IbLb0EEEEDaS15_S16_EUlS15_E_NS1_11comp_targetILNS1_3genE0ELNS1_11target_archE4294967295ELNS1_3gpuE0ELNS1_3repE0EEENS1_30default_config_static_selectorELNS0_4arch9wavefront6targetE1EEEvT1_.numbered_sgpr, 0
	.set _ZN7rocprim17ROCPRIM_400000_NS6detail17trampoline_kernelINS0_14default_configENS1_25partition_config_selectorILNS1_17partition_subalgoE9EllbEEZZNS1_14partition_implILS5_9ELb0ES3_jPlS8_PNS0_10empty_typeENS0_5tupleIJS8_S9_EEENSB_IJS8_SA_EEENS0_18inequality_wrapperIZN2at6native12_GLOBAL__N_124unique_dim_cuda_templateIbEESt5tupleIJNSF_6TensorESK_SK_EERKSK_lbbbEUlllE0_EEPmJS9_EEE10hipError_tPvRmT3_T4_T5_T6_T7_T9_mT8_P12ihipStream_tbDpT10_ENKUlT_T0_E_clISt17integral_constantIbLb1EES19_IbLb0EEEEDaS15_S16_EUlS15_E_NS1_11comp_targetILNS1_3genE0ELNS1_11target_archE4294967295ELNS1_3gpuE0ELNS1_3repE0EEENS1_30default_config_static_selectorELNS0_4arch9wavefront6targetE1EEEvT1_.num_named_barrier, 0
	.set _ZN7rocprim17ROCPRIM_400000_NS6detail17trampoline_kernelINS0_14default_configENS1_25partition_config_selectorILNS1_17partition_subalgoE9EllbEEZZNS1_14partition_implILS5_9ELb0ES3_jPlS8_PNS0_10empty_typeENS0_5tupleIJS8_S9_EEENSB_IJS8_SA_EEENS0_18inequality_wrapperIZN2at6native12_GLOBAL__N_124unique_dim_cuda_templateIbEESt5tupleIJNSF_6TensorESK_SK_EERKSK_lbbbEUlllE0_EEPmJS9_EEE10hipError_tPvRmT3_T4_T5_T6_T7_T9_mT8_P12ihipStream_tbDpT10_ENKUlT_T0_E_clISt17integral_constantIbLb1EES19_IbLb0EEEEDaS15_S16_EUlS15_E_NS1_11comp_targetILNS1_3genE0ELNS1_11target_archE4294967295ELNS1_3gpuE0ELNS1_3repE0EEENS1_30default_config_static_selectorELNS0_4arch9wavefront6targetE1EEEvT1_.private_seg_size, 0
	.set _ZN7rocprim17ROCPRIM_400000_NS6detail17trampoline_kernelINS0_14default_configENS1_25partition_config_selectorILNS1_17partition_subalgoE9EllbEEZZNS1_14partition_implILS5_9ELb0ES3_jPlS8_PNS0_10empty_typeENS0_5tupleIJS8_S9_EEENSB_IJS8_SA_EEENS0_18inequality_wrapperIZN2at6native12_GLOBAL__N_124unique_dim_cuda_templateIbEESt5tupleIJNSF_6TensorESK_SK_EERKSK_lbbbEUlllE0_EEPmJS9_EEE10hipError_tPvRmT3_T4_T5_T6_T7_T9_mT8_P12ihipStream_tbDpT10_ENKUlT_T0_E_clISt17integral_constantIbLb1EES19_IbLb0EEEEDaS15_S16_EUlS15_E_NS1_11comp_targetILNS1_3genE0ELNS1_11target_archE4294967295ELNS1_3gpuE0ELNS1_3repE0EEENS1_30default_config_static_selectorELNS0_4arch9wavefront6targetE1EEEvT1_.uses_vcc, 0
	.set _ZN7rocprim17ROCPRIM_400000_NS6detail17trampoline_kernelINS0_14default_configENS1_25partition_config_selectorILNS1_17partition_subalgoE9EllbEEZZNS1_14partition_implILS5_9ELb0ES3_jPlS8_PNS0_10empty_typeENS0_5tupleIJS8_S9_EEENSB_IJS8_SA_EEENS0_18inequality_wrapperIZN2at6native12_GLOBAL__N_124unique_dim_cuda_templateIbEESt5tupleIJNSF_6TensorESK_SK_EERKSK_lbbbEUlllE0_EEPmJS9_EEE10hipError_tPvRmT3_T4_T5_T6_T7_T9_mT8_P12ihipStream_tbDpT10_ENKUlT_T0_E_clISt17integral_constantIbLb1EES19_IbLb0EEEEDaS15_S16_EUlS15_E_NS1_11comp_targetILNS1_3genE0ELNS1_11target_archE4294967295ELNS1_3gpuE0ELNS1_3repE0EEENS1_30default_config_static_selectorELNS0_4arch9wavefront6targetE1EEEvT1_.uses_flat_scratch, 0
	.set _ZN7rocprim17ROCPRIM_400000_NS6detail17trampoline_kernelINS0_14default_configENS1_25partition_config_selectorILNS1_17partition_subalgoE9EllbEEZZNS1_14partition_implILS5_9ELb0ES3_jPlS8_PNS0_10empty_typeENS0_5tupleIJS8_S9_EEENSB_IJS8_SA_EEENS0_18inequality_wrapperIZN2at6native12_GLOBAL__N_124unique_dim_cuda_templateIbEESt5tupleIJNSF_6TensorESK_SK_EERKSK_lbbbEUlllE0_EEPmJS9_EEE10hipError_tPvRmT3_T4_T5_T6_T7_T9_mT8_P12ihipStream_tbDpT10_ENKUlT_T0_E_clISt17integral_constantIbLb1EES19_IbLb0EEEEDaS15_S16_EUlS15_E_NS1_11comp_targetILNS1_3genE0ELNS1_11target_archE4294967295ELNS1_3gpuE0ELNS1_3repE0EEENS1_30default_config_static_selectorELNS0_4arch9wavefront6targetE1EEEvT1_.has_dyn_sized_stack, 0
	.set _ZN7rocprim17ROCPRIM_400000_NS6detail17trampoline_kernelINS0_14default_configENS1_25partition_config_selectorILNS1_17partition_subalgoE9EllbEEZZNS1_14partition_implILS5_9ELb0ES3_jPlS8_PNS0_10empty_typeENS0_5tupleIJS8_S9_EEENSB_IJS8_SA_EEENS0_18inequality_wrapperIZN2at6native12_GLOBAL__N_124unique_dim_cuda_templateIbEESt5tupleIJNSF_6TensorESK_SK_EERKSK_lbbbEUlllE0_EEPmJS9_EEE10hipError_tPvRmT3_T4_T5_T6_T7_T9_mT8_P12ihipStream_tbDpT10_ENKUlT_T0_E_clISt17integral_constantIbLb1EES19_IbLb0EEEEDaS15_S16_EUlS15_E_NS1_11comp_targetILNS1_3genE0ELNS1_11target_archE4294967295ELNS1_3gpuE0ELNS1_3repE0EEENS1_30default_config_static_selectorELNS0_4arch9wavefront6targetE1EEEvT1_.has_recursion, 0
	.set _ZN7rocprim17ROCPRIM_400000_NS6detail17trampoline_kernelINS0_14default_configENS1_25partition_config_selectorILNS1_17partition_subalgoE9EllbEEZZNS1_14partition_implILS5_9ELb0ES3_jPlS8_PNS0_10empty_typeENS0_5tupleIJS8_S9_EEENSB_IJS8_SA_EEENS0_18inequality_wrapperIZN2at6native12_GLOBAL__N_124unique_dim_cuda_templateIbEESt5tupleIJNSF_6TensorESK_SK_EERKSK_lbbbEUlllE0_EEPmJS9_EEE10hipError_tPvRmT3_T4_T5_T6_T7_T9_mT8_P12ihipStream_tbDpT10_ENKUlT_T0_E_clISt17integral_constantIbLb1EES19_IbLb0EEEEDaS15_S16_EUlS15_E_NS1_11comp_targetILNS1_3genE0ELNS1_11target_archE4294967295ELNS1_3gpuE0ELNS1_3repE0EEENS1_30default_config_static_selectorELNS0_4arch9wavefront6targetE1EEEvT1_.has_indirect_call, 0
	.section	.AMDGPU.csdata,"",@progbits
; Kernel info:
; codeLenInByte = 4
; TotalNumSgprs: 6
; NumVgprs: 0
; NumAgprs: 0
; TotalNumVgprs: 0
; ScratchSize: 0
; MemoryBound: 0
; FloatMode: 240
; IeeeMode: 1
; LDSByteSize: 0 bytes/workgroup (compile time only)
; SGPRBlocks: 0
; VGPRBlocks: 0
; NumSGPRsForWavesPerEU: 6
; NumVGPRsForWavesPerEU: 1
; AccumOffset: 4
; Occupancy: 8
; WaveLimiterHint : 0
; COMPUTE_PGM_RSRC2:SCRATCH_EN: 0
; COMPUTE_PGM_RSRC2:USER_SGPR: 2
; COMPUTE_PGM_RSRC2:TRAP_HANDLER: 0
; COMPUTE_PGM_RSRC2:TGID_X_EN: 1
; COMPUTE_PGM_RSRC2:TGID_Y_EN: 0
; COMPUTE_PGM_RSRC2:TGID_Z_EN: 0
; COMPUTE_PGM_RSRC2:TIDIG_COMP_CNT: 0
; COMPUTE_PGM_RSRC3_GFX90A:ACCUM_OFFSET: 0
; COMPUTE_PGM_RSRC3_GFX90A:TG_SPLIT: 0
	.section	.text._ZN7rocprim17ROCPRIM_400000_NS6detail17trampoline_kernelINS0_14default_configENS1_25partition_config_selectorILNS1_17partition_subalgoE9EllbEEZZNS1_14partition_implILS5_9ELb0ES3_jPlS8_PNS0_10empty_typeENS0_5tupleIJS8_S9_EEENSB_IJS8_SA_EEENS0_18inequality_wrapperIZN2at6native12_GLOBAL__N_124unique_dim_cuda_templateIbEESt5tupleIJNSF_6TensorESK_SK_EERKSK_lbbbEUlllE0_EEPmJS9_EEE10hipError_tPvRmT3_T4_T5_T6_T7_T9_mT8_P12ihipStream_tbDpT10_ENKUlT_T0_E_clISt17integral_constantIbLb1EES19_IbLb0EEEEDaS15_S16_EUlS15_E_NS1_11comp_targetILNS1_3genE5ELNS1_11target_archE942ELNS1_3gpuE9ELNS1_3repE0EEENS1_30default_config_static_selectorELNS0_4arch9wavefront6targetE1EEEvT1_,"axG",@progbits,_ZN7rocprim17ROCPRIM_400000_NS6detail17trampoline_kernelINS0_14default_configENS1_25partition_config_selectorILNS1_17partition_subalgoE9EllbEEZZNS1_14partition_implILS5_9ELb0ES3_jPlS8_PNS0_10empty_typeENS0_5tupleIJS8_S9_EEENSB_IJS8_SA_EEENS0_18inequality_wrapperIZN2at6native12_GLOBAL__N_124unique_dim_cuda_templateIbEESt5tupleIJNSF_6TensorESK_SK_EERKSK_lbbbEUlllE0_EEPmJS9_EEE10hipError_tPvRmT3_T4_T5_T6_T7_T9_mT8_P12ihipStream_tbDpT10_ENKUlT_T0_E_clISt17integral_constantIbLb1EES19_IbLb0EEEEDaS15_S16_EUlS15_E_NS1_11comp_targetILNS1_3genE5ELNS1_11target_archE942ELNS1_3gpuE9ELNS1_3repE0EEENS1_30default_config_static_selectorELNS0_4arch9wavefront6targetE1EEEvT1_,comdat
	.globl	_ZN7rocprim17ROCPRIM_400000_NS6detail17trampoline_kernelINS0_14default_configENS1_25partition_config_selectorILNS1_17partition_subalgoE9EllbEEZZNS1_14partition_implILS5_9ELb0ES3_jPlS8_PNS0_10empty_typeENS0_5tupleIJS8_S9_EEENSB_IJS8_SA_EEENS0_18inequality_wrapperIZN2at6native12_GLOBAL__N_124unique_dim_cuda_templateIbEESt5tupleIJNSF_6TensorESK_SK_EERKSK_lbbbEUlllE0_EEPmJS9_EEE10hipError_tPvRmT3_T4_T5_T6_T7_T9_mT8_P12ihipStream_tbDpT10_ENKUlT_T0_E_clISt17integral_constantIbLb1EES19_IbLb0EEEEDaS15_S16_EUlS15_E_NS1_11comp_targetILNS1_3genE5ELNS1_11target_archE942ELNS1_3gpuE9ELNS1_3repE0EEENS1_30default_config_static_selectorELNS0_4arch9wavefront6targetE1EEEvT1_ ; -- Begin function _ZN7rocprim17ROCPRIM_400000_NS6detail17trampoline_kernelINS0_14default_configENS1_25partition_config_selectorILNS1_17partition_subalgoE9EllbEEZZNS1_14partition_implILS5_9ELb0ES3_jPlS8_PNS0_10empty_typeENS0_5tupleIJS8_S9_EEENSB_IJS8_SA_EEENS0_18inequality_wrapperIZN2at6native12_GLOBAL__N_124unique_dim_cuda_templateIbEESt5tupleIJNSF_6TensorESK_SK_EERKSK_lbbbEUlllE0_EEPmJS9_EEE10hipError_tPvRmT3_T4_T5_T6_T7_T9_mT8_P12ihipStream_tbDpT10_ENKUlT_T0_E_clISt17integral_constantIbLb1EES19_IbLb0EEEEDaS15_S16_EUlS15_E_NS1_11comp_targetILNS1_3genE5ELNS1_11target_archE942ELNS1_3gpuE9ELNS1_3repE0EEENS1_30default_config_static_selectorELNS0_4arch9wavefront6targetE1EEEvT1_
	.p2align	8
	.type	_ZN7rocprim17ROCPRIM_400000_NS6detail17trampoline_kernelINS0_14default_configENS1_25partition_config_selectorILNS1_17partition_subalgoE9EllbEEZZNS1_14partition_implILS5_9ELb0ES3_jPlS8_PNS0_10empty_typeENS0_5tupleIJS8_S9_EEENSB_IJS8_SA_EEENS0_18inequality_wrapperIZN2at6native12_GLOBAL__N_124unique_dim_cuda_templateIbEESt5tupleIJNSF_6TensorESK_SK_EERKSK_lbbbEUlllE0_EEPmJS9_EEE10hipError_tPvRmT3_T4_T5_T6_T7_T9_mT8_P12ihipStream_tbDpT10_ENKUlT_T0_E_clISt17integral_constantIbLb1EES19_IbLb0EEEEDaS15_S16_EUlS15_E_NS1_11comp_targetILNS1_3genE5ELNS1_11target_archE942ELNS1_3gpuE9ELNS1_3repE0EEENS1_30default_config_static_selectorELNS0_4arch9wavefront6targetE1EEEvT1_,@function
_ZN7rocprim17ROCPRIM_400000_NS6detail17trampoline_kernelINS0_14default_configENS1_25partition_config_selectorILNS1_17partition_subalgoE9EllbEEZZNS1_14partition_implILS5_9ELb0ES3_jPlS8_PNS0_10empty_typeENS0_5tupleIJS8_S9_EEENSB_IJS8_SA_EEENS0_18inequality_wrapperIZN2at6native12_GLOBAL__N_124unique_dim_cuda_templateIbEESt5tupleIJNSF_6TensorESK_SK_EERKSK_lbbbEUlllE0_EEPmJS9_EEE10hipError_tPvRmT3_T4_T5_T6_T7_T9_mT8_P12ihipStream_tbDpT10_ENKUlT_T0_E_clISt17integral_constantIbLb1EES19_IbLb0EEEEDaS15_S16_EUlS15_E_NS1_11comp_targetILNS1_3genE5ELNS1_11target_archE942ELNS1_3gpuE9ELNS1_3repE0EEENS1_30default_config_static_selectorELNS0_4arch9wavefront6targetE1EEEvT1_: ; @_ZN7rocprim17ROCPRIM_400000_NS6detail17trampoline_kernelINS0_14default_configENS1_25partition_config_selectorILNS1_17partition_subalgoE9EllbEEZZNS1_14partition_implILS5_9ELb0ES3_jPlS8_PNS0_10empty_typeENS0_5tupleIJS8_S9_EEENSB_IJS8_SA_EEENS0_18inequality_wrapperIZN2at6native12_GLOBAL__N_124unique_dim_cuda_templateIbEESt5tupleIJNSF_6TensorESK_SK_EERKSK_lbbbEUlllE0_EEPmJS9_EEE10hipError_tPvRmT3_T4_T5_T6_T7_T9_mT8_P12ihipStream_tbDpT10_ENKUlT_T0_E_clISt17integral_constantIbLb1EES19_IbLb0EEEEDaS15_S16_EUlS15_E_NS1_11comp_targetILNS1_3genE5ELNS1_11target_archE942ELNS1_3gpuE9ELNS1_3repE0EEENS1_30default_config_static_selectorELNS0_4arch9wavefront6targetE1EEEvT1_
; %bb.0:
	.section	.rodata,"a",@progbits
	.p2align	6, 0x0
	.amdhsa_kernel _ZN7rocprim17ROCPRIM_400000_NS6detail17trampoline_kernelINS0_14default_configENS1_25partition_config_selectorILNS1_17partition_subalgoE9EllbEEZZNS1_14partition_implILS5_9ELb0ES3_jPlS8_PNS0_10empty_typeENS0_5tupleIJS8_S9_EEENSB_IJS8_SA_EEENS0_18inequality_wrapperIZN2at6native12_GLOBAL__N_124unique_dim_cuda_templateIbEESt5tupleIJNSF_6TensorESK_SK_EERKSK_lbbbEUlllE0_EEPmJS9_EEE10hipError_tPvRmT3_T4_T5_T6_T7_T9_mT8_P12ihipStream_tbDpT10_ENKUlT_T0_E_clISt17integral_constantIbLb1EES19_IbLb0EEEEDaS15_S16_EUlS15_E_NS1_11comp_targetILNS1_3genE5ELNS1_11target_archE942ELNS1_3gpuE9ELNS1_3repE0EEENS1_30default_config_static_selectorELNS0_4arch9wavefront6targetE1EEEvT1_
		.amdhsa_group_segment_fixed_size 0
		.amdhsa_private_segment_fixed_size 0
		.amdhsa_kernarg_size 120
		.amdhsa_user_sgpr_count 2
		.amdhsa_user_sgpr_dispatch_ptr 0
		.amdhsa_user_sgpr_queue_ptr 0
		.amdhsa_user_sgpr_kernarg_segment_ptr 1
		.amdhsa_user_sgpr_dispatch_id 0
		.amdhsa_user_sgpr_kernarg_preload_length 0
		.amdhsa_user_sgpr_kernarg_preload_offset 0
		.amdhsa_user_sgpr_private_segment_size 0
		.amdhsa_uses_dynamic_stack 0
		.amdhsa_enable_private_segment 0
		.amdhsa_system_sgpr_workgroup_id_x 1
		.amdhsa_system_sgpr_workgroup_id_y 0
		.amdhsa_system_sgpr_workgroup_id_z 0
		.amdhsa_system_sgpr_workgroup_info 0
		.amdhsa_system_vgpr_workitem_id 0
		.amdhsa_next_free_vgpr 1
		.amdhsa_next_free_sgpr 0
		.amdhsa_accum_offset 4
		.amdhsa_reserve_vcc 0
		.amdhsa_float_round_mode_32 0
		.amdhsa_float_round_mode_16_64 0
		.amdhsa_float_denorm_mode_32 3
		.amdhsa_float_denorm_mode_16_64 3
		.amdhsa_dx10_clamp 1
		.amdhsa_ieee_mode 1
		.amdhsa_fp16_overflow 0
		.amdhsa_tg_split 0
		.amdhsa_exception_fp_ieee_invalid_op 0
		.amdhsa_exception_fp_denorm_src 0
		.amdhsa_exception_fp_ieee_div_zero 0
		.amdhsa_exception_fp_ieee_overflow 0
		.amdhsa_exception_fp_ieee_underflow 0
		.amdhsa_exception_fp_ieee_inexact 0
		.amdhsa_exception_int_div_zero 0
	.end_amdhsa_kernel
	.section	.text._ZN7rocprim17ROCPRIM_400000_NS6detail17trampoline_kernelINS0_14default_configENS1_25partition_config_selectorILNS1_17partition_subalgoE9EllbEEZZNS1_14partition_implILS5_9ELb0ES3_jPlS8_PNS0_10empty_typeENS0_5tupleIJS8_S9_EEENSB_IJS8_SA_EEENS0_18inequality_wrapperIZN2at6native12_GLOBAL__N_124unique_dim_cuda_templateIbEESt5tupleIJNSF_6TensorESK_SK_EERKSK_lbbbEUlllE0_EEPmJS9_EEE10hipError_tPvRmT3_T4_T5_T6_T7_T9_mT8_P12ihipStream_tbDpT10_ENKUlT_T0_E_clISt17integral_constantIbLb1EES19_IbLb0EEEEDaS15_S16_EUlS15_E_NS1_11comp_targetILNS1_3genE5ELNS1_11target_archE942ELNS1_3gpuE9ELNS1_3repE0EEENS1_30default_config_static_selectorELNS0_4arch9wavefront6targetE1EEEvT1_,"axG",@progbits,_ZN7rocprim17ROCPRIM_400000_NS6detail17trampoline_kernelINS0_14default_configENS1_25partition_config_selectorILNS1_17partition_subalgoE9EllbEEZZNS1_14partition_implILS5_9ELb0ES3_jPlS8_PNS0_10empty_typeENS0_5tupleIJS8_S9_EEENSB_IJS8_SA_EEENS0_18inequality_wrapperIZN2at6native12_GLOBAL__N_124unique_dim_cuda_templateIbEESt5tupleIJNSF_6TensorESK_SK_EERKSK_lbbbEUlllE0_EEPmJS9_EEE10hipError_tPvRmT3_T4_T5_T6_T7_T9_mT8_P12ihipStream_tbDpT10_ENKUlT_T0_E_clISt17integral_constantIbLb1EES19_IbLb0EEEEDaS15_S16_EUlS15_E_NS1_11comp_targetILNS1_3genE5ELNS1_11target_archE942ELNS1_3gpuE9ELNS1_3repE0EEENS1_30default_config_static_selectorELNS0_4arch9wavefront6targetE1EEEvT1_,comdat
.Lfunc_end1100:
	.size	_ZN7rocprim17ROCPRIM_400000_NS6detail17trampoline_kernelINS0_14default_configENS1_25partition_config_selectorILNS1_17partition_subalgoE9EllbEEZZNS1_14partition_implILS5_9ELb0ES3_jPlS8_PNS0_10empty_typeENS0_5tupleIJS8_S9_EEENSB_IJS8_SA_EEENS0_18inequality_wrapperIZN2at6native12_GLOBAL__N_124unique_dim_cuda_templateIbEESt5tupleIJNSF_6TensorESK_SK_EERKSK_lbbbEUlllE0_EEPmJS9_EEE10hipError_tPvRmT3_T4_T5_T6_T7_T9_mT8_P12ihipStream_tbDpT10_ENKUlT_T0_E_clISt17integral_constantIbLb1EES19_IbLb0EEEEDaS15_S16_EUlS15_E_NS1_11comp_targetILNS1_3genE5ELNS1_11target_archE942ELNS1_3gpuE9ELNS1_3repE0EEENS1_30default_config_static_selectorELNS0_4arch9wavefront6targetE1EEEvT1_, .Lfunc_end1100-_ZN7rocprim17ROCPRIM_400000_NS6detail17trampoline_kernelINS0_14default_configENS1_25partition_config_selectorILNS1_17partition_subalgoE9EllbEEZZNS1_14partition_implILS5_9ELb0ES3_jPlS8_PNS0_10empty_typeENS0_5tupleIJS8_S9_EEENSB_IJS8_SA_EEENS0_18inequality_wrapperIZN2at6native12_GLOBAL__N_124unique_dim_cuda_templateIbEESt5tupleIJNSF_6TensorESK_SK_EERKSK_lbbbEUlllE0_EEPmJS9_EEE10hipError_tPvRmT3_T4_T5_T6_T7_T9_mT8_P12ihipStream_tbDpT10_ENKUlT_T0_E_clISt17integral_constantIbLb1EES19_IbLb0EEEEDaS15_S16_EUlS15_E_NS1_11comp_targetILNS1_3genE5ELNS1_11target_archE942ELNS1_3gpuE9ELNS1_3repE0EEENS1_30default_config_static_selectorELNS0_4arch9wavefront6targetE1EEEvT1_
                                        ; -- End function
	.set _ZN7rocprim17ROCPRIM_400000_NS6detail17trampoline_kernelINS0_14default_configENS1_25partition_config_selectorILNS1_17partition_subalgoE9EllbEEZZNS1_14partition_implILS5_9ELb0ES3_jPlS8_PNS0_10empty_typeENS0_5tupleIJS8_S9_EEENSB_IJS8_SA_EEENS0_18inequality_wrapperIZN2at6native12_GLOBAL__N_124unique_dim_cuda_templateIbEESt5tupleIJNSF_6TensorESK_SK_EERKSK_lbbbEUlllE0_EEPmJS9_EEE10hipError_tPvRmT3_T4_T5_T6_T7_T9_mT8_P12ihipStream_tbDpT10_ENKUlT_T0_E_clISt17integral_constantIbLb1EES19_IbLb0EEEEDaS15_S16_EUlS15_E_NS1_11comp_targetILNS1_3genE5ELNS1_11target_archE942ELNS1_3gpuE9ELNS1_3repE0EEENS1_30default_config_static_selectorELNS0_4arch9wavefront6targetE1EEEvT1_.num_vgpr, 0
	.set _ZN7rocprim17ROCPRIM_400000_NS6detail17trampoline_kernelINS0_14default_configENS1_25partition_config_selectorILNS1_17partition_subalgoE9EllbEEZZNS1_14partition_implILS5_9ELb0ES3_jPlS8_PNS0_10empty_typeENS0_5tupleIJS8_S9_EEENSB_IJS8_SA_EEENS0_18inequality_wrapperIZN2at6native12_GLOBAL__N_124unique_dim_cuda_templateIbEESt5tupleIJNSF_6TensorESK_SK_EERKSK_lbbbEUlllE0_EEPmJS9_EEE10hipError_tPvRmT3_T4_T5_T6_T7_T9_mT8_P12ihipStream_tbDpT10_ENKUlT_T0_E_clISt17integral_constantIbLb1EES19_IbLb0EEEEDaS15_S16_EUlS15_E_NS1_11comp_targetILNS1_3genE5ELNS1_11target_archE942ELNS1_3gpuE9ELNS1_3repE0EEENS1_30default_config_static_selectorELNS0_4arch9wavefront6targetE1EEEvT1_.num_agpr, 0
	.set _ZN7rocprim17ROCPRIM_400000_NS6detail17trampoline_kernelINS0_14default_configENS1_25partition_config_selectorILNS1_17partition_subalgoE9EllbEEZZNS1_14partition_implILS5_9ELb0ES3_jPlS8_PNS0_10empty_typeENS0_5tupleIJS8_S9_EEENSB_IJS8_SA_EEENS0_18inequality_wrapperIZN2at6native12_GLOBAL__N_124unique_dim_cuda_templateIbEESt5tupleIJNSF_6TensorESK_SK_EERKSK_lbbbEUlllE0_EEPmJS9_EEE10hipError_tPvRmT3_T4_T5_T6_T7_T9_mT8_P12ihipStream_tbDpT10_ENKUlT_T0_E_clISt17integral_constantIbLb1EES19_IbLb0EEEEDaS15_S16_EUlS15_E_NS1_11comp_targetILNS1_3genE5ELNS1_11target_archE942ELNS1_3gpuE9ELNS1_3repE0EEENS1_30default_config_static_selectorELNS0_4arch9wavefront6targetE1EEEvT1_.numbered_sgpr, 0
	.set _ZN7rocprim17ROCPRIM_400000_NS6detail17trampoline_kernelINS0_14default_configENS1_25partition_config_selectorILNS1_17partition_subalgoE9EllbEEZZNS1_14partition_implILS5_9ELb0ES3_jPlS8_PNS0_10empty_typeENS0_5tupleIJS8_S9_EEENSB_IJS8_SA_EEENS0_18inequality_wrapperIZN2at6native12_GLOBAL__N_124unique_dim_cuda_templateIbEESt5tupleIJNSF_6TensorESK_SK_EERKSK_lbbbEUlllE0_EEPmJS9_EEE10hipError_tPvRmT3_T4_T5_T6_T7_T9_mT8_P12ihipStream_tbDpT10_ENKUlT_T0_E_clISt17integral_constantIbLb1EES19_IbLb0EEEEDaS15_S16_EUlS15_E_NS1_11comp_targetILNS1_3genE5ELNS1_11target_archE942ELNS1_3gpuE9ELNS1_3repE0EEENS1_30default_config_static_selectorELNS0_4arch9wavefront6targetE1EEEvT1_.num_named_barrier, 0
	.set _ZN7rocprim17ROCPRIM_400000_NS6detail17trampoline_kernelINS0_14default_configENS1_25partition_config_selectorILNS1_17partition_subalgoE9EllbEEZZNS1_14partition_implILS5_9ELb0ES3_jPlS8_PNS0_10empty_typeENS0_5tupleIJS8_S9_EEENSB_IJS8_SA_EEENS0_18inequality_wrapperIZN2at6native12_GLOBAL__N_124unique_dim_cuda_templateIbEESt5tupleIJNSF_6TensorESK_SK_EERKSK_lbbbEUlllE0_EEPmJS9_EEE10hipError_tPvRmT3_T4_T5_T6_T7_T9_mT8_P12ihipStream_tbDpT10_ENKUlT_T0_E_clISt17integral_constantIbLb1EES19_IbLb0EEEEDaS15_S16_EUlS15_E_NS1_11comp_targetILNS1_3genE5ELNS1_11target_archE942ELNS1_3gpuE9ELNS1_3repE0EEENS1_30default_config_static_selectorELNS0_4arch9wavefront6targetE1EEEvT1_.private_seg_size, 0
	.set _ZN7rocprim17ROCPRIM_400000_NS6detail17trampoline_kernelINS0_14default_configENS1_25partition_config_selectorILNS1_17partition_subalgoE9EllbEEZZNS1_14partition_implILS5_9ELb0ES3_jPlS8_PNS0_10empty_typeENS0_5tupleIJS8_S9_EEENSB_IJS8_SA_EEENS0_18inequality_wrapperIZN2at6native12_GLOBAL__N_124unique_dim_cuda_templateIbEESt5tupleIJNSF_6TensorESK_SK_EERKSK_lbbbEUlllE0_EEPmJS9_EEE10hipError_tPvRmT3_T4_T5_T6_T7_T9_mT8_P12ihipStream_tbDpT10_ENKUlT_T0_E_clISt17integral_constantIbLb1EES19_IbLb0EEEEDaS15_S16_EUlS15_E_NS1_11comp_targetILNS1_3genE5ELNS1_11target_archE942ELNS1_3gpuE9ELNS1_3repE0EEENS1_30default_config_static_selectorELNS0_4arch9wavefront6targetE1EEEvT1_.uses_vcc, 0
	.set _ZN7rocprim17ROCPRIM_400000_NS6detail17trampoline_kernelINS0_14default_configENS1_25partition_config_selectorILNS1_17partition_subalgoE9EllbEEZZNS1_14partition_implILS5_9ELb0ES3_jPlS8_PNS0_10empty_typeENS0_5tupleIJS8_S9_EEENSB_IJS8_SA_EEENS0_18inequality_wrapperIZN2at6native12_GLOBAL__N_124unique_dim_cuda_templateIbEESt5tupleIJNSF_6TensorESK_SK_EERKSK_lbbbEUlllE0_EEPmJS9_EEE10hipError_tPvRmT3_T4_T5_T6_T7_T9_mT8_P12ihipStream_tbDpT10_ENKUlT_T0_E_clISt17integral_constantIbLb1EES19_IbLb0EEEEDaS15_S16_EUlS15_E_NS1_11comp_targetILNS1_3genE5ELNS1_11target_archE942ELNS1_3gpuE9ELNS1_3repE0EEENS1_30default_config_static_selectorELNS0_4arch9wavefront6targetE1EEEvT1_.uses_flat_scratch, 0
	.set _ZN7rocprim17ROCPRIM_400000_NS6detail17trampoline_kernelINS0_14default_configENS1_25partition_config_selectorILNS1_17partition_subalgoE9EllbEEZZNS1_14partition_implILS5_9ELb0ES3_jPlS8_PNS0_10empty_typeENS0_5tupleIJS8_S9_EEENSB_IJS8_SA_EEENS0_18inequality_wrapperIZN2at6native12_GLOBAL__N_124unique_dim_cuda_templateIbEESt5tupleIJNSF_6TensorESK_SK_EERKSK_lbbbEUlllE0_EEPmJS9_EEE10hipError_tPvRmT3_T4_T5_T6_T7_T9_mT8_P12ihipStream_tbDpT10_ENKUlT_T0_E_clISt17integral_constantIbLb1EES19_IbLb0EEEEDaS15_S16_EUlS15_E_NS1_11comp_targetILNS1_3genE5ELNS1_11target_archE942ELNS1_3gpuE9ELNS1_3repE0EEENS1_30default_config_static_selectorELNS0_4arch9wavefront6targetE1EEEvT1_.has_dyn_sized_stack, 0
	.set _ZN7rocprim17ROCPRIM_400000_NS6detail17trampoline_kernelINS0_14default_configENS1_25partition_config_selectorILNS1_17partition_subalgoE9EllbEEZZNS1_14partition_implILS5_9ELb0ES3_jPlS8_PNS0_10empty_typeENS0_5tupleIJS8_S9_EEENSB_IJS8_SA_EEENS0_18inequality_wrapperIZN2at6native12_GLOBAL__N_124unique_dim_cuda_templateIbEESt5tupleIJNSF_6TensorESK_SK_EERKSK_lbbbEUlllE0_EEPmJS9_EEE10hipError_tPvRmT3_T4_T5_T6_T7_T9_mT8_P12ihipStream_tbDpT10_ENKUlT_T0_E_clISt17integral_constantIbLb1EES19_IbLb0EEEEDaS15_S16_EUlS15_E_NS1_11comp_targetILNS1_3genE5ELNS1_11target_archE942ELNS1_3gpuE9ELNS1_3repE0EEENS1_30default_config_static_selectorELNS0_4arch9wavefront6targetE1EEEvT1_.has_recursion, 0
	.set _ZN7rocprim17ROCPRIM_400000_NS6detail17trampoline_kernelINS0_14default_configENS1_25partition_config_selectorILNS1_17partition_subalgoE9EllbEEZZNS1_14partition_implILS5_9ELb0ES3_jPlS8_PNS0_10empty_typeENS0_5tupleIJS8_S9_EEENSB_IJS8_SA_EEENS0_18inequality_wrapperIZN2at6native12_GLOBAL__N_124unique_dim_cuda_templateIbEESt5tupleIJNSF_6TensorESK_SK_EERKSK_lbbbEUlllE0_EEPmJS9_EEE10hipError_tPvRmT3_T4_T5_T6_T7_T9_mT8_P12ihipStream_tbDpT10_ENKUlT_T0_E_clISt17integral_constantIbLb1EES19_IbLb0EEEEDaS15_S16_EUlS15_E_NS1_11comp_targetILNS1_3genE5ELNS1_11target_archE942ELNS1_3gpuE9ELNS1_3repE0EEENS1_30default_config_static_selectorELNS0_4arch9wavefront6targetE1EEEvT1_.has_indirect_call, 0
	.section	.AMDGPU.csdata,"",@progbits
; Kernel info:
; codeLenInByte = 0
; TotalNumSgprs: 6
; NumVgprs: 0
; NumAgprs: 0
; TotalNumVgprs: 0
; ScratchSize: 0
; MemoryBound: 0
; FloatMode: 240
; IeeeMode: 1
; LDSByteSize: 0 bytes/workgroup (compile time only)
; SGPRBlocks: 0
; VGPRBlocks: 0
; NumSGPRsForWavesPerEU: 6
; NumVGPRsForWavesPerEU: 1
; AccumOffset: 4
; Occupancy: 8
; WaveLimiterHint : 0
; COMPUTE_PGM_RSRC2:SCRATCH_EN: 0
; COMPUTE_PGM_RSRC2:USER_SGPR: 2
; COMPUTE_PGM_RSRC2:TRAP_HANDLER: 0
; COMPUTE_PGM_RSRC2:TGID_X_EN: 1
; COMPUTE_PGM_RSRC2:TGID_Y_EN: 0
; COMPUTE_PGM_RSRC2:TGID_Z_EN: 0
; COMPUTE_PGM_RSRC2:TIDIG_COMP_CNT: 0
; COMPUTE_PGM_RSRC3_GFX90A:ACCUM_OFFSET: 0
; COMPUTE_PGM_RSRC3_GFX90A:TG_SPLIT: 0
	.section	.text._ZN7rocprim17ROCPRIM_400000_NS6detail17trampoline_kernelINS0_14default_configENS1_25partition_config_selectorILNS1_17partition_subalgoE9EllbEEZZNS1_14partition_implILS5_9ELb0ES3_jPlS8_PNS0_10empty_typeENS0_5tupleIJS8_S9_EEENSB_IJS8_SA_EEENS0_18inequality_wrapperIZN2at6native12_GLOBAL__N_124unique_dim_cuda_templateIbEESt5tupleIJNSF_6TensorESK_SK_EERKSK_lbbbEUlllE0_EEPmJS9_EEE10hipError_tPvRmT3_T4_T5_T6_T7_T9_mT8_P12ihipStream_tbDpT10_ENKUlT_T0_E_clISt17integral_constantIbLb1EES19_IbLb0EEEEDaS15_S16_EUlS15_E_NS1_11comp_targetILNS1_3genE4ELNS1_11target_archE910ELNS1_3gpuE8ELNS1_3repE0EEENS1_30default_config_static_selectorELNS0_4arch9wavefront6targetE1EEEvT1_,"axG",@progbits,_ZN7rocprim17ROCPRIM_400000_NS6detail17trampoline_kernelINS0_14default_configENS1_25partition_config_selectorILNS1_17partition_subalgoE9EllbEEZZNS1_14partition_implILS5_9ELb0ES3_jPlS8_PNS0_10empty_typeENS0_5tupleIJS8_S9_EEENSB_IJS8_SA_EEENS0_18inequality_wrapperIZN2at6native12_GLOBAL__N_124unique_dim_cuda_templateIbEESt5tupleIJNSF_6TensorESK_SK_EERKSK_lbbbEUlllE0_EEPmJS9_EEE10hipError_tPvRmT3_T4_T5_T6_T7_T9_mT8_P12ihipStream_tbDpT10_ENKUlT_T0_E_clISt17integral_constantIbLb1EES19_IbLb0EEEEDaS15_S16_EUlS15_E_NS1_11comp_targetILNS1_3genE4ELNS1_11target_archE910ELNS1_3gpuE8ELNS1_3repE0EEENS1_30default_config_static_selectorELNS0_4arch9wavefront6targetE1EEEvT1_,comdat
	.globl	_ZN7rocprim17ROCPRIM_400000_NS6detail17trampoline_kernelINS0_14default_configENS1_25partition_config_selectorILNS1_17partition_subalgoE9EllbEEZZNS1_14partition_implILS5_9ELb0ES3_jPlS8_PNS0_10empty_typeENS0_5tupleIJS8_S9_EEENSB_IJS8_SA_EEENS0_18inequality_wrapperIZN2at6native12_GLOBAL__N_124unique_dim_cuda_templateIbEESt5tupleIJNSF_6TensorESK_SK_EERKSK_lbbbEUlllE0_EEPmJS9_EEE10hipError_tPvRmT3_T4_T5_T6_T7_T9_mT8_P12ihipStream_tbDpT10_ENKUlT_T0_E_clISt17integral_constantIbLb1EES19_IbLb0EEEEDaS15_S16_EUlS15_E_NS1_11comp_targetILNS1_3genE4ELNS1_11target_archE910ELNS1_3gpuE8ELNS1_3repE0EEENS1_30default_config_static_selectorELNS0_4arch9wavefront6targetE1EEEvT1_ ; -- Begin function _ZN7rocprim17ROCPRIM_400000_NS6detail17trampoline_kernelINS0_14default_configENS1_25partition_config_selectorILNS1_17partition_subalgoE9EllbEEZZNS1_14partition_implILS5_9ELb0ES3_jPlS8_PNS0_10empty_typeENS0_5tupleIJS8_S9_EEENSB_IJS8_SA_EEENS0_18inequality_wrapperIZN2at6native12_GLOBAL__N_124unique_dim_cuda_templateIbEESt5tupleIJNSF_6TensorESK_SK_EERKSK_lbbbEUlllE0_EEPmJS9_EEE10hipError_tPvRmT3_T4_T5_T6_T7_T9_mT8_P12ihipStream_tbDpT10_ENKUlT_T0_E_clISt17integral_constantIbLb1EES19_IbLb0EEEEDaS15_S16_EUlS15_E_NS1_11comp_targetILNS1_3genE4ELNS1_11target_archE910ELNS1_3gpuE8ELNS1_3repE0EEENS1_30default_config_static_selectorELNS0_4arch9wavefront6targetE1EEEvT1_
	.p2align	8
	.type	_ZN7rocprim17ROCPRIM_400000_NS6detail17trampoline_kernelINS0_14default_configENS1_25partition_config_selectorILNS1_17partition_subalgoE9EllbEEZZNS1_14partition_implILS5_9ELb0ES3_jPlS8_PNS0_10empty_typeENS0_5tupleIJS8_S9_EEENSB_IJS8_SA_EEENS0_18inequality_wrapperIZN2at6native12_GLOBAL__N_124unique_dim_cuda_templateIbEESt5tupleIJNSF_6TensorESK_SK_EERKSK_lbbbEUlllE0_EEPmJS9_EEE10hipError_tPvRmT3_T4_T5_T6_T7_T9_mT8_P12ihipStream_tbDpT10_ENKUlT_T0_E_clISt17integral_constantIbLb1EES19_IbLb0EEEEDaS15_S16_EUlS15_E_NS1_11comp_targetILNS1_3genE4ELNS1_11target_archE910ELNS1_3gpuE8ELNS1_3repE0EEENS1_30default_config_static_selectorELNS0_4arch9wavefront6targetE1EEEvT1_,@function
_ZN7rocprim17ROCPRIM_400000_NS6detail17trampoline_kernelINS0_14default_configENS1_25partition_config_selectorILNS1_17partition_subalgoE9EllbEEZZNS1_14partition_implILS5_9ELb0ES3_jPlS8_PNS0_10empty_typeENS0_5tupleIJS8_S9_EEENSB_IJS8_SA_EEENS0_18inequality_wrapperIZN2at6native12_GLOBAL__N_124unique_dim_cuda_templateIbEESt5tupleIJNSF_6TensorESK_SK_EERKSK_lbbbEUlllE0_EEPmJS9_EEE10hipError_tPvRmT3_T4_T5_T6_T7_T9_mT8_P12ihipStream_tbDpT10_ENKUlT_T0_E_clISt17integral_constantIbLb1EES19_IbLb0EEEEDaS15_S16_EUlS15_E_NS1_11comp_targetILNS1_3genE4ELNS1_11target_archE910ELNS1_3gpuE8ELNS1_3repE0EEENS1_30default_config_static_selectorELNS0_4arch9wavefront6targetE1EEEvT1_: ; @_ZN7rocprim17ROCPRIM_400000_NS6detail17trampoline_kernelINS0_14default_configENS1_25partition_config_selectorILNS1_17partition_subalgoE9EllbEEZZNS1_14partition_implILS5_9ELb0ES3_jPlS8_PNS0_10empty_typeENS0_5tupleIJS8_S9_EEENSB_IJS8_SA_EEENS0_18inequality_wrapperIZN2at6native12_GLOBAL__N_124unique_dim_cuda_templateIbEESt5tupleIJNSF_6TensorESK_SK_EERKSK_lbbbEUlllE0_EEPmJS9_EEE10hipError_tPvRmT3_T4_T5_T6_T7_T9_mT8_P12ihipStream_tbDpT10_ENKUlT_T0_E_clISt17integral_constantIbLb1EES19_IbLb0EEEEDaS15_S16_EUlS15_E_NS1_11comp_targetILNS1_3genE4ELNS1_11target_archE910ELNS1_3gpuE8ELNS1_3repE0EEENS1_30default_config_static_selectorELNS0_4arch9wavefront6targetE1EEEvT1_
; %bb.0:
	.section	.rodata,"a",@progbits
	.p2align	6, 0x0
	.amdhsa_kernel _ZN7rocprim17ROCPRIM_400000_NS6detail17trampoline_kernelINS0_14default_configENS1_25partition_config_selectorILNS1_17partition_subalgoE9EllbEEZZNS1_14partition_implILS5_9ELb0ES3_jPlS8_PNS0_10empty_typeENS0_5tupleIJS8_S9_EEENSB_IJS8_SA_EEENS0_18inequality_wrapperIZN2at6native12_GLOBAL__N_124unique_dim_cuda_templateIbEESt5tupleIJNSF_6TensorESK_SK_EERKSK_lbbbEUlllE0_EEPmJS9_EEE10hipError_tPvRmT3_T4_T5_T6_T7_T9_mT8_P12ihipStream_tbDpT10_ENKUlT_T0_E_clISt17integral_constantIbLb1EES19_IbLb0EEEEDaS15_S16_EUlS15_E_NS1_11comp_targetILNS1_3genE4ELNS1_11target_archE910ELNS1_3gpuE8ELNS1_3repE0EEENS1_30default_config_static_selectorELNS0_4arch9wavefront6targetE1EEEvT1_
		.amdhsa_group_segment_fixed_size 0
		.amdhsa_private_segment_fixed_size 0
		.amdhsa_kernarg_size 120
		.amdhsa_user_sgpr_count 2
		.amdhsa_user_sgpr_dispatch_ptr 0
		.amdhsa_user_sgpr_queue_ptr 0
		.amdhsa_user_sgpr_kernarg_segment_ptr 1
		.amdhsa_user_sgpr_dispatch_id 0
		.amdhsa_user_sgpr_kernarg_preload_length 0
		.amdhsa_user_sgpr_kernarg_preload_offset 0
		.amdhsa_user_sgpr_private_segment_size 0
		.amdhsa_uses_dynamic_stack 0
		.amdhsa_enable_private_segment 0
		.amdhsa_system_sgpr_workgroup_id_x 1
		.amdhsa_system_sgpr_workgroup_id_y 0
		.amdhsa_system_sgpr_workgroup_id_z 0
		.amdhsa_system_sgpr_workgroup_info 0
		.amdhsa_system_vgpr_workitem_id 0
		.amdhsa_next_free_vgpr 1
		.amdhsa_next_free_sgpr 0
		.amdhsa_accum_offset 4
		.amdhsa_reserve_vcc 0
		.amdhsa_float_round_mode_32 0
		.amdhsa_float_round_mode_16_64 0
		.amdhsa_float_denorm_mode_32 3
		.amdhsa_float_denorm_mode_16_64 3
		.amdhsa_dx10_clamp 1
		.amdhsa_ieee_mode 1
		.amdhsa_fp16_overflow 0
		.amdhsa_tg_split 0
		.amdhsa_exception_fp_ieee_invalid_op 0
		.amdhsa_exception_fp_denorm_src 0
		.amdhsa_exception_fp_ieee_div_zero 0
		.amdhsa_exception_fp_ieee_overflow 0
		.amdhsa_exception_fp_ieee_underflow 0
		.amdhsa_exception_fp_ieee_inexact 0
		.amdhsa_exception_int_div_zero 0
	.end_amdhsa_kernel
	.section	.text._ZN7rocprim17ROCPRIM_400000_NS6detail17trampoline_kernelINS0_14default_configENS1_25partition_config_selectorILNS1_17partition_subalgoE9EllbEEZZNS1_14partition_implILS5_9ELb0ES3_jPlS8_PNS0_10empty_typeENS0_5tupleIJS8_S9_EEENSB_IJS8_SA_EEENS0_18inequality_wrapperIZN2at6native12_GLOBAL__N_124unique_dim_cuda_templateIbEESt5tupleIJNSF_6TensorESK_SK_EERKSK_lbbbEUlllE0_EEPmJS9_EEE10hipError_tPvRmT3_T4_T5_T6_T7_T9_mT8_P12ihipStream_tbDpT10_ENKUlT_T0_E_clISt17integral_constantIbLb1EES19_IbLb0EEEEDaS15_S16_EUlS15_E_NS1_11comp_targetILNS1_3genE4ELNS1_11target_archE910ELNS1_3gpuE8ELNS1_3repE0EEENS1_30default_config_static_selectorELNS0_4arch9wavefront6targetE1EEEvT1_,"axG",@progbits,_ZN7rocprim17ROCPRIM_400000_NS6detail17trampoline_kernelINS0_14default_configENS1_25partition_config_selectorILNS1_17partition_subalgoE9EllbEEZZNS1_14partition_implILS5_9ELb0ES3_jPlS8_PNS0_10empty_typeENS0_5tupleIJS8_S9_EEENSB_IJS8_SA_EEENS0_18inequality_wrapperIZN2at6native12_GLOBAL__N_124unique_dim_cuda_templateIbEESt5tupleIJNSF_6TensorESK_SK_EERKSK_lbbbEUlllE0_EEPmJS9_EEE10hipError_tPvRmT3_T4_T5_T6_T7_T9_mT8_P12ihipStream_tbDpT10_ENKUlT_T0_E_clISt17integral_constantIbLb1EES19_IbLb0EEEEDaS15_S16_EUlS15_E_NS1_11comp_targetILNS1_3genE4ELNS1_11target_archE910ELNS1_3gpuE8ELNS1_3repE0EEENS1_30default_config_static_selectorELNS0_4arch9wavefront6targetE1EEEvT1_,comdat
.Lfunc_end1101:
	.size	_ZN7rocprim17ROCPRIM_400000_NS6detail17trampoline_kernelINS0_14default_configENS1_25partition_config_selectorILNS1_17partition_subalgoE9EllbEEZZNS1_14partition_implILS5_9ELb0ES3_jPlS8_PNS0_10empty_typeENS0_5tupleIJS8_S9_EEENSB_IJS8_SA_EEENS0_18inequality_wrapperIZN2at6native12_GLOBAL__N_124unique_dim_cuda_templateIbEESt5tupleIJNSF_6TensorESK_SK_EERKSK_lbbbEUlllE0_EEPmJS9_EEE10hipError_tPvRmT3_T4_T5_T6_T7_T9_mT8_P12ihipStream_tbDpT10_ENKUlT_T0_E_clISt17integral_constantIbLb1EES19_IbLb0EEEEDaS15_S16_EUlS15_E_NS1_11comp_targetILNS1_3genE4ELNS1_11target_archE910ELNS1_3gpuE8ELNS1_3repE0EEENS1_30default_config_static_selectorELNS0_4arch9wavefront6targetE1EEEvT1_, .Lfunc_end1101-_ZN7rocprim17ROCPRIM_400000_NS6detail17trampoline_kernelINS0_14default_configENS1_25partition_config_selectorILNS1_17partition_subalgoE9EllbEEZZNS1_14partition_implILS5_9ELb0ES3_jPlS8_PNS0_10empty_typeENS0_5tupleIJS8_S9_EEENSB_IJS8_SA_EEENS0_18inequality_wrapperIZN2at6native12_GLOBAL__N_124unique_dim_cuda_templateIbEESt5tupleIJNSF_6TensorESK_SK_EERKSK_lbbbEUlllE0_EEPmJS9_EEE10hipError_tPvRmT3_T4_T5_T6_T7_T9_mT8_P12ihipStream_tbDpT10_ENKUlT_T0_E_clISt17integral_constantIbLb1EES19_IbLb0EEEEDaS15_S16_EUlS15_E_NS1_11comp_targetILNS1_3genE4ELNS1_11target_archE910ELNS1_3gpuE8ELNS1_3repE0EEENS1_30default_config_static_selectorELNS0_4arch9wavefront6targetE1EEEvT1_
                                        ; -- End function
	.set _ZN7rocprim17ROCPRIM_400000_NS6detail17trampoline_kernelINS0_14default_configENS1_25partition_config_selectorILNS1_17partition_subalgoE9EllbEEZZNS1_14partition_implILS5_9ELb0ES3_jPlS8_PNS0_10empty_typeENS0_5tupleIJS8_S9_EEENSB_IJS8_SA_EEENS0_18inequality_wrapperIZN2at6native12_GLOBAL__N_124unique_dim_cuda_templateIbEESt5tupleIJNSF_6TensorESK_SK_EERKSK_lbbbEUlllE0_EEPmJS9_EEE10hipError_tPvRmT3_T4_T5_T6_T7_T9_mT8_P12ihipStream_tbDpT10_ENKUlT_T0_E_clISt17integral_constantIbLb1EES19_IbLb0EEEEDaS15_S16_EUlS15_E_NS1_11comp_targetILNS1_3genE4ELNS1_11target_archE910ELNS1_3gpuE8ELNS1_3repE0EEENS1_30default_config_static_selectorELNS0_4arch9wavefront6targetE1EEEvT1_.num_vgpr, 0
	.set _ZN7rocprim17ROCPRIM_400000_NS6detail17trampoline_kernelINS0_14default_configENS1_25partition_config_selectorILNS1_17partition_subalgoE9EllbEEZZNS1_14partition_implILS5_9ELb0ES3_jPlS8_PNS0_10empty_typeENS0_5tupleIJS8_S9_EEENSB_IJS8_SA_EEENS0_18inequality_wrapperIZN2at6native12_GLOBAL__N_124unique_dim_cuda_templateIbEESt5tupleIJNSF_6TensorESK_SK_EERKSK_lbbbEUlllE0_EEPmJS9_EEE10hipError_tPvRmT3_T4_T5_T6_T7_T9_mT8_P12ihipStream_tbDpT10_ENKUlT_T0_E_clISt17integral_constantIbLb1EES19_IbLb0EEEEDaS15_S16_EUlS15_E_NS1_11comp_targetILNS1_3genE4ELNS1_11target_archE910ELNS1_3gpuE8ELNS1_3repE0EEENS1_30default_config_static_selectorELNS0_4arch9wavefront6targetE1EEEvT1_.num_agpr, 0
	.set _ZN7rocprim17ROCPRIM_400000_NS6detail17trampoline_kernelINS0_14default_configENS1_25partition_config_selectorILNS1_17partition_subalgoE9EllbEEZZNS1_14partition_implILS5_9ELb0ES3_jPlS8_PNS0_10empty_typeENS0_5tupleIJS8_S9_EEENSB_IJS8_SA_EEENS0_18inequality_wrapperIZN2at6native12_GLOBAL__N_124unique_dim_cuda_templateIbEESt5tupleIJNSF_6TensorESK_SK_EERKSK_lbbbEUlllE0_EEPmJS9_EEE10hipError_tPvRmT3_T4_T5_T6_T7_T9_mT8_P12ihipStream_tbDpT10_ENKUlT_T0_E_clISt17integral_constantIbLb1EES19_IbLb0EEEEDaS15_S16_EUlS15_E_NS1_11comp_targetILNS1_3genE4ELNS1_11target_archE910ELNS1_3gpuE8ELNS1_3repE0EEENS1_30default_config_static_selectorELNS0_4arch9wavefront6targetE1EEEvT1_.numbered_sgpr, 0
	.set _ZN7rocprim17ROCPRIM_400000_NS6detail17trampoline_kernelINS0_14default_configENS1_25partition_config_selectorILNS1_17partition_subalgoE9EllbEEZZNS1_14partition_implILS5_9ELb0ES3_jPlS8_PNS0_10empty_typeENS0_5tupleIJS8_S9_EEENSB_IJS8_SA_EEENS0_18inequality_wrapperIZN2at6native12_GLOBAL__N_124unique_dim_cuda_templateIbEESt5tupleIJNSF_6TensorESK_SK_EERKSK_lbbbEUlllE0_EEPmJS9_EEE10hipError_tPvRmT3_T4_T5_T6_T7_T9_mT8_P12ihipStream_tbDpT10_ENKUlT_T0_E_clISt17integral_constantIbLb1EES19_IbLb0EEEEDaS15_S16_EUlS15_E_NS1_11comp_targetILNS1_3genE4ELNS1_11target_archE910ELNS1_3gpuE8ELNS1_3repE0EEENS1_30default_config_static_selectorELNS0_4arch9wavefront6targetE1EEEvT1_.num_named_barrier, 0
	.set _ZN7rocprim17ROCPRIM_400000_NS6detail17trampoline_kernelINS0_14default_configENS1_25partition_config_selectorILNS1_17partition_subalgoE9EllbEEZZNS1_14partition_implILS5_9ELb0ES3_jPlS8_PNS0_10empty_typeENS0_5tupleIJS8_S9_EEENSB_IJS8_SA_EEENS0_18inequality_wrapperIZN2at6native12_GLOBAL__N_124unique_dim_cuda_templateIbEESt5tupleIJNSF_6TensorESK_SK_EERKSK_lbbbEUlllE0_EEPmJS9_EEE10hipError_tPvRmT3_T4_T5_T6_T7_T9_mT8_P12ihipStream_tbDpT10_ENKUlT_T0_E_clISt17integral_constantIbLb1EES19_IbLb0EEEEDaS15_S16_EUlS15_E_NS1_11comp_targetILNS1_3genE4ELNS1_11target_archE910ELNS1_3gpuE8ELNS1_3repE0EEENS1_30default_config_static_selectorELNS0_4arch9wavefront6targetE1EEEvT1_.private_seg_size, 0
	.set _ZN7rocprim17ROCPRIM_400000_NS6detail17trampoline_kernelINS0_14default_configENS1_25partition_config_selectorILNS1_17partition_subalgoE9EllbEEZZNS1_14partition_implILS5_9ELb0ES3_jPlS8_PNS0_10empty_typeENS0_5tupleIJS8_S9_EEENSB_IJS8_SA_EEENS0_18inequality_wrapperIZN2at6native12_GLOBAL__N_124unique_dim_cuda_templateIbEESt5tupleIJNSF_6TensorESK_SK_EERKSK_lbbbEUlllE0_EEPmJS9_EEE10hipError_tPvRmT3_T4_T5_T6_T7_T9_mT8_P12ihipStream_tbDpT10_ENKUlT_T0_E_clISt17integral_constantIbLb1EES19_IbLb0EEEEDaS15_S16_EUlS15_E_NS1_11comp_targetILNS1_3genE4ELNS1_11target_archE910ELNS1_3gpuE8ELNS1_3repE0EEENS1_30default_config_static_selectorELNS0_4arch9wavefront6targetE1EEEvT1_.uses_vcc, 0
	.set _ZN7rocprim17ROCPRIM_400000_NS6detail17trampoline_kernelINS0_14default_configENS1_25partition_config_selectorILNS1_17partition_subalgoE9EllbEEZZNS1_14partition_implILS5_9ELb0ES3_jPlS8_PNS0_10empty_typeENS0_5tupleIJS8_S9_EEENSB_IJS8_SA_EEENS0_18inequality_wrapperIZN2at6native12_GLOBAL__N_124unique_dim_cuda_templateIbEESt5tupleIJNSF_6TensorESK_SK_EERKSK_lbbbEUlllE0_EEPmJS9_EEE10hipError_tPvRmT3_T4_T5_T6_T7_T9_mT8_P12ihipStream_tbDpT10_ENKUlT_T0_E_clISt17integral_constantIbLb1EES19_IbLb0EEEEDaS15_S16_EUlS15_E_NS1_11comp_targetILNS1_3genE4ELNS1_11target_archE910ELNS1_3gpuE8ELNS1_3repE0EEENS1_30default_config_static_selectorELNS0_4arch9wavefront6targetE1EEEvT1_.uses_flat_scratch, 0
	.set _ZN7rocprim17ROCPRIM_400000_NS6detail17trampoline_kernelINS0_14default_configENS1_25partition_config_selectorILNS1_17partition_subalgoE9EllbEEZZNS1_14partition_implILS5_9ELb0ES3_jPlS8_PNS0_10empty_typeENS0_5tupleIJS8_S9_EEENSB_IJS8_SA_EEENS0_18inequality_wrapperIZN2at6native12_GLOBAL__N_124unique_dim_cuda_templateIbEESt5tupleIJNSF_6TensorESK_SK_EERKSK_lbbbEUlllE0_EEPmJS9_EEE10hipError_tPvRmT3_T4_T5_T6_T7_T9_mT8_P12ihipStream_tbDpT10_ENKUlT_T0_E_clISt17integral_constantIbLb1EES19_IbLb0EEEEDaS15_S16_EUlS15_E_NS1_11comp_targetILNS1_3genE4ELNS1_11target_archE910ELNS1_3gpuE8ELNS1_3repE0EEENS1_30default_config_static_selectorELNS0_4arch9wavefront6targetE1EEEvT1_.has_dyn_sized_stack, 0
	.set _ZN7rocprim17ROCPRIM_400000_NS6detail17trampoline_kernelINS0_14default_configENS1_25partition_config_selectorILNS1_17partition_subalgoE9EllbEEZZNS1_14partition_implILS5_9ELb0ES3_jPlS8_PNS0_10empty_typeENS0_5tupleIJS8_S9_EEENSB_IJS8_SA_EEENS0_18inequality_wrapperIZN2at6native12_GLOBAL__N_124unique_dim_cuda_templateIbEESt5tupleIJNSF_6TensorESK_SK_EERKSK_lbbbEUlllE0_EEPmJS9_EEE10hipError_tPvRmT3_T4_T5_T6_T7_T9_mT8_P12ihipStream_tbDpT10_ENKUlT_T0_E_clISt17integral_constantIbLb1EES19_IbLb0EEEEDaS15_S16_EUlS15_E_NS1_11comp_targetILNS1_3genE4ELNS1_11target_archE910ELNS1_3gpuE8ELNS1_3repE0EEENS1_30default_config_static_selectorELNS0_4arch9wavefront6targetE1EEEvT1_.has_recursion, 0
	.set _ZN7rocprim17ROCPRIM_400000_NS6detail17trampoline_kernelINS0_14default_configENS1_25partition_config_selectorILNS1_17partition_subalgoE9EllbEEZZNS1_14partition_implILS5_9ELb0ES3_jPlS8_PNS0_10empty_typeENS0_5tupleIJS8_S9_EEENSB_IJS8_SA_EEENS0_18inequality_wrapperIZN2at6native12_GLOBAL__N_124unique_dim_cuda_templateIbEESt5tupleIJNSF_6TensorESK_SK_EERKSK_lbbbEUlllE0_EEPmJS9_EEE10hipError_tPvRmT3_T4_T5_T6_T7_T9_mT8_P12ihipStream_tbDpT10_ENKUlT_T0_E_clISt17integral_constantIbLb1EES19_IbLb0EEEEDaS15_S16_EUlS15_E_NS1_11comp_targetILNS1_3genE4ELNS1_11target_archE910ELNS1_3gpuE8ELNS1_3repE0EEENS1_30default_config_static_selectorELNS0_4arch9wavefront6targetE1EEEvT1_.has_indirect_call, 0
	.section	.AMDGPU.csdata,"",@progbits
; Kernel info:
; codeLenInByte = 0
; TotalNumSgprs: 6
; NumVgprs: 0
; NumAgprs: 0
; TotalNumVgprs: 0
; ScratchSize: 0
; MemoryBound: 0
; FloatMode: 240
; IeeeMode: 1
; LDSByteSize: 0 bytes/workgroup (compile time only)
; SGPRBlocks: 0
; VGPRBlocks: 0
; NumSGPRsForWavesPerEU: 6
; NumVGPRsForWavesPerEU: 1
; AccumOffset: 4
; Occupancy: 8
; WaveLimiterHint : 0
; COMPUTE_PGM_RSRC2:SCRATCH_EN: 0
; COMPUTE_PGM_RSRC2:USER_SGPR: 2
; COMPUTE_PGM_RSRC2:TRAP_HANDLER: 0
; COMPUTE_PGM_RSRC2:TGID_X_EN: 1
; COMPUTE_PGM_RSRC2:TGID_Y_EN: 0
; COMPUTE_PGM_RSRC2:TGID_Z_EN: 0
; COMPUTE_PGM_RSRC2:TIDIG_COMP_CNT: 0
; COMPUTE_PGM_RSRC3_GFX90A:ACCUM_OFFSET: 0
; COMPUTE_PGM_RSRC3_GFX90A:TG_SPLIT: 0
	.section	.text._ZN7rocprim17ROCPRIM_400000_NS6detail17trampoline_kernelINS0_14default_configENS1_25partition_config_selectorILNS1_17partition_subalgoE9EllbEEZZNS1_14partition_implILS5_9ELb0ES3_jPlS8_PNS0_10empty_typeENS0_5tupleIJS8_S9_EEENSB_IJS8_SA_EEENS0_18inequality_wrapperIZN2at6native12_GLOBAL__N_124unique_dim_cuda_templateIbEESt5tupleIJNSF_6TensorESK_SK_EERKSK_lbbbEUlllE0_EEPmJS9_EEE10hipError_tPvRmT3_T4_T5_T6_T7_T9_mT8_P12ihipStream_tbDpT10_ENKUlT_T0_E_clISt17integral_constantIbLb1EES19_IbLb0EEEEDaS15_S16_EUlS15_E_NS1_11comp_targetILNS1_3genE3ELNS1_11target_archE908ELNS1_3gpuE7ELNS1_3repE0EEENS1_30default_config_static_selectorELNS0_4arch9wavefront6targetE1EEEvT1_,"axG",@progbits,_ZN7rocprim17ROCPRIM_400000_NS6detail17trampoline_kernelINS0_14default_configENS1_25partition_config_selectorILNS1_17partition_subalgoE9EllbEEZZNS1_14partition_implILS5_9ELb0ES3_jPlS8_PNS0_10empty_typeENS0_5tupleIJS8_S9_EEENSB_IJS8_SA_EEENS0_18inequality_wrapperIZN2at6native12_GLOBAL__N_124unique_dim_cuda_templateIbEESt5tupleIJNSF_6TensorESK_SK_EERKSK_lbbbEUlllE0_EEPmJS9_EEE10hipError_tPvRmT3_T4_T5_T6_T7_T9_mT8_P12ihipStream_tbDpT10_ENKUlT_T0_E_clISt17integral_constantIbLb1EES19_IbLb0EEEEDaS15_S16_EUlS15_E_NS1_11comp_targetILNS1_3genE3ELNS1_11target_archE908ELNS1_3gpuE7ELNS1_3repE0EEENS1_30default_config_static_selectorELNS0_4arch9wavefront6targetE1EEEvT1_,comdat
	.globl	_ZN7rocprim17ROCPRIM_400000_NS6detail17trampoline_kernelINS0_14default_configENS1_25partition_config_selectorILNS1_17partition_subalgoE9EllbEEZZNS1_14partition_implILS5_9ELb0ES3_jPlS8_PNS0_10empty_typeENS0_5tupleIJS8_S9_EEENSB_IJS8_SA_EEENS0_18inequality_wrapperIZN2at6native12_GLOBAL__N_124unique_dim_cuda_templateIbEESt5tupleIJNSF_6TensorESK_SK_EERKSK_lbbbEUlllE0_EEPmJS9_EEE10hipError_tPvRmT3_T4_T5_T6_T7_T9_mT8_P12ihipStream_tbDpT10_ENKUlT_T0_E_clISt17integral_constantIbLb1EES19_IbLb0EEEEDaS15_S16_EUlS15_E_NS1_11comp_targetILNS1_3genE3ELNS1_11target_archE908ELNS1_3gpuE7ELNS1_3repE0EEENS1_30default_config_static_selectorELNS0_4arch9wavefront6targetE1EEEvT1_ ; -- Begin function _ZN7rocprim17ROCPRIM_400000_NS6detail17trampoline_kernelINS0_14default_configENS1_25partition_config_selectorILNS1_17partition_subalgoE9EllbEEZZNS1_14partition_implILS5_9ELb0ES3_jPlS8_PNS0_10empty_typeENS0_5tupleIJS8_S9_EEENSB_IJS8_SA_EEENS0_18inequality_wrapperIZN2at6native12_GLOBAL__N_124unique_dim_cuda_templateIbEESt5tupleIJNSF_6TensorESK_SK_EERKSK_lbbbEUlllE0_EEPmJS9_EEE10hipError_tPvRmT3_T4_T5_T6_T7_T9_mT8_P12ihipStream_tbDpT10_ENKUlT_T0_E_clISt17integral_constantIbLb1EES19_IbLb0EEEEDaS15_S16_EUlS15_E_NS1_11comp_targetILNS1_3genE3ELNS1_11target_archE908ELNS1_3gpuE7ELNS1_3repE0EEENS1_30default_config_static_selectorELNS0_4arch9wavefront6targetE1EEEvT1_
	.p2align	8
	.type	_ZN7rocprim17ROCPRIM_400000_NS6detail17trampoline_kernelINS0_14default_configENS1_25partition_config_selectorILNS1_17partition_subalgoE9EllbEEZZNS1_14partition_implILS5_9ELb0ES3_jPlS8_PNS0_10empty_typeENS0_5tupleIJS8_S9_EEENSB_IJS8_SA_EEENS0_18inequality_wrapperIZN2at6native12_GLOBAL__N_124unique_dim_cuda_templateIbEESt5tupleIJNSF_6TensorESK_SK_EERKSK_lbbbEUlllE0_EEPmJS9_EEE10hipError_tPvRmT3_T4_T5_T6_T7_T9_mT8_P12ihipStream_tbDpT10_ENKUlT_T0_E_clISt17integral_constantIbLb1EES19_IbLb0EEEEDaS15_S16_EUlS15_E_NS1_11comp_targetILNS1_3genE3ELNS1_11target_archE908ELNS1_3gpuE7ELNS1_3repE0EEENS1_30default_config_static_selectorELNS0_4arch9wavefront6targetE1EEEvT1_,@function
_ZN7rocprim17ROCPRIM_400000_NS6detail17trampoline_kernelINS0_14default_configENS1_25partition_config_selectorILNS1_17partition_subalgoE9EllbEEZZNS1_14partition_implILS5_9ELb0ES3_jPlS8_PNS0_10empty_typeENS0_5tupleIJS8_S9_EEENSB_IJS8_SA_EEENS0_18inequality_wrapperIZN2at6native12_GLOBAL__N_124unique_dim_cuda_templateIbEESt5tupleIJNSF_6TensorESK_SK_EERKSK_lbbbEUlllE0_EEPmJS9_EEE10hipError_tPvRmT3_T4_T5_T6_T7_T9_mT8_P12ihipStream_tbDpT10_ENKUlT_T0_E_clISt17integral_constantIbLb1EES19_IbLb0EEEEDaS15_S16_EUlS15_E_NS1_11comp_targetILNS1_3genE3ELNS1_11target_archE908ELNS1_3gpuE7ELNS1_3repE0EEENS1_30default_config_static_selectorELNS0_4arch9wavefront6targetE1EEEvT1_: ; @_ZN7rocprim17ROCPRIM_400000_NS6detail17trampoline_kernelINS0_14default_configENS1_25partition_config_selectorILNS1_17partition_subalgoE9EllbEEZZNS1_14partition_implILS5_9ELb0ES3_jPlS8_PNS0_10empty_typeENS0_5tupleIJS8_S9_EEENSB_IJS8_SA_EEENS0_18inequality_wrapperIZN2at6native12_GLOBAL__N_124unique_dim_cuda_templateIbEESt5tupleIJNSF_6TensorESK_SK_EERKSK_lbbbEUlllE0_EEPmJS9_EEE10hipError_tPvRmT3_T4_T5_T6_T7_T9_mT8_P12ihipStream_tbDpT10_ENKUlT_T0_E_clISt17integral_constantIbLb1EES19_IbLb0EEEEDaS15_S16_EUlS15_E_NS1_11comp_targetILNS1_3genE3ELNS1_11target_archE908ELNS1_3gpuE7ELNS1_3repE0EEENS1_30default_config_static_selectorELNS0_4arch9wavefront6targetE1EEEvT1_
; %bb.0:
	.section	.rodata,"a",@progbits
	.p2align	6, 0x0
	.amdhsa_kernel _ZN7rocprim17ROCPRIM_400000_NS6detail17trampoline_kernelINS0_14default_configENS1_25partition_config_selectorILNS1_17partition_subalgoE9EllbEEZZNS1_14partition_implILS5_9ELb0ES3_jPlS8_PNS0_10empty_typeENS0_5tupleIJS8_S9_EEENSB_IJS8_SA_EEENS0_18inequality_wrapperIZN2at6native12_GLOBAL__N_124unique_dim_cuda_templateIbEESt5tupleIJNSF_6TensorESK_SK_EERKSK_lbbbEUlllE0_EEPmJS9_EEE10hipError_tPvRmT3_T4_T5_T6_T7_T9_mT8_P12ihipStream_tbDpT10_ENKUlT_T0_E_clISt17integral_constantIbLb1EES19_IbLb0EEEEDaS15_S16_EUlS15_E_NS1_11comp_targetILNS1_3genE3ELNS1_11target_archE908ELNS1_3gpuE7ELNS1_3repE0EEENS1_30default_config_static_selectorELNS0_4arch9wavefront6targetE1EEEvT1_
		.amdhsa_group_segment_fixed_size 0
		.amdhsa_private_segment_fixed_size 0
		.amdhsa_kernarg_size 120
		.amdhsa_user_sgpr_count 2
		.amdhsa_user_sgpr_dispatch_ptr 0
		.amdhsa_user_sgpr_queue_ptr 0
		.amdhsa_user_sgpr_kernarg_segment_ptr 1
		.amdhsa_user_sgpr_dispatch_id 0
		.amdhsa_user_sgpr_kernarg_preload_length 0
		.amdhsa_user_sgpr_kernarg_preload_offset 0
		.amdhsa_user_sgpr_private_segment_size 0
		.amdhsa_uses_dynamic_stack 0
		.amdhsa_enable_private_segment 0
		.amdhsa_system_sgpr_workgroup_id_x 1
		.amdhsa_system_sgpr_workgroup_id_y 0
		.amdhsa_system_sgpr_workgroup_id_z 0
		.amdhsa_system_sgpr_workgroup_info 0
		.amdhsa_system_vgpr_workitem_id 0
		.amdhsa_next_free_vgpr 1
		.amdhsa_next_free_sgpr 0
		.amdhsa_accum_offset 4
		.amdhsa_reserve_vcc 0
		.amdhsa_float_round_mode_32 0
		.amdhsa_float_round_mode_16_64 0
		.amdhsa_float_denorm_mode_32 3
		.amdhsa_float_denorm_mode_16_64 3
		.amdhsa_dx10_clamp 1
		.amdhsa_ieee_mode 1
		.amdhsa_fp16_overflow 0
		.amdhsa_tg_split 0
		.amdhsa_exception_fp_ieee_invalid_op 0
		.amdhsa_exception_fp_denorm_src 0
		.amdhsa_exception_fp_ieee_div_zero 0
		.amdhsa_exception_fp_ieee_overflow 0
		.amdhsa_exception_fp_ieee_underflow 0
		.amdhsa_exception_fp_ieee_inexact 0
		.amdhsa_exception_int_div_zero 0
	.end_amdhsa_kernel
	.section	.text._ZN7rocprim17ROCPRIM_400000_NS6detail17trampoline_kernelINS0_14default_configENS1_25partition_config_selectorILNS1_17partition_subalgoE9EllbEEZZNS1_14partition_implILS5_9ELb0ES3_jPlS8_PNS0_10empty_typeENS0_5tupleIJS8_S9_EEENSB_IJS8_SA_EEENS0_18inequality_wrapperIZN2at6native12_GLOBAL__N_124unique_dim_cuda_templateIbEESt5tupleIJNSF_6TensorESK_SK_EERKSK_lbbbEUlllE0_EEPmJS9_EEE10hipError_tPvRmT3_T4_T5_T6_T7_T9_mT8_P12ihipStream_tbDpT10_ENKUlT_T0_E_clISt17integral_constantIbLb1EES19_IbLb0EEEEDaS15_S16_EUlS15_E_NS1_11comp_targetILNS1_3genE3ELNS1_11target_archE908ELNS1_3gpuE7ELNS1_3repE0EEENS1_30default_config_static_selectorELNS0_4arch9wavefront6targetE1EEEvT1_,"axG",@progbits,_ZN7rocprim17ROCPRIM_400000_NS6detail17trampoline_kernelINS0_14default_configENS1_25partition_config_selectorILNS1_17partition_subalgoE9EllbEEZZNS1_14partition_implILS5_9ELb0ES3_jPlS8_PNS0_10empty_typeENS0_5tupleIJS8_S9_EEENSB_IJS8_SA_EEENS0_18inequality_wrapperIZN2at6native12_GLOBAL__N_124unique_dim_cuda_templateIbEESt5tupleIJNSF_6TensorESK_SK_EERKSK_lbbbEUlllE0_EEPmJS9_EEE10hipError_tPvRmT3_T4_T5_T6_T7_T9_mT8_P12ihipStream_tbDpT10_ENKUlT_T0_E_clISt17integral_constantIbLb1EES19_IbLb0EEEEDaS15_S16_EUlS15_E_NS1_11comp_targetILNS1_3genE3ELNS1_11target_archE908ELNS1_3gpuE7ELNS1_3repE0EEENS1_30default_config_static_selectorELNS0_4arch9wavefront6targetE1EEEvT1_,comdat
.Lfunc_end1102:
	.size	_ZN7rocprim17ROCPRIM_400000_NS6detail17trampoline_kernelINS0_14default_configENS1_25partition_config_selectorILNS1_17partition_subalgoE9EllbEEZZNS1_14partition_implILS5_9ELb0ES3_jPlS8_PNS0_10empty_typeENS0_5tupleIJS8_S9_EEENSB_IJS8_SA_EEENS0_18inequality_wrapperIZN2at6native12_GLOBAL__N_124unique_dim_cuda_templateIbEESt5tupleIJNSF_6TensorESK_SK_EERKSK_lbbbEUlllE0_EEPmJS9_EEE10hipError_tPvRmT3_T4_T5_T6_T7_T9_mT8_P12ihipStream_tbDpT10_ENKUlT_T0_E_clISt17integral_constantIbLb1EES19_IbLb0EEEEDaS15_S16_EUlS15_E_NS1_11comp_targetILNS1_3genE3ELNS1_11target_archE908ELNS1_3gpuE7ELNS1_3repE0EEENS1_30default_config_static_selectorELNS0_4arch9wavefront6targetE1EEEvT1_, .Lfunc_end1102-_ZN7rocprim17ROCPRIM_400000_NS6detail17trampoline_kernelINS0_14default_configENS1_25partition_config_selectorILNS1_17partition_subalgoE9EllbEEZZNS1_14partition_implILS5_9ELb0ES3_jPlS8_PNS0_10empty_typeENS0_5tupleIJS8_S9_EEENSB_IJS8_SA_EEENS0_18inequality_wrapperIZN2at6native12_GLOBAL__N_124unique_dim_cuda_templateIbEESt5tupleIJNSF_6TensorESK_SK_EERKSK_lbbbEUlllE0_EEPmJS9_EEE10hipError_tPvRmT3_T4_T5_T6_T7_T9_mT8_P12ihipStream_tbDpT10_ENKUlT_T0_E_clISt17integral_constantIbLb1EES19_IbLb0EEEEDaS15_S16_EUlS15_E_NS1_11comp_targetILNS1_3genE3ELNS1_11target_archE908ELNS1_3gpuE7ELNS1_3repE0EEENS1_30default_config_static_selectorELNS0_4arch9wavefront6targetE1EEEvT1_
                                        ; -- End function
	.set _ZN7rocprim17ROCPRIM_400000_NS6detail17trampoline_kernelINS0_14default_configENS1_25partition_config_selectorILNS1_17partition_subalgoE9EllbEEZZNS1_14partition_implILS5_9ELb0ES3_jPlS8_PNS0_10empty_typeENS0_5tupleIJS8_S9_EEENSB_IJS8_SA_EEENS0_18inequality_wrapperIZN2at6native12_GLOBAL__N_124unique_dim_cuda_templateIbEESt5tupleIJNSF_6TensorESK_SK_EERKSK_lbbbEUlllE0_EEPmJS9_EEE10hipError_tPvRmT3_T4_T5_T6_T7_T9_mT8_P12ihipStream_tbDpT10_ENKUlT_T0_E_clISt17integral_constantIbLb1EES19_IbLb0EEEEDaS15_S16_EUlS15_E_NS1_11comp_targetILNS1_3genE3ELNS1_11target_archE908ELNS1_3gpuE7ELNS1_3repE0EEENS1_30default_config_static_selectorELNS0_4arch9wavefront6targetE1EEEvT1_.num_vgpr, 0
	.set _ZN7rocprim17ROCPRIM_400000_NS6detail17trampoline_kernelINS0_14default_configENS1_25partition_config_selectorILNS1_17partition_subalgoE9EllbEEZZNS1_14partition_implILS5_9ELb0ES3_jPlS8_PNS0_10empty_typeENS0_5tupleIJS8_S9_EEENSB_IJS8_SA_EEENS0_18inequality_wrapperIZN2at6native12_GLOBAL__N_124unique_dim_cuda_templateIbEESt5tupleIJNSF_6TensorESK_SK_EERKSK_lbbbEUlllE0_EEPmJS9_EEE10hipError_tPvRmT3_T4_T5_T6_T7_T9_mT8_P12ihipStream_tbDpT10_ENKUlT_T0_E_clISt17integral_constantIbLb1EES19_IbLb0EEEEDaS15_S16_EUlS15_E_NS1_11comp_targetILNS1_3genE3ELNS1_11target_archE908ELNS1_3gpuE7ELNS1_3repE0EEENS1_30default_config_static_selectorELNS0_4arch9wavefront6targetE1EEEvT1_.num_agpr, 0
	.set _ZN7rocprim17ROCPRIM_400000_NS6detail17trampoline_kernelINS0_14default_configENS1_25partition_config_selectorILNS1_17partition_subalgoE9EllbEEZZNS1_14partition_implILS5_9ELb0ES3_jPlS8_PNS0_10empty_typeENS0_5tupleIJS8_S9_EEENSB_IJS8_SA_EEENS0_18inequality_wrapperIZN2at6native12_GLOBAL__N_124unique_dim_cuda_templateIbEESt5tupleIJNSF_6TensorESK_SK_EERKSK_lbbbEUlllE0_EEPmJS9_EEE10hipError_tPvRmT3_T4_T5_T6_T7_T9_mT8_P12ihipStream_tbDpT10_ENKUlT_T0_E_clISt17integral_constantIbLb1EES19_IbLb0EEEEDaS15_S16_EUlS15_E_NS1_11comp_targetILNS1_3genE3ELNS1_11target_archE908ELNS1_3gpuE7ELNS1_3repE0EEENS1_30default_config_static_selectorELNS0_4arch9wavefront6targetE1EEEvT1_.numbered_sgpr, 0
	.set _ZN7rocprim17ROCPRIM_400000_NS6detail17trampoline_kernelINS0_14default_configENS1_25partition_config_selectorILNS1_17partition_subalgoE9EllbEEZZNS1_14partition_implILS5_9ELb0ES3_jPlS8_PNS0_10empty_typeENS0_5tupleIJS8_S9_EEENSB_IJS8_SA_EEENS0_18inequality_wrapperIZN2at6native12_GLOBAL__N_124unique_dim_cuda_templateIbEESt5tupleIJNSF_6TensorESK_SK_EERKSK_lbbbEUlllE0_EEPmJS9_EEE10hipError_tPvRmT3_T4_T5_T6_T7_T9_mT8_P12ihipStream_tbDpT10_ENKUlT_T0_E_clISt17integral_constantIbLb1EES19_IbLb0EEEEDaS15_S16_EUlS15_E_NS1_11comp_targetILNS1_3genE3ELNS1_11target_archE908ELNS1_3gpuE7ELNS1_3repE0EEENS1_30default_config_static_selectorELNS0_4arch9wavefront6targetE1EEEvT1_.num_named_barrier, 0
	.set _ZN7rocprim17ROCPRIM_400000_NS6detail17trampoline_kernelINS0_14default_configENS1_25partition_config_selectorILNS1_17partition_subalgoE9EllbEEZZNS1_14partition_implILS5_9ELb0ES3_jPlS8_PNS0_10empty_typeENS0_5tupleIJS8_S9_EEENSB_IJS8_SA_EEENS0_18inequality_wrapperIZN2at6native12_GLOBAL__N_124unique_dim_cuda_templateIbEESt5tupleIJNSF_6TensorESK_SK_EERKSK_lbbbEUlllE0_EEPmJS9_EEE10hipError_tPvRmT3_T4_T5_T6_T7_T9_mT8_P12ihipStream_tbDpT10_ENKUlT_T0_E_clISt17integral_constantIbLb1EES19_IbLb0EEEEDaS15_S16_EUlS15_E_NS1_11comp_targetILNS1_3genE3ELNS1_11target_archE908ELNS1_3gpuE7ELNS1_3repE0EEENS1_30default_config_static_selectorELNS0_4arch9wavefront6targetE1EEEvT1_.private_seg_size, 0
	.set _ZN7rocprim17ROCPRIM_400000_NS6detail17trampoline_kernelINS0_14default_configENS1_25partition_config_selectorILNS1_17partition_subalgoE9EllbEEZZNS1_14partition_implILS5_9ELb0ES3_jPlS8_PNS0_10empty_typeENS0_5tupleIJS8_S9_EEENSB_IJS8_SA_EEENS0_18inequality_wrapperIZN2at6native12_GLOBAL__N_124unique_dim_cuda_templateIbEESt5tupleIJNSF_6TensorESK_SK_EERKSK_lbbbEUlllE0_EEPmJS9_EEE10hipError_tPvRmT3_T4_T5_T6_T7_T9_mT8_P12ihipStream_tbDpT10_ENKUlT_T0_E_clISt17integral_constantIbLb1EES19_IbLb0EEEEDaS15_S16_EUlS15_E_NS1_11comp_targetILNS1_3genE3ELNS1_11target_archE908ELNS1_3gpuE7ELNS1_3repE0EEENS1_30default_config_static_selectorELNS0_4arch9wavefront6targetE1EEEvT1_.uses_vcc, 0
	.set _ZN7rocprim17ROCPRIM_400000_NS6detail17trampoline_kernelINS0_14default_configENS1_25partition_config_selectorILNS1_17partition_subalgoE9EllbEEZZNS1_14partition_implILS5_9ELb0ES3_jPlS8_PNS0_10empty_typeENS0_5tupleIJS8_S9_EEENSB_IJS8_SA_EEENS0_18inequality_wrapperIZN2at6native12_GLOBAL__N_124unique_dim_cuda_templateIbEESt5tupleIJNSF_6TensorESK_SK_EERKSK_lbbbEUlllE0_EEPmJS9_EEE10hipError_tPvRmT3_T4_T5_T6_T7_T9_mT8_P12ihipStream_tbDpT10_ENKUlT_T0_E_clISt17integral_constantIbLb1EES19_IbLb0EEEEDaS15_S16_EUlS15_E_NS1_11comp_targetILNS1_3genE3ELNS1_11target_archE908ELNS1_3gpuE7ELNS1_3repE0EEENS1_30default_config_static_selectorELNS0_4arch9wavefront6targetE1EEEvT1_.uses_flat_scratch, 0
	.set _ZN7rocprim17ROCPRIM_400000_NS6detail17trampoline_kernelINS0_14default_configENS1_25partition_config_selectorILNS1_17partition_subalgoE9EllbEEZZNS1_14partition_implILS5_9ELb0ES3_jPlS8_PNS0_10empty_typeENS0_5tupleIJS8_S9_EEENSB_IJS8_SA_EEENS0_18inequality_wrapperIZN2at6native12_GLOBAL__N_124unique_dim_cuda_templateIbEESt5tupleIJNSF_6TensorESK_SK_EERKSK_lbbbEUlllE0_EEPmJS9_EEE10hipError_tPvRmT3_T4_T5_T6_T7_T9_mT8_P12ihipStream_tbDpT10_ENKUlT_T0_E_clISt17integral_constantIbLb1EES19_IbLb0EEEEDaS15_S16_EUlS15_E_NS1_11comp_targetILNS1_3genE3ELNS1_11target_archE908ELNS1_3gpuE7ELNS1_3repE0EEENS1_30default_config_static_selectorELNS0_4arch9wavefront6targetE1EEEvT1_.has_dyn_sized_stack, 0
	.set _ZN7rocprim17ROCPRIM_400000_NS6detail17trampoline_kernelINS0_14default_configENS1_25partition_config_selectorILNS1_17partition_subalgoE9EllbEEZZNS1_14partition_implILS5_9ELb0ES3_jPlS8_PNS0_10empty_typeENS0_5tupleIJS8_S9_EEENSB_IJS8_SA_EEENS0_18inequality_wrapperIZN2at6native12_GLOBAL__N_124unique_dim_cuda_templateIbEESt5tupleIJNSF_6TensorESK_SK_EERKSK_lbbbEUlllE0_EEPmJS9_EEE10hipError_tPvRmT3_T4_T5_T6_T7_T9_mT8_P12ihipStream_tbDpT10_ENKUlT_T0_E_clISt17integral_constantIbLb1EES19_IbLb0EEEEDaS15_S16_EUlS15_E_NS1_11comp_targetILNS1_3genE3ELNS1_11target_archE908ELNS1_3gpuE7ELNS1_3repE0EEENS1_30default_config_static_selectorELNS0_4arch9wavefront6targetE1EEEvT1_.has_recursion, 0
	.set _ZN7rocprim17ROCPRIM_400000_NS6detail17trampoline_kernelINS0_14default_configENS1_25partition_config_selectorILNS1_17partition_subalgoE9EllbEEZZNS1_14partition_implILS5_9ELb0ES3_jPlS8_PNS0_10empty_typeENS0_5tupleIJS8_S9_EEENSB_IJS8_SA_EEENS0_18inequality_wrapperIZN2at6native12_GLOBAL__N_124unique_dim_cuda_templateIbEESt5tupleIJNSF_6TensorESK_SK_EERKSK_lbbbEUlllE0_EEPmJS9_EEE10hipError_tPvRmT3_T4_T5_T6_T7_T9_mT8_P12ihipStream_tbDpT10_ENKUlT_T0_E_clISt17integral_constantIbLb1EES19_IbLb0EEEEDaS15_S16_EUlS15_E_NS1_11comp_targetILNS1_3genE3ELNS1_11target_archE908ELNS1_3gpuE7ELNS1_3repE0EEENS1_30default_config_static_selectorELNS0_4arch9wavefront6targetE1EEEvT1_.has_indirect_call, 0
	.section	.AMDGPU.csdata,"",@progbits
; Kernel info:
; codeLenInByte = 0
; TotalNumSgprs: 6
; NumVgprs: 0
; NumAgprs: 0
; TotalNumVgprs: 0
; ScratchSize: 0
; MemoryBound: 0
; FloatMode: 240
; IeeeMode: 1
; LDSByteSize: 0 bytes/workgroup (compile time only)
; SGPRBlocks: 0
; VGPRBlocks: 0
; NumSGPRsForWavesPerEU: 6
; NumVGPRsForWavesPerEU: 1
; AccumOffset: 4
; Occupancy: 8
; WaveLimiterHint : 0
; COMPUTE_PGM_RSRC2:SCRATCH_EN: 0
; COMPUTE_PGM_RSRC2:USER_SGPR: 2
; COMPUTE_PGM_RSRC2:TRAP_HANDLER: 0
; COMPUTE_PGM_RSRC2:TGID_X_EN: 1
; COMPUTE_PGM_RSRC2:TGID_Y_EN: 0
; COMPUTE_PGM_RSRC2:TGID_Z_EN: 0
; COMPUTE_PGM_RSRC2:TIDIG_COMP_CNT: 0
; COMPUTE_PGM_RSRC3_GFX90A:ACCUM_OFFSET: 0
; COMPUTE_PGM_RSRC3_GFX90A:TG_SPLIT: 0
	.section	.text._ZN7rocprim17ROCPRIM_400000_NS6detail17trampoline_kernelINS0_14default_configENS1_25partition_config_selectorILNS1_17partition_subalgoE9EllbEEZZNS1_14partition_implILS5_9ELb0ES3_jPlS8_PNS0_10empty_typeENS0_5tupleIJS8_S9_EEENSB_IJS8_SA_EEENS0_18inequality_wrapperIZN2at6native12_GLOBAL__N_124unique_dim_cuda_templateIbEESt5tupleIJNSF_6TensorESK_SK_EERKSK_lbbbEUlllE0_EEPmJS9_EEE10hipError_tPvRmT3_T4_T5_T6_T7_T9_mT8_P12ihipStream_tbDpT10_ENKUlT_T0_E_clISt17integral_constantIbLb1EES19_IbLb0EEEEDaS15_S16_EUlS15_E_NS1_11comp_targetILNS1_3genE2ELNS1_11target_archE906ELNS1_3gpuE6ELNS1_3repE0EEENS1_30default_config_static_selectorELNS0_4arch9wavefront6targetE1EEEvT1_,"axG",@progbits,_ZN7rocprim17ROCPRIM_400000_NS6detail17trampoline_kernelINS0_14default_configENS1_25partition_config_selectorILNS1_17partition_subalgoE9EllbEEZZNS1_14partition_implILS5_9ELb0ES3_jPlS8_PNS0_10empty_typeENS0_5tupleIJS8_S9_EEENSB_IJS8_SA_EEENS0_18inequality_wrapperIZN2at6native12_GLOBAL__N_124unique_dim_cuda_templateIbEESt5tupleIJNSF_6TensorESK_SK_EERKSK_lbbbEUlllE0_EEPmJS9_EEE10hipError_tPvRmT3_T4_T5_T6_T7_T9_mT8_P12ihipStream_tbDpT10_ENKUlT_T0_E_clISt17integral_constantIbLb1EES19_IbLb0EEEEDaS15_S16_EUlS15_E_NS1_11comp_targetILNS1_3genE2ELNS1_11target_archE906ELNS1_3gpuE6ELNS1_3repE0EEENS1_30default_config_static_selectorELNS0_4arch9wavefront6targetE1EEEvT1_,comdat
	.globl	_ZN7rocprim17ROCPRIM_400000_NS6detail17trampoline_kernelINS0_14default_configENS1_25partition_config_selectorILNS1_17partition_subalgoE9EllbEEZZNS1_14partition_implILS5_9ELb0ES3_jPlS8_PNS0_10empty_typeENS0_5tupleIJS8_S9_EEENSB_IJS8_SA_EEENS0_18inequality_wrapperIZN2at6native12_GLOBAL__N_124unique_dim_cuda_templateIbEESt5tupleIJNSF_6TensorESK_SK_EERKSK_lbbbEUlllE0_EEPmJS9_EEE10hipError_tPvRmT3_T4_T5_T6_T7_T9_mT8_P12ihipStream_tbDpT10_ENKUlT_T0_E_clISt17integral_constantIbLb1EES19_IbLb0EEEEDaS15_S16_EUlS15_E_NS1_11comp_targetILNS1_3genE2ELNS1_11target_archE906ELNS1_3gpuE6ELNS1_3repE0EEENS1_30default_config_static_selectorELNS0_4arch9wavefront6targetE1EEEvT1_ ; -- Begin function _ZN7rocprim17ROCPRIM_400000_NS6detail17trampoline_kernelINS0_14default_configENS1_25partition_config_selectorILNS1_17partition_subalgoE9EllbEEZZNS1_14partition_implILS5_9ELb0ES3_jPlS8_PNS0_10empty_typeENS0_5tupleIJS8_S9_EEENSB_IJS8_SA_EEENS0_18inequality_wrapperIZN2at6native12_GLOBAL__N_124unique_dim_cuda_templateIbEESt5tupleIJNSF_6TensorESK_SK_EERKSK_lbbbEUlllE0_EEPmJS9_EEE10hipError_tPvRmT3_T4_T5_T6_T7_T9_mT8_P12ihipStream_tbDpT10_ENKUlT_T0_E_clISt17integral_constantIbLb1EES19_IbLb0EEEEDaS15_S16_EUlS15_E_NS1_11comp_targetILNS1_3genE2ELNS1_11target_archE906ELNS1_3gpuE6ELNS1_3repE0EEENS1_30default_config_static_selectorELNS0_4arch9wavefront6targetE1EEEvT1_
	.p2align	8
	.type	_ZN7rocprim17ROCPRIM_400000_NS6detail17trampoline_kernelINS0_14default_configENS1_25partition_config_selectorILNS1_17partition_subalgoE9EllbEEZZNS1_14partition_implILS5_9ELb0ES3_jPlS8_PNS0_10empty_typeENS0_5tupleIJS8_S9_EEENSB_IJS8_SA_EEENS0_18inequality_wrapperIZN2at6native12_GLOBAL__N_124unique_dim_cuda_templateIbEESt5tupleIJNSF_6TensorESK_SK_EERKSK_lbbbEUlllE0_EEPmJS9_EEE10hipError_tPvRmT3_T4_T5_T6_T7_T9_mT8_P12ihipStream_tbDpT10_ENKUlT_T0_E_clISt17integral_constantIbLb1EES19_IbLb0EEEEDaS15_S16_EUlS15_E_NS1_11comp_targetILNS1_3genE2ELNS1_11target_archE906ELNS1_3gpuE6ELNS1_3repE0EEENS1_30default_config_static_selectorELNS0_4arch9wavefront6targetE1EEEvT1_,@function
_ZN7rocprim17ROCPRIM_400000_NS6detail17trampoline_kernelINS0_14default_configENS1_25partition_config_selectorILNS1_17partition_subalgoE9EllbEEZZNS1_14partition_implILS5_9ELb0ES3_jPlS8_PNS0_10empty_typeENS0_5tupleIJS8_S9_EEENSB_IJS8_SA_EEENS0_18inequality_wrapperIZN2at6native12_GLOBAL__N_124unique_dim_cuda_templateIbEESt5tupleIJNSF_6TensorESK_SK_EERKSK_lbbbEUlllE0_EEPmJS9_EEE10hipError_tPvRmT3_T4_T5_T6_T7_T9_mT8_P12ihipStream_tbDpT10_ENKUlT_T0_E_clISt17integral_constantIbLb1EES19_IbLb0EEEEDaS15_S16_EUlS15_E_NS1_11comp_targetILNS1_3genE2ELNS1_11target_archE906ELNS1_3gpuE6ELNS1_3repE0EEENS1_30default_config_static_selectorELNS0_4arch9wavefront6targetE1EEEvT1_: ; @_ZN7rocprim17ROCPRIM_400000_NS6detail17trampoline_kernelINS0_14default_configENS1_25partition_config_selectorILNS1_17partition_subalgoE9EllbEEZZNS1_14partition_implILS5_9ELb0ES3_jPlS8_PNS0_10empty_typeENS0_5tupleIJS8_S9_EEENSB_IJS8_SA_EEENS0_18inequality_wrapperIZN2at6native12_GLOBAL__N_124unique_dim_cuda_templateIbEESt5tupleIJNSF_6TensorESK_SK_EERKSK_lbbbEUlllE0_EEPmJS9_EEE10hipError_tPvRmT3_T4_T5_T6_T7_T9_mT8_P12ihipStream_tbDpT10_ENKUlT_T0_E_clISt17integral_constantIbLb1EES19_IbLb0EEEEDaS15_S16_EUlS15_E_NS1_11comp_targetILNS1_3genE2ELNS1_11target_archE906ELNS1_3gpuE6ELNS1_3repE0EEENS1_30default_config_static_selectorELNS0_4arch9wavefront6targetE1EEEvT1_
; %bb.0:
	.section	.rodata,"a",@progbits
	.p2align	6, 0x0
	.amdhsa_kernel _ZN7rocprim17ROCPRIM_400000_NS6detail17trampoline_kernelINS0_14default_configENS1_25partition_config_selectorILNS1_17partition_subalgoE9EllbEEZZNS1_14partition_implILS5_9ELb0ES3_jPlS8_PNS0_10empty_typeENS0_5tupleIJS8_S9_EEENSB_IJS8_SA_EEENS0_18inequality_wrapperIZN2at6native12_GLOBAL__N_124unique_dim_cuda_templateIbEESt5tupleIJNSF_6TensorESK_SK_EERKSK_lbbbEUlllE0_EEPmJS9_EEE10hipError_tPvRmT3_T4_T5_T6_T7_T9_mT8_P12ihipStream_tbDpT10_ENKUlT_T0_E_clISt17integral_constantIbLb1EES19_IbLb0EEEEDaS15_S16_EUlS15_E_NS1_11comp_targetILNS1_3genE2ELNS1_11target_archE906ELNS1_3gpuE6ELNS1_3repE0EEENS1_30default_config_static_selectorELNS0_4arch9wavefront6targetE1EEEvT1_
		.amdhsa_group_segment_fixed_size 0
		.amdhsa_private_segment_fixed_size 0
		.amdhsa_kernarg_size 120
		.amdhsa_user_sgpr_count 2
		.amdhsa_user_sgpr_dispatch_ptr 0
		.amdhsa_user_sgpr_queue_ptr 0
		.amdhsa_user_sgpr_kernarg_segment_ptr 1
		.amdhsa_user_sgpr_dispatch_id 0
		.amdhsa_user_sgpr_kernarg_preload_length 0
		.amdhsa_user_sgpr_kernarg_preload_offset 0
		.amdhsa_user_sgpr_private_segment_size 0
		.amdhsa_uses_dynamic_stack 0
		.amdhsa_enable_private_segment 0
		.amdhsa_system_sgpr_workgroup_id_x 1
		.amdhsa_system_sgpr_workgroup_id_y 0
		.amdhsa_system_sgpr_workgroup_id_z 0
		.amdhsa_system_sgpr_workgroup_info 0
		.amdhsa_system_vgpr_workitem_id 0
		.amdhsa_next_free_vgpr 1
		.amdhsa_next_free_sgpr 0
		.amdhsa_accum_offset 4
		.amdhsa_reserve_vcc 0
		.amdhsa_float_round_mode_32 0
		.amdhsa_float_round_mode_16_64 0
		.amdhsa_float_denorm_mode_32 3
		.amdhsa_float_denorm_mode_16_64 3
		.amdhsa_dx10_clamp 1
		.amdhsa_ieee_mode 1
		.amdhsa_fp16_overflow 0
		.amdhsa_tg_split 0
		.amdhsa_exception_fp_ieee_invalid_op 0
		.amdhsa_exception_fp_denorm_src 0
		.amdhsa_exception_fp_ieee_div_zero 0
		.amdhsa_exception_fp_ieee_overflow 0
		.amdhsa_exception_fp_ieee_underflow 0
		.amdhsa_exception_fp_ieee_inexact 0
		.amdhsa_exception_int_div_zero 0
	.end_amdhsa_kernel
	.section	.text._ZN7rocprim17ROCPRIM_400000_NS6detail17trampoline_kernelINS0_14default_configENS1_25partition_config_selectorILNS1_17partition_subalgoE9EllbEEZZNS1_14partition_implILS5_9ELb0ES3_jPlS8_PNS0_10empty_typeENS0_5tupleIJS8_S9_EEENSB_IJS8_SA_EEENS0_18inequality_wrapperIZN2at6native12_GLOBAL__N_124unique_dim_cuda_templateIbEESt5tupleIJNSF_6TensorESK_SK_EERKSK_lbbbEUlllE0_EEPmJS9_EEE10hipError_tPvRmT3_T4_T5_T6_T7_T9_mT8_P12ihipStream_tbDpT10_ENKUlT_T0_E_clISt17integral_constantIbLb1EES19_IbLb0EEEEDaS15_S16_EUlS15_E_NS1_11comp_targetILNS1_3genE2ELNS1_11target_archE906ELNS1_3gpuE6ELNS1_3repE0EEENS1_30default_config_static_selectorELNS0_4arch9wavefront6targetE1EEEvT1_,"axG",@progbits,_ZN7rocprim17ROCPRIM_400000_NS6detail17trampoline_kernelINS0_14default_configENS1_25partition_config_selectorILNS1_17partition_subalgoE9EllbEEZZNS1_14partition_implILS5_9ELb0ES3_jPlS8_PNS0_10empty_typeENS0_5tupleIJS8_S9_EEENSB_IJS8_SA_EEENS0_18inequality_wrapperIZN2at6native12_GLOBAL__N_124unique_dim_cuda_templateIbEESt5tupleIJNSF_6TensorESK_SK_EERKSK_lbbbEUlllE0_EEPmJS9_EEE10hipError_tPvRmT3_T4_T5_T6_T7_T9_mT8_P12ihipStream_tbDpT10_ENKUlT_T0_E_clISt17integral_constantIbLb1EES19_IbLb0EEEEDaS15_S16_EUlS15_E_NS1_11comp_targetILNS1_3genE2ELNS1_11target_archE906ELNS1_3gpuE6ELNS1_3repE0EEENS1_30default_config_static_selectorELNS0_4arch9wavefront6targetE1EEEvT1_,comdat
.Lfunc_end1103:
	.size	_ZN7rocprim17ROCPRIM_400000_NS6detail17trampoline_kernelINS0_14default_configENS1_25partition_config_selectorILNS1_17partition_subalgoE9EllbEEZZNS1_14partition_implILS5_9ELb0ES3_jPlS8_PNS0_10empty_typeENS0_5tupleIJS8_S9_EEENSB_IJS8_SA_EEENS0_18inequality_wrapperIZN2at6native12_GLOBAL__N_124unique_dim_cuda_templateIbEESt5tupleIJNSF_6TensorESK_SK_EERKSK_lbbbEUlllE0_EEPmJS9_EEE10hipError_tPvRmT3_T4_T5_T6_T7_T9_mT8_P12ihipStream_tbDpT10_ENKUlT_T0_E_clISt17integral_constantIbLb1EES19_IbLb0EEEEDaS15_S16_EUlS15_E_NS1_11comp_targetILNS1_3genE2ELNS1_11target_archE906ELNS1_3gpuE6ELNS1_3repE0EEENS1_30default_config_static_selectorELNS0_4arch9wavefront6targetE1EEEvT1_, .Lfunc_end1103-_ZN7rocprim17ROCPRIM_400000_NS6detail17trampoline_kernelINS0_14default_configENS1_25partition_config_selectorILNS1_17partition_subalgoE9EllbEEZZNS1_14partition_implILS5_9ELb0ES3_jPlS8_PNS0_10empty_typeENS0_5tupleIJS8_S9_EEENSB_IJS8_SA_EEENS0_18inequality_wrapperIZN2at6native12_GLOBAL__N_124unique_dim_cuda_templateIbEESt5tupleIJNSF_6TensorESK_SK_EERKSK_lbbbEUlllE0_EEPmJS9_EEE10hipError_tPvRmT3_T4_T5_T6_T7_T9_mT8_P12ihipStream_tbDpT10_ENKUlT_T0_E_clISt17integral_constantIbLb1EES19_IbLb0EEEEDaS15_S16_EUlS15_E_NS1_11comp_targetILNS1_3genE2ELNS1_11target_archE906ELNS1_3gpuE6ELNS1_3repE0EEENS1_30default_config_static_selectorELNS0_4arch9wavefront6targetE1EEEvT1_
                                        ; -- End function
	.set _ZN7rocprim17ROCPRIM_400000_NS6detail17trampoline_kernelINS0_14default_configENS1_25partition_config_selectorILNS1_17partition_subalgoE9EllbEEZZNS1_14partition_implILS5_9ELb0ES3_jPlS8_PNS0_10empty_typeENS0_5tupleIJS8_S9_EEENSB_IJS8_SA_EEENS0_18inequality_wrapperIZN2at6native12_GLOBAL__N_124unique_dim_cuda_templateIbEESt5tupleIJNSF_6TensorESK_SK_EERKSK_lbbbEUlllE0_EEPmJS9_EEE10hipError_tPvRmT3_T4_T5_T6_T7_T9_mT8_P12ihipStream_tbDpT10_ENKUlT_T0_E_clISt17integral_constantIbLb1EES19_IbLb0EEEEDaS15_S16_EUlS15_E_NS1_11comp_targetILNS1_3genE2ELNS1_11target_archE906ELNS1_3gpuE6ELNS1_3repE0EEENS1_30default_config_static_selectorELNS0_4arch9wavefront6targetE1EEEvT1_.num_vgpr, 0
	.set _ZN7rocprim17ROCPRIM_400000_NS6detail17trampoline_kernelINS0_14default_configENS1_25partition_config_selectorILNS1_17partition_subalgoE9EllbEEZZNS1_14partition_implILS5_9ELb0ES3_jPlS8_PNS0_10empty_typeENS0_5tupleIJS8_S9_EEENSB_IJS8_SA_EEENS0_18inequality_wrapperIZN2at6native12_GLOBAL__N_124unique_dim_cuda_templateIbEESt5tupleIJNSF_6TensorESK_SK_EERKSK_lbbbEUlllE0_EEPmJS9_EEE10hipError_tPvRmT3_T4_T5_T6_T7_T9_mT8_P12ihipStream_tbDpT10_ENKUlT_T0_E_clISt17integral_constantIbLb1EES19_IbLb0EEEEDaS15_S16_EUlS15_E_NS1_11comp_targetILNS1_3genE2ELNS1_11target_archE906ELNS1_3gpuE6ELNS1_3repE0EEENS1_30default_config_static_selectorELNS0_4arch9wavefront6targetE1EEEvT1_.num_agpr, 0
	.set _ZN7rocprim17ROCPRIM_400000_NS6detail17trampoline_kernelINS0_14default_configENS1_25partition_config_selectorILNS1_17partition_subalgoE9EllbEEZZNS1_14partition_implILS5_9ELb0ES3_jPlS8_PNS0_10empty_typeENS0_5tupleIJS8_S9_EEENSB_IJS8_SA_EEENS0_18inequality_wrapperIZN2at6native12_GLOBAL__N_124unique_dim_cuda_templateIbEESt5tupleIJNSF_6TensorESK_SK_EERKSK_lbbbEUlllE0_EEPmJS9_EEE10hipError_tPvRmT3_T4_T5_T6_T7_T9_mT8_P12ihipStream_tbDpT10_ENKUlT_T0_E_clISt17integral_constantIbLb1EES19_IbLb0EEEEDaS15_S16_EUlS15_E_NS1_11comp_targetILNS1_3genE2ELNS1_11target_archE906ELNS1_3gpuE6ELNS1_3repE0EEENS1_30default_config_static_selectorELNS0_4arch9wavefront6targetE1EEEvT1_.numbered_sgpr, 0
	.set _ZN7rocprim17ROCPRIM_400000_NS6detail17trampoline_kernelINS0_14default_configENS1_25partition_config_selectorILNS1_17partition_subalgoE9EllbEEZZNS1_14partition_implILS5_9ELb0ES3_jPlS8_PNS0_10empty_typeENS0_5tupleIJS8_S9_EEENSB_IJS8_SA_EEENS0_18inequality_wrapperIZN2at6native12_GLOBAL__N_124unique_dim_cuda_templateIbEESt5tupleIJNSF_6TensorESK_SK_EERKSK_lbbbEUlllE0_EEPmJS9_EEE10hipError_tPvRmT3_T4_T5_T6_T7_T9_mT8_P12ihipStream_tbDpT10_ENKUlT_T0_E_clISt17integral_constantIbLb1EES19_IbLb0EEEEDaS15_S16_EUlS15_E_NS1_11comp_targetILNS1_3genE2ELNS1_11target_archE906ELNS1_3gpuE6ELNS1_3repE0EEENS1_30default_config_static_selectorELNS0_4arch9wavefront6targetE1EEEvT1_.num_named_barrier, 0
	.set _ZN7rocprim17ROCPRIM_400000_NS6detail17trampoline_kernelINS0_14default_configENS1_25partition_config_selectorILNS1_17partition_subalgoE9EllbEEZZNS1_14partition_implILS5_9ELb0ES3_jPlS8_PNS0_10empty_typeENS0_5tupleIJS8_S9_EEENSB_IJS8_SA_EEENS0_18inequality_wrapperIZN2at6native12_GLOBAL__N_124unique_dim_cuda_templateIbEESt5tupleIJNSF_6TensorESK_SK_EERKSK_lbbbEUlllE0_EEPmJS9_EEE10hipError_tPvRmT3_T4_T5_T6_T7_T9_mT8_P12ihipStream_tbDpT10_ENKUlT_T0_E_clISt17integral_constantIbLb1EES19_IbLb0EEEEDaS15_S16_EUlS15_E_NS1_11comp_targetILNS1_3genE2ELNS1_11target_archE906ELNS1_3gpuE6ELNS1_3repE0EEENS1_30default_config_static_selectorELNS0_4arch9wavefront6targetE1EEEvT1_.private_seg_size, 0
	.set _ZN7rocprim17ROCPRIM_400000_NS6detail17trampoline_kernelINS0_14default_configENS1_25partition_config_selectorILNS1_17partition_subalgoE9EllbEEZZNS1_14partition_implILS5_9ELb0ES3_jPlS8_PNS0_10empty_typeENS0_5tupleIJS8_S9_EEENSB_IJS8_SA_EEENS0_18inequality_wrapperIZN2at6native12_GLOBAL__N_124unique_dim_cuda_templateIbEESt5tupleIJNSF_6TensorESK_SK_EERKSK_lbbbEUlllE0_EEPmJS9_EEE10hipError_tPvRmT3_T4_T5_T6_T7_T9_mT8_P12ihipStream_tbDpT10_ENKUlT_T0_E_clISt17integral_constantIbLb1EES19_IbLb0EEEEDaS15_S16_EUlS15_E_NS1_11comp_targetILNS1_3genE2ELNS1_11target_archE906ELNS1_3gpuE6ELNS1_3repE0EEENS1_30default_config_static_selectorELNS0_4arch9wavefront6targetE1EEEvT1_.uses_vcc, 0
	.set _ZN7rocprim17ROCPRIM_400000_NS6detail17trampoline_kernelINS0_14default_configENS1_25partition_config_selectorILNS1_17partition_subalgoE9EllbEEZZNS1_14partition_implILS5_9ELb0ES3_jPlS8_PNS0_10empty_typeENS0_5tupleIJS8_S9_EEENSB_IJS8_SA_EEENS0_18inequality_wrapperIZN2at6native12_GLOBAL__N_124unique_dim_cuda_templateIbEESt5tupleIJNSF_6TensorESK_SK_EERKSK_lbbbEUlllE0_EEPmJS9_EEE10hipError_tPvRmT3_T4_T5_T6_T7_T9_mT8_P12ihipStream_tbDpT10_ENKUlT_T0_E_clISt17integral_constantIbLb1EES19_IbLb0EEEEDaS15_S16_EUlS15_E_NS1_11comp_targetILNS1_3genE2ELNS1_11target_archE906ELNS1_3gpuE6ELNS1_3repE0EEENS1_30default_config_static_selectorELNS0_4arch9wavefront6targetE1EEEvT1_.uses_flat_scratch, 0
	.set _ZN7rocprim17ROCPRIM_400000_NS6detail17trampoline_kernelINS0_14default_configENS1_25partition_config_selectorILNS1_17partition_subalgoE9EllbEEZZNS1_14partition_implILS5_9ELb0ES3_jPlS8_PNS0_10empty_typeENS0_5tupleIJS8_S9_EEENSB_IJS8_SA_EEENS0_18inequality_wrapperIZN2at6native12_GLOBAL__N_124unique_dim_cuda_templateIbEESt5tupleIJNSF_6TensorESK_SK_EERKSK_lbbbEUlllE0_EEPmJS9_EEE10hipError_tPvRmT3_T4_T5_T6_T7_T9_mT8_P12ihipStream_tbDpT10_ENKUlT_T0_E_clISt17integral_constantIbLb1EES19_IbLb0EEEEDaS15_S16_EUlS15_E_NS1_11comp_targetILNS1_3genE2ELNS1_11target_archE906ELNS1_3gpuE6ELNS1_3repE0EEENS1_30default_config_static_selectorELNS0_4arch9wavefront6targetE1EEEvT1_.has_dyn_sized_stack, 0
	.set _ZN7rocprim17ROCPRIM_400000_NS6detail17trampoline_kernelINS0_14default_configENS1_25partition_config_selectorILNS1_17partition_subalgoE9EllbEEZZNS1_14partition_implILS5_9ELb0ES3_jPlS8_PNS0_10empty_typeENS0_5tupleIJS8_S9_EEENSB_IJS8_SA_EEENS0_18inequality_wrapperIZN2at6native12_GLOBAL__N_124unique_dim_cuda_templateIbEESt5tupleIJNSF_6TensorESK_SK_EERKSK_lbbbEUlllE0_EEPmJS9_EEE10hipError_tPvRmT3_T4_T5_T6_T7_T9_mT8_P12ihipStream_tbDpT10_ENKUlT_T0_E_clISt17integral_constantIbLb1EES19_IbLb0EEEEDaS15_S16_EUlS15_E_NS1_11comp_targetILNS1_3genE2ELNS1_11target_archE906ELNS1_3gpuE6ELNS1_3repE0EEENS1_30default_config_static_selectorELNS0_4arch9wavefront6targetE1EEEvT1_.has_recursion, 0
	.set _ZN7rocprim17ROCPRIM_400000_NS6detail17trampoline_kernelINS0_14default_configENS1_25partition_config_selectorILNS1_17partition_subalgoE9EllbEEZZNS1_14partition_implILS5_9ELb0ES3_jPlS8_PNS0_10empty_typeENS0_5tupleIJS8_S9_EEENSB_IJS8_SA_EEENS0_18inequality_wrapperIZN2at6native12_GLOBAL__N_124unique_dim_cuda_templateIbEESt5tupleIJNSF_6TensorESK_SK_EERKSK_lbbbEUlllE0_EEPmJS9_EEE10hipError_tPvRmT3_T4_T5_T6_T7_T9_mT8_P12ihipStream_tbDpT10_ENKUlT_T0_E_clISt17integral_constantIbLb1EES19_IbLb0EEEEDaS15_S16_EUlS15_E_NS1_11comp_targetILNS1_3genE2ELNS1_11target_archE906ELNS1_3gpuE6ELNS1_3repE0EEENS1_30default_config_static_selectorELNS0_4arch9wavefront6targetE1EEEvT1_.has_indirect_call, 0
	.section	.AMDGPU.csdata,"",@progbits
; Kernel info:
; codeLenInByte = 0
; TotalNumSgprs: 6
; NumVgprs: 0
; NumAgprs: 0
; TotalNumVgprs: 0
; ScratchSize: 0
; MemoryBound: 0
; FloatMode: 240
; IeeeMode: 1
; LDSByteSize: 0 bytes/workgroup (compile time only)
; SGPRBlocks: 0
; VGPRBlocks: 0
; NumSGPRsForWavesPerEU: 6
; NumVGPRsForWavesPerEU: 1
; AccumOffset: 4
; Occupancy: 8
; WaveLimiterHint : 0
; COMPUTE_PGM_RSRC2:SCRATCH_EN: 0
; COMPUTE_PGM_RSRC2:USER_SGPR: 2
; COMPUTE_PGM_RSRC2:TRAP_HANDLER: 0
; COMPUTE_PGM_RSRC2:TGID_X_EN: 1
; COMPUTE_PGM_RSRC2:TGID_Y_EN: 0
; COMPUTE_PGM_RSRC2:TGID_Z_EN: 0
; COMPUTE_PGM_RSRC2:TIDIG_COMP_CNT: 0
; COMPUTE_PGM_RSRC3_GFX90A:ACCUM_OFFSET: 0
; COMPUTE_PGM_RSRC3_GFX90A:TG_SPLIT: 0
	.section	.text._ZN7rocprim17ROCPRIM_400000_NS6detail17trampoline_kernelINS0_14default_configENS1_25partition_config_selectorILNS1_17partition_subalgoE9EllbEEZZNS1_14partition_implILS5_9ELb0ES3_jPlS8_PNS0_10empty_typeENS0_5tupleIJS8_S9_EEENSB_IJS8_SA_EEENS0_18inequality_wrapperIZN2at6native12_GLOBAL__N_124unique_dim_cuda_templateIbEESt5tupleIJNSF_6TensorESK_SK_EERKSK_lbbbEUlllE0_EEPmJS9_EEE10hipError_tPvRmT3_T4_T5_T6_T7_T9_mT8_P12ihipStream_tbDpT10_ENKUlT_T0_E_clISt17integral_constantIbLb1EES19_IbLb0EEEEDaS15_S16_EUlS15_E_NS1_11comp_targetILNS1_3genE10ELNS1_11target_archE1200ELNS1_3gpuE4ELNS1_3repE0EEENS1_30default_config_static_selectorELNS0_4arch9wavefront6targetE1EEEvT1_,"axG",@progbits,_ZN7rocprim17ROCPRIM_400000_NS6detail17trampoline_kernelINS0_14default_configENS1_25partition_config_selectorILNS1_17partition_subalgoE9EllbEEZZNS1_14partition_implILS5_9ELb0ES3_jPlS8_PNS0_10empty_typeENS0_5tupleIJS8_S9_EEENSB_IJS8_SA_EEENS0_18inequality_wrapperIZN2at6native12_GLOBAL__N_124unique_dim_cuda_templateIbEESt5tupleIJNSF_6TensorESK_SK_EERKSK_lbbbEUlllE0_EEPmJS9_EEE10hipError_tPvRmT3_T4_T5_T6_T7_T9_mT8_P12ihipStream_tbDpT10_ENKUlT_T0_E_clISt17integral_constantIbLb1EES19_IbLb0EEEEDaS15_S16_EUlS15_E_NS1_11comp_targetILNS1_3genE10ELNS1_11target_archE1200ELNS1_3gpuE4ELNS1_3repE0EEENS1_30default_config_static_selectorELNS0_4arch9wavefront6targetE1EEEvT1_,comdat
	.globl	_ZN7rocprim17ROCPRIM_400000_NS6detail17trampoline_kernelINS0_14default_configENS1_25partition_config_selectorILNS1_17partition_subalgoE9EllbEEZZNS1_14partition_implILS5_9ELb0ES3_jPlS8_PNS0_10empty_typeENS0_5tupleIJS8_S9_EEENSB_IJS8_SA_EEENS0_18inequality_wrapperIZN2at6native12_GLOBAL__N_124unique_dim_cuda_templateIbEESt5tupleIJNSF_6TensorESK_SK_EERKSK_lbbbEUlllE0_EEPmJS9_EEE10hipError_tPvRmT3_T4_T5_T6_T7_T9_mT8_P12ihipStream_tbDpT10_ENKUlT_T0_E_clISt17integral_constantIbLb1EES19_IbLb0EEEEDaS15_S16_EUlS15_E_NS1_11comp_targetILNS1_3genE10ELNS1_11target_archE1200ELNS1_3gpuE4ELNS1_3repE0EEENS1_30default_config_static_selectorELNS0_4arch9wavefront6targetE1EEEvT1_ ; -- Begin function _ZN7rocprim17ROCPRIM_400000_NS6detail17trampoline_kernelINS0_14default_configENS1_25partition_config_selectorILNS1_17partition_subalgoE9EllbEEZZNS1_14partition_implILS5_9ELb0ES3_jPlS8_PNS0_10empty_typeENS0_5tupleIJS8_S9_EEENSB_IJS8_SA_EEENS0_18inequality_wrapperIZN2at6native12_GLOBAL__N_124unique_dim_cuda_templateIbEESt5tupleIJNSF_6TensorESK_SK_EERKSK_lbbbEUlllE0_EEPmJS9_EEE10hipError_tPvRmT3_T4_T5_T6_T7_T9_mT8_P12ihipStream_tbDpT10_ENKUlT_T0_E_clISt17integral_constantIbLb1EES19_IbLb0EEEEDaS15_S16_EUlS15_E_NS1_11comp_targetILNS1_3genE10ELNS1_11target_archE1200ELNS1_3gpuE4ELNS1_3repE0EEENS1_30default_config_static_selectorELNS0_4arch9wavefront6targetE1EEEvT1_
	.p2align	8
	.type	_ZN7rocprim17ROCPRIM_400000_NS6detail17trampoline_kernelINS0_14default_configENS1_25partition_config_selectorILNS1_17partition_subalgoE9EllbEEZZNS1_14partition_implILS5_9ELb0ES3_jPlS8_PNS0_10empty_typeENS0_5tupleIJS8_S9_EEENSB_IJS8_SA_EEENS0_18inequality_wrapperIZN2at6native12_GLOBAL__N_124unique_dim_cuda_templateIbEESt5tupleIJNSF_6TensorESK_SK_EERKSK_lbbbEUlllE0_EEPmJS9_EEE10hipError_tPvRmT3_T4_T5_T6_T7_T9_mT8_P12ihipStream_tbDpT10_ENKUlT_T0_E_clISt17integral_constantIbLb1EES19_IbLb0EEEEDaS15_S16_EUlS15_E_NS1_11comp_targetILNS1_3genE10ELNS1_11target_archE1200ELNS1_3gpuE4ELNS1_3repE0EEENS1_30default_config_static_selectorELNS0_4arch9wavefront6targetE1EEEvT1_,@function
_ZN7rocprim17ROCPRIM_400000_NS6detail17trampoline_kernelINS0_14default_configENS1_25partition_config_selectorILNS1_17partition_subalgoE9EllbEEZZNS1_14partition_implILS5_9ELb0ES3_jPlS8_PNS0_10empty_typeENS0_5tupleIJS8_S9_EEENSB_IJS8_SA_EEENS0_18inequality_wrapperIZN2at6native12_GLOBAL__N_124unique_dim_cuda_templateIbEESt5tupleIJNSF_6TensorESK_SK_EERKSK_lbbbEUlllE0_EEPmJS9_EEE10hipError_tPvRmT3_T4_T5_T6_T7_T9_mT8_P12ihipStream_tbDpT10_ENKUlT_T0_E_clISt17integral_constantIbLb1EES19_IbLb0EEEEDaS15_S16_EUlS15_E_NS1_11comp_targetILNS1_3genE10ELNS1_11target_archE1200ELNS1_3gpuE4ELNS1_3repE0EEENS1_30default_config_static_selectorELNS0_4arch9wavefront6targetE1EEEvT1_: ; @_ZN7rocprim17ROCPRIM_400000_NS6detail17trampoline_kernelINS0_14default_configENS1_25partition_config_selectorILNS1_17partition_subalgoE9EllbEEZZNS1_14partition_implILS5_9ELb0ES3_jPlS8_PNS0_10empty_typeENS0_5tupleIJS8_S9_EEENSB_IJS8_SA_EEENS0_18inequality_wrapperIZN2at6native12_GLOBAL__N_124unique_dim_cuda_templateIbEESt5tupleIJNSF_6TensorESK_SK_EERKSK_lbbbEUlllE0_EEPmJS9_EEE10hipError_tPvRmT3_T4_T5_T6_T7_T9_mT8_P12ihipStream_tbDpT10_ENKUlT_T0_E_clISt17integral_constantIbLb1EES19_IbLb0EEEEDaS15_S16_EUlS15_E_NS1_11comp_targetILNS1_3genE10ELNS1_11target_archE1200ELNS1_3gpuE4ELNS1_3repE0EEENS1_30default_config_static_selectorELNS0_4arch9wavefront6targetE1EEEvT1_
; %bb.0:
	.section	.rodata,"a",@progbits
	.p2align	6, 0x0
	.amdhsa_kernel _ZN7rocprim17ROCPRIM_400000_NS6detail17trampoline_kernelINS0_14default_configENS1_25partition_config_selectorILNS1_17partition_subalgoE9EllbEEZZNS1_14partition_implILS5_9ELb0ES3_jPlS8_PNS0_10empty_typeENS0_5tupleIJS8_S9_EEENSB_IJS8_SA_EEENS0_18inequality_wrapperIZN2at6native12_GLOBAL__N_124unique_dim_cuda_templateIbEESt5tupleIJNSF_6TensorESK_SK_EERKSK_lbbbEUlllE0_EEPmJS9_EEE10hipError_tPvRmT3_T4_T5_T6_T7_T9_mT8_P12ihipStream_tbDpT10_ENKUlT_T0_E_clISt17integral_constantIbLb1EES19_IbLb0EEEEDaS15_S16_EUlS15_E_NS1_11comp_targetILNS1_3genE10ELNS1_11target_archE1200ELNS1_3gpuE4ELNS1_3repE0EEENS1_30default_config_static_selectorELNS0_4arch9wavefront6targetE1EEEvT1_
		.amdhsa_group_segment_fixed_size 0
		.amdhsa_private_segment_fixed_size 0
		.amdhsa_kernarg_size 120
		.amdhsa_user_sgpr_count 2
		.amdhsa_user_sgpr_dispatch_ptr 0
		.amdhsa_user_sgpr_queue_ptr 0
		.amdhsa_user_sgpr_kernarg_segment_ptr 1
		.amdhsa_user_sgpr_dispatch_id 0
		.amdhsa_user_sgpr_kernarg_preload_length 0
		.amdhsa_user_sgpr_kernarg_preload_offset 0
		.amdhsa_user_sgpr_private_segment_size 0
		.amdhsa_uses_dynamic_stack 0
		.amdhsa_enable_private_segment 0
		.amdhsa_system_sgpr_workgroup_id_x 1
		.amdhsa_system_sgpr_workgroup_id_y 0
		.amdhsa_system_sgpr_workgroup_id_z 0
		.amdhsa_system_sgpr_workgroup_info 0
		.amdhsa_system_vgpr_workitem_id 0
		.amdhsa_next_free_vgpr 1
		.amdhsa_next_free_sgpr 0
		.amdhsa_accum_offset 4
		.amdhsa_reserve_vcc 0
		.amdhsa_float_round_mode_32 0
		.amdhsa_float_round_mode_16_64 0
		.amdhsa_float_denorm_mode_32 3
		.amdhsa_float_denorm_mode_16_64 3
		.amdhsa_dx10_clamp 1
		.amdhsa_ieee_mode 1
		.amdhsa_fp16_overflow 0
		.amdhsa_tg_split 0
		.amdhsa_exception_fp_ieee_invalid_op 0
		.amdhsa_exception_fp_denorm_src 0
		.amdhsa_exception_fp_ieee_div_zero 0
		.amdhsa_exception_fp_ieee_overflow 0
		.amdhsa_exception_fp_ieee_underflow 0
		.amdhsa_exception_fp_ieee_inexact 0
		.amdhsa_exception_int_div_zero 0
	.end_amdhsa_kernel
	.section	.text._ZN7rocprim17ROCPRIM_400000_NS6detail17trampoline_kernelINS0_14default_configENS1_25partition_config_selectorILNS1_17partition_subalgoE9EllbEEZZNS1_14partition_implILS5_9ELb0ES3_jPlS8_PNS0_10empty_typeENS0_5tupleIJS8_S9_EEENSB_IJS8_SA_EEENS0_18inequality_wrapperIZN2at6native12_GLOBAL__N_124unique_dim_cuda_templateIbEESt5tupleIJNSF_6TensorESK_SK_EERKSK_lbbbEUlllE0_EEPmJS9_EEE10hipError_tPvRmT3_T4_T5_T6_T7_T9_mT8_P12ihipStream_tbDpT10_ENKUlT_T0_E_clISt17integral_constantIbLb1EES19_IbLb0EEEEDaS15_S16_EUlS15_E_NS1_11comp_targetILNS1_3genE10ELNS1_11target_archE1200ELNS1_3gpuE4ELNS1_3repE0EEENS1_30default_config_static_selectorELNS0_4arch9wavefront6targetE1EEEvT1_,"axG",@progbits,_ZN7rocprim17ROCPRIM_400000_NS6detail17trampoline_kernelINS0_14default_configENS1_25partition_config_selectorILNS1_17partition_subalgoE9EllbEEZZNS1_14partition_implILS5_9ELb0ES3_jPlS8_PNS0_10empty_typeENS0_5tupleIJS8_S9_EEENSB_IJS8_SA_EEENS0_18inequality_wrapperIZN2at6native12_GLOBAL__N_124unique_dim_cuda_templateIbEESt5tupleIJNSF_6TensorESK_SK_EERKSK_lbbbEUlllE0_EEPmJS9_EEE10hipError_tPvRmT3_T4_T5_T6_T7_T9_mT8_P12ihipStream_tbDpT10_ENKUlT_T0_E_clISt17integral_constantIbLb1EES19_IbLb0EEEEDaS15_S16_EUlS15_E_NS1_11comp_targetILNS1_3genE10ELNS1_11target_archE1200ELNS1_3gpuE4ELNS1_3repE0EEENS1_30default_config_static_selectorELNS0_4arch9wavefront6targetE1EEEvT1_,comdat
.Lfunc_end1104:
	.size	_ZN7rocprim17ROCPRIM_400000_NS6detail17trampoline_kernelINS0_14default_configENS1_25partition_config_selectorILNS1_17partition_subalgoE9EllbEEZZNS1_14partition_implILS5_9ELb0ES3_jPlS8_PNS0_10empty_typeENS0_5tupleIJS8_S9_EEENSB_IJS8_SA_EEENS0_18inequality_wrapperIZN2at6native12_GLOBAL__N_124unique_dim_cuda_templateIbEESt5tupleIJNSF_6TensorESK_SK_EERKSK_lbbbEUlllE0_EEPmJS9_EEE10hipError_tPvRmT3_T4_T5_T6_T7_T9_mT8_P12ihipStream_tbDpT10_ENKUlT_T0_E_clISt17integral_constantIbLb1EES19_IbLb0EEEEDaS15_S16_EUlS15_E_NS1_11comp_targetILNS1_3genE10ELNS1_11target_archE1200ELNS1_3gpuE4ELNS1_3repE0EEENS1_30default_config_static_selectorELNS0_4arch9wavefront6targetE1EEEvT1_, .Lfunc_end1104-_ZN7rocprim17ROCPRIM_400000_NS6detail17trampoline_kernelINS0_14default_configENS1_25partition_config_selectorILNS1_17partition_subalgoE9EllbEEZZNS1_14partition_implILS5_9ELb0ES3_jPlS8_PNS0_10empty_typeENS0_5tupleIJS8_S9_EEENSB_IJS8_SA_EEENS0_18inequality_wrapperIZN2at6native12_GLOBAL__N_124unique_dim_cuda_templateIbEESt5tupleIJNSF_6TensorESK_SK_EERKSK_lbbbEUlllE0_EEPmJS9_EEE10hipError_tPvRmT3_T4_T5_T6_T7_T9_mT8_P12ihipStream_tbDpT10_ENKUlT_T0_E_clISt17integral_constantIbLb1EES19_IbLb0EEEEDaS15_S16_EUlS15_E_NS1_11comp_targetILNS1_3genE10ELNS1_11target_archE1200ELNS1_3gpuE4ELNS1_3repE0EEENS1_30default_config_static_selectorELNS0_4arch9wavefront6targetE1EEEvT1_
                                        ; -- End function
	.set _ZN7rocprim17ROCPRIM_400000_NS6detail17trampoline_kernelINS0_14default_configENS1_25partition_config_selectorILNS1_17partition_subalgoE9EllbEEZZNS1_14partition_implILS5_9ELb0ES3_jPlS8_PNS0_10empty_typeENS0_5tupleIJS8_S9_EEENSB_IJS8_SA_EEENS0_18inequality_wrapperIZN2at6native12_GLOBAL__N_124unique_dim_cuda_templateIbEESt5tupleIJNSF_6TensorESK_SK_EERKSK_lbbbEUlllE0_EEPmJS9_EEE10hipError_tPvRmT3_T4_T5_T6_T7_T9_mT8_P12ihipStream_tbDpT10_ENKUlT_T0_E_clISt17integral_constantIbLb1EES19_IbLb0EEEEDaS15_S16_EUlS15_E_NS1_11comp_targetILNS1_3genE10ELNS1_11target_archE1200ELNS1_3gpuE4ELNS1_3repE0EEENS1_30default_config_static_selectorELNS0_4arch9wavefront6targetE1EEEvT1_.num_vgpr, 0
	.set _ZN7rocprim17ROCPRIM_400000_NS6detail17trampoline_kernelINS0_14default_configENS1_25partition_config_selectorILNS1_17partition_subalgoE9EllbEEZZNS1_14partition_implILS5_9ELb0ES3_jPlS8_PNS0_10empty_typeENS0_5tupleIJS8_S9_EEENSB_IJS8_SA_EEENS0_18inequality_wrapperIZN2at6native12_GLOBAL__N_124unique_dim_cuda_templateIbEESt5tupleIJNSF_6TensorESK_SK_EERKSK_lbbbEUlllE0_EEPmJS9_EEE10hipError_tPvRmT3_T4_T5_T6_T7_T9_mT8_P12ihipStream_tbDpT10_ENKUlT_T0_E_clISt17integral_constantIbLb1EES19_IbLb0EEEEDaS15_S16_EUlS15_E_NS1_11comp_targetILNS1_3genE10ELNS1_11target_archE1200ELNS1_3gpuE4ELNS1_3repE0EEENS1_30default_config_static_selectorELNS0_4arch9wavefront6targetE1EEEvT1_.num_agpr, 0
	.set _ZN7rocprim17ROCPRIM_400000_NS6detail17trampoline_kernelINS0_14default_configENS1_25partition_config_selectorILNS1_17partition_subalgoE9EllbEEZZNS1_14partition_implILS5_9ELb0ES3_jPlS8_PNS0_10empty_typeENS0_5tupleIJS8_S9_EEENSB_IJS8_SA_EEENS0_18inequality_wrapperIZN2at6native12_GLOBAL__N_124unique_dim_cuda_templateIbEESt5tupleIJNSF_6TensorESK_SK_EERKSK_lbbbEUlllE0_EEPmJS9_EEE10hipError_tPvRmT3_T4_T5_T6_T7_T9_mT8_P12ihipStream_tbDpT10_ENKUlT_T0_E_clISt17integral_constantIbLb1EES19_IbLb0EEEEDaS15_S16_EUlS15_E_NS1_11comp_targetILNS1_3genE10ELNS1_11target_archE1200ELNS1_3gpuE4ELNS1_3repE0EEENS1_30default_config_static_selectorELNS0_4arch9wavefront6targetE1EEEvT1_.numbered_sgpr, 0
	.set _ZN7rocprim17ROCPRIM_400000_NS6detail17trampoline_kernelINS0_14default_configENS1_25partition_config_selectorILNS1_17partition_subalgoE9EllbEEZZNS1_14partition_implILS5_9ELb0ES3_jPlS8_PNS0_10empty_typeENS0_5tupleIJS8_S9_EEENSB_IJS8_SA_EEENS0_18inequality_wrapperIZN2at6native12_GLOBAL__N_124unique_dim_cuda_templateIbEESt5tupleIJNSF_6TensorESK_SK_EERKSK_lbbbEUlllE0_EEPmJS9_EEE10hipError_tPvRmT3_T4_T5_T6_T7_T9_mT8_P12ihipStream_tbDpT10_ENKUlT_T0_E_clISt17integral_constantIbLb1EES19_IbLb0EEEEDaS15_S16_EUlS15_E_NS1_11comp_targetILNS1_3genE10ELNS1_11target_archE1200ELNS1_3gpuE4ELNS1_3repE0EEENS1_30default_config_static_selectorELNS0_4arch9wavefront6targetE1EEEvT1_.num_named_barrier, 0
	.set _ZN7rocprim17ROCPRIM_400000_NS6detail17trampoline_kernelINS0_14default_configENS1_25partition_config_selectorILNS1_17partition_subalgoE9EllbEEZZNS1_14partition_implILS5_9ELb0ES3_jPlS8_PNS0_10empty_typeENS0_5tupleIJS8_S9_EEENSB_IJS8_SA_EEENS0_18inequality_wrapperIZN2at6native12_GLOBAL__N_124unique_dim_cuda_templateIbEESt5tupleIJNSF_6TensorESK_SK_EERKSK_lbbbEUlllE0_EEPmJS9_EEE10hipError_tPvRmT3_T4_T5_T6_T7_T9_mT8_P12ihipStream_tbDpT10_ENKUlT_T0_E_clISt17integral_constantIbLb1EES19_IbLb0EEEEDaS15_S16_EUlS15_E_NS1_11comp_targetILNS1_3genE10ELNS1_11target_archE1200ELNS1_3gpuE4ELNS1_3repE0EEENS1_30default_config_static_selectorELNS0_4arch9wavefront6targetE1EEEvT1_.private_seg_size, 0
	.set _ZN7rocprim17ROCPRIM_400000_NS6detail17trampoline_kernelINS0_14default_configENS1_25partition_config_selectorILNS1_17partition_subalgoE9EllbEEZZNS1_14partition_implILS5_9ELb0ES3_jPlS8_PNS0_10empty_typeENS0_5tupleIJS8_S9_EEENSB_IJS8_SA_EEENS0_18inequality_wrapperIZN2at6native12_GLOBAL__N_124unique_dim_cuda_templateIbEESt5tupleIJNSF_6TensorESK_SK_EERKSK_lbbbEUlllE0_EEPmJS9_EEE10hipError_tPvRmT3_T4_T5_T6_T7_T9_mT8_P12ihipStream_tbDpT10_ENKUlT_T0_E_clISt17integral_constantIbLb1EES19_IbLb0EEEEDaS15_S16_EUlS15_E_NS1_11comp_targetILNS1_3genE10ELNS1_11target_archE1200ELNS1_3gpuE4ELNS1_3repE0EEENS1_30default_config_static_selectorELNS0_4arch9wavefront6targetE1EEEvT1_.uses_vcc, 0
	.set _ZN7rocprim17ROCPRIM_400000_NS6detail17trampoline_kernelINS0_14default_configENS1_25partition_config_selectorILNS1_17partition_subalgoE9EllbEEZZNS1_14partition_implILS5_9ELb0ES3_jPlS8_PNS0_10empty_typeENS0_5tupleIJS8_S9_EEENSB_IJS8_SA_EEENS0_18inequality_wrapperIZN2at6native12_GLOBAL__N_124unique_dim_cuda_templateIbEESt5tupleIJNSF_6TensorESK_SK_EERKSK_lbbbEUlllE0_EEPmJS9_EEE10hipError_tPvRmT3_T4_T5_T6_T7_T9_mT8_P12ihipStream_tbDpT10_ENKUlT_T0_E_clISt17integral_constantIbLb1EES19_IbLb0EEEEDaS15_S16_EUlS15_E_NS1_11comp_targetILNS1_3genE10ELNS1_11target_archE1200ELNS1_3gpuE4ELNS1_3repE0EEENS1_30default_config_static_selectorELNS0_4arch9wavefront6targetE1EEEvT1_.uses_flat_scratch, 0
	.set _ZN7rocprim17ROCPRIM_400000_NS6detail17trampoline_kernelINS0_14default_configENS1_25partition_config_selectorILNS1_17partition_subalgoE9EllbEEZZNS1_14partition_implILS5_9ELb0ES3_jPlS8_PNS0_10empty_typeENS0_5tupleIJS8_S9_EEENSB_IJS8_SA_EEENS0_18inequality_wrapperIZN2at6native12_GLOBAL__N_124unique_dim_cuda_templateIbEESt5tupleIJNSF_6TensorESK_SK_EERKSK_lbbbEUlllE0_EEPmJS9_EEE10hipError_tPvRmT3_T4_T5_T6_T7_T9_mT8_P12ihipStream_tbDpT10_ENKUlT_T0_E_clISt17integral_constantIbLb1EES19_IbLb0EEEEDaS15_S16_EUlS15_E_NS1_11comp_targetILNS1_3genE10ELNS1_11target_archE1200ELNS1_3gpuE4ELNS1_3repE0EEENS1_30default_config_static_selectorELNS0_4arch9wavefront6targetE1EEEvT1_.has_dyn_sized_stack, 0
	.set _ZN7rocprim17ROCPRIM_400000_NS6detail17trampoline_kernelINS0_14default_configENS1_25partition_config_selectorILNS1_17partition_subalgoE9EllbEEZZNS1_14partition_implILS5_9ELb0ES3_jPlS8_PNS0_10empty_typeENS0_5tupleIJS8_S9_EEENSB_IJS8_SA_EEENS0_18inequality_wrapperIZN2at6native12_GLOBAL__N_124unique_dim_cuda_templateIbEESt5tupleIJNSF_6TensorESK_SK_EERKSK_lbbbEUlllE0_EEPmJS9_EEE10hipError_tPvRmT3_T4_T5_T6_T7_T9_mT8_P12ihipStream_tbDpT10_ENKUlT_T0_E_clISt17integral_constantIbLb1EES19_IbLb0EEEEDaS15_S16_EUlS15_E_NS1_11comp_targetILNS1_3genE10ELNS1_11target_archE1200ELNS1_3gpuE4ELNS1_3repE0EEENS1_30default_config_static_selectorELNS0_4arch9wavefront6targetE1EEEvT1_.has_recursion, 0
	.set _ZN7rocprim17ROCPRIM_400000_NS6detail17trampoline_kernelINS0_14default_configENS1_25partition_config_selectorILNS1_17partition_subalgoE9EllbEEZZNS1_14partition_implILS5_9ELb0ES3_jPlS8_PNS0_10empty_typeENS0_5tupleIJS8_S9_EEENSB_IJS8_SA_EEENS0_18inequality_wrapperIZN2at6native12_GLOBAL__N_124unique_dim_cuda_templateIbEESt5tupleIJNSF_6TensorESK_SK_EERKSK_lbbbEUlllE0_EEPmJS9_EEE10hipError_tPvRmT3_T4_T5_T6_T7_T9_mT8_P12ihipStream_tbDpT10_ENKUlT_T0_E_clISt17integral_constantIbLb1EES19_IbLb0EEEEDaS15_S16_EUlS15_E_NS1_11comp_targetILNS1_3genE10ELNS1_11target_archE1200ELNS1_3gpuE4ELNS1_3repE0EEENS1_30default_config_static_selectorELNS0_4arch9wavefront6targetE1EEEvT1_.has_indirect_call, 0
	.section	.AMDGPU.csdata,"",@progbits
; Kernel info:
; codeLenInByte = 0
; TotalNumSgprs: 6
; NumVgprs: 0
; NumAgprs: 0
; TotalNumVgprs: 0
; ScratchSize: 0
; MemoryBound: 0
; FloatMode: 240
; IeeeMode: 1
; LDSByteSize: 0 bytes/workgroup (compile time only)
; SGPRBlocks: 0
; VGPRBlocks: 0
; NumSGPRsForWavesPerEU: 6
; NumVGPRsForWavesPerEU: 1
; AccumOffset: 4
; Occupancy: 8
; WaveLimiterHint : 0
; COMPUTE_PGM_RSRC2:SCRATCH_EN: 0
; COMPUTE_PGM_RSRC2:USER_SGPR: 2
; COMPUTE_PGM_RSRC2:TRAP_HANDLER: 0
; COMPUTE_PGM_RSRC2:TGID_X_EN: 1
; COMPUTE_PGM_RSRC2:TGID_Y_EN: 0
; COMPUTE_PGM_RSRC2:TGID_Z_EN: 0
; COMPUTE_PGM_RSRC2:TIDIG_COMP_CNT: 0
; COMPUTE_PGM_RSRC3_GFX90A:ACCUM_OFFSET: 0
; COMPUTE_PGM_RSRC3_GFX90A:TG_SPLIT: 0
	.section	.text._ZN7rocprim17ROCPRIM_400000_NS6detail17trampoline_kernelINS0_14default_configENS1_25partition_config_selectorILNS1_17partition_subalgoE9EllbEEZZNS1_14partition_implILS5_9ELb0ES3_jPlS8_PNS0_10empty_typeENS0_5tupleIJS8_S9_EEENSB_IJS8_SA_EEENS0_18inequality_wrapperIZN2at6native12_GLOBAL__N_124unique_dim_cuda_templateIbEESt5tupleIJNSF_6TensorESK_SK_EERKSK_lbbbEUlllE0_EEPmJS9_EEE10hipError_tPvRmT3_T4_T5_T6_T7_T9_mT8_P12ihipStream_tbDpT10_ENKUlT_T0_E_clISt17integral_constantIbLb1EES19_IbLb0EEEEDaS15_S16_EUlS15_E_NS1_11comp_targetILNS1_3genE9ELNS1_11target_archE1100ELNS1_3gpuE3ELNS1_3repE0EEENS1_30default_config_static_selectorELNS0_4arch9wavefront6targetE1EEEvT1_,"axG",@progbits,_ZN7rocprim17ROCPRIM_400000_NS6detail17trampoline_kernelINS0_14default_configENS1_25partition_config_selectorILNS1_17partition_subalgoE9EllbEEZZNS1_14partition_implILS5_9ELb0ES3_jPlS8_PNS0_10empty_typeENS0_5tupleIJS8_S9_EEENSB_IJS8_SA_EEENS0_18inequality_wrapperIZN2at6native12_GLOBAL__N_124unique_dim_cuda_templateIbEESt5tupleIJNSF_6TensorESK_SK_EERKSK_lbbbEUlllE0_EEPmJS9_EEE10hipError_tPvRmT3_T4_T5_T6_T7_T9_mT8_P12ihipStream_tbDpT10_ENKUlT_T0_E_clISt17integral_constantIbLb1EES19_IbLb0EEEEDaS15_S16_EUlS15_E_NS1_11comp_targetILNS1_3genE9ELNS1_11target_archE1100ELNS1_3gpuE3ELNS1_3repE0EEENS1_30default_config_static_selectorELNS0_4arch9wavefront6targetE1EEEvT1_,comdat
	.globl	_ZN7rocprim17ROCPRIM_400000_NS6detail17trampoline_kernelINS0_14default_configENS1_25partition_config_selectorILNS1_17partition_subalgoE9EllbEEZZNS1_14partition_implILS5_9ELb0ES3_jPlS8_PNS0_10empty_typeENS0_5tupleIJS8_S9_EEENSB_IJS8_SA_EEENS0_18inequality_wrapperIZN2at6native12_GLOBAL__N_124unique_dim_cuda_templateIbEESt5tupleIJNSF_6TensorESK_SK_EERKSK_lbbbEUlllE0_EEPmJS9_EEE10hipError_tPvRmT3_T4_T5_T6_T7_T9_mT8_P12ihipStream_tbDpT10_ENKUlT_T0_E_clISt17integral_constantIbLb1EES19_IbLb0EEEEDaS15_S16_EUlS15_E_NS1_11comp_targetILNS1_3genE9ELNS1_11target_archE1100ELNS1_3gpuE3ELNS1_3repE0EEENS1_30default_config_static_selectorELNS0_4arch9wavefront6targetE1EEEvT1_ ; -- Begin function _ZN7rocprim17ROCPRIM_400000_NS6detail17trampoline_kernelINS0_14default_configENS1_25partition_config_selectorILNS1_17partition_subalgoE9EllbEEZZNS1_14partition_implILS5_9ELb0ES3_jPlS8_PNS0_10empty_typeENS0_5tupleIJS8_S9_EEENSB_IJS8_SA_EEENS0_18inequality_wrapperIZN2at6native12_GLOBAL__N_124unique_dim_cuda_templateIbEESt5tupleIJNSF_6TensorESK_SK_EERKSK_lbbbEUlllE0_EEPmJS9_EEE10hipError_tPvRmT3_T4_T5_T6_T7_T9_mT8_P12ihipStream_tbDpT10_ENKUlT_T0_E_clISt17integral_constantIbLb1EES19_IbLb0EEEEDaS15_S16_EUlS15_E_NS1_11comp_targetILNS1_3genE9ELNS1_11target_archE1100ELNS1_3gpuE3ELNS1_3repE0EEENS1_30default_config_static_selectorELNS0_4arch9wavefront6targetE1EEEvT1_
	.p2align	8
	.type	_ZN7rocprim17ROCPRIM_400000_NS6detail17trampoline_kernelINS0_14default_configENS1_25partition_config_selectorILNS1_17partition_subalgoE9EllbEEZZNS1_14partition_implILS5_9ELb0ES3_jPlS8_PNS0_10empty_typeENS0_5tupleIJS8_S9_EEENSB_IJS8_SA_EEENS0_18inequality_wrapperIZN2at6native12_GLOBAL__N_124unique_dim_cuda_templateIbEESt5tupleIJNSF_6TensorESK_SK_EERKSK_lbbbEUlllE0_EEPmJS9_EEE10hipError_tPvRmT3_T4_T5_T6_T7_T9_mT8_P12ihipStream_tbDpT10_ENKUlT_T0_E_clISt17integral_constantIbLb1EES19_IbLb0EEEEDaS15_S16_EUlS15_E_NS1_11comp_targetILNS1_3genE9ELNS1_11target_archE1100ELNS1_3gpuE3ELNS1_3repE0EEENS1_30default_config_static_selectorELNS0_4arch9wavefront6targetE1EEEvT1_,@function
_ZN7rocprim17ROCPRIM_400000_NS6detail17trampoline_kernelINS0_14default_configENS1_25partition_config_selectorILNS1_17partition_subalgoE9EllbEEZZNS1_14partition_implILS5_9ELb0ES3_jPlS8_PNS0_10empty_typeENS0_5tupleIJS8_S9_EEENSB_IJS8_SA_EEENS0_18inequality_wrapperIZN2at6native12_GLOBAL__N_124unique_dim_cuda_templateIbEESt5tupleIJNSF_6TensorESK_SK_EERKSK_lbbbEUlllE0_EEPmJS9_EEE10hipError_tPvRmT3_T4_T5_T6_T7_T9_mT8_P12ihipStream_tbDpT10_ENKUlT_T0_E_clISt17integral_constantIbLb1EES19_IbLb0EEEEDaS15_S16_EUlS15_E_NS1_11comp_targetILNS1_3genE9ELNS1_11target_archE1100ELNS1_3gpuE3ELNS1_3repE0EEENS1_30default_config_static_selectorELNS0_4arch9wavefront6targetE1EEEvT1_: ; @_ZN7rocprim17ROCPRIM_400000_NS6detail17trampoline_kernelINS0_14default_configENS1_25partition_config_selectorILNS1_17partition_subalgoE9EllbEEZZNS1_14partition_implILS5_9ELb0ES3_jPlS8_PNS0_10empty_typeENS0_5tupleIJS8_S9_EEENSB_IJS8_SA_EEENS0_18inequality_wrapperIZN2at6native12_GLOBAL__N_124unique_dim_cuda_templateIbEESt5tupleIJNSF_6TensorESK_SK_EERKSK_lbbbEUlllE0_EEPmJS9_EEE10hipError_tPvRmT3_T4_T5_T6_T7_T9_mT8_P12ihipStream_tbDpT10_ENKUlT_T0_E_clISt17integral_constantIbLb1EES19_IbLb0EEEEDaS15_S16_EUlS15_E_NS1_11comp_targetILNS1_3genE9ELNS1_11target_archE1100ELNS1_3gpuE3ELNS1_3repE0EEENS1_30default_config_static_selectorELNS0_4arch9wavefront6targetE1EEEvT1_
; %bb.0:
	.section	.rodata,"a",@progbits
	.p2align	6, 0x0
	.amdhsa_kernel _ZN7rocprim17ROCPRIM_400000_NS6detail17trampoline_kernelINS0_14default_configENS1_25partition_config_selectorILNS1_17partition_subalgoE9EllbEEZZNS1_14partition_implILS5_9ELb0ES3_jPlS8_PNS0_10empty_typeENS0_5tupleIJS8_S9_EEENSB_IJS8_SA_EEENS0_18inequality_wrapperIZN2at6native12_GLOBAL__N_124unique_dim_cuda_templateIbEESt5tupleIJNSF_6TensorESK_SK_EERKSK_lbbbEUlllE0_EEPmJS9_EEE10hipError_tPvRmT3_T4_T5_T6_T7_T9_mT8_P12ihipStream_tbDpT10_ENKUlT_T0_E_clISt17integral_constantIbLb1EES19_IbLb0EEEEDaS15_S16_EUlS15_E_NS1_11comp_targetILNS1_3genE9ELNS1_11target_archE1100ELNS1_3gpuE3ELNS1_3repE0EEENS1_30default_config_static_selectorELNS0_4arch9wavefront6targetE1EEEvT1_
		.amdhsa_group_segment_fixed_size 0
		.amdhsa_private_segment_fixed_size 0
		.amdhsa_kernarg_size 120
		.amdhsa_user_sgpr_count 2
		.amdhsa_user_sgpr_dispatch_ptr 0
		.amdhsa_user_sgpr_queue_ptr 0
		.amdhsa_user_sgpr_kernarg_segment_ptr 1
		.amdhsa_user_sgpr_dispatch_id 0
		.amdhsa_user_sgpr_kernarg_preload_length 0
		.amdhsa_user_sgpr_kernarg_preload_offset 0
		.amdhsa_user_sgpr_private_segment_size 0
		.amdhsa_uses_dynamic_stack 0
		.amdhsa_enable_private_segment 0
		.amdhsa_system_sgpr_workgroup_id_x 1
		.amdhsa_system_sgpr_workgroup_id_y 0
		.amdhsa_system_sgpr_workgroup_id_z 0
		.amdhsa_system_sgpr_workgroup_info 0
		.amdhsa_system_vgpr_workitem_id 0
		.amdhsa_next_free_vgpr 1
		.amdhsa_next_free_sgpr 0
		.amdhsa_accum_offset 4
		.amdhsa_reserve_vcc 0
		.amdhsa_float_round_mode_32 0
		.amdhsa_float_round_mode_16_64 0
		.amdhsa_float_denorm_mode_32 3
		.amdhsa_float_denorm_mode_16_64 3
		.amdhsa_dx10_clamp 1
		.amdhsa_ieee_mode 1
		.amdhsa_fp16_overflow 0
		.amdhsa_tg_split 0
		.amdhsa_exception_fp_ieee_invalid_op 0
		.amdhsa_exception_fp_denorm_src 0
		.amdhsa_exception_fp_ieee_div_zero 0
		.amdhsa_exception_fp_ieee_overflow 0
		.amdhsa_exception_fp_ieee_underflow 0
		.amdhsa_exception_fp_ieee_inexact 0
		.amdhsa_exception_int_div_zero 0
	.end_amdhsa_kernel
	.section	.text._ZN7rocprim17ROCPRIM_400000_NS6detail17trampoline_kernelINS0_14default_configENS1_25partition_config_selectorILNS1_17partition_subalgoE9EllbEEZZNS1_14partition_implILS5_9ELb0ES3_jPlS8_PNS0_10empty_typeENS0_5tupleIJS8_S9_EEENSB_IJS8_SA_EEENS0_18inequality_wrapperIZN2at6native12_GLOBAL__N_124unique_dim_cuda_templateIbEESt5tupleIJNSF_6TensorESK_SK_EERKSK_lbbbEUlllE0_EEPmJS9_EEE10hipError_tPvRmT3_T4_T5_T6_T7_T9_mT8_P12ihipStream_tbDpT10_ENKUlT_T0_E_clISt17integral_constantIbLb1EES19_IbLb0EEEEDaS15_S16_EUlS15_E_NS1_11comp_targetILNS1_3genE9ELNS1_11target_archE1100ELNS1_3gpuE3ELNS1_3repE0EEENS1_30default_config_static_selectorELNS0_4arch9wavefront6targetE1EEEvT1_,"axG",@progbits,_ZN7rocprim17ROCPRIM_400000_NS6detail17trampoline_kernelINS0_14default_configENS1_25partition_config_selectorILNS1_17partition_subalgoE9EllbEEZZNS1_14partition_implILS5_9ELb0ES3_jPlS8_PNS0_10empty_typeENS0_5tupleIJS8_S9_EEENSB_IJS8_SA_EEENS0_18inequality_wrapperIZN2at6native12_GLOBAL__N_124unique_dim_cuda_templateIbEESt5tupleIJNSF_6TensorESK_SK_EERKSK_lbbbEUlllE0_EEPmJS9_EEE10hipError_tPvRmT3_T4_T5_T6_T7_T9_mT8_P12ihipStream_tbDpT10_ENKUlT_T0_E_clISt17integral_constantIbLb1EES19_IbLb0EEEEDaS15_S16_EUlS15_E_NS1_11comp_targetILNS1_3genE9ELNS1_11target_archE1100ELNS1_3gpuE3ELNS1_3repE0EEENS1_30default_config_static_selectorELNS0_4arch9wavefront6targetE1EEEvT1_,comdat
.Lfunc_end1105:
	.size	_ZN7rocprim17ROCPRIM_400000_NS6detail17trampoline_kernelINS0_14default_configENS1_25partition_config_selectorILNS1_17partition_subalgoE9EllbEEZZNS1_14partition_implILS5_9ELb0ES3_jPlS8_PNS0_10empty_typeENS0_5tupleIJS8_S9_EEENSB_IJS8_SA_EEENS0_18inequality_wrapperIZN2at6native12_GLOBAL__N_124unique_dim_cuda_templateIbEESt5tupleIJNSF_6TensorESK_SK_EERKSK_lbbbEUlllE0_EEPmJS9_EEE10hipError_tPvRmT3_T4_T5_T6_T7_T9_mT8_P12ihipStream_tbDpT10_ENKUlT_T0_E_clISt17integral_constantIbLb1EES19_IbLb0EEEEDaS15_S16_EUlS15_E_NS1_11comp_targetILNS1_3genE9ELNS1_11target_archE1100ELNS1_3gpuE3ELNS1_3repE0EEENS1_30default_config_static_selectorELNS0_4arch9wavefront6targetE1EEEvT1_, .Lfunc_end1105-_ZN7rocprim17ROCPRIM_400000_NS6detail17trampoline_kernelINS0_14default_configENS1_25partition_config_selectorILNS1_17partition_subalgoE9EllbEEZZNS1_14partition_implILS5_9ELb0ES3_jPlS8_PNS0_10empty_typeENS0_5tupleIJS8_S9_EEENSB_IJS8_SA_EEENS0_18inequality_wrapperIZN2at6native12_GLOBAL__N_124unique_dim_cuda_templateIbEESt5tupleIJNSF_6TensorESK_SK_EERKSK_lbbbEUlllE0_EEPmJS9_EEE10hipError_tPvRmT3_T4_T5_T6_T7_T9_mT8_P12ihipStream_tbDpT10_ENKUlT_T0_E_clISt17integral_constantIbLb1EES19_IbLb0EEEEDaS15_S16_EUlS15_E_NS1_11comp_targetILNS1_3genE9ELNS1_11target_archE1100ELNS1_3gpuE3ELNS1_3repE0EEENS1_30default_config_static_selectorELNS0_4arch9wavefront6targetE1EEEvT1_
                                        ; -- End function
	.set _ZN7rocprim17ROCPRIM_400000_NS6detail17trampoline_kernelINS0_14default_configENS1_25partition_config_selectorILNS1_17partition_subalgoE9EllbEEZZNS1_14partition_implILS5_9ELb0ES3_jPlS8_PNS0_10empty_typeENS0_5tupleIJS8_S9_EEENSB_IJS8_SA_EEENS0_18inequality_wrapperIZN2at6native12_GLOBAL__N_124unique_dim_cuda_templateIbEESt5tupleIJNSF_6TensorESK_SK_EERKSK_lbbbEUlllE0_EEPmJS9_EEE10hipError_tPvRmT3_T4_T5_T6_T7_T9_mT8_P12ihipStream_tbDpT10_ENKUlT_T0_E_clISt17integral_constantIbLb1EES19_IbLb0EEEEDaS15_S16_EUlS15_E_NS1_11comp_targetILNS1_3genE9ELNS1_11target_archE1100ELNS1_3gpuE3ELNS1_3repE0EEENS1_30default_config_static_selectorELNS0_4arch9wavefront6targetE1EEEvT1_.num_vgpr, 0
	.set _ZN7rocprim17ROCPRIM_400000_NS6detail17trampoline_kernelINS0_14default_configENS1_25partition_config_selectorILNS1_17partition_subalgoE9EllbEEZZNS1_14partition_implILS5_9ELb0ES3_jPlS8_PNS0_10empty_typeENS0_5tupleIJS8_S9_EEENSB_IJS8_SA_EEENS0_18inequality_wrapperIZN2at6native12_GLOBAL__N_124unique_dim_cuda_templateIbEESt5tupleIJNSF_6TensorESK_SK_EERKSK_lbbbEUlllE0_EEPmJS9_EEE10hipError_tPvRmT3_T4_T5_T6_T7_T9_mT8_P12ihipStream_tbDpT10_ENKUlT_T0_E_clISt17integral_constantIbLb1EES19_IbLb0EEEEDaS15_S16_EUlS15_E_NS1_11comp_targetILNS1_3genE9ELNS1_11target_archE1100ELNS1_3gpuE3ELNS1_3repE0EEENS1_30default_config_static_selectorELNS0_4arch9wavefront6targetE1EEEvT1_.num_agpr, 0
	.set _ZN7rocprim17ROCPRIM_400000_NS6detail17trampoline_kernelINS0_14default_configENS1_25partition_config_selectorILNS1_17partition_subalgoE9EllbEEZZNS1_14partition_implILS5_9ELb0ES3_jPlS8_PNS0_10empty_typeENS0_5tupleIJS8_S9_EEENSB_IJS8_SA_EEENS0_18inequality_wrapperIZN2at6native12_GLOBAL__N_124unique_dim_cuda_templateIbEESt5tupleIJNSF_6TensorESK_SK_EERKSK_lbbbEUlllE0_EEPmJS9_EEE10hipError_tPvRmT3_T4_T5_T6_T7_T9_mT8_P12ihipStream_tbDpT10_ENKUlT_T0_E_clISt17integral_constantIbLb1EES19_IbLb0EEEEDaS15_S16_EUlS15_E_NS1_11comp_targetILNS1_3genE9ELNS1_11target_archE1100ELNS1_3gpuE3ELNS1_3repE0EEENS1_30default_config_static_selectorELNS0_4arch9wavefront6targetE1EEEvT1_.numbered_sgpr, 0
	.set _ZN7rocprim17ROCPRIM_400000_NS6detail17trampoline_kernelINS0_14default_configENS1_25partition_config_selectorILNS1_17partition_subalgoE9EllbEEZZNS1_14partition_implILS5_9ELb0ES3_jPlS8_PNS0_10empty_typeENS0_5tupleIJS8_S9_EEENSB_IJS8_SA_EEENS0_18inequality_wrapperIZN2at6native12_GLOBAL__N_124unique_dim_cuda_templateIbEESt5tupleIJNSF_6TensorESK_SK_EERKSK_lbbbEUlllE0_EEPmJS9_EEE10hipError_tPvRmT3_T4_T5_T6_T7_T9_mT8_P12ihipStream_tbDpT10_ENKUlT_T0_E_clISt17integral_constantIbLb1EES19_IbLb0EEEEDaS15_S16_EUlS15_E_NS1_11comp_targetILNS1_3genE9ELNS1_11target_archE1100ELNS1_3gpuE3ELNS1_3repE0EEENS1_30default_config_static_selectorELNS0_4arch9wavefront6targetE1EEEvT1_.num_named_barrier, 0
	.set _ZN7rocprim17ROCPRIM_400000_NS6detail17trampoline_kernelINS0_14default_configENS1_25partition_config_selectorILNS1_17partition_subalgoE9EllbEEZZNS1_14partition_implILS5_9ELb0ES3_jPlS8_PNS0_10empty_typeENS0_5tupleIJS8_S9_EEENSB_IJS8_SA_EEENS0_18inequality_wrapperIZN2at6native12_GLOBAL__N_124unique_dim_cuda_templateIbEESt5tupleIJNSF_6TensorESK_SK_EERKSK_lbbbEUlllE0_EEPmJS9_EEE10hipError_tPvRmT3_T4_T5_T6_T7_T9_mT8_P12ihipStream_tbDpT10_ENKUlT_T0_E_clISt17integral_constantIbLb1EES19_IbLb0EEEEDaS15_S16_EUlS15_E_NS1_11comp_targetILNS1_3genE9ELNS1_11target_archE1100ELNS1_3gpuE3ELNS1_3repE0EEENS1_30default_config_static_selectorELNS0_4arch9wavefront6targetE1EEEvT1_.private_seg_size, 0
	.set _ZN7rocprim17ROCPRIM_400000_NS6detail17trampoline_kernelINS0_14default_configENS1_25partition_config_selectorILNS1_17partition_subalgoE9EllbEEZZNS1_14partition_implILS5_9ELb0ES3_jPlS8_PNS0_10empty_typeENS0_5tupleIJS8_S9_EEENSB_IJS8_SA_EEENS0_18inequality_wrapperIZN2at6native12_GLOBAL__N_124unique_dim_cuda_templateIbEESt5tupleIJNSF_6TensorESK_SK_EERKSK_lbbbEUlllE0_EEPmJS9_EEE10hipError_tPvRmT3_T4_T5_T6_T7_T9_mT8_P12ihipStream_tbDpT10_ENKUlT_T0_E_clISt17integral_constantIbLb1EES19_IbLb0EEEEDaS15_S16_EUlS15_E_NS1_11comp_targetILNS1_3genE9ELNS1_11target_archE1100ELNS1_3gpuE3ELNS1_3repE0EEENS1_30default_config_static_selectorELNS0_4arch9wavefront6targetE1EEEvT1_.uses_vcc, 0
	.set _ZN7rocprim17ROCPRIM_400000_NS6detail17trampoline_kernelINS0_14default_configENS1_25partition_config_selectorILNS1_17partition_subalgoE9EllbEEZZNS1_14partition_implILS5_9ELb0ES3_jPlS8_PNS0_10empty_typeENS0_5tupleIJS8_S9_EEENSB_IJS8_SA_EEENS0_18inequality_wrapperIZN2at6native12_GLOBAL__N_124unique_dim_cuda_templateIbEESt5tupleIJNSF_6TensorESK_SK_EERKSK_lbbbEUlllE0_EEPmJS9_EEE10hipError_tPvRmT3_T4_T5_T6_T7_T9_mT8_P12ihipStream_tbDpT10_ENKUlT_T0_E_clISt17integral_constantIbLb1EES19_IbLb0EEEEDaS15_S16_EUlS15_E_NS1_11comp_targetILNS1_3genE9ELNS1_11target_archE1100ELNS1_3gpuE3ELNS1_3repE0EEENS1_30default_config_static_selectorELNS0_4arch9wavefront6targetE1EEEvT1_.uses_flat_scratch, 0
	.set _ZN7rocprim17ROCPRIM_400000_NS6detail17trampoline_kernelINS0_14default_configENS1_25partition_config_selectorILNS1_17partition_subalgoE9EllbEEZZNS1_14partition_implILS5_9ELb0ES3_jPlS8_PNS0_10empty_typeENS0_5tupleIJS8_S9_EEENSB_IJS8_SA_EEENS0_18inequality_wrapperIZN2at6native12_GLOBAL__N_124unique_dim_cuda_templateIbEESt5tupleIJNSF_6TensorESK_SK_EERKSK_lbbbEUlllE0_EEPmJS9_EEE10hipError_tPvRmT3_T4_T5_T6_T7_T9_mT8_P12ihipStream_tbDpT10_ENKUlT_T0_E_clISt17integral_constantIbLb1EES19_IbLb0EEEEDaS15_S16_EUlS15_E_NS1_11comp_targetILNS1_3genE9ELNS1_11target_archE1100ELNS1_3gpuE3ELNS1_3repE0EEENS1_30default_config_static_selectorELNS0_4arch9wavefront6targetE1EEEvT1_.has_dyn_sized_stack, 0
	.set _ZN7rocprim17ROCPRIM_400000_NS6detail17trampoline_kernelINS0_14default_configENS1_25partition_config_selectorILNS1_17partition_subalgoE9EllbEEZZNS1_14partition_implILS5_9ELb0ES3_jPlS8_PNS0_10empty_typeENS0_5tupleIJS8_S9_EEENSB_IJS8_SA_EEENS0_18inequality_wrapperIZN2at6native12_GLOBAL__N_124unique_dim_cuda_templateIbEESt5tupleIJNSF_6TensorESK_SK_EERKSK_lbbbEUlllE0_EEPmJS9_EEE10hipError_tPvRmT3_T4_T5_T6_T7_T9_mT8_P12ihipStream_tbDpT10_ENKUlT_T0_E_clISt17integral_constantIbLb1EES19_IbLb0EEEEDaS15_S16_EUlS15_E_NS1_11comp_targetILNS1_3genE9ELNS1_11target_archE1100ELNS1_3gpuE3ELNS1_3repE0EEENS1_30default_config_static_selectorELNS0_4arch9wavefront6targetE1EEEvT1_.has_recursion, 0
	.set _ZN7rocprim17ROCPRIM_400000_NS6detail17trampoline_kernelINS0_14default_configENS1_25partition_config_selectorILNS1_17partition_subalgoE9EllbEEZZNS1_14partition_implILS5_9ELb0ES3_jPlS8_PNS0_10empty_typeENS0_5tupleIJS8_S9_EEENSB_IJS8_SA_EEENS0_18inequality_wrapperIZN2at6native12_GLOBAL__N_124unique_dim_cuda_templateIbEESt5tupleIJNSF_6TensorESK_SK_EERKSK_lbbbEUlllE0_EEPmJS9_EEE10hipError_tPvRmT3_T4_T5_T6_T7_T9_mT8_P12ihipStream_tbDpT10_ENKUlT_T0_E_clISt17integral_constantIbLb1EES19_IbLb0EEEEDaS15_S16_EUlS15_E_NS1_11comp_targetILNS1_3genE9ELNS1_11target_archE1100ELNS1_3gpuE3ELNS1_3repE0EEENS1_30default_config_static_selectorELNS0_4arch9wavefront6targetE1EEEvT1_.has_indirect_call, 0
	.section	.AMDGPU.csdata,"",@progbits
; Kernel info:
; codeLenInByte = 0
; TotalNumSgprs: 6
; NumVgprs: 0
; NumAgprs: 0
; TotalNumVgprs: 0
; ScratchSize: 0
; MemoryBound: 0
; FloatMode: 240
; IeeeMode: 1
; LDSByteSize: 0 bytes/workgroup (compile time only)
; SGPRBlocks: 0
; VGPRBlocks: 0
; NumSGPRsForWavesPerEU: 6
; NumVGPRsForWavesPerEU: 1
; AccumOffset: 4
; Occupancy: 8
; WaveLimiterHint : 0
; COMPUTE_PGM_RSRC2:SCRATCH_EN: 0
; COMPUTE_PGM_RSRC2:USER_SGPR: 2
; COMPUTE_PGM_RSRC2:TRAP_HANDLER: 0
; COMPUTE_PGM_RSRC2:TGID_X_EN: 1
; COMPUTE_PGM_RSRC2:TGID_Y_EN: 0
; COMPUTE_PGM_RSRC2:TGID_Z_EN: 0
; COMPUTE_PGM_RSRC2:TIDIG_COMP_CNT: 0
; COMPUTE_PGM_RSRC3_GFX90A:ACCUM_OFFSET: 0
; COMPUTE_PGM_RSRC3_GFX90A:TG_SPLIT: 0
	.section	.text._ZN7rocprim17ROCPRIM_400000_NS6detail17trampoline_kernelINS0_14default_configENS1_25partition_config_selectorILNS1_17partition_subalgoE9EllbEEZZNS1_14partition_implILS5_9ELb0ES3_jPlS8_PNS0_10empty_typeENS0_5tupleIJS8_S9_EEENSB_IJS8_SA_EEENS0_18inequality_wrapperIZN2at6native12_GLOBAL__N_124unique_dim_cuda_templateIbEESt5tupleIJNSF_6TensorESK_SK_EERKSK_lbbbEUlllE0_EEPmJS9_EEE10hipError_tPvRmT3_T4_T5_T6_T7_T9_mT8_P12ihipStream_tbDpT10_ENKUlT_T0_E_clISt17integral_constantIbLb1EES19_IbLb0EEEEDaS15_S16_EUlS15_E_NS1_11comp_targetILNS1_3genE8ELNS1_11target_archE1030ELNS1_3gpuE2ELNS1_3repE0EEENS1_30default_config_static_selectorELNS0_4arch9wavefront6targetE1EEEvT1_,"axG",@progbits,_ZN7rocprim17ROCPRIM_400000_NS6detail17trampoline_kernelINS0_14default_configENS1_25partition_config_selectorILNS1_17partition_subalgoE9EllbEEZZNS1_14partition_implILS5_9ELb0ES3_jPlS8_PNS0_10empty_typeENS0_5tupleIJS8_S9_EEENSB_IJS8_SA_EEENS0_18inequality_wrapperIZN2at6native12_GLOBAL__N_124unique_dim_cuda_templateIbEESt5tupleIJNSF_6TensorESK_SK_EERKSK_lbbbEUlllE0_EEPmJS9_EEE10hipError_tPvRmT3_T4_T5_T6_T7_T9_mT8_P12ihipStream_tbDpT10_ENKUlT_T0_E_clISt17integral_constantIbLb1EES19_IbLb0EEEEDaS15_S16_EUlS15_E_NS1_11comp_targetILNS1_3genE8ELNS1_11target_archE1030ELNS1_3gpuE2ELNS1_3repE0EEENS1_30default_config_static_selectorELNS0_4arch9wavefront6targetE1EEEvT1_,comdat
	.globl	_ZN7rocprim17ROCPRIM_400000_NS6detail17trampoline_kernelINS0_14default_configENS1_25partition_config_selectorILNS1_17partition_subalgoE9EllbEEZZNS1_14partition_implILS5_9ELb0ES3_jPlS8_PNS0_10empty_typeENS0_5tupleIJS8_S9_EEENSB_IJS8_SA_EEENS0_18inequality_wrapperIZN2at6native12_GLOBAL__N_124unique_dim_cuda_templateIbEESt5tupleIJNSF_6TensorESK_SK_EERKSK_lbbbEUlllE0_EEPmJS9_EEE10hipError_tPvRmT3_T4_T5_T6_T7_T9_mT8_P12ihipStream_tbDpT10_ENKUlT_T0_E_clISt17integral_constantIbLb1EES19_IbLb0EEEEDaS15_S16_EUlS15_E_NS1_11comp_targetILNS1_3genE8ELNS1_11target_archE1030ELNS1_3gpuE2ELNS1_3repE0EEENS1_30default_config_static_selectorELNS0_4arch9wavefront6targetE1EEEvT1_ ; -- Begin function _ZN7rocprim17ROCPRIM_400000_NS6detail17trampoline_kernelINS0_14default_configENS1_25partition_config_selectorILNS1_17partition_subalgoE9EllbEEZZNS1_14partition_implILS5_9ELb0ES3_jPlS8_PNS0_10empty_typeENS0_5tupleIJS8_S9_EEENSB_IJS8_SA_EEENS0_18inequality_wrapperIZN2at6native12_GLOBAL__N_124unique_dim_cuda_templateIbEESt5tupleIJNSF_6TensorESK_SK_EERKSK_lbbbEUlllE0_EEPmJS9_EEE10hipError_tPvRmT3_T4_T5_T6_T7_T9_mT8_P12ihipStream_tbDpT10_ENKUlT_T0_E_clISt17integral_constantIbLb1EES19_IbLb0EEEEDaS15_S16_EUlS15_E_NS1_11comp_targetILNS1_3genE8ELNS1_11target_archE1030ELNS1_3gpuE2ELNS1_3repE0EEENS1_30default_config_static_selectorELNS0_4arch9wavefront6targetE1EEEvT1_
	.p2align	8
	.type	_ZN7rocprim17ROCPRIM_400000_NS6detail17trampoline_kernelINS0_14default_configENS1_25partition_config_selectorILNS1_17partition_subalgoE9EllbEEZZNS1_14partition_implILS5_9ELb0ES3_jPlS8_PNS0_10empty_typeENS0_5tupleIJS8_S9_EEENSB_IJS8_SA_EEENS0_18inequality_wrapperIZN2at6native12_GLOBAL__N_124unique_dim_cuda_templateIbEESt5tupleIJNSF_6TensorESK_SK_EERKSK_lbbbEUlllE0_EEPmJS9_EEE10hipError_tPvRmT3_T4_T5_T6_T7_T9_mT8_P12ihipStream_tbDpT10_ENKUlT_T0_E_clISt17integral_constantIbLb1EES19_IbLb0EEEEDaS15_S16_EUlS15_E_NS1_11comp_targetILNS1_3genE8ELNS1_11target_archE1030ELNS1_3gpuE2ELNS1_3repE0EEENS1_30default_config_static_selectorELNS0_4arch9wavefront6targetE1EEEvT1_,@function
_ZN7rocprim17ROCPRIM_400000_NS6detail17trampoline_kernelINS0_14default_configENS1_25partition_config_selectorILNS1_17partition_subalgoE9EllbEEZZNS1_14partition_implILS5_9ELb0ES3_jPlS8_PNS0_10empty_typeENS0_5tupleIJS8_S9_EEENSB_IJS8_SA_EEENS0_18inequality_wrapperIZN2at6native12_GLOBAL__N_124unique_dim_cuda_templateIbEESt5tupleIJNSF_6TensorESK_SK_EERKSK_lbbbEUlllE0_EEPmJS9_EEE10hipError_tPvRmT3_T4_T5_T6_T7_T9_mT8_P12ihipStream_tbDpT10_ENKUlT_T0_E_clISt17integral_constantIbLb1EES19_IbLb0EEEEDaS15_S16_EUlS15_E_NS1_11comp_targetILNS1_3genE8ELNS1_11target_archE1030ELNS1_3gpuE2ELNS1_3repE0EEENS1_30default_config_static_selectorELNS0_4arch9wavefront6targetE1EEEvT1_: ; @_ZN7rocprim17ROCPRIM_400000_NS6detail17trampoline_kernelINS0_14default_configENS1_25partition_config_selectorILNS1_17partition_subalgoE9EllbEEZZNS1_14partition_implILS5_9ELb0ES3_jPlS8_PNS0_10empty_typeENS0_5tupleIJS8_S9_EEENSB_IJS8_SA_EEENS0_18inequality_wrapperIZN2at6native12_GLOBAL__N_124unique_dim_cuda_templateIbEESt5tupleIJNSF_6TensorESK_SK_EERKSK_lbbbEUlllE0_EEPmJS9_EEE10hipError_tPvRmT3_T4_T5_T6_T7_T9_mT8_P12ihipStream_tbDpT10_ENKUlT_T0_E_clISt17integral_constantIbLb1EES19_IbLb0EEEEDaS15_S16_EUlS15_E_NS1_11comp_targetILNS1_3genE8ELNS1_11target_archE1030ELNS1_3gpuE2ELNS1_3repE0EEENS1_30default_config_static_selectorELNS0_4arch9wavefront6targetE1EEEvT1_
; %bb.0:
	.section	.rodata,"a",@progbits
	.p2align	6, 0x0
	.amdhsa_kernel _ZN7rocprim17ROCPRIM_400000_NS6detail17trampoline_kernelINS0_14default_configENS1_25partition_config_selectorILNS1_17partition_subalgoE9EllbEEZZNS1_14partition_implILS5_9ELb0ES3_jPlS8_PNS0_10empty_typeENS0_5tupleIJS8_S9_EEENSB_IJS8_SA_EEENS0_18inequality_wrapperIZN2at6native12_GLOBAL__N_124unique_dim_cuda_templateIbEESt5tupleIJNSF_6TensorESK_SK_EERKSK_lbbbEUlllE0_EEPmJS9_EEE10hipError_tPvRmT3_T4_T5_T6_T7_T9_mT8_P12ihipStream_tbDpT10_ENKUlT_T0_E_clISt17integral_constantIbLb1EES19_IbLb0EEEEDaS15_S16_EUlS15_E_NS1_11comp_targetILNS1_3genE8ELNS1_11target_archE1030ELNS1_3gpuE2ELNS1_3repE0EEENS1_30default_config_static_selectorELNS0_4arch9wavefront6targetE1EEEvT1_
		.amdhsa_group_segment_fixed_size 0
		.amdhsa_private_segment_fixed_size 0
		.amdhsa_kernarg_size 120
		.amdhsa_user_sgpr_count 2
		.amdhsa_user_sgpr_dispatch_ptr 0
		.amdhsa_user_sgpr_queue_ptr 0
		.amdhsa_user_sgpr_kernarg_segment_ptr 1
		.amdhsa_user_sgpr_dispatch_id 0
		.amdhsa_user_sgpr_kernarg_preload_length 0
		.amdhsa_user_sgpr_kernarg_preload_offset 0
		.amdhsa_user_sgpr_private_segment_size 0
		.amdhsa_uses_dynamic_stack 0
		.amdhsa_enable_private_segment 0
		.amdhsa_system_sgpr_workgroup_id_x 1
		.amdhsa_system_sgpr_workgroup_id_y 0
		.amdhsa_system_sgpr_workgroup_id_z 0
		.amdhsa_system_sgpr_workgroup_info 0
		.amdhsa_system_vgpr_workitem_id 0
		.amdhsa_next_free_vgpr 1
		.amdhsa_next_free_sgpr 0
		.amdhsa_accum_offset 4
		.amdhsa_reserve_vcc 0
		.amdhsa_float_round_mode_32 0
		.amdhsa_float_round_mode_16_64 0
		.amdhsa_float_denorm_mode_32 3
		.amdhsa_float_denorm_mode_16_64 3
		.amdhsa_dx10_clamp 1
		.amdhsa_ieee_mode 1
		.amdhsa_fp16_overflow 0
		.amdhsa_tg_split 0
		.amdhsa_exception_fp_ieee_invalid_op 0
		.amdhsa_exception_fp_denorm_src 0
		.amdhsa_exception_fp_ieee_div_zero 0
		.amdhsa_exception_fp_ieee_overflow 0
		.amdhsa_exception_fp_ieee_underflow 0
		.amdhsa_exception_fp_ieee_inexact 0
		.amdhsa_exception_int_div_zero 0
	.end_amdhsa_kernel
	.section	.text._ZN7rocprim17ROCPRIM_400000_NS6detail17trampoline_kernelINS0_14default_configENS1_25partition_config_selectorILNS1_17partition_subalgoE9EllbEEZZNS1_14partition_implILS5_9ELb0ES3_jPlS8_PNS0_10empty_typeENS0_5tupleIJS8_S9_EEENSB_IJS8_SA_EEENS0_18inequality_wrapperIZN2at6native12_GLOBAL__N_124unique_dim_cuda_templateIbEESt5tupleIJNSF_6TensorESK_SK_EERKSK_lbbbEUlllE0_EEPmJS9_EEE10hipError_tPvRmT3_T4_T5_T6_T7_T9_mT8_P12ihipStream_tbDpT10_ENKUlT_T0_E_clISt17integral_constantIbLb1EES19_IbLb0EEEEDaS15_S16_EUlS15_E_NS1_11comp_targetILNS1_3genE8ELNS1_11target_archE1030ELNS1_3gpuE2ELNS1_3repE0EEENS1_30default_config_static_selectorELNS0_4arch9wavefront6targetE1EEEvT1_,"axG",@progbits,_ZN7rocprim17ROCPRIM_400000_NS6detail17trampoline_kernelINS0_14default_configENS1_25partition_config_selectorILNS1_17partition_subalgoE9EllbEEZZNS1_14partition_implILS5_9ELb0ES3_jPlS8_PNS0_10empty_typeENS0_5tupleIJS8_S9_EEENSB_IJS8_SA_EEENS0_18inequality_wrapperIZN2at6native12_GLOBAL__N_124unique_dim_cuda_templateIbEESt5tupleIJNSF_6TensorESK_SK_EERKSK_lbbbEUlllE0_EEPmJS9_EEE10hipError_tPvRmT3_T4_T5_T6_T7_T9_mT8_P12ihipStream_tbDpT10_ENKUlT_T0_E_clISt17integral_constantIbLb1EES19_IbLb0EEEEDaS15_S16_EUlS15_E_NS1_11comp_targetILNS1_3genE8ELNS1_11target_archE1030ELNS1_3gpuE2ELNS1_3repE0EEENS1_30default_config_static_selectorELNS0_4arch9wavefront6targetE1EEEvT1_,comdat
.Lfunc_end1106:
	.size	_ZN7rocprim17ROCPRIM_400000_NS6detail17trampoline_kernelINS0_14default_configENS1_25partition_config_selectorILNS1_17partition_subalgoE9EllbEEZZNS1_14partition_implILS5_9ELb0ES3_jPlS8_PNS0_10empty_typeENS0_5tupleIJS8_S9_EEENSB_IJS8_SA_EEENS0_18inequality_wrapperIZN2at6native12_GLOBAL__N_124unique_dim_cuda_templateIbEESt5tupleIJNSF_6TensorESK_SK_EERKSK_lbbbEUlllE0_EEPmJS9_EEE10hipError_tPvRmT3_T4_T5_T6_T7_T9_mT8_P12ihipStream_tbDpT10_ENKUlT_T0_E_clISt17integral_constantIbLb1EES19_IbLb0EEEEDaS15_S16_EUlS15_E_NS1_11comp_targetILNS1_3genE8ELNS1_11target_archE1030ELNS1_3gpuE2ELNS1_3repE0EEENS1_30default_config_static_selectorELNS0_4arch9wavefront6targetE1EEEvT1_, .Lfunc_end1106-_ZN7rocprim17ROCPRIM_400000_NS6detail17trampoline_kernelINS0_14default_configENS1_25partition_config_selectorILNS1_17partition_subalgoE9EllbEEZZNS1_14partition_implILS5_9ELb0ES3_jPlS8_PNS0_10empty_typeENS0_5tupleIJS8_S9_EEENSB_IJS8_SA_EEENS0_18inequality_wrapperIZN2at6native12_GLOBAL__N_124unique_dim_cuda_templateIbEESt5tupleIJNSF_6TensorESK_SK_EERKSK_lbbbEUlllE0_EEPmJS9_EEE10hipError_tPvRmT3_T4_T5_T6_T7_T9_mT8_P12ihipStream_tbDpT10_ENKUlT_T0_E_clISt17integral_constantIbLb1EES19_IbLb0EEEEDaS15_S16_EUlS15_E_NS1_11comp_targetILNS1_3genE8ELNS1_11target_archE1030ELNS1_3gpuE2ELNS1_3repE0EEENS1_30default_config_static_selectorELNS0_4arch9wavefront6targetE1EEEvT1_
                                        ; -- End function
	.set _ZN7rocprim17ROCPRIM_400000_NS6detail17trampoline_kernelINS0_14default_configENS1_25partition_config_selectorILNS1_17partition_subalgoE9EllbEEZZNS1_14partition_implILS5_9ELb0ES3_jPlS8_PNS0_10empty_typeENS0_5tupleIJS8_S9_EEENSB_IJS8_SA_EEENS0_18inequality_wrapperIZN2at6native12_GLOBAL__N_124unique_dim_cuda_templateIbEESt5tupleIJNSF_6TensorESK_SK_EERKSK_lbbbEUlllE0_EEPmJS9_EEE10hipError_tPvRmT3_T4_T5_T6_T7_T9_mT8_P12ihipStream_tbDpT10_ENKUlT_T0_E_clISt17integral_constantIbLb1EES19_IbLb0EEEEDaS15_S16_EUlS15_E_NS1_11comp_targetILNS1_3genE8ELNS1_11target_archE1030ELNS1_3gpuE2ELNS1_3repE0EEENS1_30default_config_static_selectorELNS0_4arch9wavefront6targetE1EEEvT1_.num_vgpr, 0
	.set _ZN7rocprim17ROCPRIM_400000_NS6detail17trampoline_kernelINS0_14default_configENS1_25partition_config_selectorILNS1_17partition_subalgoE9EllbEEZZNS1_14partition_implILS5_9ELb0ES3_jPlS8_PNS0_10empty_typeENS0_5tupleIJS8_S9_EEENSB_IJS8_SA_EEENS0_18inequality_wrapperIZN2at6native12_GLOBAL__N_124unique_dim_cuda_templateIbEESt5tupleIJNSF_6TensorESK_SK_EERKSK_lbbbEUlllE0_EEPmJS9_EEE10hipError_tPvRmT3_T4_T5_T6_T7_T9_mT8_P12ihipStream_tbDpT10_ENKUlT_T0_E_clISt17integral_constantIbLb1EES19_IbLb0EEEEDaS15_S16_EUlS15_E_NS1_11comp_targetILNS1_3genE8ELNS1_11target_archE1030ELNS1_3gpuE2ELNS1_3repE0EEENS1_30default_config_static_selectorELNS0_4arch9wavefront6targetE1EEEvT1_.num_agpr, 0
	.set _ZN7rocprim17ROCPRIM_400000_NS6detail17trampoline_kernelINS0_14default_configENS1_25partition_config_selectorILNS1_17partition_subalgoE9EllbEEZZNS1_14partition_implILS5_9ELb0ES3_jPlS8_PNS0_10empty_typeENS0_5tupleIJS8_S9_EEENSB_IJS8_SA_EEENS0_18inequality_wrapperIZN2at6native12_GLOBAL__N_124unique_dim_cuda_templateIbEESt5tupleIJNSF_6TensorESK_SK_EERKSK_lbbbEUlllE0_EEPmJS9_EEE10hipError_tPvRmT3_T4_T5_T6_T7_T9_mT8_P12ihipStream_tbDpT10_ENKUlT_T0_E_clISt17integral_constantIbLb1EES19_IbLb0EEEEDaS15_S16_EUlS15_E_NS1_11comp_targetILNS1_3genE8ELNS1_11target_archE1030ELNS1_3gpuE2ELNS1_3repE0EEENS1_30default_config_static_selectorELNS0_4arch9wavefront6targetE1EEEvT1_.numbered_sgpr, 0
	.set _ZN7rocprim17ROCPRIM_400000_NS6detail17trampoline_kernelINS0_14default_configENS1_25partition_config_selectorILNS1_17partition_subalgoE9EllbEEZZNS1_14partition_implILS5_9ELb0ES3_jPlS8_PNS0_10empty_typeENS0_5tupleIJS8_S9_EEENSB_IJS8_SA_EEENS0_18inequality_wrapperIZN2at6native12_GLOBAL__N_124unique_dim_cuda_templateIbEESt5tupleIJNSF_6TensorESK_SK_EERKSK_lbbbEUlllE0_EEPmJS9_EEE10hipError_tPvRmT3_T4_T5_T6_T7_T9_mT8_P12ihipStream_tbDpT10_ENKUlT_T0_E_clISt17integral_constantIbLb1EES19_IbLb0EEEEDaS15_S16_EUlS15_E_NS1_11comp_targetILNS1_3genE8ELNS1_11target_archE1030ELNS1_3gpuE2ELNS1_3repE0EEENS1_30default_config_static_selectorELNS0_4arch9wavefront6targetE1EEEvT1_.num_named_barrier, 0
	.set _ZN7rocprim17ROCPRIM_400000_NS6detail17trampoline_kernelINS0_14default_configENS1_25partition_config_selectorILNS1_17partition_subalgoE9EllbEEZZNS1_14partition_implILS5_9ELb0ES3_jPlS8_PNS0_10empty_typeENS0_5tupleIJS8_S9_EEENSB_IJS8_SA_EEENS0_18inequality_wrapperIZN2at6native12_GLOBAL__N_124unique_dim_cuda_templateIbEESt5tupleIJNSF_6TensorESK_SK_EERKSK_lbbbEUlllE0_EEPmJS9_EEE10hipError_tPvRmT3_T4_T5_T6_T7_T9_mT8_P12ihipStream_tbDpT10_ENKUlT_T0_E_clISt17integral_constantIbLb1EES19_IbLb0EEEEDaS15_S16_EUlS15_E_NS1_11comp_targetILNS1_3genE8ELNS1_11target_archE1030ELNS1_3gpuE2ELNS1_3repE0EEENS1_30default_config_static_selectorELNS0_4arch9wavefront6targetE1EEEvT1_.private_seg_size, 0
	.set _ZN7rocprim17ROCPRIM_400000_NS6detail17trampoline_kernelINS0_14default_configENS1_25partition_config_selectorILNS1_17partition_subalgoE9EllbEEZZNS1_14partition_implILS5_9ELb0ES3_jPlS8_PNS0_10empty_typeENS0_5tupleIJS8_S9_EEENSB_IJS8_SA_EEENS0_18inequality_wrapperIZN2at6native12_GLOBAL__N_124unique_dim_cuda_templateIbEESt5tupleIJNSF_6TensorESK_SK_EERKSK_lbbbEUlllE0_EEPmJS9_EEE10hipError_tPvRmT3_T4_T5_T6_T7_T9_mT8_P12ihipStream_tbDpT10_ENKUlT_T0_E_clISt17integral_constantIbLb1EES19_IbLb0EEEEDaS15_S16_EUlS15_E_NS1_11comp_targetILNS1_3genE8ELNS1_11target_archE1030ELNS1_3gpuE2ELNS1_3repE0EEENS1_30default_config_static_selectorELNS0_4arch9wavefront6targetE1EEEvT1_.uses_vcc, 0
	.set _ZN7rocprim17ROCPRIM_400000_NS6detail17trampoline_kernelINS0_14default_configENS1_25partition_config_selectorILNS1_17partition_subalgoE9EllbEEZZNS1_14partition_implILS5_9ELb0ES3_jPlS8_PNS0_10empty_typeENS0_5tupleIJS8_S9_EEENSB_IJS8_SA_EEENS0_18inequality_wrapperIZN2at6native12_GLOBAL__N_124unique_dim_cuda_templateIbEESt5tupleIJNSF_6TensorESK_SK_EERKSK_lbbbEUlllE0_EEPmJS9_EEE10hipError_tPvRmT3_T4_T5_T6_T7_T9_mT8_P12ihipStream_tbDpT10_ENKUlT_T0_E_clISt17integral_constantIbLb1EES19_IbLb0EEEEDaS15_S16_EUlS15_E_NS1_11comp_targetILNS1_3genE8ELNS1_11target_archE1030ELNS1_3gpuE2ELNS1_3repE0EEENS1_30default_config_static_selectorELNS0_4arch9wavefront6targetE1EEEvT1_.uses_flat_scratch, 0
	.set _ZN7rocprim17ROCPRIM_400000_NS6detail17trampoline_kernelINS0_14default_configENS1_25partition_config_selectorILNS1_17partition_subalgoE9EllbEEZZNS1_14partition_implILS5_9ELb0ES3_jPlS8_PNS0_10empty_typeENS0_5tupleIJS8_S9_EEENSB_IJS8_SA_EEENS0_18inequality_wrapperIZN2at6native12_GLOBAL__N_124unique_dim_cuda_templateIbEESt5tupleIJNSF_6TensorESK_SK_EERKSK_lbbbEUlllE0_EEPmJS9_EEE10hipError_tPvRmT3_T4_T5_T6_T7_T9_mT8_P12ihipStream_tbDpT10_ENKUlT_T0_E_clISt17integral_constantIbLb1EES19_IbLb0EEEEDaS15_S16_EUlS15_E_NS1_11comp_targetILNS1_3genE8ELNS1_11target_archE1030ELNS1_3gpuE2ELNS1_3repE0EEENS1_30default_config_static_selectorELNS0_4arch9wavefront6targetE1EEEvT1_.has_dyn_sized_stack, 0
	.set _ZN7rocprim17ROCPRIM_400000_NS6detail17trampoline_kernelINS0_14default_configENS1_25partition_config_selectorILNS1_17partition_subalgoE9EllbEEZZNS1_14partition_implILS5_9ELb0ES3_jPlS8_PNS0_10empty_typeENS0_5tupleIJS8_S9_EEENSB_IJS8_SA_EEENS0_18inequality_wrapperIZN2at6native12_GLOBAL__N_124unique_dim_cuda_templateIbEESt5tupleIJNSF_6TensorESK_SK_EERKSK_lbbbEUlllE0_EEPmJS9_EEE10hipError_tPvRmT3_T4_T5_T6_T7_T9_mT8_P12ihipStream_tbDpT10_ENKUlT_T0_E_clISt17integral_constantIbLb1EES19_IbLb0EEEEDaS15_S16_EUlS15_E_NS1_11comp_targetILNS1_3genE8ELNS1_11target_archE1030ELNS1_3gpuE2ELNS1_3repE0EEENS1_30default_config_static_selectorELNS0_4arch9wavefront6targetE1EEEvT1_.has_recursion, 0
	.set _ZN7rocprim17ROCPRIM_400000_NS6detail17trampoline_kernelINS0_14default_configENS1_25partition_config_selectorILNS1_17partition_subalgoE9EllbEEZZNS1_14partition_implILS5_9ELb0ES3_jPlS8_PNS0_10empty_typeENS0_5tupleIJS8_S9_EEENSB_IJS8_SA_EEENS0_18inequality_wrapperIZN2at6native12_GLOBAL__N_124unique_dim_cuda_templateIbEESt5tupleIJNSF_6TensorESK_SK_EERKSK_lbbbEUlllE0_EEPmJS9_EEE10hipError_tPvRmT3_T4_T5_T6_T7_T9_mT8_P12ihipStream_tbDpT10_ENKUlT_T0_E_clISt17integral_constantIbLb1EES19_IbLb0EEEEDaS15_S16_EUlS15_E_NS1_11comp_targetILNS1_3genE8ELNS1_11target_archE1030ELNS1_3gpuE2ELNS1_3repE0EEENS1_30default_config_static_selectorELNS0_4arch9wavefront6targetE1EEEvT1_.has_indirect_call, 0
	.section	.AMDGPU.csdata,"",@progbits
; Kernel info:
; codeLenInByte = 0
; TotalNumSgprs: 6
; NumVgprs: 0
; NumAgprs: 0
; TotalNumVgprs: 0
; ScratchSize: 0
; MemoryBound: 0
; FloatMode: 240
; IeeeMode: 1
; LDSByteSize: 0 bytes/workgroup (compile time only)
; SGPRBlocks: 0
; VGPRBlocks: 0
; NumSGPRsForWavesPerEU: 6
; NumVGPRsForWavesPerEU: 1
; AccumOffset: 4
; Occupancy: 8
; WaveLimiterHint : 0
; COMPUTE_PGM_RSRC2:SCRATCH_EN: 0
; COMPUTE_PGM_RSRC2:USER_SGPR: 2
; COMPUTE_PGM_RSRC2:TRAP_HANDLER: 0
; COMPUTE_PGM_RSRC2:TGID_X_EN: 1
; COMPUTE_PGM_RSRC2:TGID_Y_EN: 0
; COMPUTE_PGM_RSRC2:TGID_Z_EN: 0
; COMPUTE_PGM_RSRC2:TIDIG_COMP_CNT: 0
; COMPUTE_PGM_RSRC3_GFX90A:ACCUM_OFFSET: 0
; COMPUTE_PGM_RSRC3_GFX90A:TG_SPLIT: 0
	.section	.text._ZN7rocprim17ROCPRIM_400000_NS6detail17trampoline_kernelINS0_14default_configENS1_25partition_config_selectorILNS1_17partition_subalgoE9EllbEEZZNS1_14partition_implILS5_9ELb0ES3_jPlS8_PNS0_10empty_typeENS0_5tupleIJS8_S9_EEENSB_IJS8_SA_EEENS0_18inequality_wrapperIZN2at6native12_GLOBAL__N_124unique_dim_cuda_templateIbEESt5tupleIJNSF_6TensorESK_SK_EERKSK_lbbbEUlllE0_EEPmJS9_EEE10hipError_tPvRmT3_T4_T5_T6_T7_T9_mT8_P12ihipStream_tbDpT10_ENKUlT_T0_E_clISt17integral_constantIbLb0EES19_IbLb1EEEEDaS15_S16_EUlS15_E_NS1_11comp_targetILNS1_3genE0ELNS1_11target_archE4294967295ELNS1_3gpuE0ELNS1_3repE0EEENS1_30default_config_static_selectorELNS0_4arch9wavefront6targetE1EEEvT1_,"axG",@progbits,_ZN7rocprim17ROCPRIM_400000_NS6detail17trampoline_kernelINS0_14default_configENS1_25partition_config_selectorILNS1_17partition_subalgoE9EllbEEZZNS1_14partition_implILS5_9ELb0ES3_jPlS8_PNS0_10empty_typeENS0_5tupleIJS8_S9_EEENSB_IJS8_SA_EEENS0_18inequality_wrapperIZN2at6native12_GLOBAL__N_124unique_dim_cuda_templateIbEESt5tupleIJNSF_6TensorESK_SK_EERKSK_lbbbEUlllE0_EEPmJS9_EEE10hipError_tPvRmT3_T4_T5_T6_T7_T9_mT8_P12ihipStream_tbDpT10_ENKUlT_T0_E_clISt17integral_constantIbLb0EES19_IbLb1EEEEDaS15_S16_EUlS15_E_NS1_11comp_targetILNS1_3genE0ELNS1_11target_archE4294967295ELNS1_3gpuE0ELNS1_3repE0EEENS1_30default_config_static_selectorELNS0_4arch9wavefront6targetE1EEEvT1_,comdat
	.globl	_ZN7rocprim17ROCPRIM_400000_NS6detail17trampoline_kernelINS0_14default_configENS1_25partition_config_selectorILNS1_17partition_subalgoE9EllbEEZZNS1_14partition_implILS5_9ELb0ES3_jPlS8_PNS0_10empty_typeENS0_5tupleIJS8_S9_EEENSB_IJS8_SA_EEENS0_18inequality_wrapperIZN2at6native12_GLOBAL__N_124unique_dim_cuda_templateIbEESt5tupleIJNSF_6TensorESK_SK_EERKSK_lbbbEUlllE0_EEPmJS9_EEE10hipError_tPvRmT3_T4_T5_T6_T7_T9_mT8_P12ihipStream_tbDpT10_ENKUlT_T0_E_clISt17integral_constantIbLb0EES19_IbLb1EEEEDaS15_S16_EUlS15_E_NS1_11comp_targetILNS1_3genE0ELNS1_11target_archE4294967295ELNS1_3gpuE0ELNS1_3repE0EEENS1_30default_config_static_selectorELNS0_4arch9wavefront6targetE1EEEvT1_ ; -- Begin function _ZN7rocprim17ROCPRIM_400000_NS6detail17trampoline_kernelINS0_14default_configENS1_25partition_config_selectorILNS1_17partition_subalgoE9EllbEEZZNS1_14partition_implILS5_9ELb0ES3_jPlS8_PNS0_10empty_typeENS0_5tupleIJS8_S9_EEENSB_IJS8_SA_EEENS0_18inequality_wrapperIZN2at6native12_GLOBAL__N_124unique_dim_cuda_templateIbEESt5tupleIJNSF_6TensorESK_SK_EERKSK_lbbbEUlllE0_EEPmJS9_EEE10hipError_tPvRmT3_T4_T5_T6_T7_T9_mT8_P12ihipStream_tbDpT10_ENKUlT_T0_E_clISt17integral_constantIbLb0EES19_IbLb1EEEEDaS15_S16_EUlS15_E_NS1_11comp_targetILNS1_3genE0ELNS1_11target_archE4294967295ELNS1_3gpuE0ELNS1_3repE0EEENS1_30default_config_static_selectorELNS0_4arch9wavefront6targetE1EEEvT1_
	.p2align	8
	.type	_ZN7rocprim17ROCPRIM_400000_NS6detail17trampoline_kernelINS0_14default_configENS1_25partition_config_selectorILNS1_17partition_subalgoE9EllbEEZZNS1_14partition_implILS5_9ELb0ES3_jPlS8_PNS0_10empty_typeENS0_5tupleIJS8_S9_EEENSB_IJS8_SA_EEENS0_18inequality_wrapperIZN2at6native12_GLOBAL__N_124unique_dim_cuda_templateIbEESt5tupleIJNSF_6TensorESK_SK_EERKSK_lbbbEUlllE0_EEPmJS9_EEE10hipError_tPvRmT3_T4_T5_T6_T7_T9_mT8_P12ihipStream_tbDpT10_ENKUlT_T0_E_clISt17integral_constantIbLb0EES19_IbLb1EEEEDaS15_S16_EUlS15_E_NS1_11comp_targetILNS1_3genE0ELNS1_11target_archE4294967295ELNS1_3gpuE0ELNS1_3repE0EEENS1_30default_config_static_selectorELNS0_4arch9wavefront6targetE1EEEvT1_,@function
_ZN7rocprim17ROCPRIM_400000_NS6detail17trampoline_kernelINS0_14default_configENS1_25partition_config_selectorILNS1_17partition_subalgoE9EllbEEZZNS1_14partition_implILS5_9ELb0ES3_jPlS8_PNS0_10empty_typeENS0_5tupleIJS8_S9_EEENSB_IJS8_SA_EEENS0_18inequality_wrapperIZN2at6native12_GLOBAL__N_124unique_dim_cuda_templateIbEESt5tupleIJNSF_6TensorESK_SK_EERKSK_lbbbEUlllE0_EEPmJS9_EEE10hipError_tPvRmT3_T4_T5_T6_T7_T9_mT8_P12ihipStream_tbDpT10_ENKUlT_T0_E_clISt17integral_constantIbLb0EES19_IbLb1EEEEDaS15_S16_EUlS15_E_NS1_11comp_targetILNS1_3genE0ELNS1_11target_archE4294967295ELNS1_3gpuE0ELNS1_3repE0EEENS1_30default_config_static_selectorELNS0_4arch9wavefront6targetE1EEEvT1_: ; @_ZN7rocprim17ROCPRIM_400000_NS6detail17trampoline_kernelINS0_14default_configENS1_25partition_config_selectorILNS1_17partition_subalgoE9EllbEEZZNS1_14partition_implILS5_9ELb0ES3_jPlS8_PNS0_10empty_typeENS0_5tupleIJS8_S9_EEENSB_IJS8_SA_EEENS0_18inequality_wrapperIZN2at6native12_GLOBAL__N_124unique_dim_cuda_templateIbEESt5tupleIJNSF_6TensorESK_SK_EERKSK_lbbbEUlllE0_EEPmJS9_EEE10hipError_tPvRmT3_T4_T5_T6_T7_T9_mT8_P12ihipStream_tbDpT10_ENKUlT_T0_E_clISt17integral_constantIbLb0EES19_IbLb1EEEEDaS15_S16_EUlS15_E_NS1_11comp_targetILNS1_3genE0ELNS1_11target_archE4294967295ELNS1_3gpuE0ELNS1_3repE0EEENS1_30default_config_static_selectorELNS0_4arch9wavefront6targetE1EEEvT1_
; %bb.0:
	s_load_dwordx4 s[4:7], s[0:1], 0x8
	s_load_dwordx2 s[10:11], s[0:1], 0x18
	s_load_dwordx8 s[20:27], s[0:1], 0x40
	s_load_dwordx4 s[36:39], s[0:1], 0x60
	v_cmp_ne_u32_e64 s[2:3], 0, v0
	v_cmp_eq_u32_e64 s[18:19], 0, v0
	s_and_saveexec_b64 s[8:9], s[18:19]
	s_cbranch_execz .LBB1107_4
; %bb.1:
	s_mov_b64 s[14:15], exec
	v_mbcnt_lo_u32_b32 v1, s14, 0
	v_mbcnt_hi_u32_b32 v1, s15, v1
	v_cmp_eq_u32_e32 vcc, 0, v1
                                        ; implicit-def: $vgpr2
	s_and_saveexec_b64 s[12:13], vcc
	s_cbranch_execz .LBB1107_3
; %bb.2:
	s_load_dwordx2 s[16:17], s[0:1], 0x78
	s_bcnt1_i32_b64 s14, s[14:15]
	v_mov_b32_e32 v2, 0
	v_mov_b32_e32 v3, s14
	s_waitcnt lgkmcnt(0)
	global_atomic_add v2, v2, v3, s[16:17] sc0
.LBB1107_3:
	s_or_b64 exec, exec, s[12:13]
	s_waitcnt vmcnt(0)
	v_readfirstlane_b32 s12, v2
	v_mov_b32_e32 v2, 0
	s_nop 0
	v_add_u32_e32 v1, s12, v1
	ds_write_b32 v2, v1
.LBB1107_4:
	s_or_b64 exec, exec, s[8:9]
	v_mov_b32_e32 v3, 0
	s_load_dwordx4 s[28:31], s[0:1], 0x28
	s_load_dword s8, s[0:1], 0x70
	s_waitcnt lgkmcnt(0)
	s_barrier
	ds_read_b32 v1, v3
	s_waitcnt lgkmcnt(0)
	s_barrier
	global_load_dwordx2 v[4:5], v3, s[22:23]
	s_lshl_b64 s[12:13], s[6:7], 3
	s_mul_i32 s14, s8, 0x280
	s_add_u32 s16, s4, s12
	s_addc_u32 s17, s5, s13
	s_add_i32 s4, s14, s6
	s_sub_i32 s48, s24, s4
	s_add_i32 s15, s8, -1
	s_addk_i32 s48, 0x280
	s_add_u32 s4, s6, s14
	v_readfirstlane_b32 s33, v1
	s_addc_u32 s5, s7, 0
	v_mov_b64_e32 v[6:7], s[4:5]
	s_cmp_eq_u32 s33, s15
	s_mov_b32 s9, 0
	s_mul_i32 s8, s33, 0x280
	v_cmp_le_u64_e32 vcc, s[24:25], v[6:7]
	s_cselect_b64 s[24:25], -1, 0
	s_lshl_b64 s[14:15], s[8:9], 3
	s_and_b64 s[8:9], vcc, s[24:25]
	s_xor_b64 s[34:35], s[8:9], -1
	s_add_u32 s4, s16, s14
	s_mov_b64 s[0:1], -1
	v_lshlrev_b32_e32 v32, 3, v0
	s_addc_u32 s5, s17, s15
	s_and_b64 vcc, exec, s[34:35]
	s_waitcnt vmcnt(0)
	v_readfirstlane_b32 s22, v4
	v_readfirstlane_b32 s23, v5
	s_cbranch_vccz .LBB1107_6
; %bb.5:
	v_lshlrev_b32_e32 v2, 3, v0
	v_lshl_add_u64 v[4:5], s[4:5], 0, v[2:3]
	v_add_co_u32_e32 v4, vcc, 0x1000, v4
	global_load_dwordx2 v[6:7], v2, s[4:5] offset:3072
	s_nop 0
	v_addc_co_u32_e32 v5, vcc, 0, v5, vcc
	global_load_dwordx2 v[8:9], v2, s[4:5]
	global_load_dwordx2 v[10:11], v2, s[4:5] offset:1024
	global_load_dwordx2 v[12:13], v2, s[4:5] offset:2048
	global_load_dwordx2 v[14:15], v[4:5], off
	s_mov_b64 s[0:1], 0
	s_waitcnt vmcnt(2)
	ds_write2st64_b64 v2, v[8:9], v[10:11] offset1:2
	s_waitcnt vmcnt(1)
	ds_write2st64_b64 v2, v[12:13], v[6:7] offset0:4 offset1:6
	s_waitcnt vmcnt(0)
	ds_write_b64 v2, v[14:15] offset:4096
	s_waitcnt lgkmcnt(0)
	s_barrier
.LBB1107_6:
	s_andn2_b64 vcc, exec, s[0:1]
	v_cmp_gt_u32_e64 s[0:1], s48, v0
	s_cbranch_vccnz .LBB1107_18
; %bb.7:
	v_mov_b32_e32 v2, 0
	v_mov_b32_e32 v3, v2
	;; [unrolled: 1-line block ×10, first 2 shown]
	s_and_saveexec_b64 s[16:17], s[0:1]
	s_cbranch_execz .LBB1107_9
; %bb.8:
	v_lshlrev_b32_e32 v1, 3, v0
	global_load_dwordx2 v[4:5], v1, s[4:5]
	v_mov_b32_e32 v6, v2
	v_mov_b32_e32 v7, v2
	v_mov_b32_e32 v8, v2
	v_mov_b32_e32 v9, v2
	v_mov_b32_e32 v10, v2
	v_mov_b32_e32 v11, v2
	v_mov_b32_e32 v12, v2
	v_mov_b32_e32 v13, v2
	s_waitcnt vmcnt(0)
	v_mov_b64_e32 v[2:3], v[4:5]
	v_mov_b64_e32 v[4:5], v[6:7]
	;; [unrolled: 1-line block ×8, first 2 shown]
.LBB1107_9:
	s_or_b64 exec, exec, s[16:17]
	v_or_b32_e32 v1, 0x80, v0
	v_cmp_gt_u32_e32 vcc, s48, v1
	s_and_saveexec_b64 s[0:1], vcc
	s_cbranch_execz .LBB1107_11
; %bb.10:
	v_lshlrev_b32_e32 v1, 3, v0
	global_load_dwordx2 v[4:5], v1, s[4:5] offset:1024
.LBB1107_11:
	s_or_b64 exec, exec, s[0:1]
	v_or_b32_e32 v1, 0x100, v0
	v_cmp_gt_u32_e32 vcc, s48, v1
	s_and_saveexec_b64 s[0:1], vcc
	s_cbranch_execz .LBB1107_13
; %bb.12:
	v_lshlrev_b32_e32 v1, 3, v0
	global_load_dwordx2 v[6:7], v1, s[4:5] offset:2048
.LBB1107_13:
	;; [unrolled: 9-line block ×3, first 2 shown]
	s_or_b64 exec, exec, s[0:1]
	v_or_b32_e32 v1, 0x200, v0
	v_cmp_gt_u32_e32 vcc, s48, v1
	s_and_saveexec_b64 s[0:1], vcc
	s_cbranch_execz .LBB1107_17
; %bb.16:
	v_lshlrev_b32_e32 v1, 3, v1
	global_load_dwordx2 v[10:11], v1, s[4:5]
.LBB1107_17:
	s_or_b64 exec, exec, s[0:1]
	v_lshlrev_b32_e32 v1, 3, v0
	s_waitcnt vmcnt(0)
	ds_write2st64_b64 v1, v[2:3], v[4:5] offset1:2
	ds_write2st64_b64 v1, v[6:7], v[8:9] offset0:4 offset1:6
	ds_write_b64 v1, v[10:11] offset:4096
	s_waitcnt lgkmcnt(0)
	s_barrier
.LBB1107_18:
	v_mul_u32_u24_e32 v1, 5, v0
	v_lshlrev_b32_e32 v22, 3, v1
	ds_read2_b64 v[6:9], v22 offset1:1
	ds_read2_b64 v[2:5], v22 offset0:2 offset1:3
	ds_read_b64 v[12:13], v22 offset:32
	s_add_u32 s0, s10, s12
	s_addc_u32 s1, s11, s13
	s_add_u32 s0, s0, s14
	s_addc_u32 s1, s1, s15
	s_mov_b64 s[10:11], -1
	s_and_b64 vcc, exec, s[34:35]
	s_waitcnt lgkmcnt(0)
	s_barrier
	s_cbranch_vccz .LBB1107_20
; %bb.19:
	v_lshlrev_b32_e32 v10, 3, v0
	v_mov_b32_e32 v11, 0
	v_lshl_add_u64 v[14:15], s[0:1], 0, v[10:11]
	v_add_co_u32_e32 v14, vcc, 0x1000, v14
	global_load_dwordx2 v[16:17], v10, s[0:1] offset:3072
	s_nop 0
	v_addc_co_u32_e32 v15, vcc, 0, v15, vcc
	global_load_dwordx2 v[18:19], v10, s[0:1]
	global_load_dwordx2 v[20:21], v10, s[0:1] offset:1024
	global_load_dwordx2 v[24:25], v10, s[0:1] offset:2048
	global_load_dwordx2 v[26:27], v[14:15], off
	s_mov_b64 s[10:11], 0
	s_waitcnt vmcnt(2)
	ds_write2st64_b64 v10, v[18:19], v[20:21] offset1:2
	s_waitcnt vmcnt(1)
	ds_write2st64_b64 v10, v[24:25], v[16:17] offset0:4 offset1:6
	s_waitcnt vmcnt(0)
	ds_write_b64 v10, v[26:27] offset:4096
	s_waitcnt lgkmcnt(0)
	s_barrier
.LBB1107_20:
	s_andn2_b64 vcc, exec, s[10:11]
	s_cbranch_vccnz .LBB1107_32
; %bb.21:
	v_cmp_gt_u32_e32 vcc, s48, v0
                                        ; implicit-def: $vgpr10_vgpr11
	s_and_saveexec_b64 s[10:11], vcc
	s_cbranch_execz .LBB1107_23
; %bb.22:
	v_lshlrev_b32_e32 v10, 3, v0
	global_load_dwordx2 v[10:11], v10, s[0:1]
.LBB1107_23:
	s_or_b64 exec, exec, s[10:11]
	v_or_b32_e32 v14, 0x80, v0
	v_cmp_gt_u32_e32 vcc, s48, v14
                                        ; implicit-def: $vgpr14_vgpr15
	s_and_saveexec_b64 s[10:11], vcc
	s_cbranch_execz .LBB1107_25
; %bb.24:
	v_lshlrev_b32_e32 v14, 3, v0
	global_load_dwordx2 v[14:15], v14, s[0:1] offset:1024
.LBB1107_25:
	s_or_b64 exec, exec, s[10:11]
	v_or_b32_e32 v16, 0x100, v0
	v_cmp_gt_u32_e32 vcc, s48, v16
                                        ; implicit-def: $vgpr16_vgpr17
	s_and_saveexec_b64 s[10:11], vcc
	s_cbranch_execz .LBB1107_27
; %bb.26:
	v_lshlrev_b32_e32 v16, 3, v0
	global_load_dwordx2 v[16:17], v16, s[0:1] offset:2048
.LBB1107_27:
	s_or_b64 exec, exec, s[10:11]
	v_or_b32_e32 v18, 0x180, v0
	v_cmp_gt_u32_e32 vcc, s48, v18
                                        ; implicit-def: $vgpr18_vgpr19
	s_and_saveexec_b64 s[10:11], vcc
	s_cbranch_execz .LBB1107_29
; %bb.28:
	v_lshlrev_b32_e32 v18, 3, v0
	global_load_dwordx2 v[18:19], v18, s[0:1] offset:3072
.LBB1107_29:
	s_or_b64 exec, exec, s[10:11]
	v_or_b32_e32 v20, 0x200, v0
	v_cmp_gt_u32_e32 vcc, s48, v20
                                        ; implicit-def: $vgpr24_vgpr25
	s_and_saveexec_b64 s[10:11], vcc
	s_cbranch_execz .LBB1107_31
; %bb.30:
	v_lshlrev_b32_e32 v20, 3, v20
	global_load_dwordx2 v[24:25], v20, s[0:1]
.LBB1107_31:
	s_or_b64 exec, exec, s[10:11]
	v_lshlrev_b32_e32 v20, 5, v0
	v_sub_u32_e32 v20, v22, v20
	s_waitcnt vmcnt(0)
	ds_write2st64_b64 v20, v[10:11], v[14:15] offset1:2
	ds_write2st64_b64 v20, v[16:17], v[18:19] offset0:4 offset1:6
	ds_write_b64 v20, v[24:25] offset:4096
	s_waitcnt lgkmcnt(0)
	s_barrier
.LBB1107_32:
	ds_read_b64 v[10:11], v22 offset:32
	ds_read2_b64 v[52:55], v22 offset0:2 offset1:3
	ds_read2_b64 v[56:59], v22 offset1:1
	s_cmp_lg_u32 s33, 0
	s_cselect_b64 s[16:17], -1, 0
	s_cmp_lg_u64 s[6:7], 0
	s_cselect_b64 s[0:1], -1, 0
	s_or_b64 s[0:1], s[0:1], s[16:17]
	s_mov_b64 s[10:11], 0
	s_and_b64 vcc, exec, s[0:1]
	v_cmp_lt_i64_e64 s[6:7], s[26:27], 1
	v_cmp_gt_i64_e64 s[0:1], s[26:27], 0
	s_waitcnt lgkmcnt(0)
	s_barrier
	s_cbranch_vccz .LBB1107_46
; %bb.33:
	v_mov_b32_e32 v33, 0
	global_load_dwordx2 v[14:15], v33, s[4:5] offset:-8
	v_lshlrev_b32_e32 v23, 3, v0
	s_and_b64 vcc, exec, s[34:35]
	ds_write_b64 v23, v[12:13]
	s_cbranch_vccz .LBB1107_48
; %bb.34:
	v_cndmask_b32_e64 v16, 0, 1, s[0:1]
	v_cmp_ne_u32_e64 s[4:5], 1, v16
	s_andn2_b64 vcc, exec, s[0:1]
	s_cbranch_vccnz .LBB1107_40
; %bb.35:
	v_mov_b64_e32 v[18:19], s[36:37]
	v_mad_u64_u32 v[16:17], s[0:1], v4, s26, v[18:19]
	v_mul_lo_u32 v20, v4, s27
	v_mul_lo_u32 v21, v5, s26
	s_add_u32 s12, s26, -1
	v_add3_u32 v17, v21, v17, v20
	v_mad_u64_u32 v[18:19], s[0:1], v12, s26, v[18:19]
	v_mul_lo_u32 v20, v12, s27
	v_mul_lo_u32 v21, v13, s26
	s_addc_u32 s13, s27, -1
	v_add3_u32 v19, v21, v19, v20
	s_mov_b64 s[40:41], s[12:13]
	v_mov_b64_e32 v[20:21], v[16:17]
                                        ; implicit-def: $sgpr14_sgpr15
.LBB1107_36:                            ; =>This Inner Loop Header: Depth=1
	global_load_ubyte v24, v[20:21], off
	global_load_ubyte v25, v[18:19], off
	v_lshl_add_u64 v[20:21], v[20:21], 0, 1
	v_lshl_add_u64 v[18:19], v[18:19], 0, 1
	s_waitcnt vmcnt(1)
	v_cmp_ne_u16_e32 vcc, 0, v24
	s_waitcnt vmcnt(0)
	v_cmp_ne_u16_e64 s[0:1], 0, v25
	s_xor_b64 s[0:1], vcc, s[0:1]
	s_cmp_eq_u64 s[40:41], 0
	s_cselect_b64 s[42:43], -1, 0
	s_or_b64 s[42:43], s[0:1], s[42:43]
	s_add_u32 s40, s40, -1
	s_addc_u32 s41, s41, -1
	s_and_b64 s[42:43], exec, s[42:43]
	s_or_b64 s[10:11], s[42:43], s[10:11]
	s_andn2_b64 s[14:15], s[14:15], exec
	s_and_b64 s[0:1], s[0:1], exec
	s_or_b64 s[14:15], s[14:15], s[0:1]
	s_andn2_b64 exec, exec, s[10:11]
	s_cbranch_execnz .LBB1107_36
; %bb.37:
	s_or_b64 exec, exec, s[10:11]
	v_mov_b64_e32 v[18:19], s[36:37]
	v_mad_u64_u32 v[18:19], s[0:1], v2, s26, v[18:19]
	v_mul_lo_u32 v20, v2, s27
	v_mul_lo_u32 v21, v3, s26
	v_add3_u32 v19, v21, v19, v20
	s_mov_b64 s[40:41], 0
                                        ; implicit-def: $sgpr10_sgpr11
.LBB1107_38:                            ; =>This Inner Loop Header: Depth=1
	global_load_ubyte v20, v[18:19], off
	global_load_ubyte v21, v[16:17], off
	v_lshl_add_u64 v[18:19], v[18:19], 0, 1
	v_lshl_add_u64 v[16:17], v[16:17], 0, 1
	s_waitcnt vmcnt(1)
	v_cmp_ne_u16_e32 vcc, 0, v20
	s_waitcnt vmcnt(0)
	v_cmp_ne_u16_e64 s[0:1], 0, v21
	s_xor_b64 s[0:1], vcc, s[0:1]
	s_cmp_eq_u64 s[12:13], 0
	s_cselect_b64 s[42:43], -1, 0
	s_or_b64 s[42:43], s[0:1], s[42:43]
	s_add_u32 s12, s12, -1
	s_addc_u32 s13, s13, -1
	s_and_b64 s[42:43], exec, s[42:43]
	s_or_b64 s[40:41], s[42:43], s[40:41]
	s_andn2_b64 s[10:11], s[10:11], exec
	s_and_b64 s[0:1], s[0:1], exec
	s_or_b64 s[10:11], s[10:11], s[0:1]
	s_andn2_b64 exec, exec, s[40:41]
	s_cbranch_execnz .LBB1107_38
; %bb.39:
	s_or_b64 exec, exec, s[40:41]
	v_cndmask_b32_e64 v33, 0, 1, s[14:15]
.LBB1107_40:
	s_and_b64 vcc, exec, s[4:5]
	s_cbranch_vccnz .LBB1107_49
; %bb.41:
	v_mov_b64_e32 v[18:19], s[36:37]
	v_mad_u64_u32 v[16:17], s[0:1], v8, s26, v[18:19]
	v_mul_lo_u32 v20, v8, s27
	v_mul_lo_u32 v21, v9, s26
	s_add_u32 s12, s26, -1
	v_add3_u32 v17, v21, v17, v20
	v_mad_u64_u32 v[18:19], s[0:1], v2, s26, v[18:19]
	v_mul_lo_u32 v20, v2, s27
	v_mul_lo_u32 v21, v3, s26
	s_addc_u32 s13, s27, -1
	v_add3_u32 v19, v21, v19, v20
	s_mov_b64 s[40:41], 0
	s_mov_b64 s[42:43], s[12:13]
	v_mov_b64_e32 v[20:21], v[16:17]
                                        ; implicit-def: $sgpr14_sgpr15
.LBB1107_42:                            ; =>This Inner Loop Header: Depth=1
	global_load_ubyte v24, v[20:21], off
	global_load_ubyte v25, v[18:19], off
	v_lshl_add_u64 v[20:21], v[20:21], 0, 1
	v_lshl_add_u64 v[18:19], v[18:19], 0, 1
	s_waitcnt vmcnt(1)
	v_cmp_ne_u16_e32 vcc, 0, v24
	s_waitcnt vmcnt(0)
	v_cmp_ne_u16_e64 s[0:1], 0, v25
	s_xor_b64 s[0:1], vcc, s[0:1]
	s_cmp_eq_u64 s[42:43], 0
	s_cselect_b64 s[44:45], -1, 0
	s_or_b64 s[44:45], s[0:1], s[44:45]
	s_add_u32 s42, s42, -1
	s_addc_u32 s43, s43, -1
	s_and_b64 s[44:45], exec, s[44:45]
	s_or_b64 s[40:41], s[44:45], s[40:41]
	s_andn2_b64 s[14:15], s[14:15], exec
	s_and_b64 s[0:1], s[0:1], exec
	s_or_b64 s[14:15], s[14:15], s[0:1]
	s_andn2_b64 exec, exec, s[40:41]
	s_cbranch_execnz .LBB1107_42
; %bb.43:
	s_or_b64 exec, exec, s[40:41]
	v_mov_b64_e32 v[18:19], s[36:37]
	v_mad_u64_u32 v[18:19], s[0:1], v6, s26, v[18:19]
	v_mul_lo_u32 v20, v6, s27
	v_mul_lo_u32 v21, v7, s26
	v_add3_u32 v19, v21, v19, v20
	s_mov_b64 s[42:43], 0
                                        ; implicit-def: $sgpr40_sgpr41
.LBB1107_44:                            ; =>This Inner Loop Header: Depth=1
	global_load_ubyte v20, v[18:19], off
	global_load_ubyte v21, v[16:17], off
	v_lshl_add_u64 v[18:19], v[18:19], 0, 1
	v_lshl_add_u64 v[16:17], v[16:17], 0, 1
	s_waitcnt vmcnt(1)
	v_cmp_ne_u16_e32 vcc, 0, v20
	s_waitcnt vmcnt(0)
	v_cmp_ne_u16_e64 s[0:1], 0, v21
	s_xor_b64 s[0:1], vcc, s[0:1]
	s_cmp_eq_u64 s[12:13], 0
	s_cselect_b64 s[44:45], -1, 0
	s_or_b64 s[44:45], s[0:1], s[44:45]
	s_add_u32 s12, s12, -1
	s_addc_u32 s13, s13, -1
	s_and_b64 s[44:45], exec, s[44:45]
	s_or_b64 s[42:43], s[44:45], s[42:43]
	s_andn2_b64 s[40:41], s[40:41], exec
	s_and_b64 s[0:1], s[0:1], exec
	s_or_b64 s[40:41], s[40:41], s[0:1]
	s_andn2_b64 exec, exec, s[42:43]
	s_cbranch_execnz .LBB1107_44
; %bb.45:
	s_or_b64 exec, exec, s[42:43]
	v_cndmask_b32_e64 v16, 0, 1, s[14:15]
	s_branch .LBB1107_50
.LBB1107_46:
                                        ; implicit-def: $sgpr12_sgpr13
                                        ; implicit-def: $vgpr33
                                        ; implicit-def: $vgpr17
	s_branch .LBB1107_81
.LBB1107_47:
                                        ; implicit-def: $vgpr16
                                        ; implicit-def: $vgpr35
                                        ; implicit-def: $vgpr34
                                        ; implicit-def: $vgpr14
	s_branch .LBB1107_126
.LBB1107_48:
                                        ; implicit-def: $sgpr12_sgpr13
                                        ; implicit-def: $vgpr33
                                        ; implicit-def: $vgpr17
	s_cbranch_execnz .LBB1107_57
	s_branch .LBB1107_80
.LBB1107_49:
	v_mov_b32_e32 v16, 0
	s_mov_b64 s[40:41], 0
.LBB1107_50:
	s_waitcnt vmcnt(0)
	v_mov_b64_e32 v[18:19], v[14:15]
	s_waitcnt lgkmcnt(0)
	s_barrier
	s_and_saveexec_b64 s[0:1], s[2:3]
; %bb.51:
	v_add_u32_e32 v17, -8, v23
	ds_read_b64 v[18:19], v17
; %bb.52:
	s_or_b64 exec, exec, s[0:1]
	v_cndmask_b32_e64 v17, 0, 1, s[10:11]
	v_cndmask_b32_e64 v20, 0, 1, s[40:41]
	v_lshlrev_b16_e32 v17, 8, v17
	v_lshlrev_b16_e32 v20, 8, v20
	v_or_b32_sdwa v21, v16, v17 dst_sel:WORD_1 dst_unused:UNUSED_PAD src0_sel:DWORD src1_sel:DWORD
	s_mov_b64 s[10:11], 0
	s_and_b64 vcc, exec, s[4:5]
	s_mov_b64 s[12:13], 0
	s_cbranch_vccnz .LBB1107_56
; %bb.53:
	v_mov_b64_e32 v[24:25], s[36:37]
	s_waitcnt lgkmcnt(0)
	v_mad_u64_u32 v[16:17], s[0:1], v18, s26, v[24:25]
	v_mul_lo_u32 v18, v18, s27
	v_mul_lo_u32 v19, v19, s26
	v_add3_u32 v17, v19, v17, v18
	v_mad_u64_u32 v[18:19], s[0:1], v6, s26, v[24:25]
	v_mul_lo_u32 v24, v6, s27
	v_mul_lo_u32 v25, v7, s26
	s_add_u32 s4, s26, -1
	v_add3_u32 v19, v25, v19, v24
	s_addc_u32 s5, s27, -1
	s_mov_b64 s[14:15], 0
                                        ; implicit-def: $sgpr12_sgpr13
.LBB1107_54:                            ; =>This Inner Loop Header: Depth=1
	global_load_ubyte v24, v[16:17], off
	global_load_ubyte v25, v[18:19], off
	v_lshl_add_u64 v[16:17], v[16:17], 0, 1
	v_lshl_add_u64 v[18:19], v[18:19], 0, 1
	s_waitcnt vmcnt(1)
	v_cmp_ne_u16_e32 vcc, 0, v24
	s_waitcnt vmcnt(0)
	v_cmp_ne_u16_e64 s[0:1], 0, v25
	s_xor_b64 s[0:1], vcc, s[0:1]
	s_cmp_eq_u64 s[4:5], 0
	s_cselect_b64 s[40:41], -1, 0
	s_or_b64 s[40:41], s[0:1], s[40:41]
	s_add_u32 s4, s4, -1
	s_addc_u32 s5, s5, -1
	s_and_b64 s[40:41], exec, s[40:41]
	s_or_b64 s[14:15], s[40:41], s[14:15]
	s_andn2_b64 s[12:13], s[12:13], exec
	s_and_b64 s[0:1], s[0:1], exec
	s_or_b64 s[12:13], s[12:13], s[0:1]
	s_andn2_b64 exec, exec, s[14:15]
	s_cbranch_execnz .LBB1107_54
; %bb.55:
	s_or_b64 exec, exec, s[14:15]
.LBB1107_56:
	v_or_b32_e32 v17, v20, v21
	s_and_b64 vcc, exec, s[10:11]
	s_cbranch_vccz .LBB1107_80
.LBB1107_57:
	v_add_u32_e32 v16, 4, v1
	v_cmp_gt_u32_e32 vcc, s48, v16
	s_xor_b64 s[6:7], s[6:7], -1
	s_and_b64 s[0:1], vcc, s[6:7]
	s_mov_b64 s[4:5], 0
	s_and_saveexec_b64 s[10:11], s[0:1]
	s_cbranch_execz .LBB1107_61
; %bb.58:
	s_waitcnt lgkmcnt(0)
	v_mov_b64_e32 v[18:19], s[36:37]
	v_mad_u64_u32 v[16:17], s[0:1], v4, s26, v[18:19]
	v_mul_lo_u32 v20, v4, s27
	v_mul_lo_u32 v21, v5, s26
	v_add3_u32 v17, v21, v17, v20
	v_mad_u64_u32 v[18:19], s[0:1], v12, s26, v[18:19]
	v_mul_lo_u32 v20, v12, s27
	v_mul_lo_u32 v21, v13, s26
	s_add_u32 s4, s26, -1
	v_add3_u32 v19, v21, v19, v20
	s_addc_u32 s5, s27, -1
	s_mov_b64 s[12:13], 0
                                        ; implicit-def: $sgpr14_sgpr15
.LBB1107_59:                            ; =>This Inner Loop Header: Depth=1
	global_load_ubyte v20, v[16:17], off
	global_load_ubyte v21, v[18:19], off
	v_lshl_add_u64 v[16:17], v[16:17], 0, 1
	v_lshl_add_u64 v[18:19], v[18:19], 0, 1
	s_waitcnt vmcnt(1)
	v_cmp_ne_u16_e32 vcc, 0, v20
	s_waitcnt vmcnt(0)
	v_cmp_ne_u16_e64 s[0:1], 0, v21
	s_xor_b64 s[0:1], vcc, s[0:1]
	s_cmp_eq_u64 s[4:5], 0
	s_cselect_b64 s[40:41], -1, 0
	s_or_b64 s[40:41], s[0:1], s[40:41]
	s_add_u32 s4, s4, -1
	s_addc_u32 s5, s5, -1
	s_and_b64 s[40:41], exec, s[40:41]
	s_or_b64 s[12:13], s[40:41], s[12:13]
	s_andn2_b64 s[14:15], s[14:15], exec
	s_and_b64 s[0:1], s[0:1], exec
	s_or_b64 s[14:15], s[14:15], s[0:1]
	s_andn2_b64 exec, exec, s[12:13]
	s_cbranch_execnz .LBB1107_59
; %bb.60:
	s_or_b64 exec, exec, s[12:13]
	s_and_b64 s[4:5], s[14:15], exec
.LBB1107_61:
	s_or_b64 exec, exec, s[10:11]
	v_add_u32_e32 v16, 3, v1
	v_cmp_gt_u32_e32 vcc, s48, v16
	s_and_b64 s[0:1], vcc, s[6:7]
	s_mov_b64 s[10:11], 0
	s_and_saveexec_b64 s[12:13], s[0:1]
	s_cbranch_execz .LBB1107_65
; %bb.62:
	s_waitcnt lgkmcnt(0)
	v_mov_b64_e32 v[18:19], s[36:37]
	v_mad_u64_u32 v[16:17], s[0:1], v2, s26, v[18:19]
	v_mul_lo_u32 v20, v2, s27
	v_mul_lo_u32 v21, v3, s26
	v_add3_u32 v17, v21, v17, v20
	v_mad_u64_u32 v[18:19], s[0:1], v4, s26, v[18:19]
	v_mul_lo_u32 v20, v4, s27
	v_mul_lo_u32 v21, v5, s26
	s_add_u32 s10, s26, -1
	v_add3_u32 v19, v21, v19, v20
	s_addc_u32 s11, s27, -1
	s_mov_b64 s[14:15], 0
                                        ; implicit-def: $sgpr40_sgpr41
.LBB1107_63:                            ; =>This Inner Loop Header: Depth=1
	global_load_ubyte v20, v[16:17], off
	global_load_ubyte v21, v[18:19], off
	v_lshl_add_u64 v[16:17], v[16:17], 0, 1
	v_lshl_add_u64 v[18:19], v[18:19], 0, 1
	s_waitcnt vmcnt(1)
	v_cmp_ne_u16_e32 vcc, 0, v20
	s_waitcnt vmcnt(0)
	v_cmp_ne_u16_e64 s[0:1], 0, v21
	s_xor_b64 s[0:1], vcc, s[0:1]
	s_cmp_eq_u64 s[10:11], 0
	s_cselect_b64 s[42:43], -1, 0
	s_or_b64 s[42:43], s[0:1], s[42:43]
	s_add_u32 s10, s10, -1
	s_addc_u32 s11, s11, -1
	s_and_b64 s[42:43], exec, s[42:43]
	s_or_b64 s[14:15], s[42:43], s[14:15]
	s_andn2_b64 s[40:41], s[40:41], exec
	s_and_b64 s[0:1], s[0:1], exec
	s_or_b64 s[40:41], s[40:41], s[0:1]
	s_andn2_b64 exec, exec, s[14:15]
	s_cbranch_execnz .LBB1107_63
; %bb.64:
	s_or_b64 exec, exec, s[14:15]
	s_and_b64 s[10:11], s[40:41], exec
.LBB1107_65:
	s_or_b64 exec, exec, s[12:13]
	v_add_u32_e32 v16, 2, v1
	v_cmp_gt_u32_e32 vcc, s48, v16
	s_and_b64 s[0:1], vcc, s[6:7]
	s_mov_b64 s[12:13], 0
	s_and_saveexec_b64 s[14:15], s[0:1]
	s_cbranch_execz .LBB1107_69
; %bb.66:
	s_waitcnt lgkmcnt(0)
	v_mov_b64_e32 v[18:19], s[36:37]
	v_mad_u64_u32 v[16:17], s[0:1], v8, s26, v[18:19]
	v_mul_lo_u32 v20, v8, s27
	v_mul_lo_u32 v21, v9, s26
	v_add3_u32 v17, v21, v17, v20
	v_mad_u64_u32 v[18:19], s[0:1], v2, s26, v[18:19]
	v_mul_lo_u32 v20, v2, s27
	v_mul_lo_u32 v21, v3, s26
	s_add_u32 s12, s26, -1
	v_add3_u32 v19, v21, v19, v20
	s_addc_u32 s13, s27, -1
	s_mov_b64 s[40:41], 0
                                        ; implicit-def: $sgpr42_sgpr43
.LBB1107_67:                            ; =>This Inner Loop Header: Depth=1
	global_load_ubyte v20, v[16:17], off
	global_load_ubyte v21, v[18:19], off
	v_lshl_add_u64 v[16:17], v[16:17], 0, 1
	v_lshl_add_u64 v[18:19], v[18:19], 0, 1
	s_waitcnt vmcnt(1)
	v_cmp_ne_u16_e32 vcc, 0, v20
	s_waitcnt vmcnt(0)
	v_cmp_ne_u16_e64 s[0:1], 0, v21
	s_xor_b64 s[0:1], vcc, s[0:1]
	s_cmp_eq_u64 s[12:13], 0
	s_cselect_b64 s[44:45], -1, 0
	s_or_b64 s[44:45], s[0:1], s[44:45]
	s_add_u32 s12, s12, -1
	s_addc_u32 s13, s13, -1
	s_and_b64 s[44:45], exec, s[44:45]
	s_or_b64 s[40:41], s[44:45], s[40:41]
	s_andn2_b64 s[42:43], s[42:43], exec
	s_and_b64 s[0:1], s[0:1], exec
	s_or_b64 s[42:43], s[42:43], s[0:1]
	s_andn2_b64 exec, exec, s[40:41]
	s_cbranch_execnz .LBB1107_67
; %bb.68:
	s_or_b64 exec, exec, s[40:41]
	s_and_b64 s[12:13], s[42:43], exec
.LBB1107_69:
	s_or_b64 exec, exec, s[14:15]
	v_add_u32_e32 v16, 1, v1
	v_cmp_gt_u32_e32 vcc, s48, v16
	s_and_b64 s[40:41], vcc, s[6:7]
	s_mov_b64 s[0:1], 0
	s_and_saveexec_b64 s[14:15], s[40:41]
	s_cbranch_execz .LBB1107_73
; %bb.70:
	s_waitcnt lgkmcnt(0)
	v_mov_b64_e32 v[18:19], s[36:37]
	v_mad_u64_u32 v[16:17], s[0:1], v6, s26, v[18:19]
	v_mul_lo_u32 v20, v6, s27
	v_mul_lo_u32 v21, v7, s26
	v_add3_u32 v17, v21, v17, v20
	v_mad_u64_u32 v[18:19], s[0:1], v8, s26, v[18:19]
	v_mul_lo_u32 v20, v8, s27
	v_mul_lo_u32 v21, v9, s26
	s_add_u32 s40, s26, -1
	v_add3_u32 v19, v21, v19, v20
	s_addc_u32 s41, s27, -1
	s_mov_b64 s[42:43], 0
                                        ; implicit-def: $sgpr44_sgpr45
.LBB1107_71:                            ; =>This Inner Loop Header: Depth=1
	global_load_ubyte v20, v[16:17], off
	global_load_ubyte v21, v[18:19], off
	v_lshl_add_u64 v[16:17], v[16:17], 0, 1
	v_lshl_add_u64 v[18:19], v[18:19], 0, 1
	s_waitcnt vmcnt(1)
	v_cmp_ne_u16_e32 vcc, 0, v20
	s_waitcnt vmcnt(0)
	v_cmp_ne_u16_e64 s[0:1], 0, v21
	s_xor_b64 s[0:1], vcc, s[0:1]
	s_cmp_eq_u64 s[40:41], 0
	s_cselect_b64 s[46:47], -1, 0
	s_or_b64 s[46:47], s[0:1], s[46:47]
	s_add_u32 s40, s40, -1
	s_addc_u32 s41, s41, -1
	s_and_b64 s[46:47], exec, s[46:47]
	s_or_b64 s[42:43], s[46:47], s[42:43]
	s_andn2_b64 s[44:45], s[44:45], exec
	s_and_b64 s[0:1], s[0:1], exec
	s_or_b64 s[44:45], s[44:45], s[0:1]
	s_andn2_b64 exec, exec, s[42:43]
	s_cbranch_execnz .LBB1107_71
; %bb.72:
	s_or_b64 exec, exec, s[42:43]
	s_and_b64 s[0:1], s[44:45], exec
.LBB1107_73:
	s_or_b64 exec, exec, s[14:15]
	s_waitcnt lgkmcnt(0)
	s_barrier
	s_and_saveexec_b64 s[14:15], s[2:3]
	s_cbranch_execz .LBB1107_75
; %bb.74:
	s_waitcnt vmcnt(0)
	v_add_u32_e32 v14, -8, v23
	ds_read_b64 v[14:15], v14
.LBB1107_75:
	s_or_b64 exec, exec, s[14:15]
	v_cndmask_b32_e64 v17, 0, 1, s[10:11]
	v_cndmask_b32_e64 v16, 0, 1, s[12:13]
	;; [unrolled: 1-line block ×3, first 2 shown]
	v_cmp_gt_u32_e32 vcc, s48, v1
	v_lshlrev_b16_e32 v17, 8, v17
	s_and_b64 s[0:1], vcc, s[6:7]
	v_lshlrev_b16_e32 v18, 8, v18
	v_or_b32_sdwa v19, v16, v17 dst_sel:WORD_1 dst_unused:UNUSED_PAD src0_sel:DWORD src1_sel:DWORD
	s_mov_b64 s[12:13], 0
	s_and_saveexec_b64 s[6:7], s[0:1]
	s_cbranch_execz .LBB1107_79
; %bb.76:
	v_mov_b64_e32 v[20:21], s[36:37]
	s_waitcnt vmcnt(0) lgkmcnt(0)
	v_mad_u64_u32 v[16:17], s[0:1], v14, s26, v[20:21]
	v_mul_lo_u32 v14, v14, s27
	v_mul_lo_u32 v15, v15, s26
	v_add3_u32 v17, v15, v17, v14
	v_mad_u64_u32 v[14:15], s[0:1], v6, s26, v[20:21]
	v_mul_lo_u32 v20, v6, s27
	v_mul_lo_u32 v21, v7, s26
	s_add_u32 s10, s26, -1
	v_add3_u32 v15, v21, v15, v20
	s_addc_u32 s11, s27, -1
                                        ; implicit-def: $sgpr14_sgpr15
.LBB1107_77:                            ; =>This Inner Loop Header: Depth=1
	global_load_ubyte v20, v[16:17], off
	global_load_ubyte v21, v[14:15], off
	v_lshl_add_u64 v[16:17], v[16:17], 0, 1
	v_lshl_add_u64 v[14:15], v[14:15], 0, 1
	s_waitcnt vmcnt(1)
	v_cmp_ne_u16_e32 vcc, 0, v20
	s_waitcnt vmcnt(0)
	v_cmp_ne_u16_e64 s[0:1], 0, v21
	s_xor_b64 s[0:1], vcc, s[0:1]
	s_cmp_eq_u64 s[10:11], 0
	s_cselect_b64 s[40:41], -1, 0
	s_or_b64 s[40:41], s[0:1], s[40:41]
	s_add_u32 s10, s10, -1
	s_addc_u32 s11, s11, -1
	s_and_b64 s[40:41], exec, s[40:41]
	s_or_b64 s[12:13], s[40:41], s[12:13]
	s_andn2_b64 s[14:15], s[14:15], exec
	s_and_b64 s[0:1], s[0:1], exec
	s_or_b64 s[14:15], s[14:15], s[0:1]
	s_andn2_b64 exec, exec, s[12:13]
	s_cbranch_execnz .LBB1107_77
; %bb.78:
	s_or_b64 exec, exec, s[12:13]
	s_and_b64 s[12:13], s[14:15], exec
.LBB1107_79:
	s_or_b64 exec, exec, s[6:7]
	v_cndmask_b32_e64 v33, 0, 1, s[4:5]
	v_or_b32_e32 v17, v18, v19
.LBB1107_80:
	s_mov_b64 s[10:11], -1
	s_cbranch_execnz .LBB1107_47
.LBB1107_81:
	s_waitcnt vmcnt(0) lgkmcnt(0)
	v_lshlrev_b32_e32 v14, 5, v0
	v_sub_u32_e32 v22, v22, v14
	v_cmp_lt_i64_e64 s[6:7], s[26:27], 1
	s_mov_b64 s[12:13], 0
	v_cmp_gt_i64_e64 s[0:1], s[26:27], 0
	s_and_b64 vcc, exec, s[34:35]
	ds_write_b64 v22, v[12:13]
	s_cbranch_vccz .LBB1107_94
; %bb.82:
	v_cndmask_b32_e64 v14, 0, 1, s[0:1]
	v_cmp_ne_u32_e64 s[4:5], 1, v14
	s_andn2_b64 vcc, exec, s[0:1]
	v_mov_b32_e32 v33, 0
	s_cbranch_vccnz .LBB1107_88
; %bb.83:
	v_mov_b64_e32 v[16:17], s[36:37]
	v_mad_u64_u32 v[14:15], s[0:1], v4, s26, v[16:17]
	v_mul_lo_u32 v18, v4, s27
	v_mul_lo_u32 v19, v5, s26
	s_add_u32 s14, s26, -1
	v_add3_u32 v15, v19, v15, v18
	v_mad_u64_u32 v[16:17], s[0:1], v12, s26, v[16:17]
	v_mul_lo_u32 v18, v12, s27
	v_mul_lo_u32 v19, v13, s26
	s_addc_u32 s15, s27, -1
	v_add3_u32 v17, v19, v17, v18
	s_mov_b64 s[42:43], s[14:15]
	v_mov_b64_e32 v[18:19], v[14:15]
                                        ; implicit-def: $sgpr40_sgpr41
.LBB1107_84:                            ; =>This Inner Loop Header: Depth=1
	global_load_ubyte v20, v[18:19], off
	global_load_ubyte v21, v[16:17], off
	v_lshl_add_u64 v[18:19], v[18:19], 0, 1
	v_lshl_add_u64 v[16:17], v[16:17], 0, 1
	s_waitcnt vmcnt(1)
	v_cmp_ne_u16_e32 vcc, 0, v20
	s_waitcnt vmcnt(0)
	v_cmp_ne_u16_e64 s[0:1], 0, v21
	s_xor_b64 s[0:1], vcc, s[0:1]
	s_cmp_eq_u64 s[42:43], 0
	s_cselect_b64 s[44:45], -1, 0
	s_or_b64 s[44:45], s[0:1], s[44:45]
	s_add_u32 s42, s42, -1
	s_addc_u32 s43, s43, -1
	s_and_b64 s[44:45], exec, s[44:45]
	s_or_b64 s[12:13], s[44:45], s[12:13]
	s_andn2_b64 s[40:41], s[40:41], exec
	s_and_b64 s[0:1], s[0:1], exec
	s_or_b64 s[40:41], s[40:41], s[0:1]
	s_andn2_b64 exec, exec, s[12:13]
	s_cbranch_execnz .LBB1107_84
; %bb.85:
	s_or_b64 exec, exec, s[12:13]
	v_mov_b64_e32 v[16:17], s[36:37]
	v_mad_u64_u32 v[16:17], s[0:1], v2, s26, v[16:17]
	v_mul_lo_u32 v18, v2, s27
	v_mul_lo_u32 v19, v3, s26
	v_add3_u32 v17, v19, v17, v18
	s_mov_b64 s[42:43], 0
                                        ; implicit-def: $sgpr12_sgpr13
.LBB1107_86:                            ; =>This Inner Loop Header: Depth=1
	global_load_ubyte v18, v[16:17], off
	global_load_ubyte v19, v[14:15], off
	v_lshl_add_u64 v[16:17], v[16:17], 0, 1
	v_lshl_add_u64 v[14:15], v[14:15], 0, 1
	s_waitcnt vmcnt(1)
	v_cmp_ne_u16_e32 vcc, 0, v18
	s_waitcnt vmcnt(0)
	v_cmp_ne_u16_e64 s[0:1], 0, v19
	s_xor_b64 s[0:1], vcc, s[0:1]
	s_cmp_eq_u64 s[14:15], 0
	s_cselect_b64 s[44:45], -1, 0
	s_or_b64 s[44:45], s[0:1], s[44:45]
	s_add_u32 s14, s14, -1
	s_addc_u32 s15, s15, -1
	s_and_b64 s[44:45], exec, s[44:45]
	s_or_b64 s[42:43], s[44:45], s[42:43]
	s_andn2_b64 s[12:13], s[12:13], exec
	s_and_b64 s[0:1], s[0:1], exec
	s_or_b64 s[12:13], s[12:13], s[0:1]
	s_andn2_b64 exec, exec, s[42:43]
	s_cbranch_execnz .LBB1107_86
; %bb.87:
	s_or_b64 exec, exec, s[42:43]
	v_cndmask_b32_e64 v33, 0, 1, s[40:41]
.LBB1107_88:
	s_and_b64 vcc, exec, s[4:5]
	s_cbranch_vccnz .LBB1107_95
; %bb.89:
	v_mov_b64_e32 v[16:17], s[36:37]
	v_mad_u64_u32 v[14:15], s[0:1], v8, s26, v[16:17]
	v_mul_lo_u32 v18, v8, s27
	v_mul_lo_u32 v19, v9, s26
	s_add_u32 s14, s26, -1
	v_add3_u32 v15, v19, v15, v18
	v_mad_u64_u32 v[16:17], s[0:1], v2, s26, v[16:17]
	v_mul_lo_u32 v18, v2, s27
	v_mul_lo_u32 v19, v3, s26
	s_addc_u32 s15, s27, -1
	v_add3_u32 v17, v19, v17, v18
	s_mov_b64 s[42:43], 0
	s_mov_b64 s[44:45], s[14:15]
	v_mov_b64_e32 v[18:19], v[14:15]
                                        ; implicit-def: $sgpr40_sgpr41
.LBB1107_90:                            ; =>This Inner Loop Header: Depth=1
	global_load_ubyte v20, v[18:19], off
	global_load_ubyte v21, v[16:17], off
	v_lshl_add_u64 v[18:19], v[18:19], 0, 1
	v_lshl_add_u64 v[16:17], v[16:17], 0, 1
	s_waitcnt vmcnt(1)
	v_cmp_ne_u16_e32 vcc, 0, v20
	s_waitcnt vmcnt(0)
	v_cmp_ne_u16_e64 s[0:1], 0, v21
	s_xor_b64 s[0:1], vcc, s[0:1]
	s_cmp_eq_u64 s[44:45], 0
	s_cselect_b64 s[46:47], -1, 0
	s_or_b64 s[46:47], s[0:1], s[46:47]
	s_add_u32 s44, s44, -1
	s_addc_u32 s45, s45, -1
	s_and_b64 s[46:47], exec, s[46:47]
	s_or_b64 s[42:43], s[46:47], s[42:43]
	s_andn2_b64 s[40:41], s[40:41], exec
	s_and_b64 s[0:1], s[0:1], exec
	s_or_b64 s[40:41], s[40:41], s[0:1]
	s_andn2_b64 exec, exec, s[42:43]
	s_cbranch_execnz .LBB1107_90
; %bb.91:
	s_or_b64 exec, exec, s[42:43]
	v_mov_b64_e32 v[16:17], s[36:37]
	v_mad_u64_u32 v[16:17], s[0:1], v6, s26, v[16:17]
	v_mul_lo_u32 v18, v6, s27
	v_mul_lo_u32 v19, v7, s26
	v_add3_u32 v17, v19, v17, v18
	s_mov_b64 s[44:45], 0
                                        ; implicit-def: $sgpr42_sgpr43
.LBB1107_92:                            ; =>This Inner Loop Header: Depth=1
	global_load_ubyte v18, v[16:17], off
	global_load_ubyte v19, v[14:15], off
	v_lshl_add_u64 v[16:17], v[16:17], 0, 1
	v_lshl_add_u64 v[14:15], v[14:15], 0, 1
	s_waitcnt vmcnt(1)
	v_cmp_ne_u16_e32 vcc, 0, v18
	s_waitcnt vmcnt(0)
	v_cmp_ne_u16_e64 s[0:1], 0, v19
	s_xor_b64 s[0:1], vcc, s[0:1]
	s_cmp_eq_u64 s[14:15], 0
	s_cselect_b64 s[46:47], -1, 0
	s_or_b64 s[46:47], s[0:1], s[46:47]
	s_add_u32 s14, s14, -1
	s_addc_u32 s15, s15, -1
	s_and_b64 s[46:47], exec, s[46:47]
	s_or_b64 s[44:45], s[46:47], s[44:45]
	s_andn2_b64 s[42:43], s[42:43], exec
	s_and_b64 s[0:1], s[0:1], exec
	s_or_b64 s[42:43], s[42:43], s[0:1]
	s_andn2_b64 exec, exec, s[44:45]
	s_cbranch_execnz .LBB1107_92
; %bb.93:
	s_or_b64 exec, exec, s[44:45]
	v_cndmask_b32_e64 v34, 0, 1, s[40:41]
	s_branch .LBB1107_96
.LBB1107_94:
                                        ; implicit-def: $sgpr12_sgpr13
                                        ; implicit-def: $vgpr33
                                        ; implicit-def: $vgpr17
                                        ; implicit-def: $vgpr16
                                        ; implicit-def: $vgpr35
                                        ; implicit-def: $vgpr34
                                        ; implicit-def: $vgpr14
	s_cbranch_execnz .LBB1107_103
	s_branch .LBB1107_126
.LBB1107_95:
	v_mov_b32_e32 v34, 0
	s_mov_b64 s[42:43], 0
.LBB1107_96:
	v_cndmask_b32_e64 v14, 0, 1, s[12:13]
	v_cndmask_b32_e64 v35, 0, 1, s[42:43]
	v_mov_b32_e32 v16, 1
	s_waitcnt lgkmcnt(0)
	s_barrier
                                        ; implicit-def: $sgpr12_sgpr13
                                        ; implicit-def: $vgpr17
	s_and_saveexec_b64 s[0:1], s[2:3]
	s_xor_b64 s[14:15], exec, s[0:1]
	s_cbranch_execz .LBB1107_102
; %bb.97:
	v_lshlrev_b16_e32 v15, 8, v35
	v_lshlrev_b16_e32 v17, 8, v14
	v_or_b32_e32 v15, 1, v15
	v_or_b32_sdwa v17, v34, v17 dst_sel:WORD_1 dst_unused:UNUSED_PAD src0_sel:DWORD src1_sel:DWORD
	s_mov_b32 s42, 0x3020104
	v_or_b32_sdwa v15, v15, v17 dst_sel:DWORD dst_unused:UNUSED_PAD src0_sel:WORD_0 src1_sel:DWORD
	s_and_b64 vcc, exec, s[4:5]
	s_mov_b64 s[12:13], 0
	s_cbranch_vccnz .LBB1107_101
; %bb.98:
	v_add_u32_e32 v17, -8, v22
	ds_read_b64 v[18:19], v17
	v_mov_b64_e32 v[20:21], s[36:37]
	s_add_u32 s4, s26, -1
	s_addc_u32 s5, s27, -1
	s_mov_b64 s[40:41], 0
	s_waitcnt lgkmcnt(0)
	v_mul_lo_u32 v17, v18, s27
	v_mul_lo_u32 v23, v19, s26
	v_mad_u64_u32 v[18:19], s[0:1], v18, s26, v[20:21]
	v_add3_u32 v19, v23, v19, v17
	v_mad_u64_u32 v[20:21], s[0:1], v6, s26, v[20:21]
	v_mul_lo_u32 v17, v6, s27
	v_mul_lo_u32 v23, v7, s26
	v_add3_u32 v21, v23, v21, v17
                                        ; implicit-def: $sgpr12_sgpr13
.LBB1107_99:                            ; =>This Inner Loop Header: Depth=1
	global_load_ubyte v17, v[18:19], off
	global_load_ubyte v23, v[20:21], off
	v_lshl_add_u64 v[18:19], v[18:19], 0, 1
	v_lshl_add_u64 v[20:21], v[20:21], 0, 1
	s_waitcnt vmcnt(1)
	v_cmp_ne_u16_e32 vcc, 0, v17
	s_waitcnt vmcnt(0)
	v_cmp_ne_u16_e64 s[0:1], 0, v23
	s_xor_b64 s[0:1], vcc, s[0:1]
	s_cmp_eq_u64 s[4:5], 0
	s_cselect_b64 s[44:45], -1, 0
	s_or_b64 s[44:45], s[0:1], s[44:45]
	s_add_u32 s4, s4, -1
	s_addc_u32 s5, s5, -1
	s_and_b64 s[44:45], exec, s[44:45]
	s_or_b64 s[40:41], s[44:45], s[40:41]
	s_andn2_b64 s[12:13], s[12:13], exec
	s_and_b64 s[0:1], s[0:1], exec
	s_or_b64 s[12:13], s[12:13], s[0:1]
	s_andn2_b64 exec, exec, s[40:41]
	s_cbranch_execnz .LBB1107_99
; %bb.100:
	s_or_b64 exec, exec, s[40:41]
.LBB1107_101:
	v_perm_b32 v17, v15, v15, s42
	s_or_b64 s[10:11], s[10:11], exec
.LBB1107_102:
	s_or_b64 exec, exec, s[14:15]
	s_branch .LBB1107_126
.LBB1107_103:
	v_add_u32_e32 v14, 4, v1
	v_cmp_gt_u32_e32 vcc, s48, v14
	s_xor_b64 s[4:5], s[6:7], -1
	s_and_b64 s[0:1], vcc, s[4:5]
	s_mov_b64 s[6:7], 0
	v_mul_lo_u32 v18, v4, s27
	v_mul_lo_u32 v19, v5, s26
	s_and_saveexec_b64 s[12:13], s[0:1]
	s_cbranch_execz .LBB1107_107
; %bb.104:
	v_mov_b64_e32 v[16:17], s[36:37]
	v_mad_u64_u32 v[14:15], s[0:1], v4, s26, v[16:17]
	v_mad_u64_u32 v[16:17], s[0:1], v12, s26, v[16:17]
	v_mul_lo_u32 v20, v12, s27
	v_mul_lo_u32 v21, v13, s26
	s_add_u32 s6, s26, -1
	v_add3_u32 v15, v19, v15, v18
	v_add3_u32 v17, v21, v17, v20
	s_addc_u32 s7, s27, -1
	s_mov_b64 s[14:15], 0
                                        ; implicit-def: $sgpr40_sgpr41
.LBB1107_105:                           ; =>This Inner Loop Header: Depth=1
	global_load_ubyte v20, v[14:15], off
	global_load_ubyte v21, v[16:17], off
	v_lshl_add_u64 v[14:15], v[14:15], 0, 1
	v_lshl_add_u64 v[16:17], v[16:17], 0, 1
	s_waitcnt vmcnt(1)
	v_cmp_ne_u16_e32 vcc, 0, v20
	s_waitcnt vmcnt(0)
	v_cmp_ne_u16_e64 s[0:1], 0, v21
	s_xor_b64 s[0:1], vcc, s[0:1]
	s_cmp_eq_u64 s[6:7], 0
	s_cselect_b64 s[42:43], -1, 0
	s_or_b64 s[42:43], s[0:1], s[42:43]
	s_add_u32 s6, s6, -1
	s_addc_u32 s7, s7, -1
	s_and_b64 s[42:43], exec, s[42:43]
	s_or_b64 s[14:15], s[42:43], s[14:15]
	s_andn2_b64 s[40:41], s[40:41], exec
	s_and_b64 s[0:1], s[0:1], exec
	s_or_b64 s[40:41], s[40:41], s[0:1]
	s_andn2_b64 exec, exec, s[14:15]
	s_cbranch_execnz .LBB1107_105
; %bb.106:
	s_or_b64 exec, exec, s[14:15]
	s_and_b64 s[6:7], s[40:41], exec
.LBB1107_107:
	s_or_b64 exec, exec, s[12:13]
	v_add_u32_e32 v14, 3, v1
	v_cmp_gt_u32_e32 vcc, s48, v14
	s_and_b64 s[0:1], vcc, s[4:5]
	s_mov_b64 s[12:13], 0
	v_mul_lo_u32 v20, v2, s27
	v_mul_lo_u32 v21, v3, s26
	s_and_saveexec_b64 s[14:15], s[0:1]
	s_cbranch_execz .LBB1107_111
; %bb.108:
	v_mov_b64_e32 v[16:17], s[36:37]
	v_mad_u64_u32 v[14:15], s[0:1], v2, s26, v[16:17]
	v_mad_u64_u32 v[16:17], s[0:1], v4, s26, v[16:17]
	s_add_u32 s12, s26, -1
	v_add3_u32 v15, v21, v15, v20
	v_add3_u32 v17, v19, v17, v18
	s_addc_u32 s13, s27, -1
	s_mov_b64 s[40:41], 0
                                        ; implicit-def: $sgpr42_sgpr43
.LBB1107_109:                           ; =>This Inner Loop Header: Depth=1
	global_load_ubyte v18, v[14:15], off
	global_load_ubyte v19, v[16:17], off
	v_lshl_add_u64 v[14:15], v[14:15], 0, 1
	v_lshl_add_u64 v[16:17], v[16:17], 0, 1
	s_waitcnt vmcnt(1)
	v_cmp_ne_u16_e32 vcc, 0, v18
	s_waitcnt vmcnt(0)
	v_cmp_ne_u16_e64 s[0:1], 0, v19
	s_xor_b64 s[0:1], vcc, s[0:1]
	s_cmp_eq_u64 s[12:13], 0
	s_cselect_b64 s[44:45], -1, 0
	s_or_b64 s[44:45], s[0:1], s[44:45]
	s_add_u32 s12, s12, -1
	s_addc_u32 s13, s13, -1
	s_and_b64 s[44:45], exec, s[44:45]
	s_or_b64 s[40:41], s[44:45], s[40:41]
	s_andn2_b64 s[42:43], s[42:43], exec
	s_and_b64 s[0:1], s[0:1], exec
	s_or_b64 s[42:43], s[42:43], s[0:1]
	s_andn2_b64 exec, exec, s[40:41]
	s_cbranch_execnz .LBB1107_109
; %bb.110:
	s_or_b64 exec, exec, s[40:41]
	s_and_b64 s[12:13], s[42:43], exec
.LBB1107_111:
	s_or_b64 exec, exec, s[14:15]
	v_add_u32_e32 v14, 2, v1
	v_cmp_gt_u32_e32 vcc, s48, v14
	s_and_b64 s[0:1], vcc, s[4:5]
	s_mov_b64 s[14:15], 0
	v_mul_lo_u32 v18, v8, s27
	v_mul_lo_u32 v19, v9, s26
	s_and_saveexec_b64 s[40:41], s[0:1]
	s_cbranch_execz .LBB1107_115
; %bb.112:
	v_mov_b64_e32 v[16:17], s[36:37]
	v_mad_u64_u32 v[14:15], s[0:1], v8, s26, v[16:17]
	v_mad_u64_u32 v[16:17], s[0:1], v2, s26, v[16:17]
	s_add_u32 s14, s26, -1
	v_add3_u32 v15, v19, v15, v18
	v_add3_u32 v17, v21, v17, v20
	s_addc_u32 s15, s27, -1
	s_mov_b64 s[42:43], 0
                                        ; implicit-def: $sgpr44_sgpr45
.LBB1107_113:                           ; =>This Inner Loop Header: Depth=1
	global_load_ubyte v20, v[14:15], off
	global_load_ubyte v21, v[16:17], off
	v_lshl_add_u64 v[14:15], v[14:15], 0, 1
	v_lshl_add_u64 v[16:17], v[16:17], 0, 1
	s_waitcnt vmcnt(1)
	v_cmp_ne_u16_e32 vcc, 0, v20
	s_waitcnt vmcnt(0)
	v_cmp_ne_u16_e64 s[0:1], 0, v21
	s_xor_b64 s[0:1], vcc, s[0:1]
	s_cmp_eq_u64 s[14:15], 0
	s_cselect_b64 s[46:47], -1, 0
	s_or_b64 s[46:47], s[0:1], s[46:47]
	s_add_u32 s14, s14, -1
	s_addc_u32 s15, s15, -1
	s_and_b64 s[46:47], exec, s[46:47]
	s_or_b64 s[42:43], s[46:47], s[42:43]
	s_andn2_b64 s[44:45], s[44:45], exec
	s_and_b64 s[0:1], s[0:1], exec
	s_or_b64 s[44:45], s[44:45], s[0:1]
	s_andn2_b64 exec, exec, s[42:43]
	s_cbranch_execnz .LBB1107_113
; %bb.114:
	s_or_b64 exec, exec, s[42:43]
	s_and_b64 s[14:15], s[44:45], exec
.LBB1107_115:
	s_or_b64 exec, exec, s[40:41]
	v_add_u32_e32 v14, 1, v1
	v_cmp_gt_u32_e32 vcc, s48, v14
	s_and_b64 s[42:43], vcc, s[4:5]
	s_mov_b64 s[0:1], 0
	s_and_saveexec_b64 s[40:41], s[42:43]
	s_cbranch_execz .LBB1107_119
; %bb.116:
	v_mov_b64_e32 v[16:17], s[36:37]
	v_mad_u64_u32 v[14:15], s[0:1], v6, s26, v[16:17]
	v_mul_lo_u32 v20, v6, s27
	v_mul_lo_u32 v21, v7, s26
	v_mad_u64_u32 v[16:17], s[0:1], v8, s26, v[16:17]
	s_add_u32 s42, s26, -1
	v_add3_u32 v15, v21, v15, v20
	v_add3_u32 v17, v19, v17, v18
	s_addc_u32 s43, s27, -1
	s_mov_b64 s[44:45], 0
                                        ; implicit-def: $sgpr46_sgpr47
.LBB1107_117:                           ; =>This Inner Loop Header: Depth=1
	global_load_ubyte v18, v[14:15], off
	global_load_ubyte v19, v[16:17], off
	v_lshl_add_u64 v[14:15], v[14:15], 0, 1
	v_lshl_add_u64 v[16:17], v[16:17], 0, 1
	s_waitcnt vmcnt(1)
	v_cmp_ne_u16_e32 vcc, 0, v18
	s_waitcnt vmcnt(0)
	v_cmp_ne_u16_e64 s[0:1], 0, v19
	s_xor_b64 s[0:1], vcc, s[0:1]
	s_cmp_eq_u64 s[42:43], 0
	s_cselect_b64 s[50:51], -1, 0
	s_or_b64 s[50:51], s[0:1], s[50:51]
	s_add_u32 s42, s42, -1
	s_addc_u32 s43, s43, -1
	s_and_b64 s[50:51], exec, s[50:51]
	s_or_b64 s[44:45], s[50:51], s[44:45]
	s_andn2_b64 s[46:47], s[46:47], exec
	s_and_b64 s[0:1], s[0:1], exec
	s_or_b64 s[46:47], s[46:47], s[0:1]
	s_andn2_b64 exec, exec, s[44:45]
	s_cbranch_execnz .LBB1107_117
; %bb.118:
	s_or_b64 exec, exec, s[44:45]
	s_and_b64 s[0:1], s[46:47], exec
.LBB1107_119:
	s_or_b64 exec, exec, s[40:41]
	v_cndmask_b32_e64 v33, 0, 1, s[6:7]
	v_cndmask_b32_e64 v34, 0, 1, s[14:15]
	;; [unrolled: 1-line block ×4, first 2 shown]
	v_mov_b32_e32 v16, 1
	s_waitcnt lgkmcnt(0)
	s_barrier
                                        ; implicit-def: $sgpr12_sgpr13
                                        ; implicit-def: $vgpr17
	s_and_saveexec_b64 s[6:7], s[2:3]
	s_cbranch_execz .LBB1107_125
; %bb.120:
	v_lshlrev_b16_e32 v15, 8, v35
	v_lshlrev_b16_e32 v17, 8, v14
	v_or_b32_e32 v15, 1, v15
	v_or_b32_sdwa v17, v34, v17 dst_sel:WORD_1 dst_unused:UNUSED_PAD src0_sel:DWORD src1_sel:DWORD
	v_cmp_gt_u32_e32 vcc, s48, v1
	v_or_b32_sdwa v15, v15, v17 dst_sel:DWORD dst_unused:UNUSED_PAD src0_sel:WORD_0 src1_sel:DWORD
	s_and_b64 s[0:1], vcc, s[4:5]
	s_mov_b32 s40, 0x3020104
	s_mov_b64 s[12:13], 0
	s_and_saveexec_b64 s[2:3], s[0:1]
	s_cbranch_execz .LBB1107_124
; %bb.121:
	v_add_u32_e32 v17, -8, v22
	ds_read_b64 v[18:19], v17
	v_mov_b64_e32 v[20:21], s[36:37]
	s_add_u32 s4, s26, -1
	s_addc_u32 s5, s27, -1
                                        ; implicit-def: $sgpr14_sgpr15
	s_waitcnt lgkmcnt(0)
	v_mul_lo_u32 v17, v18, s27
	v_mul_lo_u32 v22, v19, s26
	v_mad_u64_u32 v[18:19], s[0:1], v18, s26, v[20:21]
	v_add3_u32 v19, v22, v19, v17
	v_mad_u64_u32 v[20:21], s[0:1], v6, s26, v[20:21]
	v_mul_lo_u32 v17, v6, s27
	v_mul_lo_u32 v22, v7, s26
	v_add3_u32 v21, v22, v21, v17
.LBB1107_122:                           ; =>This Inner Loop Header: Depth=1
	global_load_ubyte v17, v[18:19], off
	global_load_ubyte v22, v[20:21], off
	v_lshl_add_u64 v[18:19], v[18:19], 0, 1
	v_lshl_add_u64 v[20:21], v[20:21], 0, 1
	s_waitcnt vmcnt(1)
	v_cmp_ne_u16_e32 vcc, 0, v17
	s_waitcnt vmcnt(0)
	v_cmp_ne_u16_e64 s[0:1], 0, v22
	s_xor_b64 s[0:1], vcc, s[0:1]
	s_cmp_eq_u64 s[4:5], 0
	s_cselect_b64 s[26:27], -1, 0
	s_or_b64 s[26:27], s[0:1], s[26:27]
	s_add_u32 s4, s4, -1
	s_addc_u32 s5, s5, -1
	s_and_b64 s[26:27], exec, s[26:27]
	s_or_b64 s[12:13], s[26:27], s[12:13]
	s_andn2_b64 s[14:15], s[14:15], exec
	s_and_b64 s[0:1], s[0:1], exec
	s_or_b64 s[14:15], s[14:15], s[0:1]
	s_andn2_b64 exec, exec, s[12:13]
	s_cbranch_execnz .LBB1107_122
; %bb.123:
	s_or_b64 exec, exec, s[12:13]
	s_and_b64 s[12:13], s[14:15], exec
.LBB1107_124:
	s_or_b64 exec, exec, s[2:3]
	v_perm_b32 v17, v15, v15, s40
	s_or_b64 s[10:11], s[10:11], exec
.LBB1107_125:
	s_or_b64 exec, exec, s[6:7]
.LBB1107_126:
	s_and_saveexec_b64 s[0:1], s[10:11]
	s_cbranch_execz .LBB1107_128
; %bb.127:
	s_waitcnt vmcnt(0) lgkmcnt(0)
	v_lshrrev_b32_e32 v14, 24, v17
	v_lshrrev_b32_e32 v34, 16, v17
	;; [unrolled: 1-line block ×3, first 2 shown]
	v_cndmask_b32_e64 v16, 0, 1, s[12:13]
.LBB1107_128:
	s_or_b64 exec, exec, s[0:1]
	s_andn2_b64 vcc, exec, s[8:9]
	s_cbranch_vccnz .LBB1107_132
; %bb.129:
	s_mov_b32 s0, 0xc0c0004
	s_waitcnt vmcnt(0) lgkmcnt(0)
	v_perm_b32 v14, v34, v14, s0
	v_perm_b32 v15, v16, v35, s0
	v_lshlrev_b32_e32 v14, 16, v14
	v_or_b32_e32 v15, v15, v14
	v_cmp_gt_u32_e32 vcc, s48, v1
	v_add_u32_e32 v16, 1, v1
	s_mov_b32 s0, 0x40c0100
	v_cndmask_b32_e32 v14, v14, v15, vcc
	v_and_b32_e32 v14, 0xffff00ff, v14
	v_cmp_gt_u32_e32 vcc, s48, v16
	v_add_u32_e32 v16, 2, v1
	v_and_b32_e32 v33, 0xff, v33
	v_cndmask_b32_e32 v14, v14, v15, vcc
	v_lshrrev_b32_e32 v18, 24, v14
	v_perm_b32 v14, v18, v14, s0
	v_cmp_gt_u32_e32 vcc, s48, v16
	v_add_u32_e32 v16, 3, v1
	v_and_b32_e32 v17, 0xffff, v33
	v_cndmask_b32_e32 v14, v14, v15, vcc
	v_and_b32_e32 v14, 0xffffff, v14
	v_cmp_gt_u32_e32 vcc, s48, v16
	v_add_u32_e32 v1, 4, v1
	s_nop 0
	v_cndmask_b32_e32 v16, v14, v15, vcc
	v_lshrrev_b32_e32 v34, 16, v16
	v_lshrrev_b32_e32 v35, 8, v16
	v_lshrrev_b64 v[14:15], 24, v[16:17]
	v_cmp_le_u32_e32 vcc, s48, v1
	s_and_saveexec_b64 s[0:1], vcc
; %bb.130:
	v_mov_b32_e32 v33, 0
; %bb.131:
	s_or_b64 exec, exec, s[0:1]
.LBB1107_132:
	v_and_b32_e32 v1, 0xff, v16
	s_waitcnt vmcnt(0) lgkmcnt(0)
	v_and_b32_e32 v15, 0xff, v35
	v_and_b32_e32 v17, 0xff, v34
	;; [unrolled: 1-line block ×4, first 2 shown]
	v_add3_u32 v19, v15, v1, v17
	v_add3_u32 v37, v19, v29, v18
	v_mbcnt_lo_u32_b32 v18, -1, 0
	v_mbcnt_hi_u32_b32 v31, -1, v18
	v_and_b32_e32 v18, 15, v31
	v_cmp_eq_u32_e64 s[14:15], 0, v18
	v_cmp_lt_u32_e64 s[12:13], 1, v18
	v_cmp_lt_u32_e64 s[10:11], 3, v18
	;; [unrolled: 1-line block ×3, first 2 shown]
	v_and_b32_e32 v18, 16, v31
	v_cmp_eq_u32_e64 s[6:7], 0, v18
	v_or_b32_e32 v18, 63, v0
	v_cmp_lt_u32_e64 s[2:3], 31, v31
	v_lshrrev_b32_e32 v36, 6, v0
	v_cmp_eq_u32_e64 s[4:5], v0, v18
	s_and_b64 vcc, exec, s[16:17]
	s_barrier
	s_cbranch_vccz .LBB1107_154
; %bb.133:
	v_mov_b32_dpp v18, v37 row_shr:1 row_mask:0xf bank_mask:0xf
	v_cndmask_b32_e64 v18, v18, 0, s[14:15]
	v_add_u32_e32 v18, v18, v37
	s_nop 1
	v_mov_b32_dpp v19, v18 row_shr:2 row_mask:0xf bank_mask:0xf
	v_cndmask_b32_e64 v19, 0, v19, s[12:13]
	v_add_u32_e32 v18, v18, v19
	s_nop 1
	;; [unrolled: 4-line block ×4, first 2 shown]
	v_mov_b32_dpp v19, v18 row_bcast:15 row_mask:0xf bank_mask:0xf
	v_cndmask_b32_e64 v19, v19, 0, s[6:7]
	v_add_u32_e32 v18, v18, v19
	s_nop 1
	v_mov_b32_dpp v19, v18 row_bcast:31 row_mask:0xf bank_mask:0xf
	v_cndmask_b32_e64 v19, 0, v19, s[2:3]
	v_add_u32_e32 v18, v18, v19
	s_and_saveexec_b64 s[0:1], s[4:5]
; %bb.134:
	v_lshlrev_b32_e32 v19, 2, v36
	ds_write_b32 v19, v18
; %bb.135:
	s_or_b64 exec, exec, s[0:1]
	v_cmp_gt_u32_e32 vcc, 2, v0
	s_waitcnt lgkmcnt(0)
	s_barrier
	s_and_saveexec_b64 s[0:1], vcc
	s_cbranch_execz .LBB1107_137
; %bb.136:
	v_lshlrev_b32_e32 v19, 2, v0
	ds_read_b32 v20, v19
	v_bfe_i32 v21, v31, 0, 1
	s_waitcnt lgkmcnt(0)
	v_mov_b32_dpp v22, v20 row_shr:1 row_mask:0xf bank_mask:0xf
	v_and_b32_e32 v21, v21, v22
	v_add_u32_e32 v20, v21, v20
	ds_write_b32 v19, v20
.LBB1107_137:
	s_or_b64 exec, exec, s[0:1]
	v_cmp_gt_u32_e32 vcc, 64, v0
	v_cmp_lt_u32_e64 s[0:1], 63, v0
	s_waitcnt lgkmcnt(0)
	s_barrier
                                        ; implicit-def: $vgpr28
	s_and_saveexec_b64 s[16:17], s[0:1]
	s_cbranch_execz .LBB1107_139
; %bb.138:
	v_lshl_add_u32 v19, v36, 2, -4
	ds_read_b32 v28, v19
	s_waitcnt lgkmcnt(0)
	v_add_u32_e32 v18, v28, v18
.LBB1107_139:
	s_or_b64 exec, exec, s[16:17]
	v_subrev_co_u32_e64 v19, s[16:17], 1, v31
	v_and_b32_e32 v20, 64, v31
	v_cmp_lt_i32_e64 s[0:1], v19, v20
	s_nop 1
	v_cndmask_b32_e64 v19, v19, v31, s[0:1]
	v_lshlrev_b32_e32 v19, 2, v19
	ds_bpermute_b32 v30, v19, v18
	s_and_saveexec_b64 s[0:1], vcc
	s_cbranch_execz .LBB1107_159
; %bb.140:
	v_mov_b32_e32 v25, 0
	ds_read_b32 v18, v25 offset:4
	s_and_saveexec_b64 s[26:27], s[16:17]
	s_cbranch_execz .LBB1107_142
; %bb.141:
	s_add_i32 s36, s33, 64
	s_mov_b32 s37, 0
	s_lshl_b64 s[36:37], s[36:37], 3
	s_add_u32 s36, s38, s36
	v_mov_b32_e32 v19, 1
	s_addc_u32 s37, s39, s37
	s_waitcnt lgkmcnt(0)
	global_store_dwordx2 v25, v[18:19], s[36:37] sc1
.LBB1107_142:
	s_or_b64 exec, exec, s[26:27]
	v_xad_u32 v20, v31, -1, s33
	v_add_u32_e32 v24, 64, v20
	v_lshl_add_u64 v[26:27], v[24:25], 3, s[38:39]
	global_load_dwordx2 v[22:23], v[26:27], off sc1
	s_waitcnt vmcnt(0)
	v_cmp_eq_u16_sdwa s[36:37], v23, v25 src0_sel:BYTE_0 src1_sel:DWORD
	s_and_saveexec_b64 s[26:27], s[36:37]
	s_cbranch_execz .LBB1107_146
; %bb.143:
	s_mov_b64 s[36:37], 0
	v_mov_b32_e32 v19, 0
.LBB1107_144:                           ; =>This Inner Loop Header: Depth=1
	global_load_dwordx2 v[22:23], v[26:27], off sc1
	s_waitcnt vmcnt(0)
	v_cmp_ne_u16_sdwa s[40:41], v23, v19 src0_sel:BYTE_0 src1_sel:DWORD
	s_or_b64 s[36:37], s[40:41], s[36:37]
	s_andn2_b64 exec, exec, s[36:37]
	s_cbranch_execnz .LBB1107_144
; %bb.145:
	s_or_b64 exec, exec, s[36:37]
.LBB1107_146:
	s_or_b64 exec, exec, s[26:27]
	v_and_b32_e32 v39, 63, v31
	v_mov_b32_e32 v38, 2
	v_cmp_ne_u32_e32 vcc, 63, v39
	v_cmp_eq_u16_sdwa s[26:27], v23, v38 src0_sel:BYTE_0 src1_sel:DWORD
	v_lshlrev_b64 v[24:25], v31, -1
	v_addc_co_u32_e32 v26, vcc, 0, v31, vcc
	v_and_b32_e32 v19, s27, v25
	v_lshlrev_b32_e32 v40, 2, v26
	v_or_b32_e32 v19, 0x80000000, v19
	ds_bpermute_b32 v26, v40, v22
	v_and_b32_e32 v21, s26, v24
	v_ffbl_b32_e32 v19, v19
	v_add_u32_e32 v19, 32, v19
	v_ffbl_b32_e32 v21, v21
	v_min_u32_e32 v19, v21, v19
	v_cmp_lt_u32_e32 vcc, v39, v19
	v_add_u32_e32 v42, 2, v39
	v_add_u32_e32 v44, 4, v39
	s_waitcnt lgkmcnt(0)
	v_cndmask_b32_e32 v21, 0, v26, vcc
	v_cmp_gt_u32_e32 vcc, 62, v39
	v_add_u32_e32 v21, v21, v22
	v_add_u32_e32 v46, 8, v39
	v_cndmask_b32_e64 v22, 0, 2, vcc
	v_add_lshl_u32 v41, v22, v31, 2
	ds_bpermute_b32 v22, v41, v21
	v_cmp_le_u32_e32 vcc, v42, v19
	v_add_u32_e32 v48, 16, v39
	v_add_u32_e32 v50, 32, v39
	s_waitcnt lgkmcnt(0)
	v_cndmask_b32_e32 v22, 0, v22, vcc
	v_cmp_gt_u32_e32 vcc, 60, v39
	v_add_u32_e32 v21, v21, v22
	s_nop 0
	v_cndmask_b32_e64 v22, 0, 4, vcc
	v_add_lshl_u32 v43, v22, v31, 2
	ds_bpermute_b32 v22, v43, v21
	v_cmp_le_u32_e32 vcc, v44, v19
	s_waitcnt lgkmcnt(0)
	s_nop 0
	v_cndmask_b32_e32 v22, 0, v22, vcc
	v_cmp_gt_u32_e32 vcc, 56, v39
	v_add_u32_e32 v21, v21, v22
	s_nop 0
	v_cndmask_b32_e64 v22, 0, 8, vcc
	v_add_lshl_u32 v45, v22, v31, 2
	ds_bpermute_b32 v22, v45, v21
	v_cmp_le_u32_e32 vcc, v46, v19
	s_waitcnt lgkmcnt(0)
	s_nop 0
	;; [unrolled: 10-line block ×3, first 2 shown]
	v_cndmask_b32_e32 v22, 0, v22, vcc
	v_add_u32_e32 v21, v21, v22
	v_mov_b32_e32 v22, 0x80
	v_lshl_or_b32 v49, v31, 2, v22
	ds_bpermute_b32 v22, v49, v21
	v_cmp_le_u32_e32 vcc, v50, v19
	s_waitcnt lgkmcnt(0)
	s_nop 0
	v_cndmask_b32_e32 v19, 0, v22, vcc
	v_add_u32_e32 v22, v21, v19
	v_mov_b32_e32 v21, 0
	s_branch .LBB1107_149
.LBB1107_147:                           ;   in Loop: Header=BB1107_149 Depth=1
	s_or_b64 exec, exec, s[26:27]
	v_cmp_eq_u16_sdwa s[26:27], v23, v38 src0_sel:BYTE_0 src1_sel:DWORD
	ds_bpermute_b32 v51, v40, v22
	v_subrev_u32_e32 v20, 64, v20
	v_and_b32_e32 v26, s27, v25
	v_or_b32_e32 v26, 0x80000000, v26
	v_and_b32_e32 v27, s26, v24
	v_ffbl_b32_e32 v26, v26
	v_add_u32_e32 v26, 32, v26
	v_ffbl_b32_e32 v27, v27
	v_min_u32_e32 v26, v27, v26
	v_cmp_lt_u32_e32 vcc, v39, v26
	s_mov_b64 s[26:27], 0
	s_waitcnt lgkmcnt(0)
	v_cndmask_b32_e32 v27, 0, v51, vcc
	v_add_u32_e32 v22, v27, v22
	ds_bpermute_b32 v27, v41, v22
	v_cmp_le_u32_e32 vcc, v42, v26
	s_waitcnt lgkmcnt(0)
	s_nop 0
	v_cndmask_b32_e32 v27, 0, v27, vcc
	v_add_u32_e32 v22, v22, v27
	ds_bpermute_b32 v27, v43, v22
	v_cmp_le_u32_e32 vcc, v44, v26
	s_waitcnt lgkmcnt(0)
	s_nop 0
	;; [unrolled: 6-line block ×5, first 2 shown]
	v_cndmask_b32_e32 v26, 0, v27, vcc
	v_add3_u32 v22, v26, v19, v22
.LBB1107_148:                           ;   in Loop: Header=BB1107_149 Depth=1
	s_and_b64 vcc, exec, s[26:27]
	s_cbranch_vccnz .LBB1107_155
.LBB1107_149:                           ; =>This Loop Header: Depth=1
                                        ;     Child Loop BB1107_152 Depth 2
	v_cmp_ne_u16_sdwa s[26:27], v23, v38 src0_sel:BYTE_0 src1_sel:DWORD
	v_mov_b32_e32 v19, v22
	s_cmp_lg_u64 s[26:27], exec
	s_mov_b64 s[26:27], -1
                                        ; implicit-def: $vgpr22
                                        ; implicit-def: $vgpr23
	s_cbranch_scc1 .LBB1107_148
; %bb.150:                              ;   in Loop: Header=BB1107_149 Depth=1
	v_lshl_add_u64 v[26:27], v[20:21], 3, s[38:39]
	global_load_dwordx2 v[22:23], v[26:27], off sc1
	s_waitcnt vmcnt(0)
	v_cmp_eq_u16_sdwa s[36:37], v23, v21 src0_sel:BYTE_0 src1_sel:DWORD
	s_and_saveexec_b64 s[26:27], s[36:37]
	s_cbranch_execz .LBB1107_147
; %bb.151:                              ;   in Loop: Header=BB1107_149 Depth=1
	s_mov_b64 s[36:37], 0
.LBB1107_152:                           ;   Parent Loop BB1107_149 Depth=1
                                        ; =>  This Inner Loop Header: Depth=2
	global_load_dwordx2 v[22:23], v[26:27], off sc1
	s_waitcnt vmcnt(0)
	v_cmp_ne_u16_sdwa s[40:41], v23, v21 src0_sel:BYTE_0 src1_sel:DWORD
	s_or_b64 s[36:37], s[40:41], s[36:37]
	s_andn2_b64 exec, exec, s[36:37]
	s_cbranch_execnz .LBB1107_152
; %bb.153:                              ;   in Loop: Header=BB1107_149 Depth=1
	s_or_b64 exec, exec, s[36:37]
	s_branch .LBB1107_147
.LBB1107_154:
                                        ; implicit-def: $vgpr22
                                        ; implicit-def: $vgpr24
                                        ; implicit-def: $vgpr26
                                        ; implicit-def: $vgpr28
                                        ; implicit-def: $vgpr30
                                        ; implicit-def: $vgpr20
                                        ; implicit-def: $vgpr18
	s_cbranch_execnz .LBB1107_160
	s_branch .LBB1107_169
.LBB1107_155:
	s_and_saveexec_b64 s[26:27], s[16:17]
	s_cbranch_execz .LBB1107_157
; %bb.156:
	s_add_i32 s36, s33, 64
	s_mov_b32 s37, 0
	s_lshl_b64 s[36:37], s[36:37], 3
	s_add_u32 s36, s38, s36
	v_add_u32_e32 v20, v19, v18
	v_mov_b32_e32 v21, 2
	s_addc_u32 s37, s39, s37
	v_mov_b32_e32 v22, 0
	global_store_dwordx2 v22, v[20:21], s[36:37] sc1
	ds_write_b64 v22, v[18:19] offset:5120
.LBB1107_157:
	s_or_b64 exec, exec, s[26:27]
	s_and_b64 exec, exec, s[18:19]
; %bb.158:
	v_mov_b32_e32 v18, 0
	ds_write_b32 v18, v19 offset:4
.LBB1107_159:
	s_or_b64 exec, exec, s[0:1]
	v_mov_b32_e32 v18, 0
	s_waitcnt lgkmcnt(0)
	s_barrier
	ds_read_b32 v19, v18 offset:4
	v_cndmask_b32_e64 v20, v30, v28, s[16:17]
	v_cndmask_b32_e64 v20, v20, 0, s[18:19]
	s_waitcnt lgkmcnt(0)
	s_barrier
	v_add_u32_e32 v30, v19, v20
	ds_read_b64 v[18:19], v18 offset:5120
	v_add_u32_e32 v28, v30, v1
	v_add_u32_e32 v26, v28, v15
	;; [unrolled: 1-line block ×4, first 2 shown]
	s_waitcnt lgkmcnt(0)
	v_mov_b32_e32 v20, v19
	s_branch .LBB1107_169
.LBB1107_160:
	v_mov_b32_dpp v18, v37 row_shr:1 row_mask:0xf bank_mask:0xf
	v_cndmask_b32_e64 v18, v18, 0, s[14:15]
	v_add_u32_e32 v18, v18, v37
	s_nop 1
	v_mov_b32_dpp v19, v18 row_shr:2 row_mask:0xf bank_mask:0xf
	v_cndmask_b32_e64 v19, 0, v19, s[12:13]
	v_add_u32_e32 v18, v18, v19
	s_nop 1
	;; [unrolled: 4-line block ×4, first 2 shown]
	v_mov_b32_dpp v19, v18 row_bcast:15 row_mask:0xf bank_mask:0xf
	v_cndmask_b32_e64 v19, v19, 0, s[6:7]
	v_add_u32_e32 v18, v18, v19
	s_nop 1
	v_mov_b32_dpp v19, v18 row_bcast:31 row_mask:0xf bank_mask:0xf
	v_cndmask_b32_e64 v19, 0, v19, s[2:3]
	v_add_u32_e32 v18, v18, v19
	s_and_saveexec_b64 s[0:1], s[4:5]
; %bb.161:
	v_lshlrev_b32_e32 v19, 2, v36
	ds_write_b32 v19, v18
; %bb.162:
	s_or_b64 exec, exec, s[0:1]
	v_cmp_gt_u32_e32 vcc, 2, v0
	s_waitcnt lgkmcnt(0)
	s_barrier
	s_and_saveexec_b64 s[0:1], vcc
	s_cbranch_execz .LBB1107_164
; %bb.163:
	v_lshlrev_b32_e32 v19, 2, v0
	ds_read_b32 v20, v19
	v_bfe_i32 v21, v31, 0, 1
	s_waitcnt lgkmcnt(0)
	v_mov_b32_dpp v22, v20 row_shr:1 row_mask:0xf bank_mask:0xf
	v_and_b32_e32 v21, v21, v22
	v_add_u32_e32 v20, v21, v20
	ds_write_b32 v19, v20
.LBB1107_164:
	s_or_b64 exec, exec, s[0:1]
	v_cmp_lt_u32_e32 vcc, 63, v0
	v_mov_b32_e32 v19, 0
	v_mov_b32_e32 v20, 0
	s_waitcnt lgkmcnt(0)
	s_barrier
	s_and_saveexec_b64 s[0:1], vcc
; %bb.165:
	v_lshl_add_u32 v20, v36, 2, -4
	ds_read_b32 v20, v20
; %bb.166:
	s_or_b64 exec, exec, s[0:1]
	v_subrev_co_u32_e32 v21, vcc, 1, v31
	v_and_b32_e32 v22, 64, v31
	v_cmp_lt_i32_e64 s[0:1], v21, v22
	s_waitcnt lgkmcnt(0)
	v_add_u32_e32 v18, v20, v18
	v_cndmask_b32_e64 v21, v21, v31, s[0:1]
	v_lshlrev_b32_e32 v21, 2, v21
	ds_bpermute_b32 v21, v21, v18
	ds_read_b32 v18, v19 offset:4
	s_and_saveexec_b64 s[0:1], s[18:19]
	s_cbranch_execz .LBB1107_168
; %bb.167:
	v_mov_b32_e32 v22, 0
	v_mov_b32_e32 v19, 2
	s_waitcnt lgkmcnt(0)
	global_store_dwordx2 v22, v[18:19], s[38:39] offset:512 sc1
.LBB1107_168:
	s_or_b64 exec, exec, s[0:1]
	s_waitcnt lgkmcnt(1)
	v_cndmask_b32_e32 v19, v21, v20, vcc
	v_cndmask_b32_e64 v30, v19, 0, s[18:19]
	v_add_u32_e32 v28, v30, v1
	v_add_u32_e32 v26, v28, v15
	v_add_u32_e32 v24, v26, v17
	v_add_u32_e32 v22, v24, v29
	s_waitcnt lgkmcnt(0)
	s_barrier
	v_mov_b32_e32 v20, 0
.LBB1107_169:
	s_movk_i32 s0, 0x81
	v_cmp_gt_u32_e64 s[2:3], s0, v18
	v_add_u32_e32 v15, v20, v18
	v_and_b32_e32 v1, 1, v16
	s_mov_b64 s[6:7], -1
	s_and_b64 vcc, exec, s[2:3]
	v_cmp_lt_u32_e64 s[0:1], v30, v15
	v_cmp_eq_u32_e64 s[4:5], 1, v1
	s_cbranch_vccz .LBB1107_181
; %bb.170:
	s_or_b64 s[0:1], s[34:35], s[0:1]
	s_and_b64 s[4:5], s[0:1], s[4:5]
	s_and_saveexec_b64 s[0:1], s[4:5]
	s_cbranch_execz .LBB1107_172
; %bb.171:
	s_lshl_b64 s[4:5], s[22:23], 3
	s_add_u32 s4, s28, s4
	s_addc_u32 s5, s29, s5
	v_mov_b32_e32 v31, 0
	v_lshl_add_u64 v[16:17], v[30:31], 3, s[4:5]
	global_store_dwordx2 v[16:17], v[6:7], off
.LBB1107_172:
	s_or_b64 exec, exec, s[0:1]
	v_cmp_lt_u32_e32 vcc, v28, v15
	v_and_b32_e32 v16, 1, v35
	s_or_b64 s[0:1], s[34:35], vcc
	v_cmp_eq_u32_e32 vcc, 1, v16
	s_and_b64 s[4:5], s[0:1], vcc
	s_and_saveexec_b64 s[0:1], s[4:5]
	s_cbranch_execz .LBB1107_174
; %bb.173:
	s_lshl_b64 s[4:5], s[22:23], 3
	s_add_u32 s4, s28, s4
	s_addc_u32 s5, s29, s5
	v_mov_b32_e32 v29, 0
	v_lshl_add_u64 v[16:17], v[28:29], 3, s[4:5]
	global_store_dwordx2 v[16:17], v[8:9], off
.LBB1107_174:
	s_or_b64 exec, exec, s[0:1]
	v_cmp_lt_u32_e32 vcc, v26, v15
	v_and_b32_e32 v16, 1, v34
	s_or_b64 s[0:1], s[34:35], vcc
	v_cmp_eq_u32_e32 vcc, 1, v16
	s_and_b64 s[4:5], s[0:1], vcc
	s_and_saveexec_b64 s[0:1], s[4:5]
	s_cbranch_execz .LBB1107_176
; %bb.175:
	s_lshl_b64 s[4:5], s[22:23], 3
	s_add_u32 s4, s28, s4
	s_addc_u32 s5, s29, s5
	v_mov_b32_e32 v27, 0
	v_lshl_add_u64 v[16:17], v[26:27], 3, s[4:5]
	global_store_dwordx2 v[16:17], v[2:3], off
.LBB1107_176:
	s_or_b64 exec, exec, s[0:1]
	v_cmp_lt_u32_e32 vcc, v24, v15
	v_and_b32_e32 v16, 1, v14
	s_or_b64 s[0:1], s[34:35], vcc
	v_cmp_eq_u32_e32 vcc, 1, v16
	s_and_b64 s[4:5], s[0:1], vcc
	s_and_saveexec_b64 s[0:1], s[4:5]
	s_cbranch_execz .LBB1107_178
; %bb.177:
	s_lshl_b64 s[4:5], s[22:23], 3
	s_add_u32 s4, s28, s4
	s_addc_u32 s5, s29, s5
	v_mov_b32_e32 v25, 0
	v_lshl_add_u64 v[16:17], v[24:25], 3, s[4:5]
	global_store_dwordx2 v[16:17], v[4:5], off
.LBB1107_178:
	s_or_b64 exec, exec, s[0:1]
	v_cmp_lt_u32_e32 vcc, v22, v15
	v_and_b32_e32 v16, 1, v33
	s_or_b64 s[0:1], s[34:35], vcc
	v_cmp_eq_u32_e32 vcc, 1, v16
	s_and_b64 s[4:5], s[0:1], vcc
	s_and_saveexec_b64 s[0:1], s[4:5]
	s_cbranch_execz .LBB1107_180
; %bb.179:
	s_lshl_b64 s[4:5], s[22:23], 3
	s_add_u32 s4, s28, s4
	s_addc_u32 s5, s29, s5
	v_mov_b32_e32 v23, 0
	v_lshl_add_u64 v[16:17], v[22:23], 3, s[4:5]
	global_store_dwordx2 v[16:17], v[12:13], off
.LBB1107_180:
	s_or_b64 exec, exec, s[0:1]
	s_mov_b64 s[6:7], 0
.LBB1107_181:
	s_and_b64 vcc, exec, s[6:7]
	s_cbranch_vccz .LBB1107_195
; %bb.182:
	v_cmp_eq_u32_e32 vcc, 1, v1
	s_and_saveexec_b64 s[0:1], vcc
; %bb.183:
	v_sub_u32_e32 v16, v30, v20
	v_lshlrev_b32_e32 v16, 3, v16
	ds_write_b64 v16, v[6:7]
; %bb.184:
	s_or_b64 exec, exec, s[0:1]
	v_and_b32_e32 v6, 1, v35
	v_cmp_eq_u32_e32 vcc, 1, v6
	s_and_saveexec_b64 s[0:1], vcc
; %bb.185:
	v_sub_u32_e32 v6, v28, v20
	v_lshlrev_b32_e32 v6, 3, v6
	ds_write_b64 v6, v[8:9]
; %bb.186:
	s_or_b64 exec, exec, s[0:1]
	v_and_b32_e32 v6, 1, v34
	;; [unrolled: 9-line block ×4, first 2 shown]
	v_cmp_eq_u32_e32 vcc, 1, v2
	s_and_saveexec_b64 s[0:1], vcc
; %bb.191:
	v_sub_u32_e32 v2, v22, v20
	v_lshlrev_b32_e32 v2, 3, v2
	ds_write_b64 v2, v[12:13]
; %bb.192:
	s_or_b64 exec, exec, s[0:1]
	v_mov_b32_e32 v3, 0
	v_mov_b32_e32 v21, v3
	v_lshlrev_b64 v[4:5], 3, v[20:21]
	v_lshl_add_u64 v[4:5], s[28:29], 0, v[4:5]
	s_lshl_b64 s[0:1], s[22:23], 3
	v_lshl_add_u64 v[4:5], v[4:5], 0, s[0:1]
	v_lshlrev_b32_e32 v6, 3, v0
	s_mov_b64 s[0:1], 0
	v_mov_b32_e32 v2, v0
	s_waitcnt lgkmcnt(0)
	s_barrier
.LBB1107_193:                           ; =>This Inner Loop Header: Depth=1
	ds_read_b64 v[8:9], v6
	v_lshl_add_u64 v[12:13], v[2:3], 3, v[4:5]
	v_add_u32_e32 v2, 0x80, v2
	v_cmp_ge_u32_e32 vcc, v2, v18
	v_add_u32_e32 v6, 0x400, v6
	s_or_b64 s[0:1], vcc, s[0:1]
	s_waitcnt lgkmcnt(0)
	global_store_dwordx2 v[12:13], v[8:9], off
	s_andn2_b64 exec, exec, s[0:1]
	s_cbranch_execnz .LBB1107_193
; %bb.194:
	s_or_b64 exec, exec, s[0:1]
.LBB1107_195:
	s_mov_b64 s[0:1], -1
	s_and_b64 vcc, exec, s[2:3]
	s_barrier
	s_cbranch_vccnz .LBB1107_199
; %bb.196:
	s_and_b64 vcc, exec, s[0:1]
	s_cbranch_vccnz .LBB1107_210
.LBB1107_197:
	s_and_b64 s[0:1], s[18:19], s[24:25]
	s_and_saveexec_b64 s[2:3], s[0:1]
	s_cbranch_execnz .LBB1107_223
.LBB1107_198:
	s_endpgm
.LBB1107_199:
	v_cmp_lt_u32_e32 vcc, v30, v15
	s_or_b64 s[0:1], s[34:35], vcc
	v_cmp_eq_u32_e32 vcc, 1, v1
	s_and_b64 s[2:3], s[0:1], vcc
	s_and_saveexec_b64 s[0:1], s[2:3]
	s_cbranch_execz .LBB1107_201
; %bb.200:
	s_lshl_b64 s[2:3], s[22:23], 3
	s_add_u32 s2, s30, s2
	s_addc_u32 s3, s31, s3
	v_mov_b32_e32 v31, 0
	v_lshl_add_u64 v[2:3], v[30:31], 3, s[2:3]
	global_store_dwordx2 v[2:3], v[56:57], off
.LBB1107_201:
	s_or_b64 exec, exec, s[0:1]
	v_cmp_lt_u32_e32 vcc, v28, v15
	v_and_b32_e32 v2, 1, v35
	s_or_b64 s[0:1], s[34:35], vcc
	v_cmp_eq_u32_e32 vcc, 1, v2
	s_and_b64 s[2:3], s[0:1], vcc
	s_and_saveexec_b64 s[0:1], s[2:3]
	s_cbranch_execz .LBB1107_203
; %bb.202:
	s_lshl_b64 s[2:3], s[22:23], 3
	s_add_u32 s2, s30, s2
	s_addc_u32 s3, s31, s3
	v_mov_b32_e32 v29, 0
	v_lshl_add_u64 v[2:3], v[28:29], 3, s[2:3]
	global_store_dwordx2 v[2:3], v[58:59], off
.LBB1107_203:
	s_or_b64 exec, exec, s[0:1]
	v_cmp_lt_u32_e32 vcc, v26, v15
	v_and_b32_e32 v2, 1, v34
	;; [unrolled: 16-line block ×4, first 2 shown]
	s_or_b64 s[0:1], s[34:35], vcc
	v_cmp_eq_u32_e32 vcc, 1, v2
	s_and_b64 s[2:3], s[0:1], vcc
	s_and_saveexec_b64 s[0:1], s[2:3]
	s_cbranch_execz .LBB1107_209
; %bb.208:
	s_lshl_b64 s[2:3], s[22:23], 3
	s_add_u32 s2, s30, s2
	s_addc_u32 s3, s31, s3
	v_mov_b32_e32 v23, 0
	v_lshl_add_u64 v[2:3], v[22:23], 3, s[2:3]
	global_store_dwordx2 v[2:3], v[10:11], off
.LBB1107_209:
	s_or_b64 exec, exec, s[0:1]
	s_branch .LBB1107_197
.LBB1107_210:
	v_cmp_eq_u32_e32 vcc, 1, v1
	s_and_saveexec_b64 s[0:1], vcc
; %bb.211:
	v_sub_u32_e32 v1, v30, v20
	v_lshlrev_b32_e32 v1, 3, v1
	ds_write_b64 v1, v[56:57]
; %bb.212:
	s_or_b64 exec, exec, s[0:1]
	v_and_b32_e32 v1, 1, v35
	v_cmp_eq_u32_e32 vcc, 1, v1
	s_and_saveexec_b64 s[0:1], vcc
; %bb.213:
	v_sub_u32_e32 v1, v28, v20
	v_lshlrev_b32_e32 v1, 3, v1
	ds_write_b64 v1, v[58:59]
; %bb.214:
	s_or_b64 exec, exec, s[0:1]
	v_and_b32_e32 v1, 1, v34
	;; [unrolled: 9-line block ×4, first 2 shown]
	v_cmp_eq_u32_e32 vcc, 1, v1
	s_and_saveexec_b64 s[0:1], vcc
; %bb.219:
	v_sub_u32_e32 v1, v22, v20
	v_lshlrev_b32_e32 v1, 3, v1
	ds_write_b64 v1, v[10:11]
; %bb.220:
	s_or_b64 exec, exec, s[0:1]
	v_mov_b32_e32 v1, 0
	v_mov_b32_e32 v21, v1
	v_lshlrev_b64 v[2:3], 3, v[20:21]
	v_lshl_add_u64 v[2:3], s[30:31], 0, v[2:3]
	s_lshl_b64 s[0:1], s[22:23], 3
	v_lshl_add_u64 v[2:3], v[2:3], 0, s[0:1]
	s_mov_b64 s[0:1], 0
	s_waitcnt lgkmcnt(0)
	s_barrier
.LBB1107_221:                           ; =>This Inner Loop Header: Depth=1
	ds_read_b64 v[4:5], v32
	v_lshl_add_u64 v[6:7], v[0:1], 3, v[2:3]
	v_add_u32_e32 v0, 0x80, v0
	v_cmp_ge_u32_e32 vcc, v0, v18
	v_add_u32_e32 v32, 0x400, v32
	s_or_b64 s[0:1], vcc, s[0:1]
	s_waitcnt lgkmcnt(0)
	global_store_dwordx2 v[6:7], v[4:5], off
	s_andn2_b64 exec, exec, s[0:1]
	s_cbranch_execnz .LBB1107_221
; %bb.222:
	s_or_b64 exec, exec, s[0:1]
	s_and_b64 s[0:1], s[18:19], s[24:25]
	s_and_saveexec_b64 s[2:3], s[0:1]
	s_cbranch_execz .LBB1107_198
.LBB1107_223:
	v_mov_b32_e32 v19, 0
	v_lshl_add_u64 v[0:1], s[22:23], 0, v[18:19]
	v_mov_b32_e32 v21, v19
	v_lshl_add_u64 v[0:1], v[0:1], 0, v[20:21]
	global_store_dwordx2 v19, v[0:1], s[20:21]
	s_endpgm
	.section	.rodata,"a",@progbits
	.p2align	6, 0x0
	.amdhsa_kernel _ZN7rocprim17ROCPRIM_400000_NS6detail17trampoline_kernelINS0_14default_configENS1_25partition_config_selectorILNS1_17partition_subalgoE9EllbEEZZNS1_14partition_implILS5_9ELb0ES3_jPlS8_PNS0_10empty_typeENS0_5tupleIJS8_S9_EEENSB_IJS8_SA_EEENS0_18inequality_wrapperIZN2at6native12_GLOBAL__N_124unique_dim_cuda_templateIbEESt5tupleIJNSF_6TensorESK_SK_EERKSK_lbbbEUlllE0_EEPmJS9_EEE10hipError_tPvRmT3_T4_T5_T6_T7_T9_mT8_P12ihipStream_tbDpT10_ENKUlT_T0_E_clISt17integral_constantIbLb0EES19_IbLb1EEEEDaS15_S16_EUlS15_E_NS1_11comp_targetILNS1_3genE0ELNS1_11target_archE4294967295ELNS1_3gpuE0ELNS1_3repE0EEENS1_30default_config_static_selectorELNS0_4arch9wavefront6targetE1EEEvT1_
		.amdhsa_group_segment_fixed_size 5128
		.amdhsa_private_segment_fixed_size 0
		.amdhsa_kernarg_size 136
		.amdhsa_user_sgpr_count 2
		.amdhsa_user_sgpr_dispatch_ptr 0
		.amdhsa_user_sgpr_queue_ptr 0
		.amdhsa_user_sgpr_kernarg_segment_ptr 1
		.amdhsa_user_sgpr_dispatch_id 0
		.amdhsa_user_sgpr_kernarg_preload_length 0
		.amdhsa_user_sgpr_kernarg_preload_offset 0
		.amdhsa_user_sgpr_private_segment_size 0
		.amdhsa_uses_dynamic_stack 0
		.amdhsa_enable_private_segment 0
		.amdhsa_system_sgpr_workgroup_id_x 1
		.amdhsa_system_sgpr_workgroup_id_y 0
		.amdhsa_system_sgpr_workgroup_id_z 0
		.amdhsa_system_sgpr_workgroup_info 0
		.amdhsa_system_vgpr_workitem_id 0
		.amdhsa_next_free_vgpr 60
		.amdhsa_next_free_sgpr 52
		.amdhsa_accum_offset 60
		.amdhsa_reserve_vcc 1
		.amdhsa_float_round_mode_32 0
		.amdhsa_float_round_mode_16_64 0
		.amdhsa_float_denorm_mode_32 3
		.amdhsa_float_denorm_mode_16_64 3
		.amdhsa_dx10_clamp 1
		.amdhsa_ieee_mode 1
		.amdhsa_fp16_overflow 0
		.amdhsa_tg_split 0
		.amdhsa_exception_fp_ieee_invalid_op 0
		.amdhsa_exception_fp_denorm_src 0
		.amdhsa_exception_fp_ieee_div_zero 0
		.amdhsa_exception_fp_ieee_overflow 0
		.amdhsa_exception_fp_ieee_underflow 0
		.amdhsa_exception_fp_ieee_inexact 0
		.amdhsa_exception_int_div_zero 0
	.end_amdhsa_kernel
	.section	.text._ZN7rocprim17ROCPRIM_400000_NS6detail17trampoline_kernelINS0_14default_configENS1_25partition_config_selectorILNS1_17partition_subalgoE9EllbEEZZNS1_14partition_implILS5_9ELb0ES3_jPlS8_PNS0_10empty_typeENS0_5tupleIJS8_S9_EEENSB_IJS8_SA_EEENS0_18inequality_wrapperIZN2at6native12_GLOBAL__N_124unique_dim_cuda_templateIbEESt5tupleIJNSF_6TensorESK_SK_EERKSK_lbbbEUlllE0_EEPmJS9_EEE10hipError_tPvRmT3_T4_T5_T6_T7_T9_mT8_P12ihipStream_tbDpT10_ENKUlT_T0_E_clISt17integral_constantIbLb0EES19_IbLb1EEEEDaS15_S16_EUlS15_E_NS1_11comp_targetILNS1_3genE0ELNS1_11target_archE4294967295ELNS1_3gpuE0ELNS1_3repE0EEENS1_30default_config_static_selectorELNS0_4arch9wavefront6targetE1EEEvT1_,"axG",@progbits,_ZN7rocprim17ROCPRIM_400000_NS6detail17trampoline_kernelINS0_14default_configENS1_25partition_config_selectorILNS1_17partition_subalgoE9EllbEEZZNS1_14partition_implILS5_9ELb0ES3_jPlS8_PNS0_10empty_typeENS0_5tupleIJS8_S9_EEENSB_IJS8_SA_EEENS0_18inequality_wrapperIZN2at6native12_GLOBAL__N_124unique_dim_cuda_templateIbEESt5tupleIJNSF_6TensorESK_SK_EERKSK_lbbbEUlllE0_EEPmJS9_EEE10hipError_tPvRmT3_T4_T5_T6_T7_T9_mT8_P12ihipStream_tbDpT10_ENKUlT_T0_E_clISt17integral_constantIbLb0EES19_IbLb1EEEEDaS15_S16_EUlS15_E_NS1_11comp_targetILNS1_3genE0ELNS1_11target_archE4294967295ELNS1_3gpuE0ELNS1_3repE0EEENS1_30default_config_static_selectorELNS0_4arch9wavefront6targetE1EEEvT1_,comdat
.Lfunc_end1107:
	.size	_ZN7rocprim17ROCPRIM_400000_NS6detail17trampoline_kernelINS0_14default_configENS1_25partition_config_selectorILNS1_17partition_subalgoE9EllbEEZZNS1_14partition_implILS5_9ELb0ES3_jPlS8_PNS0_10empty_typeENS0_5tupleIJS8_S9_EEENSB_IJS8_SA_EEENS0_18inequality_wrapperIZN2at6native12_GLOBAL__N_124unique_dim_cuda_templateIbEESt5tupleIJNSF_6TensorESK_SK_EERKSK_lbbbEUlllE0_EEPmJS9_EEE10hipError_tPvRmT3_T4_T5_T6_T7_T9_mT8_P12ihipStream_tbDpT10_ENKUlT_T0_E_clISt17integral_constantIbLb0EES19_IbLb1EEEEDaS15_S16_EUlS15_E_NS1_11comp_targetILNS1_3genE0ELNS1_11target_archE4294967295ELNS1_3gpuE0ELNS1_3repE0EEENS1_30default_config_static_selectorELNS0_4arch9wavefront6targetE1EEEvT1_, .Lfunc_end1107-_ZN7rocprim17ROCPRIM_400000_NS6detail17trampoline_kernelINS0_14default_configENS1_25partition_config_selectorILNS1_17partition_subalgoE9EllbEEZZNS1_14partition_implILS5_9ELb0ES3_jPlS8_PNS0_10empty_typeENS0_5tupleIJS8_S9_EEENSB_IJS8_SA_EEENS0_18inequality_wrapperIZN2at6native12_GLOBAL__N_124unique_dim_cuda_templateIbEESt5tupleIJNSF_6TensorESK_SK_EERKSK_lbbbEUlllE0_EEPmJS9_EEE10hipError_tPvRmT3_T4_T5_T6_T7_T9_mT8_P12ihipStream_tbDpT10_ENKUlT_T0_E_clISt17integral_constantIbLb0EES19_IbLb1EEEEDaS15_S16_EUlS15_E_NS1_11comp_targetILNS1_3genE0ELNS1_11target_archE4294967295ELNS1_3gpuE0ELNS1_3repE0EEENS1_30default_config_static_selectorELNS0_4arch9wavefront6targetE1EEEvT1_
                                        ; -- End function
	.set _ZN7rocprim17ROCPRIM_400000_NS6detail17trampoline_kernelINS0_14default_configENS1_25partition_config_selectorILNS1_17partition_subalgoE9EllbEEZZNS1_14partition_implILS5_9ELb0ES3_jPlS8_PNS0_10empty_typeENS0_5tupleIJS8_S9_EEENSB_IJS8_SA_EEENS0_18inequality_wrapperIZN2at6native12_GLOBAL__N_124unique_dim_cuda_templateIbEESt5tupleIJNSF_6TensorESK_SK_EERKSK_lbbbEUlllE0_EEPmJS9_EEE10hipError_tPvRmT3_T4_T5_T6_T7_T9_mT8_P12ihipStream_tbDpT10_ENKUlT_T0_E_clISt17integral_constantIbLb0EES19_IbLb1EEEEDaS15_S16_EUlS15_E_NS1_11comp_targetILNS1_3genE0ELNS1_11target_archE4294967295ELNS1_3gpuE0ELNS1_3repE0EEENS1_30default_config_static_selectorELNS0_4arch9wavefront6targetE1EEEvT1_.num_vgpr, 60
	.set _ZN7rocprim17ROCPRIM_400000_NS6detail17trampoline_kernelINS0_14default_configENS1_25partition_config_selectorILNS1_17partition_subalgoE9EllbEEZZNS1_14partition_implILS5_9ELb0ES3_jPlS8_PNS0_10empty_typeENS0_5tupleIJS8_S9_EEENSB_IJS8_SA_EEENS0_18inequality_wrapperIZN2at6native12_GLOBAL__N_124unique_dim_cuda_templateIbEESt5tupleIJNSF_6TensorESK_SK_EERKSK_lbbbEUlllE0_EEPmJS9_EEE10hipError_tPvRmT3_T4_T5_T6_T7_T9_mT8_P12ihipStream_tbDpT10_ENKUlT_T0_E_clISt17integral_constantIbLb0EES19_IbLb1EEEEDaS15_S16_EUlS15_E_NS1_11comp_targetILNS1_3genE0ELNS1_11target_archE4294967295ELNS1_3gpuE0ELNS1_3repE0EEENS1_30default_config_static_selectorELNS0_4arch9wavefront6targetE1EEEvT1_.num_agpr, 0
	.set _ZN7rocprim17ROCPRIM_400000_NS6detail17trampoline_kernelINS0_14default_configENS1_25partition_config_selectorILNS1_17partition_subalgoE9EllbEEZZNS1_14partition_implILS5_9ELb0ES3_jPlS8_PNS0_10empty_typeENS0_5tupleIJS8_S9_EEENSB_IJS8_SA_EEENS0_18inequality_wrapperIZN2at6native12_GLOBAL__N_124unique_dim_cuda_templateIbEESt5tupleIJNSF_6TensorESK_SK_EERKSK_lbbbEUlllE0_EEPmJS9_EEE10hipError_tPvRmT3_T4_T5_T6_T7_T9_mT8_P12ihipStream_tbDpT10_ENKUlT_T0_E_clISt17integral_constantIbLb0EES19_IbLb1EEEEDaS15_S16_EUlS15_E_NS1_11comp_targetILNS1_3genE0ELNS1_11target_archE4294967295ELNS1_3gpuE0ELNS1_3repE0EEENS1_30default_config_static_selectorELNS0_4arch9wavefront6targetE1EEEvT1_.numbered_sgpr, 52
	.set _ZN7rocprim17ROCPRIM_400000_NS6detail17trampoline_kernelINS0_14default_configENS1_25partition_config_selectorILNS1_17partition_subalgoE9EllbEEZZNS1_14partition_implILS5_9ELb0ES3_jPlS8_PNS0_10empty_typeENS0_5tupleIJS8_S9_EEENSB_IJS8_SA_EEENS0_18inequality_wrapperIZN2at6native12_GLOBAL__N_124unique_dim_cuda_templateIbEESt5tupleIJNSF_6TensorESK_SK_EERKSK_lbbbEUlllE0_EEPmJS9_EEE10hipError_tPvRmT3_T4_T5_T6_T7_T9_mT8_P12ihipStream_tbDpT10_ENKUlT_T0_E_clISt17integral_constantIbLb0EES19_IbLb1EEEEDaS15_S16_EUlS15_E_NS1_11comp_targetILNS1_3genE0ELNS1_11target_archE4294967295ELNS1_3gpuE0ELNS1_3repE0EEENS1_30default_config_static_selectorELNS0_4arch9wavefront6targetE1EEEvT1_.num_named_barrier, 0
	.set _ZN7rocprim17ROCPRIM_400000_NS6detail17trampoline_kernelINS0_14default_configENS1_25partition_config_selectorILNS1_17partition_subalgoE9EllbEEZZNS1_14partition_implILS5_9ELb0ES3_jPlS8_PNS0_10empty_typeENS0_5tupleIJS8_S9_EEENSB_IJS8_SA_EEENS0_18inequality_wrapperIZN2at6native12_GLOBAL__N_124unique_dim_cuda_templateIbEESt5tupleIJNSF_6TensorESK_SK_EERKSK_lbbbEUlllE0_EEPmJS9_EEE10hipError_tPvRmT3_T4_T5_T6_T7_T9_mT8_P12ihipStream_tbDpT10_ENKUlT_T0_E_clISt17integral_constantIbLb0EES19_IbLb1EEEEDaS15_S16_EUlS15_E_NS1_11comp_targetILNS1_3genE0ELNS1_11target_archE4294967295ELNS1_3gpuE0ELNS1_3repE0EEENS1_30default_config_static_selectorELNS0_4arch9wavefront6targetE1EEEvT1_.private_seg_size, 0
	.set _ZN7rocprim17ROCPRIM_400000_NS6detail17trampoline_kernelINS0_14default_configENS1_25partition_config_selectorILNS1_17partition_subalgoE9EllbEEZZNS1_14partition_implILS5_9ELb0ES3_jPlS8_PNS0_10empty_typeENS0_5tupleIJS8_S9_EEENSB_IJS8_SA_EEENS0_18inequality_wrapperIZN2at6native12_GLOBAL__N_124unique_dim_cuda_templateIbEESt5tupleIJNSF_6TensorESK_SK_EERKSK_lbbbEUlllE0_EEPmJS9_EEE10hipError_tPvRmT3_T4_T5_T6_T7_T9_mT8_P12ihipStream_tbDpT10_ENKUlT_T0_E_clISt17integral_constantIbLb0EES19_IbLb1EEEEDaS15_S16_EUlS15_E_NS1_11comp_targetILNS1_3genE0ELNS1_11target_archE4294967295ELNS1_3gpuE0ELNS1_3repE0EEENS1_30default_config_static_selectorELNS0_4arch9wavefront6targetE1EEEvT1_.uses_vcc, 1
	.set _ZN7rocprim17ROCPRIM_400000_NS6detail17trampoline_kernelINS0_14default_configENS1_25partition_config_selectorILNS1_17partition_subalgoE9EllbEEZZNS1_14partition_implILS5_9ELb0ES3_jPlS8_PNS0_10empty_typeENS0_5tupleIJS8_S9_EEENSB_IJS8_SA_EEENS0_18inequality_wrapperIZN2at6native12_GLOBAL__N_124unique_dim_cuda_templateIbEESt5tupleIJNSF_6TensorESK_SK_EERKSK_lbbbEUlllE0_EEPmJS9_EEE10hipError_tPvRmT3_T4_T5_T6_T7_T9_mT8_P12ihipStream_tbDpT10_ENKUlT_T0_E_clISt17integral_constantIbLb0EES19_IbLb1EEEEDaS15_S16_EUlS15_E_NS1_11comp_targetILNS1_3genE0ELNS1_11target_archE4294967295ELNS1_3gpuE0ELNS1_3repE0EEENS1_30default_config_static_selectorELNS0_4arch9wavefront6targetE1EEEvT1_.uses_flat_scratch, 0
	.set _ZN7rocprim17ROCPRIM_400000_NS6detail17trampoline_kernelINS0_14default_configENS1_25partition_config_selectorILNS1_17partition_subalgoE9EllbEEZZNS1_14partition_implILS5_9ELb0ES3_jPlS8_PNS0_10empty_typeENS0_5tupleIJS8_S9_EEENSB_IJS8_SA_EEENS0_18inequality_wrapperIZN2at6native12_GLOBAL__N_124unique_dim_cuda_templateIbEESt5tupleIJNSF_6TensorESK_SK_EERKSK_lbbbEUlllE0_EEPmJS9_EEE10hipError_tPvRmT3_T4_T5_T6_T7_T9_mT8_P12ihipStream_tbDpT10_ENKUlT_T0_E_clISt17integral_constantIbLb0EES19_IbLb1EEEEDaS15_S16_EUlS15_E_NS1_11comp_targetILNS1_3genE0ELNS1_11target_archE4294967295ELNS1_3gpuE0ELNS1_3repE0EEENS1_30default_config_static_selectorELNS0_4arch9wavefront6targetE1EEEvT1_.has_dyn_sized_stack, 0
	.set _ZN7rocprim17ROCPRIM_400000_NS6detail17trampoline_kernelINS0_14default_configENS1_25partition_config_selectorILNS1_17partition_subalgoE9EllbEEZZNS1_14partition_implILS5_9ELb0ES3_jPlS8_PNS0_10empty_typeENS0_5tupleIJS8_S9_EEENSB_IJS8_SA_EEENS0_18inequality_wrapperIZN2at6native12_GLOBAL__N_124unique_dim_cuda_templateIbEESt5tupleIJNSF_6TensorESK_SK_EERKSK_lbbbEUlllE0_EEPmJS9_EEE10hipError_tPvRmT3_T4_T5_T6_T7_T9_mT8_P12ihipStream_tbDpT10_ENKUlT_T0_E_clISt17integral_constantIbLb0EES19_IbLb1EEEEDaS15_S16_EUlS15_E_NS1_11comp_targetILNS1_3genE0ELNS1_11target_archE4294967295ELNS1_3gpuE0ELNS1_3repE0EEENS1_30default_config_static_selectorELNS0_4arch9wavefront6targetE1EEEvT1_.has_recursion, 0
	.set _ZN7rocprim17ROCPRIM_400000_NS6detail17trampoline_kernelINS0_14default_configENS1_25partition_config_selectorILNS1_17partition_subalgoE9EllbEEZZNS1_14partition_implILS5_9ELb0ES3_jPlS8_PNS0_10empty_typeENS0_5tupleIJS8_S9_EEENSB_IJS8_SA_EEENS0_18inequality_wrapperIZN2at6native12_GLOBAL__N_124unique_dim_cuda_templateIbEESt5tupleIJNSF_6TensorESK_SK_EERKSK_lbbbEUlllE0_EEPmJS9_EEE10hipError_tPvRmT3_T4_T5_T6_T7_T9_mT8_P12ihipStream_tbDpT10_ENKUlT_T0_E_clISt17integral_constantIbLb0EES19_IbLb1EEEEDaS15_S16_EUlS15_E_NS1_11comp_targetILNS1_3genE0ELNS1_11target_archE4294967295ELNS1_3gpuE0ELNS1_3repE0EEENS1_30default_config_static_selectorELNS0_4arch9wavefront6targetE1EEEvT1_.has_indirect_call, 0
	.section	.AMDGPU.csdata,"",@progbits
; Kernel info:
; codeLenInByte = 9312
; TotalNumSgprs: 58
; NumVgprs: 60
; NumAgprs: 0
; TotalNumVgprs: 60
; ScratchSize: 0
; MemoryBound: 0
; FloatMode: 240
; IeeeMode: 1
; LDSByteSize: 5128 bytes/workgroup (compile time only)
; SGPRBlocks: 7
; VGPRBlocks: 7
; NumSGPRsForWavesPerEU: 58
; NumVGPRsForWavesPerEU: 60
; AccumOffset: 60
; Occupancy: 8
; WaveLimiterHint : 1
; COMPUTE_PGM_RSRC2:SCRATCH_EN: 0
; COMPUTE_PGM_RSRC2:USER_SGPR: 2
; COMPUTE_PGM_RSRC2:TRAP_HANDLER: 0
; COMPUTE_PGM_RSRC2:TGID_X_EN: 1
; COMPUTE_PGM_RSRC2:TGID_Y_EN: 0
; COMPUTE_PGM_RSRC2:TGID_Z_EN: 0
; COMPUTE_PGM_RSRC2:TIDIG_COMP_CNT: 0
; COMPUTE_PGM_RSRC3_GFX90A:ACCUM_OFFSET: 14
; COMPUTE_PGM_RSRC3_GFX90A:TG_SPLIT: 0
	.section	.text._ZN7rocprim17ROCPRIM_400000_NS6detail17trampoline_kernelINS0_14default_configENS1_25partition_config_selectorILNS1_17partition_subalgoE9EllbEEZZNS1_14partition_implILS5_9ELb0ES3_jPlS8_PNS0_10empty_typeENS0_5tupleIJS8_S9_EEENSB_IJS8_SA_EEENS0_18inequality_wrapperIZN2at6native12_GLOBAL__N_124unique_dim_cuda_templateIbEESt5tupleIJNSF_6TensorESK_SK_EERKSK_lbbbEUlllE0_EEPmJS9_EEE10hipError_tPvRmT3_T4_T5_T6_T7_T9_mT8_P12ihipStream_tbDpT10_ENKUlT_T0_E_clISt17integral_constantIbLb0EES19_IbLb1EEEEDaS15_S16_EUlS15_E_NS1_11comp_targetILNS1_3genE5ELNS1_11target_archE942ELNS1_3gpuE9ELNS1_3repE0EEENS1_30default_config_static_selectorELNS0_4arch9wavefront6targetE1EEEvT1_,"axG",@progbits,_ZN7rocprim17ROCPRIM_400000_NS6detail17trampoline_kernelINS0_14default_configENS1_25partition_config_selectorILNS1_17partition_subalgoE9EllbEEZZNS1_14partition_implILS5_9ELb0ES3_jPlS8_PNS0_10empty_typeENS0_5tupleIJS8_S9_EEENSB_IJS8_SA_EEENS0_18inequality_wrapperIZN2at6native12_GLOBAL__N_124unique_dim_cuda_templateIbEESt5tupleIJNSF_6TensorESK_SK_EERKSK_lbbbEUlllE0_EEPmJS9_EEE10hipError_tPvRmT3_T4_T5_T6_T7_T9_mT8_P12ihipStream_tbDpT10_ENKUlT_T0_E_clISt17integral_constantIbLb0EES19_IbLb1EEEEDaS15_S16_EUlS15_E_NS1_11comp_targetILNS1_3genE5ELNS1_11target_archE942ELNS1_3gpuE9ELNS1_3repE0EEENS1_30default_config_static_selectorELNS0_4arch9wavefront6targetE1EEEvT1_,comdat
	.globl	_ZN7rocprim17ROCPRIM_400000_NS6detail17trampoline_kernelINS0_14default_configENS1_25partition_config_selectorILNS1_17partition_subalgoE9EllbEEZZNS1_14partition_implILS5_9ELb0ES3_jPlS8_PNS0_10empty_typeENS0_5tupleIJS8_S9_EEENSB_IJS8_SA_EEENS0_18inequality_wrapperIZN2at6native12_GLOBAL__N_124unique_dim_cuda_templateIbEESt5tupleIJNSF_6TensorESK_SK_EERKSK_lbbbEUlllE0_EEPmJS9_EEE10hipError_tPvRmT3_T4_T5_T6_T7_T9_mT8_P12ihipStream_tbDpT10_ENKUlT_T0_E_clISt17integral_constantIbLb0EES19_IbLb1EEEEDaS15_S16_EUlS15_E_NS1_11comp_targetILNS1_3genE5ELNS1_11target_archE942ELNS1_3gpuE9ELNS1_3repE0EEENS1_30default_config_static_selectorELNS0_4arch9wavefront6targetE1EEEvT1_ ; -- Begin function _ZN7rocprim17ROCPRIM_400000_NS6detail17trampoline_kernelINS0_14default_configENS1_25partition_config_selectorILNS1_17partition_subalgoE9EllbEEZZNS1_14partition_implILS5_9ELb0ES3_jPlS8_PNS0_10empty_typeENS0_5tupleIJS8_S9_EEENSB_IJS8_SA_EEENS0_18inequality_wrapperIZN2at6native12_GLOBAL__N_124unique_dim_cuda_templateIbEESt5tupleIJNSF_6TensorESK_SK_EERKSK_lbbbEUlllE0_EEPmJS9_EEE10hipError_tPvRmT3_T4_T5_T6_T7_T9_mT8_P12ihipStream_tbDpT10_ENKUlT_T0_E_clISt17integral_constantIbLb0EES19_IbLb1EEEEDaS15_S16_EUlS15_E_NS1_11comp_targetILNS1_3genE5ELNS1_11target_archE942ELNS1_3gpuE9ELNS1_3repE0EEENS1_30default_config_static_selectorELNS0_4arch9wavefront6targetE1EEEvT1_
	.p2align	8
	.type	_ZN7rocprim17ROCPRIM_400000_NS6detail17trampoline_kernelINS0_14default_configENS1_25partition_config_selectorILNS1_17partition_subalgoE9EllbEEZZNS1_14partition_implILS5_9ELb0ES3_jPlS8_PNS0_10empty_typeENS0_5tupleIJS8_S9_EEENSB_IJS8_SA_EEENS0_18inequality_wrapperIZN2at6native12_GLOBAL__N_124unique_dim_cuda_templateIbEESt5tupleIJNSF_6TensorESK_SK_EERKSK_lbbbEUlllE0_EEPmJS9_EEE10hipError_tPvRmT3_T4_T5_T6_T7_T9_mT8_P12ihipStream_tbDpT10_ENKUlT_T0_E_clISt17integral_constantIbLb0EES19_IbLb1EEEEDaS15_S16_EUlS15_E_NS1_11comp_targetILNS1_3genE5ELNS1_11target_archE942ELNS1_3gpuE9ELNS1_3repE0EEENS1_30default_config_static_selectorELNS0_4arch9wavefront6targetE1EEEvT1_,@function
_ZN7rocprim17ROCPRIM_400000_NS6detail17trampoline_kernelINS0_14default_configENS1_25partition_config_selectorILNS1_17partition_subalgoE9EllbEEZZNS1_14partition_implILS5_9ELb0ES3_jPlS8_PNS0_10empty_typeENS0_5tupleIJS8_S9_EEENSB_IJS8_SA_EEENS0_18inequality_wrapperIZN2at6native12_GLOBAL__N_124unique_dim_cuda_templateIbEESt5tupleIJNSF_6TensorESK_SK_EERKSK_lbbbEUlllE0_EEPmJS9_EEE10hipError_tPvRmT3_T4_T5_T6_T7_T9_mT8_P12ihipStream_tbDpT10_ENKUlT_T0_E_clISt17integral_constantIbLb0EES19_IbLb1EEEEDaS15_S16_EUlS15_E_NS1_11comp_targetILNS1_3genE5ELNS1_11target_archE942ELNS1_3gpuE9ELNS1_3repE0EEENS1_30default_config_static_selectorELNS0_4arch9wavefront6targetE1EEEvT1_: ; @_ZN7rocprim17ROCPRIM_400000_NS6detail17trampoline_kernelINS0_14default_configENS1_25partition_config_selectorILNS1_17partition_subalgoE9EllbEEZZNS1_14partition_implILS5_9ELb0ES3_jPlS8_PNS0_10empty_typeENS0_5tupleIJS8_S9_EEENSB_IJS8_SA_EEENS0_18inequality_wrapperIZN2at6native12_GLOBAL__N_124unique_dim_cuda_templateIbEESt5tupleIJNSF_6TensorESK_SK_EERKSK_lbbbEUlllE0_EEPmJS9_EEE10hipError_tPvRmT3_T4_T5_T6_T7_T9_mT8_P12ihipStream_tbDpT10_ENKUlT_T0_E_clISt17integral_constantIbLb0EES19_IbLb1EEEEDaS15_S16_EUlS15_E_NS1_11comp_targetILNS1_3genE5ELNS1_11target_archE942ELNS1_3gpuE9ELNS1_3repE0EEENS1_30default_config_static_selectorELNS0_4arch9wavefront6targetE1EEEvT1_
; %bb.0:
	.section	.rodata,"a",@progbits
	.p2align	6, 0x0
	.amdhsa_kernel _ZN7rocprim17ROCPRIM_400000_NS6detail17trampoline_kernelINS0_14default_configENS1_25partition_config_selectorILNS1_17partition_subalgoE9EllbEEZZNS1_14partition_implILS5_9ELb0ES3_jPlS8_PNS0_10empty_typeENS0_5tupleIJS8_S9_EEENSB_IJS8_SA_EEENS0_18inequality_wrapperIZN2at6native12_GLOBAL__N_124unique_dim_cuda_templateIbEESt5tupleIJNSF_6TensorESK_SK_EERKSK_lbbbEUlllE0_EEPmJS9_EEE10hipError_tPvRmT3_T4_T5_T6_T7_T9_mT8_P12ihipStream_tbDpT10_ENKUlT_T0_E_clISt17integral_constantIbLb0EES19_IbLb1EEEEDaS15_S16_EUlS15_E_NS1_11comp_targetILNS1_3genE5ELNS1_11target_archE942ELNS1_3gpuE9ELNS1_3repE0EEENS1_30default_config_static_selectorELNS0_4arch9wavefront6targetE1EEEvT1_
		.amdhsa_group_segment_fixed_size 0
		.amdhsa_private_segment_fixed_size 0
		.amdhsa_kernarg_size 136
		.amdhsa_user_sgpr_count 2
		.amdhsa_user_sgpr_dispatch_ptr 0
		.amdhsa_user_sgpr_queue_ptr 0
		.amdhsa_user_sgpr_kernarg_segment_ptr 1
		.amdhsa_user_sgpr_dispatch_id 0
		.amdhsa_user_sgpr_kernarg_preload_length 0
		.amdhsa_user_sgpr_kernarg_preload_offset 0
		.amdhsa_user_sgpr_private_segment_size 0
		.amdhsa_uses_dynamic_stack 0
		.amdhsa_enable_private_segment 0
		.amdhsa_system_sgpr_workgroup_id_x 1
		.amdhsa_system_sgpr_workgroup_id_y 0
		.amdhsa_system_sgpr_workgroup_id_z 0
		.amdhsa_system_sgpr_workgroup_info 0
		.amdhsa_system_vgpr_workitem_id 0
		.amdhsa_next_free_vgpr 1
		.amdhsa_next_free_sgpr 0
		.amdhsa_accum_offset 4
		.amdhsa_reserve_vcc 0
		.amdhsa_float_round_mode_32 0
		.amdhsa_float_round_mode_16_64 0
		.amdhsa_float_denorm_mode_32 3
		.amdhsa_float_denorm_mode_16_64 3
		.amdhsa_dx10_clamp 1
		.amdhsa_ieee_mode 1
		.amdhsa_fp16_overflow 0
		.amdhsa_tg_split 0
		.amdhsa_exception_fp_ieee_invalid_op 0
		.amdhsa_exception_fp_denorm_src 0
		.amdhsa_exception_fp_ieee_div_zero 0
		.amdhsa_exception_fp_ieee_overflow 0
		.amdhsa_exception_fp_ieee_underflow 0
		.amdhsa_exception_fp_ieee_inexact 0
		.amdhsa_exception_int_div_zero 0
	.end_amdhsa_kernel
	.section	.text._ZN7rocprim17ROCPRIM_400000_NS6detail17trampoline_kernelINS0_14default_configENS1_25partition_config_selectorILNS1_17partition_subalgoE9EllbEEZZNS1_14partition_implILS5_9ELb0ES3_jPlS8_PNS0_10empty_typeENS0_5tupleIJS8_S9_EEENSB_IJS8_SA_EEENS0_18inequality_wrapperIZN2at6native12_GLOBAL__N_124unique_dim_cuda_templateIbEESt5tupleIJNSF_6TensorESK_SK_EERKSK_lbbbEUlllE0_EEPmJS9_EEE10hipError_tPvRmT3_T4_T5_T6_T7_T9_mT8_P12ihipStream_tbDpT10_ENKUlT_T0_E_clISt17integral_constantIbLb0EES19_IbLb1EEEEDaS15_S16_EUlS15_E_NS1_11comp_targetILNS1_3genE5ELNS1_11target_archE942ELNS1_3gpuE9ELNS1_3repE0EEENS1_30default_config_static_selectorELNS0_4arch9wavefront6targetE1EEEvT1_,"axG",@progbits,_ZN7rocprim17ROCPRIM_400000_NS6detail17trampoline_kernelINS0_14default_configENS1_25partition_config_selectorILNS1_17partition_subalgoE9EllbEEZZNS1_14partition_implILS5_9ELb0ES3_jPlS8_PNS0_10empty_typeENS0_5tupleIJS8_S9_EEENSB_IJS8_SA_EEENS0_18inequality_wrapperIZN2at6native12_GLOBAL__N_124unique_dim_cuda_templateIbEESt5tupleIJNSF_6TensorESK_SK_EERKSK_lbbbEUlllE0_EEPmJS9_EEE10hipError_tPvRmT3_T4_T5_T6_T7_T9_mT8_P12ihipStream_tbDpT10_ENKUlT_T0_E_clISt17integral_constantIbLb0EES19_IbLb1EEEEDaS15_S16_EUlS15_E_NS1_11comp_targetILNS1_3genE5ELNS1_11target_archE942ELNS1_3gpuE9ELNS1_3repE0EEENS1_30default_config_static_selectorELNS0_4arch9wavefront6targetE1EEEvT1_,comdat
.Lfunc_end1108:
	.size	_ZN7rocprim17ROCPRIM_400000_NS6detail17trampoline_kernelINS0_14default_configENS1_25partition_config_selectorILNS1_17partition_subalgoE9EllbEEZZNS1_14partition_implILS5_9ELb0ES3_jPlS8_PNS0_10empty_typeENS0_5tupleIJS8_S9_EEENSB_IJS8_SA_EEENS0_18inequality_wrapperIZN2at6native12_GLOBAL__N_124unique_dim_cuda_templateIbEESt5tupleIJNSF_6TensorESK_SK_EERKSK_lbbbEUlllE0_EEPmJS9_EEE10hipError_tPvRmT3_T4_T5_T6_T7_T9_mT8_P12ihipStream_tbDpT10_ENKUlT_T0_E_clISt17integral_constantIbLb0EES19_IbLb1EEEEDaS15_S16_EUlS15_E_NS1_11comp_targetILNS1_3genE5ELNS1_11target_archE942ELNS1_3gpuE9ELNS1_3repE0EEENS1_30default_config_static_selectorELNS0_4arch9wavefront6targetE1EEEvT1_, .Lfunc_end1108-_ZN7rocprim17ROCPRIM_400000_NS6detail17trampoline_kernelINS0_14default_configENS1_25partition_config_selectorILNS1_17partition_subalgoE9EllbEEZZNS1_14partition_implILS5_9ELb0ES3_jPlS8_PNS0_10empty_typeENS0_5tupleIJS8_S9_EEENSB_IJS8_SA_EEENS0_18inequality_wrapperIZN2at6native12_GLOBAL__N_124unique_dim_cuda_templateIbEESt5tupleIJNSF_6TensorESK_SK_EERKSK_lbbbEUlllE0_EEPmJS9_EEE10hipError_tPvRmT3_T4_T5_T6_T7_T9_mT8_P12ihipStream_tbDpT10_ENKUlT_T0_E_clISt17integral_constantIbLb0EES19_IbLb1EEEEDaS15_S16_EUlS15_E_NS1_11comp_targetILNS1_3genE5ELNS1_11target_archE942ELNS1_3gpuE9ELNS1_3repE0EEENS1_30default_config_static_selectorELNS0_4arch9wavefront6targetE1EEEvT1_
                                        ; -- End function
	.set _ZN7rocprim17ROCPRIM_400000_NS6detail17trampoline_kernelINS0_14default_configENS1_25partition_config_selectorILNS1_17partition_subalgoE9EllbEEZZNS1_14partition_implILS5_9ELb0ES3_jPlS8_PNS0_10empty_typeENS0_5tupleIJS8_S9_EEENSB_IJS8_SA_EEENS0_18inequality_wrapperIZN2at6native12_GLOBAL__N_124unique_dim_cuda_templateIbEESt5tupleIJNSF_6TensorESK_SK_EERKSK_lbbbEUlllE0_EEPmJS9_EEE10hipError_tPvRmT3_T4_T5_T6_T7_T9_mT8_P12ihipStream_tbDpT10_ENKUlT_T0_E_clISt17integral_constantIbLb0EES19_IbLb1EEEEDaS15_S16_EUlS15_E_NS1_11comp_targetILNS1_3genE5ELNS1_11target_archE942ELNS1_3gpuE9ELNS1_3repE0EEENS1_30default_config_static_selectorELNS0_4arch9wavefront6targetE1EEEvT1_.num_vgpr, 0
	.set _ZN7rocprim17ROCPRIM_400000_NS6detail17trampoline_kernelINS0_14default_configENS1_25partition_config_selectorILNS1_17partition_subalgoE9EllbEEZZNS1_14partition_implILS5_9ELb0ES3_jPlS8_PNS0_10empty_typeENS0_5tupleIJS8_S9_EEENSB_IJS8_SA_EEENS0_18inequality_wrapperIZN2at6native12_GLOBAL__N_124unique_dim_cuda_templateIbEESt5tupleIJNSF_6TensorESK_SK_EERKSK_lbbbEUlllE0_EEPmJS9_EEE10hipError_tPvRmT3_T4_T5_T6_T7_T9_mT8_P12ihipStream_tbDpT10_ENKUlT_T0_E_clISt17integral_constantIbLb0EES19_IbLb1EEEEDaS15_S16_EUlS15_E_NS1_11comp_targetILNS1_3genE5ELNS1_11target_archE942ELNS1_3gpuE9ELNS1_3repE0EEENS1_30default_config_static_selectorELNS0_4arch9wavefront6targetE1EEEvT1_.num_agpr, 0
	.set _ZN7rocprim17ROCPRIM_400000_NS6detail17trampoline_kernelINS0_14default_configENS1_25partition_config_selectorILNS1_17partition_subalgoE9EllbEEZZNS1_14partition_implILS5_9ELb0ES3_jPlS8_PNS0_10empty_typeENS0_5tupleIJS8_S9_EEENSB_IJS8_SA_EEENS0_18inequality_wrapperIZN2at6native12_GLOBAL__N_124unique_dim_cuda_templateIbEESt5tupleIJNSF_6TensorESK_SK_EERKSK_lbbbEUlllE0_EEPmJS9_EEE10hipError_tPvRmT3_T4_T5_T6_T7_T9_mT8_P12ihipStream_tbDpT10_ENKUlT_T0_E_clISt17integral_constantIbLb0EES19_IbLb1EEEEDaS15_S16_EUlS15_E_NS1_11comp_targetILNS1_3genE5ELNS1_11target_archE942ELNS1_3gpuE9ELNS1_3repE0EEENS1_30default_config_static_selectorELNS0_4arch9wavefront6targetE1EEEvT1_.numbered_sgpr, 0
	.set _ZN7rocprim17ROCPRIM_400000_NS6detail17trampoline_kernelINS0_14default_configENS1_25partition_config_selectorILNS1_17partition_subalgoE9EllbEEZZNS1_14partition_implILS5_9ELb0ES3_jPlS8_PNS0_10empty_typeENS0_5tupleIJS8_S9_EEENSB_IJS8_SA_EEENS0_18inequality_wrapperIZN2at6native12_GLOBAL__N_124unique_dim_cuda_templateIbEESt5tupleIJNSF_6TensorESK_SK_EERKSK_lbbbEUlllE0_EEPmJS9_EEE10hipError_tPvRmT3_T4_T5_T6_T7_T9_mT8_P12ihipStream_tbDpT10_ENKUlT_T0_E_clISt17integral_constantIbLb0EES19_IbLb1EEEEDaS15_S16_EUlS15_E_NS1_11comp_targetILNS1_3genE5ELNS1_11target_archE942ELNS1_3gpuE9ELNS1_3repE0EEENS1_30default_config_static_selectorELNS0_4arch9wavefront6targetE1EEEvT1_.num_named_barrier, 0
	.set _ZN7rocprim17ROCPRIM_400000_NS6detail17trampoline_kernelINS0_14default_configENS1_25partition_config_selectorILNS1_17partition_subalgoE9EllbEEZZNS1_14partition_implILS5_9ELb0ES3_jPlS8_PNS0_10empty_typeENS0_5tupleIJS8_S9_EEENSB_IJS8_SA_EEENS0_18inequality_wrapperIZN2at6native12_GLOBAL__N_124unique_dim_cuda_templateIbEESt5tupleIJNSF_6TensorESK_SK_EERKSK_lbbbEUlllE0_EEPmJS9_EEE10hipError_tPvRmT3_T4_T5_T6_T7_T9_mT8_P12ihipStream_tbDpT10_ENKUlT_T0_E_clISt17integral_constantIbLb0EES19_IbLb1EEEEDaS15_S16_EUlS15_E_NS1_11comp_targetILNS1_3genE5ELNS1_11target_archE942ELNS1_3gpuE9ELNS1_3repE0EEENS1_30default_config_static_selectorELNS0_4arch9wavefront6targetE1EEEvT1_.private_seg_size, 0
	.set _ZN7rocprim17ROCPRIM_400000_NS6detail17trampoline_kernelINS0_14default_configENS1_25partition_config_selectorILNS1_17partition_subalgoE9EllbEEZZNS1_14partition_implILS5_9ELb0ES3_jPlS8_PNS0_10empty_typeENS0_5tupleIJS8_S9_EEENSB_IJS8_SA_EEENS0_18inequality_wrapperIZN2at6native12_GLOBAL__N_124unique_dim_cuda_templateIbEESt5tupleIJNSF_6TensorESK_SK_EERKSK_lbbbEUlllE0_EEPmJS9_EEE10hipError_tPvRmT3_T4_T5_T6_T7_T9_mT8_P12ihipStream_tbDpT10_ENKUlT_T0_E_clISt17integral_constantIbLb0EES19_IbLb1EEEEDaS15_S16_EUlS15_E_NS1_11comp_targetILNS1_3genE5ELNS1_11target_archE942ELNS1_3gpuE9ELNS1_3repE0EEENS1_30default_config_static_selectorELNS0_4arch9wavefront6targetE1EEEvT1_.uses_vcc, 0
	.set _ZN7rocprim17ROCPRIM_400000_NS6detail17trampoline_kernelINS0_14default_configENS1_25partition_config_selectorILNS1_17partition_subalgoE9EllbEEZZNS1_14partition_implILS5_9ELb0ES3_jPlS8_PNS0_10empty_typeENS0_5tupleIJS8_S9_EEENSB_IJS8_SA_EEENS0_18inequality_wrapperIZN2at6native12_GLOBAL__N_124unique_dim_cuda_templateIbEESt5tupleIJNSF_6TensorESK_SK_EERKSK_lbbbEUlllE0_EEPmJS9_EEE10hipError_tPvRmT3_T4_T5_T6_T7_T9_mT8_P12ihipStream_tbDpT10_ENKUlT_T0_E_clISt17integral_constantIbLb0EES19_IbLb1EEEEDaS15_S16_EUlS15_E_NS1_11comp_targetILNS1_3genE5ELNS1_11target_archE942ELNS1_3gpuE9ELNS1_3repE0EEENS1_30default_config_static_selectorELNS0_4arch9wavefront6targetE1EEEvT1_.uses_flat_scratch, 0
	.set _ZN7rocprim17ROCPRIM_400000_NS6detail17trampoline_kernelINS0_14default_configENS1_25partition_config_selectorILNS1_17partition_subalgoE9EllbEEZZNS1_14partition_implILS5_9ELb0ES3_jPlS8_PNS0_10empty_typeENS0_5tupleIJS8_S9_EEENSB_IJS8_SA_EEENS0_18inequality_wrapperIZN2at6native12_GLOBAL__N_124unique_dim_cuda_templateIbEESt5tupleIJNSF_6TensorESK_SK_EERKSK_lbbbEUlllE0_EEPmJS9_EEE10hipError_tPvRmT3_T4_T5_T6_T7_T9_mT8_P12ihipStream_tbDpT10_ENKUlT_T0_E_clISt17integral_constantIbLb0EES19_IbLb1EEEEDaS15_S16_EUlS15_E_NS1_11comp_targetILNS1_3genE5ELNS1_11target_archE942ELNS1_3gpuE9ELNS1_3repE0EEENS1_30default_config_static_selectorELNS0_4arch9wavefront6targetE1EEEvT1_.has_dyn_sized_stack, 0
	.set _ZN7rocprim17ROCPRIM_400000_NS6detail17trampoline_kernelINS0_14default_configENS1_25partition_config_selectorILNS1_17partition_subalgoE9EllbEEZZNS1_14partition_implILS5_9ELb0ES3_jPlS8_PNS0_10empty_typeENS0_5tupleIJS8_S9_EEENSB_IJS8_SA_EEENS0_18inequality_wrapperIZN2at6native12_GLOBAL__N_124unique_dim_cuda_templateIbEESt5tupleIJNSF_6TensorESK_SK_EERKSK_lbbbEUlllE0_EEPmJS9_EEE10hipError_tPvRmT3_T4_T5_T6_T7_T9_mT8_P12ihipStream_tbDpT10_ENKUlT_T0_E_clISt17integral_constantIbLb0EES19_IbLb1EEEEDaS15_S16_EUlS15_E_NS1_11comp_targetILNS1_3genE5ELNS1_11target_archE942ELNS1_3gpuE9ELNS1_3repE0EEENS1_30default_config_static_selectorELNS0_4arch9wavefront6targetE1EEEvT1_.has_recursion, 0
	.set _ZN7rocprim17ROCPRIM_400000_NS6detail17trampoline_kernelINS0_14default_configENS1_25partition_config_selectorILNS1_17partition_subalgoE9EllbEEZZNS1_14partition_implILS5_9ELb0ES3_jPlS8_PNS0_10empty_typeENS0_5tupleIJS8_S9_EEENSB_IJS8_SA_EEENS0_18inequality_wrapperIZN2at6native12_GLOBAL__N_124unique_dim_cuda_templateIbEESt5tupleIJNSF_6TensorESK_SK_EERKSK_lbbbEUlllE0_EEPmJS9_EEE10hipError_tPvRmT3_T4_T5_T6_T7_T9_mT8_P12ihipStream_tbDpT10_ENKUlT_T0_E_clISt17integral_constantIbLb0EES19_IbLb1EEEEDaS15_S16_EUlS15_E_NS1_11comp_targetILNS1_3genE5ELNS1_11target_archE942ELNS1_3gpuE9ELNS1_3repE0EEENS1_30default_config_static_selectorELNS0_4arch9wavefront6targetE1EEEvT1_.has_indirect_call, 0
	.section	.AMDGPU.csdata,"",@progbits
; Kernel info:
; codeLenInByte = 0
; TotalNumSgprs: 6
; NumVgprs: 0
; NumAgprs: 0
; TotalNumVgprs: 0
; ScratchSize: 0
; MemoryBound: 0
; FloatMode: 240
; IeeeMode: 1
; LDSByteSize: 0 bytes/workgroup (compile time only)
; SGPRBlocks: 0
; VGPRBlocks: 0
; NumSGPRsForWavesPerEU: 6
; NumVGPRsForWavesPerEU: 1
; AccumOffset: 4
; Occupancy: 8
; WaveLimiterHint : 0
; COMPUTE_PGM_RSRC2:SCRATCH_EN: 0
; COMPUTE_PGM_RSRC2:USER_SGPR: 2
; COMPUTE_PGM_RSRC2:TRAP_HANDLER: 0
; COMPUTE_PGM_RSRC2:TGID_X_EN: 1
; COMPUTE_PGM_RSRC2:TGID_Y_EN: 0
; COMPUTE_PGM_RSRC2:TGID_Z_EN: 0
; COMPUTE_PGM_RSRC2:TIDIG_COMP_CNT: 0
; COMPUTE_PGM_RSRC3_GFX90A:ACCUM_OFFSET: 0
; COMPUTE_PGM_RSRC3_GFX90A:TG_SPLIT: 0
	.section	.text._ZN7rocprim17ROCPRIM_400000_NS6detail17trampoline_kernelINS0_14default_configENS1_25partition_config_selectorILNS1_17partition_subalgoE9EllbEEZZNS1_14partition_implILS5_9ELb0ES3_jPlS8_PNS0_10empty_typeENS0_5tupleIJS8_S9_EEENSB_IJS8_SA_EEENS0_18inequality_wrapperIZN2at6native12_GLOBAL__N_124unique_dim_cuda_templateIbEESt5tupleIJNSF_6TensorESK_SK_EERKSK_lbbbEUlllE0_EEPmJS9_EEE10hipError_tPvRmT3_T4_T5_T6_T7_T9_mT8_P12ihipStream_tbDpT10_ENKUlT_T0_E_clISt17integral_constantIbLb0EES19_IbLb1EEEEDaS15_S16_EUlS15_E_NS1_11comp_targetILNS1_3genE4ELNS1_11target_archE910ELNS1_3gpuE8ELNS1_3repE0EEENS1_30default_config_static_selectorELNS0_4arch9wavefront6targetE1EEEvT1_,"axG",@progbits,_ZN7rocprim17ROCPRIM_400000_NS6detail17trampoline_kernelINS0_14default_configENS1_25partition_config_selectorILNS1_17partition_subalgoE9EllbEEZZNS1_14partition_implILS5_9ELb0ES3_jPlS8_PNS0_10empty_typeENS0_5tupleIJS8_S9_EEENSB_IJS8_SA_EEENS0_18inequality_wrapperIZN2at6native12_GLOBAL__N_124unique_dim_cuda_templateIbEESt5tupleIJNSF_6TensorESK_SK_EERKSK_lbbbEUlllE0_EEPmJS9_EEE10hipError_tPvRmT3_T4_T5_T6_T7_T9_mT8_P12ihipStream_tbDpT10_ENKUlT_T0_E_clISt17integral_constantIbLb0EES19_IbLb1EEEEDaS15_S16_EUlS15_E_NS1_11comp_targetILNS1_3genE4ELNS1_11target_archE910ELNS1_3gpuE8ELNS1_3repE0EEENS1_30default_config_static_selectorELNS0_4arch9wavefront6targetE1EEEvT1_,comdat
	.globl	_ZN7rocprim17ROCPRIM_400000_NS6detail17trampoline_kernelINS0_14default_configENS1_25partition_config_selectorILNS1_17partition_subalgoE9EllbEEZZNS1_14partition_implILS5_9ELb0ES3_jPlS8_PNS0_10empty_typeENS0_5tupleIJS8_S9_EEENSB_IJS8_SA_EEENS0_18inequality_wrapperIZN2at6native12_GLOBAL__N_124unique_dim_cuda_templateIbEESt5tupleIJNSF_6TensorESK_SK_EERKSK_lbbbEUlllE0_EEPmJS9_EEE10hipError_tPvRmT3_T4_T5_T6_T7_T9_mT8_P12ihipStream_tbDpT10_ENKUlT_T0_E_clISt17integral_constantIbLb0EES19_IbLb1EEEEDaS15_S16_EUlS15_E_NS1_11comp_targetILNS1_3genE4ELNS1_11target_archE910ELNS1_3gpuE8ELNS1_3repE0EEENS1_30default_config_static_selectorELNS0_4arch9wavefront6targetE1EEEvT1_ ; -- Begin function _ZN7rocprim17ROCPRIM_400000_NS6detail17trampoline_kernelINS0_14default_configENS1_25partition_config_selectorILNS1_17partition_subalgoE9EllbEEZZNS1_14partition_implILS5_9ELb0ES3_jPlS8_PNS0_10empty_typeENS0_5tupleIJS8_S9_EEENSB_IJS8_SA_EEENS0_18inequality_wrapperIZN2at6native12_GLOBAL__N_124unique_dim_cuda_templateIbEESt5tupleIJNSF_6TensorESK_SK_EERKSK_lbbbEUlllE0_EEPmJS9_EEE10hipError_tPvRmT3_T4_T5_T6_T7_T9_mT8_P12ihipStream_tbDpT10_ENKUlT_T0_E_clISt17integral_constantIbLb0EES19_IbLb1EEEEDaS15_S16_EUlS15_E_NS1_11comp_targetILNS1_3genE4ELNS1_11target_archE910ELNS1_3gpuE8ELNS1_3repE0EEENS1_30default_config_static_selectorELNS0_4arch9wavefront6targetE1EEEvT1_
	.p2align	8
	.type	_ZN7rocprim17ROCPRIM_400000_NS6detail17trampoline_kernelINS0_14default_configENS1_25partition_config_selectorILNS1_17partition_subalgoE9EllbEEZZNS1_14partition_implILS5_9ELb0ES3_jPlS8_PNS0_10empty_typeENS0_5tupleIJS8_S9_EEENSB_IJS8_SA_EEENS0_18inequality_wrapperIZN2at6native12_GLOBAL__N_124unique_dim_cuda_templateIbEESt5tupleIJNSF_6TensorESK_SK_EERKSK_lbbbEUlllE0_EEPmJS9_EEE10hipError_tPvRmT3_T4_T5_T6_T7_T9_mT8_P12ihipStream_tbDpT10_ENKUlT_T0_E_clISt17integral_constantIbLb0EES19_IbLb1EEEEDaS15_S16_EUlS15_E_NS1_11comp_targetILNS1_3genE4ELNS1_11target_archE910ELNS1_3gpuE8ELNS1_3repE0EEENS1_30default_config_static_selectorELNS0_4arch9wavefront6targetE1EEEvT1_,@function
_ZN7rocprim17ROCPRIM_400000_NS6detail17trampoline_kernelINS0_14default_configENS1_25partition_config_selectorILNS1_17partition_subalgoE9EllbEEZZNS1_14partition_implILS5_9ELb0ES3_jPlS8_PNS0_10empty_typeENS0_5tupleIJS8_S9_EEENSB_IJS8_SA_EEENS0_18inequality_wrapperIZN2at6native12_GLOBAL__N_124unique_dim_cuda_templateIbEESt5tupleIJNSF_6TensorESK_SK_EERKSK_lbbbEUlllE0_EEPmJS9_EEE10hipError_tPvRmT3_T4_T5_T6_T7_T9_mT8_P12ihipStream_tbDpT10_ENKUlT_T0_E_clISt17integral_constantIbLb0EES19_IbLb1EEEEDaS15_S16_EUlS15_E_NS1_11comp_targetILNS1_3genE4ELNS1_11target_archE910ELNS1_3gpuE8ELNS1_3repE0EEENS1_30default_config_static_selectorELNS0_4arch9wavefront6targetE1EEEvT1_: ; @_ZN7rocprim17ROCPRIM_400000_NS6detail17trampoline_kernelINS0_14default_configENS1_25partition_config_selectorILNS1_17partition_subalgoE9EllbEEZZNS1_14partition_implILS5_9ELb0ES3_jPlS8_PNS0_10empty_typeENS0_5tupleIJS8_S9_EEENSB_IJS8_SA_EEENS0_18inequality_wrapperIZN2at6native12_GLOBAL__N_124unique_dim_cuda_templateIbEESt5tupleIJNSF_6TensorESK_SK_EERKSK_lbbbEUlllE0_EEPmJS9_EEE10hipError_tPvRmT3_T4_T5_T6_T7_T9_mT8_P12ihipStream_tbDpT10_ENKUlT_T0_E_clISt17integral_constantIbLb0EES19_IbLb1EEEEDaS15_S16_EUlS15_E_NS1_11comp_targetILNS1_3genE4ELNS1_11target_archE910ELNS1_3gpuE8ELNS1_3repE0EEENS1_30default_config_static_selectorELNS0_4arch9wavefront6targetE1EEEvT1_
; %bb.0:
	.section	.rodata,"a",@progbits
	.p2align	6, 0x0
	.amdhsa_kernel _ZN7rocprim17ROCPRIM_400000_NS6detail17trampoline_kernelINS0_14default_configENS1_25partition_config_selectorILNS1_17partition_subalgoE9EllbEEZZNS1_14partition_implILS5_9ELb0ES3_jPlS8_PNS0_10empty_typeENS0_5tupleIJS8_S9_EEENSB_IJS8_SA_EEENS0_18inequality_wrapperIZN2at6native12_GLOBAL__N_124unique_dim_cuda_templateIbEESt5tupleIJNSF_6TensorESK_SK_EERKSK_lbbbEUlllE0_EEPmJS9_EEE10hipError_tPvRmT3_T4_T5_T6_T7_T9_mT8_P12ihipStream_tbDpT10_ENKUlT_T0_E_clISt17integral_constantIbLb0EES19_IbLb1EEEEDaS15_S16_EUlS15_E_NS1_11comp_targetILNS1_3genE4ELNS1_11target_archE910ELNS1_3gpuE8ELNS1_3repE0EEENS1_30default_config_static_selectorELNS0_4arch9wavefront6targetE1EEEvT1_
		.amdhsa_group_segment_fixed_size 0
		.amdhsa_private_segment_fixed_size 0
		.amdhsa_kernarg_size 136
		.amdhsa_user_sgpr_count 2
		.amdhsa_user_sgpr_dispatch_ptr 0
		.amdhsa_user_sgpr_queue_ptr 0
		.amdhsa_user_sgpr_kernarg_segment_ptr 1
		.amdhsa_user_sgpr_dispatch_id 0
		.amdhsa_user_sgpr_kernarg_preload_length 0
		.amdhsa_user_sgpr_kernarg_preload_offset 0
		.amdhsa_user_sgpr_private_segment_size 0
		.amdhsa_uses_dynamic_stack 0
		.amdhsa_enable_private_segment 0
		.amdhsa_system_sgpr_workgroup_id_x 1
		.amdhsa_system_sgpr_workgroup_id_y 0
		.amdhsa_system_sgpr_workgroup_id_z 0
		.amdhsa_system_sgpr_workgroup_info 0
		.amdhsa_system_vgpr_workitem_id 0
		.amdhsa_next_free_vgpr 1
		.amdhsa_next_free_sgpr 0
		.amdhsa_accum_offset 4
		.amdhsa_reserve_vcc 0
		.amdhsa_float_round_mode_32 0
		.amdhsa_float_round_mode_16_64 0
		.amdhsa_float_denorm_mode_32 3
		.amdhsa_float_denorm_mode_16_64 3
		.amdhsa_dx10_clamp 1
		.amdhsa_ieee_mode 1
		.amdhsa_fp16_overflow 0
		.amdhsa_tg_split 0
		.amdhsa_exception_fp_ieee_invalid_op 0
		.amdhsa_exception_fp_denorm_src 0
		.amdhsa_exception_fp_ieee_div_zero 0
		.amdhsa_exception_fp_ieee_overflow 0
		.amdhsa_exception_fp_ieee_underflow 0
		.amdhsa_exception_fp_ieee_inexact 0
		.amdhsa_exception_int_div_zero 0
	.end_amdhsa_kernel
	.section	.text._ZN7rocprim17ROCPRIM_400000_NS6detail17trampoline_kernelINS0_14default_configENS1_25partition_config_selectorILNS1_17partition_subalgoE9EllbEEZZNS1_14partition_implILS5_9ELb0ES3_jPlS8_PNS0_10empty_typeENS0_5tupleIJS8_S9_EEENSB_IJS8_SA_EEENS0_18inequality_wrapperIZN2at6native12_GLOBAL__N_124unique_dim_cuda_templateIbEESt5tupleIJNSF_6TensorESK_SK_EERKSK_lbbbEUlllE0_EEPmJS9_EEE10hipError_tPvRmT3_T4_T5_T6_T7_T9_mT8_P12ihipStream_tbDpT10_ENKUlT_T0_E_clISt17integral_constantIbLb0EES19_IbLb1EEEEDaS15_S16_EUlS15_E_NS1_11comp_targetILNS1_3genE4ELNS1_11target_archE910ELNS1_3gpuE8ELNS1_3repE0EEENS1_30default_config_static_selectorELNS0_4arch9wavefront6targetE1EEEvT1_,"axG",@progbits,_ZN7rocprim17ROCPRIM_400000_NS6detail17trampoline_kernelINS0_14default_configENS1_25partition_config_selectorILNS1_17partition_subalgoE9EllbEEZZNS1_14partition_implILS5_9ELb0ES3_jPlS8_PNS0_10empty_typeENS0_5tupleIJS8_S9_EEENSB_IJS8_SA_EEENS0_18inequality_wrapperIZN2at6native12_GLOBAL__N_124unique_dim_cuda_templateIbEESt5tupleIJNSF_6TensorESK_SK_EERKSK_lbbbEUlllE0_EEPmJS9_EEE10hipError_tPvRmT3_T4_T5_T6_T7_T9_mT8_P12ihipStream_tbDpT10_ENKUlT_T0_E_clISt17integral_constantIbLb0EES19_IbLb1EEEEDaS15_S16_EUlS15_E_NS1_11comp_targetILNS1_3genE4ELNS1_11target_archE910ELNS1_3gpuE8ELNS1_3repE0EEENS1_30default_config_static_selectorELNS0_4arch9wavefront6targetE1EEEvT1_,comdat
.Lfunc_end1109:
	.size	_ZN7rocprim17ROCPRIM_400000_NS6detail17trampoline_kernelINS0_14default_configENS1_25partition_config_selectorILNS1_17partition_subalgoE9EllbEEZZNS1_14partition_implILS5_9ELb0ES3_jPlS8_PNS0_10empty_typeENS0_5tupleIJS8_S9_EEENSB_IJS8_SA_EEENS0_18inequality_wrapperIZN2at6native12_GLOBAL__N_124unique_dim_cuda_templateIbEESt5tupleIJNSF_6TensorESK_SK_EERKSK_lbbbEUlllE0_EEPmJS9_EEE10hipError_tPvRmT3_T4_T5_T6_T7_T9_mT8_P12ihipStream_tbDpT10_ENKUlT_T0_E_clISt17integral_constantIbLb0EES19_IbLb1EEEEDaS15_S16_EUlS15_E_NS1_11comp_targetILNS1_3genE4ELNS1_11target_archE910ELNS1_3gpuE8ELNS1_3repE0EEENS1_30default_config_static_selectorELNS0_4arch9wavefront6targetE1EEEvT1_, .Lfunc_end1109-_ZN7rocprim17ROCPRIM_400000_NS6detail17trampoline_kernelINS0_14default_configENS1_25partition_config_selectorILNS1_17partition_subalgoE9EllbEEZZNS1_14partition_implILS5_9ELb0ES3_jPlS8_PNS0_10empty_typeENS0_5tupleIJS8_S9_EEENSB_IJS8_SA_EEENS0_18inequality_wrapperIZN2at6native12_GLOBAL__N_124unique_dim_cuda_templateIbEESt5tupleIJNSF_6TensorESK_SK_EERKSK_lbbbEUlllE0_EEPmJS9_EEE10hipError_tPvRmT3_T4_T5_T6_T7_T9_mT8_P12ihipStream_tbDpT10_ENKUlT_T0_E_clISt17integral_constantIbLb0EES19_IbLb1EEEEDaS15_S16_EUlS15_E_NS1_11comp_targetILNS1_3genE4ELNS1_11target_archE910ELNS1_3gpuE8ELNS1_3repE0EEENS1_30default_config_static_selectorELNS0_4arch9wavefront6targetE1EEEvT1_
                                        ; -- End function
	.set _ZN7rocprim17ROCPRIM_400000_NS6detail17trampoline_kernelINS0_14default_configENS1_25partition_config_selectorILNS1_17partition_subalgoE9EllbEEZZNS1_14partition_implILS5_9ELb0ES3_jPlS8_PNS0_10empty_typeENS0_5tupleIJS8_S9_EEENSB_IJS8_SA_EEENS0_18inequality_wrapperIZN2at6native12_GLOBAL__N_124unique_dim_cuda_templateIbEESt5tupleIJNSF_6TensorESK_SK_EERKSK_lbbbEUlllE0_EEPmJS9_EEE10hipError_tPvRmT3_T4_T5_T6_T7_T9_mT8_P12ihipStream_tbDpT10_ENKUlT_T0_E_clISt17integral_constantIbLb0EES19_IbLb1EEEEDaS15_S16_EUlS15_E_NS1_11comp_targetILNS1_3genE4ELNS1_11target_archE910ELNS1_3gpuE8ELNS1_3repE0EEENS1_30default_config_static_selectorELNS0_4arch9wavefront6targetE1EEEvT1_.num_vgpr, 0
	.set _ZN7rocprim17ROCPRIM_400000_NS6detail17trampoline_kernelINS0_14default_configENS1_25partition_config_selectorILNS1_17partition_subalgoE9EllbEEZZNS1_14partition_implILS5_9ELb0ES3_jPlS8_PNS0_10empty_typeENS0_5tupleIJS8_S9_EEENSB_IJS8_SA_EEENS0_18inequality_wrapperIZN2at6native12_GLOBAL__N_124unique_dim_cuda_templateIbEESt5tupleIJNSF_6TensorESK_SK_EERKSK_lbbbEUlllE0_EEPmJS9_EEE10hipError_tPvRmT3_T4_T5_T6_T7_T9_mT8_P12ihipStream_tbDpT10_ENKUlT_T0_E_clISt17integral_constantIbLb0EES19_IbLb1EEEEDaS15_S16_EUlS15_E_NS1_11comp_targetILNS1_3genE4ELNS1_11target_archE910ELNS1_3gpuE8ELNS1_3repE0EEENS1_30default_config_static_selectorELNS0_4arch9wavefront6targetE1EEEvT1_.num_agpr, 0
	.set _ZN7rocprim17ROCPRIM_400000_NS6detail17trampoline_kernelINS0_14default_configENS1_25partition_config_selectorILNS1_17partition_subalgoE9EllbEEZZNS1_14partition_implILS5_9ELb0ES3_jPlS8_PNS0_10empty_typeENS0_5tupleIJS8_S9_EEENSB_IJS8_SA_EEENS0_18inequality_wrapperIZN2at6native12_GLOBAL__N_124unique_dim_cuda_templateIbEESt5tupleIJNSF_6TensorESK_SK_EERKSK_lbbbEUlllE0_EEPmJS9_EEE10hipError_tPvRmT3_T4_T5_T6_T7_T9_mT8_P12ihipStream_tbDpT10_ENKUlT_T0_E_clISt17integral_constantIbLb0EES19_IbLb1EEEEDaS15_S16_EUlS15_E_NS1_11comp_targetILNS1_3genE4ELNS1_11target_archE910ELNS1_3gpuE8ELNS1_3repE0EEENS1_30default_config_static_selectorELNS0_4arch9wavefront6targetE1EEEvT1_.numbered_sgpr, 0
	.set _ZN7rocprim17ROCPRIM_400000_NS6detail17trampoline_kernelINS0_14default_configENS1_25partition_config_selectorILNS1_17partition_subalgoE9EllbEEZZNS1_14partition_implILS5_9ELb0ES3_jPlS8_PNS0_10empty_typeENS0_5tupleIJS8_S9_EEENSB_IJS8_SA_EEENS0_18inequality_wrapperIZN2at6native12_GLOBAL__N_124unique_dim_cuda_templateIbEESt5tupleIJNSF_6TensorESK_SK_EERKSK_lbbbEUlllE0_EEPmJS9_EEE10hipError_tPvRmT3_T4_T5_T6_T7_T9_mT8_P12ihipStream_tbDpT10_ENKUlT_T0_E_clISt17integral_constantIbLb0EES19_IbLb1EEEEDaS15_S16_EUlS15_E_NS1_11comp_targetILNS1_3genE4ELNS1_11target_archE910ELNS1_3gpuE8ELNS1_3repE0EEENS1_30default_config_static_selectorELNS0_4arch9wavefront6targetE1EEEvT1_.num_named_barrier, 0
	.set _ZN7rocprim17ROCPRIM_400000_NS6detail17trampoline_kernelINS0_14default_configENS1_25partition_config_selectorILNS1_17partition_subalgoE9EllbEEZZNS1_14partition_implILS5_9ELb0ES3_jPlS8_PNS0_10empty_typeENS0_5tupleIJS8_S9_EEENSB_IJS8_SA_EEENS0_18inequality_wrapperIZN2at6native12_GLOBAL__N_124unique_dim_cuda_templateIbEESt5tupleIJNSF_6TensorESK_SK_EERKSK_lbbbEUlllE0_EEPmJS9_EEE10hipError_tPvRmT3_T4_T5_T6_T7_T9_mT8_P12ihipStream_tbDpT10_ENKUlT_T0_E_clISt17integral_constantIbLb0EES19_IbLb1EEEEDaS15_S16_EUlS15_E_NS1_11comp_targetILNS1_3genE4ELNS1_11target_archE910ELNS1_3gpuE8ELNS1_3repE0EEENS1_30default_config_static_selectorELNS0_4arch9wavefront6targetE1EEEvT1_.private_seg_size, 0
	.set _ZN7rocprim17ROCPRIM_400000_NS6detail17trampoline_kernelINS0_14default_configENS1_25partition_config_selectorILNS1_17partition_subalgoE9EllbEEZZNS1_14partition_implILS5_9ELb0ES3_jPlS8_PNS0_10empty_typeENS0_5tupleIJS8_S9_EEENSB_IJS8_SA_EEENS0_18inequality_wrapperIZN2at6native12_GLOBAL__N_124unique_dim_cuda_templateIbEESt5tupleIJNSF_6TensorESK_SK_EERKSK_lbbbEUlllE0_EEPmJS9_EEE10hipError_tPvRmT3_T4_T5_T6_T7_T9_mT8_P12ihipStream_tbDpT10_ENKUlT_T0_E_clISt17integral_constantIbLb0EES19_IbLb1EEEEDaS15_S16_EUlS15_E_NS1_11comp_targetILNS1_3genE4ELNS1_11target_archE910ELNS1_3gpuE8ELNS1_3repE0EEENS1_30default_config_static_selectorELNS0_4arch9wavefront6targetE1EEEvT1_.uses_vcc, 0
	.set _ZN7rocprim17ROCPRIM_400000_NS6detail17trampoline_kernelINS0_14default_configENS1_25partition_config_selectorILNS1_17partition_subalgoE9EllbEEZZNS1_14partition_implILS5_9ELb0ES3_jPlS8_PNS0_10empty_typeENS0_5tupleIJS8_S9_EEENSB_IJS8_SA_EEENS0_18inequality_wrapperIZN2at6native12_GLOBAL__N_124unique_dim_cuda_templateIbEESt5tupleIJNSF_6TensorESK_SK_EERKSK_lbbbEUlllE0_EEPmJS9_EEE10hipError_tPvRmT3_T4_T5_T6_T7_T9_mT8_P12ihipStream_tbDpT10_ENKUlT_T0_E_clISt17integral_constantIbLb0EES19_IbLb1EEEEDaS15_S16_EUlS15_E_NS1_11comp_targetILNS1_3genE4ELNS1_11target_archE910ELNS1_3gpuE8ELNS1_3repE0EEENS1_30default_config_static_selectorELNS0_4arch9wavefront6targetE1EEEvT1_.uses_flat_scratch, 0
	.set _ZN7rocprim17ROCPRIM_400000_NS6detail17trampoline_kernelINS0_14default_configENS1_25partition_config_selectorILNS1_17partition_subalgoE9EllbEEZZNS1_14partition_implILS5_9ELb0ES3_jPlS8_PNS0_10empty_typeENS0_5tupleIJS8_S9_EEENSB_IJS8_SA_EEENS0_18inequality_wrapperIZN2at6native12_GLOBAL__N_124unique_dim_cuda_templateIbEESt5tupleIJNSF_6TensorESK_SK_EERKSK_lbbbEUlllE0_EEPmJS9_EEE10hipError_tPvRmT3_T4_T5_T6_T7_T9_mT8_P12ihipStream_tbDpT10_ENKUlT_T0_E_clISt17integral_constantIbLb0EES19_IbLb1EEEEDaS15_S16_EUlS15_E_NS1_11comp_targetILNS1_3genE4ELNS1_11target_archE910ELNS1_3gpuE8ELNS1_3repE0EEENS1_30default_config_static_selectorELNS0_4arch9wavefront6targetE1EEEvT1_.has_dyn_sized_stack, 0
	.set _ZN7rocprim17ROCPRIM_400000_NS6detail17trampoline_kernelINS0_14default_configENS1_25partition_config_selectorILNS1_17partition_subalgoE9EllbEEZZNS1_14partition_implILS5_9ELb0ES3_jPlS8_PNS0_10empty_typeENS0_5tupleIJS8_S9_EEENSB_IJS8_SA_EEENS0_18inequality_wrapperIZN2at6native12_GLOBAL__N_124unique_dim_cuda_templateIbEESt5tupleIJNSF_6TensorESK_SK_EERKSK_lbbbEUlllE0_EEPmJS9_EEE10hipError_tPvRmT3_T4_T5_T6_T7_T9_mT8_P12ihipStream_tbDpT10_ENKUlT_T0_E_clISt17integral_constantIbLb0EES19_IbLb1EEEEDaS15_S16_EUlS15_E_NS1_11comp_targetILNS1_3genE4ELNS1_11target_archE910ELNS1_3gpuE8ELNS1_3repE0EEENS1_30default_config_static_selectorELNS0_4arch9wavefront6targetE1EEEvT1_.has_recursion, 0
	.set _ZN7rocprim17ROCPRIM_400000_NS6detail17trampoline_kernelINS0_14default_configENS1_25partition_config_selectorILNS1_17partition_subalgoE9EllbEEZZNS1_14partition_implILS5_9ELb0ES3_jPlS8_PNS0_10empty_typeENS0_5tupleIJS8_S9_EEENSB_IJS8_SA_EEENS0_18inequality_wrapperIZN2at6native12_GLOBAL__N_124unique_dim_cuda_templateIbEESt5tupleIJNSF_6TensorESK_SK_EERKSK_lbbbEUlllE0_EEPmJS9_EEE10hipError_tPvRmT3_T4_T5_T6_T7_T9_mT8_P12ihipStream_tbDpT10_ENKUlT_T0_E_clISt17integral_constantIbLb0EES19_IbLb1EEEEDaS15_S16_EUlS15_E_NS1_11comp_targetILNS1_3genE4ELNS1_11target_archE910ELNS1_3gpuE8ELNS1_3repE0EEENS1_30default_config_static_selectorELNS0_4arch9wavefront6targetE1EEEvT1_.has_indirect_call, 0
	.section	.AMDGPU.csdata,"",@progbits
; Kernel info:
; codeLenInByte = 0
; TotalNumSgprs: 6
; NumVgprs: 0
; NumAgprs: 0
; TotalNumVgprs: 0
; ScratchSize: 0
; MemoryBound: 0
; FloatMode: 240
; IeeeMode: 1
; LDSByteSize: 0 bytes/workgroup (compile time only)
; SGPRBlocks: 0
; VGPRBlocks: 0
; NumSGPRsForWavesPerEU: 6
; NumVGPRsForWavesPerEU: 1
; AccumOffset: 4
; Occupancy: 8
; WaveLimiterHint : 0
; COMPUTE_PGM_RSRC2:SCRATCH_EN: 0
; COMPUTE_PGM_RSRC2:USER_SGPR: 2
; COMPUTE_PGM_RSRC2:TRAP_HANDLER: 0
; COMPUTE_PGM_RSRC2:TGID_X_EN: 1
; COMPUTE_PGM_RSRC2:TGID_Y_EN: 0
; COMPUTE_PGM_RSRC2:TGID_Z_EN: 0
; COMPUTE_PGM_RSRC2:TIDIG_COMP_CNT: 0
; COMPUTE_PGM_RSRC3_GFX90A:ACCUM_OFFSET: 0
; COMPUTE_PGM_RSRC3_GFX90A:TG_SPLIT: 0
	.section	.text._ZN7rocprim17ROCPRIM_400000_NS6detail17trampoline_kernelINS0_14default_configENS1_25partition_config_selectorILNS1_17partition_subalgoE9EllbEEZZNS1_14partition_implILS5_9ELb0ES3_jPlS8_PNS0_10empty_typeENS0_5tupleIJS8_S9_EEENSB_IJS8_SA_EEENS0_18inequality_wrapperIZN2at6native12_GLOBAL__N_124unique_dim_cuda_templateIbEESt5tupleIJNSF_6TensorESK_SK_EERKSK_lbbbEUlllE0_EEPmJS9_EEE10hipError_tPvRmT3_T4_T5_T6_T7_T9_mT8_P12ihipStream_tbDpT10_ENKUlT_T0_E_clISt17integral_constantIbLb0EES19_IbLb1EEEEDaS15_S16_EUlS15_E_NS1_11comp_targetILNS1_3genE3ELNS1_11target_archE908ELNS1_3gpuE7ELNS1_3repE0EEENS1_30default_config_static_selectorELNS0_4arch9wavefront6targetE1EEEvT1_,"axG",@progbits,_ZN7rocprim17ROCPRIM_400000_NS6detail17trampoline_kernelINS0_14default_configENS1_25partition_config_selectorILNS1_17partition_subalgoE9EllbEEZZNS1_14partition_implILS5_9ELb0ES3_jPlS8_PNS0_10empty_typeENS0_5tupleIJS8_S9_EEENSB_IJS8_SA_EEENS0_18inequality_wrapperIZN2at6native12_GLOBAL__N_124unique_dim_cuda_templateIbEESt5tupleIJNSF_6TensorESK_SK_EERKSK_lbbbEUlllE0_EEPmJS9_EEE10hipError_tPvRmT3_T4_T5_T6_T7_T9_mT8_P12ihipStream_tbDpT10_ENKUlT_T0_E_clISt17integral_constantIbLb0EES19_IbLb1EEEEDaS15_S16_EUlS15_E_NS1_11comp_targetILNS1_3genE3ELNS1_11target_archE908ELNS1_3gpuE7ELNS1_3repE0EEENS1_30default_config_static_selectorELNS0_4arch9wavefront6targetE1EEEvT1_,comdat
	.globl	_ZN7rocprim17ROCPRIM_400000_NS6detail17trampoline_kernelINS0_14default_configENS1_25partition_config_selectorILNS1_17partition_subalgoE9EllbEEZZNS1_14partition_implILS5_9ELb0ES3_jPlS8_PNS0_10empty_typeENS0_5tupleIJS8_S9_EEENSB_IJS8_SA_EEENS0_18inequality_wrapperIZN2at6native12_GLOBAL__N_124unique_dim_cuda_templateIbEESt5tupleIJNSF_6TensorESK_SK_EERKSK_lbbbEUlllE0_EEPmJS9_EEE10hipError_tPvRmT3_T4_T5_T6_T7_T9_mT8_P12ihipStream_tbDpT10_ENKUlT_T0_E_clISt17integral_constantIbLb0EES19_IbLb1EEEEDaS15_S16_EUlS15_E_NS1_11comp_targetILNS1_3genE3ELNS1_11target_archE908ELNS1_3gpuE7ELNS1_3repE0EEENS1_30default_config_static_selectorELNS0_4arch9wavefront6targetE1EEEvT1_ ; -- Begin function _ZN7rocprim17ROCPRIM_400000_NS6detail17trampoline_kernelINS0_14default_configENS1_25partition_config_selectorILNS1_17partition_subalgoE9EllbEEZZNS1_14partition_implILS5_9ELb0ES3_jPlS8_PNS0_10empty_typeENS0_5tupleIJS8_S9_EEENSB_IJS8_SA_EEENS0_18inequality_wrapperIZN2at6native12_GLOBAL__N_124unique_dim_cuda_templateIbEESt5tupleIJNSF_6TensorESK_SK_EERKSK_lbbbEUlllE0_EEPmJS9_EEE10hipError_tPvRmT3_T4_T5_T6_T7_T9_mT8_P12ihipStream_tbDpT10_ENKUlT_T0_E_clISt17integral_constantIbLb0EES19_IbLb1EEEEDaS15_S16_EUlS15_E_NS1_11comp_targetILNS1_3genE3ELNS1_11target_archE908ELNS1_3gpuE7ELNS1_3repE0EEENS1_30default_config_static_selectorELNS0_4arch9wavefront6targetE1EEEvT1_
	.p2align	8
	.type	_ZN7rocprim17ROCPRIM_400000_NS6detail17trampoline_kernelINS0_14default_configENS1_25partition_config_selectorILNS1_17partition_subalgoE9EllbEEZZNS1_14partition_implILS5_9ELb0ES3_jPlS8_PNS0_10empty_typeENS0_5tupleIJS8_S9_EEENSB_IJS8_SA_EEENS0_18inequality_wrapperIZN2at6native12_GLOBAL__N_124unique_dim_cuda_templateIbEESt5tupleIJNSF_6TensorESK_SK_EERKSK_lbbbEUlllE0_EEPmJS9_EEE10hipError_tPvRmT3_T4_T5_T6_T7_T9_mT8_P12ihipStream_tbDpT10_ENKUlT_T0_E_clISt17integral_constantIbLb0EES19_IbLb1EEEEDaS15_S16_EUlS15_E_NS1_11comp_targetILNS1_3genE3ELNS1_11target_archE908ELNS1_3gpuE7ELNS1_3repE0EEENS1_30default_config_static_selectorELNS0_4arch9wavefront6targetE1EEEvT1_,@function
_ZN7rocprim17ROCPRIM_400000_NS6detail17trampoline_kernelINS0_14default_configENS1_25partition_config_selectorILNS1_17partition_subalgoE9EllbEEZZNS1_14partition_implILS5_9ELb0ES3_jPlS8_PNS0_10empty_typeENS0_5tupleIJS8_S9_EEENSB_IJS8_SA_EEENS0_18inequality_wrapperIZN2at6native12_GLOBAL__N_124unique_dim_cuda_templateIbEESt5tupleIJNSF_6TensorESK_SK_EERKSK_lbbbEUlllE0_EEPmJS9_EEE10hipError_tPvRmT3_T4_T5_T6_T7_T9_mT8_P12ihipStream_tbDpT10_ENKUlT_T0_E_clISt17integral_constantIbLb0EES19_IbLb1EEEEDaS15_S16_EUlS15_E_NS1_11comp_targetILNS1_3genE3ELNS1_11target_archE908ELNS1_3gpuE7ELNS1_3repE0EEENS1_30default_config_static_selectorELNS0_4arch9wavefront6targetE1EEEvT1_: ; @_ZN7rocprim17ROCPRIM_400000_NS6detail17trampoline_kernelINS0_14default_configENS1_25partition_config_selectorILNS1_17partition_subalgoE9EllbEEZZNS1_14partition_implILS5_9ELb0ES3_jPlS8_PNS0_10empty_typeENS0_5tupleIJS8_S9_EEENSB_IJS8_SA_EEENS0_18inequality_wrapperIZN2at6native12_GLOBAL__N_124unique_dim_cuda_templateIbEESt5tupleIJNSF_6TensorESK_SK_EERKSK_lbbbEUlllE0_EEPmJS9_EEE10hipError_tPvRmT3_T4_T5_T6_T7_T9_mT8_P12ihipStream_tbDpT10_ENKUlT_T0_E_clISt17integral_constantIbLb0EES19_IbLb1EEEEDaS15_S16_EUlS15_E_NS1_11comp_targetILNS1_3genE3ELNS1_11target_archE908ELNS1_3gpuE7ELNS1_3repE0EEENS1_30default_config_static_selectorELNS0_4arch9wavefront6targetE1EEEvT1_
; %bb.0:
	.section	.rodata,"a",@progbits
	.p2align	6, 0x0
	.amdhsa_kernel _ZN7rocprim17ROCPRIM_400000_NS6detail17trampoline_kernelINS0_14default_configENS1_25partition_config_selectorILNS1_17partition_subalgoE9EllbEEZZNS1_14partition_implILS5_9ELb0ES3_jPlS8_PNS0_10empty_typeENS0_5tupleIJS8_S9_EEENSB_IJS8_SA_EEENS0_18inequality_wrapperIZN2at6native12_GLOBAL__N_124unique_dim_cuda_templateIbEESt5tupleIJNSF_6TensorESK_SK_EERKSK_lbbbEUlllE0_EEPmJS9_EEE10hipError_tPvRmT3_T4_T5_T6_T7_T9_mT8_P12ihipStream_tbDpT10_ENKUlT_T0_E_clISt17integral_constantIbLb0EES19_IbLb1EEEEDaS15_S16_EUlS15_E_NS1_11comp_targetILNS1_3genE3ELNS1_11target_archE908ELNS1_3gpuE7ELNS1_3repE0EEENS1_30default_config_static_selectorELNS0_4arch9wavefront6targetE1EEEvT1_
		.amdhsa_group_segment_fixed_size 0
		.amdhsa_private_segment_fixed_size 0
		.amdhsa_kernarg_size 136
		.amdhsa_user_sgpr_count 2
		.amdhsa_user_sgpr_dispatch_ptr 0
		.amdhsa_user_sgpr_queue_ptr 0
		.amdhsa_user_sgpr_kernarg_segment_ptr 1
		.amdhsa_user_sgpr_dispatch_id 0
		.amdhsa_user_sgpr_kernarg_preload_length 0
		.amdhsa_user_sgpr_kernarg_preload_offset 0
		.amdhsa_user_sgpr_private_segment_size 0
		.amdhsa_uses_dynamic_stack 0
		.amdhsa_enable_private_segment 0
		.amdhsa_system_sgpr_workgroup_id_x 1
		.amdhsa_system_sgpr_workgroup_id_y 0
		.amdhsa_system_sgpr_workgroup_id_z 0
		.amdhsa_system_sgpr_workgroup_info 0
		.amdhsa_system_vgpr_workitem_id 0
		.amdhsa_next_free_vgpr 1
		.amdhsa_next_free_sgpr 0
		.amdhsa_accum_offset 4
		.amdhsa_reserve_vcc 0
		.amdhsa_float_round_mode_32 0
		.amdhsa_float_round_mode_16_64 0
		.amdhsa_float_denorm_mode_32 3
		.amdhsa_float_denorm_mode_16_64 3
		.amdhsa_dx10_clamp 1
		.amdhsa_ieee_mode 1
		.amdhsa_fp16_overflow 0
		.amdhsa_tg_split 0
		.amdhsa_exception_fp_ieee_invalid_op 0
		.amdhsa_exception_fp_denorm_src 0
		.amdhsa_exception_fp_ieee_div_zero 0
		.amdhsa_exception_fp_ieee_overflow 0
		.amdhsa_exception_fp_ieee_underflow 0
		.amdhsa_exception_fp_ieee_inexact 0
		.amdhsa_exception_int_div_zero 0
	.end_amdhsa_kernel
	.section	.text._ZN7rocprim17ROCPRIM_400000_NS6detail17trampoline_kernelINS0_14default_configENS1_25partition_config_selectorILNS1_17partition_subalgoE9EllbEEZZNS1_14partition_implILS5_9ELb0ES3_jPlS8_PNS0_10empty_typeENS0_5tupleIJS8_S9_EEENSB_IJS8_SA_EEENS0_18inequality_wrapperIZN2at6native12_GLOBAL__N_124unique_dim_cuda_templateIbEESt5tupleIJNSF_6TensorESK_SK_EERKSK_lbbbEUlllE0_EEPmJS9_EEE10hipError_tPvRmT3_T4_T5_T6_T7_T9_mT8_P12ihipStream_tbDpT10_ENKUlT_T0_E_clISt17integral_constantIbLb0EES19_IbLb1EEEEDaS15_S16_EUlS15_E_NS1_11comp_targetILNS1_3genE3ELNS1_11target_archE908ELNS1_3gpuE7ELNS1_3repE0EEENS1_30default_config_static_selectorELNS0_4arch9wavefront6targetE1EEEvT1_,"axG",@progbits,_ZN7rocprim17ROCPRIM_400000_NS6detail17trampoline_kernelINS0_14default_configENS1_25partition_config_selectorILNS1_17partition_subalgoE9EllbEEZZNS1_14partition_implILS5_9ELb0ES3_jPlS8_PNS0_10empty_typeENS0_5tupleIJS8_S9_EEENSB_IJS8_SA_EEENS0_18inequality_wrapperIZN2at6native12_GLOBAL__N_124unique_dim_cuda_templateIbEESt5tupleIJNSF_6TensorESK_SK_EERKSK_lbbbEUlllE0_EEPmJS9_EEE10hipError_tPvRmT3_T4_T5_T6_T7_T9_mT8_P12ihipStream_tbDpT10_ENKUlT_T0_E_clISt17integral_constantIbLb0EES19_IbLb1EEEEDaS15_S16_EUlS15_E_NS1_11comp_targetILNS1_3genE3ELNS1_11target_archE908ELNS1_3gpuE7ELNS1_3repE0EEENS1_30default_config_static_selectorELNS0_4arch9wavefront6targetE1EEEvT1_,comdat
.Lfunc_end1110:
	.size	_ZN7rocprim17ROCPRIM_400000_NS6detail17trampoline_kernelINS0_14default_configENS1_25partition_config_selectorILNS1_17partition_subalgoE9EllbEEZZNS1_14partition_implILS5_9ELb0ES3_jPlS8_PNS0_10empty_typeENS0_5tupleIJS8_S9_EEENSB_IJS8_SA_EEENS0_18inequality_wrapperIZN2at6native12_GLOBAL__N_124unique_dim_cuda_templateIbEESt5tupleIJNSF_6TensorESK_SK_EERKSK_lbbbEUlllE0_EEPmJS9_EEE10hipError_tPvRmT3_T4_T5_T6_T7_T9_mT8_P12ihipStream_tbDpT10_ENKUlT_T0_E_clISt17integral_constantIbLb0EES19_IbLb1EEEEDaS15_S16_EUlS15_E_NS1_11comp_targetILNS1_3genE3ELNS1_11target_archE908ELNS1_3gpuE7ELNS1_3repE0EEENS1_30default_config_static_selectorELNS0_4arch9wavefront6targetE1EEEvT1_, .Lfunc_end1110-_ZN7rocprim17ROCPRIM_400000_NS6detail17trampoline_kernelINS0_14default_configENS1_25partition_config_selectorILNS1_17partition_subalgoE9EllbEEZZNS1_14partition_implILS5_9ELb0ES3_jPlS8_PNS0_10empty_typeENS0_5tupleIJS8_S9_EEENSB_IJS8_SA_EEENS0_18inequality_wrapperIZN2at6native12_GLOBAL__N_124unique_dim_cuda_templateIbEESt5tupleIJNSF_6TensorESK_SK_EERKSK_lbbbEUlllE0_EEPmJS9_EEE10hipError_tPvRmT3_T4_T5_T6_T7_T9_mT8_P12ihipStream_tbDpT10_ENKUlT_T0_E_clISt17integral_constantIbLb0EES19_IbLb1EEEEDaS15_S16_EUlS15_E_NS1_11comp_targetILNS1_3genE3ELNS1_11target_archE908ELNS1_3gpuE7ELNS1_3repE0EEENS1_30default_config_static_selectorELNS0_4arch9wavefront6targetE1EEEvT1_
                                        ; -- End function
	.set _ZN7rocprim17ROCPRIM_400000_NS6detail17trampoline_kernelINS0_14default_configENS1_25partition_config_selectorILNS1_17partition_subalgoE9EllbEEZZNS1_14partition_implILS5_9ELb0ES3_jPlS8_PNS0_10empty_typeENS0_5tupleIJS8_S9_EEENSB_IJS8_SA_EEENS0_18inequality_wrapperIZN2at6native12_GLOBAL__N_124unique_dim_cuda_templateIbEESt5tupleIJNSF_6TensorESK_SK_EERKSK_lbbbEUlllE0_EEPmJS9_EEE10hipError_tPvRmT3_T4_T5_T6_T7_T9_mT8_P12ihipStream_tbDpT10_ENKUlT_T0_E_clISt17integral_constantIbLb0EES19_IbLb1EEEEDaS15_S16_EUlS15_E_NS1_11comp_targetILNS1_3genE3ELNS1_11target_archE908ELNS1_3gpuE7ELNS1_3repE0EEENS1_30default_config_static_selectorELNS0_4arch9wavefront6targetE1EEEvT1_.num_vgpr, 0
	.set _ZN7rocprim17ROCPRIM_400000_NS6detail17trampoline_kernelINS0_14default_configENS1_25partition_config_selectorILNS1_17partition_subalgoE9EllbEEZZNS1_14partition_implILS5_9ELb0ES3_jPlS8_PNS0_10empty_typeENS0_5tupleIJS8_S9_EEENSB_IJS8_SA_EEENS0_18inequality_wrapperIZN2at6native12_GLOBAL__N_124unique_dim_cuda_templateIbEESt5tupleIJNSF_6TensorESK_SK_EERKSK_lbbbEUlllE0_EEPmJS9_EEE10hipError_tPvRmT3_T4_T5_T6_T7_T9_mT8_P12ihipStream_tbDpT10_ENKUlT_T0_E_clISt17integral_constantIbLb0EES19_IbLb1EEEEDaS15_S16_EUlS15_E_NS1_11comp_targetILNS1_3genE3ELNS1_11target_archE908ELNS1_3gpuE7ELNS1_3repE0EEENS1_30default_config_static_selectorELNS0_4arch9wavefront6targetE1EEEvT1_.num_agpr, 0
	.set _ZN7rocprim17ROCPRIM_400000_NS6detail17trampoline_kernelINS0_14default_configENS1_25partition_config_selectorILNS1_17partition_subalgoE9EllbEEZZNS1_14partition_implILS5_9ELb0ES3_jPlS8_PNS0_10empty_typeENS0_5tupleIJS8_S9_EEENSB_IJS8_SA_EEENS0_18inequality_wrapperIZN2at6native12_GLOBAL__N_124unique_dim_cuda_templateIbEESt5tupleIJNSF_6TensorESK_SK_EERKSK_lbbbEUlllE0_EEPmJS9_EEE10hipError_tPvRmT3_T4_T5_T6_T7_T9_mT8_P12ihipStream_tbDpT10_ENKUlT_T0_E_clISt17integral_constantIbLb0EES19_IbLb1EEEEDaS15_S16_EUlS15_E_NS1_11comp_targetILNS1_3genE3ELNS1_11target_archE908ELNS1_3gpuE7ELNS1_3repE0EEENS1_30default_config_static_selectorELNS0_4arch9wavefront6targetE1EEEvT1_.numbered_sgpr, 0
	.set _ZN7rocprim17ROCPRIM_400000_NS6detail17trampoline_kernelINS0_14default_configENS1_25partition_config_selectorILNS1_17partition_subalgoE9EllbEEZZNS1_14partition_implILS5_9ELb0ES3_jPlS8_PNS0_10empty_typeENS0_5tupleIJS8_S9_EEENSB_IJS8_SA_EEENS0_18inequality_wrapperIZN2at6native12_GLOBAL__N_124unique_dim_cuda_templateIbEESt5tupleIJNSF_6TensorESK_SK_EERKSK_lbbbEUlllE0_EEPmJS9_EEE10hipError_tPvRmT3_T4_T5_T6_T7_T9_mT8_P12ihipStream_tbDpT10_ENKUlT_T0_E_clISt17integral_constantIbLb0EES19_IbLb1EEEEDaS15_S16_EUlS15_E_NS1_11comp_targetILNS1_3genE3ELNS1_11target_archE908ELNS1_3gpuE7ELNS1_3repE0EEENS1_30default_config_static_selectorELNS0_4arch9wavefront6targetE1EEEvT1_.num_named_barrier, 0
	.set _ZN7rocprim17ROCPRIM_400000_NS6detail17trampoline_kernelINS0_14default_configENS1_25partition_config_selectorILNS1_17partition_subalgoE9EllbEEZZNS1_14partition_implILS5_9ELb0ES3_jPlS8_PNS0_10empty_typeENS0_5tupleIJS8_S9_EEENSB_IJS8_SA_EEENS0_18inequality_wrapperIZN2at6native12_GLOBAL__N_124unique_dim_cuda_templateIbEESt5tupleIJNSF_6TensorESK_SK_EERKSK_lbbbEUlllE0_EEPmJS9_EEE10hipError_tPvRmT3_T4_T5_T6_T7_T9_mT8_P12ihipStream_tbDpT10_ENKUlT_T0_E_clISt17integral_constantIbLb0EES19_IbLb1EEEEDaS15_S16_EUlS15_E_NS1_11comp_targetILNS1_3genE3ELNS1_11target_archE908ELNS1_3gpuE7ELNS1_3repE0EEENS1_30default_config_static_selectorELNS0_4arch9wavefront6targetE1EEEvT1_.private_seg_size, 0
	.set _ZN7rocprim17ROCPRIM_400000_NS6detail17trampoline_kernelINS0_14default_configENS1_25partition_config_selectorILNS1_17partition_subalgoE9EllbEEZZNS1_14partition_implILS5_9ELb0ES3_jPlS8_PNS0_10empty_typeENS0_5tupleIJS8_S9_EEENSB_IJS8_SA_EEENS0_18inequality_wrapperIZN2at6native12_GLOBAL__N_124unique_dim_cuda_templateIbEESt5tupleIJNSF_6TensorESK_SK_EERKSK_lbbbEUlllE0_EEPmJS9_EEE10hipError_tPvRmT3_T4_T5_T6_T7_T9_mT8_P12ihipStream_tbDpT10_ENKUlT_T0_E_clISt17integral_constantIbLb0EES19_IbLb1EEEEDaS15_S16_EUlS15_E_NS1_11comp_targetILNS1_3genE3ELNS1_11target_archE908ELNS1_3gpuE7ELNS1_3repE0EEENS1_30default_config_static_selectorELNS0_4arch9wavefront6targetE1EEEvT1_.uses_vcc, 0
	.set _ZN7rocprim17ROCPRIM_400000_NS6detail17trampoline_kernelINS0_14default_configENS1_25partition_config_selectorILNS1_17partition_subalgoE9EllbEEZZNS1_14partition_implILS5_9ELb0ES3_jPlS8_PNS0_10empty_typeENS0_5tupleIJS8_S9_EEENSB_IJS8_SA_EEENS0_18inequality_wrapperIZN2at6native12_GLOBAL__N_124unique_dim_cuda_templateIbEESt5tupleIJNSF_6TensorESK_SK_EERKSK_lbbbEUlllE0_EEPmJS9_EEE10hipError_tPvRmT3_T4_T5_T6_T7_T9_mT8_P12ihipStream_tbDpT10_ENKUlT_T0_E_clISt17integral_constantIbLb0EES19_IbLb1EEEEDaS15_S16_EUlS15_E_NS1_11comp_targetILNS1_3genE3ELNS1_11target_archE908ELNS1_3gpuE7ELNS1_3repE0EEENS1_30default_config_static_selectorELNS0_4arch9wavefront6targetE1EEEvT1_.uses_flat_scratch, 0
	.set _ZN7rocprim17ROCPRIM_400000_NS6detail17trampoline_kernelINS0_14default_configENS1_25partition_config_selectorILNS1_17partition_subalgoE9EllbEEZZNS1_14partition_implILS5_9ELb0ES3_jPlS8_PNS0_10empty_typeENS0_5tupleIJS8_S9_EEENSB_IJS8_SA_EEENS0_18inequality_wrapperIZN2at6native12_GLOBAL__N_124unique_dim_cuda_templateIbEESt5tupleIJNSF_6TensorESK_SK_EERKSK_lbbbEUlllE0_EEPmJS9_EEE10hipError_tPvRmT3_T4_T5_T6_T7_T9_mT8_P12ihipStream_tbDpT10_ENKUlT_T0_E_clISt17integral_constantIbLb0EES19_IbLb1EEEEDaS15_S16_EUlS15_E_NS1_11comp_targetILNS1_3genE3ELNS1_11target_archE908ELNS1_3gpuE7ELNS1_3repE0EEENS1_30default_config_static_selectorELNS0_4arch9wavefront6targetE1EEEvT1_.has_dyn_sized_stack, 0
	.set _ZN7rocprim17ROCPRIM_400000_NS6detail17trampoline_kernelINS0_14default_configENS1_25partition_config_selectorILNS1_17partition_subalgoE9EllbEEZZNS1_14partition_implILS5_9ELb0ES3_jPlS8_PNS0_10empty_typeENS0_5tupleIJS8_S9_EEENSB_IJS8_SA_EEENS0_18inequality_wrapperIZN2at6native12_GLOBAL__N_124unique_dim_cuda_templateIbEESt5tupleIJNSF_6TensorESK_SK_EERKSK_lbbbEUlllE0_EEPmJS9_EEE10hipError_tPvRmT3_T4_T5_T6_T7_T9_mT8_P12ihipStream_tbDpT10_ENKUlT_T0_E_clISt17integral_constantIbLb0EES19_IbLb1EEEEDaS15_S16_EUlS15_E_NS1_11comp_targetILNS1_3genE3ELNS1_11target_archE908ELNS1_3gpuE7ELNS1_3repE0EEENS1_30default_config_static_selectorELNS0_4arch9wavefront6targetE1EEEvT1_.has_recursion, 0
	.set _ZN7rocprim17ROCPRIM_400000_NS6detail17trampoline_kernelINS0_14default_configENS1_25partition_config_selectorILNS1_17partition_subalgoE9EllbEEZZNS1_14partition_implILS5_9ELb0ES3_jPlS8_PNS0_10empty_typeENS0_5tupleIJS8_S9_EEENSB_IJS8_SA_EEENS0_18inequality_wrapperIZN2at6native12_GLOBAL__N_124unique_dim_cuda_templateIbEESt5tupleIJNSF_6TensorESK_SK_EERKSK_lbbbEUlllE0_EEPmJS9_EEE10hipError_tPvRmT3_T4_T5_T6_T7_T9_mT8_P12ihipStream_tbDpT10_ENKUlT_T0_E_clISt17integral_constantIbLb0EES19_IbLb1EEEEDaS15_S16_EUlS15_E_NS1_11comp_targetILNS1_3genE3ELNS1_11target_archE908ELNS1_3gpuE7ELNS1_3repE0EEENS1_30default_config_static_selectorELNS0_4arch9wavefront6targetE1EEEvT1_.has_indirect_call, 0
	.section	.AMDGPU.csdata,"",@progbits
; Kernel info:
; codeLenInByte = 0
; TotalNumSgprs: 6
; NumVgprs: 0
; NumAgprs: 0
; TotalNumVgprs: 0
; ScratchSize: 0
; MemoryBound: 0
; FloatMode: 240
; IeeeMode: 1
; LDSByteSize: 0 bytes/workgroup (compile time only)
; SGPRBlocks: 0
; VGPRBlocks: 0
; NumSGPRsForWavesPerEU: 6
; NumVGPRsForWavesPerEU: 1
; AccumOffset: 4
; Occupancy: 8
; WaveLimiterHint : 0
; COMPUTE_PGM_RSRC2:SCRATCH_EN: 0
; COMPUTE_PGM_RSRC2:USER_SGPR: 2
; COMPUTE_PGM_RSRC2:TRAP_HANDLER: 0
; COMPUTE_PGM_RSRC2:TGID_X_EN: 1
; COMPUTE_PGM_RSRC2:TGID_Y_EN: 0
; COMPUTE_PGM_RSRC2:TGID_Z_EN: 0
; COMPUTE_PGM_RSRC2:TIDIG_COMP_CNT: 0
; COMPUTE_PGM_RSRC3_GFX90A:ACCUM_OFFSET: 0
; COMPUTE_PGM_RSRC3_GFX90A:TG_SPLIT: 0
	.section	.text._ZN7rocprim17ROCPRIM_400000_NS6detail17trampoline_kernelINS0_14default_configENS1_25partition_config_selectorILNS1_17partition_subalgoE9EllbEEZZNS1_14partition_implILS5_9ELb0ES3_jPlS8_PNS0_10empty_typeENS0_5tupleIJS8_S9_EEENSB_IJS8_SA_EEENS0_18inequality_wrapperIZN2at6native12_GLOBAL__N_124unique_dim_cuda_templateIbEESt5tupleIJNSF_6TensorESK_SK_EERKSK_lbbbEUlllE0_EEPmJS9_EEE10hipError_tPvRmT3_T4_T5_T6_T7_T9_mT8_P12ihipStream_tbDpT10_ENKUlT_T0_E_clISt17integral_constantIbLb0EES19_IbLb1EEEEDaS15_S16_EUlS15_E_NS1_11comp_targetILNS1_3genE2ELNS1_11target_archE906ELNS1_3gpuE6ELNS1_3repE0EEENS1_30default_config_static_selectorELNS0_4arch9wavefront6targetE1EEEvT1_,"axG",@progbits,_ZN7rocprim17ROCPRIM_400000_NS6detail17trampoline_kernelINS0_14default_configENS1_25partition_config_selectorILNS1_17partition_subalgoE9EllbEEZZNS1_14partition_implILS5_9ELb0ES3_jPlS8_PNS0_10empty_typeENS0_5tupleIJS8_S9_EEENSB_IJS8_SA_EEENS0_18inequality_wrapperIZN2at6native12_GLOBAL__N_124unique_dim_cuda_templateIbEESt5tupleIJNSF_6TensorESK_SK_EERKSK_lbbbEUlllE0_EEPmJS9_EEE10hipError_tPvRmT3_T4_T5_T6_T7_T9_mT8_P12ihipStream_tbDpT10_ENKUlT_T0_E_clISt17integral_constantIbLb0EES19_IbLb1EEEEDaS15_S16_EUlS15_E_NS1_11comp_targetILNS1_3genE2ELNS1_11target_archE906ELNS1_3gpuE6ELNS1_3repE0EEENS1_30default_config_static_selectorELNS0_4arch9wavefront6targetE1EEEvT1_,comdat
	.globl	_ZN7rocprim17ROCPRIM_400000_NS6detail17trampoline_kernelINS0_14default_configENS1_25partition_config_selectorILNS1_17partition_subalgoE9EllbEEZZNS1_14partition_implILS5_9ELb0ES3_jPlS8_PNS0_10empty_typeENS0_5tupleIJS8_S9_EEENSB_IJS8_SA_EEENS0_18inequality_wrapperIZN2at6native12_GLOBAL__N_124unique_dim_cuda_templateIbEESt5tupleIJNSF_6TensorESK_SK_EERKSK_lbbbEUlllE0_EEPmJS9_EEE10hipError_tPvRmT3_T4_T5_T6_T7_T9_mT8_P12ihipStream_tbDpT10_ENKUlT_T0_E_clISt17integral_constantIbLb0EES19_IbLb1EEEEDaS15_S16_EUlS15_E_NS1_11comp_targetILNS1_3genE2ELNS1_11target_archE906ELNS1_3gpuE6ELNS1_3repE0EEENS1_30default_config_static_selectorELNS0_4arch9wavefront6targetE1EEEvT1_ ; -- Begin function _ZN7rocprim17ROCPRIM_400000_NS6detail17trampoline_kernelINS0_14default_configENS1_25partition_config_selectorILNS1_17partition_subalgoE9EllbEEZZNS1_14partition_implILS5_9ELb0ES3_jPlS8_PNS0_10empty_typeENS0_5tupleIJS8_S9_EEENSB_IJS8_SA_EEENS0_18inequality_wrapperIZN2at6native12_GLOBAL__N_124unique_dim_cuda_templateIbEESt5tupleIJNSF_6TensorESK_SK_EERKSK_lbbbEUlllE0_EEPmJS9_EEE10hipError_tPvRmT3_T4_T5_T6_T7_T9_mT8_P12ihipStream_tbDpT10_ENKUlT_T0_E_clISt17integral_constantIbLb0EES19_IbLb1EEEEDaS15_S16_EUlS15_E_NS1_11comp_targetILNS1_3genE2ELNS1_11target_archE906ELNS1_3gpuE6ELNS1_3repE0EEENS1_30default_config_static_selectorELNS0_4arch9wavefront6targetE1EEEvT1_
	.p2align	8
	.type	_ZN7rocprim17ROCPRIM_400000_NS6detail17trampoline_kernelINS0_14default_configENS1_25partition_config_selectorILNS1_17partition_subalgoE9EllbEEZZNS1_14partition_implILS5_9ELb0ES3_jPlS8_PNS0_10empty_typeENS0_5tupleIJS8_S9_EEENSB_IJS8_SA_EEENS0_18inequality_wrapperIZN2at6native12_GLOBAL__N_124unique_dim_cuda_templateIbEESt5tupleIJNSF_6TensorESK_SK_EERKSK_lbbbEUlllE0_EEPmJS9_EEE10hipError_tPvRmT3_T4_T5_T6_T7_T9_mT8_P12ihipStream_tbDpT10_ENKUlT_T0_E_clISt17integral_constantIbLb0EES19_IbLb1EEEEDaS15_S16_EUlS15_E_NS1_11comp_targetILNS1_3genE2ELNS1_11target_archE906ELNS1_3gpuE6ELNS1_3repE0EEENS1_30default_config_static_selectorELNS0_4arch9wavefront6targetE1EEEvT1_,@function
_ZN7rocprim17ROCPRIM_400000_NS6detail17trampoline_kernelINS0_14default_configENS1_25partition_config_selectorILNS1_17partition_subalgoE9EllbEEZZNS1_14partition_implILS5_9ELb0ES3_jPlS8_PNS0_10empty_typeENS0_5tupleIJS8_S9_EEENSB_IJS8_SA_EEENS0_18inequality_wrapperIZN2at6native12_GLOBAL__N_124unique_dim_cuda_templateIbEESt5tupleIJNSF_6TensorESK_SK_EERKSK_lbbbEUlllE0_EEPmJS9_EEE10hipError_tPvRmT3_T4_T5_T6_T7_T9_mT8_P12ihipStream_tbDpT10_ENKUlT_T0_E_clISt17integral_constantIbLb0EES19_IbLb1EEEEDaS15_S16_EUlS15_E_NS1_11comp_targetILNS1_3genE2ELNS1_11target_archE906ELNS1_3gpuE6ELNS1_3repE0EEENS1_30default_config_static_selectorELNS0_4arch9wavefront6targetE1EEEvT1_: ; @_ZN7rocprim17ROCPRIM_400000_NS6detail17trampoline_kernelINS0_14default_configENS1_25partition_config_selectorILNS1_17partition_subalgoE9EllbEEZZNS1_14partition_implILS5_9ELb0ES3_jPlS8_PNS0_10empty_typeENS0_5tupleIJS8_S9_EEENSB_IJS8_SA_EEENS0_18inequality_wrapperIZN2at6native12_GLOBAL__N_124unique_dim_cuda_templateIbEESt5tupleIJNSF_6TensorESK_SK_EERKSK_lbbbEUlllE0_EEPmJS9_EEE10hipError_tPvRmT3_T4_T5_T6_T7_T9_mT8_P12ihipStream_tbDpT10_ENKUlT_T0_E_clISt17integral_constantIbLb0EES19_IbLb1EEEEDaS15_S16_EUlS15_E_NS1_11comp_targetILNS1_3genE2ELNS1_11target_archE906ELNS1_3gpuE6ELNS1_3repE0EEENS1_30default_config_static_selectorELNS0_4arch9wavefront6targetE1EEEvT1_
; %bb.0:
	.section	.rodata,"a",@progbits
	.p2align	6, 0x0
	.amdhsa_kernel _ZN7rocprim17ROCPRIM_400000_NS6detail17trampoline_kernelINS0_14default_configENS1_25partition_config_selectorILNS1_17partition_subalgoE9EllbEEZZNS1_14partition_implILS5_9ELb0ES3_jPlS8_PNS0_10empty_typeENS0_5tupleIJS8_S9_EEENSB_IJS8_SA_EEENS0_18inequality_wrapperIZN2at6native12_GLOBAL__N_124unique_dim_cuda_templateIbEESt5tupleIJNSF_6TensorESK_SK_EERKSK_lbbbEUlllE0_EEPmJS9_EEE10hipError_tPvRmT3_T4_T5_T6_T7_T9_mT8_P12ihipStream_tbDpT10_ENKUlT_T0_E_clISt17integral_constantIbLb0EES19_IbLb1EEEEDaS15_S16_EUlS15_E_NS1_11comp_targetILNS1_3genE2ELNS1_11target_archE906ELNS1_3gpuE6ELNS1_3repE0EEENS1_30default_config_static_selectorELNS0_4arch9wavefront6targetE1EEEvT1_
		.amdhsa_group_segment_fixed_size 0
		.amdhsa_private_segment_fixed_size 0
		.amdhsa_kernarg_size 136
		.amdhsa_user_sgpr_count 2
		.amdhsa_user_sgpr_dispatch_ptr 0
		.amdhsa_user_sgpr_queue_ptr 0
		.amdhsa_user_sgpr_kernarg_segment_ptr 1
		.amdhsa_user_sgpr_dispatch_id 0
		.amdhsa_user_sgpr_kernarg_preload_length 0
		.amdhsa_user_sgpr_kernarg_preload_offset 0
		.amdhsa_user_sgpr_private_segment_size 0
		.amdhsa_uses_dynamic_stack 0
		.amdhsa_enable_private_segment 0
		.amdhsa_system_sgpr_workgroup_id_x 1
		.amdhsa_system_sgpr_workgroup_id_y 0
		.amdhsa_system_sgpr_workgroup_id_z 0
		.amdhsa_system_sgpr_workgroup_info 0
		.amdhsa_system_vgpr_workitem_id 0
		.amdhsa_next_free_vgpr 1
		.amdhsa_next_free_sgpr 0
		.amdhsa_accum_offset 4
		.amdhsa_reserve_vcc 0
		.amdhsa_float_round_mode_32 0
		.amdhsa_float_round_mode_16_64 0
		.amdhsa_float_denorm_mode_32 3
		.amdhsa_float_denorm_mode_16_64 3
		.amdhsa_dx10_clamp 1
		.amdhsa_ieee_mode 1
		.amdhsa_fp16_overflow 0
		.amdhsa_tg_split 0
		.amdhsa_exception_fp_ieee_invalid_op 0
		.amdhsa_exception_fp_denorm_src 0
		.amdhsa_exception_fp_ieee_div_zero 0
		.amdhsa_exception_fp_ieee_overflow 0
		.amdhsa_exception_fp_ieee_underflow 0
		.amdhsa_exception_fp_ieee_inexact 0
		.amdhsa_exception_int_div_zero 0
	.end_amdhsa_kernel
	.section	.text._ZN7rocprim17ROCPRIM_400000_NS6detail17trampoline_kernelINS0_14default_configENS1_25partition_config_selectorILNS1_17partition_subalgoE9EllbEEZZNS1_14partition_implILS5_9ELb0ES3_jPlS8_PNS0_10empty_typeENS0_5tupleIJS8_S9_EEENSB_IJS8_SA_EEENS0_18inequality_wrapperIZN2at6native12_GLOBAL__N_124unique_dim_cuda_templateIbEESt5tupleIJNSF_6TensorESK_SK_EERKSK_lbbbEUlllE0_EEPmJS9_EEE10hipError_tPvRmT3_T4_T5_T6_T7_T9_mT8_P12ihipStream_tbDpT10_ENKUlT_T0_E_clISt17integral_constantIbLb0EES19_IbLb1EEEEDaS15_S16_EUlS15_E_NS1_11comp_targetILNS1_3genE2ELNS1_11target_archE906ELNS1_3gpuE6ELNS1_3repE0EEENS1_30default_config_static_selectorELNS0_4arch9wavefront6targetE1EEEvT1_,"axG",@progbits,_ZN7rocprim17ROCPRIM_400000_NS6detail17trampoline_kernelINS0_14default_configENS1_25partition_config_selectorILNS1_17partition_subalgoE9EllbEEZZNS1_14partition_implILS5_9ELb0ES3_jPlS8_PNS0_10empty_typeENS0_5tupleIJS8_S9_EEENSB_IJS8_SA_EEENS0_18inequality_wrapperIZN2at6native12_GLOBAL__N_124unique_dim_cuda_templateIbEESt5tupleIJNSF_6TensorESK_SK_EERKSK_lbbbEUlllE0_EEPmJS9_EEE10hipError_tPvRmT3_T4_T5_T6_T7_T9_mT8_P12ihipStream_tbDpT10_ENKUlT_T0_E_clISt17integral_constantIbLb0EES19_IbLb1EEEEDaS15_S16_EUlS15_E_NS1_11comp_targetILNS1_3genE2ELNS1_11target_archE906ELNS1_3gpuE6ELNS1_3repE0EEENS1_30default_config_static_selectorELNS0_4arch9wavefront6targetE1EEEvT1_,comdat
.Lfunc_end1111:
	.size	_ZN7rocprim17ROCPRIM_400000_NS6detail17trampoline_kernelINS0_14default_configENS1_25partition_config_selectorILNS1_17partition_subalgoE9EllbEEZZNS1_14partition_implILS5_9ELb0ES3_jPlS8_PNS0_10empty_typeENS0_5tupleIJS8_S9_EEENSB_IJS8_SA_EEENS0_18inequality_wrapperIZN2at6native12_GLOBAL__N_124unique_dim_cuda_templateIbEESt5tupleIJNSF_6TensorESK_SK_EERKSK_lbbbEUlllE0_EEPmJS9_EEE10hipError_tPvRmT3_T4_T5_T6_T7_T9_mT8_P12ihipStream_tbDpT10_ENKUlT_T0_E_clISt17integral_constantIbLb0EES19_IbLb1EEEEDaS15_S16_EUlS15_E_NS1_11comp_targetILNS1_3genE2ELNS1_11target_archE906ELNS1_3gpuE6ELNS1_3repE0EEENS1_30default_config_static_selectorELNS0_4arch9wavefront6targetE1EEEvT1_, .Lfunc_end1111-_ZN7rocprim17ROCPRIM_400000_NS6detail17trampoline_kernelINS0_14default_configENS1_25partition_config_selectorILNS1_17partition_subalgoE9EllbEEZZNS1_14partition_implILS5_9ELb0ES3_jPlS8_PNS0_10empty_typeENS0_5tupleIJS8_S9_EEENSB_IJS8_SA_EEENS0_18inequality_wrapperIZN2at6native12_GLOBAL__N_124unique_dim_cuda_templateIbEESt5tupleIJNSF_6TensorESK_SK_EERKSK_lbbbEUlllE0_EEPmJS9_EEE10hipError_tPvRmT3_T4_T5_T6_T7_T9_mT8_P12ihipStream_tbDpT10_ENKUlT_T0_E_clISt17integral_constantIbLb0EES19_IbLb1EEEEDaS15_S16_EUlS15_E_NS1_11comp_targetILNS1_3genE2ELNS1_11target_archE906ELNS1_3gpuE6ELNS1_3repE0EEENS1_30default_config_static_selectorELNS0_4arch9wavefront6targetE1EEEvT1_
                                        ; -- End function
	.set _ZN7rocprim17ROCPRIM_400000_NS6detail17trampoline_kernelINS0_14default_configENS1_25partition_config_selectorILNS1_17partition_subalgoE9EllbEEZZNS1_14partition_implILS5_9ELb0ES3_jPlS8_PNS0_10empty_typeENS0_5tupleIJS8_S9_EEENSB_IJS8_SA_EEENS0_18inequality_wrapperIZN2at6native12_GLOBAL__N_124unique_dim_cuda_templateIbEESt5tupleIJNSF_6TensorESK_SK_EERKSK_lbbbEUlllE0_EEPmJS9_EEE10hipError_tPvRmT3_T4_T5_T6_T7_T9_mT8_P12ihipStream_tbDpT10_ENKUlT_T0_E_clISt17integral_constantIbLb0EES19_IbLb1EEEEDaS15_S16_EUlS15_E_NS1_11comp_targetILNS1_3genE2ELNS1_11target_archE906ELNS1_3gpuE6ELNS1_3repE0EEENS1_30default_config_static_selectorELNS0_4arch9wavefront6targetE1EEEvT1_.num_vgpr, 0
	.set _ZN7rocprim17ROCPRIM_400000_NS6detail17trampoline_kernelINS0_14default_configENS1_25partition_config_selectorILNS1_17partition_subalgoE9EllbEEZZNS1_14partition_implILS5_9ELb0ES3_jPlS8_PNS0_10empty_typeENS0_5tupleIJS8_S9_EEENSB_IJS8_SA_EEENS0_18inequality_wrapperIZN2at6native12_GLOBAL__N_124unique_dim_cuda_templateIbEESt5tupleIJNSF_6TensorESK_SK_EERKSK_lbbbEUlllE0_EEPmJS9_EEE10hipError_tPvRmT3_T4_T5_T6_T7_T9_mT8_P12ihipStream_tbDpT10_ENKUlT_T0_E_clISt17integral_constantIbLb0EES19_IbLb1EEEEDaS15_S16_EUlS15_E_NS1_11comp_targetILNS1_3genE2ELNS1_11target_archE906ELNS1_3gpuE6ELNS1_3repE0EEENS1_30default_config_static_selectorELNS0_4arch9wavefront6targetE1EEEvT1_.num_agpr, 0
	.set _ZN7rocprim17ROCPRIM_400000_NS6detail17trampoline_kernelINS0_14default_configENS1_25partition_config_selectorILNS1_17partition_subalgoE9EllbEEZZNS1_14partition_implILS5_9ELb0ES3_jPlS8_PNS0_10empty_typeENS0_5tupleIJS8_S9_EEENSB_IJS8_SA_EEENS0_18inequality_wrapperIZN2at6native12_GLOBAL__N_124unique_dim_cuda_templateIbEESt5tupleIJNSF_6TensorESK_SK_EERKSK_lbbbEUlllE0_EEPmJS9_EEE10hipError_tPvRmT3_T4_T5_T6_T7_T9_mT8_P12ihipStream_tbDpT10_ENKUlT_T0_E_clISt17integral_constantIbLb0EES19_IbLb1EEEEDaS15_S16_EUlS15_E_NS1_11comp_targetILNS1_3genE2ELNS1_11target_archE906ELNS1_3gpuE6ELNS1_3repE0EEENS1_30default_config_static_selectorELNS0_4arch9wavefront6targetE1EEEvT1_.numbered_sgpr, 0
	.set _ZN7rocprim17ROCPRIM_400000_NS6detail17trampoline_kernelINS0_14default_configENS1_25partition_config_selectorILNS1_17partition_subalgoE9EllbEEZZNS1_14partition_implILS5_9ELb0ES3_jPlS8_PNS0_10empty_typeENS0_5tupleIJS8_S9_EEENSB_IJS8_SA_EEENS0_18inequality_wrapperIZN2at6native12_GLOBAL__N_124unique_dim_cuda_templateIbEESt5tupleIJNSF_6TensorESK_SK_EERKSK_lbbbEUlllE0_EEPmJS9_EEE10hipError_tPvRmT3_T4_T5_T6_T7_T9_mT8_P12ihipStream_tbDpT10_ENKUlT_T0_E_clISt17integral_constantIbLb0EES19_IbLb1EEEEDaS15_S16_EUlS15_E_NS1_11comp_targetILNS1_3genE2ELNS1_11target_archE906ELNS1_3gpuE6ELNS1_3repE0EEENS1_30default_config_static_selectorELNS0_4arch9wavefront6targetE1EEEvT1_.num_named_barrier, 0
	.set _ZN7rocprim17ROCPRIM_400000_NS6detail17trampoline_kernelINS0_14default_configENS1_25partition_config_selectorILNS1_17partition_subalgoE9EllbEEZZNS1_14partition_implILS5_9ELb0ES3_jPlS8_PNS0_10empty_typeENS0_5tupleIJS8_S9_EEENSB_IJS8_SA_EEENS0_18inequality_wrapperIZN2at6native12_GLOBAL__N_124unique_dim_cuda_templateIbEESt5tupleIJNSF_6TensorESK_SK_EERKSK_lbbbEUlllE0_EEPmJS9_EEE10hipError_tPvRmT3_T4_T5_T6_T7_T9_mT8_P12ihipStream_tbDpT10_ENKUlT_T0_E_clISt17integral_constantIbLb0EES19_IbLb1EEEEDaS15_S16_EUlS15_E_NS1_11comp_targetILNS1_3genE2ELNS1_11target_archE906ELNS1_3gpuE6ELNS1_3repE0EEENS1_30default_config_static_selectorELNS0_4arch9wavefront6targetE1EEEvT1_.private_seg_size, 0
	.set _ZN7rocprim17ROCPRIM_400000_NS6detail17trampoline_kernelINS0_14default_configENS1_25partition_config_selectorILNS1_17partition_subalgoE9EllbEEZZNS1_14partition_implILS5_9ELb0ES3_jPlS8_PNS0_10empty_typeENS0_5tupleIJS8_S9_EEENSB_IJS8_SA_EEENS0_18inequality_wrapperIZN2at6native12_GLOBAL__N_124unique_dim_cuda_templateIbEESt5tupleIJNSF_6TensorESK_SK_EERKSK_lbbbEUlllE0_EEPmJS9_EEE10hipError_tPvRmT3_T4_T5_T6_T7_T9_mT8_P12ihipStream_tbDpT10_ENKUlT_T0_E_clISt17integral_constantIbLb0EES19_IbLb1EEEEDaS15_S16_EUlS15_E_NS1_11comp_targetILNS1_3genE2ELNS1_11target_archE906ELNS1_3gpuE6ELNS1_3repE0EEENS1_30default_config_static_selectorELNS0_4arch9wavefront6targetE1EEEvT1_.uses_vcc, 0
	.set _ZN7rocprim17ROCPRIM_400000_NS6detail17trampoline_kernelINS0_14default_configENS1_25partition_config_selectorILNS1_17partition_subalgoE9EllbEEZZNS1_14partition_implILS5_9ELb0ES3_jPlS8_PNS0_10empty_typeENS0_5tupleIJS8_S9_EEENSB_IJS8_SA_EEENS0_18inequality_wrapperIZN2at6native12_GLOBAL__N_124unique_dim_cuda_templateIbEESt5tupleIJNSF_6TensorESK_SK_EERKSK_lbbbEUlllE0_EEPmJS9_EEE10hipError_tPvRmT3_T4_T5_T6_T7_T9_mT8_P12ihipStream_tbDpT10_ENKUlT_T0_E_clISt17integral_constantIbLb0EES19_IbLb1EEEEDaS15_S16_EUlS15_E_NS1_11comp_targetILNS1_3genE2ELNS1_11target_archE906ELNS1_3gpuE6ELNS1_3repE0EEENS1_30default_config_static_selectorELNS0_4arch9wavefront6targetE1EEEvT1_.uses_flat_scratch, 0
	.set _ZN7rocprim17ROCPRIM_400000_NS6detail17trampoline_kernelINS0_14default_configENS1_25partition_config_selectorILNS1_17partition_subalgoE9EllbEEZZNS1_14partition_implILS5_9ELb0ES3_jPlS8_PNS0_10empty_typeENS0_5tupleIJS8_S9_EEENSB_IJS8_SA_EEENS0_18inequality_wrapperIZN2at6native12_GLOBAL__N_124unique_dim_cuda_templateIbEESt5tupleIJNSF_6TensorESK_SK_EERKSK_lbbbEUlllE0_EEPmJS9_EEE10hipError_tPvRmT3_T4_T5_T6_T7_T9_mT8_P12ihipStream_tbDpT10_ENKUlT_T0_E_clISt17integral_constantIbLb0EES19_IbLb1EEEEDaS15_S16_EUlS15_E_NS1_11comp_targetILNS1_3genE2ELNS1_11target_archE906ELNS1_3gpuE6ELNS1_3repE0EEENS1_30default_config_static_selectorELNS0_4arch9wavefront6targetE1EEEvT1_.has_dyn_sized_stack, 0
	.set _ZN7rocprim17ROCPRIM_400000_NS6detail17trampoline_kernelINS0_14default_configENS1_25partition_config_selectorILNS1_17partition_subalgoE9EllbEEZZNS1_14partition_implILS5_9ELb0ES3_jPlS8_PNS0_10empty_typeENS0_5tupleIJS8_S9_EEENSB_IJS8_SA_EEENS0_18inequality_wrapperIZN2at6native12_GLOBAL__N_124unique_dim_cuda_templateIbEESt5tupleIJNSF_6TensorESK_SK_EERKSK_lbbbEUlllE0_EEPmJS9_EEE10hipError_tPvRmT3_T4_T5_T6_T7_T9_mT8_P12ihipStream_tbDpT10_ENKUlT_T0_E_clISt17integral_constantIbLb0EES19_IbLb1EEEEDaS15_S16_EUlS15_E_NS1_11comp_targetILNS1_3genE2ELNS1_11target_archE906ELNS1_3gpuE6ELNS1_3repE0EEENS1_30default_config_static_selectorELNS0_4arch9wavefront6targetE1EEEvT1_.has_recursion, 0
	.set _ZN7rocprim17ROCPRIM_400000_NS6detail17trampoline_kernelINS0_14default_configENS1_25partition_config_selectorILNS1_17partition_subalgoE9EllbEEZZNS1_14partition_implILS5_9ELb0ES3_jPlS8_PNS0_10empty_typeENS0_5tupleIJS8_S9_EEENSB_IJS8_SA_EEENS0_18inequality_wrapperIZN2at6native12_GLOBAL__N_124unique_dim_cuda_templateIbEESt5tupleIJNSF_6TensorESK_SK_EERKSK_lbbbEUlllE0_EEPmJS9_EEE10hipError_tPvRmT3_T4_T5_T6_T7_T9_mT8_P12ihipStream_tbDpT10_ENKUlT_T0_E_clISt17integral_constantIbLb0EES19_IbLb1EEEEDaS15_S16_EUlS15_E_NS1_11comp_targetILNS1_3genE2ELNS1_11target_archE906ELNS1_3gpuE6ELNS1_3repE0EEENS1_30default_config_static_selectorELNS0_4arch9wavefront6targetE1EEEvT1_.has_indirect_call, 0
	.section	.AMDGPU.csdata,"",@progbits
; Kernel info:
; codeLenInByte = 0
; TotalNumSgprs: 6
; NumVgprs: 0
; NumAgprs: 0
; TotalNumVgprs: 0
; ScratchSize: 0
; MemoryBound: 0
; FloatMode: 240
; IeeeMode: 1
; LDSByteSize: 0 bytes/workgroup (compile time only)
; SGPRBlocks: 0
; VGPRBlocks: 0
; NumSGPRsForWavesPerEU: 6
; NumVGPRsForWavesPerEU: 1
; AccumOffset: 4
; Occupancy: 8
; WaveLimiterHint : 0
; COMPUTE_PGM_RSRC2:SCRATCH_EN: 0
; COMPUTE_PGM_RSRC2:USER_SGPR: 2
; COMPUTE_PGM_RSRC2:TRAP_HANDLER: 0
; COMPUTE_PGM_RSRC2:TGID_X_EN: 1
; COMPUTE_PGM_RSRC2:TGID_Y_EN: 0
; COMPUTE_PGM_RSRC2:TGID_Z_EN: 0
; COMPUTE_PGM_RSRC2:TIDIG_COMP_CNT: 0
; COMPUTE_PGM_RSRC3_GFX90A:ACCUM_OFFSET: 0
; COMPUTE_PGM_RSRC3_GFX90A:TG_SPLIT: 0
	.section	.text._ZN7rocprim17ROCPRIM_400000_NS6detail17trampoline_kernelINS0_14default_configENS1_25partition_config_selectorILNS1_17partition_subalgoE9EllbEEZZNS1_14partition_implILS5_9ELb0ES3_jPlS8_PNS0_10empty_typeENS0_5tupleIJS8_S9_EEENSB_IJS8_SA_EEENS0_18inequality_wrapperIZN2at6native12_GLOBAL__N_124unique_dim_cuda_templateIbEESt5tupleIJNSF_6TensorESK_SK_EERKSK_lbbbEUlllE0_EEPmJS9_EEE10hipError_tPvRmT3_T4_T5_T6_T7_T9_mT8_P12ihipStream_tbDpT10_ENKUlT_T0_E_clISt17integral_constantIbLb0EES19_IbLb1EEEEDaS15_S16_EUlS15_E_NS1_11comp_targetILNS1_3genE10ELNS1_11target_archE1200ELNS1_3gpuE4ELNS1_3repE0EEENS1_30default_config_static_selectorELNS0_4arch9wavefront6targetE1EEEvT1_,"axG",@progbits,_ZN7rocprim17ROCPRIM_400000_NS6detail17trampoline_kernelINS0_14default_configENS1_25partition_config_selectorILNS1_17partition_subalgoE9EllbEEZZNS1_14partition_implILS5_9ELb0ES3_jPlS8_PNS0_10empty_typeENS0_5tupleIJS8_S9_EEENSB_IJS8_SA_EEENS0_18inequality_wrapperIZN2at6native12_GLOBAL__N_124unique_dim_cuda_templateIbEESt5tupleIJNSF_6TensorESK_SK_EERKSK_lbbbEUlllE0_EEPmJS9_EEE10hipError_tPvRmT3_T4_T5_T6_T7_T9_mT8_P12ihipStream_tbDpT10_ENKUlT_T0_E_clISt17integral_constantIbLb0EES19_IbLb1EEEEDaS15_S16_EUlS15_E_NS1_11comp_targetILNS1_3genE10ELNS1_11target_archE1200ELNS1_3gpuE4ELNS1_3repE0EEENS1_30default_config_static_selectorELNS0_4arch9wavefront6targetE1EEEvT1_,comdat
	.globl	_ZN7rocprim17ROCPRIM_400000_NS6detail17trampoline_kernelINS0_14default_configENS1_25partition_config_selectorILNS1_17partition_subalgoE9EllbEEZZNS1_14partition_implILS5_9ELb0ES3_jPlS8_PNS0_10empty_typeENS0_5tupleIJS8_S9_EEENSB_IJS8_SA_EEENS0_18inequality_wrapperIZN2at6native12_GLOBAL__N_124unique_dim_cuda_templateIbEESt5tupleIJNSF_6TensorESK_SK_EERKSK_lbbbEUlllE0_EEPmJS9_EEE10hipError_tPvRmT3_T4_T5_T6_T7_T9_mT8_P12ihipStream_tbDpT10_ENKUlT_T0_E_clISt17integral_constantIbLb0EES19_IbLb1EEEEDaS15_S16_EUlS15_E_NS1_11comp_targetILNS1_3genE10ELNS1_11target_archE1200ELNS1_3gpuE4ELNS1_3repE0EEENS1_30default_config_static_selectorELNS0_4arch9wavefront6targetE1EEEvT1_ ; -- Begin function _ZN7rocprim17ROCPRIM_400000_NS6detail17trampoline_kernelINS0_14default_configENS1_25partition_config_selectorILNS1_17partition_subalgoE9EllbEEZZNS1_14partition_implILS5_9ELb0ES3_jPlS8_PNS0_10empty_typeENS0_5tupleIJS8_S9_EEENSB_IJS8_SA_EEENS0_18inequality_wrapperIZN2at6native12_GLOBAL__N_124unique_dim_cuda_templateIbEESt5tupleIJNSF_6TensorESK_SK_EERKSK_lbbbEUlllE0_EEPmJS9_EEE10hipError_tPvRmT3_T4_T5_T6_T7_T9_mT8_P12ihipStream_tbDpT10_ENKUlT_T0_E_clISt17integral_constantIbLb0EES19_IbLb1EEEEDaS15_S16_EUlS15_E_NS1_11comp_targetILNS1_3genE10ELNS1_11target_archE1200ELNS1_3gpuE4ELNS1_3repE0EEENS1_30default_config_static_selectorELNS0_4arch9wavefront6targetE1EEEvT1_
	.p2align	8
	.type	_ZN7rocprim17ROCPRIM_400000_NS6detail17trampoline_kernelINS0_14default_configENS1_25partition_config_selectorILNS1_17partition_subalgoE9EllbEEZZNS1_14partition_implILS5_9ELb0ES3_jPlS8_PNS0_10empty_typeENS0_5tupleIJS8_S9_EEENSB_IJS8_SA_EEENS0_18inequality_wrapperIZN2at6native12_GLOBAL__N_124unique_dim_cuda_templateIbEESt5tupleIJNSF_6TensorESK_SK_EERKSK_lbbbEUlllE0_EEPmJS9_EEE10hipError_tPvRmT3_T4_T5_T6_T7_T9_mT8_P12ihipStream_tbDpT10_ENKUlT_T0_E_clISt17integral_constantIbLb0EES19_IbLb1EEEEDaS15_S16_EUlS15_E_NS1_11comp_targetILNS1_3genE10ELNS1_11target_archE1200ELNS1_3gpuE4ELNS1_3repE0EEENS1_30default_config_static_selectorELNS0_4arch9wavefront6targetE1EEEvT1_,@function
_ZN7rocprim17ROCPRIM_400000_NS6detail17trampoline_kernelINS0_14default_configENS1_25partition_config_selectorILNS1_17partition_subalgoE9EllbEEZZNS1_14partition_implILS5_9ELb0ES3_jPlS8_PNS0_10empty_typeENS0_5tupleIJS8_S9_EEENSB_IJS8_SA_EEENS0_18inequality_wrapperIZN2at6native12_GLOBAL__N_124unique_dim_cuda_templateIbEESt5tupleIJNSF_6TensorESK_SK_EERKSK_lbbbEUlllE0_EEPmJS9_EEE10hipError_tPvRmT3_T4_T5_T6_T7_T9_mT8_P12ihipStream_tbDpT10_ENKUlT_T0_E_clISt17integral_constantIbLb0EES19_IbLb1EEEEDaS15_S16_EUlS15_E_NS1_11comp_targetILNS1_3genE10ELNS1_11target_archE1200ELNS1_3gpuE4ELNS1_3repE0EEENS1_30default_config_static_selectorELNS0_4arch9wavefront6targetE1EEEvT1_: ; @_ZN7rocprim17ROCPRIM_400000_NS6detail17trampoline_kernelINS0_14default_configENS1_25partition_config_selectorILNS1_17partition_subalgoE9EllbEEZZNS1_14partition_implILS5_9ELb0ES3_jPlS8_PNS0_10empty_typeENS0_5tupleIJS8_S9_EEENSB_IJS8_SA_EEENS0_18inequality_wrapperIZN2at6native12_GLOBAL__N_124unique_dim_cuda_templateIbEESt5tupleIJNSF_6TensorESK_SK_EERKSK_lbbbEUlllE0_EEPmJS9_EEE10hipError_tPvRmT3_T4_T5_T6_T7_T9_mT8_P12ihipStream_tbDpT10_ENKUlT_T0_E_clISt17integral_constantIbLb0EES19_IbLb1EEEEDaS15_S16_EUlS15_E_NS1_11comp_targetILNS1_3genE10ELNS1_11target_archE1200ELNS1_3gpuE4ELNS1_3repE0EEENS1_30default_config_static_selectorELNS0_4arch9wavefront6targetE1EEEvT1_
; %bb.0:
	.section	.rodata,"a",@progbits
	.p2align	6, 0x0
	.amdhsa_kernel _ZN7rocprim17ROCPRIM_400000_NS6detail17trampoline_kernelINS0_14default_configENS1_25partition_config_selectorILNS1_17partition_subalgoE9EllbEEZZNS1_14partition_implILS5_9ELb0ES3_jPlS8_PNS0_10empty_typeENS0_5tupleIJS8_S9_EEENSB_IJS8_SA_EEENS0_18inequality_wrapperIZN2at6native12_GLOBAL__N_124unique_dim_cuda_templateIbEESt5tupleIJNSF_6TensorESK_SK_EERKSK_lbbbEUlllE0_EEPmJS9_EEE10hipError_tPvRmT3_T4_T5_T6_T7_T9_mT8_P12ihipStream_tbDpT10_ENKUlT_T0_E_clISt17integral_constantIbLb0EES19_IbLb1EEEEDaS15_S16_EUlS15_E_NS1_11comp_targetILNS1_3genE10ELNS1_11target_archE1200ELNS1_3gpuE4ELNS1_3repE0EEENS1_30default_config_static_selectorELNS0_4arch9wavefront6targetE1EEEvT1_
		.amdhsa_group_segment_fixed_size 0
		.amdhsa_private_segment_fixed_size 0
		.amdhsa_kernarg_size 136
		.amdhsa_user_sgpr_count 2
		.amdhsa_user_sgpr_dispatch_ptr 0
		.amdhsa_user_sgpr_queue_ptr 0
		.amdhsa_user_sgpr_kernarg_segment_ptr 1
		.amdhsa_user_sgpr_dispatch_id 0
		.amdhsa_user_sgpr_kernarg_preload_length 0
		.amdhsa_user_sgpr_kernarg_preload_offset 0
		.amdhsa_user_sgpr_private_segment_size 0
		.amdhsa_uses_dynamic_stack 0
		.amdhsa_enable_private_segment 0
		.amdhsa_system_sgpr_workgroup_id_x 1
		.amdhsa_system_sgpr_workgroup_id_y 0
		.amdhsa_system_sgpr_workgroup_id_z 0
		.amdhsa_system_sgpr_workgroup_info 0
		.amdhsa_system_vgpr_workitem_id 0
		.amdhsa_next_free_vgpr 1
		.amdhsa_next_free_sgpr 0
		.amdhsa_accum_offset 4
		.amdhsa_reserve_vcc 0
		.amdhsa_float_round_mode_32 0
		.amdhsa_float_round_mode_16_64 0
		.amdhsa_float_denorm_mode_32 3
		.amdhsa_float_denorm_mode_16_64 3
		.amdhsa_dx10_clamp 1
		.amdhsa_ieee_mode 1
		.amdhsa_fp16_overflow 0
		.amdhsa_tg_split 0
		.amdhsa_exception_fp_ieee_invalid_op 0
		.amdhsa_exception_fp_denorm_src 0
		.amdhsa_exception_fp_ieee_div_zero 0
		.amdhsa_exception_fp_ieee_overflow 0
		.amdhsa_exception_fp_ieee_underflow 0
		.amdhsa_exception_fp_ieee_inexact 0
		.amdhsa_exception_int_div_zero 0
	.end_amdhsa_kernel
	.section	.text._ZN7rocprim17ROCPRIM_400000_NS6detail17trampoline_kernelINS0_14default_configENS1_25partition_config_selectorILNS1_17partition_subalgoE9EllbEEZZNS1_14partition_implILS5_9ELb0ES3_jPlS8_PNS0_10empty_typeENS0_5tupleIJS8_S9_EEENSB_IJS8_SA_EEENS0_18inequality_wrapperIZN2at6native12_GLOBAL__N_124unique_dim_cuda_templateIbEESt5tupleIJNSF_6TensorESK_SK_EERKSK_lbbbEUlllE0_EEPmJS9_EEE10hipError_tPvRmT3_T4_T5_T6_T7_T9_mT8_P12ihipStream_tbDpT10_ENKUlT_T0_E_clISt17integral_constantIbLb0EES19_IbLb1EEEEDaS15_S16_EUlS15_E_NS1_11comp_targetILNS1_3genE10ELNS1_11target_archE1200ELNS1_3gpuE4ELNS1_3repE0EEENS1_30default_config_static_selectorELNS0_4arch9wavefront6targetE1EEEvT1_,"axG",@progbits,_ZN7rocprim17ROCPRIM_400000_NS6detail17trampoline_kernelINS0_14default_configENS1_25partition_config_selectorILNS1_17partition_subalgoE9EllbEEZZNS1_14partition_implILS5_9ELb0ES3_jPlS8_PNS0_10empty_typeENS0_5tupleIJS8_S9_EEENSB_IJS8_SA_EEENS0_18inequality_wrapperIZN2at6native12_GLOBAL__N_124unique_dim_cuda_templateIbEESt5tupleIJNSF_6TensorESK_SK_EERKSK_lbbbEUlllE0_EEPmJS9_EEE10hipError_tPvRmT3_T4_T5_T6_T7_T9_mT8_P12ihipStream_tbDpT10_ENKUlT_T0_E_clISt17integral_constantIbLb0EES19_IbLb1EEEEDaS15_S16_EUlS15_E_NS1_11comp_targetILNS1_3genE10ELNS1_11target_archE1200ELNS1_3gpuE4ELNS1_3repE0EEENS1_30default_config_static_selectorELNS0_4arch9wavefront6targetE1EEEvT1_,comdat
.Lfunc_end1112:
	.size	_ZN7rocprim17ROCPRIM_400000_NS6detail17trampoline_kernelINS0_14default_configENS1_25partition_config_selectorILNS1_17partition_subalgoE9EllbEEZZNS1_14partition_implILS5_9ELb0ES3_jPlS8_PNS0_10empty_typeENS0_5tupleIJS8_S9_EEENSB_IJS8_SA_EEENS0_18inequality_wrapperIZN2at6native12_GLOBAL__N_124unique_dim_cuda_templateIbEESt5tupleIJNSF_6TensorESK_SK_EERKSK_lbbbEUlllE0_EEPmJS9_EEE10hipError_tPvRmT3_T4_T5_T6_T7_T9_mT8_P12ihipStream_tbDpT10_ENKUlT_T0_E_clISt17integral_constantIbLb0EES19_IbLb1EEEEDaS15_S16_EUlS15_E_NS1_11comp_targetILNS1_3genE10ELNS1_11target_archE1200ELNS1_3gpuE4ELNS1_3repE0EEENS1_30default_config_static_selectorELNS0_4arch9wavefront6targetE1EEEvT1_, .Lfunc_end1112-_ZN7rocprim17ROCPRIM_400000_NS6detail17trampoline_kernelINS0_14default_configENS1_25partition_config_selectorILNS1_17partition_subalgoE9EllbEEZZNS1_14partition_implILS5_9ELb0ES3_jPlS8_PNS0_10empty_typeENS0_5tupleIJS8_S9_EEENSB_IJS8_SA_EEENS0_18inequality_wrapperIZN2at6native12_GLOBAL__N_124unique_dim_cuda_templateIbEESt5tupleIJNSF_6TensorESK_SK_EERKSK_lbbbEUlllE0_EEPmJS9_EEE10hipError_tPvRmT3_T4_T5_T6_T7_T9_mT8_P12ihipStream_tbDpT10_ENKUlT_T0_E_clISt17integral_constantIbLb0EES19_IbLb1EEEEDaS15_S16_EUlS15_E_NS1_11comp_targetILNS1_3genE10ELNS1_11target_archE1200ELNS1_3gpuE4ELNS1_3repE0EEENS1_30default_config_static_selectorELNS0_4arch9wavefront6targetE1EEEvT1_
                                        ; -- End function
	.set _ZN7rocprim17ROCPRIM_400000_NS6detail17trampoline_kernelINS0_14default_configENS1_25partition_config_selectorILNS1_17partition_subalgoE9EllbEEZZNS1_14partition_implILS5_9ELb0ES3_jPlS8_PNS0_10empty_typeENS0_5tupleIJS8_S9_EEENSB_IJS8_SA_EEENS0_18inequality_wrapperIZN2at6native12_GLOBAL__N_124unique_dim_cuda_templateIbEESt5tupleIJNSF_6TensorESK_SK_EERKSK_lbbbEUlllE0_EEPmJS9_EEE10hipError_tPvRmT3_T4_T5_T6_T7_T9_mT8_P12ihipStream_tbDpT10_ENKUlT_T0_E_clISt17integral_constantIbLb0EES19_IbLb1EEEEDaS15_S16_EUlS15_E_NS1_11comp_targetILNS1_3genE10ELNS1_11target_archE1200ELNS1_3gpuE4ELNS1_3repE0EEENS1_30default_config_static_selectorELNS0_4arch9wavefront6targetE1EEEvT1_.num_vgpr, 0
	.set _ZN7rocprim17ROCPRIM_400000_NS6detail17trampoline_kernelINS0_14default_configENS1_25partition_config_selectorILNS1_17partition_subalgoE9EllbEEZZNS1_14partition_implILS5_9ELb0ES3_jPlS8_PNS0_10empty_typeENS0_5tupleIJS8_S9_EEENSB_IJS8_SA_EEENS0_18inequality_wrapperIZN2at6native12_GLOBAL__N_124unique_dim_cuda_templateIbEESt5tupleIJNSF_6TensorESK_SK_EERKSK_lbbbEUlllE0_EEPmJS9_EEE10hipError_tPvRmT3_T4_T5_T6_T7_T9_mT8_P12ihipStream_tbDpT10_ENKUlT_T0_E_clISt17integral_constantIbLb0EES19_IbLb1EEEEDaS15_S16_EUlS15_E_NS1_11comp_targetILNS1_3genE10ELNS1_11target_archE1200ELNS1_3gpuE4ELNS1_3repE0EEENS1_30default_config_static_selectorELNS0_4arch9wavefront6targetE1EEEvT1_.num_agpr, 0
	.set _ZN7rocprim17ROCPRIM_400000_NS6detail17trampoline_kernelINS0_14default_configENS1_25partition_config_selectorILNS1_17partition_subalgoE9EllbEEZZNS1_14partition_implILS5_9ELb0ES3_jPlS8_PNS0_10empty_typeENS0_5tupleIJS8_S9_EEENSB_IJS8_SA_EEENS0_18inequality_wrapperIZN2at6native12_GLOBAL__N_124unique_dim_cuda_templateIbEESt5tupleIJNSF_6TensorESK_SK_EERKSK_lbbbEUlllE0_EEPmJS9_EEE10hipError_tPvRmT3_T4_T5_T6_T7_T9_mT8_P12ihipStream_tbDpT10_ENKUlT_T0_E_clISt17integral_constantIbLb0EES19_IbLb1EEEEDaS15_S16_EUlS15_E_NS1_11comp_targetILNS1_3genE10ELNS1_11target_archE1200ELNS1_3gpuE4ELNS1_3repE0EEENS1_30default_config_static_selectorELNS0_4arch9wavefront6targetE1EEEvT1_.numbered_sgpr, 0
	.set _ZN7rocprim17ROCPRIM_400000_NS6detail17trampoline_kernelINS0_14default_configENS1_25partition_config_selectorILNS1_17partition_subalgoE9EllbEEZZNS1_14partition_implILS5_9ELb0ES3_jPlS8_PNS0_10empty_typeENS0_5tupleIJS8_S9_EEENSB_IJS8_SA_EEENS0_18inequality_wrapperIZN2at6native12_GLOBAL__N_124unique_dim_cuda_templateIbEESt5tupleIJNSF_6TensorESK_SK_EERKSK_lbbbEUlllE0_EEPmJS9_EEE10hipError_tPvRmT3_T4_T5_T6_T7_T9_mT8_P12ihipStream_tbDpT10_ENKUlT_T0_E_clISt17integral_constantIbLb0EES19_IbLb1EEEEDaS15_S16_EUlS15_E_NS1_11comp_targetILNS1_3genE10ELNS1_11target_archE1200ELNS1_3gpuE4ELNS1_3repE0EEENS1_30default_config_static_selectorELNS0_4arch9wavefront6targetE1EEEvT1_.num_named_barrier, 0
	.set _ZN7rocprim17ROCPRIM_400000_NS6detail17trampoline_kernelINS0_14default_configENS1_25partition_config_selectorILNS1_17partition_subalgoE9EllbEEZZNS1_14partition_implILS5_9ELb0ES3_jPlS8_PNS0_10empty_typeENS0_5tupleIJS8_S9_EEENSB_IJS8_SA_EEENS0_18inequality_wrapperIZN2at6native12_GLOBAL__N_124unique_dim_cuda_templateIbEESt5tupleIJNSF_6TensorESK_SK_EERKSK_lbbbEUlllE0_EEPmJS9_EEE10hipError_tPvRmT3_T4_T5_T6_T7_T9_mT8_P12ihipStream_tbDpT10_ENKUlT_T0_E_clISt17integral_constantIbLb0EES19_IbLb1EEEEDaS15_S16_EUlS15_E_NS1_11comp_targetILNS1_3genE10ELNS1_11target_archE1200ELNS1_3gpuE4ELNS1_3repE0EEENS1_30default_config_static_selectorELNS0_4arch9wavefront6targetE1EEEvT1_.private_seg_size, 0
	.set _ZN7rocprim17ROCPRIM_400000_NS6detail17trampoline_kernelINS0_14default_configENS1_25partition_config_selectorILNS1_17partition_subalgoE9EllbEEZZNS1_14partition_implILS5_9ELb0ES3_jPlS8_PNS0_10empty_typeENS0_5tupleIJS8_S9_EEENSB_IJS8_SA_EEENS0_18inequality_wrapperIZN2at6native12_GLOBAL__N_124unique_dim_cuda_templateIbEESt5tupleIJNSF_6TensorESK_SK_EERKSK_lbbbEUlllE0_EEPmJS9_EEE10hipError_tPvRmT3_T4_T5_T6_T7_T9_mT8_P12ihipStream_tbDpT10_ENKUlT_T0_E_clISt17integral_constantIbLb0EES19_IbLb1EEEEDaS15_S16_EUlS15_E_NS1_11comp_targetILNS1_3genE10ELNS1_11target_archE1200ELNS1_3gpuE4ELNS1_3repE0EEENS1_30default_config_static_selectorELNS0_4arch9wavefront6targetE1EEEvT1_.uses_vcc, 0
	.set _ZN7rocprim17ROCPRIM_400000_NS6detail17trampoline_kernelINS0_14default_configENS1_25partition_config_selectorILNS1_17partition_subalgoE9EllbEEZZNS1_14partition_implILS5_9ELb0ES3_jPlS8_PNS0_10empty_typeENS0_5tupleIJS8_S9_EEENSB_IJS8_SA_EEENS0_18inequality_wrapperIZN2at6native12_GLOBAL__N_124unique_dim_cuda_templateIbEESt5tupleIJNSF_6TensorESK_SK_EERKSK_lbbbEUlllE0_EEPmJS9_EEE10hipError_tPvRmT3_T4_T5_T6_T7_T9_mT8_P12ihipStream_tbDpT10_ENKUlT_T0_E_clISt17integral_constantIbLb0EES19_IbLb1EEEEDaS15_S16_EUlS15_E_NS1_11comp_targetILNS1_3genE10ELNS1_11target_archE1200ELNS1_3gpuE4ELNS1_3repE0EEENS1_30default_config_static_selectorELNS0_4arch9wavefront6targetE1EEEvT1_.uses_flat_scratch, 0
	.set _ZN7rocprim17ROCPRIM_400000_NS6detail17trampoline_kernelINS0_14default_configENS1_25partition_config_selectorILNS1_17partition_subalgoE9EllbEEZZNS1_14partition_implILS5_9ELb0ES3_jPlS8_PNS0_10empty_typeENS0_5tupleIJS8_S9_EEENSB_IJS8_SA_EEENS0_18inequality_wrapperIZN2at6native12_GLOBAL__N_124unique_dim_cuda_templateIbEESt5tupleIJNSF_6TensorESK_SK_EERKSK_lbbbEUlllE0_EEPmJS9_EEE10hipError_tPvRmT3_T4_T5_T6_T7_T9_mT8_P12ihipStream_tbDpT10_ENKUlT_T0_E_clISt17integral_constantIbLb0EES19_IbLb1EEEEDaS15_S16_EUlS15_E_NS1_11comp_targetILNS1_3genE10ELNS1_11target_archE1200ELNS1_3gpuE4ELNS1_3repE0EEENS1_30default_config_static_selectorELNS0_4arch9wavefront6targetE1EEEvT1_.has_dyn_sized_stack, 0
	.set _ZN7rocprim17ROCPRIM_400000_NS6detail17trampoline_kernelINS0_14default_configENS1_25partition_config_selectorILNS1_17partition_subalgoE9EllbEEZZNS1_14partition_implILS5_9ELb0ES3_jPlS8_PNS0_10empty_typeENS0_5tupleIJS8_S9_EEENSB_IJS8_SA_EEENS0_18inequality_wrapperIZN2at6native12_GLOBAL__N_124unique_dim_cuda_templateIbEESt5tupleIJNSF_6TensorESK_SK_EERKSK_lbbbEUlllE0_EEPmJS9_EEE10hipError_tPvRmT3_T4_T5_T6_T7_T9_mT8_P12ihipStream_tbDpT10_ENKUlT_T0_E_clISt17integral_constantIbLb0EES19_IbLb1EEEEDaS15_S16_EUlS15_E_NS1_11comp_targetILNS1_3genE10ELNS1_11target_archE1200ELNS1_3gpuE4ELNS1_3repE0EEENS1_30default_config_static_selectorELNS0_4arch9wavefront6targetE1EEEvT1_.has_recursion, 0
	.set _ZN7rocprim17ROCPRIM_400000_NS6detail17trampoline_kernelINS0_14default_configENS1_25partition_config_selectorILNS1_17partition_subalgoE9EllbEEZZNS1_14partition_implILS5_9ELb0ES3_jPlS8_PNS0_10empty_typeENS0_5tupleIJS8_S9_EEENSB_IJS8_SA_EEENS0_18inequality_wrapperIZN2at6native12_GLOBAL__N_124unique_dim_cuda_templateIbEESt5tupleIJNSF_6TensorESK_SK_EERKSK_lbbbEUlllE0_EEPmJS9_EEE10hipError_tPvRmT3_T4_T5_T6_T7_T9_mT8_P12ihipStream_tbDpT10_ENKUlT_T0_E_clISt17integral_constantIbLb0EES19_IbLb1EEEEDaS15_S16_EUlS15_E_NS1_11comp_targetILNS1_3genE10ELNS1_11target_archE1200ELNS1_3gpuE4ELNS1_3repE0EEENS1_30default_config_static_selectorELNS0_4arch9wavefront6targetE1EEEvT1_.has_indirect_call, 0
	.section	.AMDGPU.csdata,"",@progbits
; Kernel info:
; codeLenInByte = 0
; TotalNumSgprs: 6
; NumVgprs: 0
; NumAgprs: 0
; TotalNumVgprs: 0
; ScratchSize: 0
; MemoryBound: 0
; FloatMode: 240
; IeeeMode: 1
; LDSByteSize: 0 bytes/workgroup (compile time only)
; SGPRBlocks: 0
; VGPRBlocks: 0
; NumSGPRsForWavesPerEU: 6
; NumVGPRsForWavesPerEU: 1
; AccumOffset: 4
; Occupancy: 8
; WaveLimiterHint : 0
; COMPUTE_PGM_RSRC2:SCRATCH_EN: 0
; COMPUTE_PGM_RSRC2:USER_SGPR: 2
; COMPUTE_PGM_RSRC2:TRAP_HANDLER: 0
; COMPUTE_PGM_RSRC2:TGID_X_EN: 1
; COMPUTE_PGM_RSRC2:TGID_Y_EN: 0
; COMPUTE_PGM_RSRC2:TGID_Z_EN: 0
; COMPUTE_PGM_RSRC2:TIDIG_COMP_CNT: 0
; COMPUTE_PGM_RSRC3_GFX90A:ACCUM_OFFSET: 0
; COMPUTE_PGM_RSRC3_GFX90A:TG_SPLIT: 0
	.section	.text._ZN7rocprim17ROCPRIM_400000_NS6detail17trampoline_kernelINS0_14default_configENS1_25partition_config_selectorILNS1_17partition_subalgoE9EllbEEZZNS1_14partition_implILS5_9ELb0ES3_jPlS8_PNS0_10empty_typeENS0_5tupleIJS8_S9_EEENSB_IJS8_SA_EEENS0_18inequality_wrapperIZN2at6native12_GLOBAL__N_124unique_dim_cuda_templateIbEESt5tupleIJNSF_6TensorESK_SK_EERKSK_lbbbEUlllE0_EEPmJS9_EEE10hipError_tPvRmT3_T4_T5_T6_T7_T9_mT8_P12ihipStream_tbDpT10_ENKUlT_T0_E_clISt17integral_constantIbLb0EES19_IbLb1EEEEDaS15_S16_EUlS15_E_NS1_11comp_targetILNS1_3genE9ELNS1_11target_archE1100ELNS1_3gpuE3ELNS1_3repE0EEENS1_30default_config_static_selectorELNS0_4arch9wavefront6targetE1EEEvT1_,"axG",@progbits,_ZN7rocprim17ROCPRIM_400000_NS6detail17trampoline_kernelINS0_14default_configENS1_25partition_config_selectorILNS1_17partition_subalgoE9EllbEEZZNS1_14partition_implILS5_9ELb0ES3_jPlS8_PNS0_10empty_typeENS0_5tupleIJS8_S9_EEENSB_IJS8_SA_EEENS0_18inequality_wrapperIZN2at6native12_GLOBAL__N_124unique_dim_cuda_templateIbEESt5tupleIJNSF_6TensorESK_SK_EERKSK_lbbbEUlllE0_EEPmJS9_EEE10hipError_tPvRmT3_T4_T5_T6_T7_T9_mT8_P12ihipStream_tbDpT10_ENKUlT_T0_E_clISt17integral_constantIbLb0EES19_IbLb1EEEEDaS15_S16_EUlS15_E_NS1_11comp_targetILNS1_3genE9ELNS1_11target_archE1100ELNS1_3gpuE3ELNS1_3repE0EEENS1_30default_config_static_selectorELNS0_4arch9wavefront6targetE1EEEvT1_,comdat
	.globl	_ZN7rocprim17ROCPRIM_400000_NS6detail17trampoline_kernelINS0_14default_configENS1_25partition_config_selectorILNS1_17partition_subalgoE9EllbEEZZNS1_14partition_implILS5_9ELb0ES3_jPlS8_PNS0_10empty_typeENS0_5tupleIJS8_S9_EEENSB_IJS8_SA_EEENS0_18inequality_wrapperIZN2at6native12_GLOBAL__N_124unique_dim_cuda_templateIbEESt5tupleIJNSF_6TensorESK_SK_EERKSK_lbbbEUlllE0_EEPmJS9_EEE10hipError_tPvRmT3_T4_T5_T6_T7_T9_mT8_P12ihipStream_tbDpT10_ENKUlT_T0_E_clISt17integral_constantIbLb0EES19_IbLb1EEEEDaS15_S16_EUlS15_E_NS1_11comp_targetILNS1_3genE9ELNS1_11target_archE1100ELNS1_3gpuE3ELNS1_3repE0EEENS1_30default_config_static_selectorELNS0_4arch9wavefront6targetE1EEEvT1_ ; -- Begin function _ZN7rocprim17ROCPRIM_400000_NS6detail17trampoline_kernelINS0_14default_configENS1_25partition_config_selectorILNS1_17partition_subalgoE9EllbEEZZNS1_14partition_implILS5_9ELb0ES3_jPlS8_PNS0_10empty_typeENS0_5tupleIJS8_S9_EEENSB_IJS8_SA_EEENS0_18inequality_wrapperIZN2at6native12_GLOBAL__N_124unique_dim_cuda_templateIbEESt5tupleIJNSF_6TensorESK_SK_EERKSK_lbbbEUlllE0_EEPmJS9_EEE10hipError_tPvRmT3_T4_T5_T6_T7_T9_mT8_P12ihipStream_tbDpT10_ENKUlT_T0_E_clISt17integral_constantIbLb0EES19_IbLb1EEEEDaS15_S16_EUlS15_E_NS1_11comp_targetILNS1_3genE9ELNS1_11target_archE1100ELNS1_3gpuE3ELNS1_3repE0EEENS1_30default_config_static_selectorELNS0_4arch9wavefront6targetE1EEEvT1_
	.p2align	8
	.type	_ZN7rocprim17ROCPRIM_400000_NS6detail17trampoline_kernelINS0_14default_configENS1_25partition_config_selectorILNS1_17partition_subalgoE9EllbEEZZNS1_14partition_implILS5_9ELb0ES3_jPlS8_PNS0_10empty_typeENS0_5tupleIJS8_S9_EEENSB_IJS8_SA_EEENS0_18inequality_wrapperIZN2at6native12_GLOBAL__N_124unique_dim_cuda_templateIbEESt5tupleIJNSF_6TensorESK_SK_EERKSK_lbbbEUlllE0_EEPmJS9_EEE10hipError_tPvRmT3_T4_T5_T6_T7_T9_mT8_P12ihipStream_tbDpT10_ENKUlT_T0_E_clISt17integral_constantIbLb0EES19_IbLb1EEEEDaS15_S16_EUlS15_E_NS1_11comp_targetILNS1_3genE9ELNS1_11target_archE1100ELNS1_3gpuE3ELNS1_3repE0EEENS1_30default_config_static_selectorELNS0_4arch9wavefront6targetE1EEEvT1_,@function
_ZN7rocprim17ROCPRIM_400000_NS6detail17trampoline_kernelINS0_14default_configENS1_25partition_config_selectorILNS1_17partition_subalgoE9EllbEEZZNS1_14partition_implILS5_9ELb0ES3_jPlS8_PNS0_10empty_typeENS0_5tupleIJS8_S9_EEENSB_IJS8_SA_EEENS0_18inequality_wrapperIZN2at6native12_GLOBAL__N_124unique_dim_cuda_templateIbEESt5tupleIJNSF_6TensorESK_SK_EERKSK_lbbbEUlllE0_EEPmJS9_EEE10hipError_tPvRmT3_T4_T5_T6_T7_T9_mT8_P12ihipStream_tbDpT10_ENKUlT_T0_E_clISt17integral_constantIbLb0EES19_IbLb1EEEEDaS15_S16_EUlS15_E_NS1_11comp_targetILNS1_3genE9ELNS1_11target_archE1100ELNS1_3gpuE3ELNS1_3repE0EEENS1_30default_config_static_selectorELNS0_4arch9wavefront6targetE1EEEvT1_: ; @_ZN7rocprim17ROCPRIM_400000_NS6detail17trampoline_kernelINS0_14default_configENS1_25partition_config_selectorILNS1_17partition_subalgoE9EllbEEZZNS1_14partition_implILS5_9ELb0ES3_jPlS8_PNS0_10empty_typeENS0_5tupleIJS8_S9_EEENSB_IJS8_SA_EEENS0_18inequality_wrapperIZN2at6native12_GLOBAL__N_124unique_dim_cuda_templateIbEESt5tupleIJNSF_6TensorESK_SK_EERKSK_lbbbEUlllE0_EEPmJS9_EEE10hipError_tPvRmT3_T4_T5_T6_T7_T9_mT8_P12ihipStream_tbDpT10_ENKUlT_T0_E_clISt17integral_constantIbLb0EES19_IbLb1EEEEDaS15_S16_EUlS15_E_NS1_11comp_targetILNS1_3genE9ELNS1_11target_archE1100ELNS1_3gpuE3ELNS1_3repE0EEENS1_30default_config_static_selectorELNS0_4arch9wavefront6targetE1EEEvT1_
; %bb.0:
	.section	.rodata,"a",@progbits
	.p2align	6, 0x0
	.amdhsa_kernel _ZN7rocprim17ROCPRIM_400000_NS6detail17trampoline_kernelINS0_14default_configENS1_25partition_config_selectorILNS1_17partition_subalgoE9EllbEEZZNS1_14partition_implILS5_9ELb0ES3_jPlS8_PNS0_10empty_typeENS0_5tupleIJS8_S9_EEENSB_IJS8_SA_EEENS0_18inequality_wrapperIZN2at6native12_GLOBAL__N_124unique_dim_cuda_templateIbEESt5tupleIJNSF_6TensorESK_SK_EERKSK_lbbbEUlllE0_EEPmJS9_EEE10hipError_tPvRmT3_T4_T5_T6_T7_T9_mT8_P12ihipStream_tbDpT10_ENKUlT_T0_E_clISt17integral_constantIbLb0EES19_IbLb1EEEEDaS15_S16_EUlS15_E_NS1_11comp_targetILNS1_3genE9ELNS1_11target_archE1100ELNS1_3gpuE3ELNS1_3repE0EEENS1_30default_config_static_selectorELNS0_4arch9wavefront6targetE1EEEvT1_
		.amdhsa_group_segment_fixed_size 0
		.amdhsa_private_segment_fixed_size 0
		.amdhsa_kernarg_size 136
		.amdhsa_user_sgpr_count 2
		.amdhsa_user_sgpr_dispatch_ptr 0
		.amdhsa_user_sgpr_queue_ptr 0
		.amdhsa_user_sgpr_kernarg_segment_ptr 1
		.amdhsa_user_sgpr_dispatch_id 0
		.amdhsa_user_sgpr_kernarg_preload_length 0
		.amdhsa_user_sgpr_kernarg_preload_offset 0
		.amdhsa_user_sgpr_private_segment_size 0
		.amdhsa_uses_dynamic_stack 0
		.amdhsa_enable_private_segment 0
		.amdhsa_system_sgpr_workgroup_id_x 1
		.amdhsa_system_sgpr_workgroup_id_y 0
		.amdhsa_system_sgpr_workgroup_id_z 0
		.amdhsa_system_sgpr_workgroup_info 0
		.amdhsa_system_vgpr_workitem_id 0
		.amdhsa_next_free_vgpr 1
		.amdhsa_next_free_sgpr 0
		.amdhsa_accum_offset 4
		.amdhsa_reserve_vcc 0
		.amdhsa_float_round_mode_32 0
		.amdhsa_float_round_mode_16_64 0
		.amdhsa_float_denorm_mode_32 3
		.amdhsa_float_denorm_mode_16_64 3
		.amdhsa_dx10_clamp 1
		.amdhsa_ieee_mode 1
		.amdhsa_fp16_overflow 0
		.amdhsa_tg_split 0
		.amdhsa_exception_fp_ieee_invalid_op 0
		.amdhsa_exception_fp_denorm_src 0
		.amdhsa_exception_fp_ieee_div_zero 0
		.amdhsa_exception_fp_ieee_overflow 0
		.amdhsa_exception_fp_ieee_underflow 0
		.amdhsa_exception_fp_ieee_inexact 0
		.amdhsa_exception_int_div_zero 0
	.end_amdhsa_kernel
	.section	.text._ZN7rocprim17ROCPRIM_400000_NS6detail17trampoline_kernelINS0_14default_configENS1_25partition_config_selectorILNS1_17partition_subalgoE9EllbEEZZNS1_14partition_implILS5_9ELb0ES3_jPlS8_PNS0_10empty_typeENS0_5tupleIJS8_S9_EEENSB_IJS8_SA_EEENS0_18inequality_wrapperIZN2at6native12_GLOBAL__N_124unique_dim_cuda_templateIbEESt5tupleIJNSF_6TensorESK_SK_EERKSK_lbbbEUlllE0_EEPmJS9_EEE10hipError_tPvRmT3_T4_T5_T6_T7_T9_mT8_P12ihipStream_tbDpT10_ENKUlT_T0_E_clISt17integral_constantIbLb0EES19_IbLb1EEEEDaS15_S16_EUlS15_E_NS1_11comp_targetILNS1_3genE9ELNS1_11target_archE1100ELNS1_3gpuE3ELNS1_3repE0EEENS1_30default_config_static_selectorELNS0_4arch9wavefront6targetE1EEEvT1_,"axG",@progbits,_ZN7rocprim17ROCPRIM_400000_NS6detail17trampoline_kernelINS0_14default_configENS1_25partition_config_selectorILNS1_17partition_subalgoE9EllbEEZZNS1_14partition_implILS5_9ELb0ES3_jPlS8_PNS0_10empty_typeENS0_5tupleIJS8_S9_EEENSB_IJS8_SA_EEENS0_18inequality_wrapperIZN2at6native12_GLOBAL__N_124unique_dim_cuda_templateIbEESt5tupleIJNSF_6TensorESK_SK_EERKSK_lbbbEUlllE0_EEPmJS9_EEE10hipError_tPvRmT3_T4_T5_T6_T7_T9_mT8_P12ihipStream_tbDpT10_ENKUlT_T0_E_clISt17integral_constantIbLb0EES19_IbLb1EEEEDaS15_S16_EUlS15_E_NS1_11comp_targetILNS1_3genE9ELNS1_11target_archE1100ELNS1_3gpuE3ELNS1_3repE0EEENS1_30default_config_static_selectorELNS0_4arch9wavefront6targetE1EEEvT1_,comdat
.Lfunc_end1113:
	.size	_ZN7rocprim17ROCPRIM_400000_NS6detail17trampoline_kernelINS0_14default_configENS1_25partition_config_selectorILNS1_17partition_subalgoE9EllbEEZZNS1_14partition_implILS5_9ELb0ES3_jPlS8_PNS0_10empty_typeENS0_5tupleIJS8_S9_EEENSB_IJS8_SA_EEENS0_18inequality_wrapperIZN2at6native12_GLOBAL__N_124unique_dim_cuda_templateIbEESt5tupleIJNSF_6TensorESK_SK_EERKSK_lbbbEUlllE0_EEPmJS9_EEE10hipError_tPvRmT3_T4_T5_T6_T7_T9_mT8_P12ihipStream_tbDpT10_ENKUlT_T0_E_clISt17integral_constantIbLb0EES19_IbLb1EEEEDaS15_S16_EUlS15_E_NS1_11comp_targetILNS1_3genE9ELNS1_11target_archE1100ELNS1_3gpuE3ELNS1_3repE0EEENS1_30default_config_static_selectorELNS0_4arch9wavefront6targetE1EEEvT1_, .Lfunc_end1113-_ZN7rocprim17ROCPRIM_400000_NS6detail17trampoline_kernelINS0_14default_configENS1_25partition_config_selectorILNS1_17partition_subalgoE9EllbEEZZNS1_14partition_implILS5_9ELb0ES3_jPlS8_PNS0_10empty_typeENS0_5tupleIJS8_S9_EEENSB_IJS8_SA_EEENS0_18inequality_wrapperIZN2at6native12_GLOBAL__N_124unique_dim_cuda_templateIbEESt5tupleIJNSF_6TensorESK_SK_EERKSK_lbbbEUlllE0_EEPmJS9_EEE10hipError_tPvRmT3_T4_T5_T6_T7_T9_mT8_P12ihipStream_tbDpT10_ENKUlT_T0_E_clISt17integral_constantIbLb0EES19_IbLb1EEEEDaS15_S16_EUlS15_E_NS1_11comp_targetILNS1_3genE9ELNS1_11target_archE1100ELNS1_3gpuE3ELNS1_3repE0EEENS1_30default_config_static_selectorELNS0_4arch9wavefront6targetE1EEEvT1_
                                        ; -- End function
	.set _ZN7rocprim17ROCPRIM_400000_NS6detail17trampoline_kernelINS0_14default_configENS1_25partition_config_selectorILNS1_17partition_subalgoE9EllbEEZZNS1_14partition_implILS5_9ELb0ES3_jPlS8_PNS0_10empty_typeENS0_5tupleIJS8_S9_EEENSB_IJS8_SA_EEENS0_18inequality_wrapperIZN2at6native12_GLOBAL__N_124unique_dim_cuda_templateIbEESt5tupleIJNSF_6TensorESK_SK_EERKSK_lbbbEUlllE0_EEPmJS9_EEE10hipError_tPvRmT3_T4_T5_T6_T7_T9_mT8_P12ihipStream_tbDpT10_ENKUlT_T0_E_clISt17integral_constantIbLb0EES19_IbLb1EEEEDaS15_S16_EUlS15_E_NS1_11comp_targetILNS1_3genE9ELNS1_11target_archE1100ELNS1_3gpuE3ELNS1_3repE0EEENS1_30default_config_static_selectorELNS0_4arch9wavefront6targetE1EEEvT1_.num_vgpr, 0
	.set _ZN7rocprim17ROCPRIM_400000_NS6detail17trampoline_kernelINS0_14default_configENS1_25partition_config_selectorILNS1_17partition_subalgoE9EllbEEZZNS1_14partition_implILS5_9ELb0ES3_jPlS8_PNS0_10empty_typeENS0_5tupleIJS8_S9_EEENSB_IJS8_SA_EEENS0_18inequality_wrapperIZN2at6native12_GLOBAL__N_124unique_dim_cuda_templateIbEESt5tupleIJNSF_6TensorESK_SK_EERKSK_lbbbEUlllE0_EEPmJS9_EEE10hipError_tPvRmT3_T4_T5_T6_T7_T9_mT8_P12ihipStream_tbDpT10_ENKUlT_T0_E_clISt17integral_constantIbLb0EES19_IbLb1EEEEDaS15_S16_EUlS15_E_NS1_11comp_targetILNS1_3genE9ELNS1_11target_archE1100ELNS1_3gpuE3ELNS1_3repE0EEENS1_30default_config_static_selectorELNS0_4arch9wavefront6targetE1EEEvT1_.num_agpr, 0
	.set _ZN7rocprim17ROCPRIM_400000_NS6detail17trampoline_kernelINS0_14default_configENS1_25partition_config_selectorILNS1_17partition_subalgoE9EllbEEZZNS1_14partition_implILS5_9ELb0ES3_jPlS8_PNS0_10empty_typeENS0_5tupleIJS8_S9_EEENSB_IJS8_SA_EEENS0_18inequality_wrapperIZN2at6native12_GLOBAL__N_124unique_dim_cuda_templateIbEESt5tupleIJNSF_6TensorESK_SK_EERKSK_lbbbEUlllE0_EEPmJS9_EEE10hipError_tPvRmT3_T4_T5_T6_T7_T9_mT8_P12ihipStream_tbDpT10_ENKUlT_T0_E_clISt17integral_constantIbLb0EES19_IbLb1EEEEDaS15_S16_EUlS15_E_NS1_11comp_targetILNS1_3genE9ELNS1_11target_archE1100ELNS1_3gpuE3ELNS1_3repE0EEENS1_30default_config_static_selectorELNS0_4arch9wavefront6targetE1EEEvT1_.numbered_sgpr, 0
	.set _ZN7rocprim17ROCPRIM_400000_NS6detail17trampoline_kernelINS0_14default_configENS1_25partition_config_selectorILNS1_17partition_subalgoE9EllbEEZZNS1_14partition_implILS5_9ELb0ES3_jPlS8_PNS0_10empty_typeENS0_5tupleIJS8_S9_EEENSB_IJS8_SA_EEENS0_18inequality_wrapperIZN2at6native12_GLOBAL__N_124unique_dim_cuda_templateIbEESt5tupleIJNSF_6TensorESK_SK_EERKSK_lbbbEUlllE0_EEPmJS9_EEE10hipError_tPvRmT3_T4_T5_T6_T7_T9_mT8_P12ihipStream_tbDpT10_ENKUlT_T0_E_clISt17integral_constantIbLb0EES19_IbLb1EEEEDaS15_S16_EUlS15_E_NS1_11comp_targetILNS1_3genE9ELNS1_11target_archE1100ELNS1_3gpuE3ELNS1_3repE0EEENS1_30default_config_static_selectorELNS0_4arch9wavefront6targetE1EEEvT1_.num_named_barrier, 0
	.set _ZN7rocprim17ROCPRIM_400000_NS6detail17trampoline_kernelINS0_14default_configENS1_25partition_config_selectorILNS1_17partition_subalgoE9EllbEEZZNS1_14partition_implILS5_9ELb0ES3_jPlS8_PNS0_10empty_typeENS0_5tupleIJS8_S9_EEENSB_IJS8_SA_EEENS0_18inequality_wrapperIZN2at6native12_GLOBAL__N_124unique_dim_cuda_templateIbEESt5tupleIJNSF_6TensorESK_SK_EERKSK_lbbbEUlllE0_EEPmJS9_EEE10hipError_tPvRmT3_T4_T5_T6_T7_T9_mT8_P12ihipStream_tbDpT10_ENKUlT_T0_E_clISt17integral_constantIbLb0EES19_IbLb1EEEEDaS15_S16_EUlS15_E_NS1_11comp_targetILNS1_3genE9ELNS1_11target_archE1100ELNS1_3gpuE3ELNS1_3repE0EEENS1_30default_config_static_selectorELNS0_4arch9wavefront6targetE1EEEvT1_.private_seg_size, 0
	.set _ZN7rocprim17ROCPRIM_400000_NS6detail17trampoline_kernelINS0_14default_configENS1_25partition_config_selectorILNS1_17partition_subalgoE9EllbEEZZNS1_14partition_implILS5_9ELb0ES3_jPlS8_PNS0_10empty_typeENS0_5tupleIJS8_S9_EEENSB_IJS8_SA_EEENS0_18inequality_wrapperIZN2at6native12_GLOBAL__N_124unique_dim_cuda_templateIbEESt5tupleIJNSF_6TensorESK_SK_EERKSK_lbbbEUlllE0_EEPmJS9_EEE10hipError_tPvRmT3_T4_T5_T6_T7_T9_mT8_P12ihipStream_tbDpT10_ENKUlT_T0_E_clISt17integral_constantIbLb0EES19_IbLb1EEEEDaS15_S16_EUlS15_E_NS1_11comp_targetILNS1_3genE9ELNS1_11target_archE1100ELNS1_3gpuE3ELNS1_3repE0EEENS1_30default_config_static_selectorELNS0_4arch9wavefront6targetE1EEEvT1_.uses_vcc, 0
	.set _ZN7rocprim17ROCPRIM_400000_NS6detail17trampoline_kernelINS0_14default_configENS1_25partition_config_selectorILNS1_17partition_subalgoE9EllbEEZZNS1_14partition_implILS5_9ELb0ES3_jPlS8_PNS0_10empty_typeENS0_5tupleIJS8_S9_EEENSB_IJS8_SA_EEENS0_18inequality_wrapperIZN2at6native12_GLOBAL__N_124unique_dim_cuda_templateIbEESt5tupleIJNSF_6TensorESK_SK_EERKSK_lbbbEUlllE0_EEPmJS9_EEE10hipError_tPvRmT3_T4_T5_T6_T7_T9_mT8_P12ihipStream_tbDpT10_ENKUlT_T0_E_clISt17integral_constantIbLb0EES19_IbLb1EEEEDaS15_S16_EUlS15_E_NS1_11comp_targetILNS1_3genE9ELNS1_11target_archE1100ELNS1_3gpuE3ELNS1_3repE0EEENS1_30default_config_static_selectorELNS0_4arch9wavefront6targetE1EEEvT1_.uses_flat_scratch, 0
	.set _ZN7rocprim17ROCPRIM_400000_NS6detail17trampoline_kernelINS0_14default_configENS1_25partition_config_selectorILNS1_17partition_subalgoE9EllbEEZZNS1_14partition_implILS5_9ELb0ES3_jPlS8_PNS0_10empty_typeENS0_5tupleIJS8_S9_EEENSB_IJS8_SA_EEENS0_18inequality_wrapperIZN2at6native12_GLOBAL__N_124unique_dim_cuda_templateIbEESt5tupleIJNSF_6TensorESK_SK_EERKSK_lbbbEUlllE0_EEPmJS9_EEE10hipError_tPvRmT3_T4_T5_T6_T7_T9_mT8_P12ihipStream_tbDpT10_ENKUlT_T0_E_clISt17integral_constantIbLb0EES19_IbLb1EEEEDaS15_S16_EUlS15_E_NS1_11comp_targetILNS1_3genE9ELNS1_11target_archE1100ELNS1_3gpuE3ELNS1_3repE0EEENS1_30default_config_static_selectorELNS0_4arch9wavefront6targetE1EEEvT1_.has_dyn_sized_stack, 0
	.set _ZN7rocprim17ROCPRIM_400000_NS6detail17trampoline_kernelINS0_14default_configENS1_25partition_config_selectorILNS1_17partition_subalgoE9EllbEEZZNS1_14partition_implILS5_9ELb0ES3_jPlS8_PNS0_10empty_typeENS0_5tupleIJS8_S9_EEENSB_IJS8_SA_EEENS0_18inequality_wrapperIZN2at6native12_GLOBAL__N_124unique_dim_cuda_templateIbEESt5tupleIJNSF_6TensorESK_SK_EERKSK_lbbbEUlllE0_EEPmJS9_EEE10hipError_tPvRmT3_T4_T5_T6_T7_T9_mT8_P12ihipStream_tbDpT10_ENKUlT_T0_E_clISt17integral_constantIbLb0EES19_IbLb1EEEEDaS15_S16_EUlS15_E_NS1_11comp_targetILNS1_3genE9ELNS1_11target_archE1100ELNS1_3gpuE3ELNS1_3repE0EEENS1_30default_config_static_selectorELNS0_4arch9wavefront6targetE1EEEvT1_.has_recursion, 0
	.set _ZN7rocprim17ROCPRIM_400000_NS6detail17trampoline_kernelINS0_14default_configENS1_25partition_config_selectorILNS1_17partition_subalgoE9EllbEEZZNS1_14partition_implILS5_9ELb0ES3_jPlS8_PNS0_10empty_typeENS0_5tupleIJS8_S9_EEENSB_IJS8_SA_EEENS0_18inequality_wrapperIZN2at6native12_GLOBAL__N_124unique_dim_cuda_templateIbEESt5tupleIJNSF_6TensorESK_SK_EERKSK_lbbbEUlllE0_EEPmJS9_EEE10hipError_tPvRmT3_T4_T5_T6_T7_T9_mT8_P12ihipStream_tbDpT10_ENKUlT_T0_E_clISt17integral_constantIbLb0EES19_IbLb1EEEEDaS15_S16_EUlS15_E_NS1_11comp_targetILNS1_3genE9ELNS1_11target_archE1100ELNS1_3gpuE3ELNS1_3repE0EEENS1_30default_config_static_selectorELNS0_4arch9wavefront6targetE1EEEvT1_.has_indirect_call, 0
	.section	.AMDGPU.csdata,"",@progbits
; Kernel info:
; codeLenInByte = 0
; TotalNumSgprs: 6
; NumVgprs: 0
; NumAgprs: 0
; TotalNumVgprs: 0
; ScratchSize: 0
; MemoryBound: 0
; FloatMode: 240
; IeeeMode: 1
; LDSByteSize: 0 bytes/workgroup (compile time only)
; SGPRBlocks: 0
; VGPRBlocks: 0
; NumSGPRsForWavesPerEU: 6
; NumVGPRsForWavesPerEU: 1
; AccumOffset: 4
; Occupancy: 8
; WaveLimiterHint : 0
; COMPUTE_PGM_RSRC2:SCRATCH_EN: 0
; COMPUTE_PGM_RSRC2:USER_SGPR: 2
; COMPUTE_PGM_RSRC2:TRAP_HANDLER: 0
; COMPUTE_PGM_RSRC2:TGID_X_EN: 1
; COMPUTE_PGM_RSRC2:TGID_Y_EN: 0
; COMPUTE_PGM_RSRC2:TGID_Z_EN: 0
; COMPUTE_PGM_RSRC2:TIDIG_COMP_CNT: 0
; COMPUTE_PGM_RSRC3_GFX90A:ACCUM_OFFSET: 0
; COMPUTE_PGM_RSRC3_GFX90A:TG_SPLIT: 0
	.section	.text._ZN7rocprim17ROCPRIM_400000_NS6detail17trampoline_kernelINS0_14default_configENS1_25partition_config_selectorILNS1_17partition_subalgoE9EllbEEZZNS1_14partition_implILS5_9ELb0ES3_jPlS8_PNS0_10empty_typeENS0_5tupleIJS8_S9_EEENSB_IJS8_SA_EEENS0_18inequality_wrapperIZN2at6native12_GLOBAL__N_124unique_dim_cuda_templateIbEESt5tupleIJNSF_6TensorESK_SK_EERKSK_lbbbEUlllE0_EEPmJS9_EEE10hipError_tPvRmT3_T4_T5_T6_T7_T9_mT8_P12ihipStream_tbDpT10_ENKUlT_T0_E_clISt17integral_constantIbLb0EES19_IbLb1EEEEDaS15_S16_EUlS15_E_NS1_11comp_targetILNS1_3genE8ELNS1_11target_archE1030ELNS1_3gpuE2ELNS1_3repE0EEENS1_30default_config_static_selectorELNS0_4arch9wavefront6targetE1EEEvT1_,"axG",@progbits,_ZN7rocprim17ROCPRIM_400000_NS6detail17trampoline_kernelINS0_14default_configENS1_25partition_config_selectorILNS1_17partition_subalgoE9EllbEEZZNS1_14partition_implILS5_9ELb0ES3_jPlS8_PNS0_10empty_typeENS0_5tupleIJS8_S9_EEENSB_IJS8_SA_EEENS0_18inequality_wrapperIZN2at6native12_GLOBAL__N_124unique_dim_cuda_templateIbEESt5tupleIJNSF_6TensorESK_SK_EERKSK_lbbbEUlllE0_EEPmJS9_EEE10hipError_tPvRmT3_T4_T5_T6_T7_T9_mT8_P12ihipStream_tbDpT10_ENKUlT_T0_E_clISt17integral_constantIbLb0EES19_IbLb1EEEEDaS15_S16_EUlS15_E_NS1_11comp_targetILNS1_3genE8ELNS1_11target_archE1030ELNS1_3gpuE2ELNS1_3repE0EEENS1_30default_config_static_selectorELNS0_4arch9wavefront6targetE1EEEvT1_,comdat
	.globl	_ZN7rocprim17ROCPRIM_400000_NS6detail17trampoline_kernelINS0_14default_configENS1_25partition_config_selectorILNS1_17partition_subalgoE9EllbEEZZNS1_14partition_implILS5_9ELb0ES3_jPlS8_PNS0_10empty_typeENS0_5tupleIJS8_S9_EEENSB_IJS8_SA_EEENS0_18inequality_wrapperIZN2at6native12_GLOBAL__N_124unique_dim_cuda_templateIbEESt5tupleIJNSF_6TensorESK_SK_EERKSK_lbbbEUlllE0_EEPmJS9_EEE10hipError_tPvRmT3_T4_T5_T6_T7_T9_mT8_P12ihipStream_tbDpT10_ENKUlT_T0_E_clISt17integral_constantIbLb0EES19_IbLb1EEEEDaS15_S16_EUlS15_E_NS1_11comp_targetILNS1_3genE8ELNS1_11target_archE1030ELNS1_3gpuE2ELNS1_3repE0EEENS1_30default_config_static_selectorELNS0_4arch9wavefront6targetE1EEEvT1_ ; -- Begin function _ZN7rocprim17ROCPRIM_400000_NS6detail17trampoline_kernelINS0_14default_configENS1_25partition_config_selectorILNS1_17partition_subalgoE9EllbEEZZNS1_14partition_implILS5_9ELb0ES3_jPlS8_PNS0_10empty_typeENS0_5tupleIJS8_S9_EEENSB_IJS8_SA_EEENS0_18inequality_wrapperIZN2at6native12_GLOBAL__N_124unique_dim_cuda_templateIbEESt5tupleIJNSF_6TensorESK_SK_EERKSK_lbbbEUlllE0_EEPmJS9_EEE10hipError_tPvRmT3_T4_T5_T6_T7_T9_mT8_P12ihipStream_tbDpT10_ENKUlT_T0_E_clISt17integral_constantIbLb0EES19_IbLb1EEEEDaS15_S16_EUlS15_E_NS1_11comp_targetILNS1_3genE8ELNS1_11target_archE1030ELNS1_3gpuE2ELNS1_3repE0EEENS1_30default_config_static_selectorELNS0_4arch9wavefront6targetE1EEEvT1_
	.p2align	8
	.type	_ZN7rocprim17ROCPRIM_400000_NS6detail17trampoline_kernelINS0_14default_configENS1_25partition_config_selectorILNS1_17partition_subalgoE9EllbEEZZNS1_14partition_implILS5_9ELb0ES3_jPlS8_PNS0_10empty_typeENS0_5tupleIJS8_S9_EEENSB_IJS8_SA_EEENS0_18inequality_wrapperIZN2at6native12_GLOBAL__N_124unique_dim_cuda_templateIbEESt5tupleIJNSF_6TensorESK_SK_EERKSK_lbbbEUlllE0_EEPmJS9_EEE10hipError_tPvRmT3_T4_T5_T6_T7_T9_mT8_P12ihipStream_tbDpT10_ENKUlT_T0_E_clISt17integral_constantIbLb0EES19_IbLb1EEEEDaS15_S16_EUlS15_E_NS1_11comp_targetILNS1_3genE8ELNS1_11target_archE1030ELNS1_3gpuE2ELNS1_3repE0EEENS1_30default_config_static_selectorELNS0_4arch9wavefront6targetE1EEEvT1_,@function
_ZN7rocprim17ROCPRIM_400000_NS6detail17trampoline_kernelINS0_14default_configENS1_25partition_config_selectorILNS1_17partition_subalgoE9EllbEEZZNS1_14partition_implILS5_9ELb0ES3_jPlS8_PNS0_10empty_typeENS0_5tupleIJS8_S9_EEENSB_IJS8_SA_EEENS0_18inequality_wrapperIZN2at6native12_GLOBAL__N_124unique_dim_cuda_templateIbEESt5tupleIJNSF_6TensorESK_SK_EERKSK_lbbbEUlllE0_EEPmJS9_EEE10hipError_tPvRmT3_T4_T5_T6_T7_T9_mT8_P12ihipStream_tbDpT10_ENKUlT_T0_E_clISt17integral_constantIbLb0EES19_IbLb1EEEEDaS15_S16_EUlS15_E_NS1_11comp_targetILNS1_3genE8ELNS1_11target_archE1030ELNS1_3gpuE2ELNS1_3repE0EEENS1_30default_config_static_selectorELNS0_4arch9wavefront6targetE1EEEvT1_: ; @_ZN7rocprim17ROCPRIM_400000_NS6detail17trampoline_kernelINS0_14default_configENS1_25partition_config_selectorILNS1_17partition_subalgoE9EllbEEZZNS1_14partition_implILS5_9ELb0ES3_jPlS8_PNS0_10empty_typeENS0_5tupleIJS8_S9_EEENSB_IJS8_SA_EEENS0_18inequality_wrapperIZN2at6native12_GLOBAL__N_124unique_dim_cuda_templateIbEESt5tupleIJNSF_6TensorESK_SK_EERKSK_lbbbEUlllE0_EEPmJS9_EEE10hipError_tPvRmT3_T4_T5_T6_T7_T9_mT8_P12ihipStream_tbDpT10_ENKUlT_T0_E_clISt17integral_constantIbLb0EES19_IbLb1EEEEDaS15_S16_EUlS15_E_NS1_11comp_targetILNS1_3genE8ELNS1_11target_archE1030ELNS1_3gpuE2ELNS1_3repE0EEENS1_30default_config_static_selectorELNS0_4arch9wavefront6targetE1EEEvT1_
; %bb.0:
	.section	.rodata,"a",@progbits
	.p2align	6, 0x0
	.amdhsa_kernel _ZN7rocprim17ROCPRIM_400000_NS6detail17trampoline_kernelINS0_14default_configENS1_25partition_config_selectorILNS1_17partition_subalgoE9EllbEEZZNS1_14partition_implILS5_9ELb0ES3_jPlS8_PNS0_10empty_typeENS0_5tupleIJS8_S9_EEENSB_IJS8_SA_EEENS0_18inequality_wrapperIZN2at6native12_GLOBAL__N_124unique_dim_cuda_templateIbEESt5tupleIJNSF_6TensorESK_SK_EERKSK_lbbbEUlllE0_EEPmJS9_EEE10hipError_tPvRmT3_T4_T5_T6_T7_T9_mT8_P12ihipStream_tbDpT10_ENKUlT_T0_E_clISt17integral_constantIbLb0EES19_IbLb1EEEEDaS15_S16_EUlS15_E_NS1_11comp_targetILNS1_3genE8ELNS1_11target_archE1030ELNS1_3gpuE2ELNS1_3repE0EEENS1_30default_config_static_selectorELNS0_4arch9wavefront6targetE1EEEvT1_
		.amdhsa_group_segment_fixed_size 0
		.amdhsa_private_segment_fixed_size 0
		.amdhsa_kernarg_size 136
		.amdhsa_user_sgpr_count 2
		.amdhsa_user_sgpr_dispatch_ptr 0
		.amdhsa_user_sgpr_queue_ptr 0
		.amdhsa_user_sgpr_kernarg_segment_ptr 1
		.amdhsa_user_sgpr_dispatch_id 0
		.amdhsa_user_sgpr_kernarg_preload_length 0
		.amdhsa_user_sgpr_kernarg_preload_offset 0
		.amdhsa_user_sgpr_private_segment_size 0
		.amdhsa_uses_dynamic_stack 0
		.amdhsa_enable_private_segment 0
		.amdhsa_system_sgpr_workgroup_id_x 1
		.amdhsa_system_sgpr_workgroup_id_y 0
		.amdhsa_system_sgpr_workgroup_id_z 0
		.amdhsa_system_sgpr_workgroup_info 0
		.amdhsa_system_vgpr_workitem_id 0
		.amdhsa_next_free_vgpr 1
		.amdhsa_next_free_sgpr 0
		.amdhsa_accum_offset 4
		.amdhsa_reserve_vcc 0
		.amdhsa_float_round_mode_32 0
		.amdhsa_float_round_mode_16_64 0
		.amdhsa_float_denorm_mode_32 3
		.amdhsa_float_denorm_mode_16_64 3
		.amdhsa_dx10_clamp 1
		.amdhsa_ieee_mode 1
		.amdhsa_fp16_overflow 0
		.amdhsa_tg_split 0
		.amdhsa_exception_fp_ieee_invalid_op 0
		.amdhsa_exception_fp_denorm_src 0
		.amdhsa_exception_fp_ieee_div_zero 0
		.amdhsa_exception_fp_ieee_overflow 0
		.amdhsa_exception_fp_ieee_underflow 0
		.amdhsa_exception_fp_ieee_inexact 0
		.amdhsa_exception_int_div_zero 0
	.end_amdhsa_kernel
	.section	.text._ZN7rocprim17ROCPRIM_400000_NS6detail17trampoline_kernelINS0_14default_configENS1_25partition_config_selectorILNS1_17partition_subalgoE9EllbEEZZNS1_14partition_implILS5_9ELb0ES3_jPlS8_PNS0_10empty_typeENS0_5tupleIJS8_S9_EEENSB_IJS8_SA_EEENS0_18inequality_wrapperIZN2at6native12_GLOBAL__N_124unique_dim_cuda_templateIbEESt5tupleIJNSF_6TensorESK_SK_EERKSK_lbbbEUlllE0_EEPmJS9_EEE10hipError_tPvRmT3_T4_T5_T6_T7_T9_mT8_P12ihipStream_tbDpT10_ENKUlT_T0_E_clISt17integral_constantIbLb0EES19_IbLb1EEEEDaS15_S16_EUlS15_E_NS1_11comp_targetILNS1_3genE8ELNS1_11target_archE1030ELNS1_3gpuE2ELNS1_3repE0EEENS1_30default_config_static_selectorELNS0_4arch9wavefront6targetE1EEEvT1_,"axG",@progbits,_ZN7rocprim17ROCPRIM_400000_NS6detail17trampoline_kernelINS0_14default_configENS1_25partition_config_selectorILNS1_17partition_subalgoE9EllbEEZZNS1_14partition_implILS5_9ELb0ES3_jPlS8_PNS0_10empty_typeENS0_5tupleIJS8_S9_EEENSB_IJS8_SA_EEENS0_18inequality_wrapperIZN2at6native12_GLOBAL__N_124unique_dim_cuda_templateIbEESt5tupleIJNSF_6TensorESK_SK_EERKSK_lbbbEUlllE0_EEPmJS9_EEE10hipError_tPvRmT3_T4_T5_T6_T7_T9_mT8_P12ihipStream_tbDpT10_ENKUlT_T0_E_clISt17integral_constantIbLb0EES19_IbLb1EEEEDaS15_S16_EUlS15_E_NS1_11comp_targetILNS1_3genE8ELNS1_11target_archE1030ELNS1_3gpuE2ELNS1_3repE0EEENS1_30default_config_static_selectorELNS0_4arch9wavefront6targetE1EEEvT1_,comdat
.Lfunc_end1114:
	.size	_ZN7rocprim17ROCPRIM_400000_NS6detail17trampoline_kernelINS0_14default_configENS1_25partition_config_selectorILNS1_17partition_subalgoE9EllbEEZZNS1_14partition_implILS5_9ELb0ES3_jPlS8_PNS0_10empty_typeENS0_5tupleIJS8_S9_EEENSB_IJS8_SA_EEENS0_18inequality_wrapperIZN2at6native12_GLOBAL__N_124unique_dim_cuda_templateIbEESt5tupleIJNSF_6TensorESK_SK_EERKSK_lbbbEUlllE0_EEPmJS9_EEE10hipError_tPvRmT3_T4_T5_T6_T7_T9_mT8_P12ihipStream_tbDpT10_ENKUlT_T0_E_clISt17integral_constantIbLb0EES19_IbLb1EEEEDaS15_S16_EUlS15_E_NS1_11comp_targetILNS1_3genE8ELNS1_11target_archE1030ELNS1_3gpuE2ELNS1_3repE0EEENS1_30default_config_static_selectorELNS0_4arch9wavefront6targetE1EEEvT1_, .Lfunc_end1114-_ZN7rocprim17ROCPRIM_400000_NS6detail17trampoline_kernelINS0_14default_configENS1_25partition_config_selectorILNS1_17partition_subalgoE9EllbEEZZNS1_14partition_implILS5_9ELb0ES3_jPlS8_PNS0_10empty_typeENS0_5tupleIJS8_S9_EEENSB_IJS8_SA_EEENS0_18inequality_wrapperIZN2at6native12_GLOBAL__N_124unique_dim_cuda_templateIbEESt5tupleIJNSF_6TensorESK_SK_EERKSK_lbbbEUlllE0_EEPmJS9_EEE10hipError_tPvRmT3_T4_T5_T6_T7_T9_mT8_P12ihipStream_tbDpT10_ENKUlT_T0_E_clISt17integral_constantIbLb0EES19_IbLb1EEEEDaS15_S16_EUlS15_E_NS1_11comp_targetILNS1_3genE8ELNS1_11target_archE1030ELNS1_3gpuE2ELNS1_3repE0EEENS1_30default_config_static_selectorELNS0_4arch9wavefront6targetE1EEEvT1_
                                        ; -- End function
	.set _ZN7rocprim17ROCPRIM_400000_NS6detail17trampoline_kernelINS0_14default_configENS1_25partition_config_selectorILNS1_17partition_subalgoE9EllbEEZZNS1_14partition_implILS5_9ELb0ES3_jPlS8_PNS0_10empty_typeENS0_5tupleIJS8_S9_EEENSB_IJS8_SA_EEENS0_18inequality_wrapperIZN2at6native12_GLOBAL__N_124unique_dim_cuda_templateIbEESt5tupleIJNSF_6TensorESK_SK_EERKSK_lbbbEUlllE0_EEPmJS9_EEE10hipError_tPvRmT3_T4_T5_T6_T7_T9_mT8_P12ihipStream_tbDpT10_ENKUlT_T0_E_clISt17integral_constantIbLb0EES19_IbLb1EEEEDaS15_S16_EUlS15_E_NS1_11comp_targetILNS1_3genE8ELNS1_11target_archE1030ELNS1_3gpuE2ELNS1_3repE0EEENS1_30default_config_static_selectorELNS0_4arch9wavefront6targetE1EEEvT1_.num_vgpr, 0
	.set _ZN7rocprim17ROCPRIM_400000_NS6detail17trampoline_kernelINS0_14default_configENS1_25partition_config_selectorILNS1_17partition_subalgoE9EllbEEZZNS1_14partition_implILS5_9ELb0ES3_jPlS8_PNS0_10empty_typeENS0_5tupleIJS8_S9_EEENSB_IJS8_SA_EEENS0_18inequality_wrapperIZN2at6native12_GLOBAL__N_124unique_dim_cuda_templateIbEESt5tupleIJNSF_6TensorESK_SK_EERKSK_lbbbEUlllE0_EEPmJS9_EEE10hipError_tPvRmT3_T4_T5_T6_T7_T9_mT8_P12ihipStream_tbDpT10_ENKUlT_T0_E_clISt17integral_constantIbLb0EES19_IbLb1EEEEDaS15_S16_EUlS15_E_NS1_11comp_targetILNS1_3genE8ELNS1_11target_archE1030ELNS1_3gpuE2ELNS1_3repE0EEENS1_30default_config_static_selectorELNS0_4arch9wavefront6targetE1EEEvT1_.num_agpr, 0
	.set _ZN7rocprim17ROCPRIM_400000_NS6detail17trampoline_kernelINS0_14default_configENS1_25partition_config_selectorILNS1_17partition_subalgoE9EllbEEZZNS1_14partition_implILS5_9ELb0ES3_jPlS8_PNS0_10empty_typeENS0_5tupleIJS8_S9_EEENSB_IJS8_SA_EEENS0_18inequality_wrapperIZN2at6native12_GLOBAL__N_124unique_dim_cuda_templateIbEESt5tupleIJNSF_6TensorESK_SK_EERKSK_lbbbEUlllE0_EEPmJS9_EEE10hipError_tPvRmT3_T4_T5_T6_T7_T9_mT8_P12ihipStream_tbDpT10_ENKUlT_T0_E_clISt17integral_constantIbLb0EES19_IbLb1EEEEDaS15_S16_EUlS15_E_NS1_11comp_targetILNS1_3genE8ELNS1_11target_archE1030ELNS1_3gpuE2ELNS1_3repE0EEENS1_30default_config_static_selectorELNS0_4arch9wavefront6targetE1EEEvT1_.numbered_sgpr, 0
	.set _ZN7rocprim17ROCPRIM_400000_NS6detail17trampoline_kernelINS0_14default_configENS1_25partition_config_selectorILNS1_17partition_subalgoE9EllbEEZZNS1_14partition_implILS5_9ELb0ES3_jPlS8_PNS0_10empty_typeENS0_5tupleIJS8_S9_EEENSB_IJS8_SA_EEENS0_18inequality_wrapperIZN2at6native12_GLOBAL__N_124unique_dim_cuda_templateIbEESt5tupleIJNSF_6TensorESK_SK_EERKSK_lbbbEUlllE0_EEPmJS9_EEE10hipError_tPvRmT3_T4_T5_T6_T7_T9_mT8_P12ihipStream_tbDpT10_ENKUlT_T0_E_clISt17integral_constantIbLb0EES19_IbLb1EEEEDaS15_S16_EUlS15_E_NS1_11comp_targetILNS1_3genE8ELNS1_11target_archE1030ELNS1_3gpuE2ELNS1_3repE0EEENS1_30default_config_static_selectorELNS0_4arch9wavefront6targetE1EEEvT1_.num_named_barrier, 0
	.set _ZN7rocprim17ROCPRIM_400000_NS6detail17trampoline_kernelINS0_14default_configENS1_25partition_config_selectorILNS1_17partition_subalgoE9EllbEEZZNS1_14partition_implILS5_9ELb0ES3_jPlS8_PNS0_10empty_typeENS0_5tupleIJS8_S9_EEENSB_IJS8_SA_EEENS0_18inequality_wrapperIZN2at6native12_GLOBAL__N_124unique_dim_cuda_templateIbEESt5tupleIJNSF_6TensorESK_SK_EERKSK_lbbbEUlllE0_EEPmJS9_EEE10hipError_tPvRmT3_T4_T5_T6_T7_T9_mT8_P12ihipStream_tbDpT10_ENKUlT_T0_E_clISt17integral_constantIbLb0EES19_IbLb1EEEEDaS15_S16_EUlS15_E_NS1_11comp_targetILNS1_3genE8ELNS1_11target_archE1030ELNS1_3gpuE2ELNS1_3repE0EEENS1_30default_config_static_selectorELNS0_4arch9wavefront6targetE1EEEvT1_.private_seg_size, 0
	.set _ZN7rocprim17ROCPRIM_400000_NS6detail17trampoline_kernelINS0_14default_configENS1_25partition_config_selectorILNS1_17partition_subalgoE9EllbEEZZNS1_14partition_implILS5_9ELb0ES3_jPlS8_PNS0_10empty_typeENS0_5tupleIJS8_S9_EEENSB_IJS8_SA_EEENS0_18inequality_wrapperIZN2at6native12_GLOBAL__N_124unique_dim_cuda_templateIbEESt5tupleIJNSF_6TensorESK_SK_EERKSK_lbbbEUlllE0_EEPmJS9_EEE10hipError_tPvRmT3_T4_T5_T6_T7_T9_mT8_P12ihipStream_tbDpT10_ENKUlT_T0_E_clISt17integral_constantIbLb0EES19_IbLb1EEEEDaS15_S16_EUlS15_E_NS1_11comp_targetILNS1_3genE8ELNS1_11target_archE1030ELNS1_3gpuE2ELNS1_3repE0EEENS1_30default_config_static_selectorELNS0_4arch9wavefront6targetE1EEEvT1_.uses_vcc, 0
	.set _ZN7rocprim17ROCPRIM_400000_NS6detail17trampoline_kernelINS0_14default_configENS1_25partition_config_selectorILNS1_17partition_subalgoE9EllbEEZZNS1_14partition_implILS5_9ELb0ES3_jPlS8_PNS0_10empty_typeENS0_5tupleIJS8_S9_EEENSB_IJS8_SA_EEENS0_18inequality_wrapperIZN2at6native12_GLOBAL__N_124unique_dim_cuda_templateIbEESt5tupleIJNSF_6TensorESK_SK_EERKSK_lbbbEUlllE0_EEPmJS9_EEE10hipError_tPvRmT3_T4_T5_T6_T7_T9_mT8_P12ihipStream_tbDpT10_ENKUlT_T0_E_clISt17integral_constantIbLb0EES19_IbLb1EEEEDaS15_S16_EUlS15_E_NS1_11comp_targetILNS1_3genE8ELNS1_11target_archE1030ELNS1_3gpuE2ELNS1_3repE0EEENS1_30default_config_static_selectorELNS0_4arch9wavefront6targetE1EEEvT1_.uses_flat_scratch, 0
	.set _ZN7rocprim17ROCPRIM_400000_NS6detail17trampoline_kernelINS0_14default_configENS1_25partition_config_selectorILNS1_17partition_subalgoE9EllbEEZZNS1_14partition_implILS5_9ELb0ES3_jPlS8_PNS0_10empty_typeENS0_5tupleIJS8_S9_EEENSB_IJS8_SA_EEENS0_18inequality_wrapperIZN2at6native12_GLOBAL__N_124unique_dim_cuda_templateIbEESt5tupleIJNSF_6TensorESK_SK_EERKSK_lbbbEUlllE0_EEPmJS9_EEE10hipError_tPvRmT3_T4_T5_T6_T7_T9_mT8_P12ihipStream_tbDpT10_ENKUlT_T0_E_clISt17integral_constantIbLb0EES19_IbLb1EEEEDaS15_S16_EUlS15_E_NS1_11comp_targetILNS1_3genE8ELNS1_11target_archE1030ELNS1_3gpuE2ELNS1_3repE0EEENS1_30default_config_static_selectorELNS0_4arch9wavefront6targetE1EEEvT1_.has_dyn_sized_stack, 0
	.set _ZN7rocprim17ROCPRIM_400000_NS6detail17trampoline_kernelINS0_14default_configENS1_25partition_config_selectorILNS1_17partition_subalgoE9EllbEEZZNS1_14partition_implILS5_9ELb0ES3_jPlS8_PNS0_10empty_typeENS0_5tupleIJS8_S9_EEENSB_IJS8_SA_EEENS0_18inequality_wrapperIZN2at6native12_GLOBAL__N_124unique_dim_cuda_templateIbEESt5tupleIJNSF_6TensorESK_SK_EERKSK_lbbbEUlllE0_EEPmJS9_EEE10hipError_tPvRmT3_T4_T5_T6_T7_T9_mT8_P12ihipStream_tbDpT10_ENKUlT_T0_E_clISt17integral_constantIbLb0EES19_IbLb1EEEEDaS15_S16_EUlS15_E_NS1_11comp_targetILNS1_3genE8ELNS1_11target_archE1030ELNS1_3gpuE2ELNS1_3repE0EEENS1_30default_config_static_selectorELNS0_4arch9wavefront6targetE1EEEvT1_.has_recursion, 0
	.set _ZN7rocprim17ROCPRIM_400000_NS6detail17trampoline_kernelINS0_14default_configENS1_25partition_config_selectorILNS1_17partition_subalgoE9EllbEEZZNS1_14partition_implILS5_9ELb0ES3_jPlS8_PNS0_10empty_typeENS0_5tupleIJS8_S9_EEENSB_IJS8_SA_EEENS0_18inequality_wrapperIZN2at6native12_GLOBAL__N_124unique_dim_cuda_templateIbEESt5tupleIJNSF_6TensorESK_SK_EERKSK_lbbbEUlllE0_EEPmJS9_EEE10hipError_tPvRmT3_T4_T5_T6_T7_T9_mT8_P12ihipStream_tbDpT10_ENKUlT_T0_E_clISt17integral_constantIbLb0EES19_IbLb1EEEEDaS15_S16_EUlS15_E_NS1_11comp_targetILNS1_3genE8ELNS1_11target_archE1030ELNS1_3gpuE2ELNS1_3repE0EEENS1_30default_config_static_selectorELNS0_4arch9wavefront6targetE1EEEvT1_.has_indirect_call, 0
	.section	.AMDGPU.csdata,"",@progbits
; Kernel info:
; codeLenInByte = 0
; TotalNumSgprs: 6
; NumVgprs: 0
; NumAgprs: 0
; TotalNumVgprs: 0
; ScratchSize: 0
; MemoryBound: 0
; FloatMode: 240
; IeeeMode: 1
; LDSByteSize: 0 bytes/workgroup (compile time only)
; SGPRBlocks: 0
; VGPRBlocks: 0
; NumSGPRsForWavesPerEU: 6
; NumVGPRsForWavesPerEU: 1
; AccumOffset: 4
; Occupancy: 8
; WaveLimiterHint : 0
; COMPUTE_PGM_RSRC2:SCRATCH_EN: 0
; COMPUTE_PGM_RSRC2:USER_SGPR: 2
; COMPUTE_PGM_RSRC2:TRAP_HANDLER: 0
; COMPUTE_PGM_RSRC2:TGID_X_EN: 1
; COMPUTE_PGM_RSRC2:TGID_Y_EN: 0
; COMPUTE_PGM_RSRC2:TGID_Z_EN: 0
; COMPUTE_PGM_RSRC2:TIDIG_COMP_CNT: 0
; COMPUTE_PGM_RSRC3_GFX90A:ACCUM_OFFSET: 0
; COMPUTE_PGM_RSRC3_GFX90A:TG_SPLIT: 0
	.text
	.p2align	2                               ; -- Begin function _ZN7rocprim17ROCPRIM_400000_NS6detail15block_sort_implIlNS0_10empty_typeELj256ELj8ELNS0_4arch9wavefront6targetE1EvE4sortIPlS9_PS3_SA_ZN2at6native12_GLOBAL__N_124unique_dim_cuda_templateIN3c108BFloat16EEESt5tupleIJNSB_6TensorESI_SI_EERKSI_lbbbEUlllE_EEvjbT_T0_T1_T2_T3_RNS7_12storage_typeE
	.type	_ZN7rocprim17ROCPRIM_400000_NS6detail15block_sort_implIlNS0_10empty_typeELj256ELj8ELNS0_4arch9wavefront6targetE1EvE4sortIPlS9_PS3_SA_ZN2at6native12_GLOBAL__N_124unique_dim_cuda_templateIN3c108BFloat16EEESt5tupleIJNSB_6TensorESI_SI_EERKSI_lbbbEUlllE_EEvjbT_T0_T1_T2_T3_RNS7_12storage_typeE,@function
_ZN7rocprim17ROCPRIM_400000_NS6detail15block_sort_implIlNS0_10empty_typeELj256ELj8ELNS0_4arch9wavefront6targetE1EvE4sortIPlS9_PS3_SA_ZN2at6native12_GLOBAL__N_124unique_dim_cuda_templateIN3c108BFloat16EEESt5tupleIJNSB_6TensorESI_SI_EERKSI_lbbbEUlllE_EEvjbT_T0_T1_T2_T3_RNS7_12storage_typeE: ; @_ZN7rocprim17ROCPRIM_400000_NS6detail15block_sort_implIlNS0_10empty_typeELj256ELj8ELNS0_4arch9wavefront6targetE1EvE4sortIPlS9_PS3_SA_ZN2at6native12_GLOBAL__N_124unique_dim_cuda_templateIN3c108BFloat16EEESt5tupleIJNSB_6TensorESI_SI_EERKSI_lbbbEUlllE_EEvjbT_T0_T1_T2_T3_RNS7_12storage_typeE
; %bb.0:
	s_waitcnt vmcnt(0) expcnt(0) lgkmcnt(0)
	s_or_saveexec_b64 s[0:1], -1
	scratch_store_dword off, v40, s32       ; 4-byte Folded Spill
	s_mov_b64 exec, s[0:1]
	v_writelane_b32 v40, s34, 0
	v_writelane_b32 v40, s35, 1
	v_writelane_b32 v40, s36, 2
	v_writelane_b32 v40, s30, 3
	s_nop 1
	v_writelane_b32 v40, s31, 4
	v_and_b32_e32 v1, 1, v1
	v_and_b32_e32 v26, 0x3ff, v31
	v_cmp_ne_u32_e32 vcc, 1, v1
	s_mov_b64 s[24:25], 0
	v_bfe_u32 v30, v31, 10, 10
	v_bfe_u32 v31, v31, 20, 10
	v_lshlrev_b32_e32 v28, 3, v26
	v_lshrrev_b32_e32 v1, 5, v26
	v_lshrrev_b32_e32 v10, 2, v26
                                        ; implicit-def: $vgpr16_vgpr17
	s_and_saveexec_b64 s[0:1], vcc
	s_xor_b64 s[10:11], exec, s[0:1]
	s_cbranch_execnz .LBB1115_5
; %bb.1:
	s_andn2_saveexec_b64 s[26:27], s[10:11]
	s_cbranch_execnz .LBB1115_737
.LBB1115_2:
	s_or_b64 exec, exec, s[26:27]
	s_and_saveexec_b64 s[0:1], s[24:25]
	s_cbranch_execz .LBB1115_4
.LBB1115_3:
	s_waitcnt lgkmcnt(0)
	v_lshl_add_u64 v[0:1], v[26:27], 3, v[4:5]
	v_add_co_u32_e32 v0, vcc, 0x3000, v0
	s_nop 1
	v_addc_co_u32_e32 v1, vcc, 0, v1, vcc
	flat_store_dwordx2 v[0:1], v[16:17] offset:2048
.LBB1115_4:
	s_or_b64 exec, exec, s[0:1]
	v_readlane_b32 s30, v40, 3
	v_readlane_b32 s31, v40, 4
	;; [unrolled: 1-line block ×5, first 2 shown]
	s_or_saveexec_b64 s[0:1], -1
	scratch_load_dword v40, off, s32        ; 4-byte Folded Reload
	s_mov_b64 exec, s[0:1]
	s_waitcnt vmcnt(0) lgkmcnt(0)
	s_setpc_b64 s[30:31]
.LBB1115_5:
	v_mov_b32_e32 v27, 0
	v_mov_b32_e32 v29, v27
	v_lshl_add_u64 v[2:3], v[2:3], 0, v[28:29]
	v_add_co_u32_e32 v12, vcc, 0x1000, v2
	v_add_lshl_u32 v29, v1, v26, 3
	s_nop 0
	v_addc_co_u32_e32 v13, vcc, 0, v3, vcc
	flat_load_dwordx2 v[14:15], v[2:3]
	flat_load_dwordx2 v[16:17], v[2:3] offset:2048
	flat_load_dwordx2 v[18:19], v[12:13]
	flat_load_dwordx2 v[20:21], v[12:13] offset:2048
	v_add_co_u32_e32 v12, vcc, 0x2000, v2
	v_add_u32_e32 v0, 0x100, v26
	s_nop 0
	v_addc_co_u32_e32 v13, vcc, 0, v3, vcc
	v_add_co_u32_e32 v2, vcc, 0x3000, v2
	v_add_u32_e32 v1, 0x200, v26
	s_nop 0
	v_addc_co_u32_e32 v3, vcc, 0, v3, vcc
	flat_load_dwordx2 v[22:23], v[12:13]
	flat_load_dwordx2 v[24:25], v[12:13] offset:2048
	flat_load_dwordx2 v[34:35], v[2:3]
	flat_load_dwordx2 v[36:37], v[2:3] offset:2048
	v_add_u32_e32 v2, 0x300, v26
	v_or_b32_e32 v3, 0x400, v26
	v_add_u32_e32 v11, 0x500, v26
	v_add_u32_e32 v12, 0x600, v26
	;; [unrolled: 1-line block ×3, first 2 shown]
	v_add_lshl_u32 v54, v10, v28, 3
	v_lshrrev_b32_e32 v0, 5, v0
	v_lshrrev_b32_e32 v10, 5, v1
	;; [unrolled: 1-line block ×7, first 2 shown]
	v_add_lshl_u32 v32, v0, v26, 3
	v_add_lshl_u32 v48, v10, v1, 3
	;; [unrolled: 1-line block ×7, first 2 shown]
	v_cmp_lt_i64_e32 vcc, 0, v[6:7]
	s_waitcnt vmcnt(0) lgkmcnt(0)
	ds_write_b64 v29, v[14:15]
	ds_write_b64 v32, v[16:17] offset:2048
	ds_write_b64 v48, v[18:19]
	ds_write_b64 v49, v[20:21]
	;; [unrolled: 1-line block ×6, first 2 shown]
	s_waitcnt lgkmcnt(0)
	s_barrier
	ds_read2_b64 v[18:21], v54 offset1:1
	ds_read2_b64 v[14:17], v54 offset0:2 offset1:3
	ds_read2_b64 v[10:13], v54 offset0:4 offset1:5
	;; [unrolled: 1-line block ×3, first 2 shown]
	s_waitcnt lgkmcnt(0)
	s_barrier
	s_load_dwordx2 s[0:1], s[8:9], 0x0
	s_waitcnt lgkmcnt(0)
	s_cmp_lt_u32 s12, s0
	s_cselect_b32 s2, 12, 18
	s_cmp_lt_u32 s13, s1
	s_cselect_b32 s0, 14, 20
	s_add_u32 s0, s8, s0
	s_addc_u32 s1, s9, 0
	s_add_u32 s2, s8, s2
	s_addc_u32 s3, s9, 0
	global_load_ushort v22, v27, s[0:1]
	global_load_ushort v23, v27, s[2:3]
	s_movk_i32 s0, 0x800
	s_waitcnt vmcnt(1)
	v_mad_u32_u24 v22, v31, v22, v30
	s_waitcnt vmcnt(0)
	v_mul_lo_u32 v22, v22, v23
	v_add_lshl_u32 v33, v22, v26, 3
	v_cmp_gt_u32_e64 s[0:1], s0, v33
	s_and_saveexec_b64 s[2:3], s[0:1]
	s_cbranch_execz .LBB1115_253
; %bb.6:
	s_and_saveexec_b64 s[4:5], vcc
	s_cbranch_execnz .LBB1115_17
; %bb.7:
	s_or_b64 exec, exec, s[4:5]
	s_and_saveexec_b64 s[4:5], vcc
	s_cbranch_execnz .LBB1115_34
.LBB1115_8:
	s_or_b64 exec, exec, s[4:5]
	s_and_saveexec_b64 s[0:1], vcc
	s_xor_b64 s[4:5], exec, s[0:1]
	s_cbranch_execnz .LBB1115_51
.LBB1115_9:
	s_or_b64 exec, exec, s[4:5]
	s_and_saveexec_b64 s[4:5], vcc
	s_cbranch_execnz .LBB1115_68
.LBB1115_10:
	s_or_b64 exec, exec, s[4:5]
	s_and_saveexec_b64 s[4:5], vcc
	s_cbranch_execnz .LBB1115_85
.LBB1115_11:
	s_or_b64 exec, exec, s[4:5]
	s_and_saveexec_b64 s[4:5], vcc
	s_cbranch_execnz .LBB1115_102
.LBB1115_12:
	s_or_b64 exec, exec, s[4:5]
	s_and_saveexec_b64 s[4:5], vcc
	s_cbranch_execnz .LBB1115_119
.LBB1115_13:
	s_or_b64 exec, exec, s[4:5]
	s_and_saveexec_b64 s[4:5], vcc
	s_cbranch_execnz .LBB1115_136
.LBB1115_14:
	s_or_b64 exec, exec, s[4:5]
	s_and_saveexec_b64 s[4:5], vcc
	s_cbranch_execnz .LBB1115_153
.LBB1115_15:
	s_or_b64 exec, exec, s[4:5]
	s_and_saveexec_b64 s[4:5], vcc
	s_cbranch_execnz .LBB1115_170
.LBB1115_16:
	s_or_b64 exec, exec, s[4:5]
	s_and_saveexec_b64 s[4:5], vcc
	s_cbranch_execnz .LBB1115_187
	s_branch .LBB1115_252
.LBB1115_17:
	v_mul_lo_u32 v24, v19, v6
	v_mul_lo_u32 v25, v18, v7
	v_mad_u64_u32 v[22:23], s[0:1], v18, v6, 0
	v_add3_u32 v23, v23, v25, v24
	v_mul_lo_u32 v30, v21, v6
	v_mul_lo_u32 v31, v20, v7
	v_mad_u64_u32 v[24:25], s[0:1], v20, v6, 0
	v_add3_u32 v25, v25, v31, v30
	v_lshl_add_u64 v[22:23], v[22:23], 1, v[8:9]
	v_lshl_add_u64 v[24:25], v[24:25], 1, v[8:9]
	s_mov_b64 s[14:15], 0
	v_mov_b64_e32 v[30:31], v[6:7]
                                        ; implicit-def: $sgpr6_sgpr7
                                        ; implicit-def: $sgpr16_sgpr17
                                        ; implicit-def: $sgpr18_sgpr19
                                        ; implicit-def: $sgpr20_sgpr21
                                        ; implicit-def: $sgpr22_sgpr23
	s_branch .LBB1115_19
.LBB1115_18:                            ;   in Loop: Header=BB1115_19 Depth=1
	s_or_b64 exec, exec, s[22:23]
	s_and_b64 s[0:1], exec, s[0:1]
	s_or_b64 s[14:15], s[0:1], s[14:15]
	s_andn2_b64 s[0:1], s[16:17], exec
	s_and_b64 s[16:17], s[18:19], exec
	s_or_b64 s[16:17], s[0:1], s[16:17]
	s_andn2_b64 s[0:1], s[6:7], exec
	s_and_b64 s[6:7], s[20:21], exec
	s_or_b64 s[6:7], s[0:1], s[6:7]
	s_mov_b64 s[22:23], s[20:21]
	s_andn2_b64 exec, exec, s[14:15]
	s_cbranch_execz .LBB1115_23
.LBB1115_19:                            ; =>This Inner Loop Header: Depth=1
	flat_load_ushort v34, v[24:25]
	flat_load_ushort v35, v[22:23]
	s_or_b64 s[20:21], s[20:21], exec
	s_mov_b64 s[24:25], 0
	s_waitcnt vmcnt(0) lgkmcnt(0)
	v_lshlrev_b32_e32 v34, 16, v34
	v_lshlrev_b32_e32 v35, 16, v35
	v_cmp_nlt_f32_e64 s[0:1], v34, v35
	s_and_saveexec_b64 s[26:27], s[0:1]
; %bb.20:                               ;   in Loop: Header=BB1115_19 Depth=1
	v_cmp_ngt_f32_e64 s[0:1], v34, v35
	s_and_b64 s[22:23], s[0:1], s[22:23]
	s_andn2_b64 s[20:21], s[20:21], exec
	s_and_b64 s[22:23], s[22:23], exec
	s_or_b64 s[20:21], s[20:21], s[22:23]
	s_and_b64 s[24:25], s[0:1], exec
; %bb.21:                               ;   in Loop: Header=BB1115_19 Depth=1
	s_or_b64 exec, exec, s[26:27]
	s_mov_b64 s[0:1], -1
	s_or_b64 s[18:19], s[18:19], exec
	s_and_saveexec_b64 s[22:23], s[24:25]
	s_cbranch_execz .LBB1115_18
; %bb.22:                               ;   in Loop: Header=BB1115_19 Depth=1
	v_lshl_add_u64 v[30:31], v[30:31], 0, -1
	v_cmp_eq_u64_e64 s[0:1], 0, v[30:31]
	v_lshl_add_u64 v[22:23], v[22:23], 0, 2
	v_lshl_add_u64 v[24:25], v[24:25], 0, 2
	s_andn2_b64 s[18:19], s[18:19], exec
	s_orn2_b64 s[0:1], s[0:1], exec
	s_branch .LBB1115_18
.LBB1115_23:
	s_or_b64 exec, exec, s[14:15]
	s_and_saveexec_b64 s[0:1], s[16:17]
	s_xor_b64 s[0:1], exec, s[0:1]
; %bb.24:
	v_cndmask_b32_e64 v23, v21, v19, s[6:7]
	v_cndmask_b32_e64 v22, v20, v18, s[6:7]
	;; [unrolled: 1-line block ×4, first 2 shown]
	v_mov_b64_e32 v[20:21], v[22:23]
; %bb.25:
	s_or_b64 exec, exec, s[0:1]
	v_mul_lo_u32 v24, v15, v6
	v_mul_lo_u32 v25, v14, v7
	v_mad_u64_u32 v[22:23], s[0:1], v14, v6, 0
	v_add3_u32 v23, v23, v25, v24
	v_mul_lo_u32 v30, v17, v6
	v_mul_lo_u32 v31, v16, v7
	v_mad_u64_u32 v[24:25], s[0:1], v16, v6, 0
	v_add3_u32 v25, v25, v31, v30
	v_lshl_add_u64 v[22:23], v[22:23], 1, v[8:9]
	v_lshl_add_u64 v[24:25], v[24:25], 1, v[8:9]
	s_mov_b64 s[16:17], 0
	v_mov_b64_e32 v[30:31], v[6:7]
                                        ; implicit-def: $sgpr6_sgpr7
                                        ; implicit-def: $sgpr14_sgpr15
                                        ; implicit-def: $sgpr18_sgpr19
                                        ; implicit-def: $sgpr20_sgpr21
                                        ; implicit-def: $sgpr22_sgpr23
	s_branch .LBB1115_27
.LBB1115_26:                            ;   in Loop: Header=BB1115_27 Depth=1
	s_or_b64 exec, exec, s[22:23]
	s_and_b64 s[0:1], exec, s[0:1]
	s_or_b64 s[16:17], s[0:1], s[16:17]
	s_andn2_b64 s[0:1], s[14:15], exec
	s_and_b64 s[14:15], s[18:19], exec
	s_or_b64 s[14:15], s[0:1], s[14:15]
	s_andn2_b64 s[0:1], s[6:7], exec
	s_and_b64 s[6:7], s[20:21], exec
	s_or_b64 s[6:7], s[0:1], s[6:7]
	s_mov_b64 s[22:23], s[20:21]
	s_andn2_b64 exec, exec, s[16:17]
	s_cbranch_execz .LBB1115_31
.LBB1115_27:                            ; =>This Inner Loop Header: Depth=1
	flat_load_ushort v34, v[24:25]
	flat_load_ushort v35, v[22:23]
	s_or_b64 s[20:21], s[20:21], exec
	s_mov_b64 s[24:25], 0
	s_waitcnt vmcnt(0) lgkmcnt(0)
	v_lshlrev_b32_e32 v34, 16, v34
	v_lshlrev_b32_e32 v35, 16, v35
	v_cmp_nlt_f32_e64 s[0:1], v34, v35
	s_and_saveexec_b64 s[26:27], s[0:1]
; %bb.28:                               ;   in Loop: Header=BB1115_27 Depth=1
	v_cmp_ngt_f32_e64 s[0:1], v34, v35
	s_and_b64 s[22:23], s[0:1], s[22:23]
	s_andn2_b64 s[20:21], s[20:21], exec
	s_and_b64 s[22:23], s[22:23], exec
	s_or_b64 s[20:21], s[20:21], s[22:23]
	s_and_b64 s[24:25], s[0:1], exec
; %bb.29:                               ;   in Loop: Header=BB1115_27 Depth=1
	s_or_b64 exec, exec, s[26:27]
	s_mov_b64 s[0:1], -1
	s_or_b64 s[18:19], s[18:19], exec
	s_and_saveexec_b64 s[22:23], s[24:25]
	s_cbranch_execz .LBB1115_26
; %bb.30:                               ;   in Loop: Header=BB1115_27 Depth=1
	v_lshl_add_u64 v[30:31], v[30:31], 0, -1
	v_cmp_eq_u64_e64 s[0:1], 0, v[30:31]
	v_lshl_add_u64 v[22:23], v[22:23], 0, 2
	v_lshl_add_u64 v[24:25], v[24:25], 0, 2
	s_andn2_b64 s[18:19], s[18:19], exec
	s_orn2_b64 s[0:1], s[0:1], exec
	s_branch .LBB1115_26
.LBB1115_31:
	s_or_b64 exec, exec, s[16:17]
	s_and_saveexec_b64 s[0:1], s[14:15]
	s_xor_b64 s[0:1], exec, s[0:1]
; %bb.32:
	v_cndmask_b32_e64 v23, v15, v17, s[6:7]
	v_cndmask_b32_e64 v22, v14, v16, s[6:7]
	;; [unrolled: 1-line block ×4, first 2 shown]
	v_mov_b64_e32 v[14:15], v[22:23]
; %bb.33:
	s_or_b64 exec, exec, s[0:1]
	s_or_b64 exec, exec, s[4:5]
	s_and_saveexec_b64 s[4:5], vcc
	s_cbranch_execz .LBB1115_8
.LBB1115_34:
	v_mul_lo_u32 v24, v11, v6
	v_mul_lo_u32 v25, v10, v7
	v_mad_u64_u32 v[22:23], s[0:1], v10, v6, 0
	v_add3_u32 v23, v23, v25, v24
	v_mul_lo_u32 v30, v13, v6
	v_mul_lo_u32 v31, v12, v7
	v_mad_u64_u32 v[24:25], s[0:1], v12, v6, 0
	v_add3_u32 v25, v25, v31, v30
	v_lshl_add_u64 v[22:23], v[22:23], 1, v[8:9]
	v_lshl_add_u64 v[24:25], v[24:25], 1, v[8:9]
	s_mov_b64 s[14:15], 0
	v_mov_b64_e32 v[30:31], v[6:7]
                                        ; implicit-def: $sgpr6_sgpr7
                                        ; implicit-def: $sgpr16_sgpr17
                                        ; implicit-def: $sgpr18_sgpr19
                                        ; implicit-def: $sgpr20_sgpr21
                                        ; implicit-def: $sgpr22_sgpr23
	s_branch .LBB1115_36
.LBB1115_35:                            ;   in Loop: Header=BB1115_36 Depth=1
	s_or_b64 exec, exec, s[22:23]
	s_and_b64 s[0:1], exec, s[0:1]
	s_or_b64 s[14:15], s[0:1], s[14:15]
	s_andn2_b64 s[0:1], s[16:17], exec
	s_and_b64 s[16:17], s[18:19], exec
	s_or_b64 s[16:17], s[0:1], s[16:17]
	s_andn2_b64 s[0:1], s[6:7], exec
	s_and_b64 s[6:7], s[20:21], exec
	s_or_b64 s[6:7], s[0:1], s[6:7]
	s_mov_b64 s[22:23], s[20:21]
	s_andn2_b64 exec, exec, s[14:15]
	s_cbranch_execz .LBB1115_40
.LBB1115_36:                            ; =>This Inner Loop Header: Depth=1
	flat_load_ushort v34, v[24:25]
	flat_load_ushort v35, v[22:23]
	s_or_b64 s[20:21], s[20:21], exec
	s_mov_b64 s[24:25], 0
	s_waitcnt vmcnt(0) lgkmcnt(0)
	v_lshlrev_b32_e32 v34, 16, v34
	v_lshlrev_b32_e32 v35, 16, v35
	v_cmp_nlt_f32_e64 s[0:1], v34, v35
	s_and_saveexec_b64 s[26:27], s[0:1]
; %bb.37:                               ;   in Loop: Header=BB1115_36 Depth=1
	v_cmp_ngt_f32_e64 s[0:1], v34, v35
	s_and_b64 s[22:23], s[0:1], s[22:23]
	s_andn2_b64 s[20:21], s[20:21], exec
	s_and_b64 s[22:23], s[22:23], exec
	s_or_b64 s[20:21], s[20:21], s[22:23]
	s_and_b64 s[24:25], s[0:1], exec
; %bb.38:                               ;   in Loop: Header=BB1115_36 Depth=1
	s_or_b64 exec, exec, s[26:27]
	s_mov_b64 s[0:1], -1
	s_or_b64 s[18:19], s[18:19], exec
	s_and_saveexec_b64 s[22:23], s[24:25]
	s_cbranch_execz .LBB1115_35
; %bb.39:                               ;   in Loop: Header=BB1115_36 Depth=1
	v_lshl_add_u64 v[30:31], v[30:31], 0, -1
	v_cmp_eq_u64_e64 s[0:1], 0, v[30:31]
	v_lshl_add_u64 v[22:23], v[22:23], 0, 2
	v_lshl_add_u64 v[24:25], v[24:25], 0, 2
	s_andn2_b64 s[18:19], s[18:19], exec
	s_orn2_b64 s[0:1], s[0:1], exec
	s_branch .LBB1115_35
.LBB1115_40:
	s_or_b64 exec, exec, s[14:15]
	s_and_saveexec_b64 s[0:1], s[16:17]
	s_xor_b64 s[0:1], exec, s[0:1]
; %bb.41:
	v_cndmask_b32_e64 v23, v11, v13, s[6:7]
	v_cndmask_b32_e64 v22, v10, v12, s[6:7]
	;; [unrolled: 1-line block ×4, first 2 shown]
	v_mov_b64_e32 v[10:11], v[22:23]
; %bb.42:
	s_or_b64 exec, exec, s[0:1]
	v_mul_lo_u32 v24, v1, v6
	v_mul_lo_u32 v25, v0, v7
	v_mad_u64_u32 v[22:23], s[0:1], v0, v6, 0
	v_add3_u32 v23, v23, v25, v24
	v_mul_lo_u32 v30, v3, v6
	v_mul_lo_u32 v31, v2, v7
	v_mad_u64_u32 v[24:25], s[0:1], v2, v6, 0
	v_add3_u32 v25, v25, v31, v30
	v_lshl_add_u64 v[22:23], v[22:23], 1, v[8:9]
	v_lshl_add_u64 v[24:25], v[24:25], 1, v[8:9]
	s_mov_b64 s[16:17], 0
	v_mov_b64_e32 v[30:31], v[6:7]
                                        ; implicit-def: $sgpr6_sgpr7
                                        ; implicit-def: $sgpr14_sgpr15
                                        ; implicit-def: $sgpr18_sgpr19
                                        ; implicit-def: $sgpr20_sgpr21
                                        ; implicit-def: $sgpr22_sgpr23
	s_branch .LBB1115_44
.LBB1115_43:                            ;   in Loop: Header=BB1115_44 Depth=1
	s_or_b64 exec, exec, s[22:23]
	s_and_b64 s[0:1], exec, s[0:1]
	s_or_b64 s[16:17], s[0:1], s[16:17]
	s_andn2_b64 s[0:1], s[14:15], exec
	s_and_b64 s[14:15], s[18:19], exec
	s_or_b64 s[14:15], s[0:1], s[14:15]
	s_andn2_b64 s[0:1], s[6:7], exec
	s_and_b64 s[6:7], s[20:21], exec
	s_or_b64 s[6:7], s[0:1], s[6:7]
	s_mov_b64 s[22:23], s[20:21]
	s_andn2_b64 exec, exec, s[16:17]
	s_cbranch_execz .LBB1115_48
.LBB1115_44:                            ; =>This Inner Loop Header: Depth=1
	flat_load_ushort v34, v[24:25]
	flat_load_ushort v35, v[22:23]
	s_or_b64 s[20:21], s[20:21], exec
	s_mov_b64 s[24:25], 0
	s_waitcnt vmcnt(0) lgkmcnt(0)
	v_lshlrev_b32_e32 v34, 16, v34
	v_lshlrev_b32_e32 v35, 16, v35
	v_cmp_nlt_f32_e64 s[0:1], v34, v35
	s_and_saveexec_b64 s[26:27], s[0:1]
; %bb.45:                               ;   in Loop: Header=BB1115_44 Depth=1
	v_cmp_ngt_f32_e64 s[0:1], v34, v35
	s_and_b64 s[22:23], s[0:1], s[22:23]
	s_andn2_b64 s[20:21], s[20:21], exec
	s_and_b64 s[22:23], s[22:23], exec
	s_or_b64 s[20:21], s[20:21], s[22:23]
	s_and_b64 s[24:25], s[0:1], exec
; %bb.46:                               ;   in Loop: Header=BB1115_44 Depth=1
	s_or_b64 exec, exec, s[26:27]
	s_mov_b64 s[0:1], -1
	s_or_b64 s[18:19], s[18:19], exec
	s_and_saveexec_b64 s[22:23], s[24:25]
	s_cbranch_execz .LBB1115_43
; %bb.47:                               ;   in Loop: Header=BB1115_44 Depth=1
	v_lshl_add_u64 v[30:31], v[30:31], 0, -1
	v_cmp_eq_u64_e64 s[0:1], 0, v[30:31]
	v_lshl_add_u64 v[22:23], v[22:23], 0, 2
	v_lshl_add_u64 v[24:25], v[24:25], 0, 2
	s_andn2_b64 s[18:19], s[18:19], exec
	s_orn2_b64 s[0:1], s[0:1], exec
	s_branch .LBB1115_43
.LBB1115_48:
	s_or_b64 exec, exec, s[16:17]
	s_and_saveexec_b64 s[0:1], s[14:15]
	s_xor_b64 s[0:1], exec, s[0:1]
; %bb.49:
	v_cndmask_b32_e64 v23, v1, v3, s[6:7]
	v_cndmask_b32_e64 v22, v0, v2, s[6:7]
	;; [unrolled: 1-line block ×4, first 2 shown]
	v_mov_b64_e32 v[0:1], v[22:23]
; %bb.50:
	s_or_b64 exec, exec, s[0:1]
	s_or_b64 exec, exec, s[4:5]
	s_and_saveexec_b64 s[0:1], vcc
	s_xor_b64 s[4:5], exec, s[0:1]
	s_cbranch_execz .LBB1115_9
.LBB1115_51:
	v_mul_lo_u32 v24, v21, v6
	v_mul_lo_u32 v25, v20, v7
	v_mad_u64_u32 v[22:23], s[0:1], v20, v6, 0
	v_add3_u32 v23, v23, v25, v24
	v_mul_lo_u32 v30, v15, v6
	v_mul_lo_u32 v31, v14, v7
	v_mad_u64_u32 v[24:25], s[0:1], v14, v6, 0
	v_add3_u32 v25, v25, v31, v30
	v_lshl_add_u64 v[22:23], v[22:23], 1, v[8:9]
	v_lshl_add_u64 v[24:25], v[24:25], 1, v[8:9]
	s_mov_b64 s[14:15], 0
	v_mov_b64_e32 v[30:31], v[6:7]
                                        ; implicit-def: $sgpr6_sgpr7
                                        ; implicit-def: $sgpr16_sgpr17
                                        ; implicit-def: $sgpr18_sgpr19
                                        ; implicit-def: $sgpr20_sgpr21
                                        ; implicit-def: $sgpr22_sgpr23
	s_branch .LBB1115_53
.LBB1115_52:                            ;   in Loop: Header=BB1115_53 Depth=1
	s_or_b64 exec, exec, s[22:23]
	s_and_b64 s[0:1], exec, s[0:1]
	s_or_b64 s[14:15], s[0:1], s[14:15]
	s_andn2_b64 s[0:1], s[16:17], exec
	s_and_b64 s[16:17], s[18:19], exec
	s_or_b64 s[16:17], s[0:1], s[16:17]
	s_andn2_b64 s[0:1], s[6:7], exec
	s_and_b64 s[6:7], s[20:21], exec
	s_or_b64 s[6:7], s[0:1], s[6:7]
	s_mov_b64 s[22:23], s[20:21]
	s_andn2_b64 exec, exec, s[14:15]
	s_cbranch_execz .LBB1115_57
.LBB1115_53:                            ; =>This Inner Loop Header: Depth=1
	flat_load_ushort v34, v[24:25]
	flat_load_ushort v35, v[22:23]
	s_or_b64 s[20:21], s[20:21], exec
	s_mov_b64 s[24:25], 0
	s_waitcnt vmcnt(0) lgkmcnt(0)
	v_lshlrev_b32_e32 v34, 16, v34
	v_lshlrev_b32_e32 v35, 16, v35
	v_cmp_nlt_f32_e64 s[0:1], v34, v35
	s_and_saveexec_b64 s[26:27], s[0:1]
; %bb.54:                               ;   in Loop: Header=BB1115_53 Depth=1
	v_cmp_ngt_f32_e64 s[0:1], v34, v35
	s_and_b64 s[22:23], s[0:1], s[22:23]
	s_andn2_b64 s[20:21], s[20:21], exec
	s_and_b64 s[22:23], s[22:23], exec
	s_or_b64 s[20:21], s[20:21], s[22:23]
	s_and_b64 s[24:25], s[0:1], exec
; %bb.55:                               ;   in Loop: Header=BB1115_53 Depth=1
	s_or_b64 exec, exec, s[26:27]
	s_mov_b64 s[0:1], -1
	s_or_b64 s[18:19], s[18:19], exec
	s_and_saveexec_b64 s[22:23], s[24:25]
	s_cbranch_execz .LBB1115_52
; %bb.56:                               ;   in Loop: Header=BB1115_53 Depth=1
	v_lshl_add_u64 v[30:31], v[30:31], 0, -1
	v_cmp_eq_u64_e64 s[0:1], 0, v[30:31]
	v_lshl_add_u64 v[22:23], v[22:23], 0, 2
	v_lshl_add_u64 v[24:25], v[24:25], 0, 2
	s_andn2_b64 s[18:19], s[18:19], exec
	s_orn2_b64 s[0:1], s[0:1], exec
	s_branch .LBB1115_52
.LBB1115_57:
	s_or_b64 exec, exec, s[14:15]
	s_and_saveexec_b64 s[0:1], s[16:17]
	s_xor_b64 s[0:1], exec, s[0:1]
; %bb.58:
	v_cndmask_b32_e64 v23, v21, v15, s[6:7]
	v_cndmask_b32_e64 v22, v20, v14, s[6:7]
	;; [unrolled: 1-line block ×4, first 2 shown]
	v_mov_b64_e32 v[20:21], v[22:23]
; %bb.59:
	s_or_b64 exec, exec, s[0:1]
	v_mul_lo_u32 v24, v17, v6
	v_mul_lo_u32 v25, v16, v7
	v_mad_u64_u32 v[22:23], s[0:1], v16, v6, 0
	v_add3_u32 v23, v23, v25, v24
	v_mul_lo_u32 v30, v11, v6
	v_mul_lo_u32 v31, v10, v7
	v_mad_u64_u32 v[24:25], s[0:1], v10, v6, 0
	v_add3_u32 v25, v25, v31, v30
	v_lshl_add_u64 v[22:23], v[22:23], 1, v[8:9]
	v_lshl_add_u64 v[24:25], v[24:25], 1, v[8:9]
	s_mov_b64 s[16:17], 0
	v_mov_b64_e32 v[30:31], v[6:7]
                                        ; implicit-def: $sgpr6_sgpr7
                                        ; implicit-def: $sgpr14_sgpr15
                                        ; implicit-def: $sgpr18_sgpr19
                                        ; implicit-def: $sgpr20_sgpr21
                                        ; implicit-def: $sgpr22_sgpr23
	s_branch .LBB1115_61
.LBB1115_60:                            ;   in Loop: Header=BB1115_61 Depth=1
	s_or_b64 exec, exec, s[22:23]
	s_and_b64 s[0:1], exec, s[0:1]
	s_or_b64 s[16:17], s[0:1], s[16:17]
	s_andn2_b64 s[0:1], s[14:15], exec
	s_and_b64 s[14:15], s[18:19], exec
	s_or_b64 s[14:15], s[0:1], s[14:15]
	s_andn2_b64 s[0:1], s[6:7], exec
	s_and_b64 s[6:7], s[20:21], exec
	s_or_b64 s[6:7], s[0:1], s[6:7]
	s_mov_b64 s[22:23], s[20:21]
	s_andn2_b64 exec, exec, s[16:17]
	s_cbranch_execz .LBB1115_65
.LBB1115_61:                            ; =>This Inner Loop Header: Depth=1
	flat_load_ushort v34, v[24:25]
	flat_load_ushort v35, v[22:23]
	s_or_b64 s[20:21], s[20:21], exec
	s_mov_b64 s[24:25], 0
	s_waitcnt vmcnt(0) lgkmcnt(0)
	v_lshlrev_b32_e32 v34, 16, v34
	v_lshlrev_b32_e32 v35, 16, v35
	v_cmp_nlt_f32_e64 s[0:1], v34, v35
	s_and_saveexec_b64 s[26:27], s[0:1]
; %bb.62:                               ;   in Loop: Header=BB1115_61 Depth=1
	v_cmp_ngt_f32_e64 s[0:1], v34, v35
	s_and_b64 s[22:23], s[0:1], s[22:23]
	s_andn2_b64 s[20:21], s[20:21], exec
	s_and_b64 s[22:23], s[22:23], exec
	s_or_b64 s[20:21], s[20:21], s[22:23]
	s_and_b64 s[24:25], s[0:1], exec
; %bb.63:                               ;   in Loop: Header=BB1115_61 Depth=1
	s_or_b64 exec, exec, s[26:27]
	s_mov_b64 s[0:1], -1
	s_or_b64 s[18:19], s[18:19], exec
	s_and_saveexec_b64 s[22:23], s[24:25]
	s_cbranch_execz .LBB1115_60
; %bb.64:                               ;   in Loop: Header=BB1115_61 Depth=1
	v_lshl_add_u64 v[30:31], v[30:31], 0, -1
	v_cmp_eq_u64_e64 s[0:1], 0, v[30:31]
	v_lshl_add_u64 v[22:23], v[22:23], 0, 2
	v_lshl_add_u64 v[24:25], v[24:25], 0, 2
	s_andn2_b64 s[18:19], s[18:19], exec
	s_orn2_b64 s[0:1], s[0:1], exec
	s_branch .LBB1115_60
.LBB1115_65:
	s_or_b64 exec, exec, s[16:17]
	s_and_saveexec_b64 s[0:1], s[14:15]
	s_xor_b64 s[0:1], exec, s[0:1]
; %bb.66:
	v_cndmask_b32_e64 v23, v17, v11, s[6:7]
	v_cndmask_b32_e64 v22, v16, v10, s[6:7]
	;; [unrolled: 1-line block ×4, first 2 shown]
	v_mov_b64_e32 v[16:17], v[22:23]
; %bb.67:
	s_or_b64 exec, exec, s[0:1]
	s_or_b64 exec, exec, s[4:5]
	s_and_saveexec_b64 s[4:5], vcc
	s_cbranch_execz .LBB1115_10
.LBB1115_68:
	v_mul_lo_u32 v24, v13, v6
	v_mul_lo_u32 v25, v12, v7
	v_mad_u64_u32 v[22:23], s[0:1], v12, v6, 0
	v_add3_u32 v23, v23, v25, v24
	v_mul_lo_u32 v30, v1, v6
	v_mul_lo_u32 v31, v0, v7
	v_mad_u64_u32 v[24:25], s[0:1], v0, v6, 0
	v_add3_u32 v25, v25, v31, v30
	v_lshl_add_u64 v[22:23], v[22:23], 1, v[8:9]
	v_lshl_add_u64 v[24:25], v[24:25], 1, v[8:9]
	s_mov_b64 s[14:15], 0
	v_mov_b64_e32 v[30:31], v[6:7]
                                        ; implicit-def: $sgpr6_sgpr7
                                        ; implicit-def: $sgpr16_sgpr17
                                        ; implicit-def: $sgpr18_sgpr19
                                        ; implicit-def: $sgpr20_sgpr21
                                        ; implicit-def: $sgpr22_sgpr23
	s_branch .LBB1115_70
.LBB1115_69:                            ;   in Loop: Header=BB1115_70 Depth=1
	s_or_b64 exec, exec, s[22:23]
	s_and_b64 s[0:1], exec, s[0:1]
	s_or_b64 s[14:15], s[0:1], s[14:15]
	s_andn2_b64 s[0:1], s[16:17], exec
	s_and_b64 s[16:17], s[18:19], exec
	s_or_b64 s[16:17], s[0:1], s[16:17]
	s_andn2_b64 s[0:1], s[6:7], exec
	s_and_b64 s[6:7], s[20:21], exec
	s_or_b64 s[6:7], s[0:1], s[6:7]
	s_mov_b64 s[22:23], s[20:21]
	s_andn2_b64 exec, exec, s[14:15]
	s_cbranch_execz .LBB1115_74
.LBB1115_70:                            ; =>This Inner Loop Header: Depth=1
	flat_load_ushort v34, v[24:25]
	flat_load_ushort v35, v[22:23]
	s_or_b64 s[20:21], s[20:21], exec
	s_mov_b64 s[24:25], 0
	s_waitcnt vmcnt(0) lgkmcnt(0)
	v_lshlrev_b32_e32 v34, 16, v34
	v_lshlrev_b32_e32 v35, 16, v35
	v_cmp_nlt_f32_e64 s[0:1], v34, v35
	s_and_saveexec_b64 s[26:27], s[0:1]
; %bb.71:                               ;   in Loop: Header=BB1115_70 Depth=1
	v_cmp_ngt_f32_e64 s[0:1], v34, v35
	s_and_b64 s[22:23], s[0:1], s[22:23]
	s_andn2_b64 s[20:21], s[20:21], exec
	s_and_b64 s[22:23], s[22:23], exec
	s_or_b64 s[20:21], s[20:21], s[22:23]
	s_and_b64 s[24:25], s[0:1], exec
; %bb.72:                               ;   in Loop: Header=BB1115_70 Depth=1
	s_or_b64 exec, exec, s[26:27]
	s_mov_b64 s[0:1], -1
	s_or_b64 s[18:19], s[18:19], exec
	s_and_saveexec_b64 s[22:23], s[24:25]
	s_cbranch_execz .LBB1115_69
; %bb.73:                               ;   in Loop: Header=BB1115_70 Depth=1
	v_lshl_add_u64 v[30:31], v[30:31], 0, -1
	v_cmp_eq_u64_e64 s[0:1], 0, v[30:31]
	v_lshl_add_u64 v[22:23], v[22:23], 0, 2
	v_lshl_add_u64 v[24:25], v[24:25], 0, 2
	s_andn2_b64 s[18:19], s[18:19], exec
	s_orn2_b64 s[0:1], s[0:1], exec
	s_branch .LBB1115_69
.LBB1115_74:
	s_or_b64 exec, exec, s[14:15]
	s_and_saveexec_b64 s[0:1], s[16:17]
	s_xor_b64 s[0:1], exec, s[0:1]
; %bb.75:
	v_cndmask_b32_e64 v23, v13, v1, s[6:7]
	v_cndmask_b32_e64 v22, v12, v0, s[6:7]
	;; [unrolled: 1-line block ×4, first 2 shown]
	v_mov_b64_e32 v[12:13], v[22:23]
; %bb.76:
	s_or_b64 exec, exec, s[0:1]
	v_mul_lo_u32 v24, v19, v6
	v_mul_lo_u32 v25, v18, v7
	v_mad_u64_u32 v[22:23], s[0:1], v18, v6, 0
	v_add3_u32 v23, v23, v25, v24
	v_mul_lo_u32 v30, v21, v6
	v_mul_lo_u32 v31, v20, v7
	v_mad_u64_u32 v[24:25], s[0:1], v20, v6, 0
	v_add3_u32 v25, v25, v31, v30
	v_lshl_add_u64 v[22:23], v[22:23], 1, v[8:9]
	v_lshl_add_u64 v[24:25], v[24:25], 1, v[8:9]
	s_mov_b64 s[16:17], 0
	v_mov_b64_e32 v[30:31], v[6:7]
                                        ; implicit-def: $sgpr6_sgpr7
                                        ; implicit-def: $sgpr14_sgpr15
                                        ; implicit-def: $sgpr18_sgpr19
                                        ; implicit-def: $sgpr20_sgpr21
                                        ; implicit-def: $sgpr22_sgpr23
	s_branch .LBB1115_78
.LBB1115_77:                            ;   in Loop: Header=BB1115_78 Depth=1
	s_or_b64 exec, exec, s[22:23]
	s_and_b64 s[0:1], exec, s[0:1]
	s_or_b64 s[16:17], s[0:1], s[16:17]
	s_andn2_b64 s[0:1], s[14:15], exec
	s_and_b64 s[14:15], s[18:19], exec
	s_or_b64 s[14:15], s[0:1], s[14:15]
	s_andn2_b64 s[0:1], s[6:7], exec
	s_and_b64 s[6:7], s[20:21], exec
	s_or_b64 s[6:7], s[0:1], s[6:7]
	s_mov_b64 s[22:23], s[20:21]
	s_andn2_b64 exec, exec, s[16:17]
	s_cbranch_execz .LBB1115_82
.LBB1115_78:                            ; =>This Inner Loop Header: Depth=1
	flat_load_ushort v34, v[24:25]
	flat_load_ushort v35, v[22:23]
	s_or_b64 s[20:21], s[20:21], exec
	s_mov_b64 s[24:25], 0
	s_waitcnt vmcnt(0) lgkmcnt(0)
	v_lshlrev_b32_e32 v34, 16, v34
	v_lshlrev_b32_e32 v35, 16, v35
	v_cmp_nlt_f32_e64 s[0:1], v34, v35
	s_and_saveexec_b64 s[26:27], s[0:1]
; %bb.79:                               ;   in Loop: Header=BB1115_78 Depth=1
	v_cmp_ngt_f32_e64 s[0:1], v34, v35
	s_and_b64 s[22:23], s[0:1], s[22:23]
	s_andn2_b64 s[20:21], s[20:21], exec
	s_and_b64 s[22:23], s[22:23], exec
	s_or_b64 s[20:21], s[20:21], s[22:23]
	s_and_b64 s[24:25], s[0:1], exec
; %bb.80:                               ;   in Loop: Header=BB1115_78 Depth=1
	s_or_b64 exec, exec, s[26:27]
	s_mov_b64 s[0:1], -1
	s_or_b64 s[18:19], s[18:19], exec
	s_and_saveexec_b64 s[22:23], s[24:25]
	s_cbranch_execz .LBB1115_77
; %bb.81:                               ;   in Loop: Header=BB1115_78 Depth=1
	v_lshl_add_u64 v[30:31], v[30:31], 0, -1
	v_cmp_eq_u64_e64 s[0:1], 0, v[30:31]
	v_lshl_add_u64 v[22:23], v[22:23], 0, 2
	v_lshl_add_u64 v[24:25], v[24:25], 0, 2
	s_andn2_b64 s[18:19], s[18:19], exec
	s_orn2_b64 s[0:1], s[0:1], exec
	s_branch .LBB1115_77
.LBB1115_82:
	s_or_b64 exec, exec, s[16:17]
	s_and_saveexec_b64 s[0:1], s[14:15]
	s_xor_b64 s[0:1], exec, s[0:1]
; %bb.83:
	v_cndmask_b32_e64 v23, v21, v19, s[6:7]
	v_cndmask_b32_e64 v22, v20, v18, s[6:7]
	;; [unrolled: 1-line block ×4, first 2 shown]
	v_mov_b64_e32 v[20:21], v[22:23]
; %bb.84:
	s_or_b64 exec, exec, s[0:1]
	s_or_b64 exec, exec, s[4:5]
	s_and_saveexec_b64 s[4:5], vcc
	s_cbranch_execz .LBB1115_11
.LBB1115_85:
	v_mul_lo_u32 v24, v15, v6
	v_mul_lo_u32 v25, v14, v7
	v_mad_u64_u32 v[22:23], s[0:1], v14, v6, 0
	v_add3_u32 v23, v23, v25, v24
	v_mul_lo_u32 v30, v17, v6
	v_mul_lo_u32 v31, v16, v7
	v_mad_u64_u32 v[24:25], s[0:1], v16, v6, 0
	v_add3_u32 v25, v25, v31, v30
	v_lshl_add_u64 v[22:23], v[22:23], 1, v[8:9]
	v_lshl_add_u64 v[24:25], v[24:25], 1, v[8:9]
	s_mov_b64 s[14:15], 0
	v_mov_b64_e32 v[30:31], v[6:7]
                                        ; implicit-def: $sgpr6_sgpr7
                                        ; implicit-def: $sgpr16_sgpr17
                                        ; implicit-def: $sgpr18_sgpr19
                                        ; implicit-def: $sgpr20_sgpr21
                                        ; implicit-def: $sgpr22_sgpr23
	s_branch .LBB1115_87
.LBB1115_86:                            ;   in Loop: Header=BB1115_87 Depth=1
	s_or_b64 exec, exec, s[22:23]
	s_and_b64 s[0:1], exec, s[0:1]
	s_or_b64 s[14:15], s[0:1], s[14:15]
	s_andn2_b64 s[0:1], s[16:17], exec
	s_and_b64 s[16:17], s[18:19], exec
	s_or_b64 s[16:17], s[0:1], s[16:17]
	s_andn2_b64 s[0:1], s[6:7], exec
	s_and_b64 s[6:7], s[20:21], exec
	s_or_b64 s[6:7], s[0:1], s[6:7]
	s_mov_b64 s[22:23], s[20:21]
	s_andn2_b64 exec, exec, s[14:15]
	s_cbranch_execz .LBB1115_91
.LBB1115_87:                            ; =>This Inner Loop Header: Depth=1
	flat_load_ushort v34, v[24:25]
	flat_load_ushort v35, v[22:23]
	s_or_b64 s[20:21], s[20:21], exec
	s_mov_b64 s[24:25], 0
	s_waitcnt vmcnt(0) lgkmcnt(0)
	v_lshlrev_b32_e32 v34, 16, v34
	v_lshlrev_b32_e32 v35, 16, v35
	v_cmp_nlt_f32_e64 s[0:1], v34, v35
	s_and_saveexec_b64 s[26:27], s[0:1]
; %bb.88:                               ;   in Loop: Header=BB1115_87 Depth=1
	v_cmp_ngt_f32_e64 s[0:1], v34, v35
	s_and_b64 s[22:23], s[0:1], s[22:23]
	s_andn2_b64 s[20:21], s[20:21], exec
	s_and_b64 s[22:23], s[22:23], exec
	s_or_b64 s[20:21], s[20:21], s[22:23]
	s_and_b64 s[24:25], s[0:1], exec
; %bb.89:                               ;   in Loop: Header=BB1115_87 Depth=1
	s_or_b64 exec, exec, s[26:27]
	s_mov_b64 s[0:1], -1
	s_or_b64 s[18:19], s[18:19], exec
	s_and_saveexec_b64 s[22:23], s[24:25]
	s_cbranch_execz .LBB1115_86
; %bb.90:                               ;   in Loop: Header=BB1115_87 Depth=1
	v_lshl_add_u64 v[30:31], v[30:31], 0, -1
	v_cmp_eq_u64_e64 s[0:1], 0, v[30:31]
	v_lshl_add_u64 v[22:23], v[22:23], 0, 2
	v_lshl_add_u64 v[24:25], v[24:25], 0, 2
	s_andn2_b64 s[18:19], s[18:19], exec
	s_orn2_b64 s[0:1], s[0:1], exec
	s_branch .LBB1115_86
.LBB1115_91:
	s_or_b64 exec, exec, s[14:15]
	s_and_saveexec_b64 s[0:1], s[16:17]
	s_xor_b64 s[0:1], exec, s[0:1]
; %bb.92:
	v_cndmask_b32_e64 v23, v15, v17, s[6:7]
	v_cndmask_b32_e64 v22, v14, v16, s[6:7]
	v_cndmask_b32_e64 v17, v17, v15, s[6:7]
	v_cndmask_b32_e64 v16, v16, v14, s[6:7]
	v_mov_b64_e32 v[14:15], v[22:23]
; %bb.93:
	s_or_b64 exec, exec, s[0:1]
	v_mul_lo_u32 v24, v11, v6
	v_mul_lo_u32 v25, v10, v7
	v_mad_u64_u32 v[22:23], s[0:1], v10, v6, 0
	v_add3_u32 v23, v23, v25, v24
	v_mul_lo_u32 v30, v13, v6
	v_mul_lo_u32 v31, v12, v7
	v_mad_u64_u32 v[24:25], s[0:1], v12, v6, 0
	v_add3_u32 v25, v25, v31, v30
	v_lshl_add_u64 v[22:23], v[22:23], 1, v[8:9]
	v_lshl_add_u64 v[24:25], v[24:25], 1, v[8:9]
	s_mov_b64 s[16:17], 0
	v_mov_b64_e32 v[30:31], v[6:7]
                                        ; implicit-def: $sgpr6_sgpr7
                                        ; implicit-def: $sgpr14_sgpr15
                                        ; implicit-def: $sgpr18_sgpr19
                                        ; implicit-def: $sgpr20_sgpr21
                                        ; implicit-def: $sgpr22_sgpr23
	s_branch .LBB1115_95
.LBB1115_94:                            ;   in Loop: Header=BB1115_95 Depth=1
	s_or_b64 exec, exec, s[22:23]
	s_and_b64 s[0:1], exec, s[0:1]
	s_or_b64 s[16:17], s[0:1], s[16:17]
	s_andn2_b64 s[0:1], s[14:15], exec
	s_and_b64 s[14:15], s[18:19], exec
	s_or_b64 s[14:15], s[0:1], s[14:15]
	s_andn2_b64 s[0:1], s[6:7], exec
	s_and_b64 s[6:7], s[20:21], exec
	s_or_b64 s[6:7], s[0:1], s[6:7]
	s_mov_b64 s[22:23], s[20:21]
	s_andn2_b64 exec, exec, s[16:17]
	s_cbranch_execz .LBB1115_99
.LBB1115_95:                            ; =>This Inner Loop Header: Depth=1
	flat_load_ushort v34, v[24:25]
	flat_load_ushort v35, v[22:23]
	s_or_b64 s[20:21], s[20:21], exec
	s_mov_b64 s[24:25], 0
	s_waitcnt vmcnt(0) lgkmcnt(0)
	v_lshlrev_b32_e32 v34, 16, v34
	v_lshlrev_b32_e32 v35, 16, v35
	v_cmp_nlt_f32_e64 s[0:1], v34, v35
	s_and_saveexec_b64 s[26:27], s[0:1]
; %bb.96:                               ;   in Loop: Header=BB1115_95 Depth=1
	v_cmp_ngt_f32_e64 s[0:1], v34, v35
	s_and_b64 s[22:23], s[0:1], s[22:23]
	s_andn2_b64 s[20:21], s[20:21], exec
	s_and_b64 s[22:23], s[22:23], exec
	s_or_b64 s[20:21], s[20:21], s[22:23]
	s_and_b64 s[24:25], s[0:1], exec
; %bb.97:                               ;   in Loop: Header=BB1115_95 Depth=1
	s_or_b64 exec, exec, s[26:27]
	s_mov_b64 s[0:1], -1
	s_or_b64 s[18:19], s[18:19], exec
	s_and_saveexec_b64 s[22:23], s[24:25]
	s_cbranch_execz .LBB1115_94
; %bb.98:                               ;   in Loop: Header=BB1115_95 Depth=1
	v_lshl_add_u64 v[30:31], v[30:31], 0, -1
	v_cmp_eq_u64_e64 s[0:1], 0, v[30:31]
	v_lshl_add_u64 v[22:23], v[22:23], 0, 2
	v_lshl_add_u64 v[24:25], v[24:25], 0, 2
	s_andn2_b64 s[18:19], s[18:19], exec
	s_orn2_b64 s[0:1], s[0:1], exec
	s_branch .LBB1115_94
.LBB1115_99:
	s_or_b64 exec, exec, s[16:17]
	s_and_saveexec_b64 s[0:1], s[14:15]
	s_xor_b64 s[0:1], exec, s[0:1]
; %bb.100:
	v_cndmask_b32_e64 v23, v11, v13, s[6:7]
	v_cndmask_b32_e64 v22, v10, v12, s[6:7]
	;; [unrolled: 1-line block ×4, first 2 shown]
	v_mov_b64_e32 v[10:11], v[22:23]
; %bb.101:
	s_or_b64 exec, exec, s[0:1]
	s_or_b64 exec, exec, s[4:5]
	s_and_saveexec_b64 s[4:5], vcc
	s_cbranch_execz .LBB1115_12
.LBB1115_102:
	v_mul_lo_u32 v24, v1, v6
	v_mul_lo_u32 v25, v0, v7
	v_mad_u64_u32 v[22:23], s[0:1], v0, v6, 0
	v_add3_u32 v23, v23, v25, v24
	v_mul_lo_u32 v30, v3, v6
	v_mul_lo_u32 v31, v2, v7
	v_mad_u64_u32 v[24:25], s[0:1], v2, v6, 0
	v_add3_u32 v25, v25, v31, v30
	v_lshl_add_u64 v[22:23], v[22:23], 1, v[8:9]
	v_lshl_add_u64 v[24:25], v[24:25], 1, v[8:9]
	s_mov_b64 s[14:15], 0
	v_mov_b64_e32 v[30:31], v[6:7]
                                        ; implicit-def: $sgpr6_sgpr7
                                        ; implicit-def: $sgpr16_sgpr17
                                        ; implicit-def: $sgpr18_sgpr19
                                        ; implicit-def: $sgpr20_sgpr21
                                        ; implicit-def: $sgpr22_sgpr23
	s_branch .LBB1115_104
.LBB1115_103:                           ;   in Loop: Header=BB1115_104 Depth=1
	s_or_b64 exec, exec, s[22:23]
	s_and_b64 s[0:1], exec, s[0:1]
	s_or_b64 s[14:15], s[0:1], s[14:15]
	s_andn2_b64 s[0:1], s[16:17], exec
	s_and_b64 s[16:17], s[18:19], exec
	s_or_b64 s[16:17], s[0:1], s[16:17]
	s_andn2_b64 s[0:1], s[6:7], exec
	s_and_b64 s[6:7], s[20:21], exec
	s_or_b64 s[6:7], s[0:1], s[6:7]
	s_mov_b64 s[22:23], s[20:21]
	s_andn2_b64 exec, exec, s[14:15]
	s_cbranch_execz .LBB1115_108
.LBB1115_104:                           ; =>This Inner Loop Header: Depth=1
	flat_load_ushort v34, v[24:25]
	flat_load_ushort v35, v[22:23]
	s_or_b64 s[20:21], s[20:21], exec
	s_mov_b64 s[24:25], 0
	s_waitcnt vmcnt(0) lgkmcnt(0)
	v_lshlrev_b32_e32 v34, 16, v34
	v_lshlrev_b32_e32 v35, 16, v35
	v_cmp_nlt_f32_e64 s[0:1], v34, v35
	s_and_saveexec_b64 s[26:27], s[0:1]
; %bb.105:                              ;   in Loop: Header=BB1115_104 Depth=1
	v_cmp_ngt_f32_e64 s[0:1], v34, v35
	s_and_b64 s[22:23], s[0:1], s[22:23]
	s_andn2_b64 s[20:21], s[20:21], exec
	s_and_b64 s[22:23], s[22:23], exec
	s_or_b64 s[20:21], s[20:21], s[22:23]
	s_and_b64 s[24:25], s[0:1], exec
; %bb.106:                              ;   in Loop: Header=BB1115_104 Depth=1
	s_or_b64 exec, exec, s[26:27]
	s_mov_b64 s[0:1], -1
	s_or_b64 s[18:19], s[18:19], exec
	s_and_saveexec_b64 s[22:23], s[24:25]
	s_cbranch_execz .LBB1115_103
; %bb.107:                              ;   in Loop: Header=BB1115_104 Depth=1
	v_lshl_add_u64 v[30:31], v[30:31], 0, -1
	v_cmp_eq_u64_e64 s[0:1], 0, v[30:31]
	v_lshl_add_u64 v[22:23], v[22:23], 0, 2
	v_lshl_add_u64 v[24:25], v[24:25], 0, 2
	s_andn2_b64 s[18:19], s[18:19], exec
	s_orn2_b64 s[0:1], s[0:1], exec
	s_branch .LBB1115_103
.LBB1115_108:
	s_or_b64 exec, exec, s[14:15]
	s_and_saveexec_b64 s[0:1], s[16:17]
	s_xor_b64 s[0:1], exec, s[0:1]
; %bb.109:
	v_cndmask_b32_e64 v23, v1, v3, s[6:7]
	v_cndmask_b32_e64 v22, v0, v2, s[6:7]
	;; [unrolled: 1-line block ×4, first 2 shown]
	v_mov_b64_e32 v[0:1], v[22:23]
; %bb.110:
	s_or_b64 exec, exec, s[0:1]
	v_mul_lo_u32 v24, v21, v6
	v_mul_lo_u32 v25, v20, v7
	v_mad_u64_u32 v[22:23], s[0:1], v20, v6, 0
	v_add3_u32 v23, v23, v25, v24
	v_mul_lo_u32 v30, v15, v6
	v_mul_lo_u32 v31, v14, v7
	v_mad_u64_u32 v[24:25], s[0:1], v14, v6, 0
	v_add3_u32 v25, v25, v31, v30
	v_lshl_add_u64 v[22:23], v[22:23], 1, v[8:9]
	v_lshl_add_u64 v[24:25], v[24:25], 1, v[8:9]
	s_mov_b64 s[16:17], 0
	v_mov_b64_e32 v[30:31], v[6:7]
                                        ; implicit-def: $sgpr6_sgpr7
                                        ; implicit-def: $sgpr14_sgpr15
                                        ; implicit-def: $sgpr18_sgpr19
                                        ; implicit-def: $sgpr20_sgpr21
                                        ; implicit-def: $sgpr22_sgpr23
	s_branch .LBB1115_112
.LBB1115_111:                           ;   in Loop: Header=BB1115_112 Depth=1
	s_or_b64 exec, exec, s[22:23]
	s_and_b64 s[0:1], exec, s[0:1]
	s_or_b64 s[16:17], s[0:1], s[16:17]
	s_andn2_b64 s[0:1], s[14:15], exec
	s_and_b64 s[14:15], s[18:19], exec
	s_or_b64 s[14:15], s[0:1], s[14:15]
	s_andn2_b64 s[0:1], s[6:7], exec
	s_and_b64 s[6:7], s[20:21], exec
	s_or_b64 s[6:7], s[0:1], s[6:7]
	s_mov_b64 s[22:23], s[20:21]
	s_andn2_b64 exec, exec, s[16:17]
	s_cbranch_execz .LBB1115_116
.LBB1115_112:                           ; =>This Inner Loop Header: Depth=1
	flat_load_ushort v34, v[24:25]
	flat_load_ushort v35, v[22:23]
	s_or_b64 s[20:21], s[20:21], exec
	s_mov_b64 s[24:25], 0
	s_waitcnt vmcnt(0) lgkmcnt(0)
	v_lshlrev_b32_e32 v34, 16, v34
	v_lshlrev_b32_e32 v35, 16, v35
	v_cmp_nlt_f32_e64 s[0:1], v34, v35
	s_and_saveexec_b64 s[26:27], s[0:1]
; %bb.113:                              ;   in Loop: Header=BB1115_112 Depth=1
	v_cmp_ngt_f32_e64 s[0:1], v34, v35
	s_and_b64 s[22:23], s[0:1], s[22:23]
	s_andn2_b64 s[20:21], s[20:21], exec
	s_and_b64 s[22:23], s[22:23], exec
	s_or_b64 s[20:21], s[20:21], s[22:23]
	s_and_b64 s[24:25], s[0:1], exec
; %bb.114:                              ;   in Loop: Header=BB1115_112 Depth=1
	s_or_b64 exec, exec, s[26:27]
	s_mov_b64 s[0:1], -1
	s_or_b64 s[18:19], s[18:19], exec
	s_and_saveexec_b64 s[22:23], s[24:25]
	s_cbranch_execz .LBB1115_111
; %bb.115:                              ;   in Loop: Header=BB1115_112 Depth=1
	v_lshl_add_u64 v[30:31], v[30:31], 0, -1
	v_cmp_eq_u64_e64 s[0:1], 0, v[30:31]
	v_lshl_add_u64 v[22:23], v[22:23], 0, 2
	v_lshl_add_u64 v[24:25], v[24:25], 0, 2
	s_andn2_b64 s[18:19], s[18:19], exec
	s_orn2_b64 s[0:1], s[0:1], exec
	s_branch .LBB1115_111
.LBB1115_116:
	s_or_b64 exec, exec, s[16:17]
	s_and_saveexec_b64 s[0:1], s[14:15]
	s_xor_b64 s[0:1], exec, s[0:1]
; %bb.117:
	v_cndmask_b32_e64 v23, v21, v15, s[6:7]
	v_cndmask_b32_e64 v22, v20, v14, s[6:7]
	;; [unrolled: 1-line block ×4, first 2 shown]
	v_mov_b64_e32 v[20:21], v[22:23]
; %bb.118:
	s_or_b64 exec, exec, s[0:1]
	s_or_b64 exec, exec, s[4:5]
	s_and_saveexec_b64 s[4:5], vcc
	s_cbranch_execz .LBB1115_13
.LBB1115_119:
	v_mul_lo_u32 v24, v17, v6
	v_mul_lo_u32 v25, v16, v7
	v_mad_u64_u32 v[22:23], s[0:1], v16, v6, 0
	v_add3_u32 v23, v23, v25, v24
	v_mul_lo_u32 v30, v11, v6
	v_mul_lo_u32 v31, v10, v7
	v_mad_u64_u32 v[24:25], s[0:1], v10, v6, 0
	v_add3_u32 v25, v25, v31, v30
	v_lshl_add_u64 v[22:23], v[22:23], 1, v[8:9]
	v_lshl_add_u64 v[24:25], v[24:25], 1, v[8:9]
	s_mov_b64 s[14:15], 0
	v_mov_b64_e32 v[30:31], v[6:7]
                                        ; implicit-def: $sgpr6_sgpr7
                                        ; implicit-def: $sgpr16_sgpr17
                                        ; implicit-def: $sgpr18_sgpr19
                                        ; implicit-def: $sgpr20_sgpr21
                                        ; implicit-def: $sgpr22_sgpr23
	s_branch .LBB1115_121
.LBB1115_120:                           ;   in Loop: Header=BB1115_121 Depth=1
	s_or_b64 exec, exec, s[22:23]
	s_and_b64 s[0:1], exec, s[0:1]
	s_or_b64 s[14:15], s[0:1], s[14:15]
	s_andn2_b64 s[0:1], s[16:17], exec
	s_and_b64 s[16:17], s[18:19], exec
	s_or_b64 s[16:17], s[0:1], s[16:17]
	s_andn2_b64 s[0:1], s[6:7], exec
	s_and_b64 s[6:7], s[20:21], exec
	s_or_b64 s[6:7], s[0:1], s[6:7]
	s_mov_b64 s[22:23], s[20:21]
	s_andn2_b64 exec, exec, s[14:15]
	s_cbranch_execz .LBB1115_125
.LBB1115_121:                           ; =>This Inner Loop Header: Depth=1
	flat_load_ushort v34, v[24:25]
	flat_load_ushort v35, v[22:23]
	s_or_b64 s[20:21], s[20:21], exec
	s_mov_b64 s[24:25], 0
	s_waitcnt vmcnt(0) lgkmcnt(0)
	v_lshlrev_b32_e32 v34, 16, v34
	v_lshlrev_b32_e32 v35, 16, v35
	v_cmp_nlt_f32_e64 s[0:1], v34, v35
	s_and_saveexec_b64 s[26:27], s[0:1]
; %bb.122:                              ;   in Loop: Header=BB1115_121 Depth=1
	v_cmp_ngt_f32_e64 s[0:1], v34, v35
	s_and_b64 s[22:23], s[0:1], s[22:23]
	s_andn2_b64 s[20:21], s[20:21], exec
	s_and_b64 s[22:23], s[22:23], exec
	s_or_b64 s[20:21], s[20:21], s[22:23]
	s_and_b64 s[24:25], s[0:1], exec
; %bb.123:                              ;   in Loop: Header=BB1115_121 Depth=1
	s_or_b64 exec, exec, s[26:27]
	s_mov_b64 s[0:1], -1
	s_or_b64 s[18:19], s[18:19], exec
	s_and_saveexec_b64 s[22:23], s[24:25]
	s_cbranch_execz .LBB1115_120
; %bb.124:                              ;   in Loop: Header=BB1115_121 Depth=1
	v_lshl_add_u64 v[30:31], v[30:31], 0, -1
	v_cmp_eq_u64_e64 s[0:1], 0, v[30:31]
	v_lshl_add_u64 v[22:23], v[22:23], 0, 2
	v_lshl_add_u64 v[24:25], v[24:25], 0, 2
	s_andn2_b64 s[18:19], s[18:19], exec
	s_orn2_b64 s[0:1], s[0:1], exec
	s_branch .LBB1115_120
.LBB1115_125:
	s_or_b64 exec, exec, s[14:15]
	s_and_saveexec_b64 s[0:1], s[16:17]
	s_xor_b64 s[0:1], exec, s[0:1]
; %bb.126:
	v_cndmask_b32_e64 v23, v17, v11, s[6:7]
	v_cndmask_b32_e64 v22, v16, v10, s[6:7]
	;; [unrolled: 1-line block ×4, first 2 shown]
	v_mov_b64_e32 v[16:17], v[22:23]
; %bb.127:
	s_or_b64 exec, exec, s[0:1]
	v_mul_lo_u32 v24, v13, v6
	v_mul_lo_u32 v25, v12, v7
	v_mad_u64_u32 v[22:23], s[0:1], v12, v6, 0
	v_add3_u32 v23, v23, v25, v24
	v_mul_lo_u32 v30, v1, v6
	v_mul_lo_u32 v31, v0, v7
	v_mad_u64_u32 v[24:25], s[0:1], v0, v6, 0
	v_add3_u32 v25, v25, v31, v30
	v_lshl_add_u64 v[22:23], v[22:23], 1, v[8:9]
	v_lshl_add_u64 v[24:25], v[24:25], 1, v[8:9]
	s_mov_b64 s[16:17], 0
	v_mov_b64_e32 v[30:31], v[6:7]
                                        ; implicit-def: $sgpr6_sgpr7
                                        ; implicit-def: $sgpr14_sgpr15
                                        ; implicit-def: $sgpr18_sgpr19
                                        ; implicit-def: $sgpr20_sgpr21
                                        ; implicit-def: $sgpr22_sgpr23
	s_branch .LBB1115_129
.LBB1115_128:                           ;   in Loop: Header=BB1115_129 Depth=1
	s_or_b64 exec, exec, s[22:23]
	s_and_b64 s[0:1], exec, s[0:1]
	s_or_b64 s[16:17], s[0:1], s[16:17]
	s_andn2_b64 s[0:1], s[14:15], exec
	s_and_b64 s[14:15], s[18:19], exec
	s_or_b64 s[14:15], s[0:1], s[14:15]
	s_andn2_b64 s[0:1], s[6:7], exec
	s_and_b64 s[6:7], s[20:21], exec
	s_or_b64 s[6:7], s[0:1], s[6:7]
	s_mov_b64 s[22:23], s[20:21]
	s_andn2_b64 exec, exec, s[16:17]
	s_cbranch_execz .LBB1115_133
.LBB1115_129:                           ; =>This Inner Loop Header: Depth=1
	flat_load_ushort v34, v[24:25]
	flat_load_ushort v35, v[22:23]
	s_or_b64 s[20:21], s[20:21], exec
	s_mov_b64 s[24:25], 0
	s_waitcnt vmcnt(0) lgkmcnt(0)
	v_lshlrev_b32_e32 v34, 16, v34
	v_lshlrev_b32_e32 v35, 16, v35
	v_cmp_nlt_f32_e64 s[0:1], v34, v35
	s_and_saveexec_b64 s[26:27], s[0:1]
; %bb.130:                              ;   in Loop: Header=BB1115_129 Depth=1
	v_cmp_ngt_f32_e64 s[0:1], v34, v35
	s_and_b64 s[22:23], s[0:1], s[22:23]
	s_andn2_b64 s[20:21], s[20:21], exec
	s_and_b64 s[22:23], s[22:23], exec
	s_or_b64 s[20:21], s[20:21], s[22:23]
	s_and_b64 s[24:25], s[0:1], exec
; %bb.131:                              ;   in Loop: Header=BB1115_129 Depth=1
	s_or_b64 exec, exec, s[26:27]
	s_mov_b64 s[0:1], -1
	s_or_b64 s[18:19], s[18:19], exec
	s_and_saveexec_b64 s[22:23], s[24:25]
	s_cbranch_execz .LBB1115_128
; %bb.132:                              ;   in Loop: Header=BB1115_129 Depth=1
	v_lshl_add_u64 v[30:31], v[30:31], 0, -1
	v_cmp_eq_u64_e64 s[0:1], 0, v[30:31]
	v_lshl_add_u64 v[22:23], v[22:23], 0, 2
	v_lshl_add_u64 v[24:25], v[24:25], 0, 2
	s_andn2_b64 s[18:19], s[18:19], exec
	s_orn2_b64 s[0:1], s[0:1], exec
	s_branch .LBB1115_128
.LBB1115_133:
	s_or_b64 exec, exec, s[16:17]
	s_and_saveexec_b64 s[0:1], s[14:15]
	s_xor_b64 s[0:1], exec, s[0:1]
; %bb.134:
	v_cndmask_b32_e64 v23, v13, v1, s[6:7]
	v_cndmask_b32_e64 v22, v12, v0, s[6:7]
	;; [unrolled: 1-line block ×4, first 2 shown]
	v_mov_b64_e32 v[12:13], v[22:23]
; %bb.135:
	s_or_b64 exec, exec, s[0:1]
	s_or_b64 exec, exec, s[4:5]
	s_and_saveexec_b64 s[4:5], vcc
	s_cbranch_execz .LBB1115_14
.LBB1115_136:
	v_mul_lo_u32 v24, v19, v6
	v_mul_lo_u32 v25, v18, v7
	v_mad_u64_u32 v[22:23], s[0:1], v18, v6, 0
	v_add3_u32 v23, v23, v25, v24
	v_mul_lo_u32 v30, v21, v6
	v_mul_lo_u32 v31, v20, v7
	v_mad_u64_u32 v[24:25], s[0:1], v20, v6, 0
	v_add3_u32 v25, v25, v31, v30
	v_lshl_add_u64 v[22:23], v[22:23], 1, v[8:9]
	v_lshl_add_u64 v[24:25], v[24:25], 1, v[8:9]
	s_mov_b64 s[14:15], 0
	v_mov_b64_e32 v[30:31], v[6:7]
                                        ; implicit-def: $sgpr6_sgpr7
                                        ; implicit-def: $sgpr16_sgpr17
                                        ; implicit-def: $sgpr18_sgpr19
                                        ; implicit-def: $sgpr20_sgpr21
                                        ; implicit-def: $sgpr22_sgpr23
	s_branch .LBB1115_138
.LBB1115_137:                           ;   in Loop: Header=BB1115_138 Depth=1
	s_or_b64 exec, exec, s[22:23]
	s_and_b64 s[0:1], exec, s[0:1]
	s_or_b64 s[14:15], s[0:1], s[14:15]
	s_andn2_b64 s[0:1], s[16:17], exec
	s_and_b64 s[16:17], s[18:19], exec
	s_or_b64 s[16:17], s[0:1], s[16:17]
	s_andn2_b64 s[0:1], s[6:7], exec
	s_and_b64 s[6:7], s[20:21], exec
	s_or_b64 s[6:7], s[0:1], s[6:7]
	s_mov_b64 s[22:23], s[20:21]
	s_andn2_b64 exec, exec, s[14:15]
	s_cbranch_execz .LBB1115_142
.LBB1115_138:                           ; =>This Inner Loop Header: Depth=1
	flat_load_ushort v34, v[24:25]
	flat_load_ushort v35, v[22:23]
	s_or_b64 s[20:21], s[20:21], exec
	s_mov_b64 s[24:25], 0
	s_waitcnt vmcnt(0) lgkmcnt(0)
	v_lshlrev_b32_e32 v34, 16, v34
	v_lshlrev_b32_e32 v35, 16, v35
	v_cmp_nlt_f32_e64 s[0:1], v34, v35
	s_and_saveexec_b64 s[26:27], s[0:1]
; %bb.139:                              ;   in Loop: Header=BB1115_138 Depth=1
	v_cmp_ngt_f32_e64 s[0:1], v34, v35
	s_and_b64 s[22:23], s[0:1], s[22:23]
	s_andn2_b64 s[20:21], s[20:21], exec
	s_and_b64 s[22:23], s[22:23], exec
	s_or_b64 s[20:21], s[20:21], s[22:23]
	s_and_b64 s[24:25], s[0:1], exec
; %bb.140:                              ;   in Loop: Header=BB1115_138 Depth=1
	s_or_b64 exec, exec, s[26:27]
	s_mov_b64 s[0:1], -1
	s_or_b64 s[18:19], s[18:19], exec
	s_and_saveexec_b64 s[22:23], s[24:25]
	s_cbranch_execz .LBB1115_137
; %bb.141:                              ;   in Loop: Header=BB1115_138 Depth=1
	v_lshl_add_u64 v[30:31], v[30:31], 0, -1
	v_cmp_eq_u64_e64 s[0:1], 0, v[30:31]
	v_lshl_add_u64 v[22:23], v[22:23], 0, 2
	v_lshl_add_u64 v[24:25], v[24:25], 0, 2
	s_andn2_b64 s[18:19], s[18:19], exec
	s_orn2_b64 s[0:1], s[0:1], exec
	s_branch .LBB1115_137
.LBB1115_142:
	s_or_b64 exec, exec, s[14:15]
	s_and_saveexec_b64 s[0:1], s[16:17]
	s_xor_b64 s[0:1], exec, s[0:1]
; %bb.143:
	v_cndmask_b32_e64 v23, v21, v19, s[6:7]
	v_cndmask_b32_e64 v22, v20, v18, s[6:7]
	;; [unrolled: 1-line block ×4, first 2 shown]
	v_mov_b64_e32 v[20:21], v[22:23]
; %bb.144:
	s_or_b64 exec, exec, s[0:1]
	v_mul_lo_u32 v24, v15, v6
	v_mul_lo_u32 v25, v14, v7
	v_mad_u64_u32 v[22:23], s[0:1], v14, v6, 0
	v_add3_u32 v23, v23, v25, v24
	v_mul_lo_u32 v30, v17, v6
	v_mul_lo_u32 v31, v16, v7
	v_mad_u64_u32 v[24:25], s[0:1], v16, v6, 0
	v_add3_u32 v25, v25, v31, v30
	v_lshl_add_u64 v[22:23], v[22:23], 1, v[8:9]
	v_lshl_add_u64 v[24:25], v[24:25], 1, v[8:9]
	s_mov_b64 s[16:17], 0
	v_mov_b64_e32 v[30:31], v[6:7]
                                        ; implicit-def: $sgpr6_sgpr7
                                        ; implicit-def: $sgpr14_sgpr15
                                        ; implicit-def: $sgpr18_sgpr19
                                        ; implicit-def: $sgpr20_sgpr21
                                        ; implicit-def: $sgpr22_sgpr23
	s_branch .LBB1115_146
.LBB1115_145:                           ;   in Loop: Header=BB1115_146 Depth=1
	s_or_b64 exec, exec, s[22:23]
	s_and_b64 s[0:1], exec, s[0:1]
	s_or_b64 s[16:17], s[0:1], s[16:17]
	s_andn2_b64 s[0:1], s[14:15], exec
	s_and_b64 s[14:15], s[18:19], exec
	s_or_b64 s[14:15], s[0:1], s[14:15]
	s_andn2_b64 s[0:1], s[6:7], exec
	s_and_b64 s[6:7], s[20:21], exec
	s_or_b64 s[6:7], s[0:1], s[6:7]
	s_mov_b64 s[22:23], s[20:21]
	s_andn2_b64 exec, exec, s[16:17]
	s_cbranch_execz .LBB1115_150
.LBB1115_146:                           ; =>This Inner Loop Header: Depth=1
	flat_load_ushort v34, v[24:25]
	flat_load_ushort v35, v[22:23]
	s_or_b64 s[20:21], s[20:21], exec
	s_mov_b64 s[24:25], 0
	s_waitcnt vmcnt(0) lgkmcnt(0)
	v_lshlrev_b32_e32 v34, 16, v34
	v_lshlrev_b32_e32 v35, 16, v35
	v_cmp_nlt_f32_e64 s[0:1], v34, v35
	s_and_saveexec_b64 s[26:27], s[0:1]
; %bb.147:                              ;   in Loop: Header=BB1115_146 Depth=1
	v_cmp_ngt_f32_e64 s[0:1], v34, v35
	s_and_b64 s[22:23], s[0:1], s[22:23]
	s_andn2_b64 s[20:21], s[20:21], exec
	s_and_b64 s[22:23], s[22:23], exec
	s_or_b64 s[20:21], s[20:21], s[22:23]
	s_and_b64 s[24:25], s[0:1], exec
; %bb.148:                              ;   in Loop: Header=BB1115_146 Depth=1
	s_or_b64 exec, exec, s[26:27]
	s_mov_b64 s[0:1], -1
	s_or_b64 s[18:19], s[18:19], exec
	s_and_saveexec_b64 s[22:23], s[24:25]
	s_cbranch_execz .LBB1115_145
; %bb.149:                              ;   in Loop: Header=BB1115_146 Depth=1
	v_lshl_add_u64 v[30:31], v[30:31], 0, -1
	v_cmp_eq_u64_e64 s[0:1], 0, v[30:31]
	v_lshl_add_u64 v[22:23], v[22:23], 0, 2
	v_lshl_add_u64 v[24:25], v[24:25], 0, 2
	s_andn2_b64 s[18:19], s[18:19], exec
	s_orn2_b64 s[0:1], s[0:1], exec
	s_branch .LBB1115_145
.LBB1115_150:
	s_or_b64 exec, exec, s[16:17]
	s_and_saveexec_b64 s[0:1], s[14:15]
	s_xor_b64 s[0:1], exec, s[0:1]
; %bb.151:
	v_cndmask_b32_e64 v23, v15, v17, s[6:7]
	v_cndmask_b32_e64 v22, v14, v16, s[6:7]
	;; [unrolled: 1-line block ×4, first 2 shown]
	v_mov_b64_e32 v[14:15], v[22:23]
; %bb.152:
	s_or_b64 exec, exec, s[0:1]
	s_or_b64 exec, exec, s[4:5]
	s_and_saveexec_b64 s[4:5], vcc
	s_cbranch_execz .LBB1115_15
.LBB1115_153:
	v_mul_lo_u32 v24, v11, v6
	v_mul_lo_u32 v25, v10, v7
	v_mad_u64_u32 v[22:23], s[0:1], v10, v6, 0
	v_add3_u32 v23, v23, v25, v24
	v_mul_lo_u32 v30, v13, v6
	v_mul_lo_u32 v31, v12, v7
	v_mad_u64_u32 v[24:25], s[0:1], v12, v6, 0
	v_add3_u32 v25, v25, v31, v30
	v_lshl_add_u64 v[22:23], v[22:23], 1, v[8:9]
	v_lshl_add_u64 v[24:25], v[24:25], 1, v[8:9]
	s_mov_b64 s[14:15], 0
	v_mov_b64_e32 v[30:31], v[6:7]
                                        ; implicit-def: $sgpr6_sgpr7
                                        ; implicit-def: $sgpr16_sgpr17
                                        ; implicit-def: $sgpr18_sgpr19
                                        ; implicit-def: $sgpr20_sgpr21
                                        ; implicit-def: $sgpr22_sgpr23
	s_branch .LBB1115_155
.LBB1115_154:                           ;   in Loop: Header=BB1115_155 Depth=1
	s_or_b64 exec, exec, s[22:23]
	s_and_b64 s[0:1], exec, s[0:1]
	s_or_b64 s[14:15], s[0:1], s[14:15]
	s_andn2_b64 s[0:1], s[16:17], exec
	s_and_b64 s[16:17], s[18:19], exec
	s_or_b64 s[16:17], s[0:1], s[16:17]
	s_andn2_b64 s[0:1], s[6:7], exec
	s_and_b64 s[6:7], s[20:21], exec
	s_or_b64 s[6:7], s[0:1], s[6:7]
	s_mov_b64 s[22:23], s[20:21]
	s_andn2_b64 exec, exec, s[14:15]
	s_cbranch_execz .LBB1115_159
.LBB1115_155:                           ; =>This Inner Loop Header: Depth=1
	flat_load_ushort v34, v[24:25]
	flat_load_ushort v35, v[22:23]
	s_or_b64 s[20:21], s[20:21], exec
	s_mov_b64 s[24:25], 0
	s_waitcnt vmcnt(0) lgkmcnt(0)
	v_lshlrev_b32_e32 v34, 16, v34
	v_lshlrev_b32_e32 v35, 16, v35
	v_cmp_nlt_f32_e64 s[0:1], v34, v35
	s_and_saveexec_b64 s[26:27], s[0:1]
; %bb.156:                              ;   in Loop: Header=BB1115_155 Depth=1
	v_cmp_ngt_f32_e64 s[0:1], v34, v35
	s_and_b64 s[22:23], s[0:1], s[22:23]
	s_andn2_b64 s[20:21], s[20:21], exec
	s_and_b64 s[22:23], s[22:23], exec
	s_or_b64 s[20:21], s[20:21], s[22:23]
	s_and_b64 s[24:25], s[0:1], exec
; %bb.157:                              ;   in Loop: Header=BB1115_155 Depth=1
	s_or_b64 exec, exec, s[26:27]
	s_mov_b64 s[0:1], -1
	s_or_b64 s[18:19], s[18:19], exec
	s_and_saveexec_b64 s[22:23], s[24:25]
	s_cbranch_execz .LBB1115_154
; %bb.158:                              ;   in Loop: Header=BB1115_155 Depth=1
	v_lshl_add_u64 v[30:31], v[30:31], 0, -1
	v_cmp_eq_u64_e64 s[0:1], 0, v[30:31]
	v_lshl_add_u64 v[22:23], v[22:23], 0, 2
	v_lshl_add_u64 v[24:25], v[24:25], 0, 2
	s_andn2_b64 s[18:19], s[18:19], exec
	s_orn2_b64 s[0:1], s[0:1], exec
	s_branch .LBB1115_154
.LBB1115_159:
	s_or_b64 exec, exec, s[14:15]
	s_and_saveexec_b64 s[0:1], s[16:17]
	s_xor_b64 s[0:1], exec, s[0:1]
; %bb.160:
	v_cndmask_b32_e64 v23, v11, v13, s[6:7]
	v_cndmask_b32_e64 v22, v10, v12, s[6:7]
	;; [unrolled: 1-line block ×4, first 2 shown]
	v_mov_b64_e32 v[10:11], v[22:23]
; %bb.161:
	s_or_b64 exec, exec, s[0:1]
	v_mul_lo_u32 v24, v1, v6
	v_mul_lo_u32 v25, v0, v7
	v_mad_u64_u32 v[22:23], s[0:1], v0, v6, 0
	v_add3_u32 v23, v23, v25, v24
	v_mul_lo_u32 v30, v3, v6
	v_mul_lo_u32 v31, v2, v7
	v_mad_u64_u32 v[24:25], s[0:1], v2, v6, 0
	v_add3_u32 v25, v25, v31, v30
	v_lshl_add_u64 v[22:23], v[22:23], 1, v[8:9]
	v_lshl_add_u64 v[24:25], v[24:25], 1, v[8:9]
	s_mov_b64 s[16:17], 0
	v_mov_b64_e32 v[30:31], v[6:7]
                                        ; implicit-def: $sgpr6_sgpr7
                                        ; implicit-def: $sgpr14_sgpr15
                                        ; implicit-def: $sgpr18_sgpr19
                                        ; implicit-def: $sgpr20_sgpr21
                                        ; implicit-def: $sgpr22_sgpr23
	s_branch .LBB1115_163
.LBB1115_162:                           ;   in Loop: Header=BB1115_163 Depth=1
	s_or_b64 exec, exec, s[22:23]
	s_and_b64 s[0:1], exec, s[0:1]
	s_or_b64 s[16:17], s[0:1], s[16:17]
	s_andn2_b64 s[0:1], s[14:15], exec
	s_and_b64 s[14:15], s[18:19], exec
	s_or_b64 s[14:15], s[0:1], s[14:15]
	s_andn2_b64 s[0:1], s[6:7], exec
	s_and_b64 s[6:7], s[20:21], exec
	s_or_b64 s[6:7], s[0:1], s[6:7]
	s_mov_b64 s[22:23], s[20:21]
	s_andn2_b64 exec, exec, s[16:17]
	s_cbranch_execz .LBB1115_167
.LBB1115_163:                           ; =>This Inner Loop Header: Depth=1
	flat_load_ushort v34, v[24:25]
	flat_load_ushort v35, v[22:23]
	s_or_b64 s[20:21], s[20:21], exec
	s_mov_b64 s[24:25], 0
	s_waitcnt vmcnt(0) lgkmcnt(0)
	v_lshlrev_b32_e32 v34, 16, v34
	v_lshlrev_b32_e32 v35, 16, v35
	v_cmp_nlt_f32_e64 s[0:1], v34, v35
	s_and_saveexec_b64 s[26:27], s[0:1]
; %bb.164:                              ;   in Loop: Header=BB1115_163 Depth=1
	v_cmp_ngt_f32_e64 s[0:1], v34, v35
	s_and_b64 s[22:23], s[0:1], s[22:23]
	s_andn2_b64 s[20:21], s[20:21], exec
	s_and_b64 s[22:23], s[22:23], exec
	s_or_b64 s[20:21], s[20:21], s[22:23]
	s_and_b64 s[24:25], s[0:1], exec
; %bb.165:                              ;   in Loop: Header=BB1115_163 Depth=1
	s_or_b64 exec, exec, s[26:27]
	s_mov_b64 s[0:1], -1
	s_or_b64 s[18:19], s[18:19], exec
	s_and_saveexec_b64 s[22:23], s[24:25]
	s_cbranch_execz .LBB1115_162
; %bb.166:                              ;   in Loop: Header=BB1115_163 Depth=1
	v_lshl_add_u64 v[30:31], v[30:31], 0, -1
	v_cmp_eq_u64_e64 s[0:1], 0, v[30:31]
	v_lshl_add_u64 v[22:23], v[22:23], 0, 2
	v_lshl_add_u64 v[24:25], v[24:25], 0, 2
	s_andn2_b64 s[18:19], s[18:19], exec
	s_orn2_b64 s[0:1], s[0:1], exec
	s_branch .LBB1115_162
.LBB1115_167:
	s_or_b64 exec, exec, s[16:17]
	s_and_saveexec_b64 s[0:1], s[14:15]
	s_xor_b64 s[0:1], exec, s[0:1]
; %bb.168:
	v_cndmask_b32_e64 v23, v1, v3, s[6:7]
	v_cndmask_b32_e64 v22, v0, v2, s[6:7]
	;; [unrolled: 1-line block ×4, first 2 shown]
	v_mov_b64_e32 v[0:1], v[22:23]
; %bb.169:
	s_or_b64 exec, exec, s[0:1]
	s_or_b64 exec, exec, s[4:5]
	s_and_saveexec_b64 s[4:5], vcc
	s_cbranch_execz .LBB1115_16
.LBB1115_170:
	v_mul_lo_u32 v24, v21, v6
	v_mul_lo_u32 v25, v20, v7
	v_mad_u64_u32 v[22:23], s[0:1], v20, v6, 0
	v_add3_u32 v23, v23, v25, v24
	v_mul_lo_u32 v30, v15, v6
	v_mul_lo_u32 v31, v14, v7
	v_mad_u64_u32 v[24:25], s[0:1], v14, v6, 0
	v_add3_u32 v25, v25, v31, v30
	v_lshl_add_u64 v[22:23], v[22:23], 1, v[8:9]
	v_lshl_add_u64 v[24:25], v[24:25], 1, v[8:9]
	s_mov_b64 s[14:15], 0
	v_mov_b64_e32 v[30:31], v[6:7]
                                        ; implicit-def: $sgpr6_sgpr7
                                        ; implicit-def: $sgpr16_sgpr17
                                        ; implicit-def: $sgpr18_sgpr19
                                        ; implicit-def: $sgpr20_sgpr21
                                        ; implicit-def: $sgpr22_sgpr23
	s_branch .LBB1115_172
.LBB1115_171:                           ;   in Loop: Header=BB1115_172 Depth=1
	s_or_b64 exec, exec, s[22:23]
	s_and_b64 s[0:1], exec, s[0:1]
	s_or_b64 s[14:15], s[0:1], s[14:15]
	s_andn2_b64 s[0:1], s[16:17], exec
	s_and_b64 s[16:17], s[18:19], exec
	s_or_b64 s[16:17], s[0:1], s[16:17]
	s_andn2_b64 s[0:1], s[6:7], exec
	s_and_b64 s[6:7], s[20:21], exec
	s_or_b64 s[6:7], s[0:1], s[6:7]
	s_mov_b64 s[22:23], s[20:21]
	s_andn2_b64 exec, exec, s[14:15]
	s_cbranch_execz .LBB1115_176
.LBB1115_172:                           ; =>This Inner Loop Header: Depth=1
	flat_load_ushort v34, v[24:25]
	flat_load_ushort v35, v[22:23]
	s_or_b64 s[20:21], s[20:21], exec
	s_mov_b64 s[24:25], 0
	s_waitcnt vmcnt(0) lgkmcnt(0)
	v_lshlrev_b32_e32 v34, 16, v34
	v_lshlrev_b32_e32 v35, 16, v35
	v_cmp_nlt_f32_e64 s[0:1], v34, v35
	s_and_saveexec_b64 s[26:27], s[0:1]
; %bb.173:                              ;   in Loop: Header=BB1115_172 Depth=1
	v_cmp_ngt_f32_e64 s[0:1], v34, v35
	s_and_b64 s[22:23], s[0:1], s[22:23]
	s_andn2_b64 s[20:21], s[20:21], exec
	s_and_b64 s[22:23], s[22:23], exec
	s_or_b64 s[20:21], s[20:21], s[22:23]
	s_and_b64 s[24:25], s[0:1], exec
; %bb.174:                              ;   in Loop: Header=BB1115_172 Depth=1
	s_or_b64 exec, exec, s[26:27]
	s_mov_b64 s[0:1], -1
	s_or_b64 s[18:19], s[18:19], exec
	s_and_saveexec_b64 s[22:23], s[24:25]
	s_cbranch_execz .LBB1115_171
; %bb.175:                              ;   in Loop: Header=BB1115_172 Depth=1
	v_lshl_add_u64 v[30:31], v[30:31], 0, -1
	v_cmp_eq_u64_e64 s[0:1], 0, v[30:31]
	v_lshl_add_u64 v[22:23], v[22:23], 0, 2
	v_lshl_add_u64 v[24:25], v[24:25], 0, 2
	s_andn2_b64 s[18:19], s[18:19], exec
	s_orn2_b64 s[0:1], s[0:1], exec
	s_branch .LBB1115_171
.LBB1115_176:
	s_or_b64 exec, exec, s[14:15]
	s_and_saveexec_b64 s[0:1], s[16:17]
	s_xor_b64 s[0:1], exec, s[0:1]
; %bb.177:
	v_cndmask_b32_e64 v23, v21, v15, s[6:7]
	v_cndmask_b32_e64 v22, v20, v14, s[6:7]
	;; [unrolled: 1-line block ×4, first 2 shown]
	v_mov_b64_e32 v[20:21], v[22:23]
; %bb.178:
	s_or_b64 exec, exec, s[0:1]
	v_mul_lo_u32 v24, v17, v6
	v_mul_lo_u32 v25, v16, v7
	v_mad_u64_u32 v[22:23], s[0:1], v16, v6, 0
	v_add3_u32 v23, v23, v25, v24
	v_mul_lo_u32 v30, v11, v6
	v_mul_lo_u32 v31, v10, v7
	v_mad_u64_u32 v[24:25], s[0:1], v10, v6, 0
	v_add3_u32 v25, v25, v31, v30
	v_lshl_add_u64 v[22:23], v[22:23], 1, v[8:9]
	v_lshl_add_u64 v[24:25], v[24:25], 1, v[8:9]
	s_mov_b64 s[16:17], 0
	v_mov_b64_e32 v[30:31], v[6:7]
                                        ; implicit-def: $sgpr6_sgpr7
                                        ; implicit-def: $sgpr14_sgpr15
                                        ; implicit-def: $sgpr18_sgpr19
                                        ; implicit-def: $sgpr20_sgpr21
                                        ; implicit-def: $sgpr22_sgpr23
	s_branch .LBB1115_180
.LBB1115_179:                           ;   in Loop: Header=BB1115_180 Depth=1
	s_or_b64 exec, exec, s[22:23]
	s_and_b64 s[0:1], exec, s[0:1]
	s_or_b64 s[16:17], s[0:1], s[16:17]
	s_andn2_b64 s[0:1], s[14:15], exec
	s_and_b64 s[14:15], s[18:19], exec
	s_or_b64 s[14:15], s[0:1], s[14:15]
	s_andn2_b64 s[0:1], s[6:7], exec
	s_and_b64 s[6:7], s[20:21], exec
	s_or_b64 s[6:7], s[0:1], s[6:7]
	s_mov_b64 s[22:23], s[20:21]
	s_andn2_b64 exec, exec, s[16:17]
	s_cbranch_execz .LBB1115_184
.LBB1115_180:                           ; =>This Inner Loop Header: Depth=1
	flat_load_ushort v34, v[24:25]
	flat_load_ushort v35, v[22:23]
	s_or_b64 s[20:21], s[20:21], exec
	s_mov_b64 s[24:25], 0
	s_waitcnt vmcnt(0) lgkmcnt(0)
	v_lshlrev_b32_e32 v34, 16, v34
	v_lshlrev_b32_e32 v35, 16, v35
	v_cmp_nlt_f32_e64 s[0:1], v34, v35
	s_and_saveexec_b64 s[26:27], s[0:1]
; %bb.181:                              ;   in Loop: Header=BB1115_180 Depth=1
	v_cmp_ngt_f32_e64 s[0:1], v34, v35
	s_and_b64 s[22:23], s[0:1], s[22:23]
	s_andn2_b64 s[20:21], s[20:21], exec
	s_and_b64 s[22:23], s[22:23], exec
	s_or_b64 s[20:21], s[20:21], s[22:23]
	s_and_b64 s[24:25], s[0:1], exec
; %bb.182:                              ;   in Loop: Header=BB1115_180 Depth=1
	s_or_b64 exec, exec, s[26:27]
	s_mov_b64 s[0:1], -1
	s_or_b64 s[18:19], s[18:19], exec
	s_and_saveexec_b64 s[22:23], s[24:25]
	s_cbranch_execz .LBB1115_179
; %bb.183:                              ;   in Loop: Header=BB1115_180 Depth=1
	v_lshl_add_u64 v[30:31], v[30:31], 0, -1
	v_cmp_eq_u64_e64 s[0:1], 0, v[30:31]
	v_lshl_add_u64 v[22:23], v[22:23], 0, 2
	v_lshl_add_u64 v[24:25], v[24:25], 0, 2
	s_andn2_b64 s[18:19], s[18:19], exec
	s_orn2_b64 s[0:1], s[0:1], exec
	s_branch .LBB1115_179
.LBB1115_184:
	s_or_b64 exec, exec, s[16:17]
	s_and_saveexec_b64 s[0:1], s[14:15]
	s_xor_b64 s[0:1], exec, s[0:1]
; %bb.185:
	v_cndmask_b32_e64 v23, v17, v11, s[6:7]
	v_cndmask_b32_e64 v22, v16, v10, s[6:7]
	;; [unrolled: 1-line block ×4, first 2 shown]
	v_mov_b64_e32 v[16:17], v[22:23]
; %bb.186:
	s_or_b64 exec, exec, s[0:1]
	s_or_b64 exec, exec, s[4:5]
	s_and_saveexec_b64 s[4:5], vcc
	s_cbranch_execz .LBB1115_252
.LBB1115_187:
	v_mul_lo_u32 v24, v13, v6
	v_mul_lo_u32 v25, v12, v7
	v_mad_u64_u32 v[22:23], s[0:1], v12, v6, 0
	v_add3_u32 v23, v23, v25, v24
	v_mul_lo_u32 v30, v1, v6
	v_mul_lo_u32 v31, v0, v7
	v_mad_u64_u32 v[24:25], s[0:1], v0, v6, 0
	v_add3_u32 v25, v25, v31, v30
	v_lshl_add_u64 v[22:23], v[22:23], 1, v[8:9]
	v_lshl_add_u64 v[24:25], v[24:25], 1, v[8:9]
	s_mov_b64 s[14:15], 0
	v_mov_b64_e32 v[30:31], v[6:7]
                                        ; implicit-def: $sgpr6_sgpr7
                                        ; implicit-def: $sgpr16_sgpr17
                                        ; implicit-def: $sgpr18_sgpr19
                                        ; implicit-def: $sgpr20_sgpr21
                                        ; implicit-def: $sgpr22_sgpr23
	s_branch .LBB1115_189
.LBB1115_188:                           ;   in Loop: Header=BB1115_189 Depth=1
	s_or_b64 exec, exec, s[22:23]
	s_and_b64 s[0:1], exec, s[0:1]
	s_or_b64 s[14:15], s[0:1], s[14:15]
	s_andn2_b64 s[0:1], s[16:17], exec
	s_and_b64 s[16:17], s[18:19], exec
	s_or_b64 s[16:17], s[0:1], s[16:17]
	s_andn2_b64 s[0:1], s[6:7], exec
	s_and_b64 s[6:7], s[20:21], exec
	s_or_b64 s[6:7], s[0:1], s[6:7]
	s_mov_b64 s[22:23], s[20:21]
	s_andn2_b64 exec, exec, s[14:15]
	s_cbranch_execz .LBB1115_193
.LBB1115_189:                           ; =>This Inner Loop Header: Depth=1
	flat_load_ushort v34, v[24:25]
	flat_load_ushort v35, v[22:23]
	s_or_b64 s[20:21], s[20:21], exec
	s_mov_b64 s[24:25], 0
	s_waitcnt vmcnt(0) lgkmcnt(0)
	v_lshlrev_b32_e32 v34, 16, v34
	v_lshlrev_b32_e32 v35, 16, v35
	v_cmp_nlt_f32_e64 s[0:1], v34, v35
	s_and_saveexec_b64 s[26:27], s[0:1]
; %bb.190:                              ;   in Loop: Header=BB1115_189 Depth=1
	v_cmp_ngt_f32_e64 s[0:1], v34, v35
	s_and_b64 s[22:23], s[0:1], s[22:23]
	s_andn2_b64 s[20:21], s[20:21], exec
	s_and_b64 s[22:23], s[22:23], exec
	s_or_b64 s[20:21], s[20:21], s[22:23]
	s_and_b64 s[24:25], s[0:1], exec
; %bb.191:                              ;   in Loop: Header=BB1115_189 Depth=1
	s_or_b64 exec, exec, s[26:27]
	s_mov_b64 s[0:1], -1
	s_or_b64 s[18:19], s[18:19], exec
	s_and_saveexec_b64 s[22:23], s[24:25]
	s_cbranch_execz .LBB1115_188
; %bb.192:                              ;   in Loop: Header=BB1115_189 Depth=1
	v_lshl_add_u64 v[30:31], v[30:31], 0, -1
	v_cmp_eq_u64_e64 s[0:1], 0, v[30:31]
	v_lshl_add_u64 v[22:23], v[22:23], 0, 2
	v_lshl_add_u64 v[24:25], v[24:25], 0, 2
	s_andn2_b64 s[18:19], s[18:19], exec
	s_orn2_b64 s[0:1], s[0:1], exec
	s_branch .LBB1115_188
.LBB1115_193:
	s_or_b64 exec, exec, s[14:15]
	s_and_saveexec_b64 s[0:1], s[16:17]
	s_xor_b64 s[0:1], exec, s[0:1]
; %bb.194:
	v_cndmask_b32_e64 v23, v13, v1, s[6:7]
	v_cndmask_b32_e64 v22, v12, v0, s[6:7]
	;; [unrolled: 1-line block ×4, first 2 shown]
	v_mov_b64_e32 v[12:13], v[22:23]
; %bb.195:
	s_or_b64 exec, exec, s[0:1]
	v_mul_lo_u32 v24, v19, v6
	v_mul_lo_u32 v25, v18, v7
	v_mad_u64_u32 v[22:23], s[0:1], v18, v6, 0
	v_add3_u32 v23, v23, v25, v24
	v_mul_lo_u32 v30, v21, v6
	v_mul_lo_u32 v31, v20, v7
	v_mad_u64_u32 v[24:25], s[0:1], v20, v6, 0
	v_add3_u32 v25, v25, v31, v30
	v_lshl_add_u64 v[22:23], v[22:23], 1, v[8:9]
	v_lshl_add_u64 v[24:25], v[24:25], 1, v[8:9]
	s_mov_b64 s[14:15], 0
	v_mov_b64_e32 v[30:31], v[6:7]
                                        ; implicit-def: $sgpr6_sgpr7
                                        ; implicit-def: $sgpr16_sgpr17
                                        ; implicit-def: $sgpr18_sgpr19
                                        ; implicit-def: $sgpr20_sgpr21
                                        ; implicit-def: $sgpr22_sgpr23
	s_branch .LBB1115_197
.LBB1115_196:                           ;   in Loop: Header=BB1115_197 Depth=1
	s_or_b64 exec, exec, s[22:23]
	s_and_b64 s[0:1], exec, s[0:1]
	s_or_b64 s[14:15], s[0:1], s[14:15]
	s_andn2_b64 s[0:1], s[16:17], exec
	s_and_b64 s[16:17], s[18:19], exec
	s_or_b64 s[16:17], s[0:1], s[16:17]
	s_andn2_b64 s[0:1], s[6:7], exec
	s_and_b64 s[6:7], s[20:21], exec
	s_or_b64 s[6:7], s[0:1], s[6:7]
	s_mov_b64 s[22:23], s[20:21]
	s_andn2_b64 exec, exec, s[14:15]
	s_cbranch_execz .LBB1115_201
.LBB1115_197:                           ; =>This Inner Loop Header: Depth=1
	flat_load_ushort v34, v[24:25]
	flat_load_ushort v35, v[22:23]
	s_or_b64 s[20:21], s[20:21], exec
	s_mov_b64 s[24:25], 0
	s_waitcnt vmcnt(0) lgkmcnt(0)
	v_lshlrev_b32_e32 v34, 16, v34
	v_lshlrev_b32_e32 v35, 16, v35
	v_cmp_nlt_f32_e64 s[0:1], v34, v35
	s_and_saveexec_b64 s[26:27], s[0:1]
; %bb.198:                              ;   in Loop: Header=BB1115_197 Depth=1
	v_cmp_ngt_f32_e64 s[0:1], v34, v35
	s_and_b64 s[22:23], s[0:1], s[22:23]
	s_andn2_b64 s[20:21], s[20:21], exec
	s_and_b64 s[22:23], s[22:23], exec
	s_or_b64 s[20:21], s[20:21], s[22:23]
	s_and_b64 s[24:25], s[0:1], exec
; %bb.199:                              ;   in Loop: Header=BB1115_197 Depth=1
	s_or_b64 exec, exec, s[26:27]
	s_mov_b64 s[0:1], -1
	s_or_b64 s[18:19], s[18:19], exec
	s_and_saveexec_b64 s[22:23], s[24:25]
	s_cbranch_execz .LBB1115_196
; %bb.200:                              ;   in Loop: Header=BB1115_197 Depth=1
	v_lshl_add_u64 v[30:31], v[30:31], 0, -1
	v_cmp_eq_u64_e64 s[0:1], 0, v[30:31]
	v_lshl_add_u64 v[22:23], v[22:23], 0, 2
	v_lshl_add_u64 v[24:25], v[24:25], 0, 2
	s_andn2_b64 s[18:19], s[18:19], exec
	s_orn2_b64 s[0:1], s[0:1], exec
	s_branch .LBB1115_196
.LBB1115_201:
	s_or_b64 exec, exec, s[14:15]
	s_and_saveexec_b64 s[0:1], s[16:17]
	s_xor_b64 s[0:1], exec, s[0:1]
; %bb.202:
	v_cndmask_b32_e64 v23, v21, v19, s[6:7]
	v_cndmask_b32_e64 v22, v20, v18, s[6:7]
	;; [unrolled: 1-line block ×4, first 2 shown]
	v_mov_b64_e32 v[20:21], v[22:23]
; %bb.203:
	s_or_b64 exec, exec, s[0:1]
	v_mul_lo_u32 v24, v15, v6
	v_mul_lo_u32 v25, v14, v7
	v_mad_u64_u32 v[22:23], s[0:1], v14, v6, 0
	v_add3_u32 v23, v23, v25, v24
	v_mul_lo_u32 v30, v17, v6
	v_mul_lo_u32 v31, v16, v7
	v_mad_u64_u32 v[24:25], s[0:1], v16, v6, 0
	v_add3_u32 v25, v25, v31, v30
	v_lshl_add_u64 v[22:23], v[22:23], 1, v[8:9]
	v_lshl_add_u64 v[24:25], v[24:25], 1, v[8:9]
	s_mov_b64 s[14:15], 0
	v_mov_b64_e32 v[30:31], v[6:7]
                                        ; implicit-def: $sgpr6_sgpr7
                                        ; implicit-def: $sgpr16_sgpr17
                                        ; implicit-def: $sgpr18_sgpr19
                                        ; implicit-def: $sgpr20_sgpr21
                                        ; implicit-def: $sgpr22_sgpr23
	s_branch .LBB1115_205
.LBB1115_204:                           ;   in Loop: Header=BB1115_205 Depth=1
	s_or_b64 exec, exec, s[22:23]
	s_and_b64 s[0:1], exec, s[0:1]
	s_or_b64 s[14:15], s[0:1], s[14:15]
	s_andn2_b64 s[0:1], s[16:17], exec
	s_and_b64 s[16:17], s[18:19], exec
	s_or_b64 s[16:17], s[0:1], s[16:17]
	s_andn2_b64 s[0:1], s[6:7], exec
	s_and_b64 s[6:7], s[20:21], exec
	s_or_b64 s[6:7], s[0:1], s[6:7]
	s_mov_b64 s[22:23], s[20:21]
	s_andn2_b64 exec, exec, s[14:15]
	s_cbranch_execz .LBB1115_209
.LBB1115_205:                           ; =>This Inner Loop Header: Depth=1
	flat_load_ushort v34, v[24:25]
	flat_load_ushort v35, v[22:23]
	s_or_b64 s[20:21], s[20:21], exec
	s_mov_b64 s[24:25], 0
	s_waitcnt vmcnt(0) lgkmcnt(0)
	v_lshlrev_b32_e32 v34, 16, v34
	v_lshlrev_b32_e32 v35, 16, v35
	v_cmp_nlt_f32_e64 s[0:1], v34, v35
	s_and_saveexec_b64 s[26:27], s[0:1]
; %bb.206:                              ;   in Loop: Header=BB1115_205 Depth=1
	v_cmp_ngt_f32_e64 s[0:1], v34, v35
	s_and_b64 s[22:23], s[0:1], s[22:23]
	s_andn2_b64 s[20:21], s[20:21], exec
	s_and_b64 s[22:23], s[22:23], exec
	s_or_b64 s[20:21], s[20:21], s[22:23]
	s_and_b64 s[24:25], s[0:1], exec
; %bb.207:                              ;   in Loop: Header=BB1115_205 Depth=1
	s_or_b64 exec, exec, s[26:27]
	s_mov_b64 s[0:1], -1
	s_or_b64 s[18:19], s[18:19], exec
	s_and_saveexec_b64 s[22:23], s[24:25]
	s_cbranch_execz .LBB1115_204
; %bb.208:                              ;   in Loop: Header=BB1115_205 Depth=1
	v_lshl_add_u64 v[30:31], v[30:31], 0, -1
	v_cmp_eq_u64_e64 s[0:1], 0, v[30:31]
	v_lshl_add_u64 v[22:23], v[22:23], 0, 2
	v_lshl_add_u64 v[24:25], v[24:25], 0, 2
	s_andn2_b64 s[18:19], s[18:19], exec
	s_orn2_b64 s[0:1], s[0:1], exec
	s_branch .LBB1115_204
.LBB1115_209:
	s_or_b64 exec, exec, s[14:15]
	s_and_saveexec_b64 s[0:1], s[16:17]
	s_xor_b64 s[0:1], exec, s[0:1]
; %bb.210:
	v_cndmask_b32_e64 v23, v15, v17, s[6:7]
	v_cndmask_b32_e64 v22, v14, v16, s[6:7]
	;; [unrolled: 1-line block ×4, first 2 shown]
	v_mov_b64_e32 v[14:15], v[22:23]
; %bb.211:
	s_or_b64 exec, exec, s[0:1]
	v_mul_lo_u32 v24, v11, v6
	v_mul_lo_u32 v25, v10, v7
	v_mad_u64_u32 v[22:23], s[0:1], v10, v6, 0
	v_add3_u32 v23, v23, v25, v24
	v_mul_lo_u32 v30, v13, v6
	v_mul_lo_u32 v31, v12, v7
	v_mad_u64_u32 v[24:25], s[0:1], v12, v6, 0
	v_add3_u32 v25, v25, v31, v30
	v_lshl_add_u64 v[22:23], v[22:23], 1, v[8:9]
	v_lshl_add_u64 v[24:25], v[24:25], 1, v[8:9]
	s_mov_b64 s[14:15], 0
	v_mov_b64_e32 v[30:31], v[6:7]
                                        ; implicit-def: $sgpr6_sgpr7
                                        ; implicit-def: $sgpr16_sgpr17
                                        ; implicit-def: $sgpr18_sgpr19
                                        ; implicit-def: $sgpr20_sgpr21
                                        ; implicit-def: $sgpr22_sgpr23
	s_branch .LBB1115_213
.LBB1115_212:                           ;   in Loop: Header=BB1115_213 Depth=1
	s_or_b64 exec, exec, s[22:23]
	s_and_b64 s[0:1], exec, s[0:1]
	s_or_b64 s[14:15], s[0:1], s[14:15]
	s_andn2_b64 s[0:1], s[16:17], exec
	s_and_b64 s[16:17], s[18:19], exec
	s_or_b64 s[16:17], s[0:1], s[16:17]
	s_andn2_b64 s[0:1], s[6:7], exec
	s_and_b64 s[6:7], s[20:21], exec
	s_or_b64 s[6:7], s[0:1], s[6:7]
	s_mov_b64 s[22:23], s[20:21]
	s_andn2_b64 exec, exec, s[14:15]
	s_cbranch_execz .LBB1115_217
.LBB1115_213:                           ; =>This Inner Loop Header: Depth=1
	flat_load_ushort v34, v[24:25]
	flat_load_ushort v35, v[22:23]
	s_or_b64 s[20:21], s[20:21], exec
	s_mov_b64 s[24:25], 0
	s_waitcnt vmcnt(0) lgkmcnt(0)
	v_lshlrev_b32_e32 v34, 16, v34
	v_lshlrev_b32_e32 v35, 16, v35
	v_cmp_nlt_f32_e64 s[0:1], v34, v35
	s_and_saveexec_b64 s[26:27], s[0:1]
; %bb.214:                              ;   in Loop: Header=BB1115_213 Depth=1
	v_cmp_ngt_f32_e64 s[0:1], v34, v35
	s_and_b64 s[22:23], s[0:1], s[22:23]
	s_andn2_b64 s[20:21], s[20:21], exec
	s_and_b64 s[22:23], s[22:23], exec
	s_or_b64 s[20:21], s[20:21], s[22:23]
	s_and_b64 s[24:25], s[0:1], exec
; %bb.215:                              ;   in Loop: Header=BB1115_213 Depth=1
	s_or_b64 exec, exec, s[26:27]
	s_mov_b64 s[0:1], -1
	s_or_b64 s[18:19], s[18:19], exec
	s_and_saveexec_b64 s[22:23], s[24:25]
	s_cbranch_execz .LBB1115_212
; %bb.216:                              ;   in Loop: Header=BB1115_213 Depth=1
	v_lshl_add_u64 v[30:31], v[30:31], 0, -1
	v_cmp_eq_u64_e64 s[0:1], 0, v[30:31]
	v_lshl_add_u64 v[22:23], v[22:23], 0, 2
	v_lshl_add_u64 v[24:25], v[24:25], 0, 2
	s_andn2_b64 s[18:19], s[18:19], exec
	s_orn2_b64 s[0:1], s[0:1], exec
	s_branch .LBB1115_212
.LBB1115_217:
	s_or_b64 exec, exec, s[14:15]
	s_and_saveexec_b64 s[0:1], s[16:17]
	s_xor_b64 s[0:1], exec, s[0:1]
; %bb.218:
	v_cndmask_b32_e64 v23, v11, v13, s[6:7]
	v_cndmask_b32_e64 v22, v10, v12, s[6:7]
	;; [unrolled: 1-line block ×4, first 2 shown]
	v_mov_b64_e32 v[10:11], v[22:23]
; %bb.219:
	s_or_b64 exec, exec, s[0:1]
	v_mul_lo_u32 v24, v1, v6
	v_mul_lo_u32 v25, v0, v7
	v_mad_u64_u32 v[22:23], s[0:1], v0, v6, 0
	v_add3_u32 v23, v23, v25, v24
	v_mul_lo_u32 v30, v3, v6
	v_mul_lo_u32 v31, v2, v7
	v_mad_u64_u32 v[24:25], s[0:1], v2, v6, 0
	v_add3_u32 v25, v25, v31, v30
	v_lshl_add_u64 v[22:23], v[22:23], 1, v[8:9]
	v_lshl_add_u64 v[24:25], v[24:25], 1, v[8:9]
	s_mov_b64 s[14:15], 0
	v_mov_b64_e32 v[30:31], v[6:7]
                                        ; implicit-def: $sgpr6_sgpr7
                                        ; implicit-def: $sgpr16_sgpr17
                                        ; implicit-def: $sgpr18_sgpr19
                                        ; implicit-def: $sgpr20_sgpr21
                                        ; implicit-def: $sgpr22_sgpr23
	s_branch .LBB1115_221
.LBB1115_220:                           ;   in Loop: Header=BB1115_221 Depth=1
	s_or_b64 exec, exec, s[22:23]
	s_and_b64 s[0:1], exec, s[0:1]
	s_or_b64 s[14:15], s[0:1], s[14:15]
	s_andn2_b64 s[0:1], s[16:17], exec
	s_and_b64 s[16:17], s[18:19], exec
	s_or_b64 s[16:17], s[0:1], s[16:17]
	s_andn2_b64 s[0:1], s[6:7], exec
	s_and_b64 s[6:7], s[20:21], exec
	s_or_b64 s[6:7], s[0:1], s[6:7]
	s_mov_b64 s[22:23], s[20:21]
	s_andn2_b64 exec, exec, s[14:15]
	s_cbranch_execz .LBB1115_225
.LBB1115_221:                           ; =>This Inner Loop Header: Depth=1
	flat_load_ushort v34, v[24:25]
	flat_load_ushort v35, v[22:23]
	s_or_b64 s[20:21], s[20:21], exec
	s_mov_b64 s[24:25], 0
	s_waitcnt vmcnt(0) lgkmcnt(0)
	v_lshlrev_b32_e32 v34, 16, v34
	v_lshlrev_b32_e32 v35, 16, v35
	v_cmp_nlt_f32_e64 s[0:1], v34, v35
	s_and_saveexec_b64 s[26:27], s[0:1]
; %bb.222:                              ;   in Loop: Header=BB1115_221 Depth=1
	v_cmp_ngt_f32_e64 s[0:1], v34, v35
	s_and_b64 s[22:23], s[0:1], s[22:23]
	s_andn2_b64 s[20:21], s[20:21], exec
	s_and_b64 s[22:23], s[22:23], exec
	s_or_b64 s[20:21], s[20:21], s[22:23]
	s_and_b64 s[24:25], s[0:1], exec
; %bb.223:                              ;   in Loop: Header=BB1115_221 Depth=1
	s_or_b64 exec, exec, s[26:27]
	s_mov_b64 s[0:1], -1
	s_or_b64 s[18:19], s[18:19], exec
	s_and_saveexec_b64 s[22:23], s[24:25]
	s_cbranch_execz .LBB1115_220
; %bb.224:                              ;   in Loop: Header=BB1115_221 Depth=1
	v_lshl_add_u64 v[30:31], v[30:31], 0, -1
	v_cmp_eq_u64_e64 s[0:1], 0, v[30:31]
	v_lshl_add_u64 v[22:23], v[22:23], 0, 2
	v_lshl_add_u64 v[24:25], v[24:25], 0, 2
	s_andn2_b64 s[18:19], s[18:19], exec
	s_orn2_b64 s[0:1], s[0:1], exec
	s_branch .LBB1115_220
.LBB1115_225:
	s_or_b64 exec, exec, s[14:15]
	s_and_saveexec_b64 s[0:1], s[16:17]
	s_xor_b64 s[0:1], exec, s[0:1]
; %bb.226:
	v_cndmask_b32_e64 v23, v1, v3, s[6:7]
	v_cndmask_b32_e64 v22, v0, v2, s[6:7]
	;; [unrolled: 1-line block ×4, first 2 shown]
	v_mov_b64_e32 v[0:1], v[22:23]
; %bb.227:
	s_or_b64 exec, exec, s[0:1]
	v_mul_lo_u32 v24, v21, v6
	v_mul_lo_u32 v25, v20, v7
	v_mad_u64_u32 v[22:23], s[0:1], v20, v6, 0
	v_add3_u32 v23, v23, v25, v24
	v_mul_lo_u32 v30, v15, v6
	v_mul_lo_u32 v31, v14, v7
	v_mad_u64_u32 v[24:25], s[0:1], v14, v6, 0
	v_add3_u32 v25, v25, v31, v30
	v_lshl_add_u64 v[22:23], v[22:23], 1, v[8:9]
	v_lshl_add_u64 v[24:25], v[24:25], 1, v[8:9]
	s_mov_b64 s[14:15], 0
	v_mov_b64_e32 v[30:31], v[6:7]
                                        ; implicit-def: $sgpr6_sgpr7
                                        ; implicit-def: $sgpr16_sgpr17
                                        ; implicit-def: $sgpr18_sgpr19
                                        ; implicit-def: $sgpr20_sgpr21
                                        ; implicit-def: $sgpr22_sgpr23
	s_branch .LBB1115_229
.LBB1115_228:                           ;   in Loop: Header=BB1115_229 Depth=1
	s_or_b64 exec, exec, s[22:23]
	s_and_b64 s[0:1], exec, s[0:1]
	s_or_b64 s[14:15], s[0:1], s[14:15]
	s_andn2_b64 s[0:1], s[16:17], exec
	s_and_b64 s[16:17], s[18:19], exec
	s_or_b64 s[16:17], s[0:1], s[16:17]
	s_andn2_b64 s[0:1], s[6:7], exec
	s_and_b64 s[6:7], s[20:21], exec
	s_or_b64 s[6:7], s[0:1], s[6:7]
	s_mov_b64 s[22:23], s[20:21]
	s_andn2_b64 exec, exec, s[14:15]
	s_cbranch_execz .LBB1115_233
.LBB1115_229:                           ; =>This Inner Loop Header: Depth=1
	flat_load_ushort v34, v[24:25]
	flat_load_ushort v35, v[22:23]
	s_or_b64 s[20:21], s[20:21], exec
	s_mov_b64 s[24:25], 0
	s_waitcnt vmcnt(0) lgkmcnt(0)
	v_lshlrev_b32_e32 v34, 16, v34
	v_lshlrev_b32_e32 v35, 16, v35
	v_cmp_nlt_f32_e64 s[0:1], v34, v35
	s_and_saveexec_b64 s[26:27], s[0:1]
; %bb.230:                              ;   in Loop: Header=BB1115_229 Depth=1
	v_cmp_ngt_f32_e64 s[0:1], v34, v35
	s_and_b64 s[22:23], s[0:1], s[22:23]
	s_andn2_b64 s[20:21], s[20:21], exec
	s_and_b64 s[22:23], s[22:23], exec
	s_or_b64 s[20:21], s[20:21], s[22:23]
	s_and_b64 s[24:25], s[0:1], exec
; %bb.231:                              ;   in Loop: Header=BB1115_229 Depth=1
	s_or_b64 exec, exec, s[26:27]
	s_mov_b64 s[0:1], -1
	s_or_b64 s[18:19], s[18:19], exec
	s_and_saveexec_b64 s[22:23], s[24:25]
	s_cbranch_execz .LBB1115_228
; %bb.232:                              ;   in Loop: Header=BB1115_229 Depth=1
	v_lshl_add_u64 v[30:31], v[30:31], 0, -1
	v_cmp_eq_u64_e64 s[0:1], 0, v[30:31]
	v_lshl_add_u64 v[22:23], v[22:23], 0, 2
	v_lshl_add_u64 v[24:25], v[24:25], 0, 2
	s_andn2_b64 s[18:19], s[18:19], exec
	s_orn2_b64 s[0:1], s[0:1], exec
	s_branch .LBB1115_228
.LBB1115_233:
	s_or_b64 exec, exec, s[14:15]
	s_and_saveexec_b64 s[0:1], s[16:17]
	s_xor_b64 s[0:1], exec, s[0:1]
; %bb.234:
	v_cndmask_b32_e64 v23, v21, v15, s[6:7]
	v_cndmask_b32_e64 v22, v20, v14, s[6:7]
	;; [unrolled: 1-line block ×4, first 2 shown]
	v_mov_b64_e32 v[20:21], v[22:23]
; %bb.235:
	s_or_b64 exec, exec, s[0:1]
	v_mul_lo_u32 v24, v17, v6
	v_mul_lo_u32 v25, v16, v7
	v_mad_u64_u32 v[22:23], s[0:1], v16, v6, 0
	v_add3_u32 v23, v23, v25, v24
	v_mul_lo_u32 v30, v11, v6
	v_mul_lo_u32 v31, v10, v7
	v_mad_u64_u32 v[24:25], s[0:1], v10, v6, 0
	v_add3_u32 v25, v25, v31, v30
	v_lshl_add_u64 v[22:23], v[22:23], 1, v[8:9]
	v_lshl_add_u64 v[24:25], v[24:25], 1, v[8:9]
	s_mov_b64 s[14:15], 0
	v_mov_b64_e32 v[30:31], v[6:7]
                                        ; implicit-def: $sgpr6_sgpr7
                                        ; implicit-def: $sgpr16_sgpr17
                                        ; implicit-def: $sgpr18_sgpr19
                                        ; implicit-def: $sgpr20_sgpr21
                                        ; implicit-def: $sgpr22_sgpr23
	s_branch .LBB1115_237
.LBB1115_236:                           ;   in Loop: Header=BB1115_237 Depth=1
	s_or_b64 exec, exec, s[22:23]
	s_and_b64 s[0:1], exec, s[0:1]
	s_or_b64 s[14:15], s[0:1], s[14:15]
	s_andn2_b64 s[0:1], s[16:17], exec
	s_and_b64 s[16:17], s[18:19], exec
	s_or_b64 s[16:17], s[0:1], s[16:17]
	s_andn2_b64 s[0:1], s[6:7], exec
	s_and_b64 s[6:7], s[20:21], exec
	s_or_b64 s[6:7], s[0:1], s[6:7]
	s_mov_b64 s[22:23], s[20:21]
	s_andn2_b64 exec, exec, s[14:15]
	s_cbranch_execz .LBB1115_241
.LBB1115_237:                           ; =>This Inner Loop Header: Depth=1
	flat_load_ushort v34, v[24:25]
	flat_load_ushort v35, v[22:23]
	s_or_b64 s[20:21], s[20:21], exec
	s_mov_b64 s[24:25], 0
	s_waitcnt vmcnt(0) lgkmcnt(0)
	v_lshlrev_b32_e32 v34, 16, v34
	v_lshlrev_b32_e32 v35, 16, v35
	v_cmp_nlt_f32_e64 s[0:1], v34, v35
	s_and_saveexec_b64 s[26:27], s[0:1]
; %bb.238:                              ;   in Loop: Header=BB1115_237 Depth=1
	v_cmp_ngt_f32_e64 s[0:1], v34, v35
	s_and_b64 s[22:23], s[0:1], s[22:23]
	s_andn2_b64 s[20:21], s[20:21], exec
	s_and_b64 s[22:23], s[22:23], exec
	s_or_b64 s[20:21], s[20:21], s[22:23]
	s_and_b64 s[24:25], s[0:1], exec
; %bb.239:                              ;   in Loop: Header=BB1115_237 Depth=1
	s_or_b64 exec, exec, s[26:27]
	s_mov_b64 s[0:1], -1
	s_or_b64 s[18:19], s[18:19], exec
	s_and_saveexec_b64 s[22:23], s[24:25]
	s_cbranch_execz .LBB1115_236
; %bb.240:                              ;   in Loop: Header=BB1115_237 Depth=1
	v_lshl_add_u64 v[30:31], v[30:31], 0, -1
	v_cmp_eq_u64_e64 s[0:1], 0, v[30:31]
	v_lshl_add_u64 v[22:23], v[22:23], 0, 2
	v_lshl_add_u64 v[24:25], v[24:25], 0, 2
	s_andn2_b64 s[18:19], s[18:19], exec
	s_orn2_b64 s[0:1], s[0:1], exec
	s_branch .LBB1115_236
.LBB1115_241:
	s_or_b64 exec, exec, s[14:15]
	s_and_saveexec_b64 s[0:1], s[16:17]
	s_xor_b64 s[0:1], exec, s[0:1]
; %bb.242:
	v_cndmask_b32_e64 v23, v17, v11, s[6:7]
	v_cndmask_b32_e64 v22, v16, v10, s[6:7]
	;; [unrolled: 1-line block ×4, first 2 shown]
	v_mov_b64_e32 v[16:17], v[22:23]
; %bb.243:
	s_or_b64 exec, exec, s[0:1]
	v_mul_lo_u32 v24, v13, v6
	v_mul_lo_u32 v25, v12, v7
	v_mad_u64_u32 v[22:23], s[0:1], v12, v6, 0
	v_add3_u32 v23, v23, v25, v24
	v_mul_lo_u32 v30, v1, v6
	v_mul_lo_u32 v31, v0, v7
	v_mad_u64_u32 v[24:25], s[0:1], v0, v6, 0
	v_add3_u32 v25, v25, v31, v30
	v_lshl_add_u64 v[22:23], v[22:23], 1, v[8:9]
	v_lshl_add_u64 v[24:25], v[24:25], 1, v[8:9]
	s_mov_b64 s[16:17], 0
	v_mov_b64_e32 v[30:31], v[6:7]
                                        ; implicit-def: $sgpr6_sgpr7
                                        ; implicit-def: $sgpr14_sgpr15
                                        ; implicit-def: $sgpr18_sgpr19
                                        ; implicit-def: $sgpr20_sgpr21
                                        ; implicit-def: $sgpr22_sgpr23
	s_branch .LBB1115_245
.LBB1115_244:                           ;   in Loop: Header=BB1115_245 Depth=1
	s_or_b64 exec, exec, s[22:23]
	s_and_b64 s[0:1], exec, s[0:1]
	s_or_b64 s[16:17], s[0:1], s[16:17]
	s_andn2_b64 s[0:1], s[14:15], exec
	s_and_b64 s[14:15], s[18:19], exec
	s_or_b64 s[14:15], s[0:1], s[14:15]
	s_andn2_b64 s[0:1], s[6:7], exec
	s_and_b64 s[6:7], s[20:21], exec
	s_or_b64 s[6:7], s[0:1], s[6:7]
	s_mov_b64 s[22:23], s[20:21]
	s_andn2_b64 exec, exec, s[16:17]
	s_cbranch_execz .LBB1115_249
.LBB1115_245:                           ; =>This Inner Loop Header: Depth=1
	flat_load_ushort v34, v[24:25]
	flat_load_ushort v35, v[22:23]
	s_or_b64 s[20:21], s[20:21], exec
	s_mov_b64 s[24:25], 0
	s_waitcnt vmcnt(0) lgkmcnt(0)
	v_lshlrev_b32_e32 v34, 16, v34
	v_lshlrev_b32_e32 v35, 16, v35
	v_cmp_nlt_f32_e64 s[0:1], v34, v35
	s_and_saveexec_b64 s[26:27], s[0:1]
; %bb.246:                              ;   in Loop: Header=BB1115_245 Depth=1
	v_cmp_ngt_f32_e64 s[0:1], v34, v35
	s_and_b64 s[22:23], s[0:1], s[22:23]
	s_andn2_b64 s[20:21], s[20:21], exec
	s_and_b64 s[22:23], s[22:23], exec
	s_or_b64 s[20:21], s[20:21], s[22:23]
	s_and_b64 s[24:25], s[0:1], exec
; %bb.247:                              ;   in Loop: Header=BB1115_245 Depth=1
	s_or_b64 exec, exec, s[26:27]
	s_mov_b64 s[0:1], -1
	s_or_b64 s[18:19], s[18:19], exec
	s_and_saveexec_b64 s[22:23], s[24:25]
	s_cbranch_execz .LBB1115_244
; %bb.248:                              ;   in Loop: Header=BB1115_245 Depth=1
	v_lshl_add_u64 v[30:31], v[30:31], 0, -1
	v_cmp_eq_u64_e64 s[0:1], 0, v[30:31]
	v_lshl_add_u64 v[22:23], v[22:23], 0, 2
	v_lshl_add_u64 v[24:25], v[24:25], 0, 2
	s_andn2_b64 s[18:19], s[18:19], exec
	s_orn2_b64 s[0:1], s[0:1], exec
	s_branch .LBB1115_244
.LBB1115_249:
	s_or_b64 exec, exec, s[16:17]
	s_and_saveexec_b64 s[0:1], s[14:15]
	s_xor_b64 s[0:1], exec, s[0:1]
; %bb.250:
	v_cndmask_b32_e64 v23, v13, v1, s[6:7]
	v_cndmask_b32_e64 v22, v12, v0, s[6:7]
	;; [unrolled: 1-line block ×4, first 2 shown]
	v_mov_b64_e32 v[12:13], v[22:23]
; %bb.251:
	s_or_b64 exec, exec, s[0:1]
.LBB1115_252:
	s_or_b64 exec, exec, s[4:5]
.LBB1115_253:
	s_or_b64 exec, exec, s[2:3]
	s_mov_b64 s[0:1], src_shared_base
	v_mbcnt_lo_u32_b32 v22, -1, 0
	v_mov_b32_e32 v31, 0
	v_mbcnt_hi_u32_b32 v24, -1, v22
	v_and_b32_e32 v30, 0xfffffe00, v33
	v_mov_b32_e32 v23, s1
	v_mov_b32_e32 v22, v31
	s_movk_i32 s0, 0x800
	v_lshl_add_u64 v[22:23], v[30:31], 3, v[22:23]
	v_lshlrev_b32_e32 v80, 3, v24
	v_sub_u32_e64 v71, s0, v30 clamp
	v_lshl_add_u32 v81, v24, 6, v22
	v_or_b32_e32 v24, 8, v80
	v_min_u32_e32 v97, v71, v24
	v_add_u32_e32 v24, 8, v97
	v_and_b32_e32 v99, 0x3f0, v80
	v_min_u32_e32 v98, v71, v24
	v_and_b32_e32 v24, 8, v80
	v_min_u32_e32 v100, v71, v24
	v_sub_u32_e32 v24, v97, v99
	v_sub_u32_e32 v25, v98, v97
	v_sub_u32_e64 v101, v100, v25 clamp
	v_min_u32_e32 v82, v100, v24
	v_add_u32_e32 v55, 0x800, v32
	v_add_u32_e32 v64, 8, v54
	;; [unrolled: 1-line block ×8, first 2 shown]
	v_cmp_lt_u32_e64 s[0:1], v101, v82
	ds_write2_b64 v81, v[18:19], v[20:21] offset1:1
	ds_write2_b64 v81, v[14:15], v[16:17] offset0:2 offset1:3
	ds_write2_b64 v81, v[10:11], v[12:13] offset0:4 offset1:5
	;; [unrolled: 1-line block ×3, first 2 shown]
	; wave barrier
	s_and_saveexec_b64 s[2:3], s[0:1]
	s_cbranch_execz .LBB1115_265
; %bb.254:
	v_lshlrev_b32_e32 v30, 3, v99
	v_lshl_add_u64 v[24:25], v[22:23], 0, v[30:31]
	v_lshlrev_b32_e32 v30, 3, v97
	v_lshl_add_u64 v[30:31], v[22:23], 0, v[30:31]
	v_lshlrev_b64 v[32:33], 1, v[6:7]
	s_mov_b64 s[4:5], 0
	s_branch .LBB1115_257
.LBB1115_255:                           ;   in Loop: Header=BB1115_257 Depth=1
	s_or_b64 exec, exec, s[14:15]
	s_and_b64 s[0:1], s[16:17], exec
.LBB1115_256:                           ;   in Loop: Header=BB1115_257 Depth=1
	s_or_b64 exec, exec, s[6:7]
	v_add_u32_e32 v31, 1, v25
	v_cndmask_b32_e64 v82, v82, v25, s[0:1]
	v_cndmask_b32_e64 v101, v31, v101, s[0:1]
	v_cmp_ge_u32_e64 s[0:1], v101, v82
	s_or_b64 s[4:5], s[0:1], s[4:5]
	s_andn2_b64 exec, exec, s[4:5]
	s_cbranch_execz .LBB1115_264
.LBB1115_257:                           ; =>This Loop Header: Depth=1
                                        ;     Child Loop BB1115_260 Depth 2
	v_add_u32_e32 v25, v82, v101
	v_lshrrev_b32_e32 v25, 1, v25
	s_mov_b64 s[0:1], 0
	s_and_saveexec_b64 s[6:7], vcc
	s_cbranch_execz .LBB1115_256
; %bb.258:                              ;   in Loop: Header=BB1115_257 Depth=1
	v_lshl_add_u32 v31, v25, 3, v24
	ds_read_b64 v[34:35], v31
	v_xad_u32 v31, v25, -1, v100
	v_lshl_add_u32 v31, v31, 3, v30
	ds_read_b64 v[36:37], v31
	s_mov_b64 s[14:15], 0
	s_waitcnt lgkmcnt(1)
	v_mul_lo_u32 v31, v32, v35
	v_mul_lo_u32 v38, v33, v34
	v_mad_u64_u32 v[34:35], s[0:1], v32, v34, v[8:9]
	v_add3_u32 v35, v38, v35, v31
	s_waitcnt lgkmcnt(0)
	v_mul_lo_u32 v31, v32, v37
	v_mul_lo_u32 v38, v33, v36
	v_mad_u64_u32 v[36:37], s[0:1], v32, v36, v[8:9]
	v_add3_u32 v37, v38, v37, v31
	v_mov_b64_e32 v[38:39], v[6:7]
                                        ; implicit-def: $sgpr16_sgpr17
                                        ; implicit-def: $sgpr18_sgpr19
                                        ; implicit-def: $sgpr24_sgpr25
	s_branch .LBB1115_260
.LBB1115_259:                           ;   in Loop: Header=BB1115_260 Depth=2
	s_or_b64 exec, exec, s[24:25]
	s_and_b64 s[0:1], exec, s[22:23]
	s_or_b64 s[14:15], s[0:1], s[14:15]
	s_andn2_b64 s[0:1], s[16:17], exec
	s_and_b64 s[16:17], s[18:19], exec
	s_or_b64 s[16:17], s[0:1], s[16:17]
	s_mov_b64 s[24:25], s[20:21]
	s_andn2_b64 exec, exec, s[14:15]
	s_cbranch_execz .LBB1115_255
.LBB1115_260:                           ;   Parent Loop BB1115_257 Depth=1
                                        ; =>  This Inner Loop Header: Depth=2
	flat_load_ushort v31, v[36:37]
	flat_load_ushort v83, v[34:35]
	s_mov_b64 s[22:23], -1
	s_mov_b64 s[26:27], 0
	s_mov_b64 s[20:21], -1
	s_waitcnt vmcnt(0) lgkmcnt(0)
	v_lshlrev_b32_e32 v31, 16, v31
	v_lshlrev_b32_e32 v83, 16, v83
	v_cmp_nlt_f32_e64 s[0:1], v31, v83
	s_and_saveexec_b64 s[28:29], s[0:1]
; %bb.261:                              ;   in Loop: Header=BB1115_260 Depth=2
	v_cmp_ngt_f32_e64 s[0:1], v31, v83
	s_and_b64 s[20:21], s[0:1], s[24:25]
	s_orn2_b64 s[20:21], s[20:21], exec
	s_and_b64 s[26:27], s[0:1], exec
; %bb.262:                              ;   in Loop: Header=BB1115_260 Depth=2
	s_or_b64 exec, exec, s[28:29]
	s_andn2_b64 s[0:1], s[18:19], exec
	s_and_b64 s[18:19], s[20:21], exec
	s_or_b64 s[18:19], s[0:1], s[18:19]
	s_and_saveexec_b64 s[24:25], s[26:27]
	s_cbranch_execz .LBB1115_259
; %bb.263:                              ;   in Loop: Header=BB1115_260 Depth=2
	v_lshl_add_u64 v[38:39], v[38:39], 0, -1
	v_cmp_eq_u64_e64 s[0:1], 0, v[38:39]
	v_lshl_add_u64 v[34:35], v[34:35], 0, 2
	v_lshl_add_u64 v[36:37], v[36:37], 0, 2
	s_andn2_b64 s[18:19], s[18:19], exec
	s_orn2_b64 s[22:23], s[0:1], exec
	s_branch .LBB1115_259
.LBB1115_264:
	s_or_b64 exec, exec, s[4:5]
.LBB1115_265:
	s_or_b64 exec, exec, s[2:3]
	v_add_u32_e32 v24, v97, v100
	v_add_u32_e32 v25, v101, v99
	v_sub_u32_e32 v30, v24, v101
	v_cmp_le_u32_e64 s[2:3], v25, v97
	v_cmp_le_u32_e64 s[4:5], v30, v98
	v_add_u32_e32 v82, 8, v81
	v_add_u32_e32 v83, 16, v81
	v_add_u32_e32 v84, 24, v81
	v_add_u32_e32 v85, 32, v81
	v_add_u32_e32 v86, 40, v81
	v_add_u32_e32 v87, 48, v81
	v_add_u32_e32 v96, 56, v81
	v_cmp_gt_i64_e64 s[0:1], 1, v[6:7]
	s_or_b64 s[2:3], s[2:3], s[4:5]
	s_and_saveexec_b64 s[14:15], s[2:3]
	s_cbranch_execz .LBB1115_349
; %bb.266:
	v_cmp_ge_u32_e64 s[2:3], v25, v97
	v_cmp_lt_u32_e64 s[4:5], v25, v97
                                        ; implicit-def: $vgpr0_vgpr1
	s_and_saveexec_b64 s[6:7], s[4:5]
; %bb.267:
	v_lshl_add_u32 v0, v25, 3, v22
	ds_read_b64 v[0:1], v0
; %bb.268:
	s_or_b64 exec, exec, s[6:7]
	v_cmp_ge_u32_e64 s[4:5], v30, v98
	v_cmp_lt_u32_e64 s[6:7], v30, v98
                                        ; implicit-def: $vgpr2_vgpr3
	s_and_saveexec_b64 s[16:17], s[6:7]
; %bb.269:
	v_lshl_add_u32 v2, v30, 3, v22
	ds_read_b64 v[2:3], v2
; %bb.270:
	s_or_b64 exec, exec, s[16:17]
	s_or_b64 s[6:7], s[2:3], s[4:5]
	s_xor_b64 s[2:3], s[2:3], -1
	s_nor_b64 s[16:17], s[6:7], s[0:1]
	s_or_b64 s[4:5], s[4:5], s[2:3]
	s_and_saveexec_b64 s[6:7], s[16:17]
	s_cbranch_execz .LBB1115_278
; %bb.271:
	s_waitcnt lgkmcnt(0)
	v_mul_lo_u32 v12, v1, v6
	v_mul_lo_u32 v13, v0, v7
	v_mad_u64_u32 v[10:11], s[2:3], v0, v6, 0
	v_add3_u32 v11, v11, v13, v12
	v_mul_lo_u32 v14, v3, v6
	v_mul_lo_u32 v15, v2, v7
	v_mad_u64_u32 v[12:13], s[2:3], v2, v6, 0
	v_add3_u32 v13, v13, v15, v14
	v_lshl_add_u64 v[10:11], v[10:11], 1, v[8:9]
	v_lshl_add_u64 v[12:13], v[12:13], 1, v[8:9]
	s_mov_b64 s[16:17], 0
	v_mov_b64_e32 v[14:15], v[6:7]
                                        ; implicit-def: $sgpr18_sgpr19
                                        ; implicit-def: $sgpr20_sgpr21
                                        ; implicit-def: $sgpr26_sgpr27
	s_branch .LBB1115_273
.LBB1115_272:                           ;   in Loop: Header=BB1115_273 Depth=1
	s_or_b64 exec, exec, s[26:27]
	s_and_b64 s[2:3], exec, s[24:25]
	s_or_b64 s[16:17], s[2:3], s[16:17]
	s_andn2_b64 s[2:3], s[18:19], exec
	s_and_b64 s[18:19], s[20:21], exec
	s_or_b64 s[18:19], s[2:3], s[18:19]
	s_mov_b64 s[26:27], s[22:23]
	s_andn2_b64 exec, exec, s[16:17]
	s_cbranch_execz .LBB1115_277
.LBB1115_273:                           ; =>This Inner Loop Header: Depth=1
	flat_load_ushort v16, v[12:13]
	flat_load_ushort v17, v[10:11]
	s_mov_b64 s[24:25], -1
	s_mov_b64 s[28:29], 0
	s_mov_b64 s[22:23], -1
	s_waitcnt vmcnt(0) lgkmcnt(0)
	v_lshlrev_b32_e32 v16, 16, v16
	v_lshlrev_b32_e32 v17, 16, v17
	v_cmp_nlt_f32_e64 s[2:3], v16, v17
	s_and_saveexec_b64 s[40:41], s[2:3]
; %bb.274:                              ;   in Loop: Header=BB1115_273 Depth=1
	v_cmp_ngt_f32_e64 s[2:3], v16, v17
	s_and_b64 s[22:23], s[2:3], s[26:27]
	s_orn2_b64 s[22:23], s[22:23], exec
	s_and_b64 s[28:29], s[2:3], exec
; %bb.275:                              ;   in Loop: Header=BB1115_273 Depth=1
	s_or_b64 exec, exec, s[40:41]
	s_andn2_b64 s[2:3], s[20:21], exec
	s_and_b64 s[20:21], s[22:23], exec
	s_or_b64 s[20:21], s[2:3], s[20:21]
	s_and_saveexec_b64 s[26:27], s[28:29]
	s_cbranch_execz .LBB1115_272
; %bb.276:                              ;   in Loop: Header=BB1115_273 Depth=1
	v_lshl_add_u64 v[14:15], v[14:15], 0, -1
	v_cmp_eq_u64_e64 s[2:3], 0, v[14:15]
	v_lshl_add_u64 v[10:11], v[10:11], 0, 2
	v_lshl_add_u64 v[12:13], v[12:13], 0, 2
	s_andn2_b64 s[20:21], s[20:21], exec
	s_orn2_b64 s[24:25], s[2:3], exec
	s_branch .LBB1115_272
.LBB1115_277:
	s_or_b64 exec, exec, s[16:17]
	s_xor_b64 s[2:3], s[18:19], -1
	s_andn2_b64 s[4:5], s[4:5], exec
	s_and_b64 s[2:3], s[2:3], exec
	s_or_b64 s[4:5], s[4:5], s[2:3]
.LBB1115_278:
	s_or_b64 exec, exec, s[6:7]
	v_cndmask_b32_e64 v10, v30, v25, s[4:5]
	v_cndmask_b32_e64 v11, v98, v97, s[4:5]
	v_add_u32_e32 v12, 1, v10
	v_add_u32_e32 v10, -1, v11
	v_min_u32_e32 v10, v12, v10
	v_lshl_add_u32 v10, v10, 3, v22
	ds_read_b64 v[10:11], v10
	v_cndmask_b32_e64 v16, v12, v30, s[4:5]
	v_cndmask_b32_e64 v17, v25, v12, s[4:5]
	v_cmp_lt_u32_e64 s[2:3], v16, v98
	s_mov_b64 s[16:17], -1
	s_waitcnt lgkmcnt(0)
	v_cndmask_b32_e64 v18, v11, v3, s[4:5]
	v_cndmask_b32_e64 v19, v10, v2, s[4:5]
	;; [unrolled: 1-line block ×4, first 2 shown]
	s_mov_b64 s[6:7], -1
	s_and_saveexec_b64 s[18:19], s[2:3]
	s_cbranch_execz .LBB1115_288
; %bb.279:
	v_cmp_lt_u32_e64 s[6:7], v17, v97
	s_xor_b64 s[2:3], s[0:1], -1
	s_and_b64 s[2:3], s[6:7], s[2:3]
	s_and_saveexec_b64 s[20:21], s[2:3]
	s_cbranch_execz .LBB1115_287
; %bb.280:
	v_mul_lo_u32 v12, v20, v6
	v_mul_lo_u32 v13, v24, v7
	v_mad_u64_u32 v[10:11], s[2:3], v24, v6, 0
	v_add3_u32 v11, v11, v13, v12
	v_mul_lo_u32 v14, v18, v6
	v_mul_lo_u32 v15, v19, v7
	v_mad_u64_u32 v[12:13], s[2:3], v19, v6, 0
	v_add3_u32 v13, v13, v15, v14
	v_lshl_add_u64 v[10:11], v[10:11], 1, v[8:9]
	v_lshl_add_u64 v[12:13], v[12:13], 1, v[8:9]
	s_mov_b64 s[22:23], 0
	v_mov_b64_e32 v[14:15], v[6:7]
                                        ; implicit-def: $sgpr24_sgpr25
                                        ; implicit-def: $sgpr26_sgpr27
                                        ; implicit-def: $sgpr42_sgpr43
	s_branch .LBB1115_282
.LBB1115_281:                           ;   in Loop: Header=BB1115_282 Depth=1
	s_or_b64 exec, exec, s[42:43]
	s_and_b64 s[2:3], exec, s[40:41]
	s_or_b64 s[22:23], s[2:3], s[22:23]
	s_andn2_b64 s[2:3], s[24:25], exec
	s_and_b64 s[24:25], s[26:27], exec
	s_or_b64 s[24:25], s[2:3], s[24:25]
	s_mov_b64 s[42:43], s[28:29]
	s_andn2_b64 exec, exec, s[22:23]
	s_cbranch_execz .LBB1115_286
.LBB1115_282:                           ; =>This Inner Loop Header: Depth=1
	flat_load_ushort v21, v[12:13]
	flat_load_ushort v25, v[10:11]
	s_mov_b64 s[40:41], -1
	s_mov_b64 s[44:45], 0
	s_mov_b64 s[28:29], -1
	s_waitcnt vmcnt(0) lgkmcnt(0)
	v_lshlrev_b32_e32 v21, 16, v21
	v_lshlrev_b32_e32 v25, 16, v25
	v_cmp_nlt_f32_e64 s[2:3], v21, v25
	s_and_saveexec_b64 s[46:47], s[2:3]
; %bb.283:                              ;   in Loop: Header=BB1115_282 Depth=1
	v_cmp_ngt_f32_e64 s[2:3], v21, v25
	s_and_b64 s[28:29], s[2:3], s[42:43]
	s_orn2_b64 s[28:29], s[28:29], exec
	s_and_b64 s[44:45], s[2:3], exec
; %bb.284:                              ;   in Loop: Header=BB1115_282 Depth=1
	s_or_b64 exec, exec, s[46:47]
	s_andn2_b64 s[2:3], s[26:27], exec
	s_and_b64 s[26:27], s[28:29], exec
	s_or_b64 s[26:27], s[2:3], s[26:27]
	s_and_saveexec_b64 s[42:43], s[44:45]
	s_cbranch_execz .LBB1115_281
; %bb.285:                              ;   in Loop: Header=BB1115_282 Depth=1
	v_lshl_add_u64 v[14:15], v[14:15], 0, -1
	v_cmp_eq_u64_e64 s[2:3], 0, v[14:15]
	v_lshl_add_u64 v[10:11], v[10:11], 0, 2
	v_lshl_add_u64 v[12:13], v[12:13], 0, 2
	s_andn2_b64 s[26:27], s[26:27], exec
	s_orn2_b64 s[40:41], s[2:3], exec
	s_branch .LBB1115_281
.LBB1115_286:
	s_or_b64 exec, exec, s[22:23]
	s_xor_b64 s[2:3], s[24:25], -1
	s_andn2_b64 s[6:7], s[6:7], exec
	s_and_b64 s[2:3], s[2:3], exec
	s_or_b64 s[6:7], s[6:7], s[2:3]
.LBB1115_287:
	s_or_b64 exec, exec, s[20:21]
	s_orn2_b64 s[6:7], s[6:7], exec
.LBB1115_288:
	s_or_b64 exec, exec, s[18:19]
	v_cndmask_b32_e64 v10, v16, v17, s[6:7]
	v_cndmask_b32_e64 v11, v98, v97, s[6:7]
	v_add_u32_e32 v12, 1, v10
	v_add_u32_e32 v10, -1, v11
	v_min_u32_e32 v10, v12, v10
	v_lshl_add_u32 v10, v10, 3, v22
	ds_read_b64 v[10:11], v10
	v_cndmask_b32_e64 v34, v12, v16, s[6:7]
	v_cndmask_b32_e64 v35, v17, v12, s[6:7]
	v_cmp_lt_u32_e64 s[2:3], v34, v98
	s_waitcnt lgkmcnt(0)
	v_cndmask_b32_e64 v21, v11, v18, s[6:7]
	v_cndmask_b32_e64 v25, v10, v19, s[6:7]
	;; [unrolled: 1-line block ×4, first 2 shown]
	s_and_saveexec_b64 s[18:19], s[2:3]
	s_cbranch_execz .LBB1115_298
; %bb.289:
	v_cmp_lt_u32_e64 s[16:17], v35, v97
	s_xor_b64 s[2:3], s[0:1], -1
	s_and_b64 s[2:3], s[16:17], s[2:3]
	s_and_saveexec_b64 s[20:21], s[2:3]
	s_cbranch_execz .LBB1115_297
; %bb.290:
	v_mul_lo_u32 v12, v30, v6
	v_mul_lo_u32 v13, v31, v7
	v_mad_u64_u32 v[10:11], s[2:3], v31, v6, 0
	v_add3_u32 v11, v11, v13, v12
	v_mul_lo_u32 v14, v21, v6
	v_mul_lo_u32 v15, v25, v7
	v_mad_u64_u32 v[12:13], s[2:3], v25, v6, 0
	v_add3_u32 v13, v13, v15, v14
	v_lshl_add_u64 v[10:11], v[10:11], 1, v[8:9]
	v_lshl_add_u64 v[12:13], v[12:13], 1, v[8:9]
	s_mov_b64 s[22:23], 0
	v_mov_b64_e32 v[14:15], v[6:7]
                                        ; implicit-def: $sgpr24_sgpr25
                                        ; implicit-def: $sgpr26_sgpr27
                                        ; implicit-def: $sgpr42_sgpr43
	s_branch .LBB1115_292
.LBB1115_291:                           ;   in Loop: Header=BB1115_292 Depth=1
	s_or_b64 exec, exec, s[42:43]
	s_and_b64 s[2:3], exec, s[40:41]
	s_or_b64 s[22:23], s[2:3], s[22:23]
	s_andn2_b64 s[2:3], s[24:25], exec
	s_and_b64 s[24:25], s[26:27], exec
	s_or_b64 s[24:25], s[2:3], s[24:25]
	s_mov_b64 s[42:43], s[28:29]
	s_andn2_b64 exec, exec, s[22:23]
	s_cbranch_execz .LBB1115_296
.LBB1115_292:                           ; =>This Inner Loop Header: Depth=1
	flat_load_ushort v16, v[12:13]
	flat_load_ushort v17, v[10:11]
	s_mov_b64 s[40:41], -1
	s_mov_b64 s[44:45], 0
	s_mov_b64 s[28:29], -1
	s_waitcnt vmcnt(0) lgkmcnt(0)
	v_lshlrev_b32_e32 v16, 16, v16
	v_lshlrev_b32_e32 v17, 16, v17
	v_cmp_nlt_f32_e64 s[2:3], v16, v17
	s_and_saveexec_b64 s[46:47], s[2:3]
; %bb.293:                              ;   in Loop: Header=BB1115_292 Depth=1
	v_cmp_ngt_f32_e64 s[2:3], v16, v17
	s_and_b64 s[28:29], s[2:3], s[42:43]
	s_orn2_b64 s[28:29], s[28:29], exec
	s_and_b64 s[44:45], s[2:3], exec
; %bb.294:                              ;   in Loop: Header=BB1115_292 Depth=1
	s_or_b64 exec, exec, s[46:47]
	s_andn2_b64 s[2:3], s[26:27], exec
	s_and_b64 s[26:27], s[28:29], exec
	s_or_b64 s[26:27], s[2:3], s[26:27]
	s_and_saveexec_b64 s[42:43], s[44:45]
	s_cbranch_execz .LBB1115_291
; %bb.295:                              ;   in Loop: Header=BB1115_292 Depth=1
	v_lshl_add_u64 v[14:15], v[14:15], 0, -1
	v_cmp_eq_u64_e64 s[2:3], 0, v[14:15]
	v_lshl_add_u64 v[10:11], v[10:11], 0, 2
	v_lshl_add_u64 v[12:13], v[12:13], 0, 2
	s_andn2_b64 s[26:27], s[26:27], exec
	s_orn2_b64 s[40:41], s[2:3], exec
	s_branch .LBB1115_291
.LBB1115_296:
	s_or_b64 exec, exec, s[22:23]
	s_xor_b64 s[2:3], s[24:25], -1
	s_andn2_b64 s[16:17], s[16:17], exec
	s_and_b64 s[2:3], s[2:3], exec
	s_or_b64 s[16:17], s[16:17], s[2:3]
.LBB1115_297:
	s_or_b64 exec, exec, s[20:21]
	s_orn2_b64 s[16:17], s[16:17], exec
.LBB1115_298:
	s_or_b64 exec, exec, s[18:19]
	v_cndmask_b32_e64 v10, v34, v35, s[16:17]
	v_cndmask_b32_e64 v11, v98, v97, s[16:17]
	v_add_u32_e32 v12, 1, v10
	v_add_u32_e32 v10, -1, v11
	v_min_u32_e32 v10, v12, v10
	v_lshl_add_u32 v10, v10, 3, v22
	ds_read_b64 v[10:11], v10
	v_cndmask_b32_e64 v38, v12, v34, s[16:17]
	v_cndmask_b32_e64 v39, v35, v12, s[16:17]
	v_cmp_lt_u32_e64 s[2:3], v38, v98
	s_mov_b64 s[20:21], -1
	s_waitcnt lgkmcnt(0)
	v_cndmask_b32_e64 v16, v11, v21, s[16:17]
	v_cndmask_b32_e64 v32, v10, v25, s[16:17]
	;; [unrolled: 1-line block ×4, first 2 shown]
	s_mov_b64 s[18:19], -1
	s_and_saveexec_b64 s[22:23], s[2:3]
	s_cbranch_execz .LBB1115_308
; %bb.299:
	v_cmp_lt_u32_e64 s[18:19], v39, v97
	s_xor_b64 s[2:3], s[0:1], -1
	s_and_b64 s[2:3], s[18:19], s[2:3]
	s_and_saveexec_b64 s[24:25], s[2:3]
	s_cbranch_execz .LBB1115_307
; %bb.300:
	v_mul_lo_u32 v12, v17, v6
	v_mul_lo_u32 v13, v33, v7
	v_mad_u64_u32 v[10:11], s[2:3], v33, v6, 0
	v_add3_u32 v11, v11, v13, v12
	v_mul_lo_u32 v14, v16, v6
	v_mul_lo_u32 v15, v32, v7
	v_mad_u64_u32 v[12:13], s[2:3], v32, v6, 0
	v_add3_u32 v13, v13, v15, v14
	v_lshl_add_u64 v[10:11], v[10:11], 1, v[8:9]
	v_lshl_add_u64 v[12:13], v[12:13], 1, v[8:9]
	s_mov_b64 s[26:27], 0
	v_mov_b64_e32 v[14:15], v[6:7]
                                        ; implicit-def: $sgpr28_sgpr29
                                        ; implicit-def: $sgpr40_sgpr41
                                        ; implicit-def: $sgpr46_sgpr47
	s_branch .LBB1115_302
.LBB1115_301:                           ;   in Loop: Header=BB1115_302 Depth=1
	s_or_b64 exec, exec, s[46:47]
	s_and_b64 s[2:3], exec, s[44:45]
	s_or_b64 s[26:27], s[2:3], s[26:27]
	s_andn2_b64 s[2:3], s[28:29], exec
	s_and_b64 s[28:29], s[40:41], exec
	s_or_b64 s[28:29], s[2:3], s[28:29]
	s_mov_b64 s[46:47], s[42:43]
	s_andn2_b64 exec, exec, s[26:27]
	s_cbranch_execz .LBB1115_306
.LBB1115_302:                           ; =>This Inner Loop Header: Depth=1
	flat_load_ushort v34, v[12:13]
	flat_load_ushort v35, v[10:11]
	s_mov_b64 s[44:45], -1
	s_mov_b64 s[56:57], 0
	s_mov_b64 s[42:43], -1
	s_waitcnt vmcnt(0) lgkmcnt(0)
	v_lshlrev_b32_e32 v34, 16, v34
	v_lshlrev_b32_e32 v35, 16, v35
	v_cmp_nlt_f32_e64 s[2:3], v34, v35
	s_and_saveexec_b64 s[58:59], s[2:3]
; %bb.303:                              ;   in Loop: Header=BB1115_302 Depth=1
	v_cmp_ngt_f32_e64 s[2:3], v34, v35
	s_and_b64 s[42:43], s[2:3], s[46:47]
	s_orn2_b64 s[42:43], s[42:43], exec
	s_and_b64 s[56:57], s[2:3], exec
; %bb.304:                              ;   in Loop: Header=BB1115_302 Depth=1
	s_or_b64 exec, exec, s[58:59]
	s_andn2_b64 s[2:3], s[40:41], exec
	s_and_b64 s[40:41], s[42:43], exec
	s_or_b64 s[40:41], s[2:3], s[40:41]
	s_and_saveexec_b64 s[46:47], s[56:57]
	s_cbranch_execz .LBB1115_301
; %bb.305:                              ;   in Loop: Header=BB1115_302 Depth=1
	v_lshl_add_u64 v[14:15], v[14:15], 0, -1
	v_cmp_eq_u64_e64 s[2:3], 0, v[14:15]
	v_lshl_add_u64 v[10:11], v[10:11], 0, 2
	v_lshl_add_u64 v[12:13], v[12:13], 0, 2
	s_andn2_b64 s[40:41], s[40:41], exec
	s_orn2_b64 s[44:45], s[2:3], exec
	s_branch .LBB1115_301
.LBB1115_306:
	s_or_b64 exec, exec, s[26:27]
	s_xor_b64 s[2:3], s[28:29], -1
	s_andn2_b64 s[18:19], s[18:19], exec
	s_and_b64 s[2:3], s[2:3], exec
	s_or_b64 s[18:19], s[18:19], s[2:3]
.LBB1115_307:
	s_or_b64 exec, exec, s[24:25]
	s_orn2_b64 s[18:19], s[18:19], exec
.LBB1115_308:
	s_or_b64 exec, exec, s[22:23]
	v_cndmask_b32_e64 v10, v38, v39, s[18:19]
	v_cndmask_b32_e64 v11, v98, v97, s[18:19]
	v_add_u32_e32 v12, 1, v10
	v_add_u32_e32 v10, -1, v11
	v_min_u32_e32 v10, v12, v10
	v_lshl_add_u32 v10, v10, 3, v22
	ds_read_b64 v[10:11], v10
	v_cndmask_b32_e64 v101, v12, v38, s[18:19]
	v_cndmask_b32_e64 v102, v39, v12, s[18:19]
	v_cmp_lt_u32_e64 s[2:3], v101, v98
	s_waitcnt lgkmcnt(0)
	v_cndmask_b32_e64 v34, v11, v16, s[18:19]
	v_cndmask_b32_e64 v35, v10, v32, s[18:19]
	;; [unrolled: 1-line block ×4, first 2 shown]
	s_and_saveexec_b64 s[22:23], s[2:3]
	s_cbranch_execz .LBB1115_318
; %bb.309:
	v_cmp_lt_u32_e64 s[20:21], v102, v97
	s_xor_b64 s[2:3], s[0:1], -1
	s_and_b64 s[2:3], s[20:21], s[2:3]
	s_and_saveexec_b64 s[24:25], s[2:3]
	s_cbranch_execz .LBB1115_317
; %bb.310:
	v_mul_lo_u32 v12, v36, v6
	v_mul_lo_u32 v13, v37, v7
	v_mad_u64_u32 v[10:11], s[2:3], v37, v6, 0
	v_add3_u32 v11, v11, v13, v12
	v_mul_lo_u32 v14, v34, v6
	v_mul_lo_u32 v15, v35, v7
	v_mad_u64_u32 v[12:13], s[2:3], v35, v6, 0
	v_add3_u32 v13, v13, v15, v14
	v_lshl_add_u64 v[10:11], v[10:11], 1, v[8:9]
	v_lshl_add_u64 v[12:13], v[12:13], 1, v[8:9]
	s_mov_b64 s[26:27], 0
	v_mov_b64_e32 v[14:15], v[6:7]
                                        ; implicit-def: $sgpr28_sgpr29
                                        ; implicit-def: $sgpr40_sgpr41
                                        ; implicit-def: $sgpr46_sgpr47
	s_branch .LBB1115_312
.LBB1115_311:                           ;   in Loop: Header=BB1115_312 Depth=1
	s_or_b64 exec, exec, s[46:47]
	s_and_b64 s[2:3], exec, s[44:45]
	s_or_b64 s[26:27], s[2:3], s[26:27]
	s_andn2_b64 s[2:3], s[28:29], exec
	s_and_b64 s[28:29], s[40:41], exec
	s_or_b64 s[28:29], s[2:3], s[28:29]
	s_mov_b64 s[46:47], s[42:43]
	s_andn2_b64 exec, exec, s[26:27]
	s_cbranch_execz .LBB1115_316
.LBB1115_312:                           ; =>This Inner Loop Header: Depth=1
	flat_load_ushort v38, v[12:13]
	flat_load_ushort v39, v[10:11]
	s_mov_b64 s[44:45], -1
	s_mov_b64 s[56:57], 0
	s_mov_b64 s[42:43], -1
	s_waitcnt vmcnt(0) lgkmcnt(0)
	v_lshlrev_b32_e32 v38, 16, v38
	v_lshlrev_b32_e32 v39, 16, v39
	v_cmp_nlt_f32_e64 s[2:3], v38, v39
	s_and_saveexec_b64 s[58:59], s[2:3]
; %bb.313:                              ;   in Loop: Header=BB1115_312 Depth=1
	v_cmp_ngt_f32_e64 s[2:3], v38, v39
	s_and_b64 s[42:43], s[2:3], s[46:47]
	s_orn2_b64 s[42:43], s[42:43], exec
	s_and_b64 s[56:57], s[2:3], exec
; %bb.314:                              ;   in Loop: Header=BB1115_312 Depth=1
	s_or_b64 exec, exec, s[58:59]
	s_andn2_b64 s[2:3], s[40:41], exec
	s_and_b64 s[40:41], s[42:43], exec
	s_or_b64 s[40:41], s[2:3], s[40:41]
	s_and_saveexec_b64 s[46:47], s[56:57]
	s_cbranch_execz .LBB1115_311
; %bb.315:                              ;   in Loop: Header=BB1115_312 Depth=1
	v_lshl_add_u64 v[14:15], v[14:15], 0, -1
	v_cmp_eq_u64_e64 s[2:3], 0, v[14:15]
	v_lshl_add_u64 v[10:11], v[10:11], 0, 2
	v_lshl_add_u64 v[12:13], v[12:13], 0, 2
	s_andn2_b64 s[40:41], s[40:41], exec
	s_orn2_b64 s[44:45], s[2:3], exec
	s_branch .LBB1115_311
.LBB1115_316:
	s_or_b64 exec, exec, s[26:27]
	s_xor_b64 s[2:3], s[28:29], -1
	s_andn2_b64 s[20:21], s[20:21], exec
	s_and_b64 s[2:3], s[2:3], exec
	s_or_b64 s[20:21], s[20:21], s[2:3]
.LBB1115_317:
	s_or_b64 exec, exec, s[24:25]
	s_orn2_b64 s[20:21], s[20:21], exec
.LBB1115_318:
	s_or_b64 exec, exec, s[22:23]
	v_cndmask_b32_e64 v10, v101, v102, s[20:21]
	v_cndmask_b32_e64 v11, v98, v97, s[20:21]
	v_add_u32_e32 v12, 1, v10
	v_add_u32_e32 v10, -1, v11
	v_min_u32_e32 v10, v12, v10
	v_lshl_add_u32 v10, v10, 3, v22
	ds_read_b64 v[10:11], v10
	v_cndmask_b32_e64 v103, v12, v101, s[20:21]
	v_cndmask_b32_e64 v115, v102, v12, s[20:21]
	v_cmp_lt_u32_e64 s[2:3], v103, v98
	s_mov_b64 s[22:23], -1
	s_waitcnt lgkmcnt(0)
	v_cndmask_b32_e64 v38, v11, v34, s[20:21]
	v_cndmask_b32_e64 v39, v10, v35, s[20:21]
	;; [unrolled: 1-line block ×4, first 2 shown]
	s_mov_b64 s[24:25], -1
	s_and_saveexec_b64 s[26:27], s[2:3]
	s_cbranch_execz .LBB1115_328
; %bb.319:
	v_cmp_lt_u32_e64 s[24:25], v115, v97
	s_xor_b64 s[2:3], s[0:1], -1
	s_and_b64 s[2:3], s[24:25], s[2:3]
	s_and_saveexec_b64 s[28:29], s[2:3]
	s_cbranch_execz .LBB1115_327
; %bb.320:
	v_mul_lo_u32 v12, v99, v6
	v_mul_lo_u32 v13, v100, v7
	v_mad_u64_u32 v[10:11], s[2:3], v100, v6, 0
	v_add3_u32 v11, v11, v13, v12
	v_mul_lo_u32 v14, v38, v6
	v_mul_lo_u32 v15, v39, v7
	v_mad_u64_u32 v[12:13], s[2:3], v39, v6, 0
	v_add3_u32 v13, v13, v15, v14
	v_lshl_add_u64 v[10:11], v[10:11], 1, v[8:9]
	v_lshl_add_u64 v[12:13], v[12:13], 1, v[8:9]
	s_mov_b64 s[40:41], 0
	v_mov_b64_e32 v[14:15], v[6:7]
                                        ; implicit-def: $sgpr42_sgpr43
                                        ; implicit-def: $sgpr44_sgpr45
                                        ; implicit-def: $sgpr58_sgpr59
	s_branch .LBB1115_322
.LBB1115_321:                           ;   in Loop: Header=BB1115_322 Depth=1
	s_or_b64 exec, exec, s[58:59]
	s_and_b64 s[2:3], exec, s[56:57]
	s_or_b64 s[40:41], s[2:3], s[40:41]
	s_andn2_b64 s[2:3], s[42:43], exec
	s_and_b64 s[42:43], s[44:45], exec
	s_or_b64 s[42:43], s[2:3], s[42:43]
	s_mov_b64 s[58:59], s[46:47]
	s_andn2_b64 exec, exec, s[40:41]
	s_cbranch_execz .LBB1115_326
.LBB1115_322:                           ; =>This Inner Loop Header: Depth=1
	flat_load_ushort v101, v[12:13]
	flat_load_ushort v102, v[10:11]
	s_mov_b64 s[56:57], -1
	s_mov_b64 s[60:61], 0
	s_mov_b64 s[46:47], -1
	s_waitcnt vmcnt(0) lgkmcnt(0)
	v_lshlrev_b32_e32 v101, 16, v101
	v_lshlrev_b32_e32 v102, 16, v102
	v_cmp_nlt_f32_e64 s[2:3], v101, v102
	s_and_saveexec_b64 s[62:63], s[2:3]
; %bb.323:                              ;   in Loop: Header=BB1115_322 Depth=1
	v_cmp_ngt_f32_e64 s[2:3], v101, v102
	s_and_b64 s[46:47], s[2:3], s[58:59]
	s_orn2_b64 s[46:47], s[46:47], exec
	s_and_b64 s[60:61], s[2:3], exec
; %bb.324:                              ;   in Loop: Header=BB1115_322 Depth=1
	s_or_b64 exec, exec, s[62:63]
	s_andn2_b64 s[2:3], s[44:45], exec
	s_and_b64 s[44:45], s[46:47], exec
	s_or_b64 s[44:45], s[2:3], s[44:45]
	s_and_saveexec_b64 s[58:59], s[60:61]
	s_cbranch_execz .LBB1115_321
; %bb.325:                              ;   in Loop: Header=BB1115_322 Depth=1
	v_lshl_add_u64 v[14:15], v[14:15], 0, -1
	v_cmp_eq_u64_e64 s[2:3], 0, v[14:15]
	v_lshl_add_u64 v[10:11], v[10:11], 0, 2
	v_lshl_add_u64 v[12:13], v[12:13], 0, 2
	s_andn2_b64 s[44:45], s[44:45], exec
	s_orn2_b64 s[56:57], s[2:3], exec
	s_branch .LBB1115_321
.LBB1115_326:
	s_or_b64 exec, exec, s[40:41]
	s_xor_b64 s[2:3], s[42:43], -1
	s_andn2_b64 s[24:25], s[24:25], exec
	s_and_b64 s[2:3], s[2:3], exec
	s_or_b64 s[24:25], s[24:25], s[2:3]
.LBB1115_327:
	s_or_b64 exec, exec, s[28:29]
	s_orn2_b64 s[24:25], s[24:25], exec
.LBB1115_328:
	s_or_b64 exec, exec, s[26:27]
	v_cndmask_b32_e64 v10, v103, v115, s[24:25]
	v_cndmask_b32_e64 v11, v98, v97, s[24:25]
	v_add_u32_e32 v12, 1, v10
	v_add_u32_e32 v10, -1, v11
	v_min_u32_e32 v10, v12, v10
	v_lshl_add_u32 v10, v10, 3, v22
	ds_read_b64 v[10:11], v10
	v_cndmask_b32_e64 v112, v12, v103, s[24:25]
	v_cndmask_b32_e64 v103, v115, v12, s[24:25]
	v_cmp_lt_u32_e64 s[2:3], v112, v98
	s_waitcnt lgkmcnt(0)
	v_cndmask_b32_e64 v101, v11, v38, s[24:25]
	v_cndmask_b32_e64 v102, v10, v39, s[24:25]
	v_cndmask_b32_e64 v113, v99, v11, s[24:25]
	v_cndmask_b32_e64 v114, v100, v10, s[24:25]
	s_and_saveexec_b64 s[26:27], s[2:3]
	s_cbranch_execz .LBB1115_338
; %bb.329:
	v_cmp_lt_u32_e64 s[22:23], v103, v97
	s_xor_b64 s[2:3], s[0:1], -1
	s_and_b64 s[2:3], s[22:23], s[2:3]
	s_and_saveexec_b64 s[28:29], s[2:3]
	s_cbranch_execz .LBB1115_337
; %bb.330:
	v_mul_lo_u32 v12, v113, v6
	v_mul_lo_u32 v13, v114, v7
	v_mad_u64_u32 v[10:11], s[2:3], v114, v6, 0
	v_add3_u32 v11, v11, v13, v12
	v_mul_lo_u32 v14, v101, v6
	v_mul_lo_u32 v15, v102, v7
	v_mad_u64_u32 v[12:13], s[2:3], v102, v6, 0
	v_add3_u32 v13, v13, v15, v14
	v_lshl_add_u64 v[10:11], v[10:11], 1, v[8:9]
	v_lshl_add_u64 v[12:13], v[12:13], 1, v[8:9]
	s_mov_b64 s[40:41], 0
	v_mov_b64_e32 v[14:15], v[6:7]
                                        ; implicit-def: $sgpr42_sgpr43
                                        ; implicit-def: $sgpr44_sgpr45
                                        ; implicit-def: $sgpr58_sgpr59
	s_branch .LBB1115_332
.LBB1115_331:                           ;   in Loop: Header=BB1115_332 Depth=1
	s_or_b64 exec, exec, s[58:59]
	s_and_b64 s[2:3], exec, s[56:57]
	s_or_b64 s[40:41], s[2:3], s[40:41]
	s_andn2_b64 s[2:3], s[42:43], exec
	s_and_b64 s[42:43], s[44:45], exec
	s_or_b64 s[42:43], s[2:3], s[42:43]
	s_mov_b64 s[58:59], s[46:47]
	s_andn2_b64 exec, exec, s[40:41]
	s_cbranch_execz .LBB1115_336
.LBB1115_332:                           ; =>This Inner Loop Header: Depth=1
	flat_load_ushort v115, v[12:13]
	flat_load_ushort v116, v[10:11]
	s_mov_b64 s[56:57], -1
	s_mov_b64 s[60:61], 0
	s_mov_b64 s[46:47], -1
	s_waitcnt vmcnt(0) lgkmcnt(0)
	v_lshlrev_b32_e32 v115, 16, v115
	v_lshlrev_b32_e32 v116, 16, v116
	v_cmp_nlt_f32_e64 s[2:3], v115, v116
	s_and_saveexec_b64 s[62:63], s[2:3]
; %bb.333:                              ;   in Loop: Header=BB1115_332 Depth=1
	v_cmp_ngt_f32_e64 s[2:3], v115, v116
	s_and_b64 s[46:47], s[2:3], s[58:59]
	s_orn2_b64 s[46:47], s[46:47], exec
	s_and_b64 s[60:61], s[2:3], exec
; %bb.334:                              ;   in Loop: Header=BB1115_332 Depth=1
	s_or_b64 exec, exec, s[62:63]
	s_andn2_b64 s[2:3], s[44:45], exec
	s_and_b64 s[44:45], s[46:47], exec
	s_or_b64 s[44:45], s[2:3], s[44:45]
	s_and_saveexec_b64 s[58:59], s[60:61]
	s_cbranch_execz .LBB1115_331
; %bb.335:                              ;   in Loop: Header=BB1115_332 Depth=1
	v_lshl_add_u64 v[14:15], v[14:15], 0, -1
	v_cmp_eq_u64_e64 s[2:3], 0, v[14:15]
	v_lshl_add_u64 v[10:11], v[10:11], 0, 2
	v_lshl_add_u64 v[12:13], v[12:13], 0, 2
	s_andn2_b64 s[44:45], s[44:45], exec
	s_orn2_b64 s[56:57], s[2:3], exec
	s_branch .LBB1115_331
.LBB1115_336:
	s_or_b64 exec, exec, s[40:41]
	s_xor_b64 s[2:3], s[42:43], -1
	s_andn2_b64 s[22:23], s[22:23], exec
	s_and_b64 s[2:3], s[2:3], exec
	s_or_b64 s[22:23], s[22:23], s[2:3]
.LBB1115_337:
	s_or_b64 exec, exec, s[28:29]
	s_orn2_b64 s[22:23], s[22:23], exec
.LBB1115_338:
	s_or_b64 exec, exec, s[26:27]
	v_cndmask_b32_e64 v15, v21, v30, s[16:17]
	v_cndmask_b32_e64 v21, v18, v20, s[6:7]
	;; [unrolled: 1-line block ×5, first 2 shown]
	v_add_u32_e32 v30, 1, v18
	v_add_u32_e32 v18, -1, v19
	v_min_u32_e32 v18, v30, v18
	v_lshl_add_u32 v18, v18, 3, v22
	v_cndmask_b32_e64 v14, v25, v31, s[16:17]
	ds_read_b64 v[24:25], v18
	v_cndmask_b32_e64 v31, v30, v112, s[22:23]
	v_cndmask_b32_e64 v13, v38, v99, s[24:25]
	;; [unrolled: 1-line block ×11, first 2 shown]
	s_waitcnt lgkmcnt(0)
	v_cndmask_b32_e64 v3, v113, v25, s[22:23]
	v_cndmask_b32_e64 v2, v114, v24, s[22:23]
	v_cmp_lt_u32_e64 s[2:3], v31, v98
	s_and_saveexec_b64 s[4:5], s[2:3]
	s_cbranch_execz .LBB1115_348
; %bb.339:
	v_cndmask_b32_e64 v35, v24, v102, s[22:23]
	v_cndmask_b32_e64 v24, v103, v30, s[22:23]
	;; [unrolled: 1-line block ×3, first 2 shown]
	v_cmp_ge_u32_e64 s[2:3], v24, v97
	s_nor_b64 s[16:17], s[2:3], s[0:1]
	s_nop 0
	v_cndmask_b32_e64 v25, v3, v34, s[2:3]
	v_cndmask_b32_e64 v24, v2, v35, s[2:3]
	s_and_saveexec_b64 s[6:7], s[16:17]
	s_cbranch_execz .LBB1115_347
; %bb.340:
	v_mul_lo_u32 v30, v3, v6
	v_mul_lo_u32 v31, v2, v7
	v_mad_u64_u32 v[24:25], s[2:3], v2, v6, 0
	v_add3_u32 v25, v25, v31, v30
	v_mul_lo_u32 v32, v34, v6
	v_mul_lo_u32 v33, v35, v7
	v_mad_u64_u32 v[30:31], s[2:3], v35, v6, 0
	v_add3_u32 v31, v31, v33, v32
	v_lshl_add_u64 v[24:25], v[24:25], 1, v[8:9]
	v_lshl_add_u64 v[30:31], v[30:31], 1, v[8:9]
	s_mov_b64 s[16:17], 0
	v_mov_b64_e32 v[32:33], v[6:7]
                                        ; implicit-def: $sgpr18_sgpr19
                                        ; implicit-def: $sgpr20_sgpr21
                                        ; implicit-def: $sgpr24_sgpr25
	s_branch .LBB1115_342
.LBB1115_341:                           ;   in Loop: Header=BB1115_342 Depth=1
	s_or_b64 exec, exec, s[24:25]
	s_and_b64 s[2:3], exec, s[2:3]
	s_or_b64 s[16:17], s[2:3], s[16:17]
	s_andn2_b64 s[2:3], s[18:19], exec
	s_and_b64 s[18:19], s[20:21], exec
	s_or_b64 s[18:19], s[2:3], s[18:19]
	s_mov_b64 s[24:25], s[22:23]
	s_andn2_b64 exec, exec, s[16:17]
	s_cbranch_execz .LBB1115_346
.LBB1115_342:                           ; =>This Inner Loop Header: Depth=1
	flat_load_ushort v36, v[30:31]
	flat_load_ushort v37, v[24:25]
	s_mov_b64 s[26:27], 0
	s_mov_b64 s[22:23], -1
	s_waitcnt vmcnt(0) lgkmcnt(0)
	v_lshlrev_b32_e32 v36, 16, v36
	v_lshlrev_b32_e32 v37, 16, v37
	v_cmp_nlt_f32_e64 s[2:3], v36, v37
	s_and_saveexec_b64 s[28:29], s[2:3]
; %bb.343:                              ;   in Loop: Header=BB1115_342 Depth=1
	v_cmp_ngt_f32_e64 s[2:3], v36, v37
	s_and_b64 s[22:23], s[2:3], s[24:25]
	s_orn2_b64 s[22:23], s[22:23], exec
	s_and_b64 s[26:27], s[2:3], exec
; %bb.344:                              ;   in Loop: Header=BB1115_342 Depth=1
	s_or_b64 exec, exec, s[28:29]
	s_andn2_b64 s[20:21], s[20:21], exec
	s_and_b64 s[24:25], s[22:23], exec
	s_mov_b64 s[2:3], -1
	s_or_b64 s[20:21], s[20:21], s[24:25]
	s_and_saveexec_b64 s[24:25], s[26:27]
	s_cbranch_execz .LBB1115_341
; %bb.345:                              ;   in Loop: Header=BB1115_342 Depth=1
	v_lshl_add_u64 v[32:33], v[32:33], 0, -1
	v_cmp_eq_u64_e64 s[2:3], 0, v[32:33]
	v_lshl_add_u64 v[24:25], v[24:25], 0, 2
	v_lshl_add_u64 v[30:31], v[30:31], 0, 2
	s_andn2_b64 s[20:21], s[20:21], exec
	s_orn2_b64 s[2:3], s[2:3], exec
	s_branch .LBB1115_341
.LBB1115_346:
	s_or_b64 exec, exec, s[16:17]
	v_cndmask_b32_e64 v25, v3, v34, s[18:19]
	v_cndmask_b32_e64 v24, v2, v35, s[18:19]
.LBB1115_347:
	s_or_b64 exec, exec, s[6:7]
	v_mov_b64_e32 v[2:3], v[24:25]
.LBB1115_348:
	s_or_b64 exec, exec, s[4:5]
.LBB1115_349:
	s_or_b64 exec, exec, s[14:15]
	v_and_b32_e32 v99, 0x3e0, v80
	v_or_b32_e32 v24, 16, v99
	v_min_u32_e32 v97, v71, v24
	v_add_u32_e32 v24, 16, v97
	v_min_u32_e32 v98, v71, v24
	v_and_b32_e32 v24, 24, v80
	v_min_u32_e32 v100, v71, v24
	v_sub_u32_e32 v24, v97, v99
	v_sub_u32_e32 v25, v98, v97
	v_sub_u32_e64 v101, v100, v25 clamp
	v_min_u32_e32 v102, v100, v24
	v_cmp_lt_u32_e64 s[2:3], v101, v102
	; wave barrier
	ds_write_b64 v81, v[18:19]
	ds_write_b64 v82, v[20:21]
	ds_write_b64 v83, v[14:15]
	ds_write_b64 v84, v[16:17]
	ds_write_b64 v85, v[10:11]
	ds_write_b64 v86, v[12:13]
	ds_write_b64 v87, v[0:1]
	ds_write_b64 v96, v[2:3]
	; wave barrier
	s_and_saveexec_b64 s[4:5], s[2:3]
	s_cbranch_execz .LBB1115_361
; %bb.350:
	v_lshlrev_b32_e32 v30, 3, v99
	v_mov_b32_e32 v31, 0
	v_lshl_add_u64 v[24:25], v[22:23], 0, v[30:31]
	v_lshlrev_b32_e32 v30, 3, v97
	v_lshl_add_u64 v[30:31], v[22:23], 0, v[30:31]
	v_lshlrev_b64 v[32:33], 1, v[6:7]
	s_mov_b64 s[6:7], 0
	s_branch .LBB1115_353
.LBB1115_351:                           ;   in Loop: Header=BB1115_353 Depth=1
	s_or_b64 exec, exec, s[16:17]
	s_and_b64 s[2:3], s[18:19], exec
.LBB1115_352:                           ;   in Loop: Header=BB1115_353 Depth=1
	s_or_b64 exec, exec, s[14:15]
	v_add_u32_e32 v31, 1, v25
	v_cndmask_b32_e64 v102, v102, v25, s[2:3]
	v_cndmask_b32_e64 v101, v31, v101, s[2:3]
	v_cmp_ge_u32_e64 s[2:3], v101, v102
	s_or_b64 s[6:7], s[2:3], s[6:7]
	s_andn2_b64 exec, exec, s[6:7]
	s_cbranch_execz .LBB1115_360
.LBB1115_353:                           ; =>This Loop Header: Depth=1
                                        ;     Child Loop BB1115_356 Depth 2
	v_add_u32_e32 v25, v102, v101
	v_lshrrev_b32_e32 v25, 1, v25
	s_mov_b64 s[2:3], 0
	s_and_saveexec_b64 s[14:15], vcc
	s_cbranch_execz .LBB1115_352
; %bb.354:                              ;   in Loop: Header=BB1115_353 Depth=1
	v_lshl_add_u32 v31, v25, 3, v24
	ds_read_b64 v[34:35], v31
	v_xad_u32 v31, v25, -1, v100
	v_lshl_add_u32 v31, v31, 3, v30
	ds_read_b64 v[36:37], v31
	s_mov_b64 s[16:17], 0
	s_waitcnt lgkmcnt(1)
	v_mul_lo_u32 v31, v32, v35
	v_mul_lo_u32 v38, v33, v34
	v_mad_u64_u32 v[34:35], s[2:3], v32, v34, v[8:9]
	v_add3_u32 v35, v38, v35, v31
	s_waitcnt lgkmcnt(0)
	v_mul_lo_u32 v31, v32, v37
	v_mul_lo_u32 v38, v33, v36
	v_mad_u64_u32 v[36:37], s[2:3], v32, v36, v[8:9]
	v_add3_u32 v37, v38, v37, v31
	v_mov_b64_e32 v[38:39], v[6:7]
                                        ; implicit-def: $sgpr18_sgpr19
                                        ; implicit-def: $sgpr20_sgpr21
                                        ; implicit-def: $sgpr26_sgpr27
	s_branch .LBB1115_356
.LBB1115_355:                           ;   in Loop: Header=BB1115_356 Depth=2
	s_or_b64 exec, exec, s[26:27]
	s_and_b64 s[2:3], exec, s[24:25]
	s_or_b64 s[16:17], s[2:3], s[16:17]
	s_andn2_b64 s[2:3], s[18:19], exec
	s_and_b64 s[18:19], s[20:21], exec
	s_or_b64 s[18:19], s[2:3], s[18:19]
	s_mov_b64 s[26:27], s[22:23]
	s_andn2_b64 exec, exec, s[16:17]
	s_cbranch_execz .LBB1115_351
.LBB1115_356:                           ;   Parent Loop BB1115_353 Depth=1
                                        ; =>  This Inner Loop Header: Depth=2
	flat_load_ushort v31, v[36:37]
	flat_load_ushort v103, v[34:35]
	s_mov_b64 s[24:25], -1
	s_mov_b64 s[28:29], 0
	s_mov_b64 s[22:23], -1
	s_waitcnt vmcnt(0) lgkmcnt(0)
	v_lshlrev_b32_e32 v31, 16, v31
	v_lshlrev_b32_e32 v103, 16, v103
	v_cmp_nlt_f32_e64 s[2:3], v31, v103
	s_and_saveexec_b64 s[40:41], s[2:3]
; %bb.357:                              ;   in Loop: Header=BB1115_356 Depth=2
	v_cmp_ngt_f32_e64 s[2:3], v31, v103
	s_and_b64 s[22:23], s[2:3], s[26:27]
	s_orn2_b64 s[22:23], s[22:23], exec
	s_and_b64 s[28:29], s[2:3], exec
; %bb.358:                              ;   in Loop: Header=BB1115_356 Depth=2
	s_or_b64 exec, exec, s[40:41]
	s_andn2_b64 s[2:3], s[20:21], exec
	s_and_b64 s[20:21], s[22:23], exec
	s_or_b64 s[20:21], s[2:3], s[20:21]
	s_and_saveexec_b64 s[26:27], s[28:29]
	s_cbranch_execz .LBB1115_355
; %bb.359:                              ;   in Loop: Header=BB1115_356 Depth=2
	v_lshl_add_u64 v[38:39], v[38:39], 0, -1
	v_cmp_eq_u64_e64 s[2:3], 0, v[38:39]
	v_lshl_add_u64 v[34:35], v[34:35], 0, 2
	v_lshl_add_u64 v[36:37], v[36:37], 0, 2
	s_andn2_b64 s[20:21], s[20:21], exec
	s_orn2_b64 s[24:25], s[2:3], exec
	s_branch .LBB1115_355
.LBB1115_360:
	s_or_b64 exec, exec, s[6:7]
.LBB1115_361:
	s_or_b64 exec, exec, s[4:5]
	v_add_u32_e32 v24, v97, v100
	v_add_u32_e32 v25, v101, v99
	v_sub_u32_e32 v30, v24, v101
	v_cmp_le_u32_e64 s[2:3], v25, v97
	v_cmp_le_u32_e64 s[4:5], v30, v98
	s_or_b64 s[2:3], s[2:3], s[4:5]
	s_and_saveexec_b64 s[14:15], s[2:3]
	s_cbranch_execz .LBB1115_445
; %bb.362:
	v_cmp_ge_u32_e64 s[2:3], v25, v97
	v_cmp_lt_u32_e64 s[4:5], v25, v97
                                        ; implicit-def: $vgpr0_vgpr1
	s_and_saveexec_b64 s[6:7], s[4:5]
; %bb.363:
	v_lshl_add_u32 v0, v25, 3, v22
	ds_read_b64 v[0:1], v0
; %bb.364:
	s_or_b64 exec, exec, s[6:7]
	v_cmp_ge_u32_e64 s[4:5], v30, v98
	v_cmp_lt_u32_e64 s[6:7], v30, v98
                                        ; implicit-def: $vgpr2_vgpr3
	s_and_saveexec_b64 s[16:17], s[6:7]
; %bb.365:
	v_lshl_add_u32 v2, v30, 3, v22
	ds_read_b64 v[2:3], v2
; %bb.366:
	s_or_b64 exec, exec, s[16:17]
	s_or_b64 s[6:7], s[2:3], s[4:5]
	s_xor_b64 s[2:3], s[2:3], -1
	s_nor_b64 s[16:17], s[6:7], s[0:1]
	s_or_b64 s[4:5], s[4:5], s[2:3]
	s_and_saveexec_b64 s[6:7], s[16:17]
	s_cbranch_execz .LBB1115_374
; %bb.367:
	s_waitcnt lgkmcnt(0)
	v_mul_lo_u32 v12, v1, v6
	v_mul_lo_u32 v13, v0, v7
	v_mad_u64_u32 v[10:11], s[2:3], v0, v6, 0
	v_add3_u32 v11, v11, v13, v12
	v_mul_lo_u32 v14, v3, v6
	v_mul_lo_u32 v15, v2, v7
	v_mad_u64_u32 v[12:13], s[2:3], v2, v6, 0
	v_add3_u32 v13, v13, v15, v14
	v_lshl_add_u64 v[10:11], v[10:11], 1, v[8:9]
	v_lshl_add_u64 v[12:13], v[12:13], 1, v[8:9]
	s_mov_b64 s[16:17], 0
	v_mov_b64_e32 v[14:15], v[6:7]
                                        ; implicit-def: $sgpr18_sgpr19
                                        ; implicit-def: $sgpr20_sgpr21
                                        ; implicit-def: $sgpr26_sgpr27
	s_branch .LBB1115_369
.LBB1115_368:                           ;   in Loop: Header=BB1115_369 Depth=1
	s_or_b64 exec, exec, s[26:27]
	s_and_b64 s[2:3], exec, s[24:25]
	s_or_b64 s[16:17], s[2:3], s[16:17]
	s_andn2_b64 s[2:3], s[18:19], exec
	s_and_b64 s[18:19], s[20:21], exec
	s_or_b64 s[18:19], s[2:3], s[18:19]
	s_mov_b64 s[26:27], s[22:23]
	s_andn2_b64 exec, exec, s[16:17]
	s_cbranch_execz .LBB1115_373
.LBB1115_369:                           ; =>This Inner Loop Header: Depth=1
	flat_load_ushort v16, v[12:13]
	flat_load_ushort v17, v[10:11]
	s_mov_b64 s[24:25], -1
	s_mov_b64 s[28:29], 0
	s_mov_b64 s[22:23], -1
	s_waitcnt vmcnt(0) lgkmcnt(0)
	v_lshlrev_b32_e32 v16, 16, v16
	v_lshlrev_b32_e32 v17, 16, v17
	v_cmp_nlt_f32_e64 s[2:3], v16, v17
	s_and_saveexec_b64 s[40:41], s[2:3]
; %bb.370:                              ;   in Loop: Header=BB1115_369 Depth=1
	v_cmp_ngt_f32_e64 s[2:3], v16, v17
	s_and_b64 s[22:23], s[2:3], s[26:27]
	s_orn2_b64 s[22:23], s[22:23], exec
	s_and_b64 s[28:29], s[2:3], exec
; %bb.371:                              ;   in Loop: Header=BB1115_369 Depth=1
	s_or_b64 exec, exec, s[40:41]
	s_andn2_b64 s[2:3], s[20:21], exec
	s_and_b64 s[20:21], s[22:23], exec
	s_or_b64 s[20:21], s[2:3], s[20:21]
	s_and_saveexec_b64 s[26:27], s[28:29]
	s_cbranch_execz .LBB1115_368
; %bb.372:                              ;   in Loop: Header=BB1115_369 Depth=1
	v_lshl_add_u64 v[14:15], v[14:15], 0, -1
	v_cmp_eq_u64_e64 s[2:3], 0, v[14:15]
	v_lshl_add_u64 v[10:11], v[10:11], 0, 2
	v_lshl_add_u64 v[12:13], v[12:13], 0, 2
	s_andn2_b64 s[20:21], s[20:21], exec
	s_orn2_b64 s[24:25], s[2:3], exec
	s_branch .LBB1115_368
.LBB1115_373:
	s_or_b64 exec, exec, s[16:17]
	s_xor_b64 s[2:3], s[18:19], -1
	s_andn2_b64 s[4:5], s[4:5], exec
	s_and_b64 s[2:3], s[2:3], exec
	s_or_b64 s[4:5], s[4:5], s[2:3]
.LBB1115_374:
	s_or_b64 exec, exec, s[6:7]
	v_cndmask_b32_e64 v10, v30, v25, s[4:5]
	v_cndmask_b32_e64 v11, v98, v97, s[4:5]
	v_add_u32_e32 v12, 1, v10
	v_add_u32_e32 v10, -1, v11
	v_min_u32_e32 v10, v12, v10
	v_lshl_add_u32 v10, v10, 3, v22
	ds_read_b64 v[10:11], v10
	v_cndmask_b32_e64 v16, v12, v30, s[4:5]
	v_cndmask_b32_e64 v17, v25, v12, s[4:5]
	v_cmp_lt_u32_e64 s[2:3], v16, v98
	s_mov_b64 s[16:17], -1
	s_waitcnt lgkmcnt(0)
	v_cndmask_b32_e64 v18, v11, v3, s[4:5]
	v_cndmask_b32_e64 v19, v10, v2, s[4:5]
	;; [unrolled: 1-line block ×4, first 2 shown]
	s_mov_b64 s[6:7], -1
	s_and_saveexec_b64 s[18:19], s[2:3]
	s_cbranch_execz .LBB1115_384
; %bb.375:
	v_cmp_lt_u32_e64 s[6:7], v17, v97
	s_xor_b64 s[2:3], s[0:1], -1
	s_and_b64 s[2:3], s[6:7], s[2:3]
	s_and_saveexec_b64 s[20:21], s[2:3]
	s_cbranch_execz .LBB1115_383
; %bb.376:
	v_mul_lo_u32 v12, v20, v6
	v_mul_lo_u32 v13, v24, v7
	v_mad_u64_u32 v[10:11], s[2:3], v24, v6, 0
	v_add3_u32 v11, v11, v13, v12
	v_mul_lo_u32 v14, v18, v6
	v_mul_lo_u32 v15, v19, v7
	v_mad_u64_u32 v[12:13], s[2:3], v19, v6, 0
	v_add3_u32 v13, v13, v15, v14
	v_lshl_add_u64 v[10:11], v[10:11], 1, v[8:9]
	v_lshl_add_u64 v[12:13], v[12:13], 1, v[8:9]
	s_mov_b64 s[22:23], 0
	v_mov_b64_e32 v[14:15], v[6:7]
                                        ; implicit-def: $sgpr24_sgpr25
                                        ; implicit-def: $sgpr26_sgpr27
                                        ; implicit-def: $sgpr42_sgpr43
	s_branch .LBB1115_378
.LBB1115_377:                           ;   in Loop: Header=BB1115_378 Depth=1
	s_or_b64 exec, exec, s[42:43]
	s_and_b64 s[2:3], exec, s[40:41]
	s_or_b64 s[22:23], s[2:3], s[22:23]
	s_andn2_b64 s[2:3], s[24:25], exec
	s_and_b64 s[24:25], s[26:27], exec
	s_or_b64 s[24:25], s[2:3], s[24:25]
	s_mov_b64 s[42:43], s[28:29]
	s_andn2_b64 exec, exec, s[22:23]
	s_cbranch_execz .LBB1115_382
.LBB1115_378:                           ; =>This Inner Loop Header: Depth=1
	flat_load_ushort v21, v[12:13]
	flat_load_ushort v25, v[10:11]
	s_mov_b64 s[40:41], -1
	s_mov_b64 s[44:45], 0
	s_mov_b64 s[28:29], -1
	s_waitcnt vmcnt(0) lgkmcnt(0)
	v_lshlrev_b32_e32 v21, 16, v21
	v_lshlrev_b32_e32 v25, 16, v25
	v_cmp_nlt_f32_e64 s[2:3], v21, v25
	s_and_saveexec_b64 s[46:47], s[2:3]
; %bb.379:                              ;   in Loop: Header=BB1115_378 Depth=1
	v_cmp_ngt_f32_e64 s[2:3], v21, v25
	s_and_b64 s[28:29], s[2:3], s[42:43]
	s_orn2_b64 s[28:29], s[28:29], exec
	s_and_b64 s[44:45], s[2:3], exec
; %bb.380:                              ;   in Loop: Header=BB1115_378 Depth=1
	s_or_b64 exec, exec, s[46:47]
	s_andn2_b64 s[2:3], s[26:27], exec
	s_and_b64 s[26:27], s[28:29], exec
	s_or_b64 s[26:27], s[2:3], s[26:27]
	s_and_saveexec_b64 s[42:43], s[44:45]
	s_cbranch_execz .LBB1115_377
; %bb.381:                              ;   in Loop: Header=BB1115_378 Depth=1
	v_lshl_add_u64 v[14:15], v[14:15], 0, -1
	v_cmp_eq_u64_e64 s[2:3], 0, v[14:15]
	v_lshl_add_u64 v[10:11], v[10:11], 0, 2
	v_lshl_add_u64 v[12:13], v[12:13], 0, 2
	s_andn2_b64 s[26:27], s[26:27], exec
	s_orn2_b64 s[40:41], s[2:3], exec
	s_branch .LBB1115_377
.LBB1115_382:
	s_or_b64 exec, exec, s[22:23]
	s_xor_b64 s[2:3], s[24:25], -1
	s_andn2_b64 s[6:7], s[6:7], exec
	s_and_b64 s[2:3], s[2:3], exec
	s_or_b64 s[6:7], s[6:7], s[2:3]
.LBB1115_383:
	s_or_b64 exec, exec, s[20:21]
	s_orn2_b64 s[6:7], s[6:7], exec
.LBB1115_384:
	s_or_b64 exec, exec, s[18:19]
	v_cndmask_b32_e64 v10, v16, v17, s[6:7]
	v_cndmask_b32_e64 v11, v98, v97, s[6:7]
	v_add_u32_e32 v12, 1, v10
	v_add_u32_e32 v10, -1, v11
	v_min_u32_e32 v10, v12, v10
	v_lshl_add_u32 v10, v10, 3, v22
	ds_read_b64 v[10:11], v10
	v_cndmask_b32_e64 v34, v12, v16, s[6:7]
	v_cndmask_b32_e64 v35, v17, v12, s[6:7]
	v_cmp_lt_u32_e64 s[2:3], v34, v98
	s_waitcnt lgkmcnt(0)
	v_cndmask_b32_e64 v21, v11, v18, s[6:7]
	v_cndmask_b32_e64 v25, v10, v19, s[6:7]
	;; [unrolled: 1-line block ×4, first 2 shown]
	s_and_saveexec_b64 s[18:19], s[2:3]
	s_cbranch_execz .LBB1115_394
; %bb.385:
	v_cmp_lt_u32_e64 s[16:17], v35, v97
	s_xor_b64 s[2:3], s[0:1], -1
	s_and_b64 s[2:3], s[16:17], s[2:3]
	s_and_saveexec_b64 s[20:21], s[2:3]
	s_cbranch_execz .LBB1115_393
; %bb.386:
	v_mul_lo_u32 v12, v30, v6
	v_mul_lo_u32 v13, v31, v7
	v_mad_u64_u32 v[10:11], s[2:3], v31, v6, 0
	v_add3_u32 v11, v11, v13, v12
	v_mul_lo_u32 v14, v21, v6
	v_mul_lo_u32 v15, v25, v7
	v_mad_u64_u32 v[12:13], s[2:3], v25, v6, 0
	v_add3_u32 v13, v13, v15, v14
	v_lshl_add_u64 v[10:11], v[10:11], 1, v[8:9]
	v_lshl_add_u64 v[12:13], v[12:13], 1, v[8:9]
	s_mov_b64 s[22:23], 0
	v_mov_b64_e32 v[14:15], v[6:7]
                                        ; implicit-def: $sgpr24_sgpr25
                                        ; implicit-def: $sgpr26_sgpr27
                                        ; implicit-def: $sgpr42_sgpr43
	s_branch .LBB1115_388
.LBB1115_387:                           ;   in Loop: Header=BB1115_388 Depth=1
	s_or_b64 exec, exec, s[42:43]
	s_and_b64 s[2:3], exec, s[40:41]
	s_or_b64 s[22:23], s[2:3], s[22:23]
	s_andn2_b64 s[2:3], s[24:25], exec
	s_and_b64 s[24:25], s[26:27], exec
	s_or_b64 s[24:25], s[2:3], s[24:25]
	s_mov_b64 s[42:43], s[28:29]
	s_andn2_b64 exec, exec, s[22:23]
	s_cbranch_execz .LBB1115_392
.LBB1115_388:                           ; =>This Inner Loop Header: Depth=1
	flat_load_ushort v16, v[12:13]
	flat_load_ushort v17, v[10:11]
	s_mov_b64 s[40:41], -1
	s_mov_b64 s[44:45], 0
	s_mov_b64 s[28:29], -1
	s_waitcnt vmcnt(0) lgkmcnt(0)
	v_lshlrev_b32_e32 v16, 16, v16
	v_lshlrev_b32_e32 v17, 16, v17
	v_cmp_nlt_f32_e64 s[2:3], v16, v17
	s_and_saveexec_b64 s[46:47], s[2:3]
; %bb.389:                              ;   in Loop: Header=BB1115_388 Depth=1
	v_cmp_ngt_f32_e64 s[2:3], v16, v17
	s_and_b64 s[28:29], s[2:3], s[42:43]
	s_orn2_b64 s[28:29], s[28:29], exec
	s_and_b64 s[44:45], s[2:3], exec
; %bb.390:                              ;   in Loop: Header=BB1115_388 Depth=1
	s_or_b64 exec, exec, s[46:47]
	s_andn2_b64 s[2:3], s[26:27], exec
	s_and_b64 s[26:27], s[28:29], exec
	s_or_b64 s[26:27], s[2:3], s[26:27]
	s_and_saveexec_b64 s[42:43], s[44:45]
	s_cbranch_execz .LBB1115_387
; %bb.391:                              ;   in Loop: Header=BB1115_388 Depth=1
	v_lshl_add_u64 v[14:15], v[14:15], 0, -1
	v_cmp_eq_u64_e64 s[2:3], 0, v[14:15]
	v_lshl_add_u64 v[10:11], v[10:11], 0, 2
	v_lshl_add_u64 v[12:13], v[12:13], 0, 2
	s_andn2_b64 s[26:27], s[26:27], exec
	s_orn2_b64 s[40:41], s[2:3], exec
	s_branch .LBB1115_387
.LBB1115_392:
	s_or_b64 exec, exec, s[22:23]
	s_xor_b64 s[2:3], s[24:25], -1
	s_andn2_b64 s[16:17], s[16:17], exec
	s_and_b64 s[2:3], s[2:3], exec
	s_or_b64 s[16:17], s[16:17], s[2:3]
.LBB1115_393:
	s_or_b64 exec, exec, s[20:21]
	s_orn2_b64 s[16:17], s[16:17], exec
.LBB1115_394:
	s_or_b64 exec, exec, s[18:19]
	v_cndmask_b32_e64 v10, v34, v35, s[16:17]
	v_cndmask_b32_e64 v11, v98, v97, s[16:17]
	v_add_u32_e32 v12, 1, v10
	v_add_u32_e32 v10, -1, v11
	v_min_u32_e32 v10, v12, v10
	v_lshl_add_u32 v10, v10, 3, v22
	ds_read_b64 v[10:11], v10
	v_cndmask_b32_e64 v38, v12, v34, s[16:17]
	v_cndmask_b32_e64 v39, v35, v12, s[16:17]
	v_cmp_lt_u32_e64 s[2:3], v38, v98
	s_mov_b64 s[20:21], -1
	s_waitcnt lgkmcnt(0)
	v_cndmask_b32_e64 v16, v11, v21, s[16:17]
	v_cndmask_b32_e64 v32, v10, v25, s[16:17]
	v_cndmask_b32_e64 v17, v30, v11, s[16:17]
	v_cndmask_b32_e64 v33, v31, v10, s[16:17]
	s_mov_b64 s[18:19], -1
	s_and_saveexec_b64 s[22:23], s[2:3]
	s_cbranch_execz .LBB1115_404
; %bb.395:
	v_cmp_lt_u32_e64 s[18:19], v39, v97
	s_xor_b64 s[2:3], s[0:1], -1
	s_and_b64 s[2:3], s[18:19], s[2:3]
	s_and_saveexec_b64 s[24:25], s[2:3]
	s_cbranch_execz .LBB1115_403
; %bb.396:
	v_mul_lo_u32 v12, v17, v6
	v_mul_lo_u32 v13, v33, v7
	v_mad_u64_u32 v[10:11], s[2:3], v33, v6, 0
	v_add3_u32 v11, v11, v13, v12
	v_mul_lo_u32 v14, v16, v6
	v_mul_lo_u32 v15, v32, v7
	v_mad_u64_u32 v[12:13], s[2:3], v32, v6, 0
	v_add3_u32 v13, v13, v15, v14
	v_lshl_add_u64 v[10:11], v[10:11], 1, v[8:9]
	v_lshl_add_u64 v[12:13], v[12:13], 1, v[8:9]
	s_mov_b64 s[26:27], 0
	v_mov_b64_e32 v[14:15], v[6:7]
                                        ; implicit-def: $sgpr28_sgpr29
                                        ; implicit-def: $sgpr40_sgpr41
                                        ; implicit-def: $sgpr46_sgpr47
	s_branch .LBB1115_398
.LBB1115_397:                           ;   in Loop: Header=BB1115_398 Depth=1
	s_or_b64 exec, exec, s[46:47]
	s_and_b64 s[2:3], exec, s[44:45]
	s_or_b64 s[26:27], s[2:3], s[26:27]
	s_andn2_b64 s[2:3], s[28:29], exec
	s_and_b64 s[28:29], s[40:41], exec
	s_or_b64 s[28:29], s[2:3], s[28:29]
	s_mov_b64 s[46:47], s[42:43]
	s_andn2_b64 exec, exec, s[26:27]
	s_cbranch_execz .LBB1115_402
.LBB1115_398:                           ; =>This Inner Loop Header: Depth=1
	flat_load_ushort v34, v[12:13]
	flat_load_ushort v35, v[10:11]
	s_mov_b64 s[44:45], -1
	s_mov_b64 s[56:57], 0
	s_mov_b64 s[42:43], -1
	s_waitcnt vmcnt(0) lgkmcnt(0)
	v_lshlrev_b32_e32 v34, 16, v34
	v_lshlrev_b32_e32 v35, 16, v35
	v_cmp_nlt_f32_e64 s[2:3], v34, v35
	s_and_saveexec_b64 s[58:59], s[2:3]
; %bb.399:                              ;   in Loop: Header=BB1115_398 Depth=1
	v_cmp_ngt_f32_e64 s[2:3], v34, v35
	s_and_b64 s[42:43], s[2:3], s[46:47]
	s_orn2_b64 s[42:43], s[42:43], exec
	s_and_b64 s[56:57], s[2:3], exec
; %bb.400:                              ;   in Loop: Header=BB1115_398 Depth=1
	s_or_b64 exec, exec, s[58:59]
	s_andn2_b64 s[2:3], s[40:41], exec
	s_and_b64 s[40:41], s[42:43], exec
	s_or_b64 s[40:41], s[2:3], s[40:41]
	s_and_saveexec_b64 s[46:47], s[56:57]
	s_cbranch_execz .LBB1115_397
; %bb.401:                              ;   in Loop: Header=BB1115_398 Depth=1
	v_lshl_add_u64 v[14:15], v[14:15], 0, -1
	v_cmp_eq_u64_e64 s[2:3], 0, v[14:15]
	v_lshl_add_u64 v[10:11], v[10:11], 0, 2
	v_lshl_add_u64 v[12:13], v[12:13], 0, 2
	s_andn2_b64 s[40:41], s[40:41], exec
	s_orn2_b64 s[44:45], s[2:3], exec
	s_branch .LBB1115_397
.LBB1115_402:
	s_or_b64 exec, exec, s[26:27]
	s_xor_b64 s[2:3], s[28:29], -1
	s_andn2_b64 s[18:19], s[18:19], exec
	s_and_b64 s[2:3], s[2:3], exec
	s_or_b64 s[18:19], s[18:19], s[2:3]
.LBB1115_403:
	s_or_b64 exec, exec, s[24:25]
	s_orn2_b64 s[18:19], s[18:19], exec
.LBB1115_404:
	s_or_b64 exec, exec, s[22:23]
	v_cndmask_b32_e64 v10, v38, v39, s[18:19]
	v_cndmask_b32_e64 v11, v98, v97, s[18:19]
	v_add_u32_e32 v12, 1, v10
	v_add_u32_e32 v10, -1, v11
	v_min_u32_e32 v10, v12, v10
	v_lshl_add_u32 v10, v10, 3, v22
	ds_read_b64 v[10:11], v10
	v_cndmask_b32_e64 v101, v12, v38, s[18:19]
	v_cndmask_b32_e64 v102, v39, v12, s[18:19]
	v_cmp_lt_u32_e64 s[2:3], v101, v98
	s_waitcnt lgkmcnt(0)
	v_cndmask_b32_e64 v34, v11, v16, s[18:19]
	v_cndmask_b32_e64 v35, v10, v32, s[18:19]
	;; [unrolled: 1-line block ×4, first 2 shown]
	s_and_saveexec_b64 s[22:23], s[2:3]
	s_cbranch_execz .LBB1115_414
; %bb.405:
	v_cmp_lt_u32_e64 s[20:21], v102, v97
	s_xor_b64 s[2:3], s[0:1], -1
	s_and_b64 s[2:3], s[20:21], s[2:3]
	s_and_saveexec_b64 s[24:25], s[2:3]
	s_cbranch_execz .LBB1115_413
; %bb.406:
	v_mul_lo_u32 v12, v36, v6
	v_mul_lo_u32 v13, v37, v7
	v_mad_u64_u32 v[10:11], s[2:3], v37, v6, 0
	v_add3_u32 v11, v11, v13, v12
	v_mul_lo_u32 v14, v34, v6
	v_mul_lo_u32 v15, v35, v7
	v_mad_u64_u32 v[12:13], s[2:3], v35, v6, 0
	v_add3_u32 v13, v13, v15, v14
	v_lshl_add_u64 v[10:11], v[10:11], 1, v[8:9]
	v_lshl_add_u64 v[12:13], v[12:13], 1, v[8:9]
	s_mov_b64 s[26:27], 0
	v_mov_b64_e32 v[14:15], v[6:7]
                                        ; implicit-def: $sgpr28_sgpr29
                                        ; implicit-def: $sgpr40_sgpr41
                                        ; implicit-def: $sgpr46_sgpr47
	s_branch .LBB1115_408
.LBB1115_407:                           ;   in Loop: Header=BB1115_408 Depth=1
	s_or_b64 exec, exec, s[46:47]
	s_and_b64 s[2:3], exec, s[44:45]
	s_or_b64 s[26:27], s[2:3], s[26:27]
	s_andn2_b64 s[2:3], s[28:29], exec
	s_and_b64 s[28:29], s[40:41], exec
	s_or_b64 s[28:29], s[2:3], s[28:29]
	s_mov_b64 s[46:47], s[42:43]
	s_andn2_b64 exec, exec, s[26:27]
	s_cbranch_execz .LBB1115_412
.LBB1115_408:                           ; =>This Inner Loop Header: Depth=1
	flat_load_ushort v38, v[12:13]
	flat_load_ushort v39, v[10:11]
	s_mov_b64 s[44:45], -1
	s_mov_b64 s[56:57], 0
	s_mov_b64 s[42:43], -1
	s_waitcnt vmcnt(0) lgkmcnt(0)
	v_lshlrev_b32_e32 v38, 16, v38
	v_lshlrev_b32_e32 v39, 16, v39
	v_cmp_nlt_f32_e64 s[2:3], v38, v39
	s_and_saveexec_b64 s[58:59], s[2:3]
; %bb.409:                              ;   in Loop: Header=BB1115_408 Depth=1
	v_cmp_ngt_f32_e64 s[2:3], v38, v39
	s_and_b64 s[42:43], s[2:3], s[46:47]
	s_orn2_b64 s[42:43], s[42:43], exec
	s_and_b64 s[56:57], s[2:3], exec
; %bb.410:                              ;   in Loop: Header=BB1115_408 Depth=1
	s_or_b64 exec, exec, s[58:59]
	s_andn2_b64 s[2:3], s[40:41], exec
	s_and_b64 s[40:41], s[42:43], exec
	s_or_b64 s[40:41], s[2:3], s[40:41]
	s_and_saveexec_b64 s[46:47], s[56:57]
	s_cbranch_execz .LBB1115_407
; %bb.411:                              ;   in Loop: Header=BB1115_408 Depth=1
	v_lshl_add_u64 v[14:15], v[14:15], 0, -1
	v_cmp_eq_u64_e64 s[2:3], 0, v[14:15]
	v_lshl_add_u64 v[10:11], v[10:11], 0, 2
	v_lshl_add_u64 v[12:13], v[12:13], 0, 2
	s_andn2_b64 s[40:41], s[40:41], exec
	s_orn2_b64 s[44:45], s[2:3], exec
	s_branch .LBB1115_407
.LBB1115_412:
	s_or_b64 exec, exec, s[26:27]
	s_xor_b64 s[2:3], s[28:29], -1
	s_andn2_b64 s[20:21], s[20:21], exec
	s_and_b64 s[2:3], s[2:3], exec
	s_or_b64 s[20:21], s[20:21], s[2:3]
.LBB1115_413:
	s_or_b64 exec, exec, s[24:25]
	s_orn2_b64 s[20:21], s[20:21], exec
.LBB1115_414:
	s_or_b64 exec, exec, s[22:23]
	v_cndmask_b32_e64 v10, v101, v102, s[20:21]
	v_cndmask_b32_e64 v11, v98, v97, s[20:21]
	v_add_u32_e32 v12, 1, v10
	v_add_u32_e32 v10, -1, v11
	v_min_u32_e32 v10, v12, v10
	v_lshl_add_u32 v10, v10, 3, v22
	ds_read_b64 v[10:11], v10
	v_cndmask_b32_e64 v103, v12, v101, s[20:21]
	v_cndmask_b32_e64 v115, v102, v12, s[20:21]
	v_cmp_lt_u32_e64 s[2:3], v103, v98
	s_mov_b64 s[22:23], -1
	s_waitcnt lgkmcnt(0)
	v_cndmask_b32_e64 v38, v11, v34, s[20:21]
	v_cndmask_b32_e64 v39, v10, v35, s[20:21]
	;; [unrolled: 1-line block ×4, first 2 shown]
	s_mov_b64 s[24:25], -1
	s_and_saveexec_b64 s[26:27], s[2:3]
	s_cbranch_execz .LBB1115_424
; %bb.415:
	v_cmp_lt_u32_e64 s[24:25], v115, v97
	s_xor_b64 s[2:3], s[0:1], -1
	s_and_b64 s[2:3], s[24:25], s[2:3]
	s_and_saveexec_b64 s[28:29], s[2:3]
	s_cbranch_execz .LBB1115_423
; %bb.416:
	v_mul_lo_u32 v12, v99, v6
	v_mul_lo_u32 v13, v100, v7
	v_mad_u64_u32 v[10:11], s[2:3], v100, v6, 0
	v_add3_u32 v11, v11, v13, v12
	v_mul_lo_u32 v14, v38, v6
	v_mul_lo_u32 v15, v39, v7
	v_mad_u64_u32 v[12:13], s[2:3], v39, v6, 0
	v_add3_u32 v13, v13, v15, v14
	v_lshl_add_u64 v[10:11], v[10:11], 1, v[8:9]
	v_lshl_add_u64 v[12:13], v[12:13], 1, v[8:9]
	s_mov_b64 s[40:41], 0
	v_mov_b64_e32 v[14:15], v[6:7]
                                        ; implicit-def: $sgpr42_sgpr43
                                        ; implicit-def: $sgpr44_sgpr45
                                        ; implicit-def: $sgpr58_sgpr59
	s_branch .LBB1115_418
.LBB1115_417:                           ;   in Loop: Header=BB1115_418 Depth=1
	s_or_b64 exec, exec, s[58:59]
	s_and_b64 s[2:3], exec, s[56:57]
	s_or_b64 s[40:41], s[2:3], s[40:41]
	s_andn2_b64 s[2:3], s[42:43], exec
	s_and_b64 s[42:43], s[44:45], exec
	s_or_b64 s[42:43], s[2:3], s[42:43]
	s_mov_b64 s[58:59], s[46:47]
	s_andn2_b64 exec, exec, s[40:41]
	s_cbranch_execz .LBB1115_422
.LBB1115_418:                           ; =>This Inner Loop Header: Depth=1
	flat_load_ushort v101, v[12:13]
	flat_load_ushort v102, v[10:11]
	s_mov_b64 s[56:57], -1
	s_mov_b64 s[60:61], 0
	s_mov_b64 s[46:47], -1
	s_waitcnt vmcnt(0) lgkmcnt(0)
	v_lshlrev_b32_e32 v101, 16, v101
	v_lshlrev_b32_e32 v102, 16, v102
	v_cmp_nlt_f32_e64 s[2:3], v101, v102
	s_and_saveexec_b64 s[62:63], s[2:3]
; %bb.419:                              ;   in Loop: Header=BB1115_418 Depth=1
	v_cmp_ngt_f32_e64 s[2:3], v101, v102
	s_and_b64 s[46:47], s[2:3], s[58:59]
	s_orn2_b64 s[46:47], s[46:47], exec
	s_and_b64 s[60:61], s[2:3], exec
; %bb.420:                              ;   in Loop: Header=BB1115_418 Depth=1
	s_or_b64 exec, exec, s[62:63]
	s_andn2_b64 s[2:3], s[44:45], exec
	s_and_b64 s[44:45], s[46:47], exec
	s_or_b64 s[44:45], s[2:3], s[44:45]
	s_and_saveexec_b64 s[58:59], s[60:61]
	s_cbranch_execz .LBB1115_417
; %bb.421:                              ;   in Loop: Header=BB1115_418 Depth=1
	v_lshl_add_u64 v[14:15], v[14:15], 0, -1
	v_cmp_eq_u64_e64 s[2:3], 0, v[14:15]
	v_lshl_add_u64 v[10:11], v[10:11], 0, 2
	v_lshl_add_u64 v[12:13], v[12:13], 0, 2
	s_andn2_b64 s[44:45], s[44:45], exec
	s_orn2_b64 s[56:57], s[2:3], exec
	s_branch .LBB1115_417
.LBB1115_422:
	s_or_b64 exec, exec, s[40:41]
	s_xor_b64 s[2:3], s[42:43], -1
	s_andn2_b64 s[24:25], s[24:25], exec
	s_and_b64 s[2:3], s[2:3], exec
	s_or_b64 s[24:25], s[24:25], s[2:3]
.LBB1115_423:
	s_or_b64 exec, exec, s[28:29]
	s_orn2_b64 s[24:25], s[24:25], exec
.LBB1115_424:
	s_or_b64 exec, exec, s[26:27]
	v_cndmask_b32_e64 v10, v103, v115, s[24:25]
	v_cndmask_b32_e64 v11, v98, v97, s[24:25]
	v_add_u32_e32 v12, 1, v10
	v_add_u32_e32 v10, -1, v11
	v_min_u32_e32 v10, v12, v10
	v_lshl_add_u32 v10, v10, 3, v22
	ds_read_b64 v[10:11], v10
	v_cndmask_b32_e64 v112, v12, v103, s[24:25]
	v_cndmask_b32_e64 v103, v115, v12, s[24:25]
	v_cmp_lt_u32_e64 s[2:3], v112, v98
	s_waitcnt lgkmcnt(0)
	v_cndmask_b32_e64 v101, v11, v38, s[24:25]
	v_cndmask_b32_e64 v102, v10, v39, s[24:25]
	;; [unrolled: 1-line block ×4, first 2 shown]
	s_and_saveexec_b64 s[26:27], s[2:3]
	s_cbranch_execz .LBB1115_434
; %bb.425:
	v_cmp_lt_u32_e64 s[22:23], v103, v97
	s_xor_b64 s[2:3], s[0:1], -1
	s_and_b64 s[2:3], s[22:23], s[2:3]
	s_and_saveexec_b64 s[28:29], s[2:3]
	s_cbranch_execz .LBB1115_433
; %bb.426:
	v_mul_lo_u32 v12, v113, v6
	v_mul_lo_u32 v13, v114, v7
	v_mad_u64_u32 v[10:11], s[2:3], v114, v6, 0
	v_add3_u32 v11, v11, v13, v12
	v_mul_lo_u32 v14, v101, v6
	v_mul_lo_u32 v15, v102, v7
	v_mad_u64_u32 v[12:13], s[2:3], v102, v6, 0
	v_add3_u32 v13, v13, v15, v14
	v_lshl_add_u64 v[10:11], v[10:11], 1, v[8:9]
	v_lshl_add_u64 v[12:13], v[12:13], 1, v[8:9]
	s_mov_b64 s[40:41], 0
	v_mov_b64_e32 v[14:15], v[6:7]
                                        ; implicit-def: $sgpr42_sgpr43
                                        ; implicit-def: $sgpr44_sgpr45
                                        ; implicit-def: $sgpr58_sgpr59
	s_branch .LBB1115_428
.LBB1115_427:                           ;   in Loop: Header=BB1115_428 Depth=1
	s_or_b64 exec, exec, s[58:59]
	s_and_b64 s[2:3], exec, s[56:57]
	s_or_b64 s[40:41], s[2:3], s[40:41]
	s_andn2_b64 s[2:3], s[42:43], exec
	s_and_b64 s[42:43], s[44:45], exec
	s_or_b64 s[42:43], s[2:3], s[42:43]
	s_mov_b64 s[58:59], s[46:47]
	s_andn2_b64 exec, exec, s[40:41]
	s_cbranch_execz .LBB1115_432
.LBB1115_428:                           ; =>This Inner Loop Header: Depth=1
	flat_load_ushort v115, v[12:13]
	flat_load_ushort v116, v[10:11]
	s_mov_b64 s[56:57], -1
	s_mov_b64 s[60:61], 0
	s_mov_b64 s[46:47], -1
	s_waitcnt vmcnt(0) lgkmcnt(0)
	v_lshlrev_b32_e32 v115, 16, v115
	v_lshlrev_b32_e32 v116, 16, v116
	v_cmp_nlt_f32_e64 s[2:3], v115, v116
	s_and_saveexec_b64 s[62:63], s[2:3]
; %bb.429:                              ;   in Loop: Header=BB1115_428 Depth=1
	v_cmp_ngt_f32_e64 s[2:3], v115, v116
	s_and_b64 s[46:47], s[2:3], s[58:59]
	s_orn2_b64 s[46:47], s[46:47], exec
	s_and_b64 s[60:61], s[2:3], exec
; %bb.430:                              ;   in Loop: Header=BB1115_428 Depth=1
	s_or_b64 exec, exec, s[62:63]
	s_andn2_b64 s[2:3], s[44:45], exec
	s_and_b64 s[44:45], s[46:47], exec
	s_or_b64 s[44:45], s[2:3], s[44:45]
	s_and_saveexec_b64 s[58:59], s[60:61]
	s_cbranch_execz .LBB1115_427
; %bb.431:                              ;   in Loop: Header=BB1115_428 Depth=1
	v_lshl_add_u64 v[14:15], v[14:15], 0, -1
	v_cmp_eq_u64_e64 s[2:3], 0, v[14:15]
	v_lshl_add_u64 v[10:11], v[10:11], 0, 2
	v_lshl_add_u64 v[12:13], v[12:13], 0, 2
	s_andn2_b64 s[44:45], s[44:45], exec
	s_orn2_b64 s[56:57], s[2:3], exec
	s_branch .LBB1115_427
.LBB1115_432:
	s_or_b64 exec, exec, s[40:41]
	s_xor_b64 s[2:3], s[42:43], -1
	s_andn2_b64 s[22:23], s[22:23], exec
	s_and_b64 s[2:3], s[2:3], exec
	s_or_b64 s[22:23], s[22:23], s[2:3]
.LBB1115_433:
	s_or_b64 exec, exec, s[28:29]
	s_orn2_b64 s[22:23], s[22:23], exec
.LBB1115_434:
	s_or_b64 exec, exec, s[26:27]
	v_cndmask_b32_e64 v15, v21, v30, s[16:17]
	v_cndmask_b32_e64 v21, v18, v20, s[6:7]
	;; [unrolled: 1-line block ×5, first 2 shown]
	v_add_u32_e32 v30, 1, v18
	v_add_u32_e32 v18, -1, v19
	v_min_u32_e32 v18, v30, v18
	v_lshl_add_u32 v18, v18, 3, v22
	v_cndmask_b32_e64 v14, v25, v31, s[16:17]
	ds_read_b64 v[24:25], v18
	v_cndmask_b32_e64 v31, v30, v112, s[22:23]
	v_cndmask_b32_e64 v13, v38, v99, s[24:25]
	;; [unrolled: 1-line block ×11, first 2 shown]
	s_waitcnt lgkmcnt(0)
	v_cndmask_b32_e64 v3, v113, v25, s[22:23]
	v_cndmask_b32_e64 v2, v114, v24, s[22:23]
	v_cmp_lt_u32_e64 s[2:3], v31, v98
	s_and_saveexec_b64 s[4:5], s[2:3]
	s_cbranch_execz .LBB1115_444
; %bb.435:
	v_cndmask_b32_e64 v35, v24, v102, s[22:23]
	v_cndmask_b32_e64 v24, v103, v30, s[22:23]
	;; [unrolled: 1-line block ×3, first 2 shown]
	v_cmp_ge_u32_e64 s[2:3], v24, v97
	s_nor_b64 s[16:17], s[2:3], s[0:1]
	s_nop 0
	v_cndmask_b32_e64 v25, v3, v34, s[2:3]
	v_cndmask_b32_e64 v24, v2, v35, s[2:3]
	s_and_saveexec_b64 s[6:7], s[16:17]
	s_cbranch_execz .LBB1115_443
; %bb.436:
	v_mul_lo_u32 v30, v3, v6
	v_mul_lo_u32 v31, v2, v7
	v_mad_u64_u32 v[24:25], s[2:3], v2, v6, 0
	v_add3_u32 v25, v25, v31, v30
	v_mul_lo_u32 v32, v34, v6
	v_mul_lo_u32 v33, v35, v7
	v_mad_u64_u32 v[30:31], s[2:3], v35, v6, 0
	v_add3_u32 v31, v31, v33, v32
	v_lshl_add_u64 v[24:25], v[24:25], 1, v[8:9]
	v_lshl_add_u64 v[30:31], v[30:31], 1, v[8:9]
	s_mov_b64 s[16:17], 0
	v_mov_b64_e32 v[32:33], v[6:7]
                                        ; implicit-def: $sgpr18_sgpr19
                                        ; implicit-def: $sgpr20_sgpr21
                                        ; implicit-def: $sgpr24_sgpr25
	s_branch .LBB1115_438
.LBB1115_437:                           ;   in Loop: Header=BB1115_438 Depth=1
	s_or_b64 exec, exec, s[24:25]
	s_and_b64 s[2:3], exec, s[2:3]
	s_or_b64 s[16:17], s[2:3], s[16:17]
	s_andn2_b64 s[2:3], s[18:19], exec
	s_and_b64 s[18:19], s[20:21], exec
	s_or_b64 s[18:19], s[2:3], s[18:19]
	s_mov_b64 s[24:25], s[22:23]
	s_andn2_b64 exec, exec, s[16:17]
	s_cbranch_execz .LBB1115_442
.LBB1115_438:                           ; =>This Inner Loop Header: Depth=1
	flat_load_ushort v36, v[30:31]
	flat_load_ushort v37, v[24:25]
	s_mov_b64 s[26:27], 0
	s_mov_b64 s[22:23], -1
	s_waitcnt vmcnt(0) lgkmcnt(0)
	v_lshlrev_b32_e32 v36, 16, v36
	v_lshlrev_b32_e32 v37, 16, v37
	v_cmp_nlt_f32_e64 s[2:3], v36, v37
	s_and_saveexec_b64 s[28:29], s[2:3]
; %bb.439:                              ;   in Loop: Header=BB1115_438 Depth=1
	v_cmp_ngt_f32_e64 s[2:3], v36, v37
	s_and_b64 s[22:23], s[2:3], s[24:25]
	s_orn2_b64 s[22:23], s[22:23], exec
	s_and_b64 s[26:27], s[2:3], exec
; %bb.440:                              ;   in Loop: Header=BB1115_438 Depth=1
	s_or_b64 exec, exec, s[28:29]
	s_andn2_b64 s[20:21], s[20:21], exec
	s_and_b64 s[24:25], s[22:23], exec
	s_mov_b64 s[2:3], -1
	s_or_b64 s[20:21], s[20:21], s[24:25]
	s_and_saveexec_b64 s[24:25], s[26:27]
	s_cbranch_execz .LBB1115_437
; %bb.441:                              ;   in Loop: Header=BB1115_438 Depth=1
	v_lshl_add_u64 v[32:33], v[32:33], 0, -1
	v_cmp_eq_u64_e64 s[2:3], 0, v[32:33]
	v_lshl_add_u64 v[24:25], v[24:25], 0, 2
	v_lshl_add_u64 v[30:31], v[30:31], 0, 2
	s_andn2_b64 s[20:21], s[20:21], exec
	s_orn2_b64 s[2:3], s[2:3], exec
	s_branch .LBB1115_437
.LBB1115_442:
	s_or_b64 exec, exec, s[16:17]
	v_cndmask_b32_e64 v25, v3, v34, s[18:19]
	v_cndmask_b32_e64 v24, v2, v35, s[18:19]
.LBB1115_443:
	s_or_b64 exec, exec, s[6:7]
	v_mov_b64_e32 v[2:3], v[24:25]
.LBB1115_444:
	s_or_b64 exec, exec, s[4:5]
.LBB1115_445:
	s_or_b64 exec, exec, s[14:15]
	v_and_b32_e32 v99, 0x3c0, v80
	v_or_b32_e32 v24, 32, v99
	v_min_u32_e32 v97, v71, v24
	v_add_u32_e32 v24, 32, v97
	v_min_u32_e32 v98, v71, v24
	v_and_b32_e32 v24, 56, v80
	v_min_u32_e32 v100, v71, v24
	v_sub_u32_e32 v24, v97, v99
	v_sub_u32_e32 v25, v98, v97
	v_sub_u32_e64 v101, v100, v25 clamp
	v_min_u32_e32 v102, v100, v24
	v_cmp_lt_u32_e64 s[2:3], v101, v102
	; wave barrier
	ds_write_b64 v81, v[18:19]
	ds_write_b64 v82, v[20:21]
	;; [unrolled: 1-line block ×8, first 2 shown]
	; wave barrier
	s_and_saveexec_b64 s[4:5], s[2:3]
	s_cbranch_execz .LBB1115_457
; %bb.446:
	v_lshlrev_b32_e32 v30, 3, v99
	v_mov_b32_e32 v31, 0
	v_lshl_add_u64 v[24:25], v[22:23], 0, v[30:31]
	v_lshlrev_b32_e32 v30, 3, v97
	v_lshl_add_u64 v[30:31], v[22:23], 0, v[30:31]
	v_lshlrev_b64 v[32:33], 1, v[6:7]
	s_mov_b64 s[6:7], 0
	s_branch .LBB1115_449
.LBB1115_447:                           ;   in Loop: Header=BB1115_449 Depth=1
	s_or_b64 exec, exec, s[16:17]
	s_and_b64 s[2:3], s[18:19], exec
.LBB1115_448:                           ;   in Loop: Header=BB1115_449 Depth=1
	s_or_b64 exec, exec, s[14:15]
	v_add_u32_e32 v31, 1, v25
	v_cndmask_b32_e64 v102, v102, v25, s[2:3]
	v_cndmask_b32_e64 v101, v31, v101, s[2:3]
	v_cmp_ge_u32_e64 s[2:3], v101, v102
	s_or_b64 s[6:7], s[2:3], s[6:7]
	s_andn2_b64 exec, exec, s[6:7]
	s_cbranch_execz .LBB1115_456
.LBB1115_449:                           ; =>This Loop Header: Depth=1
                                        ;     Child Loop BB1115_452 Depth 2
	v_add_u32_e32 v25, v102, v101
	v_lshrrev_b32_e32 v25, 1, v25
	s_mov_b64 s[2:3], 0
	s_and_saveexec_b64 s[14:15], vcc
	s_cbranch_execz .LBB1115_448
; %bb.450:                              ;   in Loop: Header=BB1115_449 Depth=1
	v_lshl_add_u32 v31, v25, 3, v24
	ds_read_b64 v[34:35], v31
	v_xad_u32 v31, v25, -1, v100
	v_lshl_add_u32 v31, v31, 3, v30
	ds_read_b64 v[36:37], v31
	s_mov_b64 s[16:17], 0
	s_waitcnt lgkmcnt(1)
	v_mul_lo_u32 v31, v32, v35
	v_mul_lo_u32 v38, v33, v34
	v_mad_u64_u32 v[34:35], s[2:3], v32, v34, v[8:9]
	v_add3_u32 v35, v38, v35, v31
	s_waitcnt lgkmcnt(0)
	v_mul_lo_u32 v31, v32, v37
	v_mul_lo_u32 v38, v33, v36
	v_mad_u64_u32 v[36:37], s[2:3], v32, v36, v[8:9]
	v_add3_u32 v37, v38, v37, v31
	v_mov_b64_e32 v[38:39], v[6:7]
                                        ; implicit-def: $sgpr18_sgpr19
                                        ; implicit-def: $sgpr20_sgpr21
                                        ; implicit-def: $sgpr26_sgpr27
	s_branch .LBB1115_452
.LBB1115_451:                           ;   in Loop: Header=BB1115_452 Depth=2
	s_or_b64 exec, exec, s[26:27]
	s_and_b64 s[2:3], exec, s[24:25]
	s_or_b64 s[16:17], s[2:3], s[16:17]
	s_andn2_b64 s[2:3], s[18:19], exec
	s_and_b64 s[18:19], s[20:21], exec
	s_or_b64 s[18:19], s[2:3], s[18:19]
	s_mov_b64 s[26:27], s[22:23]
	s_andn2_b64 exec, exec, s[16:17]
	s_cbranch_execz .LBB1115_447
.LBB1115_452:                           ;   Parent Loop BB1115_449 Depth=1
                                        ; =>  This Inner Loop Header: Depth=2
	flat_load_ushort v31, v[36:37]
	flat_load_ushort v103, v[34:35]
	s_mov_b64 s[24:25], -1
	s_mov_b64 s[28:29], 0
	s_mov_b64 s[22:23], -1
	s_waitcnt vmcnt(0) lgkmcnt(0)
	v_lshlrev_b32_e32 v31, 16, v31
	v_lshlrev_b32_e32 v103, 16, v103
	v_cmp_nlt_f32_e64 s[2:3], v31, v103
	s_and_saveexec_b64 s[40:41], s[2:3]
; %bb.453:                              ;   in Loop: Header=BB1115_452 Depth=2
	v_cmp_ngt_f32_e64 s[2:3], v31, v103
	s_and_b64 s[22:23], s[2:3], s[26:27]
	s_orn2_b64 s[22:23], s[22:23], exec
	s_and_b64 s[28:29], s[2:3], exec
; %bb.454:                              ;   in Loop: Header=BB1115_452 Depth=2
	s_or_b64 exec, exec, s[40:41]
	s_andn2_b64 s[2:3], s[20:21], exec
	s_and_b64 s[20:21], s[22:23], exec
	s_or_b64 s[20:21], s[2:3], s[20:21]
	s_and_saveexec_b64 s[26:27], s[28:29]
	s_cbranch_execz .LBB1115_451
; %bb.455:                              ;   in Loop: Header=BB1115_452 Depth=2
	v_lshl_add_u64 v[38:39], v[38:39], 0, -1
	v_cmp_eq_u64_e64 s[2:3], 0, v[38:39]
	v_lshl_add_u64 v[34:35], v[34:35], 0, 2
	v_lshl_add_u64 v[36:37], v[36:37], 0, 2
	s_andn2_b64 s[20:21], s[20:21], exec
	s_orn2_b64 s[24:25], s[2:3], exec
	s_branch .LBB1115_451
.LBB1115_456:
	s_or_b64 exec, exec, s[6:7]
.LBB1115_457:
	s_or_b64 exec, exec, s[4:5]
	v_add_u32_e32 v24, v97, v100
	v_add_u32_e32 v25, v101, v99
	v_sub_u32_e32 v30, v24, v101
	v_cmp_le_u32_e64 s[2:3], v25, v97
	v_cmp_le_u32_e64 s[4:5], v30, v98
	s_or_b64 s[2:3], s[2:3], s[4:5]
	s_and_saveexec_b64 s[14:15], s[2:3]
	s_cbranch_execz .LBB1115_541
; %bb.458:
	v_cmp_ge_u32_e64 s[2:3], v25, v97
	v_cmp_lt_u32_e64 s[4:5], v25, v97
                                        ; implicit-def: $vgpr0_vgpr1
	s_and_saveexec_b64 s[6:7], s[4:5]
; %bb.459:
	v_lshl_add_u32 v0, v25, 3, v22
	ds_read_b64 v[0:1], v0
; %bb.460:
	s_or_b64 exec, exec, s[6:7]
	v_cmp_ge_u32_e64 s[4:5], v30, v98
	v_cmp_lt_u32_e64 s[6:7], v30, v98
                                        ; implicit-def: $vgpr2_vgpr3
	s_and_saveexec_b64 s[16:17], s[6:7]
; %bb.461:
	v_lshl_add_u32 v2, v30, 3, v22
	ds_read_b64 v[2:3], v2
; %bb.462:
	s_or_b64 exec, exec, s[16:17]
	s_or_b64 s[6:7], s[2:3], s[4:5]
	s_xor_b64 s[2:3], s[2:3], -1
	s_nor_b64 s[16:17], s[6:7], s[0:1]
	s_or_b64 s[4:5], s[4:5], s[2:3]
	s_and_saveexec_b64 s[6:7], s[16:17]
	s_cbranch_execz .LBB1115_470
; %bb.463:
	s_waitcnt lgkmcnt(0)
	v_mul_lo_u32 v12, v1, v6
	v_mul_lo_u32 v13, v0, v7
	v_mad_u64_u32 v[10:11], s[2:3], v0, v6, 0
	v_add3_u32 v11, v11, v13, v12
	v_mul_lo_u32 v14, v3, v6
	v_mul_lo_u32 v15, v2, v7
	v_mad_u64_u32 v[12:13], s[2:3], v2, v6, 0
	v_add3_u32 v13, v13, v15, v14
	v_lshl_add_u64 v[10:11], v[10:11], 1, v[8:9]
	v_lshl_add_u64 v[12:13], v[12:13], 1, v[8:9]
	s_mov_b64 s[16:17], 0
	v_mov_b64_e32 v[14:15], v[6:7]
                                        ; implicit-def: $sgpr18_sgpr19
                                        ; implicit-def: $sgpr20_sgpr21
                                        ; implicit-def: $sgpr26_sgpr27
	s_branch .LBB1115_465
.LBB1115_464:                           ;   in Loop: Header=BB1115_465 Depth=1
	s_or_b64 exec, exec, s[26:27]
	s_and_b64 s[2:3], exec, s[24:25]
	s_or_b64 s[16:17], s[2:3], s[16:17]
	s_andn2_b64 s[2:3], s[18:19], exec
	s_and_b64 s[18:19], s[20:21], exec
	s_or_b64 s[18:19], s[2:3], s[18:19]
	s_mov_b64 s[26:27], s[22:23]
	s_andn2_b64 exec, exec, s[16:17]
	s_cbranch_execz .LBB1115_469
.LBB1115_465:                           ; =>This Inner Loop Header: Depth=1
	flat_load_ushort v16, v[12:13]
	flat_load_ushort v17, v[10:11]
	s_mov_b64 s[24:25], -1
	s_mov_b64 s[28:29], 0
	s_mov_b64 s[22:23], -1
	s_waitcnt vmcnt(0) lgkmcnt(0)
	v_lshlrev_b32_e32 v16, 16, v16
	v_lshlrev_b32_e32 v17, 16, v17
	v_cmp_nlt_f32_e64 s[2:3], v16, v17
	s_and_saveexec_b64 s[40:41], s[2:3]
; %bb.466:                              ;   in Loop: Header=BB1115_465 Depth=1
	v_cmp_ngt_f32_e64 s[2:3], v16, v17
	s_and_b64 s[22:23], s[2:3], s[26:27]
	s_orn2_b64 s[22:23], s[22:23], exec
	s_and_b64 s[28:29], s[2:3], exec
; %bb.467:                              ;   in Loop: Header=BB1115_465 Depth=1
	s_or_b64 exec, exec, s[40:41]
	s_andn2_b64 s[2:3], s[20:21], exec
	s_and_b64 s[20:21], s[22:23], exec
	s_or_b64 s[20:21], s[2:3], s[20:21]
	s_and_saveexec_b64 s[26:27], s[28:29]
	s_cbranch_execz .LBB1115_464
; %bb.468:                              ;   in Loop: Header=BB1115_465 Depth=1
	v_lshl_add_u64 v[14:15], v[14:15], 0, -1
	v_cmp_eq_u64_e64 s[2:3], 0, v[14:15]
	v_lshl_add_u64 v[10:11], v[10:11], 0, 2
	v_lshl_add_u64 v[12:13], v[12:13], 0, 2
	s_andn2_b64 s[20:21], s[20:21], exec
	s_orn2_b64 s[24:25], s[2:3], exec
	s_branch .LBB1115_464
.LBB1115_469:
	s_or_b64 exec, exec, s[16:17]
	s_xor_b64 s[2:3], s[18:19], -1
	s_andn2_b64 s[4:5], s[4:5], exec
	s_and_b64 s[2:3], s[2:3], exec
	s_or_b64 s[4:5], s[4:5], s[2:3]
.LBB1115_470:
	s_or_b64 exec, exec, s[6:7]
	v_cndmask_b32_e64 v10, v30, v25, s[4:5]
	v_cndmask_b32_e64 v11, v98, v97, s[4:5]
	v_add_u32_e32 v12, 1, v10
	v_add_u32_e32 v10, -1, v11
	v_min_u32_e32 v10, v12, v10
	v_lshl_add_u32 v10, v10, 3, v22
	ds_read_b64 v[10:11], v10
	v_cndmask_b32_e64 v16, v12, v30, s[4:5]
	v_cndmask_b32_e64 v17, v25, v12, s[4:5]
	v_cmp_lt_u32_e64 s[2:3], v16, v98
	s_mov_b64 s[16:17], -1
	s_waitcnt lgkmcnt(0)
	v_cndmask_b32_e64 v18, v11, v3, s[4:5]
	v_cndmask_b32_e64 v19, v10, v2, s[4:5]
	;; [unrolled: 1-line block ×4, first 2 shown]
	s_mov_b64 s[6:7], -1
	s_and_saveexec_b64 s[18:19], s[2:3]
	s_cbranch_execz .LBB1115_480
; %bb.471:
	v_cmp_lt_u32_e64 s[6:7], v17, v97
	s_xor_b64 s[2:3], s[0:1], -1
	s_and_b64 s[2:3], s[6:7], s[2:3]
	s_and_saveexec_b64 s[20:21], s[2:3]
	s_cbranch_execz .LBB1115_479
; %bb.472:
	v_mul_lo_u32 v12, v20, v6
	v_mul_lo_u32 v13, v24, v7
	v_mad_u64_u32 v[10:11], s[2:3], v24, v6, 0
	v_add3_u32 v11, v11, v13, v12
	v_mul_lo_u32 v14, v18, v6
	v_mul_lo_u32 v15, v19, v7
	v_mad_u64_u32 v[12:13], s[2:3], v19, v6, 0
	v_add3_u32 v13, v13, v15, v14
	v_lshl_add_u64 v[10:11], v[10:11], 1, v[8:9]
	v_lshl_add_u64 v[12:13], v[12:13], 1, v[8:9]
	s_mov_b64 s[22:23], 0
	v_mov_b64_e32 v[14:15], v[6:7]
                                        ; implicit-def: $sgpr24_sgpr25
                                        ; implicit-def: $sgpr26_sgpr27
                                        ; implicit-def: $sgpr42_sgpr43
	s_branch .LBB1115_474
.LBB1115_473:                           ;   in Loop: Header=BB1115_474 Depth=1
	s_or_b64 exec, exec, s[42:43]
	s_and_b64 s[2:3], exec, s[40:41]
	s_or_b64 s[22:23], s[2:3], s[22:23]
	s_andn2_b64 s[2:3], s[24:25], exec
	s_and_b64 s[24:25], s[26:27], exec
	s_or_b64 s[24:25], s[2:3], s[24:25]
	s_mov_b64 s[42:43], s[28:29]
	s_andn2_b64 exec, exec, s[22:23]
	s_cbranch_execz .LBB1115_478
.LBB1115_474:                           ; =>This Inner Loop Header: Depth=1
	flat_load_ushort v21, v[12:13]
	flat_load_ushort v25, v[10:11]
	s_mov_b64 s[40:41], -1
	s_mov_b64 s[44:45], 0
	s_mov_b64 s[28:29], -1
	s_waitcnt vmcnt(0) lgkmcnt(0)
	v_lshlrev_b32_e32 v21, 16, v21
	v_lshlrev_b32_e32 v25, 16, v25
	v_cmp_nlt_f32_e64 s[2:3], v21, v25
	s_and_saveexec_b64 s[46:47], s[2:3]
; %bb.475:                              ;   in Loop: Header=BB1115_474 Depth=1
	v_cmp_ngt_f32_e64 s[2:3], v21, v25
	s_and_b64 s[28:29], s[2:3], s[42:43]
	s_orn2_b64 s[28:29], s[28:29], exec
	s_and_b64 s[44:45], s[2:3], exec
; %bb.476:                              ;   in Loop: Header=BB1115_474 Depth=1
	s_or_b64 exec, exec, s[46:47]
	s_andn2_b64 s[2:3], s[26:27], exec
	s_and_b64 s[26:27], s[28:29], exec
	s_or_b64 s[26:27], s[2:3], s[26:27]
	s_and_saveexec_b64 s[42:43], s[44:45]
	s_cbranch_execz .LBB1115_473
; %bb.477:                              ;   in Loop: Header=BB1115_474 Depth=1
	v_lshl_add_u64 v[14:15], v[14:15], 0, -1
	v_cmp_eq_u64_e64 s[2:3], 0, v[14:15]
	v_lshl_add_u64 v[10:11], v[10:11], 0, 2
	v_lshl_add_u64 v[12:13], v[12:13], 0, 2
	s_andn2_b64 s[26:27], s[26:27], exec
	s_orn2_b64 s[40:41], s[2:3], exec
	s_branch .LBB1115_473
.LBB1115_478:
	s_or_b64 exec, exec, s[22:23]
	s_xor_b64 s[2:3], s[24:25], -1
	s_andn2_b64 s[6:7], s[6:7], exec
	s_and_b64 s[2:3], s[2:3], exec
	s_or_b64 s[6:7], s[6:7], s[2:3]
.LBB1115_479:
	s_or_b64 exec, exec, s[20:21]
	s_orn2_b64 s[6:7], s[6:7], exec
.LBB1115_480:
	s_or_b64 exec, exec, s[18:19]
	v_cndmask_b32_e64 v10, v16, v17, s[6:7]
	v_cndmask_b32_e64 v11, v98, v97, s[6:7]
	v_add_u32_e32 v12, 1, v10
	v_add_u32_e32 v10, -1, v11
	v_min_u32_e32 v10, v12, v10
	v_lshl_add_u32 v10, v10, 3, v22
	ds_read_b64 v[10:11], v10
	v_cndmask_b32_e64 v34, v12, v16, s[6:7]
	v_cndmask_b32_e64 v35, v17, v12, s[6:7]
	v_cmp_lt_u32_e64 s[2:3], v34, v98
	s_waitcnt lgkmcnt(0)
	v_cndmask_b32_e64 v21, v11, v18, s[6:7]
	v_cndmask_b32_e64 v25, v10, v19, s[6:7]
	;; [unrolled: 1-line block ×4, first 2 shown]
	s_and_saveexec_b64 s[18:19], s[2:3]
	s_cbranch_execz .LBB1115_490
; %bb.481:
	v_cmp_lt_u32_e64 s[16:17], v35, v97
	s_xor_b64 s[2:3], s[0:1], -1
	s_and_b64 s[2:3], s[16:17], s[2:3]
	s_and_saveexec_b64 s[20:21], s[2:3]
	s_cbranch_execz .LBB1115_489
; %bb.482:
	v_mul_lo_u32 v12, v30, v6
	v_mul_lo_u32 v13, v31, v7
	v_mad_u64_u32 v[10:11], s[2:3], v31, v6, 0
	v_add3_u32 v11, v11, v13, v12
	v_mul_lo_u32 v14, v21, v6
	v_mul_lo_u32 v15, v25, v7
	v_mad_u64_u32 v[12:13], s[2:3], v25, v6, 0
	v_add3_u32 v13, v13, v15, v14
	v_lshl_add_u64 v[10:11], v[10:11], 1, v[8:9]
	v_lshl_add_u64 v[12:13], v[12:13], 1, v[8:9]
	s_mov_b64 s[22:23], 0
	v_mov_b64_e32 v[14:15], v[6:7]
                                        ; implicit-def: $sgpr24_sgpr25
                                        ; implicit-def: $sgpr26_sgpr27
                                        ; implicit-def: $sgpr42_sgpr43
	s_branch .LBB1115_484
.LBB1115_483:                           ;   in Loop: Header=BB1115_484 Depth=1
	s_or_b64 exec, exec, s[42:43]
	s_and_b64 s[2:3], exec, s[40:41]
	s_or_b64 s[22:23], s[2:3], s[22:23]
	s_andn2_b64 s[2:3], s[24:25], exec
	s_and_b64 s[24:25], s[26:27], exec
	s_or_b64 s[24:25], s[2:3], s[24:25]
	s_mov_b64 s[42:43], s[28:29]
	s_andn2_b64 exec, exec, s[22:23]
	s_cbranch_execz .LBB1115_488
.LBB1115_484:                           ; =>This Inner Loop Header: Depth=1
	flat_load_ushort v16, v[12:13]
	flat_load_ushort v17, v[10:11]
	s_mov_b64 s[40:41], -1
	s_mov_b64 s[44:45], 0
	s_mov_b64 s[28:29], -1
	s_waitcnt vmcnt(0) lgkmcnt(0)
	v_lshlrev_b32_e32 v16, 16, v16
	v_lshlrev_b32_e32 v17, 16, v17
	v_cmp_nlt_f32_e64 s[2:3], v16, v17
	s_and_saveexec_b64 s[46:47], s[2:3]
; %bb.485:                              ;   in Loop: Header=BB1115_484 Depth=1
	v_cmp_ngt_f32_e64 s[2:3], v16, v17
	s_and_b64 s[28:29], s[2:3], s[42:43]
	s_orn2_b64 s[28:29], s[28:29], exec
	s_and_b64 s[44:45], s[2:3], exec
; %bb.486:                              ;   in Loop: Header=BB1115_484 Depth=1
	s_or_b64 exec, exec, s[46:47]
	s_andn2_b64 s[2:3], s[26:27], exec
	s_and_b64 s[26:27], s[28:29], exec
	s_or_b64 s[26:27], s[2:3], s[26:27]
	s_and_saveexec_b64 s[42:43], s[44:45]
	s_cbranch_execz .LBB1115_483
; %bb.487:                              ;   in Loop: Header=BB1115_484 Depth=1
	v_lshl_add_u64 v[14:15], v[14:15], 0, -1
	v_cmp_eq_u64_e64 s[2:3], 0, v[14:15]
	v_lshl_add_u64 v[10:11], v[10:11], 0, 2
	v_lshl_add_u64 v[12:13], v[12:13], 0, 2
	s_andn2_b64 s[26:27], s[26:27], exec
	s_orn2_b64 s[40:41], s[2:3], exec
	s_branch .LBB1115_483
.LBB1115_488:
	s_or_b64 exec, exec, s[22:23]
	s_xor_b64 s[2:3], s[24:25], -1
	s_andn2_b64 s[16:17], s[16:17], exec
	s_and_b64 s[2:3], s[2:3], exec
	s_or_b64 s[16:17], s[16:17], s[2:3]
.LBB1115_489:
	s_or_b64 exec, exec, s[20:21]
	s_orn2_b64 s[16:17], s[16:17], exec
.LBB1115_490:
	s_or_b64 exec, exec, s[18:19]
	v_cndmask_b32_e64 v10, v34, v35, s[16:17]
	v_cndmask_b32_e64 v11, v98, v97, s[16:17]
	v_add_u32_e32 v12, 1, v10
	v_add_u32_e32 v10, -1, v11
	v_min_u32_e32 v10, v12, v10
	v_lshl_add_u32 v10, v10, 3, v22
	ds_read_b64 v[10:11], v10
	v_cndmask_b32_e64 v38, v12, v34, s[16:17]
	v_cndmask_b32_e64 v39, v35, v12, s[16:17]
	v_cmp_lt_u32_e64 s[2:3], v38, v98
	s_mov_b64 s[20:21], -1
	s_waitcnt lgkmcnt(0)
	v_cndmask_b32_e64 v16, v11, v21, s[16:17]
	v_cndmask_b32_e64 v32, v10, v25, s[16:17]
	;; [unrolled: 1-line block ×4, first 2 shown]
	s_mov_b64 s[18:19], -1
	s_and_saveexec_b64 s[22:23], s[2:3]
	s_cbranch_execz .LBB1115_500
; %bb.491:
	v_cmp_lt_u32_e64 s[18:19], v39, v97
	s_xor_b64 s[2:3], s[0:1], -1
	s_and_b64 s[2:3], s[18:19], s[2:3]
	s_and_saveexec_b64 s[24:25], s[2:3]
	s_cbranch_execz .LBB1115_499
; %bb.492:
	v_mul_lo_u32 v12, v17, v6
	v_mul_lo_u32 v13, v33, v7
	v_mad_u64_u32 v[10:11], s[2:3], v33, v6, 0
	v_add3_u32 v11, v11, v13, v12
	v_mul_lo_u32 v14, v16, v6
	v_mul_lo_u32 v15, v32, v7
	v_mad_u64_u32 v[12:13], s[2:3], v32, v6, 0
	v_add3_u32 v13, v13, v15, v14
	v_lshl_add_u64 v[10:11], v[10:11], 1, v[8:9]
	v_lshl_add_u64 v[12:13], v[12:13], 1, v[8:9]
	s_mov_b64 s[26:27], 0
	v_mov_b64_e32 v[14:15], v[6:7]
                                        ; implicit-def: $sgpr28_sgpr29
                                        ; implicit-def: $sgpr40_sgpr41
                                        ; implicit-def: $sgpr46_sgpr47
	s_branch .LBB1115_494
.LBB1115_493:                           ;   in Loop: Header=BB1115_494 Depth=1
	s_or_b64 exec, exec, s[46:47]
	s_and_b64 s[2:3], exec, s[44:45]
	s_or_b64 s[26:27], s[2:3], s[26:27]
	s_andn2_b64 s[2:3], s[28:29], exec
	s_and_b64 s[28:29], s[40:41], exec
	s_or_b64 s[28:29], s[2:3], s[28:29]
	s_mov_b64 s[46:47], s[42:43]
	s_andn2_b64 exec, exec, s[26:27]
	s_cbranch_execz .LBB1115_498
.LBB1115_494:                           ; =>This Inner Loop Header: Depth=1
	flat_load_ushort v34, v[12:13]
	flat_load_ushort v35, v[10:11]
	s_mov_b64 s[44:45], -1
	s_mov_b64 s[56:57], 0
	s_mov_b64 s[42:43], -1
	s_waitcnt vmcnt(0) lgkmcnt(0)
	v_lshlrev_b32_e32 v34, 16, v34
	v_lshlrev_b32_e32 v35, 16, v35
	v_cmp_nlt_f32_e64 s[2:3], v34, v35
	s_and_saveexec_b64 s[58:59], s[2:3]
; %bb.495:                              ;   in Loop: Header=BB1115_494 Depth=1
	v_cmp_ngt_f32_e64 s[2:3], v34, v35
	s_and_b64 s[42:43], s[2:3], s[46:47]
	s_orn2_b64 s[42:43], s[42:43], exec
	s_and_b64 s[56:57], s[2:3], exec
; %bb.496:                              ;   in Loop: Header=BB1115_494 Depth=1
	s_or_b64 exec, exec, s[58:59]
	s_andn2_b64 s[2:3], s[40:41], exec
	s_and_b64 s[40:41], s[42:43], exec
	s_or_b64 s[40:41], s[2:3], s[40:41]
	s_and_saveexec_b64 s[46:47], s[56:57]
	s_cbranch_execz .LBB1115_493
; %bb.497:                              ;   in Loop: Header=BB1115_494 Depth=1
	v_lshl_add_u64 v[14:15], v[14:15], 0, -1
	v_cmp_eq_u64_e64 s[2:3], 0, v[14:15]
	v_lshl_add_u64 v[10:11], v[10:11], 0, 2
	v_lshl_add_u64 v[12:13], v[12:13], 0, 2
	s_andn2_b64 s[40:41], s[40:41], exec
	s_orn2_b64 s[44:45], s[2:3], exec
	s_branch .LBB1115_493
.LBB1115_498:
	s_or_b64 exec, exec, s[26:27]
	s_xor_b64 s[2:3], s[28:29], -1
	s_andn2_b64 s[18:19], s[18:19], exec
	s_and_b64 s[2:3], s[2:3], exec
	s_or_b64 s[18:19], s[18:19], s[2:3]
.LBB1115_499:
	s_or_b64 exec, exec, s[24:25]
	s_orn2_b64 s[18:19], s[18:19], exec
.LBB1115_500:
	s_or_b64 exec, exec, s[22:23]
	v_cndmask_b32_e64 v10, v38, v39, s[18:19]
	v_cndmask_b32_e64 v11, v98, v97, s[18:19]
	v_add_u32_e32 v12, 1, v10
	v_add_u32_e32 v10, -1, v11
	v_min_u32_e32 v10, v12, v10
	v_lshl_add_u32 v10, v10, 3, v22
	ds_read_b64 v[10:11], v10
	v_cndmask_b32_e64 v101, v12, v38, s[18:19]
	v_cndmask_b32_e64 v102, v39, v12, s[18:19]
	v_cmp_lt_u32_e64 s[2:3], v101, v98
	s_waitcnt lgkmcnt(0)
	v_cndmask_b32_e64 v34, v11, v16, s[18:19]
	v_cndmask_b32_e64 v35, v10, v32, s[18:19]
	;; [unrolled: 1-line block ×4, first 2 shown]
	s_and_saveexec_b64 s[22:23], s[2:3]
	s_cbranch_execz .LBB1115_510
; %bb.501:
	v_cmp_lt_u32_e64 s[20:21], v102, v97
	s_xor_b64 s[2:3], s[0:1], -1
	s_and_b64 s[2:3], s[20:21], s[2:3]
	s_and_saveexec_b64 s[24:25], s[2:3]
	s_cbranch_execz .LBB1115_509
; %bb.502:
	v_mul_lo_u32 v12, v36, v6
	v_mul_lo_u32 v13, v37, v7
	v_mad_u64_u32 v[10:11], s[2:3], v37, v6, 0
	v_add3_u32 v11, v11, v13, v12
	v_mul_lo_u32 v14, v34, v6
	v_mul_lo_u32 v15, v35, v7
	v_mad_u64_u32 v[12:13], s[2:3], v35, v6, 0
	v_add3_u32 v13, v13, v15, v14
	v_lshl_add_u64 v[10:11], v[10:11], 1, v[8:9]
	v_lshl_add_u64 v[12:13], v[12:13], 1, v[8:9]
	s_mov_b64 s[26:27], 0
	v_mov_b64_e32 v[14:15], v[6:7]
                                        ; implicit-def: $sgpr28_sgpr29
                                        ; implicit-def: $sgpr40_sgpr41
                                        ; implicit-def: $sgpr46_sgpr47
	s_branch .LBB1115_504
.LBB1115_503:                           ;   in Loop: Header=BB1115_504 Depth=1
	s_or_b64 exec, exec, s[46:47]
	s_and_b64 s[2:3], exec, s[44:45]
	s_or_b64 s[26:27], s[2:3], s[26:27]
	s_andn2_b64 s[2:3], s[28:29], exec
	s_and_b64 s[28:29], s[40:41], exec
	s_or_b64 s[28:29], s[2:3], s[28:29]
	s_mov_b64 s[46:47], s[42:43]
	s_andn2_b64 exec, exec, s[26:27]
	s_cbranch_execz .LBB1115_508
.LBB1115_504:                           ; =>This Inner Loop Header: Depth=1
	flat_load_ushort v38, v[12:13]
	flat_load_ushort v39, v[10:11]
	s_mov_b64 s[44:45], -1
	s_mov_b64 s[56:57], 0
	s_mov_b64 s[42:43], -1
	s_waitcnt vmcnt(0) lgkmcnt(0)
	v_lshlrev_b32_e32 v38, 16, v38
	v_lshlrev_b32_e32 v39, 16, v39
	v_cmp_nlt_f32_e64 s[2:3], v38, v39
	s_and_saveexec_b64 s[58:59], s[2:3]
; %bb.505:                              ;   in Loop: Header=BB1115_504 Depth=1
	v_cmp_ngt_f32_e64 s[2:3], v38, v39
	s_and_b64 s[42:43], s[2:3], s[46:47]
	s_orn2_b64 s[42:43], s[42:43], exec
	s_and_b64 s[56:57], s[2:3], exec
; %bb.506:                              ;   in Loop: Header=BB1115_504 Depth=1
	s_or_b64 exec, exec, s[58:59]
	s_andn2_b64 s[2:3], s[40:41], exec
	s_and_b64 s[40:41], s[42:43], exec
	s_or_b64 s[40:41], s[2:3], s[40:41]
	s_and_saveexec_b64 s[46:47], s[56:57]
	s_cbranch_execz .LBB1115_503
; %bb.507:                              ;   in Loop: Header=BB1115_504 Depth=1
	v_lshl_add_u64 v[14:15], v[14:15], 0, -1
	v_cmp_eq_u64_e64 s[2:3], 0, v[14:15]
	v_lshl_add_u64 v[10:11], v[10:11], 0, 2
	v_lshl_add_u64 v[12:13], v[12:13], 0, 2
	s_andn2_b64 s[40:41], s[40:41], exec
	s_orn2_b64 s[44:45], s[2:3], exec
	s_branch .LBB1115_503
.LBB1115_508:
	s_or_b64 exec, exec, s[26:27]
	s_xor_b64 s[2:3], s[28:29], -1
	s_andn2_b64 s[20:21], s[20:21], exec
	s_and_b64 s[2:3], s[2:3], exec
	s_or_b64 s[20:21], s[20:21], s[2:3]
.LBB1115_509:
	s_or_b64 exec, exec, s[24:25]
	s_orn2_b64 s[20:21], s[20:21], exec
.LBB1115_510:
	s_or_b64 exec, exec, s[22:23]
	v_cndmask_b32_e64 v10, v101, v102, s[20:21]
	v_cndmask_b32_e64 v11, v98, v97, s[20:21]
	v_add_u32_e32 v12, 1, v10
	v_add_u32_e32 v10, -1, v11
	v_min_u32_e32 v10, v12, v10
	v_lshl_add_u32 v10, v10, 3, v22
	ds_read_b64 v[10:11], v10
	v_cndmask_b32_e64 v103, v12, v101, s[20:21]
	v_cndmask_b32_e64 v115, v102, v12, s[20:21]
	v_cmp_lt_u32_e64 s[2:3], v103, v98
	s_mov_b64 s[22:23], -1
	s_waitcnt lgkmcnt(0)
	v_cndmask_b32_e64 v38, v11, v34, s[20:21]
	v_cndmask_b32_e64 v39, v10, v35, s[20:21]
	v_cndmask_b32_e64 v99, v36, v11, s[20:21]
	v_cndmask_b32_e64 v100, v37, v10, s[20:21]
	s_mov_b64 s[24:25], -1
	s_and_saveexec_b64 s[26:27], s[2:3]
	s_cbranch_execz .LBB1115_520
; %bb.511:
	v_cmp_lt_u32_e64 s[24:25], v115, v97
	s_xor_b64 s[2:3], s[0:1], -1
	s_and_b64 s[2:3], s[24:25], s[2:3]
	s_and_saveexec_b64 s[28:29], s[2:3]
	s_cbranch_execz .LBB1115_519
; %bb.512:
	v_mul_lo_u32 v12, v99, v6
	v_mul_lo_u32 v13, v100, v7
	v_mad_u64_u32 v[10:11], s[2:3], v100, v6, 0
	v_add3_u32 v11, v11, v13, v12
	v_mul_lo_u32 v14, v38, v6
	v_mul_lo_u32 v15, v39, v7
	v_mad_u64_u32 v[12:13], s[2:3], v39, v6, 0
	v_add3_u32 v13, v13, v15, v14
	v_lshl_add_u64 v[10:11], v[10:11], 1, v[8:9]
	v_lshl_add_u64 v[12:13], v[12:13], 1, v[8:9]
	s_mov_b64 s[40:41], 0
	v_mov_b64_e32 v[14:15], v[6:7]
                                        ; implicit-def: $sgpr42_sgpr43
                                        ; implicit-def: $sgpr44_sgpr45
                                        ; implicit-def: $sgpr58_sgpr59
	s_branch .LBB1115_514
.LBB1115_513:                           ;   in Loop: Header=BB1115_514 Depth=1
	s_or_b64 exec, exec, s[58:59]
	s_and_b64 s[2:3], exec, s[56:57]
	s_or_b64 s[40:41], s[2:3], s[40:41]
	s_andn2_b64 s[2:3], s[42:43], exec
	s_and_b64 s[42:43], s[44:45], exec
	s_or_b64 s[42:43], s[2:3], s[42:43]
	s_mov_b64 s[58:59], s[46:47]
	s_andn2_b64 exec, exec, s[40:41]
	s_cbranch_execz .LBB1115_518
.LBB1115_514:                           ; =>This Inner Loop Header: Depth=1
	flat_load_ushort v101, v[12:13]
	flat_load_ushort v102, v[10:11]
	s_mov_b64 s[56:57], -1
	s_mov_b64 s[60:61], 0
	s_mov_b64 s[46:47], -1
	s_waitcnt vmcnt(0) lgkmcnt(0)
	v_lshlrev_b32_e32 v101, 16, v101
	v_lshlrev_b32_e32 v102, 16, v102
	v_cmp_nlt_f32_e64 s[2:3], v101, v102
	s_and_saveexec_b64 s[62:63], s[2:3]
; %bb.515:                              ;   in Loop: Header=BB1115_514 Depth=1
	v_cmp_ngt_f32_e64 s[2:3], v101, v102
	s_and_b64 s[46:47], s[2:3], s[58:59]
	s_orn2_b64 s[46:47], s[46:47], exec
	s_and_b64 s[60:61], s[2:3], exec
; %bb.516:                              ;   in Loop: Header=BB1115_514 Depth=1
	s_or_b64 exec, exec, s[62:63]
	s_andn2_b64 s[2:3], s[44:45], exec
	s_and_b64 s[44:45], s[46:47], exec
	s_or_b64 s[44:45], s[2:3], s[44:45]
	s_and_saveexec_b64 s[58:59], s[60:61]
	s_cbranch_execz .LBB1115_513
; %bb.517:                              ;   in Loop: Header=BB1115_514 Depth=1
	v_lshl_add_u64 v[14:15], v[14:15], 0, -1
	v_cmp_eq_u64_e64 s[2:3], 0, v[14:15]
	v_lshl_add_u64 v[10:11], v[10:11], 0, 2
	v_lshl_add_u64 v[12:13], v[12:13], 0, 2
	s_andn2_b64 s[44:45], s[44:45], exec
	s_orn2_b64 s[56:57], s[2:3], exec
	s_branch .LBB1115_513
.LBB1115_518:
	s_or_b64 exec, exec, s[40:41]
	s_xor_b64 s[2:3], s[42:43], -1
	s_andn2_b64 s[24:25], s[24:25], exec
	s_and_b64 s[2:3], s[2:3], exec
	s_or_b64 s[24:25], s[24:25], s[2:3]
.LBB1115_519:
	s_or_b64 exec, exec, s[28:29]
	s_orn2_b64 s[24:25], s[24:25], exec
.LBB1115_520:
	s_or_b64 exec, exec, s[26:27]
	v_cndmask_b32_e64 v10, v103, v115, s[24:25]
	v_cndmask_b32_e64 v11, v98, v97, s[24:25]
	v_add_u32_e32 v12, 1, v10
	v_add_u32_e32 v10, -1, v11
	v_min_u32_e32 v10, v12, v10
	v_lshl_add_u32 v10, v10, 3, v22
	ds_read_b64 v[10:11], v10
	v_cndmask_b32_e64 v112, v12, v103, s[24:25]
	v_cndmask_b32_e64 v103, v115, v12, s[24:25]
	v_cmp_lt_u32_e64 s[2:3], v112, v98
	s_waitcnt lgkmcnt(0)
	v_cndmask_b32_e64 v101, v11, v38, s[24:25]
	v_cndmask_b32_e64 v102, v10, v39, s[24:25]
	;; [unrolled: 1-line block ×4, first 2 shown]
	s_and_saveexec_b64 s[26:27], s[2:3]
	s_cbranch_execz .LBB1115_530
; %bb.521:
	v_cmp_lt_u32_e64 s[22:23], v103, v97
	s_xor_b64 s[2:3], s[0:1], -1
	s_and_b64 s[2:3], s[22:23], s[2:3]
	s_and_saveexec_b64 s[28:29], s[2:3]
	s_cbranch_execz .LBB1115_529
; %bb.522:
	v_mul_lo_u32 v12, v113, v6
	v_mul_lo_u32 v13, v114, v7
	v_mad_u64_u32 v[10:11], s[2:3], v114, v6, 0
	v_add3_u32 v11, v11, v13, v12
	v_mul_lo_u32 v14, v101, v6
	v_mul_lo_u32 v15, v102, v7
	v_mad_u64_u32 v[12:13], s[2:3], v102, v6, 0
	v_add3_u32 v13, v13, v15, v14
	v_lshl_add_u64 v[10:11], v[10:11], 1, v[8:9]
	v_lshl_add_u64 v[12:13], v[12:13], 1, v[8:9]
	s_mov_b64 s[40:41], 0
	v_mov_b64_e32 v[14:15], v[6:7]
                                        ; implicit-def: $sgpr42_sgpr43
                                        ; implicit-def: $sgpr44_sgpr45
                                        ; implicit-def: $sgpr58_sgpr59
	s_branch .LBB1115_524
.LBB1115_523:                           ;   in Loop: Header=BB1115_524 Depth=1
	s_or_b64 exec, exec, s[58:59]
	s_and_b64 s[2:3], exec, s[56:57]
	s_or_b64 s[40:41], s[2:3], s[40:41]
	s_andn2_b64 s[2:3], s[42:43], exec
	s_and_b64 s[42:43], s[44:45], exec
	s_or_b64 s[42:43], s[2:3], s[42:43]
	s_mov_b64 s[58:59], s[46:47]
	s_andn2_b64 exec, exec, s[40:41]
	s_cbranch_execz .LBB1115_528
.LBB1115_524:                           ; =>This Inner Loop Header: Depth=1
	flat_load_ushort v115, v[12:13]
	flat_load_ushort v116, v[10:11]
	s_mov_b64 s[56:57], -1
	s_mov_b64 s[60:61], 0
	s_mov_b64 s[46:47], -1
	s_waitcnt vmcnt(0) lgkmcnt(0)
	v_lshlrev_b32_e32 v115, 16, v115
	v_lshlrev_b32_e32 v116, 16, v116
	v_cmp_nlt_f32_e64 s[2:3], v115, v116
	s_and_saveexec_b64 s[62:63], s[2:3]
; %bb.525:                              ;   in Loop: Header=BB1115_524 Depth=1
	v_cmp_ngt_f32_e64 s[2:3], v115, v116
	s_and_b64 s[46:47], s[2:3], s[58:59]
	s_orn2_b64 s[46:47], s[46:47], exec
	s_and_b64 s[60:61], s[2:3], exec
; %bb.526:                              ;   in Loop: Header=BB1115_524 Depth=1
	s_or_b64 exec, exec, s[62:63]
	s_andn2_b64 s[2:3], s[44:45], exec
	s_and_b64 s[44:45], s[46:47], exec
	s_or_b64 s[44:45], s[2:3], s[44:45]
	s_and_saveexec_b64 s[58:59], s[60:61]
	s_cbranch_execz .LBB1115_523
; %bb.527:                              ;   in Loop: Header=BB1115_524 Depth=1
	v_lshl_add_u64 v[14:15], v[14:15], 0, -1
	v_cmp_eq_u64_e64 s[2:3], 0, v[14:15]
	v_lshl_add_u64 v[10:11], v[10:11], 0, 2
	v_lshl_add_u64 v[12:13], v[12:13], 0, 2
	s_andn2_b64 s[44:45], s[44:45], exec
	s_orn2_b64 s[56:57], s[2:3], exec
	s_branch .LBB1115_523
.LBB1115_528:
	s_or_b64 exec, exec, s[40:41]
	s_xor_b64 s[2:3], s[42:43], -1
	s_andn2_b64 s[22:23], s[22:23], exec
	s_and_b64 s[2:3], s[2:3], exec
	s_or_b64 s[22:23], s[22:23], s[2:3]
.LBB1115_529:
	s_or_b64 exec, exec, s[28:29]
	s_orn2_b64 s[22:23], s[22:23], exec
.LBB1115_530:
	s_or_b64 exec, exec, s[26:27]
	v_cndmask_b32_e64 v15, v21, v30, s[16:17]
	v_cndmask_b32_e64 v21, v18, v20, s[6:7]
	;; [unrolled: 1-line block ×5, first 2 shown]
	v_add_u32_e32 v30, 1, v18
	v_add_u32_e32 v18, -1, v19
	v_min_u32_e32 v18, v30, v18
	v_lshl_add_u32 v18, v18, 3, v22
	v_cndmask_b32_e64 v14, v25, v31, s[16:17]
	ds_read_b64 v[24:25], v18
	v_cndmask_b32_e64 v31, v30, v112, s[22:23]
	v_cndmask_b32_e64 v13, v38, v99, s[24:25]
	;; [unrolled: 1-line block ×11, first 2 shown]
	s_waitcnt lgkmcnt(0)
	v_cndmask_b32_e64 v3, v113, v25, s[22:23]
	v_cndmask_b32_e64 v2, v114, v24, s[22:23]
	v_cmp_lt_u32_e64 s[2:3], v31, v98
	s_and_saveexec_b64 s[4:5], s[2:3]
	s_cbranch_execz .LBB1115_540
; %bb.531:
	v_cndmask_b32_e64 v35, v24, v102, s[22:23]
	v_cndmask_b32_e64 v24, v103, v30, s[22:23]
	;; [unrolled: 1-line block ×3, first 2 shown]
	v_cmp_ge_u32_e64 s[2:3], v24, v97
	s_nor_b64 s[16:17], s[2:3], s[0:1]
	s_nop 0
	v_cndmask_b32_e64 v25, v3, v34, s[2:3]
	v_cndmask_b32_e64 v24, v2, v35, s[2:3]
	s_and_saveexec_b64 s[6:7], s[16:17]
	s_cbranch_execz .LBB1115_539
; %bb.532:
	v_mul_lo_u32 v30, v3, v6
	v_mul_lo_u32 v31, v2, v7
	v_mad_u64_u32 v[24:25], s[2:3], v2, v6, 0
	v_add3_u32 v25, v25, v31, v30
	v_mul_lo_u32 v32, v34, v6
	v_mul_lo_u32 v33, v35, v7
	v_mad_u64_u32 v[30:31], s[2:3], v35, v6, 0
	v_add3_u32 v31, v31, v33, v32
	v_lshl_add_u64 v[24:25], v[24:25], 1, v[8:9]
	v_lshl_add_u64 v[30:31], v[30:31], 1, v[8:9]
	s_mov_b64 s[16:17], 0
	v_mov_b64_e32 v[32:33], v[6:7]
                                        ; implicit-def: $sgpr18_sgpr19
                                        ; implicit-def: $sgpr20_sgpr21
                                        ; implicit-def: $sgpr24_sgpr25
	s_branch .LBB1115_534
.LBB1115_533:                           ;   in Loop: Header=BB1115_534 Depth=1
	s_or_b64 exec, exec, s[24:25]
	s_and_b64 s[2:3], exec, s[2:3]
	s_or_b64 s[16:17], s[2:3], s[16:17]
	s_andn2_b64 s[2:3], s[18:19], exec
	s_and_b64 s[18:19], s[20:21], exec
	s_or_b64 s[18:19], s[2:3], s[18:19]
	s_mov_b64 s[24:25], s[22:23]
	s_andn2_b64 exec, exec, s[16:17]
	s_cbranch_execz .LBB1115_538
.LBB1115_534:                           ; =>This Inner Loop Header: Depth=1
	flat_load_ushort v36, v[30:31]
	flat_load_ushort v37, v[24:25]
	s_mov_b64 s[26:27], 0
	s_mov_b64 s[22:23], -1
	s_waitcnt vmcnt(0) lgkmcnt(0)
	v_lshlrev_b32_e32 v36, 16, v36
	v_lshlrev_b32_e32 v37, 16, v37
	v_cmp_nlt_f32_e64 s[2:3], v36, v37
	s_and_saveexec_b64 s[28:29], s[2:3]
; %bb.535:                              ;   in Loop: Header=BB1115_534 Depth=1
	v_cmp_ngt_f32_e64 s[2:3], v36, v37
	s_and_b64 s[22:23], s[2:3], s[24:25]
	s_orn2_b64 s[22:23], s[22:23], exec
	s_and_b64 s[26:27], s[2:3], exec
; %bb.536:                              ;   in Loop: Header=BB1115_534 Depth=1
	s_or_b64 exec, exec, s[28:29]
	s_andn2_b64 s[20:21], s[20:21], exec
	s_and_b64 s[24:25], s[22:23], exec
	s_mov_b64 s[2:3], -1
	s_or_b64 s[20:21], s[20:21], s[24:25]
	s_and_saveexec_b64 s[24:25], s[26:27]
	s_cbranch_execz .LBB1115_533
; %bb.537:                              ;   in Loop: Header=BB1115_534 Depth=1
	v_lshl_add_u64 v[32:33], v[32:33], 0, -1
	v_cmp_eq_u64_e64 s[2:3], 0, v[32:33]
	v_lshl_add_u64 v[24:25], v[24:25], 0, 2
	v_lshl_add_u64 v[30:31], v[30:31], 0, 2
	s_andn2_b64 s[20:21], s[20:21], exec
	s_orn2_b64 s[2:3], s[2:3], exec
	s_branch .LBB1115_533
.LBB1115_538:
	s_or_b64 exec, exec, s[16:17]
	v_cndmask_b32_e64 v25, v3, v34, s[18:19]
	v_cndmask_b32_e64 v24, v2, v35, s[18:19]
.LBB1115_539:
	s_or_b64 exec, exec, s[6:7]
	v_mov_b64_e32 v[2:3], v[24:25]
.LBB1115_540:
	s_or_b64 exec, exec, s[4:5]
.LBB1115_541:
	s_or_b64 exec, exec, s[14:15]
	; wave barrier
	ds_write_b64 v81, v[18:19]
	ds_write_b64 v82, v[20:21]
	;; [unrolled: 1-line block ×8, first 2 shown]
	v_and_b32_e32 v83, 0x380, v80
	v_or_b32_e32 v24, 64, v83
	v_min_u32_e32 v81, v71, v24
	v_add_u32_e32 v24, 64, v81
	v_min_u32_e32 v82, v71, v24
	v_and_b32_e32 v24, 0x78, v80
	v_min_u32_e32 v71, v71, v24
	v_sub_u32_e32 v24, v81, v83
	v_sub_u32_e32 v25, v82, v81
	v_sub_u32_e64 v80, v71, v25 clamp
	v_min_u32_e32 v84, v71, v24
	v_cmp_lt_u32_e64 s[2:3], v80, v84
	; wave barrier
	s_and_saveexec_b64 s[4:5], s[2:3]
	s_cbranch_execz .LBB1115_553
; %bb.542:
	v_lshlrev_b32_e32 v30, 3, v83
	v_mov_b32_e32 v31, 0
	v_lshl_add_u64 v[24:25], v[22:23], 0, v[30:31]
	v_lshlrev_b32_e32 v30, 3, v81
	v_lshl_add_u64 v[30:31], v[22:23], 0, v[30:31]
	v_lshlrev_b64 v[32:33], 1, v[6:7]
	s_mov_b64 s[6:7], 0
	s_branch .LBB1115_545
.LBB1115_543:                           ;   in Loop: Header=BB1115_545 Depth=1
	s_or_b64 exec, exec, s[16:17]
	s_and_b64 s[2:3], s[18:19], exec
.LBB1115_544:                           ;   in Loop: Header=BB1115_545 Depth=1
	s_or_b64 exec, exec, s[14:15]
	v_add_u32_e32 v25, 1, v23
	v_cndmask_b32_e64 v84, v84, v23, s[2:3]
	v_cndmask_b32_e64 v80, v25, v80, s[2:3]
	v_cmp_ge_u32_e64 s[2:3], v80, v84
	s_or_b64 s[6:7], s[2:3], s[6:7]
	s_andn2_b64 exec, exec, s[6:7]
	s_cbranch_execz .LBB1115_552
.LBB1115_545:                           ; =>This Loop Header: Depth=1
                                        ;     Child Loop BB1115_548 Depth 2
	v_add_u32_e32 v23, v84, v80
	v_lshrrev_b32_e32 v23, 1, v23
	s_mov_b64 s[2:3], 0
	s_and_saveexec_b64 s[14:15], vcc
	s_cbranch_execz .LBB1115_544
; %bb.546:                              ;   in Loop: Header=BB1115_545 Depth=1
	v_lshl_add_u32 v25, v23, 3, v24
	ds_read_b64 v[34:35], v25
	v_xad_u32 v25, v23, -1, v71
	v_lshl_add_u32 v25, v25, 3, v30
	ds_read_b64 v[36:37], v25
	s_mov_b64 s[16:17], 0
	s_waitcnt lgkmcnt(1)
	v_mul_lo_u32 v25, v32, v35
	v_mul_lo_u32 v31, v33, v34
	v_mad_u64_u32 v[34:35], s[2:3], v32, v34, v[8:9]
	v_add3_u32 v35, v31, v35, v25
	s_waitcnt lgkmcnt(0)
	v_mul_lo_u32 v25, v32, v37
	v_mul_lo_u32 v31, v33, v36
	v_mad_u64_u32 v[36:37], s[2:3], v32, v36, v[8:9]
	v_add3_u32 v37, v31, v37, v25
	v_mov_b64_e32 v[38:39], v[6:7]
                                        ; implicit-def: $sgpr18_sgpr19
                                        ; implicit-def: $sgpr20_sgpr21
                                        ; implicit-def: $sgpr26_sgpr27
	s_branch .LBB1115_548
.LBB1115_547:                           ;   in Loop: Header=BB1115_548 Depth=2
	s_or_b64 exec, exec, s[26:27]
	s_and_b64 s[2:3], exec, s[24:25]
	s_or_b64 s[16:17], s[2:3], s[16:17]
	s_andn2_b64 s[2:3], s[18:19], exec
	s_and_b64 s[18:19], s[20:21], exec
	s_or_b64 s[18:19], s[2:3], s[18:19]
	s_mov_b64 s[26:27], s[22:23]
	s_andn2_b64 exec, exec, s[16:17]
	s_cbranch_execz .LBB1115_543
.LBB1115_548:                           ;   Parent Loop BB1115_545 Depth=1
                                        ; =>  This Inner Loop Header: Depth=2
	flat_load_ushort v25, v[36:37]
	flat_load_ushort v31, v[34:35]
	s_mov_b64 s[24:25], -1
	s_mov_b64 s[28:29], 0
	s_mov_b64 s[22:23], -1
	s_waitcnt vmcnt(0) lgkmcnt(0)
	v_lshlrev_b32_e32 v25, 16, v25
	v_lshlrev_b32_e32 v31, 16, v31
	v_cmp_nlt_f32_e64 s[2:3], v25, v31
	s_and_saveexec_b64 s[40:41], s[2:3]
; %bb.549:                              ;   in Loop: Header=BB1115_548 Depth=2
	v_cmp_ngt_f32_e64 s[2:3], v25, v31
	s_and_b64 s[22:23], s[2:3], s[26:27]
	s_orn2_b64 s[22:23], s[22:23], exec
	s_and_b64 s[28:29], s[2:3], exec
; %bb.550:                              ;   in Loop: Header=BB1115_548 Depth=2
	s_or_b64 exec, exec, s[40:41]
	s_andn2_b64 s[2:3], s[20:21], exec
	s_and_b64 s[20:21], s[22:23], exec
	s_or_b64 s[20:21], s[2:3], s[20:21]
	s_and_saveexec_b64 s[26:27], s[28:29]
	s_cbranch_execz .LBB1115_547
; %bb.551:                              ;   in Loop: Header=BB1115_548 Depth=2
	v_lshl_add_u64 v[38:39], v[38:39], 0, -1
	v_cmp_eq_u64_e64 s[2:3], 0, v[38:39]
	v_lshl_add_u64 v[34:35], v[34:35], 0, 2
	v_lshl_add_u64 v[36:37], v[36:37], 0, 2
	s_andn2_b64 s[20:21], s[20:21], exec
	s_orn2_b64 s[24:25], s[2:3], exec
	s_branch .LBB1115_547
.LBB1115_552:
	s_or_b64 exec, exec, s[6:7]
.LBB1115_553:
	s_or_b64 exec, exec, s[4:5]
	v_add_u32_e32 v23, v81, v71
	v_add_u32_e32 v24, v80, v83
	v_sub_u32_e32 v25, v23, v80
	v_cmp_le_u32_e64 s[2:3], v24, v81
	v_cmp_le_u32_e64 s[4:5], v25, v82
	s_or_b64 s[2:3], s[2:3], s[4:5]
	s_and_saveexec_b64 s[14:15], s[2:3]
	s_cbranch_execz .LBB1115_637
; %bb.554:
	v_cmp_ge_u32_e64 s[2:3], v24, v81
	v_cmp_lt_u32_e64 s[4:5], v24, v81
                                        ; implicit-def: $vgpr0_vgpr1
	s_and_saveexec_b64 s[6:7], s[4:5]
; %bb.555:
	v_lshl_add_u32 v0, v24, 3, v22
	ds_read_b64 v[0:1], v0
; %bb.556:
	s_or_b64 exec, exec, s[6:7]
	v_cmp_ge_u32_e64 s[4:5], v25, v82
	v_cmp_lt_u32_e64 s[6:7], v25, v82
                                        ; implicit-def: $vgpr2_vgpr3
	s_and_saveexec_b64 s[16:17], s[6:7]
; %bb.557:
	v_lshl_add_u32 v2, v25, 3, v22
	ds_read_b64 v[2:3], v2
; %bb.558:
	s_or_b64 exec, exec, s[16:17]
	s_or_b64 s[6:7], s[2:3], s[4:5]
	s_xor_b64 s[2:3], s[2:3], -1
	s_nor_b64 s[16:17], s[6:7], s[0:1]
	s_or_b64 s[4:5], s[4:5], s[2:3]
	s_and_saveexec_b64 s[6:7], s[16:17]
	s_cbranch_execz .LBB1115_566
; %bb.559:
	s_waitcnt lgkmcnt(0)
	v_mul_lo_u32 v12, v1, v6
	v_mul_lo_u32 v13, v0, v7
	v_mad_u64_u32 v[10:11], s[2:3], v0, v6, 0
	v_add3_u32 v11, v11, v13, v12
	v_mul_lo_u32 v14, v3, v6
	v_mul_lo_u32 v15, v2, v7
	v_mad_u64_u32 v[12:13], s[2:3], v2, v6, 0
	v_add3_u32 v13, v13, v15, v14
	v_lshl_add_u64 v[10:11], v[10:11], 1, v[8:9]
	v_lshl_add_u64 v[12:13], v[12:13], 1, v[8:9]
	s_mov_b64 s[16:17], 0
	v_mov_b64_e32 v[14:15], v[6:7]
                                        ; implicit-def: $sgpr18_sgpr19
                                        ; implicit-def: $sgpr20_sgpr21
                                        ; implicit-def: $sgpr26_sgpr27
	s_branch .LBB1115_561
.LBB1115_560:                           ;   in Loop: Header=BB1115_561 Depth=1
	s_or_b64 exec, exec, s[26:27]
	s_and_b64 s[2:3], exec, s[24:25]
	s_or_b64 s[16:17], s[2:3], s[16:17]
	s_andn2_b64 s[2:3], s[18:19], exec
	s_and_b64 s[18:19], s[20:21], exec
	s_or_b64 s[18:19], s[2:3], s[18:19]
	s_mov_b64 s[26:27], s[22:23]
	s_andn2_b64 exec, exec, s[16:17]
	s_cbranch_execz .LBB1115_565
.LBB1115_561:                           ; =>This Inner Loop Header: Depth=1
	flat_load_ushort v16, v[12:13]
	flat_load_ushort v17, v[10:11]
	s_mov_b64 s[24:25], -1
	s_mov_b64 s[28:29], 0
	s_mov_b64 s[22:23], -1
	s_waitcnt vmcnt(0) lgkmcnt(0)
	v_lshlrev_b32_e32 v16, 16, v16
	v_lshlrev_b32_e32 v17, 16, v17
	v_cmp_nlt_f32_e64 s[2:3], v16, v17
	s_and_saveexec_b64 s[40:41], s[2:3]
; %bb.562:                              ;   in Loop: Header=BB1115_561 Depth=1
	v_cmp_ngt_f32_e64 s[2:3], v16, v17
	s_and_b64 s[22:23], s[2:3], s[26:27]
	s_orn2_b64 s[22:23], s[22:23], exec
	s_and_b64 s[28:29], s[2:3], exec
; %bb.563:                              ;   in Loop: Header=BB1115_561 Depth=1
	s_or_b64 exec, exec, s[40:41]
	s_andn2_b64 s[2:3], s[20:21], exec
	s_and_b64 s[20:21], s[22:23], exec
	s_or_b64 s[20:21], s[2:3], s[20:21]
	s_and_saveexec_b64 s[26:27], s[28:29]
	s_cbranch_execz .LBB1115_560
; %bb.564:                              ;   in Loop: Header=BB1115_561 Depth=1
	v_lshl_add_u64 v[14:15], v[14:15], 0, -1
	v_cmp_eq_u64_e64 s[2:3], 0, v[14:15]
	v_lshl_add_u64 v[10:11], v[10:11], 0, 2
	v_lshl_add_u64 v[12:13], v[12:13], 0, 2
	s_andn2_b64 s[20:21], s[20:21], exec
	s_orn2_b64 s[24:25], s[2:3], exec
	s_branch .LBB1115_560
.LBB1115_565:
	s_or_b64 exec, exec, s[16:17]
	s_xor_b64 s[2:3], s[18:19], -1
	s_andn2_b64 s[4:5], s[4:5], exec
	s_and_b64 s[2:3], s[2:3], exec
	s_or_b64 s[4:5], s[4:5], s[2:3]
.LBB1115_566:
	s_or_b64 exec, exec, s[6:7]
	v_cndmask_b32_e64 v10, v25, v24, s[4:5]
	v_cndmask_b32_e64 v11, v82, v81, s[4:5]
	v_add_u32_e32 v12, 1, v10
	v_add_u32_e32 v10, -1, v11
	v_min_u32_e32 v10, v12, v10
	v_lshl_add_u32 v10, v10, 3, v22
	ds_read_b64 v[10:11], v10
	v_cndmask_b32_e64 v16, v12, v25, s[4:5]
	v_cndmask_b32_e64 v17, v24, v12, s[4:5]
	v_cmp_lt_u32_e64 s[2:3], v16, v82
	s_mov_b64 s[16:17], -1
	s_waitcnt lgkmcnt(0)
	v_cndmask_b32_e64 v18, v11, v3, s[4:5]
	v_cndmask_b32_e64 v19, v10, v2, s[4:5]
	;; [unrolled: 1-line block ×4, first 2 shown]
	s_mov_b64 s[6:7], -1
	s_and_saveexec_b64 s[18:19], s[2:3]
	s_cbranch_execz .LBB1115_576
; %bb.567:
	v_cmp_lt_u32_e64 s[6:7], v17, v81
	s_xor_b64 s[2:3], s[0:1], -1
	s_and_b64 s[2:3], s[6:7], s[2:3]
	s_and_saveexec_b64 s[20:21], s[2:3]
	s_cbranch_execz .LBB1115_575
; %bb.568:
	v_mul_lo_u32 v12, v20, v6
	v_mul_lo_u32 v13, v23, v7
	v_mad_u64_u32 v[10:11], s[2:3], v23, v6, 0
	v_add3_u32 v11, v11, v13, v12
	v_mul_lo_u32 v14, v18, v6
	v_mul_lo_u32 v15, v19, v7
	v_mad_u64_u32 v[12:13], s[2:3], v19, v6, 0
	v_add3_u32 v13, v13, v15, v14
	v_lshl_add_u64 v[10:11], v[10:11], 1, v[8:9]
	v_lshl_add_u64 v[12:13], v[12:13], 1, v[8:9]
	s_mov_b64 s[22:23], 0
	v_mov_b64_e32 v[14:15], v[6:7]
                                        ; implicit-def: $sgpr24_sgpr25
                                        ; implicit-def: $sgpr26_sgpr27
                                        ; implicit-def: $sgpr42_sgpr43
	s_branch .LBB1115_570
.LBB1115_569:                           ;   in Loop: Header=BB1115_570 Depth=1
	s_or_b64 exec, exec, s[42:43]
	s_and_b64 s[2:3], exec, s[40:41]
	s_or_b64 s[22:23], s[2:3], s[22:23]
	s_andn2_b64 s[2:3], s[24:25], exec
	s_and_b64 s[24:25], s[26:27], exec
	s_or_b64 s[24:25], s[2:3], s[24:25]
	s_mov_b64 s[42:43], s[28:29]
	s_andn2_b64 exec, exec, s[22:23]
	s_cbranch_execz .LBB1115_574
.LBB1115_570:                           ; =>This Inner Loop Header: Depth=1
	flat_load_ushort v21, v[12:13]
	flat_load_ushort v24, v[10:11]
	s_mov_b64 s[40:41], -1
	s_mov_b64 s[44:45], 0
	s_mov_b64 s[28:29], -1
	s_waitcnt vmcnt(0) lgkmcnt(0)
	v_lshlrev_b32_e32 v21, 16, v21
	v_lshlrev_b32_e32 v24, 16, v24
	v_cmp_nlt_f32_e64 s[2:3], v21, v24
	s_and_saveexec_b64 s[46:47], s[2:3]
; %bb.571:                              ;   in Loop: Header=BB1115_570 Depth=1
	v_cmp_ngt_f32_e64 s[2:3], v21, v24
	s_and_b64 s[28:29], s[2:3], s[42:43]
	s_orn2_b64 s[28:29], s[28:29], exec
	s_and_b64 s[44:45], s[2:3], exec
; %bb.572:                              ;   in Loop: Header=BB1115_570 Depth=1
	s_or_b64 exec, exec, s[46:47]
	s_andn2_b64 s[2:3], s[26:27], exec
	s_and_b64 s[26:27], s[28:29], exec
	s_or_b64 s[26:27], s[2:3], s[26:27]
	s_and_saveexec_b64 s[42:43], s[44:45]
	s_cbranch_execz .LBB1115_569
; %bb.573:                              ;   in Loop: Header=BB1115_570 Depth=1
	v_lshl_add_u64 v[14:15], v[14:15], 0, -1
	v_cmp_eq_u64_e64 s[2:3], 0, v[14:15]
	v_lshl_add_u64 v[10:11], v[10:11], 0, 2
	v_lshl_add_u64 v[12:13], v[12:13], 0, 2
	s_andn2_b64 s[26:27], s[26:27], exec
	s_orn2_b64 s[40:41], s[2:3], exec
	s_branch .LBB1115_569
.LBB1115_574:
	s_or_b64 exec, exec, s[22:23]
	s_xor_b64 s[2:3], s[24:25], -1
	s_andn2_b64 s[6:7], s[6:7], exec
	s_and_b64 s[2:3], s[2:3], exec
	s_or_b64 s[6:7], s[6:7], s[2:3]
.LBB1115_575:
	s_or_b64 exec, exec, s[20:21]
	s_orn2_b64 s[6:7], s[6:7], exec
.LBB1115_576:
	s_or_b64 exec, exec, s[18:19]
	v_cndmask_b32_e64 v10, v16, v17, s[6:7]
	v_cndmask_b32_e64 v11, v82, v81, s[6:7]
	v_add_u32_e32 v12, 1, v10
	v_add_u32_e32 v10, -1, v11
	v_min_u32_e32 v10, v12, v10
	v_lshl_add_u32 v10, v10, 3, v22
	ds_read_b64 v[10:11], v10
	v_cndmask_b32_e64 v33, v12, v16, s[6:7]
	v_cndmask_b32_e64 v34, v17, v12, s[6:7]
	v_cmp_lt_u32_e64 s[2:3], v33, v82
	s_waitcnt lgkmcnt(0)
	v_cndmask_b32_e64 v21, v11, v18, s[6:7]
	v_cndmask_b32_e64 v24, v10, v19, s[6:7]
	;; [unrolled: 1-line block ×4, first 2 shown]
	s_and_saveexec_b64 s[18:19], s[2:3]
	s_cbranch_execz .LBB1115_586
; %bb.577:
	v_cmp_lt_u32_e64 s[16:17], v34, v81
	s_xor_b64 s[2:3], s[0:1], -1
	s_and_b64 s[2:3], s[16:17], s[2:3]
	s_and_saveexec_b64 s[20:21], s[2:3]
	s_cbranch_execz .LBB1115_585
; %bb.578:
	v_mul_lo_u32 v12, v25, v6
	v_mul_lo_u32 v13, v30, v7
	v_mad_u64_u32 v[10:11], s[2:3], v30, v6, 0
	v_add3_u32 v11, v11, v13, v12
	v_mul_lo_u32 v14, v21, v6
	v_mul_lo_u32 v15, v24, v7
	v_mad_u64_u32 v[12:13], s[2:3], v24, v6, 0
	v_add3_u32 v13, v13, v15, v14
	v_lshl_add_u64 v[10:11], v[10:11], 1, v[8:9]
	v_lshl_add_u64 v[12:13], v[12:13], 1, v[8:9]
	s_mov_b64 s[22:23], 0
	v_mov_b64_e32 v[14:15], v[6:7]
                                        ; implicit-def: $sgpr24_sgpr25
                                        ; implicit-def: $sgpr26_sgpr27
                                        ; implicit-def: $sgpr42_sgpr43
	s_branch .LBB1115_580
.LBB1115_579:                           ;   in Loop: Header=BB1115_580 Depth=1
	s_or_b64 exec, exec, s[42:43]
	s_and_b64 s[2:3], exec, s[40:41]
	s_or_b64 s[22:23], s[2:3], s[22:23]
	s_andn2_b64 s[2:3], s[24:25], exec
	s_and_b64 s[24:25], s[26:27], exec
	s_or_b64 s[24:25], s[2:3], s[24:25]
	s_mov_b64 s[42:43], s[28:29]
	s_andn2_b64 exec, exec, s[22:23]
	s_cbranch_execz .LBB1115_584
.LBB1115_580:                           ; =>This Inner Loop Header: Depth=1
	flat_load_ushort v16, v[12:13]
	flat_load_ushort v17, v[10:11]
	s_mov_b64 s[40:41], -1
	s_mov_b64 s[44:45], 0
	s_mov_b64 s[28:29], -1
	s_waitcnt vmcnt(0) lgkmcnt(0)
	v_lshlrev_b32_e32 v16, 16, v16
	v_lshlrev_b32_e32 v17, 16, v17
	v_cmp_nlt_f32_e64 s[2:3], v16, v17
	s_and_saveexec_b64 s[46:47], s[2:3]
; %bb.581:                              ;   in Loop: Header=BB1115_580 Depth=1
	v_cmp_ngt_f32_e64 s[2:3], v16, v17
	s_and_b64 s[28:29], s[2:3], s[42:43]
	s_orn2_b64 s[28:29], s[28:29], exec
	s_and_b64 s[44:45], s[2:3], exec
; %bb.582:                              ;   in Loop: Header=BB1115_580 Depth=1
	s_or_b64 exec, exec, s[46:47]
	s_andn2_b64 s[2:3], s[26:27], exec
	s_and_b64 s[26:27], s[28:29], exec
	s_or_b64 s[26:27], s[2:3], s[26:27]
	s_and_saveexec_b64 s[42:43], s[44:45]
	s_cbranch_execz .LBB1115_579
; %bb.583:                              ;   in Loop: Header=BB1115_580 Depth=1
	v_lshl_add_u64 v[14:15], v[14:15], 0, -1
	v_cmp_eq_u64_e64 s[2:3], 0, v[14:15]
	v_lshl_add_u64 v[10:11], v[10:11], 0, 2
	v_lshl_add_u64 v[12:13], v[12:13], 0, 2
	s_andn2_b64 s[26:27], s[26:27], exec
	s_orn2_b64 s[40:41], s[2:3], exec
	s_branch .LBB1115_579
.LBB1115_584:
	s_or_b64 exec, exec, s[22:23]
	s_xor_b64 s[2:3], s[24:25], -1
	s_andn2_b64 s[16:17], s[16:17], exec
	s_and_b64 s[2:3], s[2:3], exec
	s_or_b64 s[16:17], s[16:17], s[2:3]
.LBB1115_585:
	s_or_b64 exec, exec, s[20:21]
	s_orn2_b64 s[16:17], s[16:17], exec
.LBB1115_586:
	s_or_b64 exec, exec, s[18:19]
	v_cndmask_b32_e64 v10, v33, v34, s[16:17]
	v_cndmask_b32_e64 v11, v82, v81, s[16:17]
	v_add_u32_e32 v12, 1, v10
	v_add_u32_e32 v10, -1, v11
	v_min_u32_e32 v10, v12, v10
	v_lshl_add_u32 v10, v10, 3, v22
	ds_read_b64 v[10:11], v10
	v_cndmask_b32_e64 v37, v12, v33, s[16:17]
	v_cndmask_b32_e64 v38, v34, v12, s[16:17]
	v_cmp_lt_u32_e64 s[2:3], v37, v82
	s_mov_b64 s[20:21], -1
	s_waitcnt lgkmcnt(0)
	v_cndmask_b32_e64 v16, v11, v21, s[16:17]
	v_cndmask_b32_e64 v31, v10, v24, s[16:17]
	;; [unrolled: 1-line block ×4, first 2 shown]
	s_mov_b64 s[18:19], -1
	s_and_saveexec_b64 s[22:23], s[2:3]
	s_cbranch_execz .LBB1115_596
; %bb.587:
	v_cmp_lt_u32_e64 s[18:19], v38, v81
	s_xor_b64 s[2:3], s[0:1], -1
	s_and_b64 s[2:3], s[18:19], s[2:3]
	s_and_saveexec_b64 s[24:25], s[2:3]
	s_cbranch_execz .LBB1115_595
; %bb.588:
	v_mul_lo_u32 v12, v17, v6
	v_mul_lo_u32 v13, v32, v7
	v_mad_u64_u32 v[10:11], s[2:3], v32, v6, 0
	v_add3_u32 v11, v11, v13, v12
	v_mul_lo_u32 v14, v16, v6
	v_mul_lo_u32 v15, v31, v7
	v_mad_u64_u32 v[12:13], s[2:3], v31, v6, 0
	v_add3_u32 v13, v13, v15, v14
	v_lshl_add_u64 v[10:11], v[10:11], 1, v[8:9]
	v_lshl_add_u64 v[12:13], v[12:13], 1, v[8:9]
	s_mov_b64 s[26:27], 0
	v_mov_b64_e32 v[14:15], v[6:7]
                                        ; implicit-def: $sgpr28_sgpr29
                                        ; implicit-def: $sgpr40_sgpr41
                                        ; implicit-def: $sgpr46_sgpr47
	s_branch .LBB1115_590
.LBB1115_589:                           ;   in Loop: Header=BB1115_590 Depth=1
	s_or_b64 exec, exec, s[46:47]
	s_and_b64 s[2:3], exec, s[44:45]
	s_or_b64 s[26:27], s[2:3], s[26:27]
	s_andn2_b64 s[2:3], s[28:29], exec
	s_and_b64 s[28:29], s[40:41], exec
	s_or_b64 s[28:29], s[2:3], s[28:29]
	s_mov_b64 s[46:47], s[42:43]
	s_andn2_b64 exec, exec, s[26:27]
	s_cbranch_execz .LBB1115_594
.LBB1115_590:                           ; =>This Inner Loop Header: Depth=1
	flat_load_ushort v33, v[12:13]
	flat_load_ushort v34, v[10:11]
	s_mov_b64 s[44:45], -1
	s_mov_b64 s[56:57], 0
	s_mov_b64 s[42:43], -1
	s_waitcnt vmcnt(0) lgkmcnt(0)
	v_lshlrev_b32_e32 v33, 16, v33
	v_lshlrev_b32_e32 v34, 16, v34
	v_cmp_nlt_f32_e64 s[2:3], v33, v34
	s_and_saveexec_b64 s[58:59], s[2:3]
; %bb.591:                              ;   in Loop: Header=BB1115_590 Depth=1
	v_cmp_ngt_f32_e64 s[2:3], v33, v34
	s_and_b64 s[42:43], s[2:3], s[46:47]
	s_orn2_b64 s[42:43], s[42:43], exec
	s_and_b64 s[56:57], s[2:3], exec
; %bb.592:                              ;   in Loop: Header=BB1115_590 Depth=1
	s_or_b64 exec, exec, s[58:59]
	s_andn2_b64 s[2:3], s[40:41], exec
	s_and_b64 s[40:41], s[42:43], exec
	s_or_b64 s[40:41], s[2:3], s[40:41]
	s_and_saveexec_b64 s[46:47], s[56:57]
	s_cbranch_execz .LBB1115_589
; %bb.593:                              ;   in Loop: Header=BB1115_590 Depth=1
	v_lshl_add_u64 v[14:15], v[14:15], 0, -1
	v_cmp_eq_u64_e64 s[2:3], 0, v[14:15]
	v_lshl_add_u64 v[10:11], v[10:11], 0, 2
	v_lshl_add_u64 v[12:13], v[12:13], 0, 2
	s_andn2_b64 s[40:41], s[40:41], exec
	s_orn2_b64 s[44:45], s[2:3], exec
	s_branch .LBB1115_589
.LBB1115_594:
	s_or_b64 exec, exec, s[26:27]
	s_xor_b64 s[2:3], s[28:29], -1
	s_andn2_b64 s[18:19], s[18:19], exec
	s_and_b64 s[2:3], s[2:3], exec
	s_or_b64 s[18:19], s[18:19], s[2:3]
.LBB1115_595:
	s_or_b64 exec, exec, s[24:25]
	s_orn2_b64 s[18:19], s[18:19], exec
.LBB1115_596:
	s_or_b64 exec, exec, s[22:23]
	v_cndmask_b32_e64 v10, v37, v38, s[18:19]
	v_cndmask_b32_e64 v11, v82, v81, s[18:19]
	v_add_u32_e32 v12, 1, v10
	v_add_u32_e32 v10, -1, v11
	v_min_u32_e32 v10, v12, v10
	v_lshl_add_u32 v10, v10, 3, v22
	ds_read_b64 v[10:11], v10
	v_cndmask_b32_e64 v80, v12, v37, s[18:19]
	v_cndmask_b32_e64 v83, v38, v12, s[18:19]
	v_cmp_lt_u32_e64 s[2:3], v80, v82
	s_waitcnt lgkmcnt(0)
	v_cndmask_b32_e64 v33, v11, v16, s[18:19]
	v_cndmask_b32_e64 v34, v10, v31, s[18:19]
	;; [unrolled: 1-line block ×4, first 2 shown]
	s_and_saveexec_b64 s[22:23], s[2:3]
	s_cbranch_execz .LBB1115_606
; %bb.597:
	v_cmp_lt_u32_e64 s[20:21], v83, v81
	s_xor_b64 s[2:3], s[0:1], -1
	s_and_b64 s[2:3], s[20:21], s[2:3]
	s_and_saveexec_b64 s[24:25], s[2:3]
	s_cbranch_execz .LBB1115_605
; %bb.598:
	v_mul_lo_u32 v12, v35, v6
	v_mul_lo_u32 v13, v36, v7
	v_mad_u64_u32 v[10:11], s[2:3], v36, v6, 0
	v_add3_u32 v11, v11, v13, v12
	v_mul_lo_u32 v14, v33, v6
	v_mul_lo_u32 v15, v34, v7
	v_mad_u64_u32 v[12:13], s[2:3], v34, v6, 0
	v_add3_u32 v13, v13, v15, v14
	v_lshl_add_u64 v[10:11], v[10:11], 1, v[8:9]
	v_lshl_add_u64 v[12:13], v[12:13], 1, v[8:9]
	s_mov_b64 s[26:27], 0
	v_mov_b64_e32 v[14:15], v[6:7]
                                        ; implicit-def: $sgpr28_sgpr29
                                        ; implicit-def: $sgpr40_sgpr41
                                        ; implicit-def: $sgpr46_sgpr47
	s_branch .LBB1115_600
.LBB1115_599:                           ;   in Loop: Header=BB1115_600 Depth=1
	s_or_b64 exec, exec, s[46:47]
	s_and_b64 s[2:3], exec, s[44:45]
	s_or_b64 s[26:27], s[2:3], s[26:27]
	s_andn2_b64 s[2:3], s[28:29], exec
	s_and_b64 s[28:29], s[40:41], exec
	s_or_b64 s[28:29], s[2:3], s[28:29]
	s_mov_b64 s[46:47], s[42:43]
	s_andn2_b64 exec, exec, s[26:27]
	s_cbranch_execz .LBB1115_604
.LBB1115_600:                           ; =>This Inner Loop Header: Depth=1
	flat_load_ushort v37, v[12:13]
	flat_load_ushort v38, v[10:11]
	s_mov_b64 s[44:45], -1
	s_mov_b64 s[56:57], 0
	s_mov_b64 s[42:43], -1
	s_waitcnt vmcnt(0) lgkmcnt(0)
	v_lshlrev_b32_e32 v37, 16, v37
	v_lshlrev_b32_e32 v38, 16, v38
	v_cmp_nlt_f32_e64 s[2:3], v37, v38
	s_and_saveexec_b64 s[58:59], s[2:3]
; %bb.601:                              ;   in Loop: Header=BB1115_600 Depth=1
	v_cmp_ngt_f32_e64 s[2:3], v37, v38
	s_and_b64 s[42:43], s[2:3], s[46:47]
	s_orn2_b64 s[42:43], s[42:43], exec
	s_and_b64 s[56:57], s[2:3], exec
; %bb.602:                              ;   in Loop: Header=BB1115_600 Depth=1
	s_or_b64 exec, exec, s[58:59]
	s_andn2_b64 s[2:3], s[40:41], exec
	s_and_b64 s[40:41], s[42:43], exec
	s_or_b64 s[40:41], s[2:3], s[40:41]
	s_and_saveexec_b64 s[46:47], s[56:57]
	s_cbranch_execz .LBB1115_599
; %bb.603:                              ;   in Loop: Header=BB1115_600 Depth=1
	v_lshl_add_u64 v[14:15], v[14:15], 0, -1
	v_cmp_eq_u64_e64 s[2:3], 0, v[14:15]
	v_lshl_add_u64 v[10:11], v[10:11], 0, 2
	v_lshl_add_u64 v[12:13], v[12:13], 0, 2
	s_andn2_b64 s[40:41], s[40:41], exec
	s_orn2_b64 s[44:45], s[2:3], exec
	s_branch .LBB1115_599
.LBB1115_604:
	s_or_b64 exec, exec, s[26:27]
	s_xor_b64 s[2:3], s[28:29], -1
	s_andn2_b64 s[20:21], s[20:21], exec
	s_and_b64 s[2:3], s[2:3], exec
	s_or_b64 s[20:21], s[20:21], s[2:3]
.LBB1115_605:
	s_or_b64 exec, exec, s[24:25]
	s_orn2_b64 s[20:21], s[20:21], exec
.LBB1115_606:
	s_or_b64 exec, exec, s[22:23]
	v_cndmask_b32_e64 v10, v80, v83, s[20:21]
	v_cndmask_b32_e64 v11, v82, v81, s[20:21]
	v_add_u32_e32 v12, 1, v10
	v_add_u32_e32 v10, -1, v11
	v_min_u32_e32 v10, v12, v10
	v_lshl_add_u32 v10, v10, 3, v22
	ds_read_b64 v[10:11], v10
	v_cndmask_b32_e64 v84, v12, v80, s[20:21]
	v_cndmask_b32_e64 v96, v83, v12, s[20:21]
	v_cmp_lt_u32_e64 s[2:3], v84, v82
	s_mov_b64 s[22:23], -1
	s_waitcnt lgkmcnt(0)
	v_cndmask_b32_e64 v37, v11, v33, s[20:21]
	v_cndmask_b32_e64 v38, v10, v34, s[20:21]
	;; [unrolled: 1-line block ×4, first 2 shown]
	s_mov_b64 s[24:25], -1
	s_and_saveexec_b64 s[26:27], s[2:3]
	s_cbranch_execz .LBB1115_616
; %bb.607:
	v_cmp_lt_u32_e64 s[24:25], v96, v81
	s_xor_b64 s[2:3], s[0:1], -1
	s_and_b64 s[2:3], s[24:25], s[2:3]
	s_and_saveexec_b64 s[28:29], s[2:3]
	s_cbranch_execz .LBB1115_615
; %bb.608:
	v_mul_lo_u32 v12, v39, v6
	v_mul_lo_u32 v13, v71, v7
	v_mad_u64_u32 v[10:11], s[2:3], v71, v6, 0
	v_add3_u32 v11, v11, v13, v12
	v_mul_lo_u32 v14, v37, v6
	v_mul_lo_u32 v15, v38, v7
	v_mad_u64_u32 v[12:13], s[2:3], v38, v6, 0
	v_add3_u32 v13, v13, v15, v14
	v_lshl_add_u64 v[10:11], v[10:11], 1, v[8:9]
	v_lshl_add_u64 v[12:13], v[12:13], 1, v[8:9]
	s_mov_b64 s[40:41], 0
	v_mov_b64_e32 v[14:15], v[6:7]
                                        ; implicit-def: $sgpr42_sgpr43
                                        ; implicit-def: $sgpr44_sgpr45
                                        ; implicit-def: $sgpr58_sgpr59
	s_branch .LBB1115_610
.LBB1115_609:                           ;   in Loop: Header=BB1115_610 Depth=1
	s_or_b64 exec, exec, s[58:59]
	s_and_b64 s[2:3], exec, s[56:57]
	s_or_b64 s[40:41], s[2:3], s[40:41]
	s_andn2_b64 s[2:3], s[42:43], exec
	s_and_b64 s[42:43], s[44:45], exec
	s_or_b64 s[42:43], s[2:3], s[42:43]
	s_mov_b64 s[58:59], s[46:47]
	s_andn2_b64 exec, exec, s[40:41]
	s_cbranch_execz .LBB1115_614
.LBB1115_610:                           ; =>This Inner Loop Header: Depth=1
	flat_load_ushort v80, v[12:13]
	flat_load_ushort v83, v[10:11]
	s_mov_b64 s[56:57], -1
	s_mov_b64 s[60:61], 0
	s_mov_b64 s[46:47], -1
	s_waitcnt vmcnt(0) lgkmcnt(0)
	v_lshlrev_b32_e32 v80, 16, v80
	v_lshlrev_b32_e32 v83, 16, v83
	v_cmp_nlt_f32_e64 s[2:3], v80, v83
	s_and_saveexec_b64 s[62:63], s[2:3]
; %bb.611:                              ;   in Loop: Header=BB1115_610 Depth=1
	v_cmp_ngt_f32_e64 s[2:3], v80, v83
	s_and_b64 s[46:47], s[2:3], s[58:59]
	s_orn2_b64 s[46:47], s[46:47], exec
	s_and_b64 s[60:61], s[2:3], exec
; %bb.612:                              ;   in Loop: Header=BB1115_610 Depth=1
	s_or_b64 exec, exec, s[62:63]
	s_andn2_b64 s[2:3], s[44:45], exec
	s_and_b64 s[44:45], s[46:47], exec
	s_or_b64 s[44:45], s[2:3], s[44:45]
	s_and_saveexec_b64 s[58:59], s[60:61]
	s_cbranch_execz .LBB1115_609
; %bb.613:                              ;   in Loop: Header=BB1115_610 Depth=1
	v_lshl_add_u64 v[14:15], v[14:15], 0, -1
	v_cmp_eq_u64_e64 s[2:3], 0, v[14:15]
	v_lshl_add_u64 v[10:11], v[10:11], 0, 2
	v_lshl_add_u64 v[12:13], v[12:13], 0, 2
	s_andn2_b64 s[44:45], s[44:45], exec
	s_orn2_b64 s[56:57], s[2:3], exec
	s_branch .LBB1115_609
.LBB1115_614:
	s_or_b64 exec, exec, s[40:41]
	s_xor_b64 s[2:3], s[42:43], -1
	s_andn2_b64 s[24:25], s[24:25], exec
	s_and_b64 s[2:3], s[2:3], exec
	s_or_b64 s[24:25], s[24:25], s[2:3]
.LBB1115_615:
	s_or_b64 exec, exec, s[28:29]
	s_orn2_b64 s[24:25], s[24:25], exec
.LBB1115_616:
	s_or_b64 exec, exec, s[26:27]
	v_cndmask_b32_e64 v10, v84, v96, s[24:25]
	v_cndmask_b32_e64 v11, v82, v81, s[24:25]
	v_add_u32_e32 v12, 1, v10
	v_add_u32_e32 v10, -1, v11
	v_min_u32_e32 v10, v12, v10
	v_lshl_add_u32 v10, v10, 3, v22
	ds_read_b64 v[10:11], v10
	v_cndmask_b32_e64 v85, v12, v84, s[24:25]
	v_cndmask_b32_e64 v84, v96, v12, s[24:25]
	v_cmp_lt_u32_e64 s[2:3], v85, v82
	s_waitcnt lgkmcnt(0)
	v_cndmask_b32_e64 v80, v11, v37, s[24:25]
	v_cndmask_b32_e64 v83, v10, v38, s[24:25]
	;; [unrolled: 1-line block ×4, first 2 shown]
	s_and_saveexec_b64 s[26:27], s[2:3]
	s_cbranch_execz .LBB1115_626
; %bb.617:
	v_cmp_lt_u32_e64 s[22:23], v84, v81
	s_xor_b64 s[2:3], s[0:1], -1
	s_and_b64 s[2:3], s[22:23], s[2:3]
	s_and_saveexec_b64 s[28:29], s[2:3]
	s_cbranch_execz .LBB1115_625
; %bb.618:
	v_mul_lo_u32 v12, v86, v6
	v_mul_lo_u32 v13, v87, v7
	v_mad_u64_u32 v[10:11], s[2:3], v87, v6, 0
	v_add3_u32 v11, v11, v13, v12
	v_mul_lo_u32 v14, v80, v6
	v_mul_lo_u32 v15, v83, v7
	v_mad_u64_u32 v[12:13], s[2:3], v83, v6, 0
	v_add3_u32 v13, v13, v15, v14
	v_lshl_add_u64 v[10:11], v[10:11], 1, v[8:9]
	v_lshl_add_u64 v[12:13], v[12:13], 1, v[8:9]
	s_mov_b64 s[40:41], 0
	v_mov_b64_e32 v[14:15], v[6:7]
                                        ; implicit-def: $sgpr42_sgpr43
                                        ; implicit-def: $sgpr44_sgpr45
                                        ; implicit-def: $sgpr58_sgpr59
	s_branch .LBB1115_620
.LBB1115_619:                           ;   in Loop: Header=BB1115_620 Depth=1
	s_or_b64 exec, exec, s[58:59]
	s_and_b64 s[2:3], exec, s[56:57]
	s_or_b64 s[40:41], s[2:3], s[40:41]
	s_andn2_b64 s[2:3], s[42:43], exec
	s_and_b64 s[42:43], s[44:45], exec
	s_or_b64 s[42:43], s[2:3], s[42:43]
	s_mov_b64 s[58:59], s[46:47]
	s_andn2_b64 exec, exec, s[40:41]
	s_cbranch_execz .LBB1115_624
.LBB1115_620:                           ; =>This Inner Loop Header: Depth=1
	flat_load_ushort v96, v[12:13]
	flat_load_ushort v97, v[10:11]
	s_mov_b64 s[56:57], -1
	s_mov_b64 s[60:61], 0
	s_mov_b64 s[46:47], -1
	s_waitcnt vmcnt(0) lgkmcnt(0)
	v_lshlrev_b32_e32 v96, 16, v96
	v_lshlrev_b32_e32 v97, 16, v97
	v_cmp_nlt_f32_e64 s[2:3], v96, v97
	s_and_saveexec_b64 s[62:63], s[2:3]
; %bb.621:                              ;   in Loop: Header=BB1115_620 Depth=1
	v_cmp_ngt_f32_e64 s[2:3], v96, v97
	s_and_b64 s[46:47], s[2:3], s[58:59]
	s_orn2_b64 s[46:47], s[46:47], exec
	s_and_b64 s[60:61], s[2:3], exec
; %bb.622:                              ;   in Loop: Header=BB1115_620 Depth=1
	s_or_b64 exec, exec, s[62:63]
	s_andn2_b64 s[2:3], s[44:45], exec
	s_and_b64 s[44:45], s[46:47], exec
	s_or_b64 s[44:45], s[2:3], s[44:45]
	s_and_saveexec_b64 s[58:59], s[60:61]
	s_cbranch_execz .LBB1115_619
; %bb.623:                              ;   in Loop: Header=BB1115_620 Depth=1
	v_lshl_add_u64 v[14:15], v[14:15], 0, -1
	v_cmp_eq_u64_e64 s[2:3], 0, v[14:15]
	v_lshl_add_u64 v[10:11], v[10:11], 0, 2
	v_lshl_add_u64 v[12:13], v[12:13], 0, 2
	s_andn2_b64 s[44:45], s[44:45], exec
	s_orn2_b64 s[56:57], s[2:3], exec
	s_branch .LBB1115_619
.LBB1115_624:
	s_or_b64 exec, exec, s[40:41]
	s_xor_b64 s[2:3], s[42:43], -1
	s_andn2_b64 s[22:23], s[22:23], exec
	s_and_b64 s[2:3], s[2:3], exec
	s_or_b64 s[22:23], s[22:23], s[2:3]
.LBB1115_625:
	s_or_b64 exec, exec, s[28:29]
	s_orn2_b64 s[22:23], s[22:23], exec
.LBB1115_626:
	s_or_b64 exec, exec, s[26:27]
	v_cndmask_b32_e64 v15, v21, v25, s[16:17]
	v_cndmask_b32_e64 v21, v18, v20, s[6:7]
	;; [unrolled: 1-line block ×6, first 2 shown]
	v_add_u32_e32 v24, 1, v18
	v_add_u32_e32 v18, -1, v19
	v_min_u32_e32 v18, v24, v18
	v_lshl_add_u32 v18, v18, 3, v22
	ds_read_b64 v[22:23], v18
	v_cndmask_b32_e64 v25, v24, v85, s[22:23]
	v_cndmask_b32_e64 v13, v37, v39, s[24:25]
	;; [unrolled: 1-line block ×11, first 2 shown]
	s_waitcnt lgkmcnt(0)
	v_cndmask_b32_e64 v3, v86, v23, s[22:23]
	v_cndmask_b32_e64 v2, v87, v22, s[22:23]
	v_cmp_lt_u32_e64 s[2:3], v25, v82
	s_and_saveexec_b64 s[4:5], s[2:3]
	s_cbranch_execz .LBB1115_636
; %bb.627:
	v_cndmask_b32_e64 v33, v22, v83, s[22:23]
	v_cndmask_b32_e64 v22, v84, v24, s[22:23]
	;; [unrolled: 1-line block ×3, first 2 shown]
	v_cmp_ge_u32_e64 s[2:3], v22, v81
	s_nor_b64 s[16:17], s[2:3], s[0:1]
	s_nop 0
	v_cndmask_b32_e64 v23, v3, v32, s[2:3]
	v_cndmask_b32_e64 v22, v2, v33, s[2:3]
	s_and_saveexec_b64 s[6:7], s[16:17]
	s_cbranch_execz .LBB1115_635
; %bb.628:
	v_mul_lo_u32 v24, v3, v6
	v_mul_lo_u32 v25, v2, v7
	v_mad_u64_u32 v[22:23], s[2:3], v2, v6, 0
	v_add3_u32 v23, v23, v25, v24
	v_mul_lo_u32 v30, v32, v6
	v_mul_lo_u32 v31, v33, v7
	v_mad_u64_u32 v[24:25], s[2:3], v33, v6, 0
	v_add3_u32 v25, v25, v31, v30
	v_lshl_add_u64 v[22:23], v[22:23], 1, v[8:9]
	v_lshl_add_u64 v[24:25], v[24:25], 1, v[8:9]
	s_mov_b64 s[16:17], 0
	v_mov_b64_e32 v[30:31], v[6:7]
                                        ; implicit-def: $sgpr18_sgpr19
                                        ; implicit-def: $sgpr20_sgpr21
                                        ; implicit-def: $sgpr24_sgpr25
	s_branch .LBB1115_630
.LBB1115_629:                           ;   in Loop: Header=BB1115_630 Depth=1
	s_or_b64 exec, exec, s[24:25]
	s_and_b64 s[2:3], exec, s[2:3]
	s_or_b64 s[16:17], s[2:3], s[16:17]
	s_andn2_b64 s[2:3], s[18:19], exec
	s_and_b64 s[18:19], s[20:21], exec
	s_or_b64 s[18:19], s[2:3], s[18:19]
	s_mov_b64 s[24:25], s[22:23]
	s_andn2_b64 exec, exec, s[16:17]
	s_cbranch_execz .LBB1115_634
.LBB1115_630:                           ; =>This Inner Loop Header: Depth=1
	flat_load_ushort v34, v[24:25]
	flat_load_ushort v35, v[22:23]
	s_mov_b64 s[26:27], 0
	s_mov_b64 s[22:23], -1
	s_waitcnt vmcnt(0) lgkmcnt(0)
	v_lshlrev_b32_e32 v34, 16, v34
	v_lshlrev_b32_e32 v35, 16, v35
	v_cmp_nlt_f32_e64 s[2:3], v34, v35
	s_and_saveexec_b64 s[28:29], s[2:3]
; %bb.631:                              ;   in Loop: Header=BB1115_630 Depth=1
	v_cmp_ngt_f32_e64 s[2:3], v34, v35
	s_and_b64 s[22:23], s[2:3], s[24:25]
	s_orn2_b64 s[22:23], s[22:23], exec
	s_and_b64 s[26:27], s[2:3], exec
; %bb.632:                              ;   in Loop: Header=BB1115_630 Depth=1
	s_or_b64 exec, exec, s[28:29]
	s_andn2_b64 s[20:21], s[20:21], exec
	s_and_b64 s[24:25], s[22:23], exec
	s_mov_b64 s[2:3], -1
	s_or_b64 s[20:21], s[20:21], s[24:25]
	s_and_saveexec_b64 s[24:25], s[26:27]
	s_cbranch_execz .LBB1115_629
; %bb.633:                              ;   in Loop: Header=BB1115_630 Depth=1
	v_lshl_add_u64 v[30:31], v[30:31], 0, -1
	v_cmp_eq_u64_e64 s[2:3], 0, v[30:31]
	v_lshl_add_u64 v[22:23], v[22:23], 0, 2
	v_lshl_add_u64 v[24:25], v[24:25], 0, 2
	s_andn2_b64 s[20:21], s[20:21], exec
	s_orn2_b64 s[2:3], s[2:3], exec
	s_branch .LBB1115_629
.LBB1115_634:
	s_or_b64 exec, exec, s[16:17]
	v_cndmask_b32_e64 v23, v3, v32, s[18:19]
	v_cndmask_b32_e64 v22, v2, v33, s[18:19]
.LBB1115_635:
	s_or_b64 exec, exec, s[6:7]
	v_mov_b64_e32 v[2:3], v[22:23]
.LBB1115_636:
	s_or_b64 exec, exec, s[4:5]
.LBB1115_637:
	s_or_b64 exec, exec, s[14:15]
	v_lshlrev_b32_e32 v25, 3, v28
	v_add_u32_e32 v31, 8, v25
	v_add_u32_e32 v38, 16, v25
	;; [unrolled: 1-line block ×7, first 2 shown]
	v_lshlrev_b64 v[22:23], 1, v[6:7]
	s_movk_i32 s72, 0x80
	; wave barrier
	s_waitcnt lgkmcnt(0)
	s_barrier
.LBB1115_638:                           ; =>This Loop Header: Depth=1
                                        ;     Child Loop BB1115_642 Depth 2
                                        ;       Child Loop BB1115_645 Depth 3
                                        ;     Child Loop BB1115_658 Depth 2
                                        ;     Child Loop BB1115_667 Depth 2
	;; [unrolled: 1-line block ×8, first 2 shown]
	s_lshl_b32 s73, s72, 1
	s_sub_i32 s3, 0, s73
	v_and_b32_e32 v85, s3, v28
	v_add_u32_e32 v24, s72, v85
	v_min_u32_e32 v83, 0x800, v24
	s_add_i32 s2, s73, -1
	v_add_u32_e32 v24, s72, v83
	v_min_u32_e32 v84, 0x800, v24
	v_and_b32_e32 v24, s2, v28
	v_min_u32_e32 v86, 0x800, v24
	v_sub_u32_e32 v24, v83, v85
	v_sub_u32_e32 v30, v84, v83
	v_sub_u32_e64 v87, v86, v30 clamp
	v_min_u32_e32 v96, v86, v24
	v_cmp_lt_u32_e64 s[2:3], v87, v96
	ds_write_b64 v25, v[18:19]
	ds_write_b64 v31, v[20:21]
	;; [unrolled: 1-line block ×8, first 2 shown]
	s_waitcnt lgkmcnt(0)
	s_barrier
	s_and_saveexec_b64 s[4:5], s[2:3]
	s_cbranch_execz .LBB1115_650
; %bb.639:                              ;   in Loop: Header=BB1115_638 Depth=1
	v_lshlrev_b32_e32 v24, 3, v85
	v_lshlrev_b32_e32 v30, 3, v83
	s_mov_b64 s[6:7], 0
	s_branch .LBB1115_642
.LBB1115_640:                           ;   in Loop: Header=BB1115_642 Depth=2
	s_or_b64 exec, exec, s[16:17]
	s_and_b64 s[2:3], s[18:19], exec
.LBB1115_641:                           ;   in Loop: Header=BB1115_642 Depth=2
	s_or_b64 exec, exec, s[14:15]
	v_add_u32_e32 v32, 1, v97
	v_cndmask_b32_e64 v96, v96, v97, s[2:3]
	v_cndmask_b32_e64 v87, v32, v87, s[2:3]
	v_cmp_ge_u32_e64 s[2:3], v87, v96
	s_or_b64 s[6:7], s[2:3], s[6:7]
	s_andn2_b64 exec, exec, s[6:7]
	s_cbranch_execz .LBB1115_649
.LBB1115_642:                           ;   Parent Loop BB1115_638 Depth=1
                                        ; =>  This Loop Header: Depth=2
                                        ;       Child Loop BB1115_645 Depth 3
	v_add_u32_e32 v32, v96, v87
	v_lshrrev_b32_e32 v97, 1, v32
	s_mov_b64 s[2:3], 0
	s_and_saveexec_b64 s[14:15], vcc
	s_cbranch_execz .LBB1115_641
; %bb.643:                              ;   in Loop: Header=BB1115_642 Depth=2
	v_lshl_add_u32 v32, v97, 3, v24
	v_xad_u32 v34, v97, -1, v86
	ds_read_b64 v[32:33], v32
	v_lshl_add_u32 v34, v34, 3, v30
	ds_read_b64 v[34:35], v34
	s_mov_b64 s[16:17], 0
                                        ; implicit-def: $sgpr18_sgpr19
                                        ; implicit-def: $sgpr20_sgpr21
                                        ; implicit-def: $sgpr26_sgpr27
	s_waitcnt lgkmcnt(1)
	v_mul_lo_u32 v36, v22, v33
	v_mul_lo_u32 v37, v23, v32
	v_mad_u64_u32 v[32:33], s[2:3], v22, v32, v[8:9]
	v_add3_u32 v33, v37, v33, v36
	s_waitcnt lgkmcnt(0)
	v_mul_lo_u32 v36, v22, v35
	v_mul_lo_u32 v37, v23, v34
	v_mad_u64_u32 v[34:35], s[2:3], v22, v34, v[8:9]
	v_add3_u32 v35, v37, v35, v36
	v_mov_b64_e32 v[36:37], v[6:7]
	s_branch .LBB1115_645
.LBB1115_644:                           ;   in Loop: Header=BB1115_645 Depth=3
	s_or_b64 exec, exec, s[26:27]
	s_and_b64 s[2:3], exec, s[24:25]
	s_or_b64 s[16:17], s[2:3], s[16:17]
	s_andn2_b64 s[2:3], s[18:19], exec
	s_and_b64 s[18:19], s[20:21], exec
	s_or_b64 s[18:19], s[2:3], s[18:19]
	s_mov_b64 s[26:27], s[22:23]
	s_andn2_b64 exec, exec, s[16:17]
	s_cbranch_execz .LBB1115_640
.LBB1115_645:                           ;   Parent Loop BB1115_638 Depth=1
                                        ;     Parent Loop BB1115_642 Depth=2
                                        ; =>    This Inner Loop Header: Depth=3
	flat_load_ushort v98, v[34:35]
	flat_load_ushort v99, v[32:33]
	s_mov_b64 s[24:25], -1
	s_mov_b64 s[28:29], 0
	s_mov_b64 s[22:23], -1
	s_waitcnt vmcnt(0) lgkmcnt(0)
	v_lshlrev_b32_e32 v98, 16, v98
	v_lshlrev_b32_e32 v99, 16, v99
	v_cmp_nlt_f32_e64 s[2:3], v98, v99
	s_and_saveexec_b64 s[40:41], s[2:3]
; %bb.646:                              ;   in Loop: Header=BB1115_645 Depth=3
	v_cmp_ngt_f32_e64 s[2:3], v98, v99
	s_and_b64 s[22:23], s[2:3], s[26:27]
	s_orn2_b64 s[22:23], s[22:23], exec
	s_and_b64 s[28:29], s[2:3], exec
; %bb.647:                              ;   in Loop: Header=BB1115_645 Depth=3
	s_or_b64 exec, exec, s[40:41]
	s_andn2_b64 s[2:3], s[20:21], exec
	s_and_b64 s[20:21], s[22:23], exec
	s_or_b64 s[20:21], s[2:3], s[20:21]
	s_and_saveexec_b64 s[26:27], s[28:29]
	s_cbranch_execz .LBB1115_644
; %bb.648:                              ;   in Loop: Header=BB1115_645 Depth=3
	v_lshl_add_u64 v[36:37], v[36:37], 0, -1
	v_cmp_eq_u64_e64 s[2:3], 0, v[36:37]
	v_lshl_add_u64 v[32:33], v[32:33], 0, 2
	v_lshl_add_u64 v[34:35], v[34:35], 0, 2
	s_andn2_b64 s[20:21], s[20:21], exec
	s_orn2_b64 s[24:25], s[2:3], exec
	s_branch .LBB1115_644
.LBB1115_649:                           ;   in Loop: Header=BB1115_638 Depth=1
	s_or_b64 exec, exec, s[6:7]
.LBB1115_650:                           ;   in Loop: Header=BB1115_638 Depth=1
	s_or_b64 exec, exec, s[4:5]
	v_sub_u32_e32 v24, v86, v87
	v_add_u32_e32 v32, v87, v85
	v_add_u32_e32 v33, v24, v83
	v_cmp_le_u32_e64 s[2:3], v32, v83
	v_cmp_le_u32_e64 s[4:5], v33, v84
	s_or_b64 s[2:3], s[2:3], s[4:5]
	s_and_saveexec_b64 s[14:15], s[2:3]
	s_cbranch_execz .LBB1115_734
; %bb.651:                              ;   in Loop: Header=BB1115_638 Depth=1
	v_cmp_ge_u32_e64 s[2:3], v32, v83
	v_cmp_lt_u32_e64 s[4:5], v32, v83
                                        ; implicit-def: $vgpr0_vgpr1
	s_and_saveexec_b64 s[6:7], s[4:5]
; %bb.652:                              ;   in Loop: Header=BB1115_638 Depth=1
	v_lshlrev_b32_e32 v0, 3, v32
	ds_read_b64 v[0:1], v0
; %bb.653:                              ;   in Loop: Header=BB1115_638 Depth=1
	s_or_b64 exec, exec, s[6:7]
	v_cmp_ge_u32_e64 s[4:5], v33, v84
	v_cmp_lt_u32_e64 s[6:7], v33, v84
                                        ; implicit-def: $vgpr18_vgpr19
	s_and_saveexec_b64 s[16:17], s[6:7]
; %bb.654:                              ;   in Loop: Header=BB1115_638 Depth=1
	v_lshlrev_b32_e32 v2, 3, v33
	ds_read_b64 v[18:19], v2
; %bb.655:                              ;   in Loop: Header=BB1115_638 Depth=1
	s_or_b64 exec, exec, s[16:17]
	s_or_b64 s[6:7], s[2:3], s[4:5]
	s_xor_b64 s[2:3], s[2:3], -1
	s_nor_b64 s[16:17], s[6:7], s[0:1]
	s_or_b64 s[4:5], s[4:5], s[2:3]
	s_and_saveexec_b64 s[6:7], s[16:17]
	s_cbranch_execz .LBB1115_663
; %bb.656:                              ;   in Loop: Header=BB1115_638 Depth=1
	s_waitcnt lgkmcnt(0)
	v_mad_u64_u32 v[2:3], s[2:3], v22, v0, v[8:9]
	v_mul_lo_u32 v10, v22, v1
	v_mul_lo_u32 v11, v23, v0
	v_add3_u32 v3, v11, v3, v10
	v_mad_u64_u32 v[10:11], s[2:3], v22, v18, v[8:9]
	v_mul_lo_u32 v12, v22, v19
	v_mul_lo_u32 v13, v23, v18
	v_add3_u32 v11, v13, v11, v12
	s_mov_b64 s[16:17], 0
	v_mov_b64_e32 v[12:13], v[6:7]
                                        ; implicit-def: $sgpr18_sgpr19
                                        ; implicit-def: $sgpr20_sgpr21
                                        ; implicit-def: $sgpr26_sgpr27
	s_branch .LBB1115_658
.LBB1115_657:                           ;   in Loop: Header=BB1115_658 Depth=2
	s_or_b64 exec, exec, s[26:27]
	s_and_b64 s[2:3], exec, s[24:25]
	s_or_b64 s[16:17], s[2:3], s[16:17]
	s_andn2_b64 s[2:3], s[18:19], exec
	s_and_b64 s[18:19], s[20:21], exec
	s_or_b64 s[18:19], s[2:3], s[18:19]
	s_mov_b64 s[26:27], s[22:23]
	s_andn2_b64 exec, exec, s[16:17]
	s_cbranch_execz .LBB1115_662
.LBB1115_658:                           ;   Parent Loop BB1115_638 Depth=1
                                        ; =>  This Inner Loop Header: Depth=2
	flat_load_ushort v14, v[10:11]
	flat_load_ushort v15, v[2:3]
	s_mov_b64 s[24:25], -1
	s_mov_b64 s[28:29], 0
	s_mov_b64 s[22:23], -1
	s_waitcnt vmcnt(0) lgkmcnt(0)
	v_lshlrev_b32_e32 v14, 16, v14
	v_lshlrev_b32_e32 v15, 16, v15
	v_cmp_nlt_f32_e64 s[2:3], v14, v15
	s_and_saveexec_b64 s[40:41], s[2:3]
; %bb.659:                              ;   in Loop: Header=BB1115_658 Depth=2
	v_cmp_ngt_f32_e64 s[2:3], v14, v15
	s_and_b64 s[22:23], s[2:3], s[26:27]
	s_orn2_b64 s[22:23], s[22:23], exec
	s_and_b64 s[28:29], s[2:3], exec
; %bb.660:                              ;   in Loop: Header=BB1115_658 Depth=2
	s_or_b64 exec, exec, s[40:41]
	s_andn2_b64 s[2:3], s[20:21], exec
	s_and_b64 s[20:21], s[22:23], exec
	s_or_b64 s[20:21], s[2:3], s[20:21]
	s_and_saveexec_b64 s[26:27], s[28:29]
	s_cbranch_execz .LBB1115_657
; %bb.661:                              ;   in Loop: Header=BB1115_658 Depth=2
	v_lshl_add_u64 v[12:13], v[12:13], 0, -1
	v_cmp_eq_u64_e64 s[2:3], 0, v[12:13]
	v_lshl_add_u64 v[2:3], v[2:3], 0, 2
	v_lshl_add_u64 v[10:11], v[10:11], 0, 2
	s_andn2_b64 s[20:21], s[20:21], exec
	s_orn2_b64 s[24:25], s[2:3], exec
	s_branch .LBB1115_657
.LBB1115_662:                           ;   in Loop: Header=BB1115_638 Depth=1
	s_or_b64 exec, exec, s[16:17]
	s_xor_b64 s[2:3], s[18:19], -1
	s_andn2_b64 s[4:5], s[4:5], exec
	s_and_b64 s[2:3], s[2:3], exec
	s_or_b64 s[4:5], s[4:5], s[2:3]
.LBB1115_663:                           ;   in Loop: Header=BB1115_638 Depth=1
	s_or_b64 exec, exec, s[6:7]
	v_cndmask_b32_e64 v2, v33, v32, s[4:5]
	v_cndmask_b32_e64 v3, v84, v83, s[4:5]
	v_add_u32_e32 v10, 1, v2
	v_add_u32_e32 v2, -1, v3
	v_min_u32_e32 v2, v10, v2
	v_lshlrev_b32_e32 v2, 3, v2
	ds_read_b64 v[2:3], v2
	v_cndmask_b32_e64 v14, v10, v33, s[4:5]
	v_cndmask_b32_e64 v15, v32, v10, s[4:5]
	v_cmp_lt_u32_e64 s[2:3], v14, v84
	s_mov_b64 s[16:17], -1
	s_waitcnt lgkmcnt(0)
	v_cndmask_b32_e64 v20, v3, v19, s[4:5]
	v_cndmask_b32_e64 v24, v2, v18, s[4:5]
	;; [unrolled: 1-line block ×4, first 2 shown]
	s_mov_b64 s[6:7], -1
	s_and_saveexec_b64 s[18:19], s[2:3]
	s_cbranch_execz .LBB1115_673
; %bb.664:                              ;   in Loop: Header=BB1115_638 Depth=1
	v_cmp_lt_u32_e64 s[6:7], v15, v83
	s_xor_b64 s[2:3], s[0:1], -1
	s_and_b64 s[2:3], s[6:7], s[2:3]
	s_and_saveexec_b64 s[20:21], s[2:3]
	s_cbranch_execz .LBB1115_672
; %bb.665:                              ;   in Loop: Header=BB1115_638 Depth=1
	v_mad_u64_u32 v[2:3], s[2:3], v22, v30, v[8:9]
	v_mul_lo_u32 v10, v22, v21
	v_mul_lo_u32 v11, v23, v30
	v_add3_u32 v3, v11, v3, v10
	v_mad_u64_u32 v[10:11], s[2:3], v22, v24, v[8:9]
	v_mul_lo_u32 v12, v22, v20
	v_mul_lo_u32 v13, v23, v24
	v_add3_u32 v11, v13, v11, v12
	s_mov_b64 s[22:23], 0
	v_mov_b64_e32 v[12:13], v[6:7]
                                        ; implicit-def: $sgpr24_sgpr25
                                        ; implicit-def: $sgpr26_sgpr27
                                        ; implicit-def: $sgpr42_sgpr43
	s_branch .LBB1115_667
.LBB1115_666:                           ;   in Loop: Header=BB1115_667 Depth=2
	s_or_b64 exec, exec, s[42:43]
	s_and_b64 s[2:3], exec, s[40:41]
	s_or_b64 s[22:23], s[2:3], s[22:23]
	s_andn2_b64 s[2:3], s[24:25], exec
	s_and_b64 s[24:25], s[26:27], exec
	s_or_b64 s[24:25], s[2:3], s[24:25]
	s_mov_b64 s[42:43], s[28:29]
	s_andn2_b64 exec, exec, s[22:23]
	s_cbranch_execz .LBB1115_671
.LBB1115_667:                           ;   Parent Loop BB1115_638 Depth=1
                                        ; =>  This Inner Loop Header: Depth=2
	flat_load_ushort v16, v[10:11]
	flat_load_ushort v17, v[2:3]
	s_mov_b64 s[40:41], -1
	s_mov_b64 s[44:45], 0
	s_mov_b64 s[28:29], -1
	s_waitcnt vmcnt(0) lgkmcnt(0)
	v_lshlrev_b32_e32 v16, 16, v16
	v_lshlrev_b32_e32 v17, 16, v17
	v_cmp_nlt_f32_e64 s[2:3], v16, v17
	s_and_saveexec_b64 s[46:47], s[2:3]
; %bb.668:                              ;   in Loop: Header=BB1115_667 Depth=2
	v_cmp_ngt_f32_e64 s[2:3], v16, v17
	s_and_b64 s[28:29], s[2:3], s[42:43]
	s_orn2_b64 s[28:29], s[28:29], exec
	s_and_b64 s[44:45], s[2:3], exec
; %bb.669:                              ;   in Loop: Header=BB1115_667 Depth=2
	s_or_b64 exec, exec, s[46:47]
	s_andn2_b64 s[2:3], s[26:27], exec
	s_and_b64 s[26:27], s[28:29], exec
	s_or_b64 s[26:27], s[2:3], s[26:27]
	s_and_saveexec_b64 s[42:43], s[44:45]
	s_cbranch_execz .LBB1115_666
; %bb.670:                              ;   in Loop: Header=BB1115_667 Depth=2
	v_lshl_add_u64 v[12:13], v[12:13], 0, -1
	v_cmp_eq_u64_e64 s[2:3], 0, v[12:13]
	v_lshl_add_u64 v[2:3], v[2:3], 0, 2
	v_lshl_add_u64 v[10:11], v[10:11], 0, 2
	s_andn2_b64 s[26:27], s[26:27], exec
	s_orn2_b64 s[40:41], s[2:3], exec
	s_branch .LBB1115_666
.LBB1115_671:                           ;   in Loop: Header=BB1115_638 Depth=1
	s_or_b64 exec, exec, s[22:23]
	s_xor_b64 s[2:3], s[24:25], -1
	s_andn2_b64 s[6:7], s[6:7], exec
	s_and_b64 s[2:3], s[2:3], exec
	s_or_b64 s[6:7], s[6:7], s[2:3]
.LBB1115_672:                           ;   in Loop: Header=BB1115_638 Depth=1
	s_or_b64 exec, exec, s[20:21]
	s_orn2_b64 s[6:7], s[6:7], exec
.LBB1115_673:                           ;   in Loop: Header=BB1115_638 Depth=1
	s_or_b64 exec, exec, s[18:19]
	v_cndmask_b32_e64 v2, v14, v15, s[6:7]
	v_cndmask_b32_e64 v3, v84, v83, s[6:7]
	v_add_u32_e32 v10, 1, v2
	v_add_u32_e32 v2, -1, v3
	v_min_u32_e32 v2, v10, v2
	v_lshlrev_b32_e32 v2, 3, v2
	ds_read_b64 v[2:3], v2
	v_cndmask_b32_e64 v14, v10, v14, s[6:7]
	v_cndmask_b32_e64 v15, v15, v10, s[6:7]
	v_cmp_lt_u32_e64 s[2:3], v14, v84
	s_waitcnt lgkmcnt(0)
	v_cndmask_b32_e64 v32, v3, v20, s[6:7]
	v_cndmask_b32_e64 v33, v2, v24, s[6:7]
	;; [unrolled: 1-line block ×4, first 2 shown]
	s_and_saveexec_b64 s[18:19], s[2:3]
	s_cbranch_execz .LBB1115_683
; %bb.674:                              ;   in Loop: Header=BB1115_638 Depth=1
	v_cmp_lt_u32_e64 s[16:17], v15, v83
	s_xor_b64 s[2:3], s[0:1], -1
	s_and_b64 s[2:3], s[16:17], s[2:3]
	s_and_saveexec_b64 s[20:21], s[2:3]
	s_cbranch_execz .LBB1115_682
; %bb.675:                              ;   in Loop: Header=BB1115_638 Depth=1
	v_mad_u64_u32 v[2:3], s[2:3], v22, v35, v[8:9]
	v_mul_lo_u32 v10, v22, v34
	v_mul_lo_u32 v11, v23, v35
	v_add3_u32 v3, v11, v3, v10
	v_mad_u64_u32 v[10:11], s[2:3], v22, v33, v[8:9]
	v_mul_lo_u32 v12, v22, v32
	v_mul_lo_u32 v13, v23, v33
	v_add3_u32 v11, v13, v11, v12
	s_mov_b64 s[22:23], 0
	v_mov_b64_e32 v[12:13], v[6:7]
                                        ; implicit-def: $sgpr24_sgpr25
                                        ; implicit-def: $sgpr26_sgpr27
                                        ; implicit-def: $sgpr42_sgpr43
	s_branch .LBB1115_677
.LBB1115_676:                           ;   in Loop: Header=BB1115_677 Depth=2
	s_or_b64 exec, exec, s[42:43]
	s_and_b64 s[2:3], exec, s[40:41]
	s_or_b64 s[22:23], s[2:3], s[22:23]
	s_andn2_b64 s[2:3], s[24:25], exec
	s_and_b64 s[24:25], s[26:27], exec
	s_or_b64 s[24:25], s[2:3], s[24:25]
	s_mov_b64 s[42:43], s[28:29]
	s_andn2_b64 exec, exec, s[22:23]
	s_cbranch_execz .LBB1115_681
.LBB1115_677:                           ;   Parent Loop BB1115_638 Depth=1
                                        ; =>  This Inner Loop Header: Depth=2
	flat_load_ushort v16, v[10:11]
	flat_load_ushort v17, v[2:3]
	s_mov_b64 s[40:41], -1
	s_mov_b64 s[44:45], 0
	s_mov_b64 s[28:29], -1
	s_waitcnt vmcnt(0) lgkmcnt(0)
	v_lshlrev_b32_e32 v16, 16, v16
	v_lshlrev_b32_e32 v17, 16, v17
	v_cmp_nlt_f32_e64 s[2:3], v16, v17
	s_and_saveexec_b64 s[46:47], s[2:3]
; %bb.678:                              ;   in Loop: Header=BB1115_677 Depth=2
	v_cmp_ngt_f32_e64 s[2:3], v16, v17
	s_and_b64 s[28:29], s[2:3], s[42:43]
	s_orn2_b64 s[28:29], s[28:29], exec
	s_and_b64 s[44:45], s[2:3], exec
; %bb.679:                              ;   in Loop: Header=BB1115_677 Depth=2
	s_or_b64 exec, exec, s[46:47]
	s_andn2_b64 s[2:3], s[26:27], exec
	s_and_b64 s[26:27], s[28:29], exec
	s_or_b64 s[26:27], s[2:3], s[26:27]
	s_and_saveexec_b64 s[42:43], s[44:45]
	s_cbranch_execz .LBB1115_676
; %bb.680:                              ;   in Loop: Header=BB1115_677 Depth=2
	v_lshl_add_u64 v[12:13], v[12:13], 0, -1
	v_cmp_eq_u64_e64 s[2:3], 0, v[12:13]
	v_lshl_add_u64 v[2:3], v[2:3], 0, 2
	v_lshl_add_u64 v[10:11], v[10:11], 0, 2
	s_andn2_b64 s[26:27], s[26:27], exec
	s_orn2_b64 s[40:41], s[2:3], exec
	s_branch .LBB1115_676
.LBB1115_681:                           ;   in Loop: Header=BB1115_638 Depth=1
	s_or_b64 exec, exec, s[22:23]
	s_xor_b64 s[2:3], s[24:25], -1
	s_andn2_b64 s[16:17], s[16:17], exec
	s_and_b64 s[2:3], s[2:3], exec
	s_or_b64 s[16:17], s[16:17], s[2:3]
.LBB1115_682:                           ;   in Loop: Header=BB1115_638 Depth=1
	s_or_b64 exec, exec, s[20:21]
	s_orn2_b64 s[16:17], s[16:17], exec
.LBB1115_683:                           ;   in Loop: Header=BB1115_638 Depth=1
	s_or_b64 exec, exec, s[18:19]
	v_cndmask_b32_e64 v2, v14, v15, s[16:17]
	v_cndmask_b32_e64 v3, v84, v83, s[16:17]
	v_add_u32_e32 v10, 1, v2
	v_add_u32_e32 v2, -1, v3
	v_min_u32_e32 v2, v10, v2
	v_lshlrev_b32_e32 v2, 3, v2
	ds_read_b64 v[2:3], v2
	v_cndmask_b32_e64 v14, v10, v14, s[16:17]
	v_cndmask_b32_e64 v15, v15, v10, s[16:17]
	v_cmp_lt_u32_e64 s[2:3], v14, v84
	s_mov_b64 s[20:21], -1
	s_waitcnt lgkmcnt(0)
	v_cndmask_b32_e64 v16, v3, v32, s[16:17]
	v_cndmask_b32_e64 v36, v2, v33, s[16:17]
	;; [unrolled: 1-line block ×4, first 2 shown]
	s_mov_b64 s[18:19], -1
	s_and_saveexec_b64 s[22:23], s[2:3]
	s_cbranch_execz .LBB1115_693
; %bb.684:                              ;   in Loop: Header=BB1115_638 Depth=1
	v_cmp_lt_u32_e64 s[18:19], v15, v83
	s_xor_b64 s[2:3], s[0:1], -1
	s_and_b64 s[2:3], s[18:19], s[2:3]
	s_and_saveexec_b64 s[24:25], s[2:3]
	s_cbranch_execz .LBB1115_692
; %bb.685:                              ;   in Loop: Header=BB1115_638 Depth=1
	v_mad_u64_u32 v[2:3], s[2:3], v22, v37, v[8:9]
	v_mul_lo_u32 v10, v22, v17
	v_mul_lo_u32 v11, v23, v37
	v_add3_u32 v3, v11, v3, v10
	v_mad_u64_u32 v[10:11], s[2:3], v22, v36, v[8:9]
	v_mul_lo_u32 v12, v22, v16
	v_mul_lo_u32 v13, v23, v36
	v_add3_u32 v11, v13, v11, v12
	s_mov_b64 s[26:27], 0
	v_mov_b64_e32 v[12:13], v[6:7]
                                        ; implicit-def: $sgpr28_sgpr29
                                        ; implicit-def: $sgpr40_sgpr41
                                        ; implicit-def: $sgpr46_sgpr47
	s_branch .LBB1115_687
.LBB1115_686:                           ;   in Loop: Header=BB1115_687 Depth=2
	s_or_b64 exec, exec, s[46:47]
	s_and_b64 s[2:3], exec, s[44:45]
	s_or_b64 s[26:27], s[2:3], s[26:27]
	s_andn2_b64 s[2:3], s[28:29], exec
	s_and_b64 s[28:29], s[40:41], exec
	s_or_b64 s[28:29], s[2:3], s[28:29]
	s_mov_b64 s[46:47], s[42:43]
	s_andn2_b64 exec, exec, s[26:27]
	s_cbranch_execz .LBB1115_691
.LBB1115_687:                           ;   Parent Loop BB1115_638 Depth=1
                                        ; =>  This Inner Loop Header: Depth=2
	flat_load_ushort v85, v[10:11]
	flat_load_ushort v86, v[2:3]
	s_mov_b64 s[44:45], -1
	s_mov_b64 s[56:57], 0
	s_mov_b64 s[42:43], -1
	s_waitcnt vmcnt(0) lgkmcnt(0)
	v_lshlrev_b32_e32 v85, 16, v85
	v_lshlrev_b32_e32 v86, 16, v86
	v_cmp_nlt_f32_e64 s[2:3], v85, v86
	s_and_saveexec_b64 s[58:59], s[2:3]
; %bb.688:                              ;   in Loop: Header=BB1115_687 Depth=2
	v_cmp_ngt_f32_e64 s[2:3], v85, v86
	s_and_b64 s[42:43], s[2:3], s[46:47]
	s_orn2_b64 s[42:43], s[42:43], exec
	s_and_b64 s[56:57], s[2:3], exec
; %bb.689:                              ;   in Loop: Header=BB1115_687 Depth=2
	s_or_b64 exec, exec, s[58:59]
	s_andn2_b64 s[2:3], s[40:41], exec
	s_and_b64 s[40:41], s[42:43], exec
	s_or_b64 s[40:41], s[2:3], s[40:41]
	s_and_saveexec_b64 s[46:47], s[56:57]
	s_cbranch_execz .LBB1115_686
; %bb.690:                              ;   in Loop: Header=BB1115_687 Depth=2
	v_lshl_add_u64 v[12:13], v[12:13], 0, -1
	v_cmp_eq_u64_e64 s[2:3], 0, v[12:13]
	v_lshl_add_u64 v[2:3], v[2:3], 0, 2
	v_lshl_add_u64 v[10:11], v[10:11], 0, 2
	s_andn2_b64 s[40:41], s[40:41], exec
	s_orn2_b64 s[44:45], s[2:3], exec
	s_branch .LBB1115_686
.LBB1115_691:                           ;   in Loop: Header=BB1115_638 Depth=1
	s_or_b64 exec, exec, s[26:27]
	s_xor_b64 s[2:3], s[28:29], -1
	s_andn2_b64 s[18:19], s[18:19], exec
	s_and_b64 s[2:3], s[2:3], exec
	s_or_b64 s[18:19], s[18:19], s[2:3]
.LBB1115_692:                           ;   in Loop: Header=BB1115_638 Depth=1
	s_or_b64 exec, exec, s[24:25]
	s_orn2_b64 s[18:19], s[18:19], exec
.LBB1115_693:                           ;   in Loop: Header=BB1115_638 Depth=1
	s_or_b64 exec, exec, s[22:23]
	v_cndmask_b32_e64 v2, v14, v15, s[18:19]
	v_cndmask_b32_e64 v3, v84, v83, s[18:19]
	v_add_u32_e32 v10, 1, v2
	v_add_u32_e32 v2, -1, v3
	v_min_u32_e32 v2, v10, v2
	v_lshlrev_b32_e32 v2, 3, v2
	ds_read_b64 v[2:3], v2
	v_cndmask_b32_e64 v14, v10, v14, s[18:19]
	v_cndmask_b32_e64 v15, v15, v10, s[18:19]
	v_cmp_lt_u32_e64 s[2:3], v14, v84
	s_waitcnt lgkmcnt(0)
	v_cndmask_b32_e64 v85, v3, v16, s[18:19]
	v_cndmask_b32_e64 v86, v2, v36, s[18:19]
	;; [unrolled: 1-line block ×4, first 2 shown]
	s_and_saveexec_b64 s[22:23], s[2:3]
	s_cbranch_execz .LBB1115_703
; %bb.694:                              ;   in Loop: Header=BB1115_638 Depth=1
	v_cmp_lt_u32_e64 s[20:21], v15, v83
	s_xor_b64 s[2:3], s[0:1], -1
	s_and_b64 s[2:3], s[20:21], s[2:3]
	s_and_saveexec_b64 s[24:25], s[2:3]
	s_cbranch_execz .LBB1115_702
; %bb.695:                              ;   in Loop: Header=BB1115_638 Depth=1
	v_mad_u64_u32 v[2:3], s[2:3], v22, v96, v[8:9]
	v_mul_lo_u32 v10, v22, v87
	v_mul_lo_u32 v11, v23, v96
	v_add3_u32 v3, v11, v3, v10
	v_mad_u64_u32 v[10:11], s[2:3], v22, v86, v[8:9]
	v_mul_lo_u32 v12, v22, v85
	v_mul_lo_u32 v13, v23, v86
	v_add3_u32 v11, v13, v11, v12
	s_mov_b64 s[26:27], 0
	v_mov_b64_e32 v[12:13], v[6:7]
                                        ; implicit-def: $sgpr28_sgpr29
                                        ; implicit-def: $sgpr40_sgpr41
                                        ; implicit-def: $sgpr46_sgpr47
	s_branch .LBB1115_697
.LBB1115_696:                           ;   in Loop: Header=BB1115_697 Depth=2
	s_or_b64 exec, exec, s[46:47]
	s_and_b64 s[2:3], exec, s[44:45]
	s_or_b64 s[26:27], s[2:3], s[26:27]
	s_andn2_b64 s[2:3], s[28:29], exec
	s_and_b64 s[28:29], s[40:41], exec
	s_or_b64 s[28:29], s[2:3], s[28:29]
	s_mov_b64 s[46:47], s[42:43]
	s_andn2_b64 exec, exec, s[26:27]
	s_cbranch_execz .LBB1115_701
.LBB1115_697:                           ;   Parent Loop BB1115_638 Depth=1
                                        ; =>  This Inner Loop Header: Depth=2
	flat_load_ushort v97, v[10:11]
	flat_load_ushort v98, v[2:3]
	s_mov_b64 s[44:45], -1
	s_mov_b64 s[56:57], 0
	s_mov_b64 s[42:43], -1
	s_waitcnt vmcnt(0) lgkmcnt(0)
	v_lshlrev_b32_e32 v97, 16, v97
	v_lshlrev_b32_e32 v98, 16, v98
	v_cmp_nlt_f32_e64 s[2:3], v97, v98
	s_and_saveexec_b64 s[58:59], s[2:3]
; %bb.698:                              ;   in Loop: Header=BB1115_697 Depth=2
	v_cmp_ngt_f32_e64 s[2:3], v97, v98
	s_and_b64 s[42:43], s[2:3], s[46:47]
	s_orn2_b64 s[42:43], s[42:43], exec
	s_and_b64 s[56:57], s[2:3], exec
; %bb.699:                              ;   in Loop: Header=BB1115_697 Depth=2
	s_or_b64 exec, exec, s[58:59]
	s_andn2_b64 s[2:3], s[40:41], exec
	s_and_b64 s[40:41], s[42:43], exec
	s_or_b64 s[40:41], s[2:3], s[40:41]
	s_and_saveexec_b64 s[46:47], s[56:57]
	s_cbranch_execz .LBB1115_696
; %bb.700:                              ;   in Loop: Header=BB1115_697 Depth=2
	v_lshl_add_u64 v[12:13], v[12:13], 0, -1
	v_cmp_eq_u64_e64 s[2:3], 0, v[12:13]
	v_lshl_add_u64 v[2:3], v[2:3], 0, 2
	v_lshl_add_u64 v[10:11], v[10:11], 0, 2
	s_andn2_b64 s[40:41], s[40:41], exec
	s_orn2_b64 s[44:45], s[2:3], exec
	s_branch .LBB1115_696
.LBB1115_701:                           ;   in Loop: Header=BB1115_638 Depth=1
	s_or_b64 exec, exec, s[26:27]
	s_xor_b64 s[2:3], s[28:29], -1
	s_andn2_b64 s[20:21], s[20:21], exec
	s_and_b64 s[2:3], s[2:3], exec
	s_or_b64 s[20:21], s[20:21], s[2:3]
.LBB1115_702:                           ;   in Loop: Header=BB1115_638 Depth=1
	s_or_b64 exec, exec, s[24:25]
	s_orn2_b64 s[20:21], s[20:21], exec
.LBB1115_703:                           ;   in Loop: Header=BB1115_638 Depth=1
	s_or_b64 exec, exec, s[22:23]
	v_cndmask_b32_e64 v2, v14, v15, s[20:21]
	v_cndmask_b32_e64 v3, v84, v83, s[20:21]
	v_add_u32_e32 v10, 1, v2
	v_add_u32_e32 v2, -1, v3
	v_min_u32_e32 v2, v10, v2
	v_lshlrev_b32_e32 v2, 3, v2
	ds_read_b64 v[2:3], v2
	v_cndmask_b32_e64 v14, v10, v14, s[20:21]
	v_cndmask_b32_e64 v15, v15, v10, s[20:21]
	v_cmp_lt_u32_e64 s[2:3], v14, v84
	s_mov_b64 s[22:23], -1
	s_waitcnt lgkmcnt(0)
	v_cndmask_b32_e64 v97, v3, v85, s[20:21]
	v_cndmask_b32_e64 v98, v2, v86, s[20:21]
	;; [unrolled: 1-line block ×4, first 2 shown]
	s_mov_b64 s[24:25], -1
	s_and_saveexec_b64 s[26:27], s[2:3]
	s_cbranch_execz .LBB1115_713
; %bb.704:                              ;   in Loop: Header=BB1115_638 Depth=1
	v_cmp_lt_u32_e64 s[24:25], v15, v83
	s_xor_b64 s[2:3], s[0:1], -1
	s_and_b64 s[2:3], s[24:25], s[2:3]
	s_and_saveexec_b64 s[28:29], s[2:3]
	s_cbranch_execz .LBB1115_712
; %bb.705:                              ;   in Loop: Header=BB1115_638 Depth=1
	v_mad_u64_u32 v[2:3], s[2:3], v22, v100, v[8:9]
	v_mul_lo_u32 v10, v22, v99
	v_mul_lo_u32 v11, v23, v100
	v_add3_u32 v3, v11, v3, v10
	v_mad_u64_u32 v[10:11], s[2:3], v22, v98, v[8:9]
	v_mul_lo_u32 v12, v22, v97
	v_mul_lo_u32 v13, v23, v98
	v_add3_u32 v11, v13, v11, v12
	s_mov_b64 s[40:41], 0
	v_mov_b64_e32 v[12:13], v[6:7]
                                        ; implicit-def: $sgpr42_sgpr43
                                        ; implicit-def: $sgpr44_sgpr45
                                        ; implicit-def: $sgpr58_sgpr59
	s_branch .LBB1115_707
.LBB1115_706:                           ;   in Loop: Header=BB1115_707 Depth=2
	s_or_b64 exec, exec, s[58:59]
	s_and_b64 s[2:3], exec, s[56:57]
	s_or_b64 s[40:41], s[2:3], s[40:41]
	s_andn2_b64 s[2:3], s[42:43], exec
	s_and_b64 s[42:43], s[44:45], exec
	s_or_b64 s[42:43], s[2:3], s[42:43]
	s_mov_b64 s[58:59], s[46:47]
	s_andn2_b64 exec, exec, s[40:41]
	s_cbranch_execz .LBB1115_711
.LBB1115_707:                           ;   Parent Loop BB1115_638 Depth=1
                                        ; =>  This Inner Loop Header: Depth=2
	flat_load_ushort v101, v[10:11]
	flat_load_ushort v102, v[2:3]
	s_mov_b64 s[56:57], -1
	s_mov_b64 s[60:61], 0
	s_mov_b64 s[46:47], -1
	s_waitcnt vmcnt(0) lgkmcnt(0)
	v_lshlrev_b32_e32 v101, 16, v101
	v_lshlrev_b32_e32 v102, 16, v102
	v_cmp_nlt_f32_e64 s[2:3], v101, v102
	s_and_saveexec_b64 s[62:63], s[2:3]
; %bb.708:                              ;   in Loop: Header=BB1115_707 Depth=2
	v_cmp_ngt_f32_e64 s[2:3], v101, v102
	s_and_b64 s[46:47], s[2:3], s[58:59]
	s_orn2_b64 s[46:47], s[46:47], exec
	s_and_b64 s[60:61], s[2:3], exec
; %bb.709:                              ;   in Loop: Header=BB1115_707 Depth=2
	s_or_b64 exec, exec, s[62:63]
	s_andn2_b64 s[2:3], s[44:45], exec
	s_and_b64 s[44:45], s[46:47], exec
	s_or_b64 s[44:45], s[2:3], s[44:45]
	s_and_saveexec_b64 s[58:59], s[60:61]
	s_cbranch_execz .LBB1115_706
; %bb.710:                              ;   in Loop: Header=BB1115_707 Depth=2
	v_lshl_add_u64 v[12:13], v[12:13], 0, -1
	v_cmp_eq_u64_e64 s[2:3], 0, v[12:13]
	v_lshl_add_u64 v[2:3], v[2:3], 0, 2
	v_lshl_add_u64 v[10:11], v[10:11], 0, 2
	s_andn2_b64 s[44:45], s[44:45], exec
	s_orn2_b64 s[56:57], s[2:3], exec
	s_branch .LBB1115_706
.LBB1115_711:                           ;   in Loop: Header=BB1115_638 Depth=1
	s_or_b64 exec, exec, s[40:41]
	s_xor_b64 s[2:3], s[42:43], -1
	s_andn2_b64 s[24:25], s[24:25], exec
	s_and_b64 s[2:3], s[2:3], exec
	s_or_b64 s[24:25], s[24:25], s[2:3]
.LBB1115_712:                           ;   in Loop: Header=BB1115_638 Depth=1
	s_or_b64 exec, exec, s[28:29]
	s_orn2_b64 s[24:25], s[24:25], exec
.LBB1115_713:                           ;   in Loop: Header=BB1115_638 Depth=1
	s_or_b64 exec, exec, s[26:27]
	v_cndmask_b32_e64 v2, v14, v15, s[24:25]
	v_cndmask_b32_e64 v3, v84, v83, s[24:25]
	v_add_u32_e32 v10, 1, v2
	v_add_u32_e32 v2, -1, v3
	v_min_u32_e32 v2, v10, v2
	v_lshlrev_b32_e32 v2, 3, v2
	ds_read_b64 v[2:3], v2
	v_cndmask_b32_e64 v113, v10, v14, s[24:25]
	v_cndmask_b32_e64 v14, v15, v10, s[24:25]
	v_cmp_lt_u32_e64 s[2:3], v113, v84
	s_waitcnt lgkmcnt(0)
	v_cndmask_b32_e64 v101, v3, v97, s[24:25]
	v_cndmask_b32_e64 v102, v2, v98, s[24:25]
	;; [unrolled: 1-line block ×4, first 2 shown]
	s_and_saveexec_b64 s[26:27], s[2:3]
	s_cbranch_execz .LBB1115_723
; %bb.714:                              ;   in Loop: Header=BB1115_638 Depth=1
	v_cmp_lt_u32_e64 s[22:23], v14, v83
	s_xor_b64 s[2:3], s[0:1], -1
	s_and_b64 s[2:3], s[22:23], s[2:3]
	s_and_saveexec_b64 s[28:29], s[2:3]
	s_cbranch_execz .LBB1115_722
; %bb.715:                              ;   in Loop: Header=BB1115_638 Depth=1
	v_mad_u64_u32 v[2:3], s[2:3], v22, v112, v[8:9]
	v_mul_lo_u32 v10, v22, v103
	v_mul_lo_u32 v11, v23, v112
	v_add3_u32 v3, v11, v3, v10
	v_mad_u64_u32 v[10:11], s[2:3], v22, v102, v[8:9]
	v_mul_lo_u32 v12, v22, v101
	v_mul_lo_u32 v13, v23, v102
	v_add3_u32 v11, v13, v11, v12
	s_mov_b64 s[40:41], 0
	v_mov_b64_e32 v[12:13], v[6:7]
                                        ; implicit-def: $sgpr42_sgpr43
                                        ; implicit-def: $sgpr44_sgpr45
                                        ; implicit-def: $sgpr58_sgpr59
	s_branch .LBB1115_717
.LBB1115_716:                           ;   in Loop: Header=BB1115_717 Depth=2
	s_or_b64 exec, exec, s[58:59]
	s_and_b64 s[2:3], exec, s[56:57]
	s_or_b64 s[40:41], s[2:3], s[40:41]
	s_andn2_b64 s[2:3], s[42:43], exec
	s_and_b64 s[42:43], s[44:45], exec
	s_or_b64 s[42:43], s[2:3], s[42:43]
	s_mov_b64 s[58:59], s[46:47]
	s_andn2_b64 exec, exec, s[40:41]
	s_cbranch_execz .LBB1115_721
.LBB1115_717:                           ;   Parent Loop BB1115_638 Depth=1
                                        ; =>  This Inner Loop Header: Depth=2
	flat_load_ushort v15, v[10:11]
	flat_load_ushort v114, v[2:3]
	s_mov_b64 s[56:57], -1
	s_mov_b64 s[60:61], 0
	s_mov_b64 s[46:47], -1
	s_waitcnt vmcnt(0) lgkmcnt(0)
	v_lshlrev_b32_e32 v15, 16, v15
	v_lshlrev_b32_e32 v114, 16, v114
	v_cmp_nlt_f32_e64 s[2:3], v15, v114
	s_and_saveexec_b64 s[62:63], s[2:3]
; %bb.718:                              ;   in Loop: Header=BB1115_717 Depth=2
	v_cmp_ngt_f32_e64 s[2:3], v15, v114
	s_and_b64 s[46:47], s[2:3], s[58:59]
	s_orn2_b64 s[46:47], s[46:47], exec
	s_and_b64 s[60:61], s[2:3], exec
; %bb.719:                              ;   in Loop: Header=BB1115_717 Depth=2
	s_or_b64 exec, exec, s[62:63]
	s_andn2_b64 s[2:3], s[44:45], exec
	s_and_b64 s[44:45], s[46:47], exec
	s_or_b64 s[44:45], s[2:3], s[44:45]
	s_and_saveexec_b64 s[58:59], s[60:61]
	s_cbranch_execz .LBB1115_716
; %bb.720:                              ;   in Loop: Header=BB1115_717 Depth=2
	v_lshl_add_u64 v[12:13], v[12:13], 0, -1
	v_cmp_eq_u64_e64 s[2:3], 0, v[12:13]
	v_lshl_add_u64 v[2:3], v[2:3], 0, 2
	v_lshl_add_u64 v[10:11], v[10:11], 0, 2
	s_andn2_b64 s[44:45], s[44:45], exec
	s_orn2_b64 s[56:57], s[2:3], exec
	s_branch .LBB1115_716
.LBB1115_721:                           ;   in Loop: Header=BB1115_638 Depth=1
	s_or_b64 exec, exec, s[40:41]
	s_xor_b64 s[2:3], s[42:43], -1
	s_andn2_b64 s[22:23], s[22:23], exec
	s_and_b64 s[2:3], s[2:3], exec
	s_or_b64 s[22:23], s[22:23], s[2:3]
.LBB1115_722:                           ;   in Loop: Header=BB1115_638 Depth=1
	s_or_b64 exec, exec, s[28:29]
	s_orn2_b64 s[22:23], s[22:23], exec
.LBB1115_723:                           ;   in Loop: Header=BB1115_638 Depth=1
	s_or_b64 exec, exec, s[26:27]
	v_cndmask_b32_e64 v2, v113, v14, s[22:23]
	v_cndmask_b32_e64 v3, v84, v83, s[22:23]
	v_add_u32_e32 v12, 1, v2
	v_add_u32_e32 v2, -1, v3
	v_min_u32_e32 v2, v12, v2
	v_lshlrev_b32_e32 v2, 3, v2
	ds_read_b64 v[10:11], v2
	v_cndmask_b32_e64 v13, v12, v113, s[22:23]
	v_cmp_lt_u32_e64 s[2:3], v13, v84
	s_waitcnt lgkmcnt(0)
	v_cndmask_b32_e64 v3, v103, v11, s[22:23]
	v_cndmask_b32_e64 v2, v112, v10, s[22:23]
	s_and_saveexec_b64 s[26:27], s[2:3]
	s_cbranch_execz .LBB1115_733
; %bb.724:                              ;   in Loop: Header=BB1115_638 Depth=1
	v_cndmask_b32_e64 v113, v10, v102, s[22:23]
	v_cndmask_b32_e64 v10, v14, v12, s[22:23]
	;; [unrolled: 1-line block ×3, first 2 shown]
	v_cmp_ge_u32_e64 s[2:3], v10, v83
	s_nor_b64 s[40:41], s[2:3], s[0:1]
	s_nop 0
	v_cndmask_b32_e64 v11, v3, v84, s[2:3]
	v_cndmask_b32_e64 v10, v2, v113, s[2:3]
	s_and_saveexec_b64 s[28:29], s[40:41]
	s_cbranch_execz .LBB1115_732
; %bb.725:                              ;   in Loop: Header=BB1115_638 Depth=1
	v_mad_u64_u32 v[10:11], s[2:3], v22, v2, v[8:9]
	v_mul_lo_u32 v12, v22, v3
	v_mul_lo_u32 v13, v23, v2
	v_add3_u32 v11, v13, v11, v12
	v_mad_u64_u32 v[12:13], s[2:3], v22, v113, v[8:9]
	v_mul_lo_u32 v14, v22, v84
	v_mul_lo_u32 v15, v23, v113
	v_add3_u32 v13, v15, v13, v14
	s_mov_b64 s[40:41], 0
	v_mov_b64_e32 v[14:15], v[6:7]
                                        ; implicit-def: $sgpr42_sgpr43
                                        ; implicit-def: $sgpr44_sgpr45
                                        ; implicit-def: $sgpr58_sgpr59
	s_branch .LBB1115_727
.LBB1115_726:                           ;   in Loop: Header=BB1115_727 Depth=2
	s_or_b64 exec, exec, s[58:59]
	s_and_b64 s[2:3], exec, s[56:57]
	s_or_b64 s[40:41], s[2:3], s[40:41]
	s_andn2_b64 s[2:3], s[42:43], exec
	s_and_b64 s[42:43], s[44:45], exec
	s_or_b64 s[42:43], s[2:3], s[42:43]
	s_mov_b64 s[58:59], s[46:47]
	s_andn2_b64 exec, exec, s[40:41]
	s_cbranch_execz .LBB1115_731
.LBB1115_727:                           ;   Parent Loop BB1115_638 Depth=1
                                        ; =>  This Inner Loop Header: Depth=2
	flat_load_ushort v83, v[12:13]
	flat_load_ushort v114, v[10:11]
	s_mov_b64 s[56:57], -1
	s_mov_b64 s[60:61], 0
	s_mov_b64 s[46:47], -1
	s_waitcnt vmcnt(0) lgkmcnt(0)
	v_lshlrev_b32_e32 v83, 16, v83
	v_lshlrev_b32_e32 v114, 16, v114
	v_cmp_nlt_f32_e64 s[2:3], v83, v114
	s_and_saveexec_b64 s[62:63], s[2:3]
; %bb.728:                              ;   in Loop: Header=BB1115_727 Depth=2
	v_cmp_ngt_f32_e64 s[2:3], v83, v114
	s_and_b64 s[46:47], s[2:3], s[58:59]
	s_orn2_b64 s[46:47], s[46:47], exec
	s_and_b64 s[60:61], s[2:3], exec
; %bb.729:                              ;   in Loop: Header=BB1115_727 Depth=2
	s_or_b64 exec, exec, s[62:63]
	s_andn2_b64 s[2:3], s[44:45], exec
	s_and_b64 s[44:45], s[46:47], exec
	s_or_b64 s[44:45], s[2:3], s[44:45]
	s_and_saveexec_b64 s[58:59], s[60:61]
	s_cbranch_execz .LBB1115_726
; %bb.730:                              ;   in Loop: Header=BB1115_727 Depth=2
	v_lshl_add_u64 v[14:15], v[14:15], 0, -1
	v_cmp_eq_u64_e64 s[2:3], 0, v[14:15]
	v_lshl_add_u64 v[10:11], v[10:11], 0, 2
	v_lshl_add_u64 v[12:13], v[12:13], 0, 2
	s_andn2_b64 s[44:45], s[44:45], exec
	s_orn2_b64 s[56:57], s[2:3], exec
	s_branch .LBB1115_726
.LBB1115_731:                           ;   in Loop: Header=BB1115_638 Depth=1
	s_or_b64 exec, exec, s[40:41]
	v_cndmask_b32_e64 v11, v3, v84, s[42:43]
	v_cndmask_b32_e64 v10, v2, v113, s[42:43]
.LBB1115_732:                           ;   in Loop: Header=BB1115_638 Depth=1
	s_or_b64 exec, exec, s[28:29]
	v_mov_b64_e32 v[2:3], v[10:11]
.LBB1115_733:                           ;   in Loop: Header=BB1115_638 Depth=1
	s_or_b64 exec, exec, s[26:27]
	v_cndmask_b32_e64 v13, v97, v99, s[24:25]
	v_cndmask_b32_e64 v12, v98, v100, s[24:25]
	;; [unrolled: 1-line block ×14, first 2 shown]
.LBB1115_734:                           ;   in Loop: Header=BB1115_638 Depth=1
	s_or_b64 exec, exec, s[14:15]
	s_cmpk_lt_u32 s72, 0x400
	s_barrier
	s_cbranch_scc0 .LBB1115_736
; %bb.735:                              ;   in Loop: Header=BB1115_638 Depth=1
	s_mov_b32 s72, s73
	s_branch .LBB1115_638
.LBB1115_736:
	s_barrier
	ds_write_b64 v54, v[18:19]
	ds_write_b64 v64, v[20:21]
	;; [unrolled: 1-line block ×8, first 2 shown]
	s_waitcnt lgkmcnt(0)
	s_barrier
	ds_read_b64 v[0:1], v29
	ds_read_b64 v[2:3], v55
	;; [unrolled: 1-line block ×8, first 2 shown]
	v_mov_b32_e32 v29, 0
	v_lshl_add_u64 v[18:19], v[4:5], 0, v[28:29]
	s_movk_i32 s0, 0x1000
	s_waitcnt lgkmcnt(7)
	flat_store_dwordx2 v[18:19], v[0:1]
	s_waitcnt lgkmcnt(0)
	flat_store_dwordx2 v[18:19], v[2:3] offset:2048
	v_add_co_u32_e32 v0, vcc, s0, v18
	s_mov_b64 s[24:25], exec
	s_nop 0
	v_addc_co_u32_e32 v1, vcc, 0, v19, vcc
	flat_store_dwordx2 v[0:1], v[6:7]
	flat_store_dwordx2 v[0:1], v[8:9] offset:2048
	v_add_co_u32_e32 v0, vcc, 0x2000, v18
                                        ; implicit-def: $vgpr6_vgpr7
                                        ; implicit-def: $vgpr2_vgpr3
                                        ; implicit-def: $vgpr8_vgpr9
                                        ; implicit-def: $vgpr30
                                        ; implicit-def: $vgpr31
                                        ; implicit-def: $vgpr28
	s_nop 1
	v_addc_co_u32_e32 v1, vcc, 0, v19, vcc
	flat_store_dwordx2 v[0:1], v[10:11]
	flat_store_dwordx2 v[0:1], v[12:13] offset:2048
	v_add_co_u32_e32 v0, vcc, 0x3000, v18
                                        ; implicit-def: $vgpr10
	s_nop 1
	v_addc_co_u32_e32 v1, vcc, 0, v19, vcc
	flat_store_dwordx2 v[0:1], v[14:15]
                                        ; implicit-def: $vgpr0
                                        ; implicit-def: $vgpr1
	s_andn2_saveexec_b64 s[26:27], s[10:11]
	s_cbranch_execz .LBB1115_2
.LBB1115_737:
	v_cmp_lt_u32_e32 vcc, v26, v0
                                        ; implicit-def: $vgpr18_vgpr19
	s_and_saveexec_b64 s[0:1], vcc
	s_cbranch_execz .LBB1115_739
; %bb.738:
	v_mov_b32_e32 v29, 0
	v_lshl_add_u64 v[12:13], v[2:3], 0, v[28:29]
	flat_load_dwordx2 v[18:19], v[12:13]
.LBB1115_739:
	s_or_b64 exec, exec, s[0:1]
	v_add_u32_e32 v11, 0x100, v26
	v_cmp_lt_u32_e64 s[0:1], v11, v0
                                        ; implicit-def: $vgpr20_vgpr21
	s_and_saveexec_b64 s[2:3], s[0:1]
	s_cbranch_execz .LBB1115_741
; %bb.740:
	v_mov_b32_e32 v29, 0
	v_lshl_add_u64 v[12:13], v[2:3], 0, v[28:29]
	flat_load_dwordx2 v[20:21], v[12:13] offset:2048
.LBB1115_741:
	s_or_b64 exec, exec, s[2:3]
	v_add_u32_e32 v12, 0x200, v26
	v_cmp_lt_u32_e64 s[2:3], v12, v0
                                        ; implicit-def: $vgpr22_vgpr23
	s_and_saveexec_b64 s[4:5], s[2:3]
	s_cbranch_execz .LBB1115_743
; %bb.742:
	v_lshlrev_b32_e32 v14, 3, v12
	v_mov_b32_e32 v15, 0
	v_lshl_add_u64 v[14:15], v[2:3], 0, v[14:15]
	flat_load_dwordx2 v[22:23], v[14:15]
.LBB1115_743:
	s_or_b64 exec, exec, s[4:5]
	v_add_u32_e32 v13, 0x300, v26
	v_cmp_lt_u32_e64 s[4:5], v13, v0
                                        ; implicit-def: $vgpr24_vgpr25
	s_and_saveexec_b64 s[6:7], s[4:5]
	s_cbranch_execz .LBB1115_745
; %bb.744:
	v_lshlrev_b32_e32 v14, 3, v13
	v_mov_b32_e32 v15, 0
	v_lshl_add_u64 v[14:15], v[2:3], 0, v[14:15]
	flat_load_dwordx2 v[24:25], v[14:15]
.LBB1115_745:
	s_or_b64 exec, exec, s[6:7]
	v_or_b32_e32 v14, 0x400, v26
	v_cmp_lt_u32_e64 s[6:7], v14, v0
                                        ; implicit-def: $vgpr32_vgpr33
	s_and_saveexec_b64 s[10:11], s[6:7]
	s_cbranch_execz .LBB1115_747
; %bb.746:
	v_lshlrev_b32_e32 v16, 3, v14
	v_mov_b32_e32 v17, 0
	v_lshl_add_u64 v[16:17], v[2:3], 0, v[16:17]
	flat_load_dwordx2 v[32:33], v[16:17]
.LBB1115_747:
	s_or_b64 exec, exec, s[10:11]
	v_add_u32_e32 v15, 0x500, v26
	v_cmp_lt_u32_e64 s[10:11], v15, v0
                                        ; implicit-def: $vgpr34_vgpr35
	s_and_saveexec_b64 s[14:15], s[10:11]
	s_cbranch_execz .LBB1115_749
; %bb.748:
	v_lshlrev_b32_e32 v16, 3, v15
	v_mov_b32_e32 v17, 0
	v_lshl_add_u64 v[16:17], v[2:3], 0, v[16:17]
	flat_load_dwordx2 v[34:35], v[16:17]
.LBB1115_749:
	s_or_b64 exec, exec, s[14:15]
	v_add_u32_e32 v16, 0x600, v26
	v_cmp_lt_u32_e64 s[22:23], v16, v0
                                        ; implicit-def: $vgpr38_vgpr39
	s_and_saveexec_b64 s[14:15], s[22:23]
	s_cbranch_execz .LBB1115_751
; %bb.750:
	v_lshlrev_b32_e32 v36, 3, v16
	v_mov_b32_e32 v37, 0
	v_lshl_add_u64 v[36:37], v[2:3], 0, v[36:37]
	flat_load_dwordx2 v[38:39], v[36:37]
.LBB1115_751:
	s_or_b64 exec, exec, s[14:15]
	v_add_u32_e32 v17, 0x700, v26
	v_cmp_lt_u32_e64 s[14:15], v17, v0
                                        ; implicit-def: $vgpr48_vgpr49
	s_and_saveexec_b64 s[16:17], s[14:15]
	s_cbranch_execz .LBB1115_753
; %bb.752:
	v_lshlrev_b32_e32 v36, 3, v17
	v_mov_b32_e32 v37, 0
	v_lshl_add_u64 v[2:3], v[2:3], 0, v[36:37]
	flat_load_dwordx2 v[48:49], v[2:3]
.LBB1115_753:
	s_or_b64 exec, exec, s[16:17]
	v_lshrrev_b32_e32 v2, 5, v13
	v_add_lshl_u32 v29, v2, v13, 3
	v_lshrrev_b32_e32 v2, 5, v14
	v_add_lshl_u32 v52, v2, v14, 3
	;; [unrolled: 2-line block ×7, first 2 shown]
	v_add_lshl_u32 v55, v2, v17, 3
	v_add_lshl_u32 v64, v10, v28, 3
	s_waitcnt vmcnt(0) lgkmcnt(0)
	ds_write_b64 v27, v[18:19]
	ds_write_b64 v36, v[20:21] offset:2048
	ds_write_b64 v1, v[22:23]
	ds_write_b64 v29, v[24:25]
	;; [unrolled: 1-line block ×6, first 2 shown]
	s_waitcnt lgkmcnt(0)
	s_barrier
	ds_read2_b64 v[22:25], v64 offset1:1
	ds_read2_b64 v[18:21], v64 offset0:2 offset1:3
	ds_read2_b64 v[14:17], v64 offset0:4 offset1:5
	;; [unrolled: 1-line block ×3, first 2 shown]
	s_waitcnt lgkmcnt(0)
	s_barrier
	s_load_dwordx2 s[16:17], s[8:9], 0x0
	v_mov_b32_e32 v2, 0
	s_mov_b64 s[28:29], 0
	s_waitcnt lgkmcnt(0)
	s_cmp_lt_u32 s12, s16
	s_cselect_b32 s16, 12, 18
	s_cmp_lt_u32 s13, s17
	s_cselect_b32 s12, 14, 20
	s_add_u32 s12, s8, s12
	s_addc_u32 s13, s9, 0
	s_add_u32 s8, s8, s16
	s_addc_u32 s9, s9, 0
	global_load_ushort v3, v2, s[12:13]
	global_load_ushort v32, v2, s[8:9]
	v_cmp_lt_i64_e64 s[16:17], 0, v[6:7]
	v_cmp_gt_i64_e64 s[8:9], 1, v[6:7]
	s_waitcnt vmcnt(1)
	v_mad_u32_u24 v2, v31, v3, v30
	s_waitcnt vmcnt(0)
	v_mul_lo_u32 v2, v2, v32
	v_add_lshl_u32 v34, v2, v26, 3
	v_sub_u32_e64 v35, v0, v34 clamp
	v_cmp_lt_u32_e64 s[12:13], 1, v35
	s_and_b64 s[18:19], s[12:13], s[16:17]
	s_and_saveexec_b64 s[20:21], s[18:19]
	s_cbranch_execz .LBB1115_763
; %bb.754:
	v_mul_lo_u32 v30, v23, v6
	v_mul_lo_u32 v31, v22, v7
	v_mad_u64_u32 v[2:3], s[12:13], v22, v6, 0
	v_add3_u32 v3, v3, v31, v30
	v_mul_lo_u32 v32, v25, v6
	v_mul_lo_u32 v33, v24, v7
	v_mad_u64_u32 v[30:31], s[12:13], v24, v6, 0
	v_add3_u32 v31, v31, v33, v32
	v_lshl_add_u64 v[2:3], v[2:3], 1, v[8:9]
	v_lshl_add_u64 v[30:31], v[30:31], 1, v[8:9]
	v_mov_b64_e32 v[32:33], v[6:7]
                                        ; implicit-def: $sgpr40_sgpr41
                                        ; implicit-def: $sgpr42_sgpr43
                                        ; implicit-def: $sgpr44_sgpr45
                                        ; implicit-def: $sgpr46_sgpr47
                                        ; implicit-def: $sgpr56_sgpr57
	s_branch .LBB1115_756
.LBB1115_755:                           ;   in Loop: Header=BB1115_756 Depth=1
	s_or_b64 exec, exec, s[56:57]
	s_and_b64 s[12:13], exec, s[12:13]
	s_or_b64 s[28:29], s[12:13], s[28:29]
	s_andn2_b64 s[12:13], s[42:43], exec
	s_and_b64 s[42:43], s[44:45], exec
	s_or_b64 s[42:43], s[12:13], s[42:43]
	s_andn2_b64 s[12:13], s[40:41], exec
	s_and_b64 s[40:41], s[46:47], exec
	s_or_b64 s[40:41], s[12:13], s[40:41]
	s_mov_b64 s[56:57], s[46:47]
	s_andn2_b64 exec, exec, s[28:29]
	s_cbranch_execz .LBB1115_760
.LBB1115_756:                           ; =>This Inner Loop Header: Depth=1
	flat_load_ushort v37, v[30:31]
	flat_load_ushort v38, v[2:3]
	s_mov_b64 s[58:59], 0
	s_or_b64 s[46:47], s[46:47], exec
	s_waitcnt vmcnt(0) lgkmcnt(0)
	v_lshlrev_b32_e32 v37, 16, v37
	v_lshlrev_b32_e32 v38, 16, v38
	v_cmp_nlt_f32_e64 s[12:13], v37, v38
	s_and_saveexec_b64 s[60:61], s[12:13]
; %bb.757:                              ;   in Loop: Header=BB1115_756 Depth=1
	v_cmp_ngt_f32_e64 s[12:13], v37, v38
	s_and_b64 s[56:57], s[12:13], s[56:57]
	s_andn2_b64 s[46:47], s[46:47], exec
	s_and_b64 s[56:57], s[56:57], exec
	s_or_b64 s[46:47], s[46:47], s[56:57]
	s_and_b64 s[58:59], s[12:13], exec
; %bb.758:                              ;   in Loop: Header=BB1115_756 Depth=1
	s_or_b64 exec, exec, s[60:61]
	s_mov_b64 s[12:13], -1
	s_or_b64 s[44:45], s[44:45], exec
	s_and_saveexec_b64 s[56:57], s[58:59]
	s_cbranch_execz .LBB1115_755
; %bb.759:                              ;   in Loop: Header=BB1115_756 Depth=1
	v_lshl_add_u64 v[32:33], v[32:33], 0, -1
	v_cmp_eq_u64_e64 s[12:13], 0, v[32:33]
	v_lshl_add_u64 v[2:3], v[2:3], 0, 2
	v_lshl_add_u64 v[30:31], v[30:31], 0, 2
	s_andn2_b64 s[44:45], s[44:45], exec
	s_orn2_b64 s[12:13], s[12:13], exec
	s_branch .LBB1115_755
.LBB1115_760:
	s_or_b64 exec, exec, s[28:29]
	s_and_saveexec_b64 s[12:13], s[42:43]
	s_xor_b64 s[12:13], exec, s[12:13]
; %bb.761:
	v_cndmask_b32_e64 v3, v25, v23, s[40:41]
	v_cndmask_b32_e64 v2, v24, v22, s[40:41]
	;; [unrolled: 1-line block ×4, first 2 shown]
	v_mov_b64_e32 v[24:25], v[2:3]
; %bb.762:
	s_or_b64 exec, exec, s[12:13]
.LBB1115_763:
	s_or_b64 exec, exec, s[20:21]
	v_cmp_lt_u32_e64 s[12:13], 3, v35
	s_xor_b64 s[28:29], s[8:9], -1
	v_add_u32_e32 v65, 0x800, v36
	v_add_u32_e32 v66, 8, v64
	;; [unrolled: 1-line block ×8, first 2 shown]
	s_and_b64 s[20:21], s[12:13], s[28:29]
	s_and_saveexec_b64 s[40:41], s[20:21]
	s_cbranch_execz .LBB1115_773
; %bb.764:
	v_mul_lo_u32 v30, v19, v6
	v_mul_lo_u32 v31, v18, v7
	v_mad_u64_u32 v[2:3], s[12:13], v18, v6, 0
	v_add3_u32 v3, v3, v31, v30
	v_mul_lo_u32 v32, v21, v6
	v_mul_lo_u32 v33, v20, v7
	v_mad_u64_u32 v[30:31], s[12:13], v20, v6, 0
	v_add3_u32 v31, v31, v33, v32
	v_lshl_add_u64 v[2:3], v[2:3], 1, v[8:9]
	v_lshl_add_u64 v[30:31], v[30:31], 1, v[8:9]
	s_mov_b64 s[44:45], 0
	v_mov_b64_e32 v[32:33], v[6:7]
                                        ; implicit-def: $sgpr42_sgpr43
                                        ; implicit-def: $sgpr46_sgpr47
                                        ; implicit-def: $sgpr56_sgpr57
                                        ; implicit-def: $sgpr58_sgpr59
                                        ; implicit-def: $sgpr60_sgpr61
	s_branch .LBB1115_766
.LBB1115_765:                           ;   in Loop: Header=BB1115_766 Depth=1
	s_or_b64 exec, exec, s[60:61]
	s_and_b64 s[12:13], exec, s[12:13]
	s_or_b64 s[44:45], s[12:13], s[44:45]
	s_andn2_b64 s[12:13], s[46:47], exec
	s_and_b64 s[46:47], s[56:57], exec
	s_or_b64 s[46:47], s[12:13], s[46:47]
	s_andn2_b64 s[12:13], s[42:43], exec
	s_and_b64 s[42:43], s[58:59], exec
	s_or_b64 s[42:43], s[12:13], s[42:43]
	s_mov_b64 s[60:61], s[58:59]
	s_andn2_b64 exec, exec, s[44:45]
	s_cbranch_execz .LBB1115_770
.LBB1115_766:                           ; =>This Inner Loop Header: Depth=1
	flat_load_ushort v36, v[30:31]
	flat_load_ushort v37, v[2:3]
	s_or_b64 s[58:59], s[58:59], exec
	s_mov_b64 s[62:63], 0
	s_waitcnt vmcnt(0) lgkmcnt(0)
	v_lshlrev_b32_e32 v36, 16, v36
	v_lshlrev_b32_e32 v37, 16, v37
	v_cmp_nlt_f32_e64 s[12:13], v36, v37
	s_and_saveexec_b64 s[72:73], s[12:13]
; %bb.767:                              ;   in Loop: Header=BB1115_766 Depth=1
	v_cmp_ngt_f32_e64 s[12:13], v36, v37
	s_and_b64 s[60:61], s[12:13], s[60:61]
	s_andn2_b64 s[58:59], s[58:59], exec
	s_and_b64 s[60:61], s[60:61], exec
	s_or_b64 s[58:59], s[58:59], s[60:61]
	s_and_b64 s[62:63], s[12:13], exec
; %bb.768:                              ;   in Loop: Header=BB1115_766 Depth=1
	s_or_b64 exec, exec, s[72:73]
	s_mov_b64 s[12:13], -1
	s_or_b64 s[56:57], s[56:57], exec
	s_and_saveexec_b64 s[60:61], s[62:63]
	s_cbranch_execz .LBB1115_765
; %bb.769:                              ;   in Loop: Header=BB1115_766 Depth=1
	v_lshl_add_u64 v[32:33], v[32:33], 0, -1
	v_cmp_eq_u64_e64 s[12:13], 0, v[32:33]
	v_lshl_add_u64 v[2:3], v[2:3], 0, 2
	v_lshl_add_u64 v[30:31], v[30:31], 0, 2
	s_andn2_b64 s[56:57], s[56:57], exec
	s_orn2_b64 s[12:13], s[12:13], exec
	s_branch .LBB1115_765
.LBB1115_770:
	s_or_b64 exec, exec, s[44:45]
	s_and_saveexec_b64 s[12:13], s[46:47]
	s_xor_b64 s[12:13], exec, s[12:13]
; %bb.771:
	v_cndmask_b32_e64 v3, v19, v21, s[42:43]
	v_cndmask_b32_e64 v2, v18, v20, s[42:43]
	;; [unrolled: 1-line block ×4, first 2 shown]
	v_mov_b64_e32 v[18:19], v[2:3]
; %bb.772:
	s_or_b64 exec, exec, s[12:13]
.LBB1115_773:
	s_or_b64 exec, exec, s[40:41]
	v_cmp_lt_u32_e64 s[12:13], 5, v35
	s_and_b64 s[40:41], s[12:13], s[28:29]
	s_and_saveexec_b64 s[42:43], s[40:41]
	s_cbranch_execz .LBB1115_783
; %bb.774:
	v_mul_lo_u32 v30, v15, v6
	v_mul_lo_u32 v31, v14, v7
	v_mad_u64_u32 v[2:3], s[12:13], v14, v6, 0
	v_add3_u32 v3, v3, v31, v30
	v_mul_lo_u32 v32, v17, v6
	v_mul_lo_u32 v33, v16, v7
	v_mad_u64_u32 v[30:31], s[12:13], v16, v6, 0
	v_add3_u32 v31, v31, v33, v32
	v_lshl_add_u64 v[2:3], v[2:3], 1, v[8:9]
	v_lshl_add_u64 v[30:31], v[30:31], 1, v[8:9]
	s_mov_b64 s[46:47], 0
	v_mov_b64_e32 v[32:33], v[6:7]
                                        ; implicit-def: $sgpr44_sgpr45
                                        ; implicit-def: $sgpr56_sgpr57
                                        ; implicit-def: $sgpr58_sgpr59
                                        ; implicit-def: $sgpr60_sgpr61
                                        ; implicit-def: $sgpr62_sgpr63
	s_branch .LBB1115_776
.LBB1115_775:                           ;   in Loop: Header=BB1115_776 Depth=1
	s_or_b64 exec, exec, s[62:63]
	s_and_b64 s[12:13], exec, s[12:13]
	s_or_b64 s[46:47], s[12:13], s[46:47]
	s_andn2_b64 s[12:13], s[56:57], exec
	s_and_b64 s[56:57], s[58:59], exec
	s_or_b64 s[56:57], s[12:13], s[56:57]
	s_andn2_b64 s[12:13], s[44:45], exec
	s_and_b64 s[44:45], s[60:61], exec
	s_or_b64 s[44:45], s[12:13], s[44:45]
	s_mov_b64 s[62:63], s[60:61]
	s_andn2_b64 exec, exec, s[46:47]
	s_cbranch_execz .LBB1115_780
.LBB1115_776:                           ; =>This Inner Loop Header: Depth=1
	flat_load_ushort v36, v[30:31]
	flat_load_ushort v37, v[2:3]
	s_or_b64 s[60:61], s[60:61], exec
	s_mov_b64 s[72:73], 0
	s_waitcnt vmcnt(0) lgkmcnt(0)
	v_lshlrev_b32_e32 v36, 16, v36
	v_lshlrev_b32_e32 v37, 16, v37
	v_cmp_nlt_f32_e64 s[12:13], v36, v37
	s_and_saveexec_b64 s[74:75], s[12:13]
; %bb.777:                              ;   in Loop: Header=BB1115_776 Depth=1
	v_cmp_ngt_f32_e64 s[12:13], v36, v37
	s_and_b64 s[62:63], s[12:13], s[62:63]
	s_andn2_b64 s[60:61], s[60:61], exec
	s_and_b64 s[62:63], s[62:63], exec
	s_or_b64 s[60:61], s[60:61], s[62:63]
	s_and_b64 s[72:73], s[12:13], exec
; %bb.778:                              ;   in Loop: Header=BB1115_776 Depth=1
	s_or_b64 exec, exec, s[74:75]
	s_mov_b64 s[12:13], -1
	s_or_b64 s[58:59], s[58:59], exec
	s_and_saveexec_b64 s[62:63], s[72:73]
	s_cbranch_execz .LBB1115_775
; %bb.779:                              ;   in Loop: Header=BB1115_776 Depth=1
	v_lshl_add_u64 v[32:33], v[32:33], 0, -1
	v_cmp_eq_u64_e64 s[12:13], 0, v[32:33]
	v_lshl_add_u64 v[2:3], v[2:3], 0, 2
	v_lshl_add_u64 v[30:31], v[30:31], 0, 2
	s_andn2_b64 s[58:59], s[58:59], exec
	s_orn2_b64 s[12:13], s[12:13], exec
	s_branch .LBB1115_775
.LBB1115_780:
	s_or_b64 exec, exec, s[46:47]
	s_and_saveexec_b64 s[12:13], s[56:57]
	s_xor_b64 s[12:13], exec, s[12:13]
; %bb.781:
	v_cndmask_b32_e64 v3, v15, v17, s[44:45]
	v_cndmask_b32_e64 v2, v14, v16, s[44:45]
	;; [unrolled: 1-line block ×4, first 2 shown]
	v_mov_b64_e32 v[14:15], v[2:3]
; %bb.782:
	s_or_b64 exec, exec, s[12:13]
.LBB1115_783:
	s_or_b64 exec, exec, s[42:43]
	v_cmp_lt_u32_e64 s[12:13], 7, v35
	s_and_b64 s[42:43], s[12:13], s[28:29]
	s_and_saveexec_b64 s[44:45], s[42:43]
	s_cbranch_execz .LBB1115_793
; %bb.784:
	v_mul_lo_u32 v30, v11, v6
	v_mul_lo_u32 v31, v10, v7
	v_mad_u64_u32 v[2:3], s[12:13], v10, v6, 0
	v_add3_u32 v3, v3, v31, v30
	v_mul_lo_u32 v32, v13, v6
	v_mul_lo_u32 v33, v12, v7
	v_mad_u64_u32 v[30:31], s[12:13], v12, v6, 0
	v_add3_u32 v31, v31, v33, v32
	v_lshl_add_u64 v[2:3], v[2:3], 1, v[8:9]
	v_lshl_add_u64 v[30:31], v[30:31], 1, v[8:9]
	s_mov_b64 s[56:57], 0
	v_mov_b64_e32 v[32:33], v[6:7]
                                        ; implicit-def: $sgpr46_sgpr47
                                        ; implicit-def: $sgpr58_sgpr59
                                        ; implicit-def: $sgpr60_sgpr61
                                        ; implicit-def: $sgpr62_sgpr63
                                        ; implicit-def: $sgpr72_sgpr73
	s_branch .LBB1115_786
.LBB1115_785:                           ;   in Loop: Header=BB1115_786 Depth=1
	s_or_b64 exec, exec, s[72:73]
	s_and_b64 s[12:13], exec, s[12:13]
	s_or_b64 s[56:57], s[12:13], s[56:57]
	s_andn2_b64 s[12:13], s[58:59], exec
	s_and_b64 s[58:59], s[60:61], exec
	s_or_b64 s[58:59], s[12:13], s[58:59]
	s_andn2_b64 s[12:13], s[46:47], exec
	s_and_b64 s[46:47], s[62:63], exec
	s_or_b64 s[46:47], s[12:13], s[46:47]
	s_mov_b64 s[72:73], s[62:63]
	s_andn2_b64 exec, exec, s[56:57]
	s_cbranch_execz .LBB1115_790
.LBB1115_786:                           ; =>This Inner Loop Header: Depth=1
	flat_load_ushort v36, v[30:31]
	flat_load_ushort v37, v[2:3]
	s_or_b64 s[62:63], s[62:63], exec
	s_mov_b64 s[74:75], 0
	s_waitcnt vmcnt(0) lgkmcnt(0)
	v_lshlrev_b32_e32 v36, 16, v36
	v_lshlrev_b32_e32 v37, 16, v37
	v_cmp_nlt_f32_e64 s[12:13], v36, v37
	s_and_saveexec_b64 s[76:77], s[12:13]
; %bb.787:                              ;   in Loop: Header=BB1115_786 Depth=1
	v_cmp_ngt_f32_e64 s[12:13], v36, v37
	s_and_b64 s[72:73], s[12:13], s[72:73]
	s_andn2_b64 s[62:63], s[62:63], exec
	s_and_b64 s[72:73], s[72:73], exec
	s_or_b64 s[62:63], s[62:63], s[72:73]
	s_and_b64 s[74:75], s[12:13], exec
; %bb.788:                              ;   in Loop: Header=BB1115_786 Depth=1
	s_or_b64 exec, exec, s[76:77]
	s_mov_b64 s[12:13], -1
	s_or_b64 s[60:61], s[60:61], exec
	s_and_saveexec_b64 s[72:73], s[74:75]
	s_cbranch_execz .LBB1115_785
; %bb.789:                              ;   in Loop: Header=BB1115_786 Depth=1
	v_lshl_add_u64 v[32:33], v[32:33], 0, -1
	v_cmp_eq_u64_e64 s[12:13], 0, v[32:33]
	v_lshl_add_u64 v[2:3], v[2:3], 0, 2
	v_lshl_add_u64 v[30:31], v[30:31], 0, 2
	s_andn2_b64 s[60:61], s[60:61], exec
	s_orn2_b64 s[12:13], s[12:13], exec
	s_branch .LBB1115_785
.LBB1115_790:
	s_or_b64 exec, exec, s[56:57]
	s_and_saveexec_b64 s[12:13], s[58:59]
	s_xor_b64 s[12:13], exec, s[12:13]
; %bb.791:
	v_cndmask_b32_e64 v3, v11, v13, s[46:47]
	v_cndmask_b32_e64 v2, v10, v12, s[46:47]
	v_cndmask_b32_e64 v13, v13, v11, s[46:47]
	v_cndmask_b32_e64 v12, v12, v10, s[46:47]
	v_mov_b64_e32 v[10:11], v[2:3]
; %bb.792:
	s_or_b64 exec, exec, s[12:13]
.LBB1115_793:
	s_or_b64 exec, exec, s[44:45]
	v_cmp_lt_u32_e64 s[12:13], 2, v35
	s_and_b64 s[44:45], s[12:13], s[28:29]
	s_and_saveexec_b64 s[12:13], s[44:45]
	s_xor_b64 s[46:47], exec, s[12:13]
	s_cbranch_execz .LBB1115_803
; %bb.794:
	v_mul_lo_u32 v30, v25, v6
	v_mul_lo_u32 v31, v24, v7
	v_mad_u64_u32 v[2:3], s[12:13], v24, v6, 0
	v_add3_u32 v3, v3, v31, v30
	v_mul_lo_u32 v32, v19, v6
	v_mul_lo_u32 v33, v18, v7
	v_mad_u64_u32 v[30:31], s[12:13], v18, v6, 0
	v_add3_u32 v31, v31, v33, v32
	v_lshl_add_u64 v[2:3], v[2:3], 1, v[8:9]
	v_lshl_add_u64 v[30:31], v[30:31], 1, v[8:9]
	s_mov_b64 s[58:59], 0
	v_mov_b64_e32 v[32:33], v[6:7]
                                        ; implicit-def: $sgpr56_sgpr57
                                        ; implicit-def: $sgpr60_sgpr61
                                        ; implicit-def: $sgpr62_sgpr63
                                        ; implicit-def: $sgpr72_sgpr73
                                        ; implicit-def: $sgpr74_sgpr75
	s_branch .LBB1115_796
.LBB1115_795:                           ;   in Loop: Header=BB1115_796 Depth=1
	s_or_b64 exec, exec, s[74:75]
	s_and_b64 s[12:13], exec, s[12:13]
	s_or_b64 s[58:59], s[12:13], s[58:59]
	s_andn2_b64 s[12:13], s[60:61], exec
	s_and_b64 s[60:61], s[62:63], exec
	s_or_b64 s[60:61], s[12:13], s[60:61]
	s_andn2_b64 s[12:13], s[56:57], exec
	s_and_b64 s[56:57], s[72:73], exec
	s_or_b64 s[56:57], s[12:13], s[56:57]
	s_mov_b64 s[74:75], s[72:73]
	s_andn2_b64 exec, exec, s[58:59]
	s_cbranch_execz .LBB1115_800
.LBB1115_796:                           ; =>This Inner Loop Header: Depth=1
	flat_load_ushort v36, v[30:31]
	flat_load_ushort v37, v[2:3]
	s_or_b64 s[72:73], s[72:73], exec
	s_mov_b64 s[76:77], 0
	s_waitcnt vmcnt(0) lgkmcnt(0)
	v_lshlrev_b32_e32 v36, 16, v36
	v_lshlrev_b32_e32 v37, 16, v37
	v_cmp_nlt_f32_e64 s[12:13], v36, v37
	s_and_saveexec_b64 s[78:79], s[12:13]
; %bb.797:                              ;   in Loop: Header=BB1115_796 Depth=1
	v_cmp_ngt_f32_e64 s[12:13], v36, v37
	s_and_b64 s[74:75], s[12:13], s[74:75]
	s_andn2_b64 s[72:73], s[72:73], exec
	s_and_b64 s[74:75], s[74:75], exec
	s_or_b64 s[72:73], s[72:73], s[74:75]
	s_and_b64 s[76:77], s[12:13], exec
; %bb.798:                              ;   in Loop: Header=BB1115_796 Depth=1
	s_or_b64 exec, exec, s[78:79]
	s_mov_b64 s[12:13], -1
	s_or_b64 s[62:63], s[62:63], exec
	s_and_saveexec_b64 s[74:75], s[76:77]
	s_cbranch_execz .LBB1115_795
; %bb.799:                              ;   in Loop: Header=BB1115_796 Depth=1
	v_lshl_add_u64 v[32:33], v[32:33], 0, -1
	v_cmp_eq_u64_e64 s[12:13], 0, v[32:33]
	v_lshl_add_u64 v[2:3], v[2:3], 0, 2
	v_lshl_add_u64 v[30:31], v[30:31], 0, 2
	s_andn2_b64 s[62:63], s[62:63], exec
	s_orn2_b64 s[12:13], s[12:13], exec
	s_branch .LBB1115_795
.LBB1115_800:
	s_or_b64 exec, exec, s[58:59]
	s_and_saveexec_b64 s[12:13], s[60:61]
	s_xor_b64 s[12:13], exec, s[12:13]
; %bb.801:
	v_cndmask_b32_e64 v3, v25, v19, s[56:57]
	v_cndmask_b32_e64 v2, v24, v18, s[56:57]
	;; [unrolled: 1-line block ×4, first 2 shown]
	v_mov_b64_e32 v[24:25], v[2:3]
; %bb.802:
	s_or_b64 exec, exec, s[12:13]
.LBB1115_803:
	s_or_b64 exec, exec, s[46:47]
	v_cmp_lt_u32_e64 s[12:13], 4, v35
	s_and_b64 s[46:47], s[12:13], s[28:29]
	s_and_saveexec_b64 s[56:57], s[46:47]
	s_cbranch_execz .LBB1115_813
; %bb.804:
	v_mul_lo_u32 v30, v21, v6
	v_mul_lo_u32 v31, v20, v7
	v_mad_u64_u32 v[2:3], s[12:13], v20, v6, 0
	v_add3_u32 v3, v3, v31, v30
	v_mul_lo_u32 v32, v15, v6
	v_mul_lo_u32 v33, v14, v7
	v_mad_u64_u32 v[30:31], s[12:13], v14, v6, 0
	v_add3_u32 v31, v31, v33, v32
	v_lshl_add_u64 v[2:3], v[2:3], 1, v[8:9]
	v_lshl_add_u64 v[30:31], v[30:31], 1, v[8:9]
	s_mov_b64 s[60:61], 0
	v_mov_b64_e32 v[32:33], v[6:7]
                                        ; implicit-def: $sgpr58_sgpr59
                                        ; implicit-def: $sgpr62_sgpr63
                                        ; implicit-def: $sgpr72_sgpr73
                                        ; implicit-def: $sgpr74_sgpr75
                                        ; implicit-def: $sgpr76_sgpr77
	s_branch .LBB1115_806
.LBB1115_805:                           ;   in Loop: Header=BB1115_806 Depth=1
	s_or_b64 exec, exec, s[76:77]
	s_and_b64 s[12:13], exec, s[12:13]
	s_or_b64 s[60:61], s[12:13], s[60:61]
	s_andn2_b64 s[12:13], s[62:63], exec
	s_and_b64 s[62:63], s[72:73], exec
	s_or_b64 s[62:63], s[12:13], s[62:63]
	s_andn2_b64 s[12:13], s[58:59], exec
	s_and_b64 s[58:59], s[74:75], exec
	s_or_b64 s[58:59], s[12:13], s[58:59]
	s_mov_b64 s[76:77], s[74:75]
	s_andn2_b64 exec, exec, s[60:61]
	s_cbranch_execz .LBB1115_810
.LBB1115_806:                           ; =>This Inner Loop Header: Depth=1
	flat_load_ushort v36, v[30:31]
	flat_load_ushort v37, v[2:3]
	s_or_b64 s[74:75], s[74:75], exec
	s_mov_b64 s[78:79], 0
	s_waitcnt vmcnt(0) lgkmcnt(0)
	v_lshlrev_b32_e32 v36, 16, v36
	v_lshlrev_b32_e32 v37, 16, v37
	v_cmp_nlt_f32_e64 s[12:13], v36, v37
	s_and_saveexec_b64 s[88:89], s[12:13]
; %bb.807:                              ;   in Loop: Header=BB1115_806 Depth=1
	v_cmp_ngt_f32_e64 s[12:13], v36, v37
	s_and_b64 s[76:77], s[12:13], s[76:77]
	s_andn2_b64 s[74:75], s[74:75], exec
	s_and_b64 s[76:77], s[76:77], exec
	s_or_b64 s[74:75], s[74:75], s[76:77]
	s_and_b64 s[78:79], s[12:13], exec
; %bb.808:                              ;   in Loop: Header=BB1115_806 Depth=1
	s_or_b64 exec, exec, s[88:89]
	s_mov_b64 s[12:13], -1
	s_or_b64 s[72:73], s[72:73], exec
	s_and_saveexec_b64 s[76:77], s[78:79]
	s_cbranch_execz .LBB1115_805
; %bb.809:                              ;   in Loop: Header=BB1115_806 Depth=1
	v_lshl_add_u64 v[32:33], v[32:33], 0, -1
	v_cmp_eq_u64_e64 s[12:13], 0, v[32:33]
	v_lshl_add_u64 v[2:3], v[2:3], 0, 2
	v_lshl_add_u64 v[30:31], v[30:31], 0, 2
	s_andn2_b64 s[72:73], s[72:73], exec
	s_orn2_b64 s[12:13], s[12:13], exec
	s_branch .LBB1115_805
.LBB1115_810:
	s_or_b64 exec, exec, s[60:61]
	s_and_saveexec_b64 s[12:13], s[62:63]
	s_xor_b64 s[12:13], exec, s[12:13]
; %bb.811:
	v_cndmask_b32_e64 v3, v21, v15, s[58:59]
	v_cndmask_b32_e64 v2, v20, v14, s[58:59]
	;; [unrolled: 1-line block ×4, first 2 shown]
	v_mov_b64_e32 v[20:21], v[2:3]
; %bb.812:
	s_or_b64 exec, exec, s[12:13]
.LBB1115_813:
	s_or_b64 exec, exec, s[56:57]
	v_cmp_lt_u32_e64 s[12:13], 6, v35
	s_and_b64 s[56:57], s[12:13], s[28:29]
	s_and_saveexec_b64 s[58:59], s[56:57]
	s_cbranch_execnz .LBB1115_835
; %bb.814:
	s_or_b64 exec, exec, s[58:59]
	s_and_saveexec_b64 s[58:59], s[18:19]
	s_cbranch_execnz .LBB1115_844
.LBB1115_815:
	s_or_b64 exec, exec, s[58:59]
	s_and_saveexec_b64 s[58:59], s[20:21]
	s_cbranch_execnz .LBB1115_853
.LBB1115_816:
	s_or_b64 exec, exec, s[58:59]
	s_and_saveexec_b64 s[58:59], s[40:41]
	s_cbranch_execnz .LBB1115_862
.LBB1115_817:
	s_or_b64 exec, exec, s[58:59]
	s_and_saveexec_b64 s[58:59], s[42:43]
	s_cbranch_execnz .LBB1115_871
.LBB1115_818:
	s_or_b64 exec, exec, s[58:59]
	s_and_saveexec_b64 s[58:59], s[44:45]
	s_cbranch_execnz .LBB1115_880
.LBB1115_819:
	s_or_b64 exec, exec, s[58:59]
	s_and_saveexec_b64 s[58:59], s[46:47]
	s_cbranch_execnz .LBB1115_889
.LBB1115_820:
	s_or_b64 exec, exec, s[58:59]
	s_and_saveexec_b64 s[58:59], s[56:57]
	s_cbranch_execnz .LBB1115_898
.LBB1115_821:
	s_or_b64 exec, exec, s[58:59]
	s_and_saveexec_b64 s[58:59], s[18:19]
	s_cbranch_execnz .LBB1115_907
.LBB1115_822:
	s_or_b64 exec, exec, s[58:59]
	s_and_saveexec_b64 s[58:59], s[20:21]
	s_cbranch_execnz .LBB1115_916
.LBB1115_823:
	s_or_b64 exec, exec, s[58:59]
	s_and_saveexec_b64 s[58:59], s[40:41]
	s_cbranch_execnz .LBB1115_925
.LBB1115_824:
	s_or_b64 exec, exec, s[58:59]
	s_and_saveexec_b64 s[58:59], s[42:43]
	s_cbranch_execnz .LBB1115_934
.LBB1115_825:
	s_or_b64 exec, exec, s[58:59]
	s_and_saveexec_b64 s[58:59], s[44:45]
	s_cbranch_execnz .LBB1115_943
.LBB1115_826:
	s_or_b64 exec, exec, s[58:59]
	s_and_saveexec_b64 s[58:59], s[46:47]
	s_cbranch_execnz .LBB1115_952
.LBB1115_827:
	s_or_b64 exec, exec, s[58:59]
	s_and_saveexec_b64 s[58:59], s[56:57]
	s_cbranch_execnz .LBB1115_961
.LBB1115_828:
	s_or_b64 exec, exec, s[58:59]
	s_and_saveexec_b64 s[58:59], s[18:19]
	s_cbranch_execnz .LBB1115_970
.LBB1115_829:
	s_or_b64 exec, exec, s[58:59]
	s_and_saveexec_b64 s[18:19], s[20:21]
	s_cbranch_execnz .LBB1115_979
.LBB1115_830:
	s_or_b64 exec, exec, s[18:19]
	s_and_saveexec_b64 s[18:19], s[40:41]
	s_cbranch_execnz .LBB1115_988
.LBB1115_831:
	s_or_b64 exec, exec, s[18:19]
	s_and_saveexec_b64 s[18:19], s[42:43]
	s_cbranch_execnz .LBB1115_997
.LBB1115_832:
	s_or_b64 exec, exec, s[18:19]
	s_and_saveexec_b64 s[18:19], s[44:45]
	s_cbranch_execnz .LBB1115_1006
.LBB1115_833:
	s_or_b64 exec, exec, s[18:19]
	s_and_saveexec_b64 s[18:19], s[46:47]
	s_cbranch_execnz .LBB1115_1015
.LBB1115_834:
	s_or_b64 exec, exec, s[18:19]
	s_and_saveexec_b64 s[18:19], s[56:57]
	s_cbranch_execnz .LBB1115_1024
	s_branch .LBB1115_1033
.LBB1115_835:
	v_mul_lo_u32 v30, v17, v6
	v_mul_lo_u32 v31, v16, v7
	v_mad_u64_u32 v[2:3], s[12:13], v16, v6, 0
	v_add3_u32 v3, v3, v31, v30
	v_mul_lo_u32 v32, v11, v6
	v_mul_lo_u32 v33, v10, v7
	v_mad_u64_u32 v[30:31], s[12:13], v10, v6, 0
	v_add3_u32 v31, v31, v33, v32
	v_lshl_add_u64 v[2:3], v[2:3], 1, v[8:9]
	v_lshl_add_u64 v[30:31], v[30:31], 1, v[8:9]
	s_mov_b64 s[62:63], 0
	v_mov_b64_e32 v[32:33], v[6:7]
                                        ; implicit-def: $sgpr60_sgpr61
                                        ; implicit-def: $sgpr72_sgpr73
                                        ; implicit-def: $sgpr74_sgpr75
                                        ; implicit-def: $sgpr76_sgpr77
                                        ; implicit-def: $sgpr78_sgpr79
	s_branch .LBB1115_837
.LBB1115_836:                           ;   in Loop: Header=BB1115_837 Depth=1
	s_or_b64 exec, exec, s[78:79]
	s_and_b64 s[12:13], exec, s[12:13]
	s_or_b64 s[62:63], s[12:13], s[62:63]
	s_andn2_b64 s[12:13], s[72:73], exec
	s_and_b64 s[72:73], s[74:75], exec
	s_or_b64 s[72:73], s[12:13], s[72:73]
	s_andn2_b64 s[12:13], s[60:61], exec
	s_and_b64 s[60:61], s[76:77], exec
	s_or_b64 s[60:61], s[12:13], s[60:61]
	s_mov_b64 s[78:79], s[76:77]
	s_andn2_b64 exec, exec, s[62:63]
	s_cbranch_execz .LBB1115_841
.LBB1115_837:                           ; =>This Inner Loop Header: Depth=1
	flat_load_ushort v35, v[30:31]
	flat_load_ushort v36, v[2:3]
	s_or_b64 s[76:77], s[76:77], exec
	s_mov_b64 s[88:89], 0
	s_waitcnt vmcnt(0) lgkmcnt(0)
	v_lshlrev_b32_e32 v35, 16, v35
	v_lshlrev_b32_e32 v36, 16, v36
	v_cmp_nlt_f32_e64 s[12:13], v35, v36
	s_and_saveexec_b64 s[90:91], s[12:13]
; %bb.838:                              ;   in Loop: Header=BB1115_837 Depth=1
	v_cmp_ngt_f32_e64 s[12:13], v35, v36
	s_and_b64 s[78:79], s[12:13], s[78:79]
	s_andn2_b64 s[76:77], s[76:77], exec
	s_and_b64 s[78:79], s[78:79], exec
	s_or_b64 s[76:77], s[76:77], s[78:79]
	s_and_b64 s[88:89], s[12:13], exec
; %bb.839:                              ;   in Loop: Header=BB1115_837 Depth=1
	s_or_b64 exec, exec, s[90:91]
	s_mov_b64 s[12:13], -1
	s_or_b64 s[74:75], s[74:75], exec
	s_and_saveexec_b64 s[78:79], s[88:89]
	s_cbranch_execz .LBB1115_836
; %bb.840:                              ;   in Loop: Header=BB1115_837 Depth=1
	v_lshl_add_u64 v[32:33], v[32:33], 0, -1
	v_cmp_eq_u64_e64 s[12:13], 0, v[32:33]
	v_lshl_add_u64 v[2:3], v[2:3], 0, 2
	v_lshl_add_u64 v[30:31], v[30:31], 0, 2
	s_andn2_b64 s[74:75], s[74:75], exec
	s_orn2_b64 s[12:13], s[12:13], exec
	s_branch .LBB1115_836
.LBB1115_841:
	s_or_b64 exec, exec, s[62:63]
	s_and_saveexec_b64 s[12:13], s[72:73]
	s_xor_b64 s[12:13], exec, s[12:13]
; %bb.842:
	v_cndmask_b32_e64 v3, v17, v11, s[60:61]
	v_cndmask_b32_e64 v2, v16, v10, s[60:61]
	;; [unrolled: 1-line block ×4, first 2 shown]
	v_mov_b64_e32 v[16:17], v[2:3]
; %bb.843:
	s_or_b64 exec, exec, s[12:13]
	s_or_b64 exec, exec, s[58:59]
	s_and_saveexec_b64 s[58:59], s[18:19]
	s_cbranch_execz .LBB1115_815
.LBB1115_844:
	v_mul_lo_u32 v30, v23, v6
	v_mul_lo_u32 v31, v22, v7
	v_mad_u64_u32 v[2:3], s[12:13], v22, v6, 0
	v_add3_u32 v3, v3, v31, v30
	v_mul_lo_u32 v32, v25, v6
	v_mul_lo_u32 v33, v24, v7
	v_mad_u64_u32 v[30:31], s[12:13], v24, v6, 0
	v_add3_u32 v31, v31, v33, v32
	v_lshl_add_u64 v[2:3], v[2:3], 1, v[8:9]
	v_lshl_add_u64 v[30:31], v[30:31], 1, v[8:9]
	s_mov_b64 s[62:63], 0
	v_mov_b64_e32 v[32:33], v[6:7]
                                        ; implicit-def: $sgpr60_sgpr61
                                        ; implicit-def: $sgpr72_sgpr73
                                        ; implicit-def: $sgpr74_sgpr75
                                        ; implicit-def: $sgpr76_sgpr77
                                        ; implicit-def: $sgpr78_sgpr79
	s_branch .LBB1115_846
.LBB1115_845:                           ;   in Loop: Header=BB1115_846 Depth=1
	s_or_b64 exec, exec, s[78:79]
	s_and_b64 s[12:13], exec, s[12:13]
	s_or_b64 s[62:63], s[12:13], s[62:63]
	s_andn2_b64 s[12:13], s[72:73], exec
	s_and_b64 s[72:73], s[74:75], exec
	s_or_b64 s[72:73], s[12:13], s[72:73]
	s_andn2_b64 s[12:13], s[60:61], exec
	s_and_b64 s[60:61], s[76:77], exec
	s_or_b64 s[60:61], s[12:13], s[60:61]
	s_mov_b64 s[78:79], s[76:77]
	s_andn2_b64 exec, exec, s[62:63]
	s_cbranch_execz .LBB1115_850
.LBB1115_846:                           ; =>This Inner Loop Header: Depth=1
	flat_load_ushort v35, v[30:31]
	flat_load_ushort v36, v[2:3]
	s_or_b64 s[76:77], s[76:77], exec
	s_mov_b64 s[88:89], 0
	s_waitcnt vmcnt(0) lgkmcnt(0)
	v_lshlrev_b32_e32 v35, 16, v35
	v_lshlrev_b32_e32 v36, 16, v36
	v_cmp_nlt_f32_e64 s[12:13], v35, v36
	s_and_saveexec_b64 s[90:91], s[12:13]
; %bb.847:                              ;   in Loop: Header=BB1115_846 Depth=1
	v_cmp_ngt_f32_e64 s[12:13], v35, v36
	s_and_b64 s[78:79], s[12:13], s[78:79]
	s_andn2_b64 s[76:77], s[76:77], exec
	s_and_b64 s[78:79], s[78:79], exec
	s_or_b64 s[76:77], s[76:77], s[78:79]
	s_and_b64 s[88:89], s[12:13], exec
; %bb.848:                              ;   in Loop: Header=BB1115_846 Depth=1
	s_or_b64 exec, exec, s[90:91]
	s_mov_b64 s[12:13], -1
	s_or_b64 s[74:75], s[74:75], exec
	s_and_saveexec_b64 s[78:79], s[88:89]
	s_cbranch_execz .LBB1115_845
; %bb.849:                              ;   in Loop: Header=BB1115_846 Depth=1
	v_lshl_add_u64 v[32:33], v[32:33], 0, -1
	v_cmp_eq_u64_e64 s[12:13], 0, v[32:33]
	v_lshl_add_u64 v[2:3], v[2:3], 0, 2
	v_lshl_add_u64 v[30:31], v[30:31], 0, 2
	s_andn2_b64 s[74:75], s[74:75], exec
	s_orn2_b64 s[12:13], s[12:13], exec
	s_branch .LBB1115_845
.LBB1115_850:
	s_or_b64 exec, exec, s[62:63]
	s_and_saveexec_b64 s[12:13], s[72:73]
	s_xor_b64 s[12:13], exec, s[12:13]
; %bb.851:
	v_cndmask_b32_e64 v3, v25, v23, s[60:61]
	v_cndmask_b32_e64 v2, v24, v22, s[60:61]
	v_cndmask_b32_e64 v23, v23, v25, s[60:61]
	v_cndmask_b32_e64 v22, v22, v24, s[60:61]
	v_mov_b64_e32 v[24:25], v[2:3]
; %bb.852:
	s_or_b64 exec, exec, s[12:13]
	s_or_b64 exec, exec, s[58:59]
	s_and_saveexec_b64 s[58:59], s[20:21]
	s_cbranch_execz .LBB1115_816
.LBB1115_853:
	v_mul_lo_u32 v30, v19, v6
	v_mul_lo_u32 v31, v18, v7
	v_mad_u64_u32 v[2:3], s[12:13], v18, v6, 0
	v_add3_u32 v3, v3, v31, v30
	v_mul_lo_u32 v32, v21, v6
	v_mul_lo_u32 v33, v20, v7
	v_mad_u64_u32 v[30:31], s[12:13], v20, v6, 0
	v_add3_u32 v31, v31, v33, v32
	v_lshl_add_u64 v[2:3], v[2:3], 1, v[8:9]
	v_lshl_add_u64 v[30:31], v[30:31], 1, v[8:9]
	s_mov_b64 s[62:63], 0
	v_mov_b64_e32 v[32:33], v[6:7]
                                        ; implicit-def: $sgpr60_sgpr61
                                        ; implicit-def: $sgpr72_sgpr73
                                        ; implicit-def: $sgpr74_sgpr75
                                        ; implicit-def: $sgpr76_sgpr77
                                        ; implicit-def: $sgpr78_sgpr79
	s_branch .LBB1115_855
.LBB1115_854:                           ;   in Loop: Header=BB1115_855 Depth=1
	s_or_b64 exec, exec, s[78:79]
	s_and_b64 s[12:13], exec, s[12:13]
	s_or_b64 s[62:63], s[12:13], s[62:63]
	s_andn2_b64 s[12:13], s[72:73], exec
	s_and_b64 s[72:73], s[74:75], exec
	s_or_b64 s[72:73], s[12:13], s[72:73]
	s_andn2_b64 s[12:13], s[60:61], exec
	s_and_b64 s[60:61], s[76:77], exec
	s_or_b64 s[60:61], s[12:13], s[60:61]
	s_mov_b64 s[78:79], s[76:77]
	s_andn2_b64 exec, exec, s[62:63]
	s_cbranch_execz .LBB1115_859
.LBB1115_855:                           ; =>This Inner Loop Header: Depth=1
	flat_load_ushort v35, v[30:31]
	flat_load_ushort v36, v[2:3]
	s_or_b64 s[76:77], s[76:77], exec
	s_mov_b64 s[88:89], 0
	s_waitcnt vmcnt(0) lgkmcnt(0)
	v_lshlrev_b32_e32 v35, 16, v35
	v_lshlrev_b32_e32 v36, 16, v36
	v_cmp_nlt_f32_e64 s[12:13], v35, v36
	s_and_saveexec_b64 s[90:91], s[12:13]
; %bb.856:                              ;   in Loop: Header=BB1115_855 Depth=1
	v_cmp_ngt_f32_e64 s[12:13], v35, v36
	s_and_b64 s[78:79], s[12:13], s[78:79]
	s_andn2_b64 s[76:77], s[76:77], exec
	s_and_b64 s[78:79], s[78:79], exec
	s_or_b64 s[76:77], s[76:77], s[78:79]
	s_and_b64 s[88:89], s[12:13], exec
; %bb.857:                              ;   in Loop: Header=BB1115_855 Depth=1
	s_or_b64 exec, exec, s[90:91]
	s_mov_b64 s[12:13], -1
	s_or_b64 s[74:75], s[74:75], exec
	s_and_saveexec_b64 s[78:79], s[88:89]
	s_cbranch_execz .LBB1115_854
; %bb.858:                              ;   in Loop: Header=BB1115_855 Depth=1
	v_lshl_add_u64 v[32:33], v[32:33], 0, -1
	v_cmp_eq_u64_e64 s[12:13], 0, v[32:33]
	v_lshl_add_u64 v[2:3], v[2:3], 0, 2
	v_lshl_add_u64 v[30:31], v[30:31], 0, 2
	s_andn2_b64 s[74:75], s[74:75], exec
	s_orn2_b64 s[12:13], s[12:13], exec
	s_branch .LBB1115_854
.LBB1115_859:
	s_or_b64 exec, exec, s[62:63]
	s_and_saveexec_b64 s[12:13], s[72:73]
	s_xor_b64 s[12:13], exec, s[12:13]
; %bb.860:
	v_cndmask_b32_e64 v3, v19, v21, s[60:61]
	v_cndmask_b32_e64 v2, v18, v20, s[60:61]
	;; [unrolled: 1-line block ×4, first 2 shown]
	v_mov_b64_e32 v[18:19], v[2:3]
; %bb.861:
	s_or_b64 exec, exec, s[12:13]
	s_or_b64 exec, exec, s[58:59]
	s_and_saveexec_b64 s[58:59], s[40:41]
	s_cbranch_execz .LBB1115_817
.LBB1115_862:
	v_mul_lo_u32 v30, v15, v6
	v_mul_lo_u32 v31, v14, v7
	v_mad_u64_u32 v[2:3], s[12:13], v14, v6, 0
	v_add3_u32 v3, v3, v31, v30
	v_mul_lo_u32 v32, v17, v6
	v_mul_lo_u32 v33, v16, v7
	v_mad_u64_u32 v[30:31], s[12:13], v16, v6, 0
	v_add3_u32 v31, v31, v33, v32
	v_lshl_add_u64 v[2:3], v[2:3], 1, v[8:9]
	v_lshl_add_u64 v[30:31], v[30:31], 1, v[8:9]
	s_mov_b64 s[62:63], 0
	v_mov_b64_e32 v[32:33], v[6:7]
                                        ; implicit-def: $sgpr60_sgpr61
                                        ; implicit-def: $sgpr72_sgpr73
                                        ; implicit-def: $sgpr74_sgpr75
                                        ; implicit-def: $sgpr76_sgpr77
                                        ; implicit-def: $sgpr78_sgpr79
	s_branch .LBB1115_864
.LBB1115_863:                           ;   in Loop: Header=BB1115_864 Depth=1
	s_or_b64 exec, exec, s[78:79]
	s_and_b64 s[12:13], exec, s[12:13]
	s_or_b64 s[62:63], s[12:13], s[62:63]
	s_andn2_b64 s[12:13], s[72:73], exec
	s_and_b64 s[72:73], s[74:75], exec
	s_or_b64 s[72:73], s[12:13], s[72:73]
	s_andn2_b64 s[12:13], s[60:61], exec
	s_and_b64 s[60:61], s[76:77], exec
	s_or_b64 s[60:61], s[12:13], s[60:61]
	s_mov_b64 s[78:79], s[76:77]
	s_andn2_b64 exec, exec, s[62:63]
	s_cbranch_execz .LBB1115_868
.LBB1115_864:                           ; =>This Inner Loop Header: Depth=1
	flat_load_ushort v35, v[30:31]
	flat_load_ushort v36, v[2:3]
	s_or_b64 s[76:77], s[76:77], exec
	s_mov_b64 s[88:89], 0
	s_waitcnt vmcnt(0) lgkmcnt(0)
	v_lshlrev_b32_e32 v35, 16, v35
	v_lshlrev_b32_e32 v36, 16, v36
	v_cmp_nlt_f32_e64 s[12:13], v35, v36
	s_and_saveexec_b64 s[90:91], s[12:13]
; %bb.865:                              ;   in Loop: Header=BB1115_864 Depth=1
	v_cmp_ngt_f32_e64 s[12:13], v35, v36
	s_and_b64 s[78:79], s[12:13], s[78:79]
	s_andn2_b64 s[76:77], s[76:77], exec
	s_and_b64 s[78:79], s[78:79], exec
	s_or_b64 s[76:77], s[76:77], s[78:79]
	s_and_b64 s[88:89], s[12:13], exec
; %bb.866:                              ;   in Loop: Header=BB1115_864 Depth=1
	s_or_b64 exec, exec, s[90:91]
	s_mov_b64 s[12:13], -1
	s_or_b64 s[74:75], s[74:75], exec
	s_and_saveexec_b64 s[78:79], s[88:89]
	s_cbranch_execz .LBB1115_863
; %bb.867:                              ;   in Loop: Header=BB1115_864 Depth=1
	v_lshl_add_u64 v[32:33], v[32:33], 0, -1
	v_cmp_eq_u64_e64 s[12:13], 0, v[32:33]
	v_lshl_add_u64 v[2:3], v[2:3], 0, 2
	v_lshl_add_u64 v[30:31], v[30:31], 0, 2
	s_andn2_b64 s[74:75], s[74:75], exec
	s_orn2_b64 s[12:13], s[12:13], exec
	s_branch .LBB1115_863
.LBB1115_868:
	s_or_b64 exec, exec, s[62:63]
	s_and_saveexec_b64 s[12:13], s[72:73]
	s_xor_b64 s[12:13], exec, s[12:13]
; %bb.869:
	v_cndmask_b32_e64 v3, v15, v17, s[60:61]
	v_cndmask_b32_e64 v2, v14, v16, s[60:61]
	;; [unrolled: 1-line block ×4, first 2 shown]
	v_mov_b64_e32 v[14:15], v[2:3]
; %bb.870:
	s_or_b64 exec, exec, s[12:13]
	s_or_b64 exec, exec, s[58:59]
	s_and_saveexec_b64 s[58:59], s[42:43]
	s_cbranch_execz .LBB1115_818
.LBB1115_871:
	v_mul_lo_u32 v30, v11, v6
	v_mul_lo_u32 v31, v10, v7
	v_mad_u64_u32 v[2:3], s[12:13], v10, v6, 0
	v_add3_u32 v3, v3, v31, v30
	v_mul_lo_u32 v32, v13, v6
	v_mul_lo_u32 v33, v12, v7
	v_mad_u64_u32 v[30:31], s[12:13], v12, v6, 0
	v_add3_u32 v31, v31, v33, v32
	v_lshl_add_u64 v[2:3], v[2:3], 1, v[8:9]
	v_lshl_add_u64 v[30:31], v[30:31], 1, v[8:9]
	s_mov_b64 s[62:63], 0
	v_mov_b64_e32 v[32:33], v[6:7]
                                        ; implicit-def: $sgpr60_sgpr61
                                        ; implicit-def: $sgpr72_sgpr73
                                        ; implicit-def: $sgpr74_sgpr75
                                        ; implicit-def: $sgpr76_sgpr77
                                        ; implicit-def: $sgpr78_sgpr79
	s_branch .LBB1115_873
.LBB1115_872:                           ;   in Loop: Header=BB1115_873 Depth=1
	s_or_b64 exec, exec, s[78:79]
	s_and_b64 s[12:13], exec, s[12:13]
	s_or_b64 s[62:63], s[12:13], s[62:63]
	s_andn2_b64 s[12:13], s[72:73], exec
	s_and_b64 s[72:73], s[74:75], exec
	s_or_b64 s[72:73], s[12:13], s[72:73]
	s_andn2_b64 s[12:13], s[60:61], exec
	s_and_b64 s[60:61], s[76:77], exec
	s_or_b64 s[60:61], s[12:13], s[60:61]
	s_mov_b64 s[78:79], s[76:77]
	s_andn2_b64 exec, exec, s[62:63]
	s_cbranch_execz .LBB1115_877
.LBB1115_873:                           ; =>This Inner Loop Header: Depth=1
	flat_load_ushort v35, v[30:31]
	flat_load_ushort v36, v[2:3]
	s_or_b64 s[76:77], s[76:77], exec
	s_mov_b64 s[88:89], 0
	s_waitcnt vmcnt(0) lgkmcnt(0)
	v_lshlrev_b32_e32 v35, 16, v35
	v_lshlrev_b32_e32 v36, 16, v36
	v_cmp_nlt_f32_e64 s[12:13], v35, v36
	s_and_saveexec_b64 s[90:91], s[12:13]
; %bb.874:                              ;   in Loop: Header=BB1115_873 Depth=1
	v_cmp_ngt_f32_e64 s[12:13], v35, v36
	s_and_b64 s[78:79], s[12:13], s[78:79]
	s_andn2_b64 s[76:77], s[76:77], exec
	s_and_b64 s[78:79], s[78:79], exec
	s_or_b64 s[76:77], s[76:77], s[78:79]
	s_and_b64 s[88:89], s[12:13], exec
; %bb.875:                              ;   in Loop: Header=BB1115_873 Depth=1
	s_or_b64 exec, exec, s[90:91]
	s_mov_b64 s[12:13], -1
	s_or_b64 s[74:75], s[74:75], exec
	s_and_saveexec_b64 s[78:79], s[88:89]
	s_cbranch_execz .LBB1115_872
; %bb.876:                              ;   in Loop: Header=BB1115_873 Depth=1
	v_lshl_add_u64 v[32:33], v[32:33], 0, -1
	v_cmp_eq_u64_e64 s[12:13], 0, v[32:33]
	v_lshl_add_u64 v[2:3], v[2:3], 0, 2
	v_lshl_add_u64 v[30:31], v[30:31], 0, 2
	s_andn2_b64 s[74:75], s[74:75], exec
	s_orn2_b64 s[12:13], s[12:13], exec
	s_branch .LBB1115_872
.LBB1115_877:
	s_or_b64 exec, exec, s[62:63]
	s_and_saveexec_b64 s[12:13], s[72:73]
	s_xor_b64 s[12:13], exec, s[12:13]
; %bb.878:
	v_cndmask_b32_e64 v3, v11, v13, s[60:61]
	v_cndmask_b32_e64 v2, v10, v12, s[60:61]
	;; [unrolled: 1-line block ×4, first 2 shown]
	v_mov_b64_e32 v[10:11], v[2:3]
; %bb.879:
	s_or_b64 exec, exec, s[12:13]
	s_or_b64 exec, exec, s[58:59]
	s_and_saveexec_b64 s[58:59], s[44:45]
	s_cbranch_execz .LBB1115_819
.LBB1115_880:
	v_mul_lo_u32 v30, v25, v6
	v_mul_lo_u32 v31, v24, v7
	v_mad_u64_u32 v[2:3], s[12:13], v24, v6, 0
	v_add3_u32 v3, v3, v31, v30
	v_mul_lo_u32 v32, v19, v6
	v_mul_lo_u32 v33, v18, v7
	v_mad_u64_u32 v[30:31], s[12:13], v18, v6, 0
	v_add3_u32 v31, v31, v33, v32
	v_lshl_add_u64 v[2:3], v[2:3], 1, v[8:9]
	v_lshl_add_u64 v[30:31], v[30:31], 1, v[8:9]
	s_mov_b64 s[62:63], 0
	v_mov_b64_e32 v[32:33], v[6:7]
                                        ; implicit-def: $sgpr60_sgpr61
                                        ; implicit-def: $sgpr72_sgpr73
                                        ; implicit-def: $sgpr74_sgpr75
                                        ; implicit-def: $sgpr76_sgpr77
                                        ; implicit-def: $sgpr78_sgpr79
	s_branch .LBB1115_882
.LBB1115_881:                           ;   in Loop: Header=BB1115_882 Depth=1
	s_or_b64 exec, exec, s[78:79]
	s_and_b64 s[12:13], exec, s[12:13]
	s_or_b64 s[62:63], s[12:13], s[62:63]
	s_andn2_b64 s[12:13], s[72:73], exec
	s_and_b64 s[72:73], s[74:75], exec
	s_or_b64 s[72:73], s[12:13], s[72:73]
	s_andn2_b64 s[12:13], s[60:61], exec
	s_and_b64 s[60:61], s[76:77], exec
	s_or_b64 s[60:61], s[12:13], s[60:61]
	s_mov_b64 s[78:79], s[76:77]
	s_andn2_b64 exec, exec, s[62:63]
	s_cbranch_execz .LBB1115_886
.LBB1115_882:                           ; =>This Inner Loop Header: Depth=1
	flat_load_ushort v35, v[30:31]
	flat_load_ushort v36, v[2:3]
	s_or_b64 s[76:77], s[76:77], exec
	s_mov_b64 s[88:89], 0
	s_waitcnt vmcnt(0) lgkmcnt(0)
	v_lshlrev_b32_e32 v35, 16, v35
	v_lshlrev_b32_e32 v36, 16, v36
	v_cmp_nlt_f32_e64 s[12:13], v35, v36
	s_and_saveexec_b64 s[90:91], s[12:13]
; %bb.883:                              ;   in Loop: Header=BB1115_882 Depth=1
	v_cmp_ngt_f32_e64 s[12:13], v35, v36
	s_and_b64 s[78:79], s[12:13], s[78:79]
	s_andn2_b64 s[76:77], s[76:77], exec
	s_and_b64 s[78:79], s[78:79], exec
	s_or_b64 s[76:77], s[76:77], s[78:79]
	s_and_b64 s[88:89], s[12:13], exec
; %bb.884:                              ;   in Loop: Header=BB1115_882 Depth=1
	s_or_b64 exec, exec, s[90:91]
	s_mov_b64 s[12:13], -1
	s_or_b64 s[74:75], s[74:75], exec
	s_and_saveexec_b64 s[78:79], s[88:89]
	s_cbranch_execz .LBB1115_881
; %bb.885:                              ;   in Loop: Header=BB1115_882 Depth=1
	v_lshl_add_u64 v[32:33], v[32:33], 0, -1
	v_cmp_eq_u64_e64 s[12:13], 0, v[32:33]
	v_lshl_add_u64 v[2:3], v[2:3], 0, 2
	v_lshl_add_u64 v[30:31], v[30:31], 0, 2
	s_andn2_b64 s[74:75], s[74:75], exec
	s_orn2_b64 s[12:13], s[12:13], exec
	s_branch .LBB1115_881
.LBB1115_886:
	s_or_b64 exec, exec, s[62:63]
	s_and_saveexec_b64 s[12:13], s[72:73]
	s_xor_b64 s[12:13], exec, s[12:13]
; %bb.887:
	v_cndmask_b32_e64 v3, v25, v19, s[60:61]
	v_cndmask_b32_e64 v2, v24, v18, s[60:61]
	;; [unrolled: 1-line block ×4, first 2 shown]
	v_mov_b64_e32 v[24:25], v[2:3]
; %bb.888:
	s_or_b64 exec, exec, s[12:13]
	s_or_b64 exec, exec, s[58:59]
	s_and_saveexec_b64 s[58:59], s[46:47]
	s_cbranch_execz .LBB1115_820
.LBB1115_889:
	v_mul_lo_u32 v30, v21, v6
	v_mul_lo_u32 v31, v20, v7
	v_mad_u64_u32 v[2:3], s[12:13], v20, v6, 0
	v_add3_u32 v3, v3, v31, v30
	v_mul_lo_u32 v32, v15, v6
	v_mul_lo_u32 v33, v14, v7
	v_mad_u64_u32 v[30:31], s[12:13], v14, v6, 0
	v_add3_u32 v31, v31, v33, v32
	v_lshl_add_u64 v[2:3], v[2:3], 1, v[8:9]
	v_lshl_add_u64 v[30:31], v[30:31], 1, v[8:9]
	s_mov_b64 s[62:63], 0
	v_mov_b64_e32 v[32:33], v[6:7]
                                        ; implicit-def: $sgpr60_sgpr61
                                        ; implicit-def: $sgpr72_sgpr73
                                        ; implicit-def: $sgpr74_sgpr75
                                        ; implicit-def: $sgpr76_sgpr77
                                        ; implicit-def: $sgpr78_sgpr79
	s_branch .LBB1115_891
.LBB1115_890:                           ;   in Loop: Header=BB1115_891 Depth=1
	s_or_b64 exec, exec, s[78:79]
	s_and_b64 s[12:13], exec, s[12:13]
	s_or_b64 s[62:63], s[12:13], s[62:63]
	s_andn2_b64 s[12:13], s[72:73], exec
	s_and_b64 s[72:73], s[74:75], exec
	s_or_b64 s[72:73], s[12:13], s[72:73]
	s_andn2_b64 s[12:13], s[60:61], exec
	s_and_b64 s[60:61], s[76:77], exec
	s_or_b64 s[60:61], s[12:13], s[60:61]
	s_mov_b64 s[78:79], s[76:77]
	s_andn2_b64 exec, exec, s[62:63]
	s_cbranch_execz .LBB1115_895
.LBB1115_891:                           ; =>This Inner Loop Header: Depth=1
	flat_load_ushort v35, v[30:31]
	flat_load_ushort v36, v[2:3]
	s_or_b64 s[76:77], s[76:77], exec
	s_mov_b64 s[88:89], 0
	s_waitcnt vmcnt(0) lgkmcnt(0)
	v_lshlrev_b32_e32 v35, 16, v35
	v_lshlrev_b32_e32 v36, 16, v36
	v_cmp_nlt_f32_e64 s[12:13], v35, v36
	s_and_saveexec_b64 s[90:91], s[12:13]
; %bb.892:                              ;   in Loop: Header=BB1115_891 Depth=1
	v_cmp_ngt_f32_e64 s[12:13], v35, v36
	s_and_b64 s[78:79], s[12:13], s[78:79]
	s_andn2_b64 s[76:77], s[76:77], exec
	s_and_b64 s[78:79], s[78:79], exec
	s_or_b64 s[76:77], s[76:77], s[78:79]
	s_and_b64 s[88:89], s[12:13], exec
; %bb.893:                              ;   in Loop: Header=BB1115_891 Depth=1
	s_or_b64 exec, exec, s[90:91]
	s_mov_b64 s[12:13], -1
	s_or_b64 s[74:75], s[74:75], exec
	s_and_saveexec_b64 s[78:79], s[88:89]
	s_cbranch_execz .LBB1115_890
; %bb.894:                              ;   in Loop: Header=BB1115_891 Depth=1
	v_lshl_add_u64 v[32:33], v[32:33], 0, -1
	v_cmp_eq_u64_e64 s[12:13], 0, v[32:33]
	v_lshl_add_u64 v[2:3], v[2:3], 0, 2
	v_lshl_add_u64 v[30:31], v[30:31], 0, 2
	s_andn2_b64 s[74:75], s[74:75], exec
	s_orn2_b64 s[12:13], s[12:13], exec
	s_branch .LBB1115_890
.LBB1115_895:
	s_or_b64 exec, exec, s[62:63]
	s_and_saveexec_b64 s[12:13], s[72:73]
	s_xor_b64 s[12:13], exec, s[12:13]
; %bb.896:
	v_cndmask_b32_e64 v3, v21, v15, s[60:61]
	v_cndmask_b32_e64 v2, v20, v14, s[60:61]
	;; [unrolled: 1-line block ×4, first 2 shown]
	v_mov_b64_e32 v[20:21], v[2:3]
; %bb.897:
	s_or_b64 exec, exec, s[12:13]
	s_or_b64 exec, exec, s[58:59]
	s_and_saveexec_b64 s[58:59], s[56:57]
	s_cbranch_execz .LBB1115_821
.LBB1115_898:
	v_mul_lo_u32 v30, v17, v6
	v_mul_lo_u32 v31, v16, v7
	v_mad_u64_u32 v[2:3], s[12:13], v16, v6, 0
	v_add3_u32 v3, v3, v31, v30
	v_mul_lo_u32 v32, v11, v6
	v_mul_lo_u32 v33, v10, v7
	v_mad_u64_u32 v[30:31], s[12:13], v10, v6, 0
	v_add3_u32 v31, v31, v33, v32
	v_lshl_add_u64 v[2:3], v[2:3], 1, v[8:9]
	v_lshl_add_u64 v[30:31], v[30:31], 1, v[8:9]
	s_mov_b64 s[62:63], 0
	v_mov_b64_e32 v[32:33], v[6:7]
                                        ; implicit-def: $sgpr60_sgpr61
                                        ; implicit-def: $sgpr72_sgpr73
                                        ; implicit-def: $sgpr74_sgpr75
                                        ; implicit-def: $sgpr76_sgpr77
                                        ; implicit-def: $sgpr78_sgpr79
	s_branch .LBB1115_900
.LBB1115_899:                           ;   in Loop: Header=BB1115_900 Depth=1
	s_or_b64 exec, exec, s[78:79]
	s_and_b64 s[12:13], exec, s[12:13]
	s_or_b64 s[62:63], s[12:13], s[62:63]
	s_andn2_b64 s[12:13], s[72:73], exec
	s_and_b64 s[72:73], s[74:75], exec
	s_or_b64 s[72:73], s[12:13], s[72:73]
	s_andn2_b64 s[12:13], s[60:61], exec
	s_and_b64 s[60:61], s[76:77], exec
	s_or_b64 s[60:61], s[12:13], s[60:61]
	s_mov_b64 s[78:79], s[76:77]
	s_andn2_b64 exec, exec, s[62:63]
	s_cbranch_execz .LBB1115_904
.LBB1115_900:                           ; =>This Inner Loop Header: Depth=1
	flat_load_ushort v35, v[30:31]
	flat_load_ushort v36, v[2:3]
	s_or_b64 s[76:77], s[76:77], exec
	s_mov_b64 s[88:89], 0
	s_waitcnt vmcnt(0) lgkmcnt(0)
	v_lshlrev_b32_e32 v35, 16, v35
	v_lshlrev_b32_e32 v36, 16, v36
	v_cmp_nlt_f32_e64 s[12:13], v35, v36
	s_and_saveexec_b64 s[90:91], s[12:13]
; %bb.901:                              ;   in Loop: Header=BB1115_900 Depth=1
	v_cmp_ngt_f32_e64 s[12:13], v35, v36
	s_and_b64 s[78:79], s[12:13], s[78:79]
	s_andn2_b64 s[76:77], s[76:77], exec
	s_and_b64 s[78:79], s[78:79], exec
	s_or_b64 s[76:77], s[76:77], s[78:79]
	s_and_b64 s[88:89], s[12:13], exec
; %bb.902:                              ;   in Loop: Header=BB1115_900 Depth=1
	s_or_b64 exec, exec, s[90:91]
	s_mov_b64 s[12:13], -1
	s_or_b64 s[74:75], s[74:75], exec
	s_and_saveexec_b64 s[78:79], s[88:89]
	s_cbranch_execz .LBB1115_899
; %bb.903:                              ;   in Loop: Header=BB1115_900 Depth=1
	v_lshl_add_u64 v[32:33], v[32:33], 0, -1
	v_cmp_eq_u64_e64 s[12:13], 0, v[32:33]
	v_lshl_add_u64 v[2:3], v[2:3], 0, 2
	v_lshl_add_u64 v[30:31], v[30:31], 0, 2
	s_andn2_b64 s[74:75], s[74:75], exec
	s_orn2_b64 s[12:13], s[12:13], exec
	s_branch .LBB1115_899
.LBB1115_904:
	s_or_b64 exec, exec, s[62:63]
	s_and_saveexec_b64 s[12:13], s[72:73]
	s_xor_b64 s[12:13], exec, s[12:13]
; %bb.905:
	v_cndmask_b32_e64 v3, v17, v11, s[60:61]
	v_cndmask_b32_e64 v2, v16, v10, s[60:61]
	;; [unrolled: 1-line block ×4, first 2 shown]
	v_mov_b64_e32 v[16:17], v[2:3]
; %bb.906:
	s_or_b64 exec, exec, s[12:13]
	s_or_b64 exec, exec, s[58:59]
	s_and_saveexec_b64 s[58:59], s[18:19]
	s_cbranch_execz .LBB1115_822
.LBB1115_907:
	v_mul_lo_u32 v30, v23, v6
	v_mul_lo_u32 v31, v22, v7
	v_mad_u64_u32 v[2:3], s[12:13], v22, v6, 0
	v_add3_u32 v3, v3, v31, v30
	v_mul_lo_u32 v32, v25, v6
	v_mul_lo_u32 v33, v24, v7
	v_mad_u64_u32 v[30:31], s[12:13], v24, v6, 0
	v_add3_u32 v31, v31, v33, v32
	v_lshl_add_u64 v[2:3], v[2:3], 1, v[8:9]
	v_lshl_add_u64 v[30:31], v[30:31], 1, v[8:9]
	s_mov_b64 s[62:63], 0
	v_mov_b64_e32 v[32:33], v[6:7]
                                        ; implicit-def: $sgpr60_sgpr61
                                        ; implicit-def: $sgpr72_sgpr73
                                        ; implicit-def: $sgpr74_sgpr75
                                        ; implicit-def: $sgpr76_sgpr77
                                        ; implicit-def: $sgpr78_sgpr79
	s_branch .LBB1115_909
.LBB1115_908:                           ;   in Loop: Header=BB1115_909 Depth=1
	s_or_b64 exec, exec, s[78:79]
	s_and_b64 s[12:13], exec, s[12:13]
	s_or_b64 s[62:63], s[12:13], s[62:63]
	s_andn2_b64 s[12:13], s[72:73], exec
	s_and_b64 s[72:73], s[74:75], exec
	s_or_b64 s[72:73], s[12:13], s[72:73]
	s_andn2_b64 s[12:13], s[60:61], exec
	s_and_b64 s[60:61], s[76:77], exec
	s_or_b64 s[60:61], s[12:13], s[60:61]
	s_mov_b64 s[78:79], s[76:77]
	s_andn2_b64 exec, exec, s[62:63]
	s_cbranch_execz .LBB1115_913
.LBB1115_909:                           ; =>This Inner Loop Header: Depth=1
	flat_load_ushort v35, v[30:31]
	flat_load_ushort v36, v[2:3]
	s_or_b64 s[76:77], s[76:77], exec
	s_mov_b64 s[88:89], 0
	s_waitcnt vmcnt(0) lgkmcnt(0)
	v_lshlrev_b32_e32 v35, 16, v35
	v_lshlrev_b32_e32 v36, 16, v36
	v_cmp_nlt_f32_e64 s[12:13], v35, v36
	s_and_saveexec_b64 s[90:91], s[12:13]
; %bb.910:                              ;   in Loop: Header=BB1115_909 Depth=1
	v_cmp_ngt_f32_e64 s[12:13], v35, v36
	s_and_b64 s[78:79], s[12:13], s[78:79]
	s_andn2_b64 s[76:77], s[76:77], exec
	s_and_b64 s[78:79], s[78:79], exec
	s_or_b64 s[76:77], s[76:77], s[78:79]
	s_and_b64 s[88:89], s[12:13], exec
; %bb.911:                              ;   in Loop: Header=BB1115_909 Depth=1
	s_or_b64 exec, exec, s[90:91]
	s_mov_b64 s[12:13], -1
	s_or_b64 s[74:75], s[74:75], exec
	s_and_saveexec_b64 s[78:79], s[88:89]
	s_cbranch_execz .LBB1115_908
; %bb.912:                              ;   in Loop: Header=BB1115_909 Depth=1
	v_lshl_add_u64 v[32:33], v[32:33], 0, -1
	v_cmp_eq_u64_e64 s[12:13], 0, v[32:33]
	v_lshl_add_u64 v[2:3], v[2:3], 0, 2
	v_lshl_add_u64 v[30:31], v[30:31], 0, 2
	s_andn2_b64 s[74:75], s[74:75], exec
	s_orn2_b64 s[12:13], s[12:13], exec
	s_branch .LBB1115_908
.LBB1115_913:
	s_or_b64 exec, exec, s[62:63]
	s_and_saveexec_b64 s[12:13], s[72:73]
	s_xor_b64 s[12:13], exec, s[12:13]
; %bb.914:
	v_cndmask_b32_e64 v3, v25, v23, s[60:61]
	v_cndmask_b32_e64 v2, v24, v22, s[60:61]
	;; [unrolled: 1-line block ×4, first 2 shown]
	v_mov_b64_e32 v[24:25], v[2:3]
; %bb.915:
	s_or_b64 exec, exec, s[12:13]
	s_or_b64 exec, exec, s[58:59]
	s_and_saveexec_b64 s[58:59], s[20:21]
	s_cbranch_execz .LBB1115_823
.LBB1115_916:
	v_mul_lo_u32 v30, v19, v6
	v_mul_lo_u32 v31, v18, v7
	v_mad_u64_u32 v[2:3], s[12:13], v18, v6, 0
	v_add3_u32 v3, v3, v31, v30
	v_mul_lo_u32 v32, v21, v6
	v_mul_lo_u32 v33, v20, v7
	v_mad_u64_u32 v[30:31], s[12:13], v20, v6, 0
	v_add3_u32 v31, v31, v33, v32
	v_lshl_add_u64 v[2:3], v[2:3], 1, v[8:9]
	v_lshl_add_u64 v[30:31], v[30:31], 1, v[8:9]
	s_mov_b64 s[62:63], 0
	v_mov_b64_e32 v[32:33], v[6:7]
                                        ; implicit-def: $sgpr60_sgpr61
                                        ; implicit-def: $sgpr72_sgpr73
                                        ; implicit-def: $sgpr74_sgpr75
                                        ; implicit-def: $sgpr76_sgpr77
                                        ; implicit-def: $sgpr78_sgpr79
	s_branch .LBB1115_918
.LBB1115_917:                           ;   in Loop: Header=BB1115_918 Depth=1
	s_or_b64 exec, exec, s[78:79]
	s_and_b64 s[12:13], exec, s[12:13]
	s_or_b64 s[62:63], s[12:13], s[62:63]
	s_andn2_b64 s[12:13], s[72:73], exec
	s_and_b64 s[72:73], s[74:75], exec
	s_or_b64 s[72:73], s[12:13], s[72:73]
	s_andn2_b64 s[12:13], s[60:61], exec
	s_and_b64 s[60:61], s[76:77], exec
	s_or_b64 s[60:61], s[12:13], s[60:61]
	s_mov_b64 s[78:79], s[76:77]
	s_andn2_b64 exec, exec, s[62:63]
	s_cbranch_execz .LBB1115_922
.LBB1115_918:                           ; =>This Inner Loop Header: Depth=1
	flat_load_ushort v35, v[30:31]
	flat_load_ushort v36, v[2:3]
	s_or_b64 s[76:77], s[76:77], exec
	s_mov_b64 s[88:89], 0
	s_waitcnt vmcnt(0) lgkmcnt(0)
	v_lshlrev_b32_e32 v35, 16, v35
	v_lshlrev_b32_e32 v36, 16, v36
	v_cmp_nlt_f32_e64 s[12:13], v35, v36
	s_and_saveexec_b64 s[90:91], s[12:13]
; %bb.919:                              ;   in Loop: Header=BB1115_918 Depth=1
	v_cmp_ngt_f32_e64 s[12:13], v35, v36
	s_and_b64 s[78:79], s[12:13], s[78:79]
	s_andn2_b64 s[76:77], s[76:77], exec
	s_and_b64 s[78:79], s[78:79], exec
	s_or_b64 s[76:77], s[76:77], s[78:79]
	s_and_b64 s[88:89], s[12:13], exec
; %bb.920:                              ;   in Loop: Header=BB1115_918 Depth=1
	s_or_b64 exec, exec, s[90:91]
	s_mov_b64 s[12:13], -1
	s_or_b64 s[74:75], s[74:75], exec
	s_and_saveexec_b64 s[78:79], s[88:89]
	s_cbranch_execz .LBB1115_917
; %bb.921:                              ;   in Loop: Header=BB1115_918 Depth=1
	v_lshl_add_u64 v[32:33], v[32:33], 0, -1
	v_cmp_eq_u64_e64 s[12:13], 0, v[32:33]
	v_lshl_add_u64 v[2:3], v[2:3], 0, 2
	v_lshl_add_u64 v[30:31], v[30:31], 0, 2
	s_andn2_b64 s[74:75], s[74:75], exec
	s_orn2_b64 s[12:13], s[12:13], exec
	s_branch .LBB1115_917
.LBB1115_922:
	s_or_b64 exec, exec, s[62:63]
	s_and_saveexec_b64 s[12:13], s[72:73]
	s_xor_b64 s[12:13], exec, s[12:13]
; %bb.923:
	v_cndmask_b32_e64 v3, v19, v21, s[60:61]
	v_cndmask_b32_e64 v2, v18, v20, s[60:61]
	;; [unrolled: 1-line block ×4, first 2 shown]
	v_mov_b64_e32 v[18:19], v[2:3]
; %bb.924:
	s_or_b64 exec, exec, s[12:13]
	s_or_b64 exec, exec, s[58:59]
	s_and_saveexec_b64 s[58:59], s[40:41]
	s_cbranch_execz .LBB1115_824
.LBB1115_925:
	v_mul_lo_u32 v30, v15, v6
	v_mul_lo_u32 v31, v14, v7
	v_mad_u64_u32 v[2:3], s[12:13], v14, v6, 0
	v_add3_u32 v3, v3, v31, v30
	v_mul_lo_u32 v32, v17, v6
	v_mul_lo_u32 v33, v16, v7
	v_mad_u64_u32 v[30:31], s[12:13], v16, v6, 0
	v_add3_u32 v31, v31, v33, v32
	v_lshl_add_u64 v[2:3], v[2:3], 1, v[8:9]
	v_lshl_add_u64 v[30:31], v[30:31], 1, v[8:9]
	s_mov_b64 s[62:63], 0
	v_mov_b64_e32 v[32:33], v[6:7]
                                        ; implicit-def: $sgpr60_sgpr61
                                        ; implicit-def: $sgpr72_sgpr73
                                        ; implicit-def: $sgpr74_sgpr75
                                        ; implicit-def: $sgpr76_sgpr77
                                        ; implicit-def: $sgpr78_sgpr79
	s_branch .LBB1115_927
.LBB1115_926:                           ;   in Loop: Header=BB1115_927 Depth=1
	s_or_b64 exec, exec, s[78:79]
	s_and_b64 s[12:13], exec, s[12:13]
	s_or_b64 s[62:63], s[12:13], s[62:63]
	s_andn2_b64 s[12:13], s[72:73], exec
	s_and_b64 s[72:73], s[74:75], exec
	s_or_b64 s[72:73], s[12:13], s[72:73]
	s_andn2_b64 s[12:13], s[60:61], exec
	s_and_b64 s[60:61], s[76:77], exec
	s_or_b64 s[60:61], s[12:13], s[60:61]
	s_mov_b64 s[78:79], s[76:77]
	s_andn2_b64 exec, exec, s[62:63]
	s_cbranch_execz .LBB1115_931
.LBB1115_927:                           ; =>This Inner Loop Header: Depth=1
	flat_load_ushort v35, v[30:31]
	flat_load_ushort v36, v[2:3]
	s_or_b64 s[76:77], s[76:77], exec
	s_mov_b64 s[88:89], 0
	s_waitcnt vmcnt(0) lgkmcnt(0)
	v_lshlrev_b32_e32 v35, 16, v35
	v_lshlrev_b32_e32 v36, 16, v36
	v_cmp_nlt_f32_e64 s[12:13], v35, v36
	s_and_saveexec_b64 s[90:91], s[12:13]
; %bb.928:                              ;   in Loop: Header=BB1115_927 Depth=1
	v_cmp_ngt_f32_e64 s[12:13], v35, v36
	s_and_b64 s[78:79], s[12:13], s[78:79]
	s_andn2_b64 s[76:77], s[76:77], exec
	s_and_b64 s[78:79], s[78:79], exec
	s_or_b64 s[76:77], s[76:77], s[78:79]
	s_and_b64 s[88:89], s[12:13], exec
; %bb.929:                              ;   in Loop: Header=BB1115_927 Depth=1
	s_or_b64 exec, exec, s[90:91]
	s_mov_b64 s[12:13], -1
	s_or_b64 s[74:75], s[74:75], exec
	s_and_saveexec_b64 s[78:79], s[88:89]
	s_cbranch_execz .LBB1115_926
; %bb.930:                              ;   in Loop: Header=BB1115_927 Depth=1
	v_lshl_add_u64 v[32:33], v[32:33], 0, -1
	v_cmp_eq_u64_e64 s[12:13], 0, v[32:33]
	v_lshl_add_u64 v[2:3], v[2:3], 0, 2
	v_lshl_add_u64 v[30:31], v[30:31], 0, 2
	s_andn2_b64 s[74:75], s[74:75], exec
	s_orn2_b64 s[12:13], s[12:13], exec
	s_branch .LBB1115_926
.LBB1115_931:
	s_or_b64 exec, exec, s[62:63]
	s_and_saveexec_b64 s[12:13], s[72:73]
	s_xor_b64 s[12:13], exec, s[12:13]
; %bb.932:
	v_cndmask_b32_e64 v3, v15, v17, s[60:61]
	v_cndmask_b32_e64 v2, v14, v16, s[60:61]
	;; [unrolled: 1-line block ×4, first 2 shown]
	v_mov_b64_e32 v[14:15], v[2:3]
; %bb.933:
	s_or_b64 exec, exec, s[12:13]
	s_or_b64 exec, exec, s[58:59]
	s_and_saveexec_b64 s[58:59], s[42:43]
	s_cbranch_execz .LBB1115_825
.LBB1115_934:
	v_mul_lo_u32 v30, v11, v6
	v_mul_lo_u32 v31, v10, v7
	v_mad_u64_u32 v[2:3], s[12:13], v10, v6, 0
	v_add3_u32 v3, v3, v31, v30
	v_mul_lo_u32 v32, v13, v6
	v_mul_lo_u32 v33, v12, v7
	v_mad_u64_u32 v[30:31], s[12:13], v12, v6, 0
	v_add3_u32 v31, v31, v33, v32
	v_lshl_add_u64 v[2:3], v[2:3], 1, v[8:9]
	v_lshl_add_u64 v[30:31], v[30:31], 1, v[8:9]
	s_mov_b64 s[62:63], 0
	v_mov_b64_e32 v[32:33], v[6:7]
                                        ; implicit-def: $sgpr60_sgpr61
                                        ; implicit-def: $sgpr72_sgpr73
                                        ; implicit-def: $sgpr74_sgpr75
                                        ; implicit-def: $sgpr76_sgpr77
                                        ; implicit-def: $sgpr78_sgpr79
	s_branch .LBB1115_936
.LBB1115_935:                           ;   in Loop: Header=BB1115_936 Depth=1
	s_or_b64 exec, exec, s[78:79]
	s_and_b64 s[12:13], exec, s[12:13]
	s_or_b64 s[62:63], s[12:13], s[62:63]
	s_andn2_b64 s[12:13], s[72:73], exec
	s_and_b64 s[72:73], s[74:75], exec
	s_or_b64 s[72:73], s[12:13], s[72:73]
	s_andn2_b64 s[12:13], s[60:61], exec
	s_and_b64 s[60:61], s[76:77], exec
	s_or_b64 s[60:61], s[12:13], s[60:61]
	s_mov_b64 s[78:79], s[76:77]
	s_andn2_b64 exec, exec, s[62:63]
	s_cbranch_execz .LBB1115_940
.LBB1115_936:                           ; =>This Inner Loop Header: Depth=1
	flat_load_ushort v35, v[30:31]
	flat_load_ushort v36, v[2:3]
	s_or_b64 s[76:77], s[76:77], exec
	s_mov_b64 s[88:89], 0
	s_waitcnt vmcnt(0) lgkmcnt(0)
	v_lshlrev_b32_e32 v35, 16, v35
	v_lshlrev_b32_e32 v36, 16, v36
	v_cmp_nlt_f32_e64 s[12:13], v35, v36
	s_and_saveexec_b64 s[90:91], s[12:13]
; %bb.937:                              ;   in Loop: Header=BB1115_936 Depth=1
	v_cmp_ngt_f32_e64 s[12:13], v35, v36
	s_and_b64 s[78:79], s[12:13], s[78:79]
	s_andn2_b64 s[76:77], s[76:77], exec
	s_and_b64 s[78:79], s[78:79], exec
	s_or_b64 s[76:77], s[76:77], s[78:79]
	s_and_b64 s[88:89], s[12:13], exec
; %bb.938:                              ;   in Loop: Header=BB1115_936 Depth=1
	s_or_b64 exec, exec, s[90:91]
	s_mov_b64 s[12:13], -1
	s_or_b64 s[74:75], s[74:75], exec
	s_and_saveexec_b64 s[78:79], s[88:89]
	s_cbranch_execz .LBB1115_935
; %bb.939:                              ;   in Loop: Header=BB1115_936 Depth=1
	v_lshl_add_u64 v[32:33], v[32:33], 0, -1
	v_cmp_eq_u64_e64 s[12:13], 0, v[32:33]
	v_lshl_add_u64 v[2:3], v[2:3], 0, 2
	v_lshl_add_u64 v[30:31], v[30:31], 0, 2
	s_andn2_b64 s[74:75], s[74:75], exec
	s_orn2_b64 s[12:13], s[12:13], exec
	s_branch .LBB1115_935
.LBB1115_940:
	s_or_b64 exec, exec, s[62:63]
	s_and_saveexec_b64 s[12:13], s[72:73]
	s_xor_b64 s[12:13], exec, s[12:13]
; %bb.941:
	v_cndmask_b32_e64 v3, v11, v13, s[60:61]
	v_cndmask_b32_e64 v2, v10, v12, s[60:61]
	;; [unrolled: 1-line block ×4, first 2 shown]
	v_mov_b64_e32 v[10:11], v[2:3]
; %bb.942:
	s_or_b64 exec, exec, s[12:13]
	s_or_b64 exec, exec, s[58:59]
	s_and_saveexec_b64 s[58:59], s[44:45]
	s_cbranch_execz .LBB1115_826
.LBB1115_943:
	v_mul_lo_u32 v30, v25, v6
	v_mul_lo_u32 v31, v24, v7
	v_mad_u64_u32 v[2:3], s[12:13], v24, v6, 0
	v_add3_u32 v3, v3, v31, v30
	v_mul_lo_u32 v32, v19, v6
	v_mul_lo_u32 v33, v18, v7
	v_mad_u64_u32 v[30:31], s[12:13], v18, v6, 0
	v_add3_u32 v31, v31, v33, v32
	v_lshl_add_u64 v[2:3], v[2:3], 1, v[8:9]
	v_lshl_add_u64 v[30:31], v[30:31], 1, v[8:9]
	s_mov_b64 s[62:63], 0
	v_mov_b64_e32 v[32:33], v[6:7]
                                        ; implicit-def: $sgpr60_sgpr61
                                        ; implicit-def: $sgpr72_sgpr73
                                        ; implicit-def: $sgpr74_sgpr75
                                        ; implicit-def: $sgpr76_sgpr77
                                        ; implicit-def: $sgpr78_sgpr79
	s_branch .LBB1115_945
.LBB1115_944:                           ;   in Loop: Header=BB1115_945 Depth=1
	s_or_b64 exec, exec, s[78:79]
	s_and_b64 s[12:13], exec, s[12:13]
	s_or_b64 s[62:63], s[12:13], s[62:63]
	s_andn2_b64 s[12:13], s[72:73], exec
	s_and_b64 s[72:73], s[74:75], exec
	s_or_b64 s[72:73], s[12:13], s[72:73]
	s_andn2_b64 s[12:13], s[60:61], exec
	s_and_b64 s[60:61], s[76:77], exec
	s_or_b64 s[60:61], s[12:13], s[60:61]
	s_mov_b64 s[78:79], s[76:77]
	s_andn2_b64 exec, exec, s[62:63]
	s_cbranch_execz .LBB1115_949
.LBB1115_945:                           ; =>This Inner Loop Header: Depth=1
	flat_load_ushort v35, v[30:31]
	flat_load_ushort v36, v[2:3]
	s_or_b64 s[76:77], s[76:77], exec
	s_mov_b64 s[88:89], 0
	s_waitcnt vmcnt(0) lgkmcnt(0)
	v_lshlrev_b32_e32 v35, 16, v35
	v_lshlrev_b32_e32 v36, 16, v36
	v_cmp_nlt_f32_e64 s[12:13], v35, v36
	s_and_saveexec_b64 s[90:91], s[12:13]
; %bb.946:                              ;   in Loop: Header=BB1115_945 Depth=1
	v_cmp_ngt_f32_e64 s[12:13], v35, v36
	s_and_b64 s[78:79], s[12:13], s[78:79]
	s_andn2_b64 s[76:77], s[76:77], exec
	s_and_b64 s[78:79], s[78:79], exec
	s_or_b64 s[76:77], s[76:77], s[78:79]
	s_and_b64 s[88:89], s[12:13], exec
; %bb.947:                              ;   in Loop: Header=BB1115_945 Depth=1
	s_or_b64 exec, exec, s[90:91]
	s_mov_b64 s[12:13], -1
	s_or_b64 s[74:75], s[74:75], exec
	s_and_saveexec_b64 s[78:79], s[88:89]
	s_cbranch_execz .LBB1115_944
; %bb.948:                              ;   in Loop: Header=BB1115_945 Depth=1
	v_lshl_add_u64 v[32:33], v[32:33], 0, -1
	v_cmp_eq_u64_e64 s[12:13], 0, v[32:33]
	v_lshl_add_u64 v[2:3], v[2:3], 0, 2
	v_lshl_add_u64 v[30:31], v[30:31], 0, 2
	s_andn2_b64 s[74:75], s[74:75], exec
	s_orn2_b64 s[12:13], s[12:13], exec
	s_branch .LBB1115_944
.LBB1115_949:
	s_or_b64 exec, exec, s[62:63]
	s_and_saveexec_b64 s[12:13], s[72:73]
	s_xor_b64 s[12:13], exec, s[12:13]
; %bb.950:
	v_cndmask_b32_e64 v3, v25, v19, s[60:61]
	v_cndmask_b32_e64 v2, v24, v18, s[60:61]
	;; [unrolled: 1-line block ×4, first 2 shown]
	v_mov_b64_e32 v[24:25], v[2:3]
; %bb.951:
	s_or_b64 exec, exec, s[12:13]
	s_or_b64 exec, exec, s[58:59]
	s_and_saveexec_b64 s[58:59], s[46:47]
	s_cbranch_execz .LBB1115_827
.LBB1115_952:
	v_mul_lo_u32 v30, v21, v6
	v_mul_lo_u32 v31, v20, v7
	v_mad_u64_u32 v[2:3], s[12:13], v20, v6, 0
	v_add3_u32 v3, v3, v31, v30
	v_mul_lo_u32 v32, v15, v6
	v_mul_lo_u32 v33, v14, v7
	v_mad_u64_u32 v[30:31], s[12:13], v14, v6, 0
	v_add3_u32 v31, v31, v33, v32
	v_lshl_add_u64 v[2:3], v[2:3], 1, v[8:9]
	v_lshl_add_u64 v[30:31], v[30:31], 1, v[8:9]
	s_mov_b64 s[62:63], 0
	v_mov_b64_e32 v[32:33], v[6:7]
                                        ; implicit-def: $sgpr60_sgpr61
                                        ; implicit-def: $sgpr72_sgpr73
                                        ; implicit-def: $sgpr74_sgpr75
                                        ; implicit-def: $sgpr76_sgpr77
                                        ; implicit-def: $sgpr78_sgpr79
	s_branch .LBB1115_954
.LBB1115_953:                           ;   in Loop: Header=BB1115_954 Depth=1
	s_or_b64 exec, exec, s[78:79]
	s_and_b64 s[12:13], exec, s[12:13]
	s_or_b64 s[62:63], s[12:13], s[62:63]
	s_andn2_b64 s[12:13], s[72:73], exec
	s_and_b64 s[72:73], s[74:75], exec
	s_or_b64 s[72:73], s[12:13], s[72:73]
	s_andn2_b64 s[12:13], s[60:61], exec
	s_and_b64 s[60:61], s[76:77], exec
	s_or_b64 s[60:61], s[12:13], s[60:61]
	s_mov_b64 s[78:79], s[76:77]
	s_andn2_b64 exec, exec, s[62:63]
	s_cbranch_execz .LBB1115_958
.LBB1115_954:                           ; =>This Inner Loop Header: Depth=1
	flat_load_ushort v35, v[30:31]
	flat_load_ushort v36, v[2:3]
	s_or_b64 s[76:77], s[76:77], exec
	s_mov_b64 s[88:89], 0
	s_waitcnt vmcnt(0) lgkmcnt(0)
	v_lshlrev_b32_e32 v35, 16, v35
	v_lshlrev_b32_e32 v36, 16, v36
	v_cmp_nlt_f32_e64 s[12:13], v35, v36
	s_and_saveexec_b64 s[90:91], s[12:13]
; %bb.955:                              ;   in Loop: Header=BB1115_954 Depth=1
	v_cmp_ngt_f32_e64 s[12:13], v35, v36
	s_and_b64 s[78:79], s[12:13], s[78:79]
	s_andn2_b64 s[76:77], s[76:77], exec
	s_and_b64 s[78:79], s[78:79], exec
	s_or_b64 s[76:77], s[76:77], s[78:79]
	s_and_b64 s[88:89], s[12:13], exec
; %bb.956:                              ;   in Loop: Header=BB1115_954 Depth=1
	s_or_b64 exec, exec, s[90:91]
	s_mov_b64 s[12:13], -1
	s_or_b64 s[74:75], s[74:75], exec
	s_and_saveexec_b64 s[78:79], s[88:89]
	s_cbranch_execz .LBB1115_953
; %bb.957:                              ;   in Loop: Header=BB1115_954 Depth=1
	v_lshl_add_u64 v[32:33], v[32:33], 0, -1
	v_cmp_eq_u64_e64 s[12:13], 0, v[32:33]
	v_lshl_add_u64 v[2:3], v[2:3], 0, 2
	v_lshl_add_u64 v[30:31], v[30:31], 0, 2
	s_andn2_b64 s[74:75], s[74:75], exec
	s_orn2_b64 s[12:13], s[12:13], exec
	s_branch .LBB1115_953
.LBB1115_958:
	s_or_b64 exec, exec, s[62:63]
	s_and_saveexec_b64 s[12:13], s[72:73]
	s_xor_b64 s[12:13], exec, s[12:13]
; %bb.959:
	v_cndmask_b32_e64 v3, v21, v15, s[60:61]
	v_cndmask_b32_e64 v2, v20, v14, s[60:61]
	;; [unrolled: 1-line block ×4, first 2 shown]
	v_mov_b64_e32 v[20:21], v[2:3]
; %bb.960:
	s_or_b64 exec, exec, s[12:13]
	s_or_b64 exec, exec, s[58:59]
	s_and_saveexec_b64 s[58:59], s[56:57]
	s_cbranch_execz .LBB1115_828
.LBB1115_961:
	v_mul_lo_u32 v30, v17, v6
	v_mul_lo_u32 v31, v16, v7
	v_mad_u64_u32 v[2:3], s[12:13], v16, v6, 0
	v_add3_u32 v3, v3, v31, v30
	v_mul_lo_u32 v32, v11, v6
	v_mul_lo_u32 v33, v10, v7
	v_mad_u64_u32 v[30:31], s[12:13], v10, v6, 0
	v_add3_u32 v31, v31, v33, v32
	v_lshl_add_u64 v[2:3], v[2:3], 1, v[8:9]
	v_lshl_add_u64 v[30:31], v[30:31], 1, v[8:9]
	s_mov_b64 s[62:63], 0
	v_mov_b64_e32 v[32:33], v[6:7]
                                        ; implicit-def: $sgpr60_sgpr61
                                        ; implicit-def: $sgpr72_sgpr73
                                        ; implicit-def: $sgpr74_sgpr75
                                        ; implicit-def: $sgpr76_sgpr77
                                        ; implicit-def: $sgpr78_sgpr79
	s_branch .LBB1115_963
.LBB1115_962:                           ;   in Loop: Header=BB1115_963 Depth=1
	s_or_b64 exec, exec, s[78:79]
	s_and_b64 s[12:13], exec, s[12:13]
	s_or_b64 s[62:63], s[12:13], s[62:63]
	s_andn2_b64 s[12:13], s[72:73], exec
	s_and_b64 s[72:73], s[74:75], exec
	s_or_b64 s[72:73], s[12:13], s[72:73]
	s_andn2_b64 s[12:13], s[60:61], exec
	s_and_b64 s[60:61], s[76:77], exec
	s_or_b64 s[60:61], s[12:13], s[60:61]
	s_mov_b64 s[78:79], s[76:77]
	s_andn2_b64 exec, exec, s[62:63]
	s_cbranch_execz .LBB1115_967
.LBB1115_963:                           ; =>This Inner Loop Header: Depth=1
	flat_load_ushort v35, v[30:31]
	flat_load_ushort v36, v[2:3]
	s_or_b64 s[76:77], s[76:77], exec
	s_mov_b64 s[88:89], 0
	s_waitcnt vmcnt(0) lgkmcnt(0)
	v_lshlrev_b32_e32 v35, 16, v35
	v_lshlrev_b32_e32 v36, 16, v36
	v_cmp_nlt_f32_e64 s[12:13], v35, v36
	s_and_saveexec_b64 s[90:91], s[12:13]
; %bb.964:                              ;   in Loop: Header=BB1115_963 Depth=1
	v_cmp_ngt_f32_e64 s[12:13], v35, v36
	s_and_b64 s[78:79], s[12:13], s[78:79]
	s_andn2_b64 s[76:77], s[76:77], exec
	s_and_b64 s[78:79], s[78:79], exec
	s_or_b64 s[76:77], s[76:77], s[78:79]
	s_and_b64 s[88:89], s[12:13], exec
; %bb.965:                              ;   in Loop: Header=BB1115_963 Depth=1
	s_or_b64 exec, exec, s[90:91]
	s_mov_b64 s[12:13], -1
	s_or_b64 s[74:75], s[74:75], exec
	s_and_saveexec_b64 s[78:79], s[88:89]
	s_cbranch_execz .LBB1115_962
; %bb.966:                              ;   in Loop: Header=BB1115_963 Depth=1
	v_lshl_add_u64 v[32:33], v[32:33], 0, -1
	v_cmp_eq_u64_e64 s[12:13], 0, v[32:33]
	v_lshl_add_u64 v[2:3], v[2:3], 0, 2
	v_lshl_add_u64 v[30:31], v[30:31], 0, 2
	s_andn2_b64 s[74:75], s[74:75], exec
	s_orn2_b64 s[12:13], s[12:13], exec
	s_branch .LBB1115_962
.LBB1115_967:
	s_or_b64 exec, exec, s[62:63]
	s_and_saveexec_b64 s[12:13], s[72:73]
	s_xor_b64 s[12:13], exec, s[12:13]
; %bb.968:
	v_cndmask_b32_e64 v3, v17, v11, s[60:61]
	v_cndmask_b32_e64 v2, v16, v10, s[60:61]
	;; [unrolled: 1-line block ×4, first 2 shown]
	v_mov_b64_e32 v[16:17], v[2:3]
; %bb.969:
	s_or_b64 exec, exec, s[12:13]
	s_or_b64 exec, exec, s[58:59]
	s_and_saveexec_b64 s[58:59], s[18:19]
	s_cbranch_execz .LBB1115_829
.LBB1115_970:
	v_mul_lo_u32 v30, v23, v6
	v_mul_lo_u32 v31, v22, v7
	v_mad_u64_u32 v[2:3], s[12:13], v22, v6, 0
	v_add3_u32 v3, v3, v31, v30
	v_mul_lo_u32 v32, v25, v6
	v_mul_lo_u32 v33, v24, v7
	v_mad_u64_u32 v[30:31], s[12:13], v24, v6, 0
	v_add3_u32 v31, v31, v33, v32
	v_lshl_add_u64 v[2:3], v[2:3], 1, v[8:9]
	v_lshl_add_u64 v[30:31], v[30:31], 1, v[8:9]
	s_mov_b64 s[60:61], 0
	v_mov_b64_e32 v[32:33], v[6:7]
                                        ; implicit-def: $sgpr18_sgpr19
                                        ; implicit-def: $sgpr62_sgpr63
                                        ; implicit-def: $sgpr72_sgpr73
                                        ; implicit-def: $sgpr74_sgpr75
                                        ; implicit-def: $sgpr76_sgpr77
	s_branch .LBB1115_972
.LBB1115_971:                           ;   in Loop: Header=BB1115_972 Depth=1
	s_or_b64 exec, exec, s[76:77]
	s_and_b64 s[12:13], exec, s[12:13]
	s_or_b64 s[60:61], s[12:13], s[60:61]
	s_andn2_b64 s[12:13], s[62:63], exec
	s_and_b64 s[62:63], s[72:73], exec
	s_or_b64 s[62:63], s[12:13], s[62:63]
	s_andn2_b64 s[12:13], s[18:19], exec
	s_and_b64 s[18:19], s[74:75], exec
	s_or_b64 s[18:19], s[12:13], s[18:19]
	s_mov_b64 s[76:77], s[74:75]
	s_andn2_b64 exec, exec, s[60:61]
	s_cbranch_execz .LBB1115_976
.LBB1115_972:                           ; =>This Inner Loop Header: Depth=1
	flat_load_ushort v35, v[30:31]
	flat_load_ushort v36, v[2:3]
	s_or_b64 s[74:75], s[74:75], exec
	s_mov_b64 s[78:79], 0
	s_waitcnt vmcnt(0) lgkmcnt(0)
	v_lshlrev_b32_e32 v35, 16, v35
	v_lshlrev_b32_e32 v36, 16, v36
	v_cmp_nlt_f32_e64 s[12:13], v35, v36
	s_and_saveexec_b64 s[88:89], s[12:13]
; %bb.973:                              ;   in Loop: Header=BB1115_972 Depth=1
	v_cmp_ngt_f32_e64 s[12:13], v35, v36
	s_and_b64 s[76:77], s[12:13], s[76:77]
	s_andn2_b64 s[74:75], s[74:75], exec
	s_and_b64 s[76:77], s[76:77], exec
	s_or_b64 s[74:75], s[74:75], s[76:77]
	s_and_b64 s[78:79], s[12:13], exec
; %bb.974:                              ;   in Loop: Header=BB1115_972 Depth=1
	s_or_b64 exec, exec, s[88:89]
	s_mov_b64 s[12:13], -1
	s_or_b64 s[72:73], s[72:73], exec
	s_and_saveexec_b64 s[76:77], s[78:79]
	s_cbranch_execz .LBB1115_971
; %bb.975:                              ;   in Loop: Header=BB1115_972 Depth=1
	v_lshl_add_u64 v[32:33], v[32:33], 0, -1
	v_cmp_eq_u64_e64 s[12:13], 0, v[32:33]
	v_lshl_add_u64 v[2:3], v[2:3], 0, 2
	v_lshl_add_u64 v[30:31], v[30:31], 0, 2
	s_andn2_b64 s[72:73], s[72:73], exec
	s_orn2_b64 s[12:13], s[12:13], exec
	s_branch .LBB1115_971
.LBB1115_976:
	s_or_b64 exec, exec, s[60:61]
	s_and_saveexec_b64 s[12:13], s[62:63]
	s_xor_b64 s[12:13], exec, s[12:13]
; %bb.977:
	v_cndmask_b32_e64 v3, v25, v23, s[18:19]
	v_cndmask_b32_e64 v2, v24, v22, s[18:19]
	;; [unrolled: 1-line block ×4, first 2 shown]
	v_mov_b64_e32 v[24:25], v[2:3]
; %bb.978:
	s_or_b64 exec, exec, s[12:13]
	s_or_b64 exec, exec, s[58:59]
	s_and_saveexec_b64 s[18:19], s[20:21]
	s_cbranch_execz .LBB1115_830
.LBB1115_979:
	v_mul_lo_u32 v30, v19, v6
	v_mul_lo_u32 v31, v18, v7
	v_mad_u64_u32 v[2:3], s[12:13], v18, v6, 0
	v_add3_u32 v3, v3, v31, v30
	v_mul_lo_u32 v32, v21, v6
	v_mul_lo_u32 v33, v20, v7
	v_mad_u64_u32 v[30:31], s[12:13], v20, v6, 0
	v_add3_u32 v31, v31, v33, v32
	v_lshl_add_u64 v[2:3], v[2:3], 1, v[8:9]
	v_lshl_add_u64 v[30:31], v[30:31], 1, v[8:9]
	s_mov_b64 s[58:59], 0
	v_mov_b64_e32 v[32:33], v[6:7]
                                        ; implicit-def: $sgpr20_sgpr21
                                        ; implicit-def: $sgpr60_sgpr61
                                        ; implicit-def: $sgpr62_sgpr63
                                        ; implicit-def: $sgpr72_sgpr73
                                        ; implicit-def: $sgpr74_sgpr75
	s_branch .LBB1115_981
.LBB1115_980:                           ;   in Loop: Header=BB1115_981 Depth=1
	s_or_b64 exec, exec, s[74:75]
	s_and_b64 s[12:13], exec, s[12:13]
	s_or_b64 s[58:59], s[12:13], s[58:59]
	s_andn2_b64 s[12:13], s[60:61], exec
	s_and_b64 s[60:61], s[62:63], exec
	s_or_b64 s[60:61], s[12:13], s[60:61]
	s_andn2_b64 s[12:13], s[20:21], exec
	s_and_b64 s[20:21], s[72:73], exec
	s_or_b64 s[20:21], s[12:13], s[20:21]
	s_mov_b64 s[74:75], s[72:73]
	s_andn2_b64 exec, exec, s[58:59]
	s_cbranch_execz .LBB1115_985
.LBB1115_981:                           ; =>This Inner Loop Header: Depth=1
	flat_load_ushort v35, v[30:31]
	flat_load_ushort v36, v[2:3]
	s_or_b64 s[72:73], s[72:73], exec
	s_mov_b64 s[76:77], 0
	s_waitcnt vmcnt(0) lgkmcnt(0)
	v_lshlrev_b32_e32 v35, 16, v35
	v_lshlrev_b32_e32 v36, 16, v36
	v_cmp_nlt_f32_e64 s[12:13], v35, v36
	s_and_saveexec_b64 s[78:79], s[12:13]
; %bb.982:                              ;   in Loop: Header=BB1115_981 Depth=1
	v_cmp_ngt_f32_e64 s[12:13], v35, v36
	s_and_b64 s[74:75], s[12:13], s[74:75]
	s_andn2_b64 s[72:73], s[72:73], exec
	s_and_b64 s[74:75], s[74:75], exec
	s_or_b64 s[72:73], s[72:73], s[74:75]
	s_and_b64 s[76:77], s[12:13], exec
; %bb.983:                              ;   in Loop: Header=BB1115_981 Depth=1
	s_or_b64 exec, exec, s[78:79]
	s_mov_b64 s[12:13], -1
	s_or_b64 s[62:63], s[62:63], exec
	s_and_saveexec_b64 s[74:75], s[76:77]
	s_cbranch_execz .LBB1115_980
; %bb.984:                              ;   in Loop: Header=BB1115_981 Depth=1
	v_lshl_add_u64 v[32:33], v[32:33], 0, -1
	v_cmp_eq_u64_e64 s[12:13], 0, v[32:33]
	v_lshl_add_u64 v[2:3], v[2:3], 0, 2
	v_lshl_add_u64 v[30:31], v[30:31], 0, 2
	s_andn2_b64 s[62:63], s[62:63], exec
	s_orn2_b64 s[12:13], s[12:13], exec
	s_branch .LBB1115_980
.LBB1115_985:
	s_or_b64 exec, exec, s[58:59]
	s_and_saveexec_b64 s[12:13], s[60:61]
	s_xor_b64 s[12:13], exec, s[12:13]
; %bb.986:
	v_cndmask_b32_e64 v3, v19, v21, s[20:21]
	v_cndmask_b32_e64 v2, v18, v20, s[20:21]
	;; [unrolled: 1-line block ×4, first 2 shown]
	v_mov_b64_e32 v[18:19], v[2:3]
; %bb.987:
	s_or_b64 exec, exec, s[12:13]
	s_or_b64 exec, exec, s[18:19]
	s_and_saveexec_b64 s[18:19], s[40:41]
	s_cbranch_execz .LBB1115_831
.LBB1115_988:
	v_mul_lo_u32 v30, v15, v6
	v_mul_lo_u32 v31, v14, v7
	v_mad_u64_u32 v[2:3], s[12:13], v14, v6, 0
	v_add3_u32 v3, v3, v31, v30
	v_mul_lo_u32 v32, v17, v6
	v_mul_lo_u32 v33, v16, v7
	v_mad_u64_u32 v[30:31], s[12:13], v16, v6, 0
	v_add3_u32 v31, v31, v33, v32
	v_lshl_add_u64 v[2:3], v[2:3], 1, v[8:9]
	v_lshl_add_u64 v[30:31], v[30:31], 1, v[8:9]
	s_mov_b64 s[40:41], 0
	v_mov_b64_e32 v[32:33], v[6:7]
                                        ; implicit-def: $sgpr20_sgpr21
                                        ; implicit-def: $sgpr58_sgpr59
                                        ; implicit-def: $sgpr60_sgpr61
                                        ; implicit-def: $sgpr62_sgpr63
                                        ; implicit-def: $sgpr72_sgpr73
	s_branch .LBB1115_990
.LBB1115_989:                           ;   in Loop: Header=BB1115_990 Depth=1
	s_or_b64 exec, exec, s[72:73]
	s_and_b64 s[12:13], exec, s[12:13]
	s_or_b64 s[40:41], s[12:13], s[40:41]
	s_andn2_b64 s[12:13], s[58:59], exec
	s_and_b64 s[58:59], s[60:61], exec
	s_or_b64 s[58:59], s[12:13], s[58:59]
	s_andn2_b64 s[12:13], s[20:21], exec
	s_and_b64 s[20:21], s[62:63], exec
	s_or_b64 s[20:21], s[12:13], s[20:21]
	s_mov_b64 s[72:73], s[62:63]
	s_andn2_b64 exec, exec, s[40:41]
	s_cbranch_execz .LBB1115_994
.LBB1115_990:                           ; =>This Inner Loop Header: Depth=1
	flat_load_ushort v35, v[30:31]
	flat_load_ushort v36, v[2:3]
	s_or_b64 s[62:63], s[62:63], exec
	s_mov_b64 s[74:75], 0
	s_waitcnt vmcnt(0) lgkmcnt(0)
	v_lshlrev_b32_e32 v35, 16, v35
	v_lshlrev_b32_e32 v36, 16, v36
	v_cmp_nlt_f32_e64 s[12:13], v35, v36
	s_and_saveexec_b64 s[76:77], s[12:13]
; %bb.991:                              ;   in Loop: Header=BB1115_990 Depth=1
	v_cmp_ngt_f32_e64 s[12:13], v35, v36
	s_and_b64 s[72:73], s[12:13], s[72:73]
	s_andn2_b64 s[62:63], s[62:63], exec
	s_and_b64 s[72:73], s[72:73], exec
	s_or_b64 s[62:63], s[62:63], s[72:73]
	s_and_b64 s[74:75], s[12:13], exec
; %bb.992:                              ;   in Loop: Header=BB1115_990 Depth=1
	s_or_b64 exec, exec, s[76:77]
	s_mov_b64 s[12:13], -1
	s_or_b64 s[60:61], s[60:61], exec
	s_and_saveexec_b64 s[72:73], s[74:75]
	s_cbranch_execz .LBB1115_989
; %bb.993:                              ;   in Loop: Header=BB1115_990 Depth=1
	v_lshl_add_u64 v[32:33], v[32:33], 0, -1
	v_cmp_eq_u64_e64 s[12:13], 0, v[32:33]
	v_lshl_add_u64 v[2:3], v[2:3], 0, 2
	v_lshl_add_u64 v[30:31], v[30:31], 0, 2
	s_andn2_b64 s[60:61], s[60:61], exec
	s_orn2_b64 s[12:13], s[12:13], exec
	s_branch .LBB1115_989
.LBB1115_994:
	s_or_b64 exec, exec, s[40:41]
	s_and_saveexec_b64 s[12:13], s[58:59]
	s_xor_b64 s[12:13], exec, s[12:13]
; %bb.995:
	v_cndmask_b32_e64 v3, v15, v17, s[20:21]
	v_cndmask_b32_e64 v2, v14, v16, s[20:21]
	;; [unrolled: 1-line block ×4, first 2 shown]
	v_mov_b64_e32 v[14:15], v[2:3]
; %bb.996:
	s_or_b64 exec, exec, s[12:13]
	s_or_b64 exec, exec, s[18:19]
	s_and_saveexec_b64 s[18:19], s[42:43]
	s_cbranch_execz .LBB1115_832
.LBB1115_997:
	v_mul_lo_u32 v30, v11, v6
	v_mul_lo_u32 v31, v10, v7
	v_mad_u64_u32 v[2:3], s[12:13], v10, v6, 0
	v_add3_u32 v3, v3, v31, v30
	v_mul_lo_u32 v32, v13, v6
	v_mul_lo_u32 v33, v12, v7
	v_mad_u64_u32 v[30:31], s[12:13], v12, v6, 0
	v_add3_u32 v31, v31, v33, v32
	v_lshl_add_u64 v[2:3], v[2:3], 1, v[8:9]
	v_lshl_add_u64 v[30:31], v[30:31], 1, v[8:9]
	s_mov_b64 s[40:41], 0
	v_mov_b64_e32 v[32:33], v[6:7]
                                        ; implicit-def: $sgpr20_sgpr21
                                        ; implicit-def: $sgpr42_sgpr43
                                        ; implicit-def: $sgpr58_sgpr59
                                        ; implicit-def: $sgpr60_sgpr61
                                        ; implicit-def: $sgpr62_sgpr63
	s_branch .LBB1115_999
.LBB1115_998:                           ;   in Loop: Header=BB1115_999 Depth=1
	s_or_b64 exec, exec, s[62:63]
	s_and_b64 s[12:13], exec, s[12:13]
	s_or_b64 s[40:41], s[12:13], s[40:41]
	s_andn2_b64 s[12:13], s[42:43], exec
	s_and_b64 s[42:43], s[58:59], exec
	s_or_b64 s[42:43], s[12:13], s[42:43]
	s_andn2_b64 s[12:13], s[20:21], exec
	s_and_b64 s[20:21], s[60:61], exec
	s_or_b64 s[20:21], s[12:13], s[20:21]
	s_mov_b64 s[62:63], s[60:61]
	s_andn2_b64 exec, exec, s[40:41]
	s_cbranch_execz .LBB1115_1003
.LBB1115_999:                           ; =>This Inner Loop Header: Depth=1
	flat_load_ushort v35, v[30:31]
	flat_load_ushort v36, v[2:3]
	s_or_b64 s[60:61], s[60:61], exec
	s_mov_b64 s[72:73], 0
	s_waitcnt vmcnt(0) lgkmcnt(0)
	v_lshlrev_b32_e32 v35, 16, v35
	v_lshlrev_b32_e32 v36, 16, v36
	v_cmp_nlt_f32_e64 s[12:13], v35, v36
	s_and_saveexec_b64 s[74:75], s[12:13]
; %bb.1000:                             ;   in Loop: Header=BB1115_999 Depth=1
	v_cmp_ngt_f32_e64 s[12:13], v35, v36
	s_and_b64 s[62:63], s[12:13], s[62:63]
	s_andn2_b64 s[60:61], s[60:61], exec
	s_and_b64 s[62:63], s[62:63], exec
	s_or_b64 s[60:61], s[60:61], s[62:63]
	s_and_b64 s[72:73], s[12:13], exec
; %bb.1001:                             ;   in Loop: Header=BB1115_999 Depth=1
	s_or_b64 exec, exec, s[74:75]
	s_mov_b64 s[12:13], -1
	s_or_b64 s[58:59], s[58:59], exec
	s_and_saveexec_b64 s[62:63], s[72:73]
	s_cbranch_execz .LBB1115_998
; %bb.1002:                             ;   in Loop: Header=BB1115_999 Depth=1
	v_lshl_add_u64 v[32:33], v[32:33], 0, -1
	v_cmp_eq_u64_e64 s[12:13], 0, v[32:33]
	v_lshl_add_u64 v[2:3], v[2:3], 0, 2
	v_lshl_add_u64 v[30:31], v[30:31], 0, 2
	s_andn2_b64 s[58:59], s[58:59], exec
	s_orn2_b64 s[12:13], s[12:13], exec
	s_branch .LBB1115_998
.LBB1115_1003:
	s_or_b64 exec, exec, s[40:41]
	s_and_saveexec_b64 s[12:13], s[42:43]
	s_xor_b64 s[12:13], exec, s[12:13]
; %bb.1004:
	v_cndmask_b32_e64 v3, v11, v13, s[20:21]
	v_cndmask_b32_e64 v2, v10, v12, s[20:21]
	;; [unrolled: 1-line block ×4, first 2 shown]
	v_mov_b64_e32 v[10:11], v[2:3]
; %bb.1005:
	s_or_b64 exec, exec, s[12:13]
	s_or_b64 exec, exec, s[18:19]
	s_and_saveexec_b64 s[18:19], s[44:45]
	s_cbranch_execz .LBB1115_833
.LBB1115_1006:
	v_mul_lo_u32 v30, v25, v6
	v_mul_lo_u32 v31, v24, v7
	v_mad_u64_u32 v[2:3], s[12:13], v24, v6, 0
	v_add3_u32 v3, v3, v31, v30
	v_mul_lo_u32 v32, v19, v6
	v_mul_lo_u32 v33, v18, v7
	v_mad_u64_u32 v[30:31], s[12:13], v18, v6, 0
	v_add3_u32 v31, v31, v33, v32
	v_lshl_add_u64 v[2:3], v[2:3], 1, v[8:9]
	v_lshl_add_u64 v[30:31], v[30:31], 1, v[8:9]
	s_mov_b64 s[40:41], 0
	v_mov_b64_e32 v[32:33], v[6:7]
                                        ; implicit-def: $sgpr20_sgpr21
                                        ; implicit-def: $sgpr42_sgpr43
                                        ; implicit-def: $sgpr44_sgpr45
                                        ; implicit-def: $sgpr58_sgpr59
                                        ; implicit-def: $sgpr60_sgpr61
	s_branch .LBB1115_1008
.LBB1115_1007:                          ;   in Loop: Header=BB1115_1008 Depth=1
	s_or_b64 exec, exec, s[60:61]
	s_and_b64 s[12:13], exec, s[12:13]
	s_or_b64 s[40:41], s[12:13], s[40:41]
	s_andn2_b64 s[12:13], s[42:43], exec
	s_and_b64 s[42:43], s[44:45], exec
	s_or_b64 s[42:43], s[12:13], s[42:43]
	s_andn2_b64 s[12:13], s[20:21], exec
	s_and_b64 s[20:21], s[58:59], exec
	s_or_b64 s[20:21], s[12:13], s[20:21]
	s_mov_b64 s[60:61], s[58:59]
	s_andn2_b64 exec, exec, s[40:41]
	s_cbranch_execz .LBB1115_1012
.LBB1115_1008:                          ; =>This Inner Loop Header: Depth=1
	flat_load_ushort v35, v[30:31]
	flat_load_ushort v36, v[2:3]
	s_or_b64 s[58:59], s[58:59], exec
	s_mov_b64 s[62:63], 0
	s_waitcnt vmcnt(0) lgkmcnt(0)
	v_lshlrev_b32_e32 v35, 16, v35
	v_lshlrev_b32_e32 v36, 16, v36
	v_cmp_nlt_f32_e64 s[12:13], v35, v36
	s_and_saveexec_b64 s[72:73], s[12:13]
; %bb.1009:                             ;   in Loop: Header=BB1115_1008 Depth=1
	v_cmp_ngt_f32_e64 s[12:13], v35, v36
	s_and_b64 s[60:61], s[12:13], s[60:61]
	s_andn2_b64 s[58:59], s[58:59], exec
	s_and_b64 s[60:61], s[60:61], exec
	s_or_b64 s[58:59], s[58:59], s[60:61]
	s_and_b64 s[62:63], s[12:13], exec
; %bb.1010:                             ;   in Loop: Header=BB1115_1008 Depth=1
	s_or_b64 exec, exec, s[72:73]
	s_mov_b64 s[12:13], -1
	s_or_b64 s[44:45], s[44:45], exec
	s_and_saveexec_b64 s[60:61], s[62:63]
	s_cbranch_execz .LBB1115_1007
; %bb.1011:                             ;   in Loop: Header=BB1115_1008 Depth=1
	v_lshl_add_u64 v[32:33], v[32:33], 0, -1
	v_cmp_eq_u64_e64 s[12:13], 0, v[32:33]
	v_lshl_add_u64 v[2:3], v[2:3], 0, 2
	v_lshl_add_u64 v[30:31], v[30:31], 0, 2
	s_andn2_b64 s[44:45], s[44:45], exec
	s_orn2_b64 s[12:13], s[12:13], exec
	s_branch .LBB1115_1007
.LBB1115_1012:
	s_or_b64 exec, exec, s[40:41]
	s_and_saveexec_b64 s[12:13], s[42:43]
	s_xor_b64 s[12:13], exec, s[12:13]
; %bb.1013:
	v_cndmask_b32_e64 v3, v25, v19, s[20:21]
	v_cndmask_b32_e64 v2, v24, v18, s[20:21]
	;; [unrolled: 1-line block ×4, first 2 shown]
	v_mov_b64_e32 v[24:25], v[2:3]
; %bb.1014:
	s_or_b64 exec, exec, s[12:13]
	s_or_b64 exec, exec, s[18:19]
	s_and_saveexec_b64 s[18:19], s[46:47]
	s_cbranch_execz .LBB1115_834
.LBB1115_1015:
	v_mul_lo_u32 v30, v21, v6
	v_mul_lo_u32 v31, v20, v7
	v_mad_u64_u32 v[2:3], s[12:13], v20, v6, 0
	v_add3_u32 v3, v3, v31, v30
	v_mul_lo_u32 v32, v15, v6
	v_mul_lo_u32 v33, v14, v7
	v_mad_u64_u32 v[30:31], s[12:13], v14, v6, 0
	v_add3_u32 v31, v31, v33, v32
	v_lshl_add_u64 v[2:3], v[2:3], 1, v[8:9]
	v_lshl_add_u64 v[30:31], v[30:31], 1, v[8:9]
	s_mov_b64 s[40:41], 0
	v_mov_b64_e32 v[32:33], v[6:7]
                                        ; implicit-def: $sgpr20_sgpr21
                                        ; implicit-def: $sgpr42_sgpr43
                                        ; implicit-def: $sgpr44_sgpr45
                                        ; implicit-def: $sgpr46_sgpr47
                                        ; implicit-def: $sgpr58_sgpr59
	s_branch .LBB1115_1017
.LBB1115_1016:                          ;   in Loop: Header=BB1115_1017 Depth=1
	s_or_b64 exec, exec, s[58:59]
	s_and_b64 s[12:13], exec, s[12:13]
	s_or_b64 s[40:41], s[12:13], s[40:41]
	s_andn2_b64 s[12:13], s[42:43], exec
	s_and_b64 s[42:43], s[44:45], exec
	s_or_b64 s[42:43], s[12:13], s[42:43]
	s_andn2_b64 s[12:13], s[20:21], exec
	s_and_b64 s[20:21], s[46:47], exec
	s_or_b64 s[20:21], s[12:13], s[20:21]
	s_mov_b64 s[58:59], s[46:47]
	s_andn2_b64 exec, exec, s[40:41]
	s_cbranch_execz .LBB1115_1021
.LBB1115_1017:                          ; =>This Inner Loop Header: Depth=1
	flat_load_ushort v35, v[30:31]
	flat_load_ushort v36, v[2:3]
	s_or_b64 s[46:47], s[46:47], exec
	s_mov_b64 s[60:61], 0
	s_waitcnt vmcnt(0) lgkmcnt(0)
	v_lshlrev_b32_e32 v35, 16, v35
	v_lshlrev_b32_e32 v36, 16, v36
	v_cmp_nlt_f32_e64 s[12:13], v35, v36
	s_and_saveexec_b64 s[62:63], s[12:13]
; %bb.1018:                             ;   in Loop: Header=BB1115_1017 Depth=1
	v_cmp_ngt_f32_e64 s[12:13], v35, v36
	s_and_b64 s[58:59], s[12:13], s[58:59]
	s_andn2_b64 s[46:47], s[46:47], exec
	s_and_b64 s[58:59], s[58:59], exec
	s_or_b64 s[46:47], s[46:47], s[58:59]
	s_and_b64 s[60:61], s[12:13], exec
; %bb.1019:                             ;   in Loop: Header=BB1115_1017 Depth=1
	s_or_b64 exec, exec, s[62:63]
	s_mov_b64 s[12:13], -1
	s_or_b64 s[44:45], s[44:45], exec
	s_and_saveexec_b64 s[58:59], s[60:61]
	s_cbranch_execz .LBB1115_1016
; %bb.1020:                             ;   in Loop: Header=BB1115_1017 Depth=1
	v_lshl_add_u64 v[32:33], v[32:33], 0, -1
	v_cmp_eq_u64_e64 s[12:13], 0, v[32:33]
	v_lshl_add_u64 v[2:3], v[2:3], 0, 2
	v_lshl_add_u64 v[30:31], v[30:31], 0, 2
	s_andn2_b64 s[44:45], s[44:45], exec
	s_orn2_b64 s[12:13], s[12:13], exec
	s_branch .LBB1115_1016
.LBB1115_1021:
	s_or_b64 exec, exec, s[40:41]
	s_and_saveexec_b64 s[12:13], s[42:43]
	s_xor_b64 s[12:13], exec, s[12:13]
; %bb.1022:
	v_cndmask_b32_e64 v3, v21, v15, s[20:21]
	v_cndmask_b32_e64 v2, v20, v14, s[20:21]
	;; [unrolled: 1-line block ×4, first 2 shown]
	v_mov_b64_e32 v[20:21], v[2:3]
; %bb.1023:
	s_or_b64 exec, exec, s[12:13]
	s_or_b64 exec, exec, s[18:19]
	s_and_saveexec_b64 s[18:19], s[56:57]
	s_cbranch_execz .LBB1115_1033
.LBB1115_1024:
	v_mul_lo_u32 v30, v17, v6
	v_mul_lo_u32 v31, v16, v7
	v_mad_u64_u32 v[2:3], s[12:13], v16, v6, 0
	v_add3_u32 v3, v3, v31, v30
	v_mul_lo_u32 v32, v11, v6
	v_mul_lo_u32 v33, v10, v7
	v_mad_u64_u32 v[30:31], s[12:13], v10, v6, 0
	v_add3_u32 v31, v31, v33, v32
	v_lshl_add_u64 v[2:3], v[2:3], 1, v[8:9]
	v_lshl_add_u64 v[30:31], v[30:31], 1, v[8:9]
	s_mov_b64 s[40:41], 0
	v_mov_b64_e32 v[32:33], v[6:7]
                                        ; implicit-def: $sgpr20_sgpr21
                                        ; implicit-def: $sgpr42_sgpr43
                                        ; implicit-def: $sgpr44_sgpr45
                                        ; implicit-def: $sgpr46_sgpr47
                                        ; implicit-def: $sgpr56_sgpr57
	s_branch .LBB1115_1026
.LBB1115_1025:                          ;   in Loop: Header=BB1115_1026 Depth=1
	s_or_b64 exec, exec, s[56:57]
	s_and_b64 s[12:13], exec, s[12:13]
	s_or_b64 s[40:41], s[12:13], s[40:41]
	s_andn2_b64 s[12:13], s[42:43], exec
	s_and_b64 s[42:43], s[44:45], exec
	s_or_b64 s[42:43], s[12:13], s[42:43]
	s_andn2_b64 s[12:13], s[20:21], exec
	s_and_b64 s[20:21], s[46:47], exec
	s_or_b64 s[20:21], s[12:13], s[20:21]
	s_mov_b64 s[56:57], s[46:47]
	s_andn2_b64 exec, exec, s[40:41]
	s_cbranch_execz .LBB1115_1030
.LBB1115_1026:                          ; =>This Inner Loop Header: Depth=1
	flat_load_ushort v35, v[30:31]
	flat_load_ushort v36, v[2:3]
	s_or_b64 s[46:47], s[46:47], exec
	s_mov_b64 s[58:59], 0
	s_waitcnt vmcnt(0) lgkmcnt(0)
	v_lshlrev_b32_e32 v35, 16, v35
	v_lshlrev_b32_e32 v36, 16, v36
	v_cmp_nlt_f32_e64 s[12:13], v35, v36
	s_and_saveexec_b64 s[60:61], s[12:13]
; %bb.1027:                             ;   in Loop: Header=BB1115_1026 Depth=1
	v_cmp_ngt_f32_e64 s[12:13], v35, v36
	s_and_b64 s[56:57], s[12:13], s[56:57]
	s_andn2_b64 s[46:47], s[46:47], exec
	s_and_b64 s[56:57], s[56:57], exec
	s_or_b64 s[46:47], s[46:47], s[56:57]
	s_and_b64 s[58:59], s[12:13], exec
; %bb.1028:                             ;   in Loop: Header=BB1115_1026 Depth=1
	s_or_b64 exec, exec, s[60:61]
	s_mov_b64 s[12:13], -1
	s_or_b64 s[44:45], s[44:45], exec
	s_and_saveexec_b64 s[56:57], s[58:59]
	s_cbranch_execz .LBB1115_1025
; %bb.1029:                             ;   in Loop: Header=BB1115_1026 Depth=1
	v_lshl_add_u64 v[32:33], v[32:33], 0, -1
	v_cmp_eq_u64_e64 s[12:13], 0, v[32:33]
	v_lshl_add_u64 v[2:3], v[2:3], 0, 2
	v_lshl_add_u64 v[30:31], v[30:31], 0, 2
	s_andn2_b64 s[44:45], s[44:45], exec
	s_orn2_b64 s[12:13], s[12:13], exec
	s_branch .LBB1115_1025
.LBB1115_1030:
	s_or_b64 exec, exec, s[40:41]
	s_and_saveexec_b64 s[12:13], s[42:43]
	s_xor_b64 s[12:13], exec, s[12:13]
; %bb.1031:
	v_cndmask_b32_e64 v3, v17, v11, s[20:21]
	v_cndmask_b32_e64 v2, v16, v10, s[20:21]
	;; [unrolled: 1-line block ×4, first 2 shown]
	v_mov_b64_e32 v[16:17], v[2:3]
; %bb.1032:
	s_or_b64 exec, exec, s[12:13]
.LBB1115_1033:
	s_or_b64 exec, exec, s[18:19]
	v_mbcnt_lo_u32_b32 v2, -1, 0
	s_mov_b64 s[12:13], src_shared_base
	v_mbcnt_hi_u32_b32 v32, -1, v2
	v_mov_b32_e32 v35, 0
	v_and_b32_e32 v34, 0xfffffe00, v34
	v_mov_b32_e32 v3, s13
	v_mov_b32_e32 v2, v35
	v_lshlrev_b32_e32 v51, 3, v32
	v_sub_u32_e64 v50, v0, v34 clamp
	v_lshl_add_u64 v[30:31], v[34:35], 3, v[2:3]
	v_or_b32_e32 v2, 8, v51
	v_min_u32_e32 v97, v50, v2
	v_add_u32_e32 v2, 8, v97
	v_and_b32_e32 v99, 0x3f0, v51
	v_min_u32_e32 v98, v50, v2
	v_and_b32_e32 v2, 8, v51
	v_min_u32_e32 v100, v50, v2
	v_sub_u32_e32 v2, v97, v99
	v_sub_u32_e32 v3, v98, v97
	v_sub_u32_e64 v101, v100, v3 clamp
	v_min_u32_e32 v82, v100, v2
	v_lshl_add_u32 v81, v32, 6, v30
	v_cmp_lt_u32_e64 s[12:13], v101, v82
	v_lshlrev_b64 v[2:3], 1, v[6:7]
	ds_write2_b64 v81, v[22:23], v[24:25] offset1:1
	ds_write2_b64 v81, v[18:19], v[20:21] offset0:2 offset1:3
	ds_write2_b64 v81, v[14:15], v[16:17] offset0:4 offset1:5
	;; [unrolled: 1-line block ×3, first 2 shown]
	; wave barrier
	s_and_saveexec_b64 s[18:19], s[12:13]
	s_cbranch_execz .LBB1115_1045
; %bb.1034:
	v_lshlrev_b32_e32 v34, 3, v99
	v_lshl_add_u64 v[32:33], v[30:31], 0, v[34:35]
	v_lshlrev_b32_e32 v34, 3, v97
	v_lshl_add_u64 v[34:35], v[30:31], 0, v[34:35]
	s_mov_b64 s[20:21], 0
	s_branch .LBB1115_1037
.LBB1115_1035:                          ;   in Loop: Header=BB1115_1037 Depth=1
	s_or_b64 exec, exec, s[42:43]
	s_and_b64 s[12:13], s[44:45], exec
.LBB1115_1036:                          ;   in Loop: Header=BB1115_1037 Depth=1
	s_or_b64 exec, exec, s[40:41]
	v_add_u32_e32 v35, 1, v33
	v_cndmask_b32_e64 v82, v82, v33, s[12:13]
	v_cndmask_b32_e64 v101, v35, v101, s[12:13]
	v_cmp_ge_u32_e64 s[12:13], v101, v82
	s_or_b64 s[20:21], s[12:13], s[20:21]
	s_andn2_b64 exec, exec, s[20:21]
	s_cbranch_execz .LBB1115_1044
.LBB1115_1037:                          ; =>This Loop Header: Depth=1
                                        ;     Child Loop BB1115_1040 Depth 2
	v_add_u32_e32 v33, v82, v101
	v_lshrrev_b32_e32 v33, 1, v33
	s_mov_b64 s[12:13], 0
	s_and_saveexec_b64 s[40:41], s[16:17]
	s_cbranch_execz .LBB1115_1036
; %bb.1038:                             ;   in Loop: Header=BB1115_1037 Depth=1
	v_lshl_add_u32 v35, v33, 3, v32
	ds_read_b64 v[36:37], v35
	v_xad_u32 v35, v33, -1, v100
	v_lshl_add_u32 v35, v35, 3, v34
	ds_read_b64 v[38:39], v35
	s_mov_b64 s[42:43], 0
	s_waitcnt lgkmcnt(1)
	v_mul_lo_u32 v35, v2, v37
	v_mul_lo_u32 v48, v3, v36
	v_mad_u64_u32 v[36:37], s[12:13], v2, v36, v[8:9]
	v_add3_u32 v37, v48, v37, v35
	s_waitcnt lgkmcnt(0)
	v_mul_lo_u32 v35, v2, v39
	v_mul_lo_u32 v48, v3, v38
	v_mad_u64_u32 v[38:39], s[12:13], v2, v38, v[8:9]
	v_add3_u32 v39, v48, v39, v35
	v_mov_b64_e32 v[48:49], v[6:7]
                                        ; implicit-def: $sgpr44_sgpr45
                                        ; implicit-def: $sgpr46_sgpr47
                                        ; implicit-def: $sgpr60_sgpr61
	s_branch .LBB1115_1040
.LBB1115_1039:                          ;   in Loop: Header=BB1115_1040 Depth=2
	s_or_b64 exec, exec, s[60:61]
	s_and_b64 s[12:13], exec, s[58:59]
	s_or_b64 s[42:43], s[12:13], s[42:43]
	s_andn2_b64 s[12:13], s[44:45], exec
	s_and_b64 s[44:45], s[46:47], exec
	s_or_b64 s[44:45], s[12:13], s[44:45]
	s_mov_b64 s[60:61], s[56:57]
	s_andn2_b64 exec, exec, s[42:43]
	s_cbranch_execz .LBB1115_1035
.LBB1115_1040:                          ;   Parent Loop BB1115_1037 Depth=1
                                        ; =>  This Inner Loop Header: Depth=2
	flat_load_ushort v35, v[38:39]
	flat_load_ushort v83, v[36:37]
	s_mov_b64 s[58:59], -1
	s_mov_b64 s[62:63], 0
	s_mov_b64 s[56:57], -1
	s_waitcnt vmcnt(0) lgkmcnt(0)
	v_lshlrev_b32_e32 v35, 16, v35
	v_lshlrev_b32_e32 v83, 16, v83
	v_cmp_nlt_f32_e64 s[12:13], v35, v83
	s_and_saveexec_b64 s[72:73], s[12:13]
; %bb.1041:                             ;   in Loop: Header=BB1115_1040 Depth=2
	v_cmp_ngt_f32_e64 s[12:13], v35, v83
	s_and_b64 s[56:57], s[12:13], s[60:61]
	s_orn2_b64 s[56:57], s[56:57], exec
	s_and_b64 s[62:63], s[12:13], exec
; %bb.1042:                             ;   in Loop: Header=BB1115_1040 Depth=2
	s_or_b64 exec, exec, s[72:73]
	s_andn2_b64 s[12:13], s[46:47], exec
	s_and_b64 s[46:47], s[56:57], exec
	s_or_b64 s[46:47], s[12:13], s[46:47]
	s_and_saveexec_b64 s[60:61], s[62:63]
	s_cbranch_execz .LBB1115_1039
; %bb.1043:                             ;   in Loop: Header=BB1115_1040 Depth=2
	v_lshl_add_u64 v[48:49], v[48:49], 0, -1
	v_cmp_eq_u64_e64 s[12:13], 0, v[48:49]
	v_lshl_add_u64 v[36:37], v[36:37], 0, 2
	v_lshl_add_u64 v[38:39], v[38:39], 0, 2
	s_andn2_b64 s[46:47], s[46:47], exec
	s_orn2_b64 s[58:59], s[12:13], exec
	s_branch .LBB1115_1039
.LBB1115_1044:
	s_or_b64 exec, exec, s[20:21]
.LBB1115_1045:
	s_or_b64 exec, exec, s[18:19]
	v_add_u32_e32 v32, v97, v100
	v_add_u32_e32 v33, v101, v99
	v_sub_u32_e32 v34, v32, v101
	v_cmp_le_u32_e64 s[12:13], v33, v97
	v_cmp_le_u32_e64 s[18:19], v34, v98
	v_add_u32_e32 v82, 8, v81
	v_add_u32_e32 v83, 16, v81
	;; [unrolled: 1-line block ×7, first 2 shown]
	s_or_b64 s[12:13], s[12:13], s[18:19]
	s_and_saveexec_b64 s[40:41], s[12:13]
	s_cbranch_execz .LBB1115_1129
; %bb.1046:
	v_cmp_ge_u32_e64 s[18:19], v33, v97
	v_cmp_lt_u32_e64 s[12:13], v33, v97
                                        ; implicit-def: $vgpr10_vgpr11
	s_and_saveexec_b64 s[20:21], s[12:13]
; %bb.1047:
	v_lshl_add_u32 v10, v33, 3, v30
	ds_read_b64 v[10:11], v10
; %bb.1048:
	s_or_b64 exec, exec, s[20:21]
	v_cmp_ge_u32_e64 s[20:21], v34, v98
	v_cmp_lt_u32_e64 s[12:13], v34, v98
                                        ; implicit-def: $vgpr12_vgpr13
	s_and_saveexec_b64 s[42:43], s[12:13]
; %bb.1049:
	v_lshl_add_u32 v12, v34, 3, v30
	ds_read_b64 v[12:13], v12
; %bb.1050:
	s_or_b64 exec, exec, s[42:43]
	s_or_b64 s[12:13], s[18:19], s[20:21]
	s_xor_b64 s[18:19], s[18:19], -1
	s_nor_b64 s[12:13], s[12:13], s[8:9]
	s_or_b64 s[18:19], s[20:21], s[18:19]
	s_and_saveexec_b64 s[20:21], s[12:13]
	s_cbranch_execz .LBB1115_1058
; %bb.1051:
	s_waitcnt lgkmcnt(0)
	v_mul_lo_u32 v16, v11, v6
	v_mul_lo_u32 v17, v10, v7
	v_mad_u64_u32 v[14:15], s[12:13], v10, v6, 0
	v_add3_u32 v15, v15, v17, v16
	v_mul_lo_u32 v18, v13, v6
	v_mul_lo_u32 v19, v12, v7
	v_mad_u64_u32 v[16:17], s[12:13], v12, v6, 0
	v_add3_u32 v17, v17, v19, v18
	v_lshl_add_u64 v[14:15], v[14:15], 1, v[8:9]
	v_lshl_add_u64 v[16:17], v[16:17], 1, v[8:9]
	s_mov_b64 s[42:43], 0
	v_mov_b64_e32 v[18:19], v[6:7]
                                        ; implicit-def: $sgpr44_sgpr45
                                        ; implicit-def: $sgpr46_sgpr47
                                        ; implicit-def: $sgpr60_sgpr61
	s_branch .LBB1115_1053
.LBB1115_1052:                          ;   in Loop: Header=BB1115_1053 Depth=1
	s_or_b64 exec, exec, s[60:61]
	s_and_b64 s[12:13], exec, s[58:59]
	s_or_b64 s[42:43], s[12:13], s[42:43]
	s_andn2_b64 s[12:13], s[44:45], exec
	s_and_b64 s[44:45], s[46:47], exec
	s_or_b64 s[44:45], s[12:13], s[44:45]
	s_mov_b64 s[60:61], s[56:57]
	s_andn2_b64 exec, exec, s[42:43]
	s_cbranch_execz .LBB1115_1057
.LBB1115_1053:                          ; =>This Inner Loop Header: Depth=1
	flat_load_ushort v20, v[16:17]
	flat_load_ushort v21, v[14:15]
	s_mov_b64 s[58:59], -1
	s_mov_b64 s[62:63], 0
	s_mov_b64 s[56:57], -1
	s_waitcnt vmcnt(0) lgkmcnt(0)
	v_lshlrev_b32_e32 v20, 16, v20
	v_lshlrev_b32_e32 v21, 16, v21
	v_cmp_nlt_f32_e64 s[12:13], v20, v21
	s_and_saveexec_b64 s[72:73], s[12:13]
; %bb.1054:                             ;   in Loop: Header=BB1115_1053 Depth=1
	v_cmp_ngt_f32_e64 s[12:13], v20, v21
	s_and_b64 s[56:57], s[12:13], s[60:61]
	s_orn2_b64 s[56:57], s[56:57], exec
	s_and_b64 s[62:63], s[12:13], exec
; %bb.1055:                             ;   in Loop: Header=BB1115_1053 Depth=1
	s_or_b64 exec, exec, s[72:73]
	s_andn2_b64 s[12:13], s[46:47], exec
	s_and_b64 s[46:47], s[56:57], exec
	s_or_b64 s[46:47], s[12:13], s[46:47]
	s_and_saveexec_b64 s[60:61], s[62:63]
	s_cbranch_execz .LBB1115_1052
; %bb.1056:                             ;   in Loop: Header=BB1115_1053 Depth=1
	v_lshl_add_u64 v[18:19], v[18:19], 0, -1
	v_cmp_eq_u64_e64 s[12:13], 0, v[18:19]
	v_lshl_add_u64 v[14:15], v[14:15], 0, 2
	v_lshl_add_u64 v[16:17], v[16:17], 0, 2
	s_andn2_b64 s[46:47], s[46:47], exec
	s_orn2_b64 s[58:59], s[12:13], exec
	s_branch .LBB1115_1052
.LBB1115_1057:
	s_or_b64 exec, exec, s[42:43]
	s_xor_b64 s[12:13], s[44:45], -1
	s_andn2_b64 s[18:19], s[18:19], exec
	s_and_b64 s[12:13], s[12:13], exec
	s_or_b64 s[18:19], s[18:19], s[12:13]
.LBB1115_1058:
	s_or_b64 exec, exec, s[20:21]
	v_cndmask_b32_e64 v14, v34, v33, s[18:19]
	v_cndmask_b32_e64 v15, v98, v97, s[18:19]
	v_add_u32_e32 v16, 1, v14
	v_add_u32_e32 v14, -1, v15
	v_min_u32_e32 v14, v16, v14
	v_lshl_add_u32 v14, v14, 3, v30
	ds_read_b64 v[14:15], v14
	v_cndmask_b32_e64 v20, v16, v34, s[18:19]
	v_cndmask_b32_e64 v21, v33, v16, s[18:19]
	v_cmp_lt_u32_e64 s[12:13], v20, v98
	s_mov_b64 s[42:43], -1
	s_waitcnt lgkmcnt(0)
	v_cndmask_b32_e64 v22, v15, v13, s[18:19]
	v_cndmask_b32_e64 v23, v14, v12, s[18:19]
	;; [unrolled: 1-line block ×4, first 2 shown]
	s_mov_b64 s[20:21], -1
	s_and_saveexec_b64 s[44:45], s[12:13]
	s_cbranch_execz .LBB1115_1068
; %bb.1059:
	v_cmp_lt_u32_e64 s[20:21], v21, v97
	s_and_b64 s[12:13], s[20:21], s[28:29]
	s_and_saveexec_b64 s[46:47], s[12:13]
	s_cbranch_execz .LBB1115_1067
; %bb.1060:
	v_mul_lo_u32 v16, v24, v6
	v_mul_lo_u32 v17, v32, v7
	v_mad_u64_u32 v[14:15], s[12:13], v32, v6, 0
	v_add3_u32 v15, v15, v17, v16
	v_mul_lo_u32 v18, v22, v6
	v_mul_lo_u32 v19, v23, v7
	v_mad_u64_u32 v[16:17], s[12:13], v23, v6, 0
	v_add3_u32 v17, v17, v19, v18
	v_lshl_add_u64 v[14:15], v[14:15], 1, v[8:9]
	v_lshl_add_u64 v[16:17], v[16:17], 1, v[8:9]
	s_mov_b64 s[56:57], 0
	v_mov_b64_e32 v[18:19], v[6:7]
                                        ; implicit-def: $sgpr58_sgpr59
                                        ; implicit-def: $sgpr60_sgpr61
                                        ; implicit-def: $sgpr74_sgpr75
	s_branch .LBB1115_1062
.LBB1115_1061:                          ;   in Loop: Header=BB1115_1062 Depth=1
	s_or_b64 exec, exec, s[74:75]
	s_and_b64 s[12:13], exec, s[72:73]
	s_or_b64 s[56:57], s[12:13], s[56:57]
	s_andn2_b64 s[12:13], s[58:59], exec
	s_and_b64 s[58:59], s[60:61], exec
	s_or_b64 s[58:59], s[12:13], s[58:59]
	s_mov_b64 s[74:75], s[62:63]
	s_andn2_b64 exec, exec, s[56:57]
	s_cbranch_execz .LBB1115_1066
.LBB1115_1062:                          ; =>This Inner Loop Header: Depth=1
	flat_load_ushort v25, v[16:17]
	flat_load_ushort v33, v[14:15]
	s_mov_b64 s[72:73], -1
	s_mov_b64 s[76:77], 0
	s_mov_b64 s[62:63], -1
	s_waitcnt vmcnt(0) lgkmcnt(0)
	v_lshlrev_b32_e32 v25, 16, v25
	v_lshlrev_b32_e32 v33, 16, v33
	v_cmp_nlt_f32_e64 s[12:13], v25, v33
	s_and_saveexec_b64 s[78:79], s[12:13]
; %bb.1063:                             ;   in Loop: Header=BB1115_1062 Depth=1
	v_cmp_ngt_f32_e64 s[12:13], v25, v33
	s_and_b64 s[62:63], s[12:13], s[74:75]
	s_orn2_b64 s[62:63], s[62:63], exec
	s_and_b64 s[76:77], s[12:13], exec
; %bb.1064:                             ;   in Loop: Header=BB1115_1062 Depth=1
	s_or_b64 exec, exec, s[78:79]
	s_andn2_b64 s[12:13], s[60:61], exec
	s_and_b64 s[60:61], s[62:63], exec
	s_or_b64 s[60:61], s[12:13], s[60:61]
	s_and_saveexec_b64 s[74:75], s[76:77]
	s_cbranch_execz .LBB1115_1061
; %bb.1065:                             ;   in Loop: Header=BB1115_1062 Depth=1
	v_lshl_add_u64 v[18:19], v[18:19], 0, -1
	v_cmp_eq_u64_e64 s[12:13], 0, v[18:19]
	v_lshl_add_u64 v[14:15], v[14:15], 0, 2
	v_lshl_add_u64 v[16:17], v[16:17], 0, 2
	s_andn2_b64 s[60:61], s[60:61], exec
	s_orn2_b64 s[72:73], s[12:13], exec
	s_branch .LBB1115_1061
.LBB1115_1066:
	s_or_b64 exec, exec, s[56:57]
	s_xor_b64 s[12:13], s[58:59], -1
	s_andn2_b64 s[20:21], s[20:21], exec
	s_and_b64 s[12:13], s[12:13], exec
	s_or_b64 s[20:21], s[20:21], s[12:13]
.LBB1115_1067:
	s_or_b64 exec, exec, s[46:47]
	s_orn2_b64 s[20:21], s[20:21], exec
.LBB1115_1068:
	s_or_b64 exec, exec, s[44:45]
	v_cndmask_b32_e64 v14, v20, v21, s[20:21]
	v_cndmask_b32_e64 v15, v98, v97, s[20:21]
	v_add_u32_e32 v16, 1, v14
	v_add_u32_e32 v14, -1, v15
	v_min_u32_e32 v14, v16, v14
	v_lshl_add_u32 v14, v14, 3, v30
	ds_read_b64 v[14:15], v14
	v_cndmask_b32_e64 v38, v16, v20, s[20:21]
	v_cndmask_b32_e64 v39, v21, v16, s[20:21]
	v_cmp_lt_u32_e64 s[12:13], v38, v98
	s_waitcnt lgkmcnt(0)
	v_cndmask_b32_e64 v25, v15, v22, s[20:21]
	v_cndmask_b32_e64 v33, v14, v23, s[20:21]
	;; [unrolled: 1-line block ×4, first 2 shown]
	s_and_saveexec_b64 s[44:45], s[12:13]
	s_cbranch_execz .LBB1115_1078
; %bb.1069:
	v_cmp_lt_u32_e64 s[42:43], v39, v97
	s_and_b64 s[12:13], s[42:43], s[28:29]
	s_and_saveexec_b64 s[46:47], s[12:13]
	s_cbranch_execz .LBB1115_1077
; %bb.1070:
	v_mul_lo_u32 v16, v34, v6
	v_mul_lo_u32 v17, v35, v7
	v_mad_u64_u32 v[14:15], s[12:13], v35, v6, 0
	v_add3_u32 v15, v15, v17, v16
	v_mul_lo_u32 v18, v25, v6
	v_mul_lo_u32 v19, v33, v7
	v_mad_u64_u32 v[16:17], s[12:13], v33, v6, 0
	v_add3_u32 v17, v17, v19, v18
	v_lshl_add_u64 v[14:15], v[14:15], 1, v[8:9]
	v_lshl_add_u64 v[16:17], v[16:17], 1, v[8:9]
	s_mov_b64 s[56:57], 0
	v_mov_b64_e32 v[18:19], v[6:7]
                                        ; implicit-def: $sgpr58_sgpr59
                                        ; implicit-def: $sgpr60_sgpr61
                                        ; implicit-def: $sgpr74_sgpr75
	s_branch .LBB1115_1072
.LBB1115_1071:                          ;   in Loop: Header=BB1115_1072 Depth=1
	s_or_b64 exec, exec, s[74:75]
	s_and_b64 s[12:13], exec, s[72:73]
	s_or_b64 s[56:57], s[12:13], s[56:57]
	s_andn2_b64 s[12:13], s[58:59], exec
	s_and_b64 s[58:59], s[60:61], exec
	s_or_b64 s[58:59], s[12:13], s[58:59]
	s_mov_b64 s[74:75], s[62:63]
	s_andn2_b64 exec, exec, s[56:57]
	s_cbranch_execz .LBB1115_1076
.LBB1115_1072:                          ; =>This Inner Loop Header: Depth=1
	flat_load_ushort v20, v[16:17]
	flat_load_ushort v21, v[14:15]
	s_mov_b64 s[72:73], -1
	s_mov_b64 s[76:77], 0
	s_mov_b64 s[62:63], -1
	s_waitcnt vmcnt(0) lgkmcnt(0)
	v_lshlrev_b32_e32 v20, 16, v20
	v_lshlrev_b32_e32 v21, 16, v21
	v_cmp_nlt_f32_e64 s[12:13], v20, v21
	s_and_saveexec_b64 s[78:79], s[12:13]
; %bb.1073:                             ;   in Loop: Header=BB1115_1072 Depth=1
	v_cmp_ngt_f32_e64 s[12:13], v20, v21
	s_and_b64 s[62:63], s[12:13], s[74:75]
	s_orn2_b64 s[62:63], s[62:63], exec
	s_and_b64 s[76:77], s[12:13], exec
; %bb.1074:                             ;   in Loop: Header=BB1115_1072 Depth=1
	s_or_b64 exec, exec, s[78:79]
	s_andn2_b64 s[12:13], s[60:61], exec
	s_and_b64 s[60:61], s[62:63], exec
	s_or_b64 s[60:61], s[12:13], s[60:61]
	s_and_saveexec_b64 s[74:75], s[76:77]
	s_cbranch_execz .LBB1115_1071
; %bb.1075:                             ;   in Loop: Header=BB1115_1072 Depth=1
	v_lshl_add_u64 v[18:19], v[18:19], 0, -1
	v_cmp_eq_u64_e64 s[12:13], 0, v[18:19]
	v_lshl_add_u64 v[14:15], v[14:15], 0, 2
	v_lshl_add_u64 v[16:17], v[16:17], 0, 2
	s_andn2_b64 s[60:61], s[60:61], exec
	s_orn2_b64 s[72:73], s[12:13], exec
	s_branch .LBB1115_1071
.LBB1115_1076:
	s_or_b64 exec, exec, s[56:57]
	s_xor_b64 s[12:13], s[58:59], -1
	s_andn2_b64 s[42:43], s[42:43], exec
	s_and_b64 s[12:13], s[12:13], exec
	s_or_b64 s[42:43], s[42:43], s[12:13]
.LBB1115_1077:
	s_or_b64 exec, exec, s[46:47]
	s_orn2_b64 s[42:43], s[42:43], exec
.LBB1115_1078:
	s_or_b64 exec, exec, s[44:45]
	v_cndmask_b32_e64 v14, v38, v39, s[42:43]
	v_cndmask_b32_e64 v15, v98, v97, s[42:43]
	v_add_u32_e32 v16, 1, v14
	v_add_u32_e32 v14, -1, v15
	v_min_u32_e32 v14, v16, v14
	v_lshl_add_u32 v14, v14, 3, v30
	ds_read_b64 v[14:15], v14
	v_cndmask_b32_e64 v99, v16, v38, s[42:43]
	v_cndmask_b32_e64 v100, v39, v16, s[42:43]
	v_cmp_lt_u32_e64 s[12:13], v99, v98
	s_mov_b64 s[46:47], -1
	s_waitcnt lgkmcnt(0)
	v_cndmask_b32_e64 v20, v15, v25, s[42:43]
	v_cndmask_b32_e64 v36, v14, v33, s[42:43]
	;; [unrolled: 1-line block ×4, first 2 shown]
	s_mov_b64 s[44:45], -1
	s_and_saveexec_b64 s[56:57], s[12:13]
	s_cbranch_execz .LBB1115_1088
; %bb.1079:
	v_cmp_lt_u32_e64 s[44:45], v100, v97
	s_and_b64 s[12:13], s[44:45], s[28:29]
	s_and_saveexec_b64 s[58:59], s[12:13]
	s_cbranch_execz .LBB1115_1087
; %bb.1080:
	v_mul_lo_u32 v16, v21, v6
	v_mul_lo_u32 v17, v37, v7
	v_mad_u64_u32 v[14:15], s[12:13], v37, v6, 0
	v_add3_u32 v15, v15, v17, v16
	v_mul_lo_u32 v18, v20, v6
	v_mul_lo_u32 v19, v36, v7
	v_mad_u64_u32 v[16:17], s[12:13], v36, v6, 0
	v_add3_u32 v17, v17, v19, v18
	v_lshl_add_u64 v[14:15], v[14:15], 1, v[8:9]
	v_lshl_add_u64 v[16:17], v[16:17], 1, v[8:9]
	s_mov_b64 s[60:61], 0
	v_mov_b64_e32 v[18:19], v[6:7]
                                        ; implicit-def: $sgpr62_sgpr63
                                        ; implicit-def: $sgpr72_sgpr73
                                        ; implicit-def: $sgpr78_sgpr79
	s_branch .LBB1115_1082
.LBB1115_1081:                          ;   in Loop: Header=BB1115_1082 Depth=1
	s_or_b64 exec, exec, s[78:79]
	s_and_b64 s[12:13], exec, s[76:77]
	s_or_b64 s[60:61], s[12:13], s[60:61]
	s_andn2_b64 s[12:13], s[62:63], exec
	s_and_b64 s[62:63], s[72:73], exec
	s_or_b64 s[62:63], s[12:13], s[62:63]
	s_mov_b64 s[78:79], s[74:75]
	s_andn2_b64 exec, exec, s[60:61]
	s_cbranch_execz .LBB1115_1086
.LBB1115_1082:                          ; =>This Inner Loop Header: Depth=1
	flat_load_ushort v38, v[16:17]
	flat_load_ushort v39, v[14:15]
	s_mov_b64 s[76:77], -1
	s_mov_b64 s[88:89], 0
	s_mov_b64 s[74:75], -1
	s_waitcnt vmcnt(0) lgkmcnt(0)
	v_lshlrev_b32_e32 v38, 16, v38
	v_lshlrev_b32_e32 v39, 16, v39
	v_cmp_nlt_f32_e64 s[12:13], v38, v39
	s_and_saveexec_b64 s[90:91], s[12:13]
; %bb.1083:                             ;   in Loop: Header=BB1115_1082 Depth=1
	v_cmp_ngt_f32_e64 s[12:13], v38, v39
	s_and_b64 s[74:75], s[12:13], s[78:79]
	s_orn2_b64 s[74:75], s[74:75], exec
	s_and_b64 s[88:89], s[12:13], exec
; %bb.1084:                             ;   in Loop: Header=BB1115_1082 Depth=1
	s_or_b64 exec, exec, s[90:91]
	s_andn2_b64 s[12:13], s[72:73], exec
	s_and_b64 s[72:73], s[74:75], exec
	s_or_b64 s[72:73], s[12:13], s[72:73]
	s_and_saveexec_b64 s[78:79], s[88:89]
	s_cbranch_execz .LBB1115_1081
; %bb.1085:                             ;   in Loop: Header=BB1115_1082 Depth=1
	v_lshl_add_u64 v[18:19], v[18:19], 0, -1
	v_cmp_eq_u64_e64 s[12:13], 0, v[18:19]
	v_lshl_add_u64 v[14:15], v[14:15], 0, 2
	v_lshl_add_u64 v[16:17], v[16:17], 0, 2
	s_andn2_b64 s[72:73], s[72:73], exec
	s_orn2_b64 s[76:77], s[12:13], exec
	s_branch .LBB1115_1081
.LBB1115_1086:
	s_or_b64 exec, exec, s[60:61]
	s_xor_b64 s[12:13], s[62:63], -1
	s_andn2_b64 s[44:45], s[44:45], exec
	s_and_b64 s[12:13], s[12:13], exec
	s_or_b64 s[44:45], s[44:45], s[12:13]
.LBB1115_1087:
	s_or_b64 exec, exec, s[58:59]
	s_orn2_b64 s[44:45], s[44:45], exec
.LBB1115_1088:
	s_or_b64 exec, exec, s[56:57]
	v_cndmask_b32_e64 v14, v99, v100, s[44:45]
	v_cndmask_b32_e64 v15, v98, v97, s[44:45]
	v_add_u32_e32 v16, 1, v14
	v_add_u32_e32 v14, -1, v15
	v_min_u32_e32 v14, v16, v14
	v_lshl_add_u32 v14, v14, 3, v30
	ds_read_b64 v[14:15], v14
	v_cndmask_b32_e64 v103, v16, v99, s[44:45]
	v_cndmask_b32_e64 v112, v100, v16, s[44:45]
	v_cmp_lt_u32_e64 s[12:13], v103, v98
	s_waitcnt lgkmcnt(0)
	v_cndmask_b32_e64 v38, v15, v20, s[44:45]
	v_cndmask_b32_e64 v39, v14, v36, s[44:45]
	;; [unrolled: 1-line block ×4, first 2 shown]
	s_and_saveexec_b64 s[56:57], s[12:13]
	s_cbranch_execz .LBB1115_1098
; %bb.1089:
	v_cmp_lt_u32_e64 s[46:47], v112, v97
	s_and_b64 s[12:13], s[46:47], s[28:29]
	s_and_saveexec_b64 s[58:59], s[12:13]
	s_cbranch_execz .LBB1115_1097
; %bb.1090:
	v_mul_lo_u32 v16, v48, v6
	v_mul_lo_u32 v17, v49, v7
	v_mad_u64_u32 v[14:15], s[12:13], v49, v6, 0
	v_add3_u32 v15, v15, v17, v16
	v_mul_lo_u32 v18, v38, v6
	v_mul_lo_u32 v19, v39, v7
	v_mad_u64_u32 v[16:17], s[12:13], v39, v6, 0
	v_add3_u32 v17, v17, v19, v18
	v_lshl_add_u64 v[14:15], v[14:15], 1, v[8:9]
	v_lshl_add_u64 v[16:17], v[16:17], 1, v[8:9]
	s_mov_b64 s[60:61], 0
	v_mov_b64_e32 v[18:19], v[6:7]
                                        ; implicit-def: $sgpr62_sgpr63
                                        ; implicit-def: $sgpr72_sgpr73
                                        ; implicit-def: $sgpr78_sgpr79
	s_branch .LBB1115_1092
.LBB1115_1091:                          ;   in Loop: Header=BB1115_1092 Depth=1
	s_or_b64 exec, exec, s[78:79]
	s_and_b64 s[12:13], exec, s[76:77]
	s_or_b64 s[60:61], s[12:13], s[60:61]
	s_andn2_b64 s[12:13], s[62:63], exec
	s_and_b64 s[62:63], s[72:73], exec
	s_or_b64 s[62:63], s[12:13], s[62:63]
	s_mov_b64 s[78:79], s[74:75]
	s_andn2_b64 exec, exec, s[60:61]
	s_cbranch_execz .LBB1115_1096
.LBB1115_1092:                          ; =>This Inner Loop Header: Depth=1
	flat_load_ushort v99, v[16:17]
	flat_load_ushort v100, v[14:15]
	s_mov_b64 s[76:77], -1
	s_mov_b64 s[88:89], 0
	s_mov_b64 s[74:75], -1
	s_waitcnt vmcnt(0) lgkmcnt(0)
	v_lshlrev_b32_e32 v99, 16, v99
	v_lshlrev_b32_e32 v100, 16, v100
	v_cmp_nlt_f32_e64 s[12:13], v99, v100
	s_and_saveexec_b64 s[90:91], s[12:13]
; %bb.1093:                             ;   in Loop: Header=BB1115_1092 Depth=1
	v_cmp_ngt_f32_e64 s[12:13], v99, v100
	s_and_b64 s[74:75], s[12:13], s[78:79]
	s_orn2_b64 s[74:75], s[74:75], exec
	s_and_b64 s[88:89], s[12:13], exec
; %bb.1094:                             ;   in Loop: Header=BB1115_1092 Depth=1
	s_or_b64 exec, exec, s[90:91]
	s_andn2_b64 s[12:13], s[72:73], exec
	s_and_b64 s[72:73], s[74:75], exec
	s_or_b64 s[72:73], s[12:13], s[72:73]
	s_and_saveexec_b64 s[78:79], s[88:89]
	s_cbranch_execz .LBB1115_1091
; %bb.1095:                             ;   in Loop: Header=BB1115_1092 Depth=1
	v_lshl_add_u64 v[18:19], v[18:19], 0, -1
	v_cmp_eq_u64_e64 s[12:13], 0, v[18:19]
	v_lshl_add_u64 v[14:15], v[14:15], 0, 2
	v_lshl_add_u64 v[16:17], v[16:17], 0, 2
	s_andn2_b64 s[72:73], s[72:73], exec
	s_orn2_b64 s[76:77], s[12:13], exec
	s_branch .LBB1115_1091
.LBB1115_1096:
	s_or_b64 exec, exec, s[60:61]
	s_xor_b64 s[12:13], s[62:63], -1
	s_andn2_b64 s[46:47], s[46:47], exec
	s_and_b64 s[12:13], s[12:13], exec
	s_or_b64 s[46:47], s[46:47], s[12:13]
.LBB1115_1097:
	s_or_b64 exec, exec, s[58:59]
	s_orn2_b64 s[46:47], s[46:47], exec
.LBB1115_1098:
	s_or_b64 exec, exec, s[56:57]
	v_cndmask_b32_e64 v14, v103, v112, s[46:47]
	v_cndmask_b32_e64 v15, v98, v97, s[46:47]
	v_add_u32_e32 v16, 1, v14
	v_add_u32_e32 v14, -1, v15
	v_min_u32_e32 v14, v16, v14
	v_lshl_add_u32 v14, v14, 3, v30
	ds_read_b64 v[14:15], v14
	v_cndmask_b32_e64 v113, v16, v103, s[46:47]
	v_cndmask_b32_e64 v117, v112, v16, s[46:47]
	v_cmp_lt_u32_e64 s[12:13], v113, v98
	s_mov_b64 s[56:57], -1
	s_waitcnt lgkmcnt(0)
	v_cndmask_b32_e64 v99, v15, v38, s[46:47]
	v_cndmask_b32_e64 v100, v14, v39, s[46:47]
	;; [unrolled: 1-line block ×4, first 2 shown]
	s_mov_b64 s[58:59], -1
	s_and_saveexec_b64 s[60:61], s[12:13]
	s_cbranch_execz .LBB1115_1108
; %bb.1099:
	v_cmp_lt_u32_e64 s[58:59], v117, v97
	s_and_b64 s[12:13], s[58:59], s[28:29]
	s_and_saveexec_b64 s[62:63], s[12:13]
	s_cbranch_execz .LBB1115_1107
; %bb.1100:
	v_mul_lo_u32 v16, v101, v6
	v_mul_lo_u32 v17, v102, v7
	v_mad_u64_u32 v[14:15], s[12:13], v102, v6, 0
	v_add3_u32 v15, v15, v17, v16
	v_mul_lo_u32 v18, v99, v6
	v_mul_lo_u32 v19, v100, v7
	v_mad_u64_u32 v[16:17], s[12:13], v100, v6, 0
	v_add3_u32 v17, v17, v19, v18
	v_lshl_add_u64 v[14:15], v[14:15], 1, v[8:9]
	v_lshl_add_u64 v[16:17], v[16:17], 1, v[8:9]
	s_mov_b64 s[72:73], 0
	v_mov_b64_e32 v[18:19], v[6:7]
                                        ; implicit-def: $sgpr74_sgpr75
                                        ; implicit-def: $sgpr76_sgpr77
                                        ; implicit-def: $sgpr90_sgpr91
	s_branch .LBB1115_1102
.LBB1115_1101:                          ;   in Loop: Header=BB1115_1102 Depth=1
	s_or_b64 exec, exec, s[90:91]
	s_and_b64 s[12:13], exec, s[88:89]
	s_or_b64 s[72:73], s[12:13], s[72:73]
	s_andn2_b64 s[12:13], s[74:75], exec
	s_and_b64 s[74:75], s[76:77], exec
	s_or_b64 s[74:75], s[12:13], s[74:75]
	s_mov_b64 s[90:91], s[78:79]
	s_andn2_b64 exec, exec, s[72:73]
	s_cbranch_execz .LBB1115_1106
.LBB1115_1102:                          ; =>This Inner Loop Header: Depth=1
	flat_load_ushort v103, v[16:17]
	flat_load_ushort v112, v[14:15]
	s_mov_b64 s[88:89], -1
	s_mov_b64 s[92:93], 0
	s_mov_b64 s[78:79], -1
	s_waitcnt vmcnt(0) lgkmcnt(0)
	v_lshlrev_b32_e32 v103, 16, v103
	v_lshlrev_b32_e32 v112, 16, v112
	v_cmp_nlt_f32_e64 s[12:13], v103, v112
	s_and_saveexec_b64 s[94:95], s[12:13]
; %bb.1103:                             ;   in Loop: Header=BB1115_1102 Depth=1
	v_cmp_ngt_f32_e64 s[12:13], v103, v112
	s_and_b64 s[78:79], s[12:13], s[90:91]
	s_orn2_b64 s[78:79], s[78:79], exec
	s_and_b64 s[92:93], s[12:13], exec
; %bb.1104:                             ;   in Loop: Header=BB1115_1102 Depth=1
	s_or_b64 exec, exec, s[94:95]
	s_andn2_b64 s[12:13], s[76:77], exec
	s_and_b64 s[76:77], s[78:79], exec
	s_or_b64 s[76:77], s[12:13], s[76:77]
	s_and_saveexec_b64 s[90:91], s[92:93]
	s_cbranch_execz .LBB1115_1101
; %bb.1105:                             ;   in Loop: Header=BB1115_1102 Depth=1
	v_lshl_add_u64 v[18:19], v[18:19], 0, -1
	v_cmp_eq_u64_e64 s[12:13], 0, v[18:19]
	v_lshl_add_u64 v[14:15], v[14:15], 0, 2
	v_lshl_add_u64 v[16:17], v[16:17], 0, 2
	s_andn2_b64 s[76:77], s[76:77], exec
	s_orn2_b64 s[88:89], s[12:13], exec
	s_branch .LBB1115_1101
.LBB1115_1106:
	s_or_b64 exec, exec, s[72:73]
	s_xor_b64 s[12:13], s[74:75], -1
	s_andn2_b64 s[58:59], s[58:59], exec
	s_and_b64 s[12:13], s[12:13], exec
	s_or_b64 s[58:59], s[58:59], s[12:13]
.LBB1115_1107:
	s_or_b64 exec, exec, s[62:63]
	s_orn2_b64 s[58:59], s[58:59], exec
.LBB1115_1108:
	s_or_b64 exec, exec, s[60:61]
	v_cndmask_b32_e64 v14, v113, v117, s[58:59]
	v_cndmask_b32_e64 v15, v98, v97, s[58:59]
	v_add_u32_e32 v16, 1, v14
	v_add_u32_e32 v14, -1, v15
	v_min_u32_e32 v14, v16, v14
	v_lshl_add_u32 v14, v14, 3, v30
	ds_read_b64 v[14:15], v14
	v_cndmask_b32_e64 v114, v16, v113, s[58:59]
	v_cndmask_b32_e64 v113, v117, v16, s[58:59]
	v_cmp_lt_u32_e64 s[12:13], v114, v98
	s_waitcnt lgkmcnt(0)
	v_cndmask_b32_e64 v103, v15, v99, s[58:59]
	v_cndmask_b32_e64 v112, v14, v100, s[58:59]
	;; [unrolled: 1-line block ×4, first 2 shown]
	s_and_saveexec_b64 s[60:61], s[12:13]
	s_cbranch_execz .LBB1115_1118
; %bb.1109:
	v_cmp_lt_u32_e64 s[56:57], v113, v97
	s_and_b64 s[12:13], s[56:57], s[28:29]
	s_and_saveexec_b64 s[62:63], s[12:13]
	s_cbranch_execz .LBB1115_1117
; %bb.1110:
	v_mul_lo_u32 v16, v115, v6
	v_mul_lo_u32 v17, v116, v7
	v_mad_u64_u32 v[14:15], s[12:13], v116, v6, 0
	v_add3_u32 v15, v15, v17, v16
	v_mul_lo_u32 v18, v103, v6
	v_mul_lo_u32 v19, v112, v7
	v_mad_u64_u32 v[16:17], s[12:13], v112, v6, 0
	v_add3_u32 v17, v17, v19, v18
	v_lshl_add_u64 v[14:15], v[14:15], 1, v[8:9]
	v_lshl_add_u64 v[16:17], v[16:17], 1, v[8:9]
	s_mov_b64 s[72:73], 0
	v_mov_b64_e32 v[18:19], v[6:7]
                                        ; implicit-def: $sgpr74_sgpr75
                                        ; implicit-def: $sgpr76_sgpr77
                                        ; implicit-def: $sgpr90_sgpr91
	s_branch .LBB1115_1112
.LBB1115_1111:                          ;   in Loop: Header=BB1115_1112 Depth=1
	s_or_b64 exec, exec, s[90:91]
	s_and_b64 s[12:13], exec, s[88:89]
	s_or_b64 s[72:73], s[12:13], s[72:73]
	s_andn2_b64 s[12:13], s[74:75], exec
	s_and_b64 s[74:75], s[76:77], exec
	s_or_b64 s[74:75], s[12:13], s[74:75]
	s_mov_b64 s[90:91], s[78:79]
	s_andn2_b64 exec, exec, s[72:73]
	s_cbranch_execz .LBB1115_1116
.LBB1115_1112:                          ; =>This Inner Loop Header: Depth=1
	flat_load_ushort v117, v[16:17]
	flat_load_ushort v118, v[14:15]
	s_mov_b64 s[88:89], -1
	s_mov_b64 s[92:93], 0
	s_mov_b64 s[78:79], -1
	s_waitcnt vmcnt(0) lgkmcnt(0)
	v_lshlrev_b32_e32 v117, 16, v117
	v_lshlrev_b32_e32 v118, 16, v118
	v_cmp_nlt_f32_e64 s[12:13], v117, v118
	s_and_saveexec_b64 s[94:95], s[12:13]
; %bb.1113:                             ;   in Loop: Header=BB1115_1112 Depth=1
	v_cmp_ngt_f32_e64 s[12:13], v117, v118
	s_and_b64 s[78:79], s[12:13], s[90:91]
	s_orn2_b64 s[78:79], s[78:79], exec
	s_and_b64 s[92:93], s[12:13], exec
; %bb.1114:                             ;   in Loop: Header=BB1115_1112 Depth=1
	s_or_b64 exec, exec, s[94:95]
	s_andn2_b64 s[12:13], s[76:77], exec
	s_and_b64 s[76:77], s[78:79], exec
	s_or_b64 s[76:77], s[12:13], s[76:77]
	s_and_saveexec_b64 s[90:91], s[92:93]
	s_cbranch_execz .LBB1115_1111
; %bb.1115:                             ;   in Loop: Header=BB1115_1112 Depth=1
	v_lshl_add_u64 v[18:19], v[18:19], 0, -1
	v_cmp_eq_u64_e64 s[12:13], 0, v[18:19]
	v_lshl_add_u64 v[14:15], v[14:15], 0, 2
	v_lshl_add_u64 v[16:17], v[16:17], 0, 2
	s_andn2_b64 s[76:77], s[76:77], exec
	s_orn2_b64 s[88:89], s[12:13], exec
	s_branch .LBB1115_1111
.LBB1115_1116:
	s_or_b64 exec, exec, s[72:73]
	s_xor_b64 s[12:13], s[74:75], -1
	s_andn2_b64 s[56:57], s[56:57], exec
	s_and_b64 s[12:13], s[12:13], exec
	s_or_b64 s[56:57], s[56:57], s[12:13]
.LBB1115_1117:
	s_or_b64 exec, exec, s[62:63]
	s_orn2_b64 s[56:57], s[56:57], exec
.LBB1115_1118:
	s_or_b64 exec, exec, s[60:61]
	v_cndmask_b32_e64 v19, v25, v34, s[42:43]
	v_cndmask_b32_e64 v25, v22, v24, s[20:21]
	;; [unrolled: 1-line block ×5, first 2 shown]
	v_add_u32_e32 v34, 1, v22
	v_add_u32_e32 v22, -1, v23
	v_min_u32_e32 v22, v34, v22
	v_lshl_add_u32 v22, v22, 3, v30
	v_cndmask_b32_e64 v18, v33, v35, s[42:43]
	ds_read_b64 v[32:33], v22
	v_cndmask_b32_e64 v35, v34, v114, s[56:57]
	v_cndmask_b32_e64 v17, v99, v101, s[58:59]
	;; [unrolled: 1-line block ×11, first 2 shown]
	s_waitcnt lgkmcnt(0)
	v_cndmask_b32_e64 v13, v115, v33, s[56:57]
	v_cndmask_b32_e64 v12, v116, v32, s[56:57]
	v_cmp_lt_u32_e64 s[12:13], v35, v98
	s_and_saveexec_b64 s[18:19], s[12:13]
	s_cbranch_execz .LBB1115_1128
; %bb.1119:
	v_cndmask_b32_e64 v39, v32, v112, s[56:57]
	v_cndmask_b32_e64 v32, v113, v34, s[56:57]
	;; [unrolled: 1-line block ×3, first 2 shown]
	v_cmp_ge_u32_e64 s[12:13], v32, v97
	s_nor_b64 s[42:43], s[12:13], s[8:9]
	s_nop 0
	v_cndmask_b32_e64 v33, v13, v38, s[12:13]
	v_cndmask_b32_e64 v32, v12, v39, s[12:13]
	s_and_saveexec_b64 s[20:21], s[42:43]
	s_cbranch_execz .LBB1115_1127
; %bb.1120:
	v_mul_lo_u32 v34, v13, v6
	v_mul_lo_u32 v35, v12, v7
	v_mad_u64_u32 v[32:33], s[12:13], v12, v6, 0
	v_add3_u32 v33, v33, v35, v34
	v_mul_lo_u32 v36, v38, v6
	v_mul_lo_u32 v37, v39, v7
	v_mad_u64_u32 v[34:35], s[12:13], v39, v6, 0
	v_add3_u32 v35, v35, v37, v36
	v_lshl_add_u64 v[32:33], v[32:33], 1, v[8:9]
	v_lshl_add_u64 v[34:35], v[34:35], 1, v[8:9]
	s_mov_b64 s[42:43], 0
	v_mov_b64_e32 v[36:37], v[6:7]
                                        ; implicit-def: $sgpr44_sgpr45
                                        ; implicit-def: $sgpr46_sgpr47
                                        ; implicit-def: $sgpr58_sgpr59
	s_branch .LBB1115_1122
.LBB1115_1121:                          ;   in Loop: Header=BB1115_1122 Depth=1
	s_or_b64 exec, exec, s[58:59]
	s_and_b64 s[12:13], exec, s[12:13]
	s_or_b64 s[42:43], s[12:13], s[42:43]
	s_andn2_b64 s[12:13], s[44:45], exec
	s_and_b64 s[44:45], s[46:47], exec
	s_or_b64 s[44:45], s[12:13], s[44:45]
	s_mov_b64 s[58:59], s[56:57]
	s_andn2_b64 exec, exec, s[42:43]
	s_cbranch_execz .LBB1115_1126
.LBB1115_1122:                          ; =>This Inner Loop Header: Depth=1
	flat_load_ushort v48, v[34:35]
	flat_load_ushort v49, v[32:33]
	s_mov_b64 s[60:61], 0
	s_mov_b64 s[56:57], -1
	s_waitcnt vmcnt(0) lgkmcnt(0)
	v_lshlrev_b32_e32 v48, 16, v48
	v_lshlrev_b32_e32 v49, 16, v49
	v_cmp_nlt_f32_e64 s[12:13], v48, v49
	s_and_saveexec_b64 s[62:63], s[12:13]
; %bb.1123:                             ;   in Loop: Header=BB1115_1122 Depth=1
	v_cmp_ngt_f32_e64 s[12:13], v48, v49
	s_and_b64 s[56:57], s[12:13], s[58:59]
	s_orn2_b64 s[56:57], s[56:57], exec
	s_and_b64 s[60:61], s[12:13], exec
; %bb.1124:                             ;   in Loop: Header=BB1115_1122 Depth=1
	s_or_b64 exec, exec, s[62:63]
	s_andn2_b64 s[46:47], s[46:47], exec
	s_and_b64 s[58:59], s[56:57], exec
	s_mov_b64 s[12:13], -1
	s_or_b64 s[46:47], s[46:47], s[58:59]
	s_and_saveexec_b64 s[58:59], s[60:61]
	s_cbranch_execz .LBB1115_1121
; %bb.1125:                             ;   in Loop: Header=BB1115_1122 Depth=1
	v_lshl_add_u64 v[36:37], v[36:37], 0, -1
	v_cmp_eq_u64_e64 s[12:13], 0, v[36:37]
	v_lshl_add_u64 v[32:33], v[32:33], 0, 2
	v_lshl_add_u64 v[34:35], v[34:35], 0, 2
	s_andn2_b64 s[46:47], s[46:47], exec
	s_orn2_b64 s[12:13], s[12:13], exec
	s_branch .LBB1115_1121
.LBB1115_1126:
	s_or_b64 exec, exec, s[42:43]
	v_cndmask_b32_e64 v33, v13, v38, s[44:45]
	v_cndmask_b32_e64 v32, v12, v39, s[44:45]
.LBB1115_1127:
	s_or_b64 exec, exec, s[20:21]
	v_mov_b64_e32 v[12:13], v[32:33]
.LBB1115_1128:
	s_or_b64 exec, exec, s[18:19]
.LBB1115_1129:
	s_or_b64 exec, exec, s[40:41]
	v_and_b32_e32 v99, 0x3e0, v51
	v_or_b32_e32 v32, 16, v99
	v_min_u32_e32 v97, v50, v32
	v_add_u32_e32 v32, 16, v97
	v_min_u32_e32 v98, v50, v32
	v_and_b32_e32 v32, 24, v51
	v_min_u32_e32 v100, v50, v32
	v_sub_u32_e32 v32, v97, v99
	v_sub_u32_e32 v33, v98, v97
	v_sub_u32_e64 v101, v100, v33 clamp
	v_min_u32_e32 v102, v100, v32
	v_cmp_lt_u32_e64 s[12:13], v101, v102
	; wave barrier
	ds_write_b64 v81, v[22:23]
	ds_write_b64 v82, v[24:25]
	;; [unrolled: 1-line block ×8, first 2 shown]
	; wave barrier
	s_and_saveexec_b64 s[18:19], s[12:13]
	s_cbranch_execz .LBB1115_1141
; %bb.1130:
	v_lshlrev_b32_e32 v34, 3, v99
	v_mov_b32_e32 v35, 0
	v_lshl_add_u64 v[32:33], v[30:31], 0, v[34:35]
	v_lshlrev_b32_e32 v34, 3, v97
	v_lshl_add_u64 v[34:35], v[30:31], 0, v[34:35]
	s_mov_b64 s[20:21], 0
	s_branch .LBB1115_1133
.LBB1115_1131:                          ;   in Loop: Header=BB1115_1133 Depth=1
	s_or_b64 exec, exec, s[42:43]
	s_and_b64 s[12:13], s[44:45], exec
.LBB1115_1132:                          ;   in Loop: Header=BB1115_1133 Depth=1
	s_or_b64 exec, exec, s[40:41]
	v_add_u32_e32 v35, 1, v33
	v_cndmask_b32_e64 v102, v102, v33, s[12:13]
	v_cndmask_b32_e64 v101, v35, v101, s[12:13]
	v_cmp_ge_u32_e64 s[12:13], v101, v102
	s_or_b64 s[20:21], s[12:13], s[20:21]
	s_andn2_b64 exec, exec, s[20:21]
	s_cbranch_execz .LBB1115_1140
.LBB1115_1133:                          ; =>This Loop Header: Depth=1
                                        ;     Child Loop BB1115_1136 Depth 2
	v_add_u32_e32 v33, v102, v101
	v_lshrrev_b32_e32 v33, 1, v33
	s_mov_b64 s[12:13], 0
	s_and_saveexec_b64 s[40:41], s[16:17]
	s_cbranch_execz .LBB1115_1132
; %bb.1134:                             ;   in Loop: Header=BB1115_1133 Depth=1
	v_lshl_add_u32 v35, v33, 3, v32
	ds_read_b64 v[36:37], v35
	v_xad_u32 v35, v33, -1, v100
	v_lshl_add_u32 v35, v35, 3, v34
	ds_read_b64 v[38:39], v35
	s_mov_b64 s[42:43], 0
	s_waitcnt lgkmcnt(1)
	v_mul_lo_u32 v35, v2, v37
	v_mul_lo_u32 v48, v3, v36
	v_mad_u64_u32 v[36:37], s[12:13], v2, v36, v[8:9]
	v_add3_u32 v37, v48, v37, v35
	s_waitcnt lgkmcnt(0)
	v_mul_lo_u32 v35, v2, v39
	v_mul_lo_u32 v48, v3, v38
	v_mad_u64_u32 v[38:39], s[12:13], v2, v38, v[8:9]
	v_add3_u32 v39, v48, v39, v35
	v_mov_b64_e32 v[48:49], v[6:7]
                                        ; implicit-def: $sgpr44_sgpr45
                                        ; implicit-def: $sgpr46_sgpr47
                                        ; implicit-def: $sgpr60_sgpr61
	s_branch .LBB1115_1136
.LBB1115_1135:                          ;   in Loop: Header=BB1115_1136 Depth=2
	s_or_b64 exec, exec, s[60:61]
	s_and_b64 s[12:13], exec, s[58:59]
	s_or_b64 s[42:43], s[12:13], s[42:43]
	s_andn2_b64 s[12:13], s[44:45], exec
	s_and_b64 s[44:45], s[46:47], exec
	s_or_b64 s[44:45], s[12:13], s[44:45]
	s_mov_b64 s[60:61], s[56:57]
	s_andn2_b64 exec, exec, s[42:43]
	s_cbranch_execz .LBB1115_1131
.LBB1115_1136:                          ;   Parent Loop BB1115_1133 Depth=1
                                        ; =>  This Inner Loop Header: Depth=2
	flat_load_ushort v35, v[38:39]
	flat_load_ushort v103, v[36:37]
	s_mov_b64 s[58:59], -1
	s_mov_b64 s[62:63], 0
	s_mov_b64 s[56:57], -1
	s_waitcnt vmcnt(0) lgkmcnt(0)
	v_lshlrev_b32_e32 v35, 16, v35
	v_lshlrev_b32_e32 v103, 16, v103
	v_cmp_nlt_f32_e64 s[12:13], v35, v103
	s_and_saveexec_b64 s[72:73], s[12:13]
; %bb.1137:                             ;   in Loop: Header=BB1115_1136 Depth=2
	v_cmp_ngt_f32_e64 s[12:13], v35, v103
	s_and_b64 s[56:57], s[12:13], s[60:61]
	s_orn2_b64 s[56:57], s[56:57], exec
	s_and_b64 s[62:63], s[12:13], exec
; %bb.1138:                             ;   in Loop: Header=BB1115_1136 Depth=2
	s_or_b64 exec, exec, s[72:73]
	s_andn2_b64 s[12:13], s[46:47], exec
	s_and_b64 s[46:47], s[56:57], exec
	s_or_b64 s[46:47], s[12:13], s[46:47]
	s_and_saveexec_b64 s[60:61], s[62:63]
	s_cbranch_execz .LBB1115_1135
; %bb.1139:                             ;   in Loop: Header=BB1115_1136 Depth=2
	v_lshl_add_u64 v[48:49], v[48:49], 0, -1
	v_cmp_eq_u64_e64 s[12:13], 0, v[48:49]
	v_lshl_add_u64 v[36:37], v[36:37], 0, 2
	v_lshl_add_u64 v[38:39], v[38:39], 0, 2
	s_andn2_b64 s[46:47], s[46:47], exec
	s_orn2_b64 s[58:59], s[12:13], exec
	s_branch .LBB1115_1135
.LBB1115_1140:
	s_or_b64 exec, exec, s[20:21]
.LBB1115_1141:
	s_or_b64 exec, exec, s[18:19]
	v_add_u32_e32 v32, v97, v100
	v_add_u32_e32 v33, v101, v99
	v_sub_u32_e32 v34, v32, v101
	v_cmp_le_u32_e64 s[12:13], v33, v97
	v_cmp_le_u32_e64 s[18:19], v34, v98
	s_or_b64 s[12:13], s[12:13], s[18:19]
	s_and_saveexec_b64 s[40:41], s[12:13]
	s_cbranch_execz .LBB1115_1225
; %bb.1142:
	v_cmp_ge_u32_e64 s[18:19], v33, v97
	v_cmp_lt_u32_e64 s[12:13], v33, v97
                                        ; implicit-def: $vgpr10_vgpr11
	s_and_saveexec_b64 s[20:21], s[12:13]
; %bb.1143:
	v_lshl_add_u32 v10, v33, 3, v30
	ds_read_b64 v[10:11], v10
; %bb.1144:
	s_or_b64 exec, exec, s[20:21]
	v_cmp_ge_u32_e64 s[20:21], v34, v98
	v_cmp_lt_u32_e64 s[12:13], v34, v98
                                        ; implicit-def: $vgpr12_vgpr13
	s_and_saveexec_b64 s[42:43], s[12:13]
; %bb.1145:
	v_lshl_add_u32 v12, v34, 3, v30
	ds_read_b64 v[12:13], v12
; %bb.1146:
	s_or_b64 exec, exec, s[42:43]
	s_or_b64 s[12:13], s[18:19], s[20:21]
	s_xor_b64 s[18:19], s[18:19], -1
	s_nor_b64 s[12:13], s[12:13], s[8:9]
	s_or_b64 s[18:19], s[20:21], s[18:19]
	s_and_saveexec_b64 s[20:21], s[12:13]
	s_cbranch_execz .LBB1115_1154
; %bb.1147:
	s_waitcnt lgkmcnt(0)
	v_mul_lo_u32 v16, v11, v6
	v_mul_lo_u32 v17, v10, v7
	v_mad_u64_u32 v[14:15], s[12:13], v10, v6, 0
	v_add3_u32 v15, v15, v17, v16
	v_mul_lo_u32 v18, v13, v6
	v_mul_lo_u32 v19, v12, v7
	v_mad_u64_u32 v[16:17], s[12:13], v12, v6, 0
	v_add3_u32 v17, v17, v19, v18
	v_lshl_add_u64 v[14:15], v[14:15], 1, v[8:9]
	v_lshl_add_u64 v[16:17], v[16:17], 1, v[8:9]
	s_mov_b64 s[42:43], 0
	v_mov_b64_e32 v[18:19], v[6:7]
                                        ; implicit-def: $sgpr44_sgpr45
                                        ; implicit-def: $sgpr46_sgpr47
                                        ; implicit-def: $sgpr60_sgpr61
	s_branch .LBB1115_1149
.LBB1115_1148:                          ;   in Loop: Header=BB1115_1149 Depth=1
	s_or_b64 exec, exec, s[60:61]
	s_and_b64 s[12:13], exec, s[58:59]
	s_or_b64 s[42:43], s[12:13], s[42:43]
	s_andn2_b64 s[12:13], s[44:45], exec
	s_and_b64 s[44:45], s[46:47], exec
	s_or_b64 s[44:45], s[12:13], s[44:45]
	s_mov_b64 s[60:61], s[56:57]
	s_andn2_b64 exec, exec, s[42:43]
	s_cbranch_execz .LBB1115_1153
.LBB1115_1149:                          ; =>This Inner Loop Header: Depth=1
	flat_load_ushort v20, v[16:17]
	flat_load_ushort v21, v[14:15]
	s_mov_b64 s[58:59], -1
	s_mov_b64 s[62:63], 0
	s_mov_b64 s[56:57], -1
	s_waitcnt vmcnt(0) lgkmcnt(0)
	v_lshlrev_b32_e32 v20, 16, v20
	v_lshlrev_b32_e32 v21, 16, v21
	v_cmp_nlt_f32_e64 s[12:13], v20, v21
	s_and_saveexec_b64 s[72:73], s[12:13]
; %bb.1150:                             ;   in Loop: Header=BB1115_1149 Depth=1
	v_cmp_ngt_f32_e64 s[12:13], v20, v21
	s_and_b64 s[56:57], s[12:13], s[60:61]
	s_orn2_b64 s[56:57], s[56:57], exec
	s_and_b64 s[62:63], s[12:13], exec
; %bb.1151:                             ;   in Loop: Header=BB1115_1149 Depth=1
	s_or_b64 exec, exec, s[72:73]
	s_andn2_b64 s[12:13], s[46:47], exec
	s_and_b64 s[46:47], s[56:57], exec
	s_or_b64 s[46:47], s[12:13], s[46:47]
	s_and_saveexec_b64 s[60:61], s[62:63]
	s_cbranch_execz .LBB1115_1148
; %bb.1152:                             ;   in Loop: Header=BB1115_1149 Depth=1
	v_lshl_add_u64 v[18:19], v[18:19], 0, -1
	v_cmp_eq_u64_e64 s[12:13], 0, v[18:19]
	v_lshl_add_u64 v[14:15], v[14:15], 0, 2
	v_lshl_add_u64 v[16:17], v[16:17], 0, 2
	s_andn2_b64 s[46:47], s[46:47], exec
	s_orn2_b64 s[58:59], s[12:13], exec
	s_branch .LBB1115_1148
.LBB1115_1153:
	s_or_b64 exec, exec, s[42:43]
	s_xor_b64 s[12:13], s[44:45], -1
	s_andn2_b64 s[18:19], s[18:19], exec
	s_and_b64 s[12:13], s[12:13], exec
	s_or_b64 s[18:19], s[18:19], s[12:13]
.LBB1115_1154:
	s_or_b64 exec, exec, s[20:21]
	v_cndmask_b32_e64 v14, v34, v33, s[18:19]
	v_cndmask_b32_e64 v15, v98, v97, s[18:19]
	v_add_u32_e32 v16, 1, v14
	v_add_u32_e32 v14, -1, v15
	v_min_u32_e32 v14, v16, v14
	v_lshl_add_u32 v14, v14, 3, v30
	ds_read_b64 v[14:15], v14
	v_cndmask_b32_e64 v20, v16, v34, s[18:19]
	v_cndmask_b32_e64 v21, v33, v16, s[18:19]
	v_cmp_lt_u32_e64 s[12:13], v20, v98
	s_mov_b64 s[42:43], -1
	s_waitcnt lgkmcnt(0)
	v_cndmask_b32_e64 v22, v15, v13, s[18:19]
	v_cndmask_b32_e64 v23, v14, v12, s[18:19]
	;; [unrolled: 1-line block ×4, first 2 shown]
	s_mov_b64 s[20:21], -1
	s_and_saveexec_b64 s[44:45], s[12:13]
	s_cbranch_execz .LBB1115_1164
; %bb.1155:
	v_cmp_lt_u32_e64 s[20:21], v21, v97
	s_and_b64 s[12:13], s[20:21], s[28:29]
	s_and_saveexec_b64 s[46:47], s[12:13]
	s_cbranch_execz .LBB1115_1163
; %bb.1156:
	v_mul_lo_u32 v16, v24, v6
	v_mul_lo_u32 v17, v32, v7
	v_mad_u64_u32 v[14:15], s[12:13], v32, v6, 0
	v_add3_u32 v15, v15, v17, v16
	v_mul_lo_u32 v18, v22, v6
	v_mul_lo_u32 v19, v23, v7
	v_mad_u64_u32 v[16:17], s[12:13], v23, v6, 0
	v_add3_u32 v17, v17, v19, v18
	v_lshl_add_u64 v[14:15], v[14:15], 1, v[8:9]
	v_lshl_add_u64 v[16:17], v[16:17], 1, v[8:9]
	s_mov_b64 s[56:57], 0
	v_mov_b64_e32 v[18:19], v[6:7]
                                        ; implicit-def: $sgpr58_sgpr59
                                        ; implicit-def: $sgpr60_sgpr61
                                        ; implicit-def: $sgpr74_sgpr75
	s_branch .LBB1115_1158
.LBB1115_1157:                          ;   in Loop: Header=BB1115_1158 Depth=1
	s_or_b64 exec, exec, s[74:75]
	s_and_b64 s[12:13], exec, s[72:73]
	s_or_b64 s[56:57], s[12:13], s[56:57]
	s_andn2_b64 s[12:13], s[58:59], exec
	s_and_b64 s[58:59], s[60:61], exec
	s_or_b64 s[58:59], s[12:13], s[58:59]
	s_mov_b64 s[74:75], s[62:63]
	s_andn2_b64 exec, exec, s[56:57]
	s_cbranch_execz .LBB1115_1162
.LBB1115_1158:                          ; =>This Inner Loop Header: Depth=1
	flat_load_ushort v25, v[16:17]
	flat_load_ushort v33, v[14:15]
	s_mov_b64 s[72:73], -1
	s_mov_b64 s[76:77], 0
	s_mov_b64 s[62:63], -1
	s_waitcnt vmcnt(0) lgkmcnt(0)
	v_lshlrev_b32_e32 v25, 16, v25
	v_lshlrev_b32_e32 v33, 16, v33
	v_cmp_nlt_f32_e64 s[12:13], v25, v33
	s_and_saveexec_b64 s[78:79], s[12:13]
; %bb.1159:                             ;   in Loop: Header=BB1115_1158 Depth=1
	v_cmp_ngt_f32_e64 s[12:13], v25, v33
	s_and_b64 s[62:63], s[12:13], s[74:75]
	s_orn2_b64 s[62:63], s[62:63], exec
	s_and_b64 s[76:77], s[12:13], exec
; %bb.1160:                             ;   in Loop: Header=BB1115_1158 Depth=1
	s_or_b64 exec, exec, s[78:79]
	s_andn2_b64 s[12:13], s[60:61], exec
	s_and_b64 s[60:61], s[62:63], exec
	s_or_b64 s[60:61], s[12:13], s[60:61]
	s_and_saveexec_b64 s[74:75], s[76:77]
	s_cbranch_execz .LBB1115_1157
; %bb.1161:                             ;   in Loop: Header=BB1115_1158 Depth=1
	v_lshl_add_u64 v[18:19], v[18:19], 0, -1
	v_cmp_eq_u64_e64 s[12:13], 0, v[18:19]
	v_lshl_add_u64 v[14:15], v[14:15], 0, 2
	v_lshl_add_u64 v[16:17], v[16:17], 0, 2
	s_andn2_b64 s[60:61], s[60:61], exec
	s_orn2_b64 s[72:73], s[12:13], exec
	s_branch .LBB1115_1157
.LBB1115_1162:
	s_or_b64 exec, exec, s[56:57]
	s_xor_b64 s[12:13], s[58:59], -1
	s_andn2_b64 s[20:21], s[20:21], exec
	s_and_b64 s[12:13], s[12:13], exec
	s_or_b64 s[20:21], s[20:21], s[12:13]
.LBB1115_1163:
	s_or_b64 exec, exec, s[46:47]
	s_orn2_b64 s[20:21], s[20:21], exec
.LBB1115_1164:
	s_or_b64 exec, exec, s[44:45]
	v_cndmask_b32_e64 v14, v20, v21, s[20:21]
	v_cndmask_b32_e64 v15, v98, v97, s[20:21]
	v_add_u32_e32 v16, 1, v14
	v_add_u32_e32 v14, -1, v15
	v_min_u32_e32 v14, v16, v14
	v_lshl_add_u32 v14, v14, 3, v30
	ds_read_b64 v[14:15], v14
	v_cndmask_b32_e64 v38, v16, v20, s[20:21]
	v_cndmask_b32_e64 v39, v21, v16, s[20:21]
	v_cmp_lt_u32_e64 s[12:13], v38, v98
	s_waitcnt lgkmcnt(0)
	v_cndmask_b32_e64 v25, v15, v22, s[20:21]
	v_cndmask_b32_e64 v33, v14, v23, s[20:21]
	;; [unrolled: 1-line block ×4, first 2 shown]
	s_and_saveexec_b64 s[44:45], s[12:13]
	s_cbranch_execz .LBB1115_1174
; %bb.1165:
	v_cmp_lt_u32_e64 s[42:43], v39, v97
	s_and_b64 s[12:13], s[42:43], s[28:29]
	s_and_saveexec_b64 s[46:47], s[12:13]
	s_cbranch_execz .LBB1115_1173
; %bb.1166:
	v_mul_lo_u32 v16, v34, v6
	v_mul_lo_u32 v17, v35, v7
	v_mad_u64_u32 v[14:15], s[12:13], v35, v6, 0
	v_add3_u32 v15, v15, v17, v16
	v_mul_lo_u32 v18, v25, v6
	v_mul_lo_u32 v19, v33, v7
	v_mad_u64_u32 v[16:17], s[12:13], v33, v6, 0
	v_add3_u32 v17, v17, v19, v18
	v_lshl_add_u64 v[14:15], v[14:15], 1, v[8:9]
	v_lshl_add_u64 v[16:17], v[16:17], 1, v[8:9]
	s_mov_b64 s[56:57], 0
	v_mov_b64_e32 v[18:19], v[6:7]
                                        ; implicit-def: $sgpr58_sgpr59
                                        ; implicit-def: $sgpr60_sgpr61
                                        ; implicit-def: $sgpr74_sgpr75
	s_branch .LBB1115_1168
.LBB1115_1167:                          ;   in Loop: Header=BB1115_1168 Depth=1
	s_or_b64 exec, exec, s[74:75]
	s_and_b64 s[12:13], exec, s[72:73]
	s_or_b64 s[56:57], s[12:13], s[56:57]
	s_andn2_b64 s[12:13], s[58:59], exec
	s_and_b64 s[58:59], s[60:61], exec
	s_or_b64 s[58:59], s[12:13], s[58:59]
	s_mov_b64 s[74:75], s[62:63]
	s_andn2_b64 exec, exec, s[56:57]
	s_cbranch_execz .LBB1115_1172
.LBB1115_1168:                          ; =>This Inner Loop Header: Depth=1
	flat_load_ushort v20, v[16:17]
	flat_load_ushort v21, v[14:15]
	s_mov_b64 s[72:73], -1
	s_mov_b64 s[76:77], 0
	s_mov_b64 s[62:63], -1
	s_waitcnt vmcnt(0) lgkmcnt(0)
	v_lshlrev_b32_e32 v20, 16, v20
	v_lshlrev_b32_e32 v21, 16, v21
	v_cmp_nlt_f32_e64 s[12:13], v20, v21
	s_and_saveexec_b64 s[78:79], s[12:13]
; %bb.1169:                             ;   in Loop: Header=BB1115_1168 Depth=1
	v_cmp_ngt_f32_e64 s[12:13], v20, v21
	s_and_b64 s[62:63], s[12:13], s[74:75]
	s_orn2_b64 s[62:63], s[62:63], exec
	s_and_b64 s[76:77], s[12:13], exec
; %bb.1170:                             ;   in Loop: Header=BB1115_1168 Depth=1
	s_or_b64 exec, exec, s[78:79]
	s_andn2_b64 s[12:13], s[60:61], exec
	s_and_b64 s[60:61], s[62:63], exec
	s_or_b64 s[60:61], s[12:13], s[60:61]
	s_and_saveexec_b64 s[74:75], s[76:77]
	s_cbranch_execz .LBB1115_1167
; %bb.1171:                             ;   in Loop: Header=BB1115_1168 Depth=1
	v_lshl_add_u64 v[18:19], v[18:19], 0, -1
	v_cmp_eq_u64_e64 s[12:13], 0, v[18:19]
	v_lshl_add_u64 v[14:15], v[14:15], 0, 2
	v_lshl_add_u64 v[16:17], v[16:17], 0, 2
	s_andn2_b64 s[60:61], s[60:61], exec
	s_orn2_b64 s[72:73], s[12:13], exec
	s_branch .LBB1115_1167
.LBB1115_1172:
	s_or_b64 exec, exec, s[56:57]
	s_xor_b64 s[12:13], s[58:59], -1
	s_andn2_b64 s[42:43], s[42:43], exec
	s_and_b64 s[12:13], s[12:13], exec
	s_or_b64 s[42:43], s[42:43], s[12:13]
.LBB1115_1173:
	s_or_b64 exec, exec, s[46:47]
	s_orn2_b64 s[42:43], s[42:43], exec
.LBB1115_1174:
	s_or_b64 exec, exec, s[44:45]
	v_cndmask_b32_e64 v14, v38, v39, s[42:43]
	v_cndmask_b32_e64 v15, v98, v97, s[42:43]
	v_add_u32_e32 v16, 1, v14
	v_add_u32_e32 v14, -1, v15
	v_min_u32_e32 v14, v16, v14
	v_lshl_add_u32 v14, v14, 3, v30
	ds_read_b64 v[14:15], v14
	v_cndmask_b32_e64 v99, v16, v38, s[42:43]
	v_cndmask_b32_e64 v100, v39, v16, s[42:43]
	v_cmp_lt_u32_e64 s[12:13], v99, v98
	s_mov_b64 s[46:47], -1
	s_waitcnt lgkmcnt(0)
	v_cndmask_b32_e64 v20, v15, v25, s[42:43]
	v_cndmask_b32_e64 v36, v14, v33, s[42:43]
	;; [unrolled: 1-line block ×4, first 2 shown]
	s_mov_b64 s[44:45], -1
	s_and_saveexec_b64 s[56:57], s[12:13]
	s_cbranch_execz .LBB1115_1184
; %bb.1175:
	v_cmp_lt_u32_e64 s[44:45], v100, v97
	s_and_b64 s[12:13], s[44:45], s[28:29]
	s_and_saveexec_b64 s[58:59], s[12:13]
	s_cbranch_execz .LBB1115_1183
; %bb.1176:
	v_mul_lo_u32 v16, v21, v6
	v_mul_lo_u32 v17, v37, v7
	v_mad_u64_u32 v[14:15], s[12:13], v37, v6, 0
	v_add3_u32 v15, v15, v17, v16
	v_mul_lo_u32 v18, v20, v6
	v_mul_lo_u32 v19, v36, v7
	v_mad_u64_u32 v[16:17], s[12:13], v36, v6, 0
	v_add3_u32 v17, v17, v19, v18
	v_lshl_add_u64 v[14:15], v[14:15], 1, v[8:9]
	v_lshl_add_u64 v[16:17], v[16:17], 1, v[8:9]
	s_mov_b64 s[60:61], 0
	v_mov_b64_e32 v[18:19], v[6:7]
                                        ; implicit-def: $sgpr62_sgpr63
                                        ; implicit-def: $sgpr72_sgpr73
                                        ; implicit-def: $sgpr78_sgpr79
	s_branch .LBB1115_1178
.LBB1115_1177:                          ;   in Loop: Header=BB1115_1178 Depth=1
	s_or_b64 exec, exec, s[78:79]
	s_and_b64 s[12:13], exec, s[76:77]
	s_or_b64 s[60:61], s[12:13], s[60:61]
	s_andn2_b64 s[12:13], s[62:63], exec
	s_and_b64 s[62:63], s[72:73], exec
	s_or_b64 s[62:63], s[12:13], s[62:63]
	s_mov_b64 s[78:79], s[74:75]
	s_andn2_b64 exec, exec, s[60:61]
	s_cbranch_execz .LBB1115_1182
.LBB1115_1178:                          ; =>This Inner Loop Header: Depth=1
	flat_load_ushort v38, v[16:17]
	flat_load_ushort v39, v[14:15]
	s_mov_b64 s[76:77], -1
	s_mov_b64 s[88:89], 0
	s_mov_b64 s[74:75], -1
	s_waitcnt vmcnt(0) lgkmcnt(0)
	v_lshlrev_b32_e32 v38, 16, v38
	v_lshlrev_b32_e32 v39, 16, v39
	v_cmp_nlt_f32_e64 s[12:13], v38, v39
	s_and_saveexec_b64 s[90:91], s[12:13]
; %bb.1179:                             ;   in Loop: Header=BB1115_1178 Depth=1
	v_cmp_ngt_f32_e64 s[12:13], v38, v39
	s_and_b64 s[74:75], s[12:13], s[78:79]
	s_orn2_b64 s[74:75], s[74:75], exec
	s_and_b64 s[88:89], s[12:13], exec
; %bb.1180:                             ;   in Loop: Header=BB1115_1178 Depth=1
	s_or_b64 exec, exec, s[90:91]
	s_andn2_b64 s[12:13], s[72:73], exec
	s_and_b64 s[72:73], s[74:75], exec
	s_or_b64 s[72:73], s[12:13], s[72:73]
	s_and_saveexec_b64 s[78:79], s[88:89]
	s_cbranch_execz .LBB1115_1177
; %bb.1181:                             ;   in Loop: Header=BB1115_1178 Depth=1
	v_lshl_add_u64 v[18:19], v[18:19], 0, -1
	v_cmp_eq_u64_e64 s[12:13], 0, v[18:19]
	v_lshl_add_u64 v[14:15], v[14:15], 0, 2
	v_lshl_add_u64 v[16:17], v[16:17], 0, 2
	s_andn2_b64 s[72:73], s[72:73], exec
	s_orn2_b64 s[76:77], s[12:13], exec
	s_branch .LBB1115_1177
.LBB1115_1182:
	s_or_b64 exec, exec, s[60:61]
	s_xor_b64 s[12:13], s[62:63], -1
	s_andn2_b64 s[44:45], s[44:45], exec
	s_and_b64 s[12:13], s[12:13], exec
	s_or_b64 s[44:45], s[44:45], s[12:13]
.LBB1115_1183:
	s_or_b64 exec, exec, s[58:59]
	s_orn2_b64 s[44:45], s[44:45], exec
.LBB1115_1184:
	s_or_b64 exec, exec, s[56:57]
	v_cndmask_b32_e64 v14, v99, v100, s[44:45]
	v_cndmask_b32_e64 v15, v98, v97, s[44:45]
	v_add_u32_e32 v16, 1, v14
	v_add_u32_e32 v14, -1, v15
	v_min_u32_e32 v14, v16, v14
	v_lshl_add_u32 v14, v14, 3, v30
	ds_read_b64 v[14:15], v14
	v_cndmask_b32_e64 v103, v16, v99, s[44:45]
	v_cndmask_b32_e64 v112, v100, v16, s[44:45]
	v_cmp_lt_u32_e64 s[12:13], v103, v98
	s_waitcnt lgkmcnt(0)
	v_cndmask_b32_e64 v38, v15, v20, s[44:45]
	v_cndmask_b32_e64 v39, v14, v36, s[44:45]
	;; [unrolled: 1-line block ×4, first 2 shown]
	s_and_saveexec_b64 s[56:57], s[12:13]
	s_cbranch_execz .LBB1115_1194
; %bb.1185:
	v_cmp_lt_u32_e64 s[46:47], v112, v97
	s_and_b64 s[12:13], s[46:47], s[28:29]
	s_and_saveexec_b64 s[58:59], s[12:13]
	s_cbranch_execz .LBB1115_1193
; %bb.1186:
	v_mul_lo_u32 v16, v48, v6
	v_mul_lo_u32 v17, v49, v7
	v_mad_u64_u32 v[14:15], s[12:13], v49, v6, 0
	v_add3_u32 v15, v15, v17, v16
	v_mul_lo_u32 v18, v38, v6
	v_mul_lo_u32 v19, v39, v7
	v_mad_u64_u32 v[16:17], s[12:13], v39, v6, 0
	v_add3_u32 v17, v17, v19, v18
	v_lshl_add_u64 v[14:15], v[14:15], 1, v[8:9]
	v_lshl_add_u64 v[16:17], v[16:17], 1, v[8:9]
	s_mov_b64 s[60:61], 0
	v_mov_b64_e32 v[18:19], v[6:7]
                                        ; implicit-def: $sgpr62_sgpr63
                                        ; implicit-def: $sgpr72_sgpr73
                                        ; implicit-def: $sgpr78_sgpr79
	s_branch .LBB1115_1188
.LBB1115_1187:                          ;   in Loop: Header=BB1115_1188 Depth=1
	s_or_b64 exec, exec, s[78:79]
	s_and_b64 s[12:13], exec, s[76:77]
	s_or_b64 s[60:61], s[12:13], s[60:61]
	s_andn2_b64 s[12:13], s[62:63], exec
	s_and_b64 s[62:63], s[72:73], exec
	s_or_b64 s[62:63], s[12:13], s[62:63]
	s_mov_b64 s[78:79], s[74:75]
	s_andn2_b64 exec, exec, s[60:61]
	s_cbranch_execz .LBB1115_1192
.LBB1115_1188:                          ; =>This Inner Loop Header: Depth=1
	flat_load_ushort v99, v[16:17]
	flat_load_ushort v100, v[14:15]
	s_mov_b64 s[76:77], -1
	s_mov_b64 s[88:89], 0
	s_mov_b64 s[74:75], -1
	s_waitcnt vmcnt(0) lgkmcnt(0)
	v_lshlrev_b32_e32 v99, 16, v99
	v_lshlrev_b32_e32 v100, 16, v100
	v_cmp_nlt_f32_e64 s[12:13], v99, v100
	s_and_saveexec_b64 s[90:91], s[12:13]
; %bb.1189:                             ;   in Loop: Header=BB1115_1188 Depth=1
	v_cmp_ngt_f32_e64 s[12:13], v99, v100
	s_and_b64 s[74:75], s[12:13], s[78:79]
	s_orn2_b64 s[74:75], s[74:75], exec
	s_and_b64 s[88:89], s[12:13], exec
; %bb.1190:                             ;   in Loop: Header=BB1115_1188 Depth=1
	s_or_b64 exec, exec, s[90:91]
	s_andn2_b64 s[12:13], s[72:73], exec
	s_and_b64 s[72:73], s[74:75], exec
	s_or_b64 s[72:73], s[12:13], s[72:73]
	s_and_saveexec_b64 s[78:79], s[88:89]
	s_cbranch_execz .LBB1115_1187
; %bb.1191:                             ;   in Loop: Header=BB1115_1188 Depth=1
	v_lshl_add_u64 v[18:19], v[18:19], 0, -1
	v_cmp_eq_u64_e64 s[12:13], 0, v[18:19]
	v_lshl_add_u64 v[14:15], v[14:15], 0, 2
	v_lshl_add_u64 v[16:17], v[16:17], 0, 2
	s_andn2_b64 s[72:73], s[72:73], exec
	s_orn2_b64 s[76:77], s[12:13], exec
	s_branch .LBB1115_1187
.LBB1115_1192:
	s_or_b64 exec, exec, s[60:61]
	s_xor_b64 s[12:13], s[62:63], -1
	s_andn2_b64 s[46:47], s[46:47], exec
	s_and_b64 s[12:13], s[12:13], exec
	s_or_b64 s[46:47], s[46:47], s[12:13]
.LBB1115_1193:
	s_or_b64 exec, exec, s[58:59]
	s_orn2_b64 s[46:47], s[46:47], exec
.LBB1115_1194:
	s_or_b64 exec, exec, s[56:57]
	v_cndmask_b32_e64 v14, v103, v112, s[46:47]
	v_cndmask_b32_e64 v15, v98, v97, s[46:47]
	v_add_u32_e32 v16, 1, v14
	v_add_u32_e32 v14, -1, v15
	v_min_u32_e32 v14, v16, v14
	v_lshl_add_u32 v14, v14, 3, v30
	ds_read_b64 v[14:15], v14
	v_cndmask_b32_e64 v113, v16, v103, s[46:47]
	v_cndmask_b32_e64 v117, v112, v16, s[46:47]
	v_cmp_lt_u32_e64 s[12:13], v113, v98
	s_mov_b64 s[56:57], -1
	s_waitcnt lgkmcnt(0)
	v_cndmask_b32_e64 v99, v15, v38, s[46:47]
	v_cndmask_b32_e64 v100, v14, v39, s[46:47]
	;; [unrolled: 1-line block ×4, first 2 shown]
	s_mov_b64 s[58:59], -1
	s_and_saveexec_b64 s[60:61], s[12:13]
	s_cbranch_execz .LBB1115_1204
; %bb.1195:
	v_cmp_lt_u32_e64 s[58:59], v117, v97
	s_and_b64 s[12:13], s[58:59], s[28:29]
	s_and_saveexec_b64 s[62:63], s[12:13]
	s_cbranch_execz .LBB1115_1203
; %bb.1196:
	v_mul_lo_u32 v16, v101, v6
	v_mul_lo_u32 v17, v102, v7
	v_mad_u64_u32 v[14:15], s[12:13], v102, v6, 0
	v_add3_u32 v15, v15, v17, v16
	v_mul_lo_u32 v18, v99, v6
	v_mul_lo_u32 v19, v100, v7
	v_mad_u64_u32 v[16:17], s[12:13], v100, v6, 0
	v_add3_u32 v17, v17, v19, v18
	v_lshl_add_u64 v[14:15], v[14:15], 1, v[8:9]
	v_lshl_add_u64 v[16:17], v[16:17], 1, v[8:9]
	s_mov_b64 s[72:73], 0
	v_mov_b64_e32 v[18:19], v[6:7]
                                        ; implicit-def: $sgpr74_sgpr75
                                        ; implicit-def: $sgpr76_sgpr77
                                        ; implicit-def: $sgpr90_sgpr91
	s_branch .LBB1115_1198
.LBB1115_1197:                          ;   in Loop: Header=BB1115_1198 Depth=1
	s_or_b64 exec, exec, s[90:91]
	s_and_b64 s[12:13], exec, s[88:89]
	s_or_b64 s[72:73], s[12:13], s[72:73]
	s_andn2_b64 s[12:13], s[74:75], exec
	s_and_b64 s[74:75], s[76:77], exec
	s_or_b64 s[74:75], s[12:13], s[74:75]
	s_mov_b64 s[90:91], s[78:79]
	s_andn2_b64 exec, exec, s[72:73]
	s_cbranch_execz .LBB1115_1202
.LBB1115_1198:                          ; =>This Inner Loop Header: Depth=1
	flat_load_ushort v103, v[16:17]
	flat_load_ushort v112, v[14:15]
	s_mov_b64 s[88:89], -1
	s_mov_b64 s[92:93], 0
	s_mov_b64 s[78:79], -1
	s_waitcnt vmcnt(0) lgkmcnt(0)
	v_lshlrev_b32_e32 v103, 16, v103
	v_lshlrev_b32_e32 v112, 16, v112
	v_cmp_nlt_f32_e64 s[12:13], v103, v112
	s_and_saveexec_b64 s[94:95], s[12:13]
; %bb.1199:                             ;   in Loop: Header=BB1115_1198 Depth=1
	v_cmp_ngt_f32_e64 s[12:13], v103, v112
	s_and_b64 s[78:79], s[12:13], s[90:91]
	s_orn2_b64 s[78:79], s[78:79], exec
	s_and_b64 s[92:93], s[12:13], exec
; %bb.1200:                             ;   in Loop: Header=BB1115_1198 Depth=1
	s_or_b64 exec, exec, s[94:95]
	s_andn2_b64 s[12:13], s[76:77], exec
	s_and_b64 s[76:77], s[78:79], exec
	s_or_b64 s[76:77], s[12:13], s[76:77]
	s_and_saveexec_b64 s[90:91], s[92:93]
	s_cbranch_execz .LBB1115_1197
; %bb.1201:                             ;   in Loop: Header=BB1115_1198 Depth=1
	v_lshl_add_u64 v[18:19], v[18:19], 0, -1
	v_cmp_eq_u64_e64 s[12:13], 0, v[18:19]
	v_lshl_add_u64 v[14:15], v[14:15], 0, 2
	v_lshl_add_u64 v[16:17], v[16:17], 0, 2
	s_andn2_b64 s[76:77], s[76:77], exec
	s_orn2_b64 s[88:89], s[12:13], exec
	s_branch .LBB1115_1197
.LBB1115_1202:
	s_or_b64 exec, exec, s[72:73]
	s_xor_b64 s[12:13], s[74:75], -1
	s_andn2_b64 s[58:59], s[58:59], exec
	s_and_b64 s[12:13], s[12:13], exec
	s_or_b64 s[58:59], s[58:59], s[12:13]
.LBB1115_1203:
	s_or_b64 exec, exec, s[62:63]
	s_orn2_b64 s[58:59], s[58:59], exec
.LBB1115_1204:
	s_or_b64 exec, exec, s[60:61]
	v_cndmask_b32_e64 v14, v113, v117, s[58:59]
	v_cndmask_b32_e64 v15, v98, v97, s[58:59]
	v_add_u32_e32 v16, 1, v14
	v_add_u32_e32 v14, -1, v15
	v_min_u32_e32 v14, v16, v14
	v_lshl_add_u32 v14, v14, 3, v30
	ds_read_b64 v[14:15], v14
	v_cndmask_b32_e64 v114, v16, v113, s[58:59]
	v_cndmask_b32_e64 v113, v117, v16, s[58:59]
	v_cmp_lt_u32_e64 s[12:13], v114, v98
	s_waitcnt lgkmcnt(0)
	v_cndmask_b32_e64 v103, v15, v99, s[58:59]
	v_cndmask_b32_e64 v112, v14, v100, s[58:59]
	;; [unrolled: 1-line block ×4, first 2 shown]
	s_and_saveexec_b64 s[60:61], s[12:13]
	s_cbranch_execz .LBB1115_1214
; %bb.1205:
	v_cmp_lt_u32_e64 s[56:57], v113, v97
	s_and_b64 s[12:13], s[56:57], s[28:29]
	s_and_saveexec_b64 s[62:63], s[12:13]
	s_cbranch_execz .LBB1115_1213
; %bb.1206:
	v_mul_lo_u32 v16, v115, v6
	v_mul_lo_u32 v17, v116, v7
	v_mad_u64_u32 v[14:15], s[12:13], v116, v6, 0
	v_add3_u32 v15, v15, v17, v16
	v_mul_lo_u32 v18, v103, v6
	v_mul_lo_u32 v19, v112, v7
	v_mad_u64_u32 v[16:17], s[12:13], v112, v6, 0
	v_add3_u32 v17, v17, v19, v18
	v_lshl_add_u64 v[14:15], v[14:15], 1, v[8:9]
	v_lshl_add_u64 v[16:17], v[16:17], 1, v[8:9]
	s_mov_b64 s[72:73], 0
	v_mov_b64_e32 v[18:19], v[6:7]
                                        ; implicit-def: $sgpr74_sgpr75
                                        ; implicit-def: $sgpr76_sgpr77
                                        ; implicit-def: $sgpr90_sgpr91
	s_branch .LBB1115_1208
.LBB1115_1207:                          ;   in Loop: Header=BB1115_1208 Depth=1
	s_or_b64 exec, exec, s[90:91]
	s_and_b64 s[12:13], exec, s[88:89]
	s_or_b64 s[72:73], s[12:13], s[72:73]
	s_andn2_b64 s[12:13], s[74:75], exec
	s_and_b64 s[74:75], s[76:77], exec
	s_or_b64 s[74:75], s[12:13], s[74:75]
	s_mov_b64 s[90:91], s[78:79]
	s_andn2_b64 exec, exec, s[72:73]
	s_cbranch_execz .LBB1115_1212
.LBB1115_1208:                          ; =>This Inner Loop Header: Depth=1
	flat_load_ushort v117, v[16:17]
	flat_load_ushort v118, v[14:15]
	s_mov_b64 s[88:89], -1
	s_mov_b64 s[92:93], 0
	s_mov_b64 s[78:79], -1
	s_waitcnt vmcnt(0) lgkmcnt(0)
	v_lshlrev_b32_e32 v117, 16, v117
	v_lshlrev_b32_e32 v118, 16, v118
	v_cmp_nlt_f32_e64 s[12:13], v117, v118
	s_and_saveexec_b64 s[94:95], s[12:13]
; %bb.1209:                             ;   in Loop: Header=BB1115_1208 Depth=1
	v_cmp_ngt_f32_e64 s[12:13], v117, v118
	s_and_b64 s[78:79], s[12:13], s[90:91]
	s_orn2_b64 s[78:79], s[78:79], exec
	s_and_b64 s[92:93], s[12:13], exec
; %bb.1210:                             ;   in Loop: Header=BB1115_1208 Depth=1
	s_or_b64 exec, exec, s[94:95]
	s_andn2_b64 s[12:13], s[76:77], exec
	s_and_b64 s[76:77], s[78:79], exec
	s_or_b64 s[76:77], s[12:13], s[76:77]
	s_and_saveexec_b64 s[90:91], s[92:93]
	s_cbranch_execz .LBB1115_1207
; %bb.1211:                             ;   in Loop: Header=BB1115_1208 Depth=1
	v_lshl_add_u64 v[18:19], v[18:19], 0, -1
	v_cmp_eq_u64_e64 s[12:13], 0, v[18:19]
	v_lshl_add_u64 v[14:15], v[14:15], 0, 2
	v_lshl_add_u64 v[16:17], v[16:17], 0, 2
	s_andn2_b64 s[76:77], s[76:77], exec
	s_orn2_b64 s[88:89], s[12:13], exec
	s_branch .LBB1115_1207
.LBB1115_1212:
	s_or_b64 exec, exec, s[72:73]
	s_xor_b64 s[12:13], s[74:75], -1
	s_andn2_b64 s[56:57], s[56:57], exec
	s_and_b64 s[12:13], s[12:13], exec
	s_or_b64 s[56:57], s[56:57], s[12:13]
.LBB1115_1213:
	s_or_b64 exec, exec, s[62:63]
	s_orn2_b64 s[56:57], s[56:57], exec
.LBB1115_1214:
	s_or_b64 exec, exec, s[60:61]
	v_cndmask_b32_e64 v19, v25, v34, s[42:43]
	v_cndmask_b32_e64 v25, v22, v24, s[20:21]
	;; [unrolled: 1-line block ×5, first 2 shown]
	v_add_u32_e32 v34, 1, v22
	v_add_u32_e32 v22, -1, v23
	v_min_u32_e32 v22, v34, v22
	v_lshl_add_u32 v22, v22, 3, v30
	v_cndmask_b32_e64 v18, v33, v35, s[42:43]
	ds_read_b64 v[32:33], v22
	v_cndmask_b32_e64 v35, v34, v114, s[56:57]
	v_cndmask_b32_e64 v17, v99, v101, s[58:59]
	;; [unrolled: 1-line block ×11, first 2 shown]
	s_waitcnt lgkmcnt(0)
	v_cndmask_b32_e64 v13, v115, v33, s[56:57]
	v_cndmask_b32_e64 v12, v116, v32, s[56:57]
	v_cmp_lt_u32_e64 s[12:13], v35, v98
	s_and_saveexec_b64 s[18:19], s[12:13]
	s_cbranch_execz .LBB1115_1224
; %bb.1215:
	v_cndmask_b32_e64 v39, v32, v112, s[56:57]
	v_cndmask_b32_e64 v32, v113, v34, s[56:57]
	;; [unrolled: 1-line block ×3, first 2 shown]
	v_cmp_ge_u32_e64 s[12:13], v32, v97
	s_nor_b64 s[42:43], s[12:13], s[8:9]
	s_nop 0
	v_cndmask_b32_e64 v33, v13, v38, s[12:13]
	v_cndmask_b32_e64 v32, v12, v39, s[12:13]
	s_and_saveexec_b64 s[20:21], s[42:43]
	s_cbranch_execz .LBB1115_1223
; %bb.1216:
	v_mul_lo_u32 v34, v13, v6
	v_mul_lo_u32 v35, v12, v7
	v_mad_u64_u32 v[32:33], s[12:13], v12, v6, 0
	v_add3_u32 v33, v33, v35, v34
	v_mul_lo_u32 v36, v38, v6
	v_mul_lo_u32 v37, v39, v7
	v_mad_u64_u32 v[34:35], s[12:13], v39, v6, 0
	v_add3_u32 v35, v35, v37, v36
	v_lshl_add_u64 v[32:33], v[32:33], 1, v[8:9]
	v_lshl_add_u64 v[34:35], v[34:35], 1, v[8:9]
	s_mov_b64 s[42:43], 0
	v_mov_b64_e32 v[36:37], v[6:7]
                                        ; implicit-def: $sgpr44_sgpr45
                                        ; implicit-def: $sgpr46_sgpr47
                                        ; implicit-def: $sgpr58_sgpr59
	s_branch .LBB1115_1218
.LBB1115_1217:                          ;   in Loop: Header=BB1115_1218 Depth=1
	s_or_b64 exec, exec, s[58:59]
	s_and_b64 s[12:13], exec, s[12:13]
	s_or_b64 s[42:43], s[12:13], s[42:43]
	s_andn2_b64 s[12:13], s[44:45], exec
	s_and_b64 s[44:45], s[46:47], exec
	s_or_b64 s[44:45], s[12:13], s[44:45]
	s_mov_b64 s[58:59], s[56:57]
	s_andn2_b64 exec, exec, s[42:43]
	s_cbranch_execz .LBB1115_1222
.LBB1115_1218:                          ; =>This Inner Loop Header: Depth=1
	flat_load_ushort v48, v[34:35]
	flat_load_ushort v49, v[32:33]
	s_mov_b64 s[60:61], 0
	s_mov_b64 s[56:57], -1
	s_waitcnt vmcnt(0) lgkmcnt(0)
	v_lshlrev_b32_e32 v48, 16, v48
	v_lshlrev_b32_e32 v49, 16, v49
	v_cmp_nlt_f32_e64 s[12:13], v48, v49
	s_and_saveexec_b64 s[62:63], s[12:13]
; %bb.1219:                             ;   in Loop: Header=BB1115_1218 Depth=1
	v_cmp_ngt_f32_e64 s[12:13], v48, v49
	s_and_b64 s[56:57], s[12:13], s[58:59]
	s_orn2_b64 s[56:57], s[56:57], exec
	s_and_b64 s[60:61], s[12:13], exec
; %bb.1220:                             ;   in Loop: Header=BB1115_1218 Depth=1
	s_or_b64 exec, exec, s[62:63]
	s_andn2_b64 s[46:47], s[46:47], exec
	s_and_b64 s[58:59], s[56:57], exec
	s_mov_b64 s[12:13], -1
	s_or_b64 s[46:47], s[46:47], s[58:59]
	s_and_saveexec_b64 s[58:59], s[60:61]
	s_cbranch_execz .LBB1115_1217
; %bb.1221:                             ;   in Loop: Header=BB1115_1218 Depth=1
	v_lshl_add_u64 v[36:37], v[36:37], 0, -1
	v_cmp_eq_u64_e64 s[12:13], 0, v[36:37]
	v_lshl_add_u64 v[32:33], v[32:33], 0, 2
	v_lshl_add_u64 v[34:35], v[34:35], 0, 2
	s_andn2_b64 s[46:47], s[46:47], exec
	s_orn2_b64 s[12:13], s[12:13], exec
	s_branch .LBB1115_1217
.LBB1115_1222:
	s_or_b64 exec, exec, s[42:43]
	v_cndmask_b32_e64 v33, v13, v38, s[44:45]
	v_cndmask_b32_e64 v32, v12, v39, s[44:45]
.LBB1115_1223:
	s_or_b64 exec, exec, s[20:21]
	v_mov_b64_e32 v[12:13], v[32:33]
.LBB1115_1224:
	s_or_b64 exec, exec, s[18:19]
.LBB1115_1225:
	s_or_b64 exec, exec, s[40:41]
	v_and_b32_e32 v99, 0x3c0, v51
	v_or_b32_e32 v32, 32, v99
	v_min_u32_e32 v97, v50, v32
	v_add_u32_e32 v32, 32, v97
	v_min_u32_e32 v98, v50, v32
	v_and_b32_e32 v32, 56, v51
	v_min_u32_e32 v100, v50, v32
	v_sub_u32_e32 v32, v97, v99
	v_sub_u32_e32 v33, v98, v97
	v_sub_u32_e64 v101, v100, v33 clamp
	v_min_u32_e32 v102, v100, v32
	v_cmp_lt_u32_e64 s[12:13], v101, v102
	; wave barrier
	ds_write_b64 v81, v[22:23]
	ds_write_b64 v82, v[24:25]
	;; [unrolled: 1-line block ×8, first 2 shown]
	; wave barrier
	s_and_saveexec_b64 s[18:19], s[12:13]
	s_cbranch_execz .LBB1115_1237
; %bb.1226:
	v_lshlrev_b32_e32 v34, 3, v99
	v_mov_b32_e32 v35, 0
	v_lshl_add_u64 v[32:33], v[30:31], 0, v[34:35]
	v_lshlrev_b32_e32 v34, 3, v97
	v_lshl_add_u64 v[34:35], v[30:31], 0, v[34:35]
	s_mov_b64 s[20:21], 0
	s_branch .LBB1115_1229
.LBB1115_1227:                          ;   in Loop: Header=BB1115_1229 Depth=1
	s_or_b64 exec, exec, s[42:43]
	s_and_b64 s[12:13], s[44:45], exec
.LBB1115_1228:                          ;   in Loop: Header=BB1115_1229 Depth=1
	s_or_b64 exec, exec, s[40:41]
	v_add_u32_e32 v35, 1, v33
	v_cndmask_b32_e64 v102, v102, v33, s[12:13]
	v_cndmask_b32_e64 v101, v35, v101, s[12:13]
	v_cmp_ge_u32_e64 s[12:13], v101, v102
	s_or_b64 s[20:21], s[12:13], s[20:21]
	s_andn2_b64 exec, exec, s[20:21]
	s_cbranch_execz .LBB1115_1236
.LBB1115_1229:                          ; =>This Loop Header: Depth=1
                                        ;     Child Loop BB1115_1232 Depth 2
	v_add_u32_e32 v33, v102, v101
	v_lshrrev_b32_e32 v33, 1, v33
	s_mov_b64 s[12:13], 0
	s_and_saveexec_b64 s[40:41], s[16:17]
	s_cbranch_execz .LBB1115_1228
; %bb.1230:                             ;   in Loop: Header=BB1115_1229 Depth=1
	v_lshl_add_u32 v35, v33, 3, v32
	ds_read_b64 v[36:37], v35
	v_xad_u32 v35, v33, -1, v100
	v_lshl_add_u32 v35, v35, 3, v34
	ds_read_b64 v[38:39], v35
	s_mov_b64 s[42:43], 0
	s_waitcnt lgkmcnt(1)
	v_mul_lo_u32 v35, v2, v37
	v_mul_lo_u32 v48, v3, v36
	v_mad_u64_u32 v[36:37], s[12:13], v2, v36, v[8:9]
	v_add3_u32 v37, v48, v37, v35
	s_waitcnt lgkmcnt(0)
	v_mul_lo_u32 v35, v2, v39
	v_mul_lo_u32 v48, v3, v38
	v_mad_u64_u32 v[38:39], s[12:13], v2, v38, v[8:9]
	v_add3_u32 v39, v48, v39, v35
	v_mov_b64_e32 v[48:49], v[6:7]
                                        ; implicit-def: $sgpr44_sgpr45
                                        ; implicit-def: $sgpr46_sgpr47
                                        ; implicit-def: $sgpr60_sgpr61
	s_branch .LBB1115_1232
.LBB1115_1231:                          ;   in Loop: Header=BB1115_1232 Depth=2
	s_or_b64 exec, exec, s[60:61]
	s_and_b64 s[12:13], exec, s[58:59]
	s_or_b64 s[42:43], s[12:13], s[42:43]
	s_andn2_b64 s[12:13], s[44:45], exec
	s_and_b64 s[44:45], s[46:47], exec
	s_or_b64 s[44:45], s[12:13], s[44:45]
	s_mov_b64 s[60:61], s[56:57]
	s_andn2_b64 exec, exec, s[42:43]
	s_cbranch_execz .LBB1115_1227
.LBB1115_1232:                          ;   Parent Loop BB1115_1229 Depth=1
                                        ; =>  This Inner Loop Header: Depth=2
	flat_load_ushort v35, v[38:39]
	flat_load_ushort v103, v[36:37]
	s_mov_b64 s[58:59], -1
	s_mov_b64 s[62:63], 0
	s_mov_b64 s[56:57], -1
	s_waitcnt vmcnt(0) lgkmcnt(0)
	v_lshlrev_b32_e32 v35, 16, v35
	v_lshlrev_b32_e32 v103, 16, v103
	v_cmp_nlt_f32_e64 s[12:13], v35, v103
	s_and_saveexec_b64 s[72:73], s[12:13]
; %bb.1233:                             ;   in Loop: Header=BB1115_1232 Depth=2
	v_cmp_ngt_f32_e64 s[12:13], v35, v103
	s_and_b64 s[56:57], s[12:13], s[60:61]
	s_orn2_b64 s[56:57], s[56:57], exec
	s_and_b64 s[62:63], s[12:13], exec
; %bb.1234:                             ;   in Loop: Header=BB1115_1232 Depth=2
	s_or_b64 exec, exec, s[72:73]
	s_andn2_b64 s[12:13], s[46:47], exec
	s_and_b64 s[46:47], s[56:57], exec
	s_or_b64 s[46:47], s[12:13], s[46:47]
	s_and_saveexec_b64 s[60:61], s[62:63]
	s_cbranch_execz .LBB1115_1231
; %bb.1235:                             ;   in Loop: Header=BB1115_1232 Depth=2
	v_lshl_add_u64 v[48:49], v[48:49], 0, -1
	v_cmp_eq_u64_e64 s[12:13], 0, v[48:49]
	v_lshl_add_u64 v[36:37], v[36:37], 0, 2
	v_lshl_add_u64 v[38:39], v[38:39], 0, 2
	s_andn2_b64 s[46:47], s[46:47], exec
	s_orn2_b64 s[58:59], s[12:13], exec
	s_branch .LBB1115_1231
.LBB1115_1236:
	s_or_b64 exec, exec, s[20:21]
.LBB1115_1237:
	s_or_b64 exec, exec, s[18:19]
	v_add_u32_e32 v32, v97, v100
	v_add_u32_e32 v33, v101, v99
	v_sub_u32_e32 v34, v32, v101
	v_cmp_le_u32_e64 s[12:13], v33, v97
	v_cmp_le_u32_e64 s[18:19], v34, v98
	s_or_b64 s[12:13], s[12:13], s[18:19]
	s_and_saveexec_b64 s[40:41], s[12:13]
	s_cbranch_execz .LBB1115_1321
; %bb.1238:
	v_cmp_ge_u32_e64 s[18:19], v33, v97
	v_cmp_lt_u32_e64 s[12:13], v33, v97
                                        ; implicit-def: $vgpr10_vgpr11
	s_and_saveexec_b64 s[20:21], s[12:13]
; %bb.1239:
	v_lshl_add_u32 v10, v33, 3, v30
	ds_read_b64 v[10:11], v10
; %bb.1240:
	s_or_b64 exec, exec, s[20:21]
	v_cmp_ge_u32_e64 s[20:21], v34, v98
	v_cmp_lt_u32_e64 s[12:13], v34, v98
                                        ; implicit-def: $vgpr12_vgpr13
	s_and_saveexec_b64 s[42:43], s[12:13]
; %bb.1241:
	v_lshl_add_u32 v12, v34, 3, v30
	ds_read_b64 v[12:13], v12
; %bb.1242:
	s_or_b64 exec, exec, s[42:43]
	s_or_b64 s[12:13], s[18:19], s[20:21]
	s_xor_b64 s[18:19], s[18:19], -1
	s_nor_b64 s[12:13], s[12:13], s[8:9]
	s_or_b64 s[18:19], s[20:21], s[18:19]
	s_and_saveexec_b64 s[20:21], s[12:13]
	s_cbranch_execz .LBB1115_1250
; %bb.1243:
	s_waitcnt lgkmcnt(0)
	v_mul_lo_u32 v16, v11, v6
	v_mul_lo_u32 v17, v10, v7
	v_mad_u64_u32 v[14:15], s[12:13], v10, v6, 0
	v_add3_u32 v15, v15, v17, v16
	v_mul_lo_u32 v18, v13, v6
	v_mul_lo_u32 v19, v12, v7
	v_mad_u64_u32 v[16:17], s[12:13], v12, v6, 0
	v_add3_u32 v17, v17, v19, v18
	v_lshl_add_u64 v[14:15], v[14:15], 1, v[8:9]
	v_lshl_add_u64 v[16:17], v[16:17], 1, v[8:9]
	s_mov_b64 s[42:43], 0
	v_mov_b64_e32 v[18:19], v[6:7]
                                        ; implicit-def: $sgpr44_sgpr45
                                        ; implicit-def: $sgpr46_sgpr47
                                        ; implicit-def: $sgpr60_sgpr61
	s_branch .LBB1115_1245
.LBB1115_1244:                          ;   in Loop: Header=BB1115_1245 Depth=1
	s_or_b64 exec, exec, s[60:61]
	s_and_b64 s[12:13], exec, s[58:59]
	s_or_b64 s[42:43], s[12:13], s[42:43]
	s_andn2_b64 s[12:13], s[44:45], exec
	s_and_b64 s[44:45], s[46:47], exec
	s_or_b64 s[44:45], s[12:13], s[44:45]
	s_mov_b64 s[60:61], s[56:57]
	s_andn2_b64 exec, exec, s[42:43]
	s_cbranch_execz .LBB1115_1249
.LBB1115_1245:                          ; =>This Inner Loop Header: Depth=1
	flat_load_ushort v20, v[16:17]
	flat_load_ushort v21, v[14:15]
	s_mov_b64 s[58:59], -1
	s_mov_b64 s[62:63], 0
	s_mov_b64 s[56:57], -1
	s_waitcnt vmcnt(0) lgkmcnt(0)
	v_lshlrev_b32_e32 v20, 16, v20
	v_lshlrev_b32_e32 v21, 16, v21
	v_cmp_nlt_f32_e64 s[12:13], v20, v21
	s_and_saveexec_b64 s[72:73], s[12:13]
; %bb.1246:                             ;   in Loop: Header=BB1115_1245 Depth=1
	v_cmp_ngt_f32_e64 s[12:13], v20, v21
	s_and_b64 s[56:57], s[12:13], s[60:61]
	s_orn2_b64 s[56:57], s[56:57], exec
	s_and_b64 s[62:63], s[12:13], exec
; %bb.1247:                             ;   in Loop: Header=BB1115_1245 Depth=1
	s_or_b64 exec, exec, s[72:73]
	s_andn2_b64 s[12:13], s[46:47], exec
	s_and_b64 s[46:47], s[56:57], exec
	s_or_b64 s[46:47], s[12:13], s[46:47]
	s_and_saveexec_b64 s[60:61], s[62:63]
	s_cbranch_execz .LBB1115_1244
; %bb.1248:                             ;   in Loop: Header=BB1115_1245 Depth=1
	v_lshl_add_u64 v[18:19], v[18:19], 0, -1
	v_cmp_eq_u64_e64 s[12:13], 0, v[18:19]
	v_lshl_add_u64 v[14:15], v[14:15], 0, 2
	v_lshl_add_u64 v[16:17], v[16:17], 0, 2
	s_andn2_b64 s[46:47], s[46:47], exec
	s_orn2_b64 s[58:59], s[12:13], exec
	s_branch .LBB1115_1244
.LBB1115_1249:
	s_or_b64 exec, exec, s[42:43]
	s_xor_b64 s[12:13], s[44:45], -1
	s_andn2_b64 s[18:19], s[18:19], exec
	s_and_b64 s[12:13], s[12:13], exec
	s_or_b64 s[18:19], s[18:19], s[12:13]
.LBB1115_1250:
	s_or_b64 exec, exec, s[20:21]
	v_cndmask_b32_e64 v14, v34, v33, s[18:19]
	v_cndmask_b32_e64 v15, v98, v97, s[18:19]
	v_add_u32_e32 v16, 1, v14
	v_add_u32_e32 v14, -1, v15
	v_min_u32_e32 v14, v16, v14
	v_lshl_add_u32 v14, v14, 3, v30
	ds_read_b64 v[14:15], v14
	v_cndmask_b32_e64 v20, v16, v34, s[18:19]
	v_cndmask_b32_e64 v21, v33, v16, s[18:19]
	v_cmp_lt_u32_e64 s[12:13], v20, v98
	s_mov_b64 s[42:43], -1
	s_waitcnt lgkmcnt(0)
	v_cndmask_b32_e64 v22, v15, v13, s[18:19]
	v_cndmask_b32_e64 v23, v14, v12, s[18:19]
	;; [unrolled: 1-line block ×4, first 2 shown]
	s_mov_b64 s[20:21], -1
	s_and_saveexec_b64 s[44:45], s[12:13]
	s_cbranch_execz .LBB1115_1260
; %bb.1251:
	v_cmp_lt_u32_e64 s[20:21], v21, v97
	s_and_b64 s[12:13], s[20:21], s[28:29]
	s_and_saveexec_b64 s[46:47], s[12:13]
	s_cbranch_execz .LBB1115_1259
; %bb.1252:
	v_mul_lo_u32 v16, v24, v6
	v_mul_lo_u32 v17, v32, v7
	v_mad_u64_u32 v[14:15], s[12:13], v32, v6, 0
	v_add3_u32 v15, v15, v17, v16
	v_mul_lo_u32 v18, v22, v6
	v_mul_lo_u32 v19, v23, v7
	v_mad_u64_u32 v[16:17], s[12:13], v23, v6, 0
	v_add3_u32 v17, v17, v19, v18
	v_lshl_add_u64 v[14:15], v[14:15], 1, v[8:9]
	v_lshl_add_u64 v[16:17], v[16:17], 1, v[8:9]
	s_mov_b64 s[56:57], 0
	v_mov_b64_e32 v[18:19], v[6:7]
                                        ; implicit-def: $sgpr58_sgpr59
                                        ; implicit-def: $sgpr60_sgpr61
                                        ; implicit-def: $sgpr74_sgpr75
	s_branch .LBB1115_1254
.LBB1115_1253:                          ;   in Loop: Header=BB1115_1254 Depth=1
	s_or_b64 exec, exec, s[74:75]
	s_and_b64 s[12:13], exec, s[72:73]
	s_or_b64 s[56:57], s[12:13], s[56:57]
	s_andn2_b64 s[12:13], s[58:59], exec
	s_and_b64 s[58:59], s[60:61], exec
	s_or_b64 s[58:59], s[12:13], s[58:59]
	s_mov_b64 s[74:75], s[62:63]
	s_andn2_b64 exec, exec, s[56:57]
	s_cbranch_execz .LBB1115_1258
.LBB1115_1254:                          ; =>This Inner Loop Header: Depth=1
	flat_load_ushort v25, v[16:17]
	flat_load_ushort v33, v[14:15]
	s_mov_b64 s[72:73], -1
	s_mov_b64 s[76:77], 0
	s_mov_b64 s[62:63], -1
	s_waitcnt vmcnt(0) lgkmcnt(0)
	v_lshlrev_b32_e32 v25, 16, v25
	v_lshlrev_b32_e32 v33, 16, v33
	v_cmp_nlt_f32_e64 s[12:13], v25, v33
	s_and_saveexec_b64 s[78:79], s[12:13]
; %bb.1255:                             ;   in Loop: Header=BB1115_1254 Depth=1
	v_cmp_ngt_f32_e64 s[12:13], v25, v33
	s_and_b64 s[62:63], s[12:13], s[74:75]
	s_orn2_b64 s[62:63], s[62:63], exec
	s_and_b64 s[76:77], s[12:13], exec
; %bb.1256:                             ;   in Loop: Header=BB1115_1254 Depth=1
	s_or_b64 exec, exec, s[78:79]
	s_andn2_b64 s[12:13], s[60:61], exec
	s_and_b64 s[60:61], s[62:63], exec
	s_or_b64 s[60:61], s[12:13], s[60:61]
	s_and_saveexec_b64 s[74:75], s[76:77]
	s_cbranch_execz .LBB1115_1253
; %bb.1257:                             ;   in Loop: Header=BB1115_1254 Depth=1
	v_lshl_add_u64 v[18:19], v[18:19], 0, -1
	v_cmp_eq_u64_e64 s[12:13], 0, v[18:19]
	v_lshl_add_u64 v[14:15], v[14:15], 0, 2
	v_lshl_add_u64 v[16:17], v[16:17], 0, 2
	s_andn2_b64 s[60:61], s[60:61], exec
	s_orn2_b64 s[72:73], s[12:13], exec
	s_branch .LBB1115_1253
.LBB1115_1258:
	s_or_b64 exec, exec, s[56:57]
	s_xor_b64 s[12:13], s[58:59], -1
	s_andn2_b64 s[20:21], s[20:21], exec
	s_and_b64 s[12:13], s[12:13], exec
	s_or_b64 s[20:21], s[20:21], s[12:13]
.LBB1115_1259:
	s_or_b64 exec, exec, s[46:47]
	s_orn2_b64 s[20:21], s[20:21], exec
.LBB1115_1260:
	s_or_b64 exec, exec, s[44:45]
	v_cndmask_b32_e64 v14, v20, v21, s[20:21]
	v_cndmask_b32_e64 v15, v98, v97, s[20:21]
	v_add_u32_e32 v16, 1, v14
	v_add_u32_e32 v14, -1, v15
	v_min_u32_e32 v14, v16, v14
	v_lshl_add_u32 v14, v14, 3, v30
	ds_read_b64 v[14:15], v14
	v_cndmask_b32_e64 v38, v16, v20, s[20:21]
	v_cndmask_b32_e64 v39, v21, v16, s[20:21]
	v_cmp_lt_u32_e64 s[12:13], v38, v98
	s_waitcnt lgkmcnt(0)
	v_cndmask_b32_e64 v25, v15, v22, s[20:21]
	v_cndmask_b32_e64 v33, v14, v23, s[20:21]
	;; [unrolled: 1-line block ×4, first 2 shown]
	s_and_saveexec_b64 s[44:45], s[12:13]
	s_cbranch_execz .LBB1115_1270
; %bb.1261:
	v_cmp_lt_u32_e64 s[42:43], v39, v97
	s_and_b64 s[12:13], s[42:43], s[28:29]
	s_and_saveexec_b64 s[46:47], s[12:13]
	s_cbranch_execz .LBB1115_1269
; %bb.1262:
	v_mul_lo_u32 v16, v34, v6
	v_mul_lo_u32 v17, v35, v7
	v_mad_u64_u32 v[14:15], s[12:13], v35, v6, 0
	v_add3_u32 v15, v15, v17, v16
	v_mul_lo_u32 v18, v25, v6
	v_mul_lo_u32 v19, v33, v7
	v_mad_u64_u32 v[16:17], s[12:13], v33, v6, 0
	v_add3_u32 v17, v17, v19, v18
	v_lshl_add_u64 v[14:15], v[14:15], 1, v[8:9]
	v_lshl_add_u64 v[16:17], v[16:17], 1, v[8:9]
	s_mov_b64 s[56:57], 0
	v_mov_b64_e32 v[18:19], v[6:7]
                                        ; implicit-def: $sgpr58_sgpr59
                                        ; implicit-def: $sgpr60_sgpr61
                                        ; implicit-def: $sgpr74_sgpr75
	s_branch .LBB1115_1264
.LBB1115_1263:                          ;   in Loop: Header=BB1115_1264 Depth=1
	s_or_b64 exec, exec, s[74:75]
	s_and_b64 s[12:13], exec, s[72:73]
	s_or_b64 s[56:57], s[12:13], s[56:57]
	s_andn2_b64 s[12:13], s[58:59], exec
	s_and_b64 s[58:59], s[60:61], exec
	s_or_b64 s[58:59], s[12:13], s[58:59]
	s_mov_b64 s[74:75], s[62:63]
	s_andn2_b64 exec, exec, s[56:57]
	s_cbranch_execz .LBB1115_1268
.LBB1115_1264:                          ; =>This Inner Loop Header: Depth=1
	flat_load_ushort v20, v[16:17]
	flat_load_ushort v21, v[14:15]
	s_mov_b64 s[72:73], -1
	s_mov_b64 s[76:77], 0
	s_mov_b64 s[62:63], -1
	s_waitcnt vmcnt(0) lgkmcnt(0)
	v_lshlrev_b32_e32 v20, 16, v20
	v_lshlrev_b32_e32 v21, 16, v21
	v_cmp_nlt_f32_e64 s[12:13], v20, v21
	s_and_saveexec_b64 s[78:79], s[12:13]
; %bb.1265:                             ;   in Loop: Header=BB1115_1264 Depth=1
	v_cmp_ngt_f32_e64 s[12:13], v20, v21
	s_and_b64 s[62:63], s[12:13], s[74:75]
	s_orn2_b64 s[62:63], s[62:63], exec
	s_and_b64 s[76:77], s[12:13], exec
; %bb.1266:                             ;   in Loop: Header=BB1115_1264 Depth=1
	s_or_b64 exec, exec, s[78:79]
	s_andn2_b64 s[12:13], s[60:61], exec
	s_and_b64 s[60:61], s[62:63], exec
	s_or_b64 s[60:61], s[12:13], s[60:61]
	s_and_saveexec_b64 s[74:75], s[76:77]
	s_cbranch_execz .LBB1115_1263
; %bb.1267:                             ;   in Loop: Header=BB1115_1264 Depth=1
	v_lshl_add_u64 v[18:19], v[18:19], 0, -1
	v_cmp_eq_u64_e64 s[12:13], 0, v[18:19]
	v_lshl_add_u64 v[14:15], v[14:15], 0, 2
	v_lshl_add_u64 v[16:17], v[16:17], 0, 2
	s_andn2_b64 s[60:61], s[60:61], exec
	s_orn2_b64 s[72:73], s[12:13], exec
	s_branch .LBB1115_1263
.LBB1115_1268:
	s_or_b64 exec, exec, s[56:57]
	s_xor_b64 s[12:13], s[58:59], -1
	s_andn2_b64 s[42:43], s[42:43], exec
	s_and_b64 s[12:13], s[12:13], exec
	s_or_b64 s[42:43], s[42:43], s[12:13]
.LBB1115_1269:
	s_or_b64 exec, exec, s[46:47]
	s_orn2_b64 s[42:43], s[42:43], exec
.LBB1115_1270:
	s_or_b64 exec, exec, s[44:45]
	v_cndmask_b32_e64 v14, v38, v39, s[42:43]
	v_cndmask_b32_e64 v15, v98, v97, s[42:43]
	v_add_u32_e32 v16, 1, v14
	v_add_u32_e32 v14, -1, v15
	v_min_u32_e32 v14, v16, v14
	v_lshl_add_u32 v14, v14, 3, v30
	ds_read_b64 v[14:15], v14
	v_cndmask_b32_e64 v99, v16, v38, s[42:43]
	v_cndmask_b32_e64 v100, v39, v16, s[42:43]
	v_cmp_lt_u32_e64 s[12:13], v99, v98
	s_mov_b64 s[46:47], -1
	s_waitcnt lgkmcnt(0)
	v_cndmask_b32_e64 v20, v15, v25, s[42:43]
	v_cndmask_b32_e64 v36, v14, v33, s[42:43]
	;; [unrolled: 1-line block ×4, first 2 shown]
	s_mov_b64 s[44:45], -1
	s_and_saveexec_b64 s[56:57], s[12:13]
	s_cbranch_execz .LBB1115_1280
; %bb.1271:
	v_cmp_lt_u32_e64 s[44:45], v100, v97
	s_and_b64 s[12:13], s[44:45], s[28:29]
	s_and_saveexec_b64 s[58:59], s[12:13]
	s_cbranch_execz .LBB1115_1279
; %bb.1272:
	v_mul_lo_u32 v16, v21, v6
	v_mul_lo_u32 v17, v37, v7
	v_mad_u64_u32 v[14:15], s[12:13], v37, v6, 0
	v_add3_u32 v15, v15, v17, v16
	v_mul_lo_u32 v18, v20, v6
	v_mul_lo_u32 v19, v36, v7
	v_mad_u64_u32 v[16:17], s[12:13], v36, v6, 0
	v_add3_u32 v17, v17, v19, v18
	v_lshl_add_u64 v[14:15], v[14:15], 1, v[8:9]
	v_lshl_add_u64 v[16:17], v[16:17], 1, v[8:9]
	s_mov_b64 s[60:61], 0
	v_mov_b64_e32 v[18:19], v[6:7]
                                        ; implicit-def: $sgpr62_sgpr63
                                        ; implicit-def: $sgpr72_sgpr73
                                        ; implicit-def: $sgpr78_sgpr79
	s_branch .LBB1115_1274
.LBB1115_1273:                          ;   in Loop: Header=BB1115_1274 Depth=1
	s_or_b64 exec, exec, s[78:79]
	s_and_b64 s[12:13], exec, s[76:77]
	s_or_b64 s[60:61], s[12:13], s[60:61]
	s_andn2_b64 s[12:13], s[62:63], exec
	s_and_b64 s[62:63], s[72:73], exec
	s_or_b64 s[62:63], s[12:13], s[62:63]
	s_mov_b64 s[78:79], s[74:75]
	s_andn2_b64 exec, exec, s[60:61]
	s_cbranch_execz .LBB1115_1278
.LBB1115_1274:                          ; =>This Inner Loop Header: Depth=1
	flat_load_ushort v38, v[16:17]
	flat_load_ushort v39, v[14:15]
	s_mov_b64 s[76:77], -1
	s_mov_b64 s[88:89], 0
	s_mov_b64 s[74:75], -1
	s_waitcnt vmcnt(0) lgkmcnt(0)
	v_lshlrev_b32_e32 v38, 16, v38
	v_lshlrev_b32_e32 v39, 16, v39
	v_cmp_nlt_f32_e64 s[12:13], v38, v39
	s_and_saveexec_b64 s[90:91], s[12:13]
; %bb.1275:                             ;   in Loop: Header=BB1115_1274 Depth=1
	v_cmp_ngt_f32_e64 s[12:13], v38, v39
	s_and_b64 s[74:75], s[12:13], s[78:79]
	s_orn2_b64 s[74:75], s[74:75], exec
	s_and_b64 s[88:89], s[12:13], exec
; %bb.1276:                             ;   in Loop: Header=BB1115_1274 Depth=1
	s_or_b64 exec, exec, s[90:91]
	s_andn2_b64 s[12:13], s[72:73], exec
	s_and_b64 s[72:73], s[74:75], exec
	s_or_b64 s[72:73], s[12:13], s[72:73]
	s_and_saveexec_b64 s[78:79], s[88:89]
	s_cbranch_execz .LBB1115_1273
; %bb.1277:                             ;   in Loop: Header=BB1115_1274 Depth=1
	v_lshl_add_u64 v[18:19], v[18:19], 0, -1
	v_cmp_eq_u64_e64 s[12:13], 0, v[18:19]
	v_lshl_add_u64 v[14:15], v[14:15], 0, 2
	v_lshl_add_u64 v[16:17], v[16:17], 0, 2
	s_andn2_b64 s[72:73], s[72:73], exec
	s_orn2_b64 s[76:77], s[12:13], exec
	s_branch .LBB1115_1273
.LBB1115_1278:
	s_or_b64 exec, exec, s[60:61]
	s_xor_b64 s[12:13], s[62:63], -1
	s_andn2_b64 s[44:45], s[44:45], exec
	s_and_b64 s[12:13], s[12:13], exec
	s_or_b64 s[44:45], s[44:45], s[12:13]
.LBB1115_1279:
	s_or_b64 exec, exec, s[58:59]
	s_orn2_b64 s[44:45], s[44:45], exec
.LBB1115_1280:
	s_or_b64 exec, exec, s[56:57]
	v_cndmask_b32_e64 v14, v99, v100, s[44:45]
	v_cndmask_b32_e64 v15, v98, v97, s[44:45]
	v_add_u32_e32 v16, 1, v14
	v_add_u32_e32 v14, -1, v15
	v_min_u32_e32 v14, v16, v14
	v_lshl_add_u32 v14, v14, 3, v30
	ds_read_b64 v[14:15], v14
	v_cndmask_b32_e64 v103, v16, v99, s[44:45]
	v_cndmask_b32_e64 v112, v100, v16, s[44:45]
	v_cmp_lt_u32_e64 s[12:13], v103, v98
	s_waitcnt lgkmcnt(0)
	v_cndmask_b32_e64 v38, v15, v20, s[44:45]
	v_cndmask_b32_e64 v39, v14, v36, s[44:45]
	;; [unrolled: 1-line block ×4, first 2 shown]
	s_and_saveexec_b64 s[56:57], s[12:13]
	s_cbranch_execz .LBB1115_1290
; %bb.1281:
	v_cmp_lt_u32_e64 s[46:47], v112, v97
	s_and_b64 s[12:13], s[46:47], s[28:29]
	s_and_saveexec_b64 s[58:59], s[12:13]
	s_cbranch_execz .LBB1115_1289
; %bb.1282:
	v_mul_lo_u32 v16, v48, v6
	v_mul_lo_u32 v17, v49, v7
	v_mad_u64_u32 v[14:15], s[12:13], v49, v6, 0
	v_add3_u32 v15, v15, v17, v16
	v_mul_lo_u32 v18, v38, v6
	v_mul_lo_u32 v19, v39, v7
	v_mad_u64_u32 v[16:17], s[12:13], v39, v6, 0
	v_add3_u32 v17, v17, v19, v18
	v_lshl_add_u64 v[14:15], v[14:15], 1, v[8:9]
	v_lshl_add_u64 v[16:17], v[16:17], 1, v[8:9]
	s_mov_b64 s[60:61], 0
	v_mov_b64_e32 v[18:19], v[6:7]
                                        ; implicit-def: $sgpr62_sgpr63
                                        ; implicit-def: $sgpr72_sgpr73
                                        ; implicit-def: $sgpr78_sgpr79
	s_branch .LBB1115_1284
.LBB1115_1283:                          ;   in Loop: Header=BB1115_1284 Depth=1
	s_or_b64 exec, exec, s[78:79]
	s_and_b64 s[12:13], exec, s[76:77]
	s_or_b64 s[60:61], s[12:13], s[60:61]
	s_andn2_b64 s[12:13], s[62:63], exec
	s_and_b64 s[62:63], s[72:73], exec
	s_or_b64 s[62:63], s[12:13], s[62:63]
	s_mov_b64 s[78:79], s[74:75]
	s_andn2_b64 exec, exec, s[60:61]
	s_cbranch_execz .LBB1115_1288
.LBB1115_1284:                          ; =>This Inner Loop Header: Depth=1
	flat_load_ushort v99, v[16:17]
	flat_load_ushort v100, v[14:15]
	s_mov_b64 s[76:77], -1
	s_mov_b64 s[88:89], 0
	s_mov_b64 s[74:75], -1
	s_waitcnt vmcnt(0) lgkmcnt(0)
	v_lshlrev_b32_e32 v99, 16, v99
	v_lshlrev_b32_e32 v100, 16, v100
	v_cmp_nlt_f32_e64 s[12:13], v99, v100
	s_and_saveexec_b64 s[90:91], s[12:13]
; %bb.1285:                             ;   in Loop: Header=BB1115_1284 Depth=1
	v_cmp_ngt_f32_e64 s[12:13], v99, v100
	s_and_b64 s[74:75], s[12:13], s[78:79]
	s_orn2_b64 s[74:75], s[74:75], exec
	s_and_b64 s[88:89], s[12:13], exec
; %bb.1286:                             ;   in Loop: Header=BB1115_1284 Depth=1
	s_or_b64 exec, exec, s[90:91]
	s_andn2_b64 s[12:13], s[72:73], exec
	s_and_b64 s[72:73], s[74:75], exec
	s_or_b64 s[72:73], s[12:13], s[72:73]
	s_and_saveexec_b64 s[78:79], s[88:89]
	s_cbranch_execz .LBB1115_1283
; %bb.1287:                             ;   in Loop: Header=BB1115_1284 Depth=1
	v_lshl_add_u64 v[18:19], v[18:19], 0, -1
	v_cmp_eq_u64_e64 s[12:13], 0, v[18:19]
	v_lshl_add_u64 v[14:15], v[14:15], 0, 2
	v_lshl_add_u64 v[16:17], v[16:17], 0, 2
	s_andn2_b64 s[72:73], s[72:73], exec
	s_orn2_b64 s[76:77], s[12:13], exec
	s_branch .LBB1115_1283
.LBB1115_1288:
	s_or_b64 exec, exec, s[60:61]
	s_xor_b64 s[12:13], s[62:63], -1
	s_andn2_b64 s[46:47], s[46:47], exec
	s_and_b64 s[12:13], s[12:13], exec
	s_or_b64 s[46:47], s[46:47], s[12:13]
.LBB1115_1289:
	s_or_b64 exec, exec, s[58:59]
	s_orn2_b64 s[46:47], s[46:47], exec
.LBB1115_1290:
	s_or_b64 exec, exec, s[56:57]
	v_cndmask_b32_e64 v14, v103, v112, s[46:47]
	v_cndmask_b32_e64 v15, v98, v97, s[46:47]
	v_add_u32_e32 v16, 1, v14
	v_add_u32_e32 v14, -1, v15
	v_min_u32_e32 v14, v16, v14
	v_lshl_add_u32 v14, v14, 3, v30
	ds_read_b64 v[14:15], v14
	v_cndmask_b32_e64 v113, v16, v103, s[46:47]
	v_cndmask_b32_e64 v117, v112, v16, s[46:47]
	v_cmp_lt_u32_e64 s[12:13], v113, v98
	s_mov_b64 s[56:57], -1
	s_waitcnt lgkmcnt(0)
	v_cndmask_b32_e64 v99, v15, v38, s[46:47]
	v_cndmask_b32_e64 v100, v14, v39, s[46:47]
	v_cndmask_b32_e64 v101, v48, v15, s[46:47]
	v_cndmask_b32_e64 v102, v49, v14, s[46:47]
	s_mov_b64 s[58:59], -1
	s_and_saveexec_b64 s[60:61], s[12:13]
	s_cbranch_execz .LBB1115_1300
; %bb.1291:
	v_cmp_lt_u32_e64 s[58:59], v117, v97
	s_and_b64 s[12:13], s[58:59], s[28:29]
	s_and_saveexec_b64 s[62:63], s[12:13]
	s_cbranch_execz .LBB1115_1299
; %bb.1292:
	v_mul_lo_u32 v16, v101, v6
	v_mul_lo_u32 v17, v102, v7
	v_mad_u64_u32 v[14:15], s[12:13], v102, v6, 0
	v_add3_u32 v15, v15, v17, v16
	v_mul_lo_u32 v18, v99, v6
	v_mul_lo_u32 v19, v100, v7
	v_mad_u64_u32 v[16:17], s[12:13], v100, v6, 0
	v_add3_u32 v17, v17, v19, v18
	v_lshl_add_u64 v[14:15], v[14:15], 1, v[8:9]
	v_lshl_add_u64 v[16:17], v[16:17], 1, v[8:9]
	s_mov_b64 s[72:73], 0
	v_mov_b64_e32 v[18:19], v[6:7]
                                        ; implicit-def: $sgpr74_sgpr75
                                        ; implicit-def: $sgpr76_sgpr77
                                        ; implicit-def: $sgpr90_sgpr91
	s_branch .LBB1115_1294
.LBB1115_1293:                          ;   in Loop: Header=BB1115_1294 Depth=1
	s_or_b64 exec, exec, s[90:91]
	s_and_b64 s[12:13], exec, s[88:89]
	s_or_b64 s[72:73], s[12:13], s[72:73]
	s_andn2_b64 s[12:13], s[74:75], exec
	s_and_b64 s[74:75], s[76:77], exec
	s_or_b64 s[74:75], s[12:13], s[74:75]
	s_mov_b64 s[90:91], s[78:79]
	s_andn2_b64 exec, exec, s[72:73]
	s_cbranch_execz .LBB1115_1298
.LBB1115_1294:                          ; =>This Inner Loop Header: Depth=1
	flat_load_ushort v103, v[16:17]
	flat_load_ushort v112, v[14:15]
	s_mov_b64 s[88:89], -1
	s_mov_b64 s[92:93], 0
	s_mov_b64 s[78:79], -1
	s_waitcnt vmcnt(0) lgkmcnt(0)
	v_lshlrev_b32_e32 v103, 16, v103
	v_lshlrev_b32_e32 v112, 16, v112
	v_cmp_nlt_f32_e64 s[12:13], v103, v112
	s_and_saveexec_b64 s[94:95], s[12:13]
; %bb.1295:                             ;   in Loop: Header=BB1115_1294 Depth=1
	v_cmp_ngt_f32_e64 s[12:13], v103, v112
	s_and_b64 s[78:79], s[12:13], s[90:91]
	s_orn2_b64 s[78:79], s[78:79], exec
	s_and_b64 s[92:93], s[12:13], exec
; %bb.1296:                             ;   in Loop: Header=BB1115_1294 Depth=1
	s_or_b64 exec, exec, s[94:95]
	s_andn2_b64 s[12:13], s[76:77], exec
	s_and_b64 s[76:77], s[78:79], exec
	s_or_b64 s[76:77], s[12:13], s[76:77]
	s_and_saveexec_b64 s[90:91], s[92:93]
	s_cbranch_execz .LBB1115_1293
; %bb.1297:                             ;   in Loop: Header=BB1115_1294 Depth=1
	v_lshl_add_u64 v[18:19], v[18:19], 0, -1
	v_cmp_eq_u64_e64 s[12:13], 0, v[18:19]
	v_lshl_add_u64 v[14:15], v[14:15], 0, 2
	v_lshl_add_u64 v[16:17], v[16:17], 0, 2
	s_andn2_b64 s[76:77], s[76:77], exec
	s_orn2_b64 s[88:89], s[12:13], exec
	s_branch .LBB1115_1293
.LBB1115_1298:
	s_or_b64 exec, exec, s[72:73]
	s_xor_b64 s[12:13], s[74:75], -1
	s_andn2_b64 s[58:59], s[58:59], exec
	s_and_b64 s[12:13], s[12:13], exec
	s_or_b64 s[58:59], s[58:59], s[12:13]
.LBB1115_1299:
	s_or_b64 exec, exec, s[62:63]
	s_orn2_b64 s[58:59], s[58:59], exec
.LBB1115_1300:
	s_or_b64 exec, exec, s[60:61]
	v_cndmask_b32_e64 v14, v113, v117, s[58:59]
	v_cndmask_b32_e64 v15, v98, v97, s[58:59]
	v_add_u32_e32 v16, 1, v14
	v_add_u32_e32 v14, -1, v15
	v_min_u32_e32 v14, v16, v14
	v_lshl_add_u32 v14, v14, 3, v30
	ds_read_b64 v[14:15], v14
	v_cndmask_b32_e64 v114, v16, v113, s[58:59]
	v_cndmask_b32_e64 v113, v117, v16, s[58:59]
	v_cmp_lt_u32_e64 s[12:13], v114, v98
	s_waitcnt lgkmcnt(0)
	v_cndmask_b32_e64 v103, v15, v99, s[58:59]
	v_cndmask_b32_e64 v112, v14, v100, s[58:59]
	;; [unrolled: 1-line block ×4, first 2 shown]
	s_and_saveexec_b64 s[60:61], s[12:13]
	s_cbranch_execz .LBB1115_1310
; %bb.1301:
	v_cmp_lt_u32_e64 s[56:57], v113, v97
	s_and_b64 s[12:13], s[56:57], s[28:29]
	s_and_saveexec_b64 s[62:63], s[12:13]
	s_cbranch_execz .LBB1115_1309
; %bb.1302:
	v_mul_lo_u32 v16, v115, v6
	v_mul_lo_u32 v17, v116, v7
	v_mad_u64_u32 v[14:15], s[12:13], v116, v6, 0
	v_add3_u32 v15, v15, v17, v16
	v_mul_lo_u32 v18, v103, v6
	v_mul_lo_u32 v19, v112, v7
	v_mad_u64_u32 v[16:17], s[12:13], v112, v6, 0
	v_add3_u32 v17, v17, v19, v18
	v_lshl_add_u64 v[14:15], v[14:15], 1, v[8:9]
	v_lshl_add_u64 v[16:17], v[16:17], 1, v[8:9]
	s_mov_b64 s[72:73], 0
	v_mov_b64_e32 v[18:19], v[6:7]
                                        ; implicit-def: $sgpr74_sgpr75
                                        ; implicit-def: $sgpr76_sgpr77
                                        ; implicit-def: $sgpr90_sgpr91
	s_branch .LBB1115_1304
.LBB1115_1303:                          ;   in Loop: Header=BB1115_1304 Depth=1
	s_or_b64 exec, exec, s[90:91]
	s_and_b64 s[12:13], exec, s[88:89]
	s_or_b64 s[72:73], s[12:13], s[72:73]
	s_andn2_b64 s[12:13], s[74:75], exec
	s_and_b64 s[74:75], s[76:77], exec
	s_or_b64 s[74:75], s[12:13], s[74:75]
	s_mov_b64 s[90:91], s[78:79]
	s_andn2_b64 exec, exec, s[72:73]
	s_cbranch_execz .LBB1115_1308
.LBB1115_1304:                          ; =>This Inner Loop Header: Depth=1
	flat_load_ushort v117, v[16:17]
	flat_load_ushort v118, v[14:15]
	s_mov_b64 s[88:89], -1
	s_mov_b64 s[92:93], 0
	s_mov_b64 s[78:79], -1
	s_waitcnt vmcnt(0) lgkmcnt(0)
	v_lshlrev_b32_e32 v117, 16, v117
	v_lshlrev_b32_e32 v118, 16, v118
	v_cmp_nlt_f32_e64 s[12:13], v117, v118
	s_and_saveexec_b64 s[94:95], s[12:13]
; %bb.1305:                             ;   in Loop: Header=BB1115_1304 Depth=1
	v_cmp_ngt_f32_e64 s[12:13], v117, v118
	s_and_b64 s[78:79], s[12:13], s[90:91]
	s_orn2_b64 s[78:79], s[78:79], exec
	s_and_b64 s[92:93], s[12:13], exec
; %bb.1306:                             ;   in Loop: Header=BB1115_1304 Depth=1
	s_or_b64 exec, exec, s[94:95]
	s_andn2_b64 s[12:13], s[76:77], exec
	s_and_b64 s[76:77], s[78:79], exec
	s_or_b64 s[76:77], s[12:13], s[76:77]
	s_and_saveexec_b64 s[90:91], s[92:93]
	s_cbranch_execz .LBB1115_1303
; %bb.1307:                             ;   in Loop: Header=BB1115_1304 Depth=1
	v_lshl_add_u64 v[18:19], v[18:19], 0, -1
	v_cmp_eq_u64_e64 s[12:13], 0, v[18:19]
	v_lshl_add_u64 v[14:15], v[14:15], 0, 2
	v_lshl_add_u64 v[16:17], v[16:17], 0, 2
	s_andn2_b64 s[76:77], s[76:77], exec
	s_orn2_b64 s[88:89], s[12:13], exec
	s_branch .LBB1115_1303
.LBB1115_1308:
	s_or_b64 exec, exec, s[72:73]
	s_xor_b64 s[12:13], s[74:75], -1
	s_andn2_b64 s[56:57], s[56:57], exec
	s_and_b64 s[12:13], s[12:13], exec
	s_or_b64 s[56:57], s[56:57], s[12:13]
.LBB1115_1309:
	s_or_b64 exec, exec, s[62:63]
	s_orn2_b64 s[56:57], s[56:57], exec
.LBB1115_1310:
	s_or_b64 exec, exec, s[60:61]
	v_cndmask_b32_e64 v19, v25, v34, s[42:43]
	v_cndmask_b32_e64 v25, v22, v24, s[20:21]
	v_cndmask_b32_e64 v24, v23, v32, s[20:21]
	v_cndmask_b32_e64 v22, v114, v113, s[56:57]
	v_cndmask_b32_e64 v23, v98, v97, s[56:57]
	v_add_u32_e32 v34, 1, v22
	v_add_u32_e32 v22, -1, v23
	v_min_u32_e32 v22, v34, v22
	v_lshl_add_u32 v22, v22, 3, v30
	v_cndmask_b32_e64 v18, v33, v35, s[42:43]
	ds_read_b64 v[32:33], v22
	v_cndmask_b32_e64 v35, v34, v114, s[56:57]
	v_cndmask_b32_e64 v17, v99, v101, s[58:59]
	;; [unrolled: 1-line block ×11, first 2 shown]
	s_waitcnt lgkmcnt(0)
	v_cndmask_b32_e64 v13, v115, v33, s[56:57]
	v_cndmask_b32_e64 v12, v116, v32, s[56:57]
	v_cmp_lt_u32_e64 s[12:13], v35, v98
	s_and_saveexec_b64 s[18:19], s[12:13]
	s_cbranch_execz .LBB1115_1320
; %bb.1311:
	v_cndmask_b32_e64 v39, v32, v112, s[56:57]
	v_cndmask_b32_e64 v32, v113, v34, s[56:57]
	;; [unrolled: 1-line block ×3, first 2 shown]
	v_cmp_ge_u32_e64 s[12:13], v32, v97
	s_nor_b64 s[42:43], s[12:13], s[8:9]
	s_nop 0
	v_cndmask_b32_e64 v33, v13, v38, s[12:13]
	v_cndmask_b32_e64 v32, v12, v39, s[12:13]
	s_and_saveexec_b64 s[20:21], s[42:43]
	s_cbranch_execz .LBB1115_1319
; %bb.1312:
	v_mul_lo_u32 v34, v13, v6
	v_mul_lo_u32 v35, v12, v7
	v_mad_u64_u32 v[32:33], s[12:13], v12, v6, 0
	v_add3_u32 v33, v33, v35, v34
	v_mul_lo_u32 v36, v38, v6
	v_mul_lo_u32 v37, v39, v7
	v_mad_u64_u32 v[34:35], s[12:13], v39, v6, 0
	v_add3_u32 v35, v35, v37, v36
	v_lshl_add_u64 v[32:33], v[32:33], 1, v[8:9]
	v_lshl_add_u64 v[34:35], v[34:35], 1, v[8:9]
	s_mov_b64 s[42:43], 0
	v_mov_b64_e32 v[36:37], v[6:7]
                                        ; implicit-def: $sgpr44_sgpr45
                                        ; implicit-def: $sgpr46_sgpr47
                                        ; implicit-def: $sgpr58_sgpr59
	s_branch .LBB1115_1314
.LBB1115_1313:                          ;   in Loop: Header=BB1115_1314 Depth=1
	s_or_b64 exec, exec, s[58:59]
	s_and_b64 s[12:13], exec, s[12:13]
	s_or_b64 s[42:43], s[12:13], s[42:43]
	s_andn2_b64 s[12:13], s[44:45], exec
	s_and_b64 s[44:45], s[46:47], exec
	s_or_b64 s[44:45], s[12:13], s[44:45]
	s_mov_b64 s[58:59], s[56:57]
	s_andn2_b64 exec, exec, s[42:43]
	s_cbranch_execz .LBB1115_1318
.LBB1115_1314:                          ; =>This Inner Loop Header: Depth=1
	flat_load_ushort v48, v[34:35]
	flat_load_ushort v49, v[32:33]
	s_mov_b64 s[60:61], 0
	s_mov_b64 s[56:57], -1
	s_waitcnt vmcnt(0) lgkmcnt(0)
	v_lshlrev_b32_e32 v48, 16, v48
	v_lshlrev_b32_e32 v49, 16, v49
	v_cmp_nlt_f32_e64 s[12:13], v48, v49
	s_and_saveexec_b64 s[62:63], s[12:13]
; %bb.1315:                             ;   in Loop: Header=BB1115_1314 Depth=1
	v_cmp_ngt_f32_e64 s[12:13], v48, v49
	s_and_b64 s[56:57], s[12:13], s[58:59]
	s_orn2_b64 s[56:57], s[56:57], exec
	s_and_b64 s[60:61], s[12:13], exec
; %bb.1316:                             ;   in Loop: Header=BB1115_1314 Depth=1
	s_or_b64 exec, exec, s[62:63]
	s_andn2_b64 s[46:47], s[46:47], exec
	s_and_b64 s[58:59], s[56:57], exec
	s_mov_b64 s[12:13], -1
	s_or_b64 s[46:47], s[46:47], s[58:59]
	s_and_saveexec_b64 s[58:59], s[60:61]
	s_cbranch_execz .LBB1115_1313
; %bb.1317:                             ;   in Loop: Header=BB1115_1314 Depth=1
	v_lshl_add_u64 v[36:37], v[36:37], 0, -1
	v_cmp_eq_u64_e64 s[12:13], 0, v[36:37]
	v_lshl_add_u64 v[32:33], v[32:33], 0, 2
	v_lshl_add_u64 v[34:35], v[34:35], 0, 2
	s_andn2_b64 s[46:47], s[46:47], exec
	s_orn2_b64 s[12:13], s[12:13], exec
	s_branch .LBB1115_1313
.LBB1115_1318:
	s_or_b64 exec, exec, s[42:43]
	v_cndmask_b32_e64 v33, v13, v38, s[44:45]
	v_cndmask_b32_e64 v32, v12, v39, s[44:45]
.LBB1115_1319:
	s_or_b64 exec, exec, s[20:21]
	v_mov_b64_e32 v[12:13], v[32:33]
.LBB1115_1320:
	s_or_b64 exec, exec, s[18:19]
.LBB1115_1321:
	s_or_b64 exec, exec, s[40:41]
	; wave barrier
	ds_write_b64 v81, v[22:23]
	ds_write_b64 v82, v[24:25]
	;; [unrolled: 1-line block ×8, first 2 shown]
	v_and_b32_e32 v83, 0x380, v51
	v_or_b32_e32 v32, 64, v83
	v_min_u32_e32 v81, v50, v32
	v_add_u32_e32 v32, 64, v81
	v_min_u32_e32 v82, v50, v32
	v_and_b32_e32 v32, 0x78, v51
	v_min_u32_e32 v50, v50, v32
	v_sub_u32_e32 v32, v81, v83
	v_sub_u32_e32 v33, v82, v81
	v_sub_u32_e64 v51, v50, v33 clamp
	v_min_u32_e32 v84, v50, v32
	v_cmp_lt_u32_e64 s[12:13], v51, v84
	; wave barrier
	s_and_saveexec_b64 s[18:19], s[12:13]
	s_cbranch_execz .LBB1115_1333
; %bb.1322:
	v_lshlrev_b32_e32 v34, 3, v83
	v_mov_b32_e32 v35, 0
	v_lshl_add_u64 v[32:33], v[30:31], 0, v[34:35]
	v_lshlrev_b32_e32 v34, 3, v81
	v_lshl_add_u64 v[34:35], v[30:31], 0, v[34:35]
	s_mov_b64 s[20:21], 0
	s_branch .LBB1115_1325
.LBB1115_1323:                          ;   in Loop: Header=BB1115_1325 Depth=1
	s_or_b64 exec, exec, s[42:43]
	s_and_b64 s[12:13], s[44:45], exec
.LBB1115_1324:                          ;   in Loop: Header=BB1115_1325 Depth=1
	s_or_b64 exec, exec, s[40:41]
	v_add_u32_e32 v33, 1, v31
	v_cndmask_b32_e64 v84, v84, v31, s[12:13]
	v_cndmask_b32_e64 v51, v33, v51, s[12:13]
	v_cmp_ge_u32_e64 s[12:13], v51, v84
	s_or_b64 s[20:21], s[12:13], s[20:21]
	s_andn2_b64 exec, exec, s[20:21]
	s_cbranch_execz .LBB1115_1332
.LBB1115_1325:                          ; =>This Loop Header: Depth=1
                                        ;     Child Loop BB1115_1328 Depth 2
	v_add_u32_e32 v31, v84, v51
	v_lshrrev_b32_e32 v31, 1, v31
	s_mov_b64 s[12:13], 0
	s_and_saveexec_b64 s[40:41], s[16:17]
	s_cbranch_execz .LBB1115_1324
; %bb.1326:                             ;   in Loop: Header=BB1115_1325 Depth=1
	v_lshl_add_u32 v33, v31, 3, v32
	ds_read_b64 v[36:37], v33
	v_xad_u32 v33, v31, -1, v50
	v_lshl_add_u32 v33, v33, 3, v34
	ds_read_b64 v[38:39], v33
	s_mov_b64 s[42:43], 0
	s_waitcnt lgkmcnt(1)
	v_mul_lo_u32 v33, v2, v37
	v_mul_lo_u32 v35, v3, v36
	v_mad_u64_u32 v[36:37], s[12:13], v2, v36, v[8:9]
	v_add3_u32 v37, v35, v37, v33
	s_waitcnt lgkmcnt(0)
	v_mul_lo_u32 v33, v2, v39
	v_mul_lo_u32 v35, v3, v38
	v_mad_u64_u32 v[38:39], s[12:13], v2, v38, v[8:9]
	v_add3_u32 v39, v35, v39, v33
	v_mov_b64_e32 v[48:49], v[6:7]
                                        ; implicit-def: $sgpr44_sgpr45
                                        ; implicit-def: $sgpr46_sgpr47
                                        ; implicit-def: $sgpr60_sgpr61
	s_branch .LBB1115_1328
.LBB1115_1327:                          ;   in Loop: Header=BB1115_1328 Depth=2
	s_or_b64 exec, exec, s[60:61]
	s_and_b64 s[12:13], exec, s[58:59]
	s_or_b64 s[42:43], s[12:13], s[42:43]
	s_andn2_b64 s[12:13], s[44:45], exec
	s_and_b64 s[44:45], s[46:47], exec
	s_or_b64 s[44:45], s[12:13], s[44:45]
	s_mov_b64 s[60:61], s[56:57]
	s_andn2_b64 exec, exec, s[42:43]
	s_cbranch_execz .LBB1115_1323
.LBB1115_1328:                          ;   Parent Loop BB1115_1325 Depth=1
                                        ; =>  This Inner Loop Header: Depth=2
	flat_load_ushort v33, v[38:39]
	flat_load_ushort v35, v[36:37]
	s_mov_b64 s[58:59], -1
	s_mov_b64 s[62:63], 0
	s_mov_b64 s[56:57], -1
	s_waitcnt vmcnt(0) lgkmcnt(0)
	v_lshlrev_b32_e32 v33, 16, v33
	v_lshlrev_b32_e32 v35, 16, v35
	v_cmp_nlt_f32_e64 s[12:13], v33, v35
	s_and_saveexec_b64 s[72:73], s[12:13]
; %bb.1329:                             ;   in Loop: Header=BB1115_1328 Depth=2
	v_cmp_ngt_f32_e64 s[12:13], v33, v35
	s_and_b64 s[56:57], s[12:13], s[60:61]
	s_orn2_b64 s[56:57], s[56:57], exec
	s_and_b64 s[62:63], s[12:13], exec
; %bb.1330:                             ;   in Loop: Header=BB1115_1328 Depth=2
	s_or_b64 exec, exec, s[72:73]
	s_andn2_b64 s[12:13], s[46:47], exec
	s_and_b64 s[46:47], s[56:57], exec
	s_or_b64 s[46:47], s[12:13], s[46:47]
	s_and_saveexec_b64 s[60:61], s[62:63]
	s_cbranch_execz .LBB1115_1327
; %bb.1331:                             ;   in Loop: Header=BB1115_1328 Depth=2
	v_lshl_add_u64 v[48:49], v[48:49], 0, -1
	v_cmp_eq_u64_e64 s[12:13], 0, v[48:49]
	v_lshl_add_u64 v[36:37], v[36:37], 0, 2
	v_lshl_add_u64 v[38:39], v[38:39], 0, 2
	s_andn2_b64 s[46:47], s[46:47], exec
	s_orn2_b64 s[58:59], s[12:13], exec
	s_branch .LBB1115_1327
.LBB1115_1332:
	s_or_b64 exec, exec, s[20:21]
.LBB1115_1333:
	s_or_b64 exec, exec, s[18:19]
	v_add_u32_e32 v31, v81, v50
	v_add_u32_e32 v32, v51, v83
	v_sub_u32_e32 v33, v31, v51
	v_cmp_le_u32_e64 s[12:13], v32, v81
	v_cmp_le_u32_e64 s[18:19], v33, v82
	s_or_b64 s[12:13], s[12:13], s[18:19]
	s_and_saveexec_b64 s[40:41], s[12:13]
	s_cbranch_execz .LBB1115_1417
; %bb.1334:
	v_cmp_ge_u32_e64 s[18:19], v32, v81
	v_cmp_lt_u32_e64 s[12:13], v32, v81
                                        ; implicit-def: $vgpr10_vgpr11
	s_and_saveexec_b64 s[20:21], s[12:13]
; %bb.1335:
	v_lshl_add_u32 v10, v32, 3, v30
	ds_read_b64 v[10:11], v10
; %bb.1336:
	s_or_b64 exec, exec, s[20:21]
	v_cmp_ge_u32_e64 s[20:21], v33, v82
	v_cmp_lt_u32_e64 s[12:13], v33, v82
                                        ; implicit-def: $vgpr12_vgpr13
	s_and_saveexec_b64 s[42:43], s[12:13]
; %bb.1337:
	v_lshl_add_u32 v12, v33, 3, v30
	ds_read_b64 v[12:13], v12
; %bb.1338:
	s_or_b64 exec, exec, s[42:43]
	s_or_b64 s[12:13], s[18:19], s[20:21]
	s_xor_b64 s[18:19], s[18:19], -1
	s_nor_b64 s[12:13], s[12:13], s[8:9]
	s_or_b64 s[18:19], s[20:21], s[18:19]
	s_and_saveexec_b64 s[20:21], s[12:13]
	s_cbranch_execz .LBB1115_1346
; %bb.1339:
	s_waitcnt lgkmcnt(0)
	v_mul_lo_u32 v16, v11, v6
	v_mul_lo_u32 v17, v10, v7
	v_mad_u64_u32 v[14:15], s[12:13], v10, v6, 0
	v_add3_u32 v15, v15, v17, v16
	v_mul_lo_u32 v18, v13, v6
	v_mul_lo_u32 v19, v12, v7
	v_mad_u64_u32 v[16:17], s[12:13], v12, v6, 0
	v_add3_u32 v17, v17, v19, v18
	v_lshl_add_u64 v[14:15], v[14:15], 1, v[8:9]
	v_lshl_add_u64 v[16:17], v[16:17], 1, v[8:9]
	s_mov_b64 s[42:43], 0
	v_mov_b64_e32 v[18:19], v[6:7]
                                        ; implicit-def: $sgpr44_sgpr45
                                        ; implicit-def: $sgpr46_sgpr47
                                        ; implicit-def: $sgpr60_sgpr61
	s_branch .LBB1115_1341
.LBB1115_1340:                          ;   in Loop: Header=BB1115_1341 Depth=1
	s_or_b64 exec, exec, s[60:61]
	s_and_b64 s[12:13], exec, s[58:59]
	s_or_b64 s[42:43], s[12:13], s[42:43]
	s_andn2_b64 s[12:13], s[44:45], exec
	s_and_b64 s[44:45], s[46:47], exec
	s_or_b64 s[44:45], s[12:13], s[44:45]
	s_mov_b64 s[60:61], s[56:57]
	s_andn2_b64 exec, exec, s[42:43]
	s_cbranch_execz .LBB1115_1345
.LBB1115_1341:                          ; =>This Inner Loop Header: Depth=1
	flat_load_ushort v20, v[16:17]
	flat_load_ushort v21, v[14:15]
	s_mov_b64 s[58:59], -1
	s_mov_b64 s[62:63], 0
	s_mov_b64 s[56:57], -1
	s_waitcnt vmcnt(0) lgkmcnt(0)
	v_lshlrev_b32_e32 v20, 16, v20
	v_lshlrev_b32_e32 v21, 16, v21
	v_cmp_nlt_f32_e64 s[12:13], v20, v21
	s_and_saveexec_b64 s[72:73], s[12:13]
; %bb.1342:                             ;   in Loop: Header=BB1115_1341 Depth=1
	v_cmp_ngt_f32_e64 s[12:13], v20, v21
	s_and_b64 s[56:57], s[12:13], s[60:61]
	s_orn2_b64 s[56:57], s[56:57], exec
	s_and_b64 s[62:63], s[12:13], exec
; %bb.1343:                             ;   in Loop: Header=BB1115_1341 Depth=1
	s_or_b64 exec, exec, s[72:73]
	s_andn2_b64 s[12:13], s[46:47], exec
	s_and_b64 s[46:47], s[56:57], exec
	s_or_b64 s[46:47], s[12:13], s[46:47]
	s_and_saveexec_b64 s[60:61], s[62:63]
	s_cbranch_execz .LBB1115_1340
; %bb.1344:                             ;   in Loop: Header=BB1115_1341 Depth=1
	v_lshl_add_u64 v[18:19], v[18:19], 0, -1
	v_cmp_eq_u64_e64 s[12:13], 0, v[18:19]
	v_lshl_add_u64 v[14:15], v[14:15], 0, 2
	v_lshl_add_u64 v[16:17], v[16:17], 0, 2
	s_andn2_b64 s[46:47], s[46:47], exec
	s_orn2_b64 s[58:59], s[12:13], exec
	s_branch .LBB1115_1340
.LBB1115_1345:
	s_or_b64 exec, exec, s[42:43]
	s_xor_b64 s[12:13], s[44:45], -1
	s_andn2_b64 s[18:19], s[18:19], exec
	s_and_b64 s[12:13], s[12:13], exec
	s_or_b64 s[18:19], s[18:19], s[12:13]
.LBB1115_1346:
	s_or_b64 exec, exec, s[20:21]
	v_cndmask_b32_e64 v14, v33, v32, s[18:19]
	v_cndmask_b32_e64 v15, v82, v81, s[18:19]
	v_add_u32_e32 v16, 1, v14
	v_add_u32_e32 v14, -1, v15
	v_min_u32_e32 v14, v16, v14
	v_lshl_add_u32 v14, v14, 3, v30
	ds_read_b64 v[14:15], v14
	v_cndmask_b32_e64 v20, v16, v33, s[18:19]
	v_cndmask_b32_e64 v21, v32, v16, s[18:19]
	v_cmp_lt_u32_e64 s[12:13], v20, v82
	s_mov_b64 s[42:43], -1
	s_waitcnt lgkmcnt(0)
	v_cndmask_b32_e64 v22, v15, v13, s[18:19]
	v_cndmask_b32_e64 v23, v14, v12, s[18:19]
	;; [unrolled: 1-line block ×4, first 2 shown]
	s_mov_b64 s[20:21], -1
	s_and_saveexec_b64 s[44:45], s[12:13]
	s_cbranch_execz .LBB1115_1356
; %bb.1347:
	v_cmp_lt_u32_e64 s[20:21], v21, v81
	s_and_b64 s[12:13], s[20:21], s[28:29]
	s_and_saveexec_b64 s[46:47], s[12:13]
	s_cbranch_execz .LBB1115_1355
; %bb.1348:
	v_mul_lo_u32 v16, v24, v6
	v_mul_lo_u32 v17, v31, v7
	v_mad_u64_u32 v[14:15], s[12:13], v31, v6, 0
	v_add3_u32 v15, v15, v17, v16
	v_mul_lo_u32 v18, v22, v6
	v_mul_lo_u32 v19, v23, v7
	v_mad_u64_u32 v[16:17], s[12:13], v23, v6, 0
	v_add3_u32 v17, v17, v19, v18
	v_lshl_add_u64 v[14:15], v[14:15], 1, v[8:9]
	v_lshl_add_u64 v[16:17], v[16:17], 1, v[8:9]
	s_mov_b64 s[56:57], 0
	v_mov_b64_e32 v[18:19], v[6:7]
                                        ; implicit-def: $sgpr58_sgpr59
                                        ; implicit-def: $sgpr60_sgpr61
                                        ; implicit-def: $sgpr74_sgpr75
	s_branch .LBB1115_1350
.LBB1115_1349:                          ;   in Loop: Header=BB1115_1350 Depth=1
	s_or_b64 exec, exec, s[74:75]
	s_and_b64 s[12:13], exec, s[72:73]
	s_or_b64 s[56:57], s[12:13], s[56:57]
	s_andn2_b64 s[12:13], s[58:59], exec
	s_and_b64 s[58:59], s[60:61], exec
	s_or_b64 s[58:59], s[12:13], s[58:59]
	s_mov_b64 s[74:75], s[62:63]
	s_andn2_b64 exec, exec, s[56:57]
	s_cbranch_execz .LBB1115_1354
.LBB1115_1350:                          ; =>This Inner Loop Header: Depth=1
	flat_load_ushort v25, v[16:17]
	flat_load_ushort v32, v[14:15]
	s_mov_b64 s[72:73], -1
	s_mov_b64 s[76:77], 0
	s_mov_b64 s[62:63], -1
	s_waitcnt vmcnt(0) lgkmcnt(0)
	v_lshlrev_b32_e32 v25, 16, v25
	v_lshlrev_b32_e32 v32, 16, v32
	v_cmp_nlt_f32_e64 s[12:13], v25, v32
	s_and_saveexec_b64 s[78:79], s[12:13]
; %bb.1351:                             ;   in Loop: Header=BB1115_1350 Depth=1
	v_cmp_ngt_f32_e64 s[12:13], v25, v32
	s_and_b64 s[62:63], s[12:13], s[74:75]
	s_orn2_b64 s[62:63], s[62:63], exec
	s_and_b64 s[76:77], s[12:13], exec
; %bb.1352:                             ;   in Loop: Header=BB1115_1350 Depth=1
	s_or_b64 exec, exec, s[78:79]
	s_andn2_b64 s[12:13], s[60:61], exec
	s_and_b64 s[60:61], s[62:63], exec
	s_or_b64 s[60:61], s[12:13], s[60:61]
	s_and_saveexec_b64 s[74:75], s[76:77]
	s_cbranch_execz .LBB1115_1349
; %bb.1353:                             ;   in Loop: Header=BB1115_1350 Depth=1
	v_lshl_add_u64 v[18:19], v[18:19], 0, -1
	v_cmp_eq_u64_e64 s[12:13], 0, v[18:19]
	v_lshl_add_u64 v[14:15], v[14:15], 0, 2
	v_lshl_add_u64 v[16:17], v[16:17], 0, 2
	s_andn2_b64 s[60:61], s[60:61], exec
	s_orn2_b64 s[72:73], s[12:13], exec
	s_branch .LBB1115_1349
.LBB1115_1354:
	s_or_b64 exec, exec, s[56:57]
	s_xor_b64 s[12:13], s[58:59], -1
	s_andn2_b64 s[20:21], s[20:21], exec
	s_and_b64 s[12:13], s[12:13], exec
	s_or_b64 s[20:21], s[20:21], s[12:13]
.LBB1115_1355:
	s_or_b64 exec, exec, s[46:47]
	s_orn2_b64 s[20:21], s[20:21], exec
.LBB1115_1356:
	s_or_b64 exec, exec, s[44:45]
	v_cndmask_b32_e64 v14, v20, v21, s[20:21]
	v_cndmask_b32_e64 v15, v82, v81, s[20:21]
	v_add_u32_e32 v16, 1, v14
	v_add_u32_e32 v14, -1, v15
	v_min_u32_e32 v14, v16, v14
	v_lshl_add_u32 v14, v14, 3, v30
	ds_read_b64 v[14:15], v14
	v_cndmask_b32_e64 v37, v16, v20, s[20:21]
	v_cndmask_b32_e64 v38, v21, v16, s[20:21]
	v_cmp_lt_u32_e64 s[12:13], v37, v82
	s_waitcnt lgkmcnt(0)
	v_cndmask_b32_e64 v25, v15, v22, s[20:21]
	v_cndmask_b32_e64 v32, v14, v23, s[20:21]
	;; [unrolled: 1-line block ×4, first 2 shown]
	s_and_saveexec_b64 s[44:45], s[12:13]
	s_cbranch_execz .LBB1115_1366
; %bb.1357:
	v_cmp_lt_u32_e64 s[42:43], v38, v81
	s_and_b64 s[12:13], s[42:43], s[28:29]
	s_and_saveexec_b64 s[46:47], s[12:13]
	s_cbranch_execz .LBB1115_1365
; %bb.1358:
	v_mul_lo_u32 v16, v33, v6
	v_mul_lo_u32 v17, v34, v7
	v_mad_u64_u32 v[14:15], s[12:13], v34, v6, 0
	v_add3_u32 v15, v15, v17, v16
	v_mul_lo_u32 v18, v25, v6
	v_mul_lo_u32 v19, v32, v7
	v_mad_u64_u32 v[16:17], s[12:13], v32, v6, 0
	v_add3_u32 v17, v17, v19, v18
	v_lshl_add_u64 v[14:15], v[14:15], 1, v[8:9]
	v_lshl_add_u64 v[16:17], v[16:17], 1, v[8:9]
	s_mov_b64 s[56:57], 0
	v_mov_b64_e32 v[18:19], v[6:7]
                                        ; implicit-def: $sgpr58_sgpr59
                                        ; implicit-def: $sgpr60_sgpr61
                                        ; implicit-def: $sgpr74_sgpr75
	s_branch .LBB1115_1360
.LBB1115_1359:                          ;   in Loop: Header=BB1115_1360 Depth=1
	s_or_b64 exec, exec, s[74:75]
	s_and_b64 s[12:13], exec, s[72:73]
	s_or_b64 s[56:57], s[12:13], s[56:57]
	s_andn2_b64 s[12:13], s[58:59], exec
	s_and_b64 s[58:59], s[60:61], exec
	s_or_b64 s[58:59], s[12:13], s[58:59]
	s_mov_b64 s[74:75], s[62:63]
	s_andn2_b64 exec, exec, s[56:57]
	s_cbranch_execz .LBB1115_1364
.LBB1115_1360:                          ; =>This Inner Loop Header: Depth=1
	flat_load_ushort v20, v[16:17]
	flat_load_ushort v21, v[14:15]
	s_mov_b64 s[72:73], -1
	s_mov_b64 s[76:77], 0
	s_mov_b64 s[62:63], -1
	s_waitcnt vmcnt(0) lgkmcnt(0)
	v_lshlrev_b32_e32 v20, 16, v20
	v_lshlrev_b32_e32 v21, 16, v21
	v_cmp_nlt_f32_e64 s[12:13], v20, v21
	s_and_saveexec_b64 s[78:79], s[12:13]
; %bb.1361:                             ;   in Loop: Header=BB1115_1360 Depth=1
	v_cmp_ngt_f32_e64 s[12:13], v20, v21
	s_and_b64 s[62:63], s[12:13], s[74:75]
	s_orn2_b64 s[62:63], s[62:63], exec
	s_and_b64 s[76:77], s[12:13], exec
; %bb.1362:                             ;   in Loop: Header=BB1115_1360 Depth=1
	s_or_b64 exec, exec, s[78:79]
	s_andn2_b64 s[12:13], s[60:61], exec
	s_and_b64 s[60:61], s[62:63], exec
	s_or_b64 s[60:61], s[12:13], s[60:61]
	s_and_saveexec_b64 s[74:75], s[76:77]
	s_cbranch_execz .LBB1115_1359
; %bb.1363:                             ;   in Loop: Header=BB1115_1360 Depth=1
	v_lshl_add_u64 v[18:19], v[18:19], 0, -1
	v_cmp_eq_u64_e64 s[12:13], 0, v[18:19]
	v_lshl_add_u64 v[14:15], v[14:15], 0, 2
	v_lshl_add_u64 v[16:17], v[16:17], 0, 2
	s_andn2_b64 s[60:61], s[60:61], exec
	s_orn2_b64 s[72:73], s[12:13], exec
	s_branch .LBB1115_1359
.LBB1115_1364:
	s_or_b64 exec, exec, s[56:57]
	s_xor_b64 s[12:13], s[58:59], -1
	s_andn2_b64 s[42:43], s[42:43], exec
	s_and_b64 s[12:13], s[12:13], exec
	s_or_b64 s[42:43], s[42:43], s[12:13]
.LBB1115_1365:
	s_or_b64 exec, exec, s[46:47]
	s_orn2_b64 s[42:43], s[42:43], exec
.LBB1115_1366:
	s_or_b64 exec, exec, s[44:45]
	v_cndmask_b32_e64 v14, v37, v38, s[42:43]
	v_cndmask_b32_e64 v15, v82, v81, s[42:43]
	v_add_u32_e32 v16, 1, v14
	v_add_u32_e32 v14, -1, v15
	v_min_u32_e32 v14, v16, v14
	v_lshl_add_u32 v14, v14, 3, v30
	ds_read_b64 v[14:15], v14
	v_cndmask_b32_e64 v49, v16, v37, s[42:43]
	v_cndmask_b32_e64 v50, v38, v16, s[42:43]
	v_cmp_lt_u32_e64 s[12:13], v49, v82
	s_mov_b64 s[46:47], -1
	s_waitcnt lgkmcnt(0)
	v_cndmask_b32_e64 v20, v15, v25, s[42:43]
	v_cndmask_b32_e64 v35, v14, v32, s[42:43]
	;; [unrolled: 1-line block ×4, first 2 shown]
	s_mov_b64 s[44:45], -1
	s_and_saveexec_b64 s[56:57], s[12:13]
	s_cbranch_execz .LBB1115_1376
; %bb.1367:
	v_cmp_lt_u32_e64 s[44:45], v50, v81
	s_and_b64 s[12:13], s[44:45], s[28:29]
	s_and_saveexec_b64 s[58:59], s[12:13]
	s_cbranch_execz .LBB1115_1375
; %bb.1368:
	v_mul_lo_u32 v16, v21, v6
	v_mul_lo_u32 v17, v36, v7
	v_mad_u64_u32 v[14:15], s[12:13], v36, v6, 0
	v_add3_u32 v15, v15, v17, v16
	v_mul_lo_u32 v18, v20, v6
	v_mul_lo_u32 v19, v35, v7
	v_mad_u64_u32 v[16:17], s[12:13], v35, v6, 0
	v_add3_u32 v17, v17, v19, v18
	v_lshl_add_u64 v[14:15], v[14:15], 1, v[8:9]
	v_lshl_add_u64 v[16:17], v[16:17], 1, v[8:9]
	s_mov_b64 s[60:61], 0
	v_mov_b64_e32 v[18:19], v[6:7]
                                        ; implicit-def: $sgpr62_sgpr63
                                        ; implicit-def: $sgpr72_sgpr73
                                        ; implicit-def: $sgpr78_sgpr79
	s_branch .LBB1115_1370
.LBB1115_1369:                          ;   in Loop: Header=BB1115_1370 Depth=1
	s_or_b64 exec, exec, s[78:79]
	s_and_b64 s[12:13], exec, s[76:77]
	s_or_b64 s[60:61], s[12:13], s[60:61]
	s_andn2_b64 s[12:13], s[62:63], exec
	s_and_b64 s[62:63], s[72:73], exec
	s_or_b64 s[62:63], s[12:13], s[62:63]
	s_mov_b64 s[78:79], s[74:75]
	s_andn2_b64 exec, exec, s[60:61]
	s_cbranch_execz .LBB1115_1374
.LBB1115_1370:                          ; =>This Inner Loop Header: Depth=1
	flat_load_ushort v37, v[16:17]
	flat_load_ushort v38, v[14:15]
	s_mov_b64 s[76:77], -1
	s_mov_b64 s[88:89], 0
	s_mov_b64 s[74:75], -1
	s_waitcnt vmcnt(0) lgkmcnt(0)
	v_lshlrev_b32_e32 v37, 16, v37
	v_lshlrev_b32_e32 v38, 16, v38
	v_cmp_nlt_f32_e64 s[12:13], v37, v38
	s_and_saveexec_b64 s[90:91], s[12:13]
; %bb.1371:                             ;   in Loop: Header=BB1115_1370 Depth=1
	v_cmp_ngt_f32_e64 s[12:13], v37, v38
	s_and_b64 s[74:75], s[12:13], s[78:79]
	s_orn2_b64 s[74:75], s[74:75], exec
	s_and_b64 s[88:89], s[12:13], exec
; %bb.1372:                             ;   in Loop: Header=BB1115_1370 Depth=1
	s_or_b64 exec, exec, s[90:91]
	s_andn2_b64 s[12:13], s[72:73], exec
	s_and_b64 s[72:73], s[74:75], exec
	s_or_b64 s[72:73], s[12:13], s[72:73]
	s_and_saveexec_b64 s[78:79], s[88:89]
	s_cbranch_execz .LBB1115_1369
; %bb.1373:                             ;   in Loop: Header=BB1115_1370 Depth=1
	v_lshl_add_u64 v[18:19], v[18:19], 0, -1
	v_cmp_eq_u64_e64 s[12:13], 0, v[18:19]
	v_lshl_add_u64 v[14:15], v[14:15], 0, 2
	v_lshl_add_u64 v[16:17], v[16:17], 0, 2
	s_andn2_b64 s[72:73], s[72:73], exec
	s_orn2_b64 s[76:77], s[12:13], exec
	s_branch .LBB1115_1369
.LBB1115_1374:
	s_or_b64 exec, exec, s[60:61]
	s_xor_b64 s[12:13], s[62:63], -1
	s_andn2_b64 s[44:45], s[44:45], exec
	s_and_b64 s[12:13], s[12:13], exec
	s_or_b64 s[44:45], s[44:45], s[12:13]
.LBB1115_1375:
	s_or_b64 exec, exec, s[58:59]
	s_orn2_b64 s[44:45], s[44:45], exec
.LBB1115_1376:
	s_or_b64 exec, exec, s[56:57]
	v_cndmask_b32_e64 v14, v49, v50, s[44:45]
	v_cndmask_b32_e64 v15, v82, v81, s[44:45]
	v_add_u32_e32 v16, 1, v14
	v_add_u32_e32 v14, -1, v15
	v_min_u32_e32 v14, v16, v14
	v_lshl_add_u32 v14, v14, 3, v30
	ds_read_b64 v[14:15], v14
	v_cndmask_b32_e64 v84, v16, v49, s[44:45]
	v_cndmask_b32_e64 v85, v50, v16, s[44:45]
	v_cmp_lt_u32_e64 s[12:13], v84, v82
	s_waitcnt lgkmcnt(0)
	v_cndmask_b32_e64 v37, v15, v20, s[44:45]
	v_cndmask_b32_e64 v38, v14, v35, s[44:45]
	;; [unrolled: 1-line block ×4, first 2 shown]
	s_and_saveexec_b64 s[56:57], s[12:13]
	s_cbranch_execz .LBB1115_1386
; %bb.1377:
	v_cmp_lt_u32_e64 s[46:47], v85, v81
	s_and_b64 s[12:13], s[46:47], s[28:29]
	s_and_saveexec_b64 s[58:59], s[12:13]
	s_cbranch_execz .LBB1115_1385
; %bb.1378:
	v_mul_lo_u32 v16, v39, v6
	v_mul_lo_u32 v17, v48, v7
	v_mad_u64_u32 v[14:15], s[12:13], v48, v6, 0
	v_add3_u32 v15, v15, v17, v16
	v_mul_lo_u32 v18, v37, v6
	v_mul_lo_u32 v19, v38, v7
	v_mad_u64_u32 v[16:17], s[12:13], v38, v6, 0
	v_add3_u32 v17, v17, v19, v18
	v_lshl_add_u64 v[14:15], v[14:15], 1, v[8:9]
	v_lshl_add_u64 v[16:17], v[16:17], 1, v[8:9]
	s_mov_b64 s[60:61], 0
	v_mov_b64_e32 v[18:19], v[6:7]
                                        ; implicit-def: $sgpr62_sgpr63
                                        ; implicit-def: $sgpr72_sgpr73
                                        ; implicit-def: $sgpr78_sgpr79
	s_branch .LBB1115_1380
.LBB1115_1379:                          ;   in Loop: Header=BB1115_1380 Depth=1
	s_or_b64 exec, exec, s[78:79]
	s_and_b64 s[12:13], exec, s[76:77]
	s_or_b64 s[60:61], s[12:13], s[60:61]
	s_andn2_b64 s[12:13], s[62:63], exec
	s_and_b64 s[62:63], s[72:73], exec
	s_or_b64 s[62:63], s[12:13], s[62:63]
	s_mov_b64 s[78:79], s[74:75]
	s_andn2_b64 exec, exec, s[60:61]
	s_cbranch_execz .LBB1115_1384
.LBB1115_1380:                          ; =>This Inner Loop Header: Depth=1
	flat_load_ushort v49, v[16:17]
	flat_load_ushort v50, v[14:15]
	s_mov_b64 s[76:77], -1
	s_mov_b64 s[88:89], 0
	s_mov_b64 s[74:75], -1
	s_waitcnt vmcnt(0) lgkmcnt(0)
	v_lshlrev_b32_e32 v49, 16, v49
	v_lshlrev_b32_e32 v50, 16, v50
	v_cmp_nlt_f32_e64 s[12:13], v49, v50
	s_and_saveexec_b64 s[90:91], s[12:13]
; %bb.1381:                             ;   in Loop: Header=BB1115_1380 Depth=1
	v_cmp_ngt_f32_e64 s[12:13], v49, v50
	s_and_b64 s[74:75], s[12:13], s[78:79]
	s_orn2_b64 s[74:75], s[74:75], exec
	s_and_b64 s[88:89], s[12:13], exec
; %bb.1382:                             ;   in Loop: Header=BB1115_1380 Depth=1
	s_or_b64 exec, exec, s[90:91]
	s_andn2_b64 s[12:13], s[72:73], exec
	s_and_b64 s[72:73], s[74:75], exec
	s_or_b64 s[72:73], s[12:13], s[72:73]
	s_and_saveexec_b64 s[78:79], s[88:89]
	s_cbranch_execz .LBB1115_1379
; %bb.1383:                             ;   in Loop: Header=BB1115_1380 Depth=1
	v_lshl_add_u64 v[18:19], v[18:19], 0, -1
	v_cmp_eq_u64_e64 s[12:13], 0, v[18:19]
	v_lshl_add_u64 v[14:15], v[14:15], 0, 2
	v_lshl_add_u64 v[16:17], v[16:17], 0, 2
	s_andn2_b64 s[72:73], s[72:73], exec
	s_orn2_b64 s[76:77], s[12:13], exec
	s_branch .LBB1115_1379
.LBB1115_1384:
	s_or_b64 exec, exec, s[60:61]
	s_xor_b64 s[12:13], s[62:63], -1
	s_andn2_b64 s[46:47], s[46:47], exec
	s_and_b64 s[12:13], s[12:13], exec
	s_or_b64 s[46:47], s[46:47], s[12:13]
.LBB1115_1385:
	s_or_b64 exec, exec, s[58:59]
	s_orn2_b64 s[46:47], s[46:47], exec
.LBB1115_1386:
	s_or_b64 exec, exec, s[56:57]
	v_cndmask_b32_e64 v14, v84, v85, s[46:47]
	v_cndmask_b32_e64 v15, v82, v81, s[46:47]
	v_add_u32_e32 v16, 1, v14
	v_add_u32_e32 v14, -1, v15
	v_min_u32_e32 v14, v16, v14
	v_lshl_add_u32 v14, v14, 3, v30
	ds_read_b64 v[14:15], v14
	v_cndmask_b32_e64 v86, v16, v84, s[46:47]
	v_cndmask_b32_e64 v98, v85, v16, s[46:47]
	v_cmp_lt_u32_e64 s[12:13], v86, v82
	s_mov_b64 s[56:57], -1
	s_waitcnt lgkmcnt(0)
	v_cndmask_b32_e64 v49, v15, v37, s[46:47]
	v_cndmask_b32_e64 v50, v14, v38, s[46:47]
	;; [unrolled: 1-line block ×4, first 2 shown]
	s_mov_b64 s[58:59], -1
	s_and_saveexec_b64 s[60:61], s[12:13]
	s_cbranch_execz .LBB1115_1396
; %bb.1387:
	v_cmp_lt_u32_e64 s[58:59], v98, v81
	s_and_b64 s[12:13], s[58:59], s[28:29]
	s_and_saveexec_b64 s[62:63], s[12:13]
	s_cbranch_execz .LBB1115_1395
; %bb.1388:
	v_mul_lo_u32 v16, v51, v6
	v_mul_lo_u32 v17, v83, v7
	v_mad_u64_u32 v[14:15], s[12:13], v83, v6, 0
	v_add3_u32 v15, v15, v17, v16
	v_mul_lo_u32 v18, v49, v6
	v_mul_lo_u32 v19, v50, v7
	v_mad_u64_u32 v[16:17], s[12:13], v50, v6, 0
	v_add3_u32 v17, v17, v19, v18
	v_lshl_add_u64 v[14:15], v[14:15], 1, v[8:9]
	v_lshl_add_u64 v[16:17], v[16:17], 1, v[8:9]
	s_mov_b64 s[72:73], 0
	v_mov_b64_e32 v[18:19], v[6:7]
                                        ; implicit-def: $sgpr74_sgpr75
                                        ; implicit-def: $sgpr76_sgpr77
                                        ; implicit-def: $sgpr90_sgpr91
	s_branch .LBB1115_1390
.LBB1115_1389:                          ;   in Loop: Header=BB1115_1390 Depth=1
	s_or_b64 exec, exec, s[90:91]
	s_and_b64 s[12:13], exec, s[88:89]
	s_or_b64 s[72:73], s[12:13], s[72:73]
	s_andn2_b64 s[12:13], s[74:75], exec
	s_and_b64 s[74:75], s[76:77], exec
	s_or_b64 s[74:75], s[12:13], s[74:75]
	s_mov_b64 s[90:91], s[78:79]
	s_andn2_b64 exec, exec, s[72:73]
	s_cbranch_execz .LBB1115_1394
.LBB1115_1390:                          ; =>This Inner Loop Header: Depth=1
	flat_load_ushort v84, v[16:17]
	flat_load_ushort v85, v[14:15]
	s_mov_b64 s[88:89], -1
	s_mov_b64 s[92:93], 0
	s_mov_b64 s[78:79], -1
	s_waitcnt vmcnt(0) lgkmcnt(0)
	v_lshlrev_b32_e32 v84, 16, v84
	v_lshlrev_b32_e32 v85, 16, v85
	v_cmp_nlt_f32_e64 s[12:13], v84, v85
	s_and_saveexec_b64 s[94:95], s[12:13]
; %bb.1391:                             ;   in Loop: Header=BB1115_1390 Depth=1
	v_cmp_ngt_f32_e64 s[12:13], v84, v85
	s_and_b64 s[78:79], s[12:13], s[90:91]
	s_orn2_b64 s[78:79], s[78:79], exec
	s_and_b64 s[92:93], s[12:13], exec
; %bb.1392:                             ;   in Loop: Header=BB1115_1390 Depth=1
	s_or_b64 exec, exec, s[94:95]
	s_andn2_b64 s[12:13], s[76:77], exec
	s_and_b64 s[76:77], s[78:79], exec
	s_or_b64 s[76:77], s[12:13], s[76:77]
	s_and_saveexec_b64 s[90:91], s[92:93]
	s_cbranch_execz .LBB1115_1389
; %bb.1393:                             ;   in Loop: Header=BB1115_1390 Depth=1
	v_lshl_add_u64 v[18:19], v[18:19], 0, -1
	v_cmp_eq_u64_e64 s[12:13], 0, v[18:19]
	v_lshl_add_u64 v[14:15], v[14:15], 0, 2
	v_lshl_add_u64 v[16:17], v[16:17], 0, 2
	s_andn2_b64 s[76:77], s[76:77], exec
	s_orn2_b64 s[88:89], s[12:13], exec
	s_branch .LBB1115_1389
.LBB1115_1394:
	s_or_b64 exec, exec, s[72:73]
	s_xor_b64 s[12:13], s[74:75], -1
	s_andn2_b64 s[58:59], s[58:59], exec
	s_and_b64 s[12:13], s[12:13], exec
	s_or_b64 s[58:59], s[58:59], s[12:13]
.LBB1115_1395:
	s_or_b64 exec, exec, s[62:63]
	s_orn2_b64 s[58:59], s[58:59], exec
.LBB1115_1396:
	s_or_b64 exec, exec, s[60:61]
	v_cndmask_b32_e64 v14, v86, v98, s[58:59]
	v_cndmask_b32_e64 v15, v82, v81, s[58:59]
	v_add_u32_e32 v16, 1, v14
	v_add_u32_e32 v14, -1, v15
	v_min_u32_e32 v14, v16, v14
	v_lshl_add_u32 v14, v14, 3, v30
	ds_read_b64 v[14:15], v14
	v_cndmask_b32_e64 v87, v16, v86, s[58:59]
	v_cndmask_b32_e64 v86, v98, v16, s[58:59]
	v_cmp_lt_u32_e64 s[12:13], v87, v82
	s_waitcnt lgkmcnt(0)
	v_cndmask_b32_e64 v84, v15, v49, s[58:59]
	v_cndmask_b32_e64 v85, v14, v50, s[58:59]
	;; [unrolled: 1-line block ×4, first 2 shown]
	s_and_saveexec_b64 s[60:61], s[12:13]
	s_cbranch_execz .LBB1115_1406
; %bb.1397:
	v_cmp_lt_u32_e64 s[56:57], v86, v81
	s_and_b64 s[12:13], s[56:57], s[28:29]
	s_and_saveexec_b64 s[62:63], s[12:13]
	s_cbranch_execz .LBB1115_1405
; %bb.1398:
	v_mul_lo_u32 v16, v96, v6
	v_mul_lo_u32 v17, v97, v7
	v_mad_u64_u32 v[14:15], s[12:13], v97, v6, 0
	v_add3_u32 v15, v15, v17, v16
	v_mul_lo_u32 v18, v84, v6
	v_mul_lo_u32 v19, v85, v7
	v_mad_u64_u32 v[16:17], s[12:13], v85, v6, 0
	v_add3_u32 v17, v17, v19, v18
	v_lshl_add_u64 v[14:15], v[14:15], 1, v[8:9]
	v_lshl_add_u64 v[16:17], v[16:17], 1, v[8:9]
	s_mov_b64 s[72:73], 0
	v_mov_b64_e32 v[18:19], v[6:7]
                                        ; implicit-def: $sgpr74_sgpr75
                                        ; implicit-def: $sgpr76_sgpr77
                                        ; implicit-def: $sgpr90_sgpr91
	s_branch .LBB1115_1400
.LBB1115_1399:                          ;   in Loop: Header=BB1115_1400 Depth=1
	s_or_b64 exec, exec, s[90:91]
	s_and_b64 s[12:13], exec, s[88:89]
	s_or_b64 s[72:73], s[12:13], s[72:73]
	s_andn2_b64 s[12:13], s[74:75], exec
	s_and_b64 s[74:75], s[76:77], exec
	s_or_b64 s[74:75], s[12:13], s[74:75]
	s_mov_b64 s[90:91], s[78:79]
	s_andn2_b64 exec, exec, s[72:73]
	s_cbranch_execz .LBB1115_1404
.LBB1115_1400:                          ; =>This Inner Loop Header: Depth=1
	flat_load_ushort v98, v[16:17]
	flat_load_ushort v99, v[14:15]
	s_mov_b64 s[88:89], -1
	s_mov_b64 s[92:93], 0
	s_mov_b64 s[78:79], -1
	s_waitcnt vmcnt(0) lgkmcnt(0)
	v_lshlrev_b32_e32 v98, 16, v98
	v_lshlrev_b32_e32 v99, 16, v99
	v_cmp_nlt_f32_e64 s[12:13], v98, v99
	s_and_saveexec_b64 s[94:95], s[12:13]
; %bb.1401:                             ;   in Loop: Header=BB1115_1400 Depth=1
	v_cmp_ngt_f32_e64 s[12:13], v98, v99
	s_and_b64 s[78:79], s[12:13], s[90:91]
	s_orn2_b64 s[78:79], s[78:79], exec
	s_and_b64 s[92:93], s[12:13], exec
; %bb.1402:                             ;   in Loop: Header=BB1115_1400 Depth=1
	s_or_b64 exec, exec, s[94:95]
	s_andn2_b64 s[12:13], s[76:77], exec
	s_and_b64 s[76:77], s[78:79], exec
	s_or_b64 s[76:77], s[12:13], s[76:77]
	s_and_saveexec_b64 s[90:91], s[92:93]
	s_cbranch_execz .LBB1115_1399
; %bb.1403:                             ;   in Loop: Header=BB1115_1400 Depth=1
	v_lshl_add_u64 v[18:19], v[18:19], 0, -1
	v_cmp_eq_u64_e64 s[12:13], 0, v[18:19]
	v_lshl_add_u64 v[14:15], v[14:15], 0, 2
	v_lshl_add_u64 v[16:17], v[16:17], 0, 2
	s_andn2_b64 s[76:77], s[76:77], exec
	s_orn2_b64 s[88:89], s[12:13], exec
	s_branch .LBB1115_1399
.LBB1115_1404:
	s_or_b64 exec, exec, s[72:73]
	s_xor_b64 s[12:13], s[74:75], -1
	s_andn2_b64 s[56:57], s[56:57], exec
	s_and_b64 s[12:13], s[12:13], exec
	s_or_b64 s[56:57], s[56:57], s[12:13]
.LBB1115_1405:
	s_or_b64 exec, exec, s[62:63]
	s_orn2_b64 s[56:57], s[56:57], exec
.LBB1115_1406:
	s_or_b64 exec, exec, s[60:61]
	v_cndmask_b32_e64 v19, v25, v33, s[42:43]
	v_cndmask_b32_e64 v25, v22, v24, s[20:21]
	v_cndmask_b32_e64 v24, v23, v31, s[20:21]
	v_cndmask_b32_e64 v22, v87, v86, s[56:57]
	v_cndmask_b32_e64 v23, v82, v81, s[56:57]
	v_cndmask_b32_e64 v18, v32, v34, s[42:43]
	v_add_u32_e32 v32, 1, v22
	v_add_u32_e32 v22, -1, v23
	v_min_u32_e32 v22, v32, v22
	v_lshl_add_u32 v22, v22, 3, v30
	ds_read_b64 v[30:31], v22
	v_cndmask_b32_e64 v33, v32, v87, s[56:57]
	v_cndmask_b32_e64 v17, v49, v51, s[58:59]
	;; [unrolled: 1-line block ×11, first 2 shown]
	s_waitcnt lgkmcnt(0)
	v_cndmask_b32_e64 v13, v96, v31, s[56:57]
	v_cndmask_b32_e64 v12, v97, v30, s[56:57]
	v_cmp_lt_u32_e64 s[12:13], v33, v82
	s_and_saveexec_b64 s[18:19], s[12:13]
	s_cbranch_execz .LBB1115_1416
; %bb.1407:
	v_cndmask_b32_e64 v37, v30, v85, s[56:57]
	v_cndmask_b32_e64 v30, v86, v32, s[56:57]
	;; [unrolled: 1-line block ×3, first 2 shown]
	v_cmp_ge_u32_e64 s[12:13], v30, v81
	s_nor_b64 s[42:43], s[12:13], s[8:9]
	s_nop 0
	v_cndmask_b32_e64 v31, v13, v36, s[12:13]
	v_cndmask_b32_e64 v30, v12, v37, s[12:13]
	s_and_saveexec_b64 s[20:21], s[42:43]
	s_cbranch_execz .LBB1115_1415
; %bb.1408:
	v_mul_lo_u32 v32, v13, v6
	v_mul_lo_u32 v33, v12, v7
	v_mad_u64_u32 v[30:31], s[12:13], v12, v6, 0
	v_add3_u32 v31, v31, v33, v32
	v_mul_lo_u32 v34, v36, v6
	v_mul_lo_u32 v35, v37, v7
	v_mad_u64_u32 v[32:33], s[12:13], v37, v6, 0
	v_add3_u32 v33, v33, v35, v34
	v_lshl_add_u64 v[30:31], v[30:31], 1, v[8:9]
	v_lshl_add_u64 v[32:33], v[32:33], 1, v[8:9]
	s_mov_b64 s[42:43], 0
	v_mov_b64_e32 v[34:35], v[6:7]
                                        ; implicit-def: $sgpr44_sgpr45
                                        ; implicit-def: $sgpr46_sgpr47
                                        ; implicit-def: $sgpr58_sgpr59
	s_branch .LBB1115_1410
.LBB1115_1409:                          ;   in Loop: Header=BB1115_1410 Depth=1
	s_or_b64 exec, exec, s[58:59]
	s_and_b64 s[12:13], exec, s[12:13]
	s_or_b64 s[42:43], s[12:13], s[42:43]
	s_andn2_b64 s[12:13], s[44:45], exec
	s_and_b64 s[44:45], s[46:47], exec
	s_or_b64 s[44:45], s[12:13], s[44:45]
	s_mov_b64 s[58:59], s[56:57]
	s_andn2_b64 exec, exec, s[42:43]
	s_cbranch_execz .LBB1115_1414
.LBB1115_1410:                          ; =>This Inner Loop Header: Depth=1
	flat_load_ushort v38, v[32:33]
	flat_load_ushort v39, v[30:31]
	s_mov_b64 s[60:61], 0
	s_mov_b64 s[56:57], -1
	s_waitcnt vmcnt(0) lgkmcnt(0)
	v_lshlrev_b32_e32 v38, 16, v38
	v_lshlrev_b32_e32 v39, 16, v39
	v_cmp_nlt_f32_e64 s[12:13], v38, v39
	s_and_saveexec_b64 s[62:63], s[12:13]
; %bb.1411:                             ;   in Loop: Header=BB1115_1410 Depth=1
	v_cmp_ngt_f32_e64 s[12:13], v38, v39
	s_and_b64 s[56:57], s[12:13], s[58:59]
	s_orn2_b64 s[56:57], s[56:57], exec
	s_and_b64 s[60:61], s[12:13], exec
; %bb.1412:                             ;   in Loop: Header=BB1115_1410 Depth=1
	s_or_b64 exec, exec, s[62:63]
	s_andn2_b64 s[46:47], s[46:47], exec
	s_and_b64 s[58:59], s[56:57], exec
	s_mov_b64 s[12:13], -1
	s_or_b64 s[46:47], s[46:47], s[58:59]
	s_and_saveexec_b64 s[58:59], s[60:61]
	s_cbranch_execz .LBB1115_1409
; %bb.1413:                             ;   in Loop: Header=BB1115_1410 Depth=1
	v_lshl_add_u64 v[34:35], v[34:35], 0, -1
	v_cmp_eq_u64_e64 s[12:13], 0, v[34:35]
	v_lshl_add_u64 v[30:31], v[30:31], 0, 2
	v_lshl_add_u64 v[32:33], v[32:33], 0, 2
	s_andn2_b64 s[46:47], s[46:47], exec
	s_orn2_b64 s[12:13], s[12:13], exec
	s_branch .LBB1115_1409
.LBB1115_1414:
	s_or_b64 exec, exec, s[42:43]
	v_cndmask_b32_e64 v31, v13, v36, s[44:45]
	v_cndmask_b32_e64 v30, v12, v37, s[44:45]
.LBB1115_1415:
	s_or_b64 exec, exec, s[20:21]
	v_mov_b64_e32 v[12:13], v[30:31]
.LBB1115_1416:
	s_or_b64 exec, exec, s[18:19]
.LBB1115_1417:
	s_or_b64 exec, exec, s[40:41]
	s_movk_i32 s36, 0x80
	v_cmp_lt_u32_e64 s[12:13], s36, v0
	; wave barrier
	s_waitcnt lgkmcnt(0)
	s_barrier
	s_and_saveexec_b64 s[40:41], s[12:13]
	s_cbranch_execz .LBB1115_1517
; %bb.1418:
	v_lshlrev_b32_e32 v35, 3, v28
	v_add_u32_e32 v81, 8, v35
	v_add_u32_e32 v82, 16, v35
	;; [unrolled: 1-line block ×7, first 2 shown]
	s_mov_b64 s[42:43], 0
	v_mov_b32_e32 v30, 0
	s_branch .LBB1115_1423
.LBB1115_1419:                          ;   in Loop: Header=BB1115_1423 Depth=1
	s_or_b64 exec, exec, s[76:77]
	v_cndmask_b32_e64 v15, v13, v96, s[78:79]
	v_cndmask_b32_e64 v14, v12, v114, s[78:79]
.LBB1115_1420:                          ;   in Loop: Header=BB1115_1423 Depth=1
	s_or_b64 exec, exec, s[74:75]
	v_mov_b64_e32 v[12:13], v[14:15]
.LBB1115_1421:                          ;   in Loop: Header=BB1115_1423 Depth=1
	s_or_b64 exec, exec, s[72:73]
	v_cndmask_b32_e64 v17, v98, v100, s[62:63]
	v_cndmask_b32_e64 v16, v99, v101, s[62:63]
	v_cndmask_b32_e64 v15, v49, v51, s[58:59]
	v_cndmask_b32_e64 v14, v50, v97, s[58:59]
	v_cndmask_b32_e64 v21, v20, v21, s[56:57]
	v_cndmask_b32_e64 v20, v39, v48, s[56:57]
	v_cndmask_b32_e64 v19, v34, v37, s[46:47]
	v_cndmask_b32_e64 v18, v36, v38, s[46:47]
	v_cndmask_b32_e64 v25, v24, v25, s[20:21]
	v_cndmask_b32_e64 v24, v31, v33, s[20:21]
	v_cndmask_b32_e64 v23, v23, v11, s[18:19]
	v_cndmask_b32_e64 v22, v22, v10, s[18:19]
	v_cndmask_b32_e64 v11, v102, v112, s[60:61]
	v_cndmask_b32_e64 v10, v103, v113, s[60:61]
.LBB1115_1422:                          ;   in Loop: Header=BB1115_1423 Depth=1
	s_or_b64 exec, exec, s[44:45]
	v_cmp_ge_u32_e64 s[12:13], s36, v0
	s_or_b64 s[42:43], s[12:13], s[42:43]
	s_barrier
	s_andn2_b64 exec, exec, s[42:43]
	s_cbranch_execz .LBB1115_1516
.LBB1115_1423:                          ; =>This Loop Header: Depth=1
                                        ;     Child Loop BB1115_1427 Depth 2
                                        ;       Child Loop BB1115_1430 Depth 3
                                        ;     Child Loop BB1115_1443 Depth 2
                                        ;     Child Loop BB1115_1452 Depth 2
	;; [unrolled: 1-line block ×8, first 2 shown]
	s_mov_b32 s12, s36
	s_lshl_b32 s36, s36, 1
	s_sub_i32 s18, 0, s36
	v_and_b32_e32 v97, s18, v28
	v_add_u32_e32 v31, s12, v97
	v_min_u32_e32 v32, v31, v0
	s_add_i32 s13, s36, -1
	v_add_u32_e32 v31, s12, v32
	v_min_u32_e32 v96, v31, v0
	v_and_b32_e32 v31, s13, v28
	v_min_u32_e32 v98, v31, v0
	v_sub_u32_e32 v31, v32, v97
	v_sub_u32_e32 v33, v96, v32
	v_sub_u32_e64 v99, v98, v33 clamp
	v_min_u32_e32 v100, v98, v31
	v_cmp_lt_u32_e64 s[12:13], v99, v100
	ds_write_b64 v35, v[22:23]
	ds_write_b64 v81, v[24:25]
	;; [unrolled: 1-line block ×8, first 2 shown]
	s_waitcnt lgkmcnt(0)
	s_barrier
	s_and_saveexec_b64 s[18:19], s[12:13]
	s_cbranch_execz .LBB1115_1435
; %bb.1424:                             ;   in Loop: Header=BB1115_1423 Depth=1
	s_mov_b64 s[12:13], src_shared_base
	v_mov_b32_e32 v31, s13
	v_mov_b32_e32 v33, v30
	v_lshlrev_b32_e32 v34, 3, v97
	v_lshl_add_u64 v[36:37], v[32:33], 3, v[30:31]
	s_mov_b64 s[20:21], 0
	s_branch .LBB1115_1427
.LBB1115_1425:                          ;   in Loop: Header=BB1115_1427 Depth=2
	s_or_b64 exec, exec, s[46:47]
	s_and_b64 s[12:13], s[56:57], exec
.LBB1115_1426:                          ;   in Loop: Header=BB1115_1427 Depth=2
	s_or_b64 exec, exec, s[44:45]
	v_add_u32_e32 v33, 1, v31
	v_cndmask_b32_e64 v100, v100, v31, s[12:13]
	v_cndmask_b32_e64 v99, v33, v99, s[12:13]
	v_cmp_ge_u32_e64 s[12:13], v99, v100
	s_or_b64 s[20:21], s[12:13], s[20:21]
	s_andn2_b64 exec, exec, s[20:21]
	s_cbranch_execz .LBB1115_1434
.LBB1115_1427:                          ;   Parent Loop BB1115_1423 Depth=1
                                        ; =>  This Loop Header: Depth=2
                                        ;       Child Loop BB1115_1430 Depth 3
	v_add_u32_e32 v31, v100, v99
	v_lshrrev_b32_e32 v31, 1, v31
	s_mov_b64 s[12:13], 0
	s_and_saveexec_b64 s[44:45], s[16:17]
	s_cbranch_execz .LBB1115_1426
; %bb.1428:                             ;   in Loop: Header=BB1115_1427 Depth=2
	v_lshl_add_u32 v33, v31, 3, v34
	ds_read_b64 v[38:39], v33
	v_xad_u32 v33, v31, -1, v98
	v_lshl_add_u32 v33, v33, 3, v36
	ds_read_b64 v[48:49], v33
	s_mov_b64 s[46:47], 0
	s_waitcnt lgkmcnt(1)
	v_mul_lo_u32 v33, v2, v39
	v_mul_lo_u32 v37, v3, v38
	v_mad_u64_u32 v[38:39], s[12:13], v2, v38, v[8:9]
	v_add3_u32 v39, v37, v39, v33
	s_waitcnt lgkmcnt(0)
	v_mul_lo_u32 v33, v2, v49
	v_mul_lo_u32 v37, v3, v48
	v_mad_u64_u32 v[48:49], s[12:13], v2, v48, v[8:9]
	v_add3_u32 v49, v37, v49, v33
	v_mov_b64_e32 v[50:51], v[6:7]
                                        ; implicit-def: $sgpr56_sgpr57
                                        ; implicit-def: $sgpr58_sgpr59
                                        ; implicit-def: $sgpr72_sgpr73
	s_branch .LBB1115_1430
.LBB1115_1429:                          ;   in Loop: Header=BB1115_1430 Depth=3
	s_or_b64 exec, exec, s[72:73]
	s_and_b64 s[12:13], exec, s[62:63]
	s_or_b64 s[46:47], s[12:13], s[46:47]
	s_andn2_b64 s[12:13], s[56:57], exec
	s_and_b64 s[56:57], s[58:59], exec
	s_or_b64 s[56:57], s[12:13], s[56:57]
	s_mov_b64 s[72:73], s[60:61]
	s_andn2_b64 exec, exec, s[46:47]
	s_cbranch_execz .LBB1115_1425
.LBB1115_1430:                          ;   Parent Loop BB1115_1423 Depth=1
                                        ;     Parent Loop BB1115_1427 Depth=2
                                        ; =>    This Inner Loop Header: Depth=3
	flat_load_ushort v33, v[48:49]
	flat_load_ushort v37, v[38:39]
	s_mov_b64 s[62:63], -1
	s_mov_b64 s[74:75], 0
	s_mov_b64 s[60:61], -1
	s_waitcnt vmcnt(0) lgkmcnt(0)
	v_lshlrev_b32_e32 v33, 16, v33
	v_lshlrev_b32_e32 v37, 16, v37
	v_cmp_nlt_f32_e64 s[12:13], v33, v37
	s_and_saveexec_b64 s[76:77], s[12:13]
; %bb.1431:                             ;   in Loop: Header=BB1115_1430 Depth=3
	v_cmp_ngt_f32_e64 s[12:13], v33, v37
	s_and_b64 s[60:61], s[12:13], s[72:73]
	s_orn2_b64 s[60:61], s[60:61], exec
	s_and_b64 s[74:75], s[12:13], exec
; %bb.1432:                             ;   in Loop: Header=BB1115_1430 Depth=3
	s_or_b64 exec, exec, s[76:77]
	s_andn2_b64 s[12:13], s[58:59], exec
	s_and_b64 s[58:59], s[60:61], exec
	s_or_b64 s[58:59], s[12:13], s[58:59]
	s_and_saveexec_b64 s[72:73], s[74:75]
	s_cbranch_execz .LBB1115_1429
; %bb.1433:                             ;   in Loop: Header=BB1115_1430 Depth=3
	v_lshl_add_u64 v[50:51], v[50:51], 0, -1
	v_cmp_eq_u64_e64 s[12:13], 0, v[50:51]
	v_lshl_add_u64 v[38:39], v[38:39], 0, 2
	v_lshl_add_u64 v[48:49], v[48:49], 0, 2
	s_andn2_b64 s[58:59], s[58:59], exec
	s_orn2_b64 s[62:63], s[12:13], exec
	s_branch .LBB1115_1429
.LBB1115_1434:                          ;   in Loop: Header=BB1115_1423 Depth=1
	s_or_b64 exec, exec, s[20:21]
.LBB1115_1435:                          ;   in Loop: Header=BB1115_1423 Depth=1
	s_or_b64 exec, exec, s[18:19]
	v_sub_u32_e32 v31, v98, v99
	v_add_u32_e32 v34, v99, v97
	v_add_u32_e32 v36, v31, v32
	v_cmp_le_u32_e64 s[12:13], v34, v32
	v_cmp_le_u32_e64 s[18:19], v36, v96
	s_or_b64 s[12:13], s[12:13], s[18:19]
	s_and_saveexec_b64 s[44:45], s[12:13]
	s_cbranch_execz .LBB1115_1422
; %bb.1436:                             ;   in Loop: Header=BB1115_1423 Depth=1
	v_cmp_ge_u32_e64 s[18:19], v34, v32
	v_cmp_lt_u32_e64 s[12:13], v34, v32
                                        ; implicit-def: $vgpr10_vgpr11
	s_and_saveexec_b64 s[20:21], s[12:13]
; %bb.1437:                             ;   in Loop: Header=BB1115_1423 Depth=1
	v_lshlrev_b32_e32 v10, 3, v34
	ds_read_b64 v[10:11], v10
; %bb.1438:                             ;   in Loop: Header=BB1115_1423 Depth=1
	s_or_b64 exec, exec, s[20:21]
	v_cmp_ge_u32_e64 s[20:21], v36, v96
	v_cmp_lt_u32_e64 s[12:13], v36, v96
                                        ; implicit-def: $vgpr22_vgpr23
	s_and_saveexec_b64 s[46:47], s[12:13]
; %bb.1439:                             ;   in Loop: Header=BB1115_1423 Depth=1
	v_lshlrev_b32_e32 v12, 3, v36
	ds_read_b64 v[22:23], v12
; %bb.1440:                             ;   in Loop: Header=BB1115_1423 Depth=1
	s_or_b64 exec, exec, s[46:47]
	s_or_b64 s[12:13], s[18:19], s[20:21]
	s_xor_b64 s[18:19], s[18:19], -1
	s_nor_b64 s[12:13], s[12:13], s[8:9]
	s_or_b64 s[18:19], s[20:21], s[18:19]
	s_and_saveexec_b64 s[20:21], s[12:13]
	s_cbranch_execz .LBB1115_1448
; %bb.1441:                             ;   in Loop: Header=BB1115_1423 Depth=1
	s_waitcnt lgkmcnt(0)
	v_mad_u64_u32 v[12:13], s[12:13], v2, v10, v[8:9]
	v_mul_lo_u32 v14, v2, v11
	v_mul_lo_u32 v15, v3, v10
	v_add3_u32 v13, v15, v13, v14
	v_mad_u64_u32 v[14:15], s[12:13], v2, v22, v[8:9]
	v_mul_lo_u32 v16, v2, v23
	v_mul_lo_u32 v17, v3, v22
	v_add3_u32 v15, v17, v15, v16
	s_mov_b64 s[46:47], 0
	v_mov_b64_e32 v[16:17], v[6:7]
                                        ; implicit-def: $sgpr56_sgpr57
                                        ; implicit-def: $sgpr58_sgpr59
                                        ; implicit-def: $sgpr72_sgpr73
	s_branch .LBB1115_1443
.LBB1115_1442:                          ;   in Loop: Header=BB1115_1443 Depth=2
	s_or_b64 exec, exec, s[72:73]
	s_and_b64 s[12:13], exec, s[62:63]
	s_or_b64 s[46:47], s[12:13], s[46:47]
	s_andn2_b64 s[12:13], s[56:57], exec
	s_and_b64 s[56:57], s[58:59], exec
	s_or_b64 s[56:57], s[12:13], s[56:57]
	s_mov_b64 s[72:73], s[60:61]
	s_andn2_b64 exec, exec, s[46:47]
	s_cbranch_execz .LBB1115_1447
.LBB1115_1443:                          ;   Parent Loop BB1115_1423 Depth=1
                                        ; =>  This Inner Loop Header: Depth=2
	flat_load_ushort v18, v[14:15]
	flat_load_ushort v19, v[12:13]
	s_mov_b64 s[62:63], -1
	s_mov_b64 s[74:75], 0
	s_mov_b64 s[60:61], -1
	s_waitcnt vmcnt(0) lgkmcnt(0)
	v_lshlrev_b32_e32 v18, 16, v18
	v_lshlrev_b32_e32 v19, 16, v19
	v_cmp_nlt_f32_e64 s[12:13], v18, v19
	s_and_saveexec_b64 s[76:77], s[12:13]
; %bb.1444:                             ;   in Loop: Header=BB1115_1443 Depth=2
	v_cmp_ngt_f32_e64 s[12:13], v18, v19
	s_and_b64 s[60:61], s[12:13], s[72:73]
	s_orn2_b64 s[60:61], s[60:61], exec
	s_and_b64 s[74:75], s[12:13], exec
; %bb.1445:                             ;   in Loop: Header=BB1115_1443 Depth=2
	s_or_b64 exec, exec, s[76:77]
	s_andn2_b64 s[12:13], s[58:59], exec
	s_and_b64 s[58:59], s[60:61], exec
	s_or_b64 s[58:59], s[12:13], s[58:59]
	s_and_saveexec_b64 s[72:73], s[74:75]
	s_cbranch_execz .LBB1115_1442
; %bb.1446:                             ;   in Loop: Header=BB1115_1443 Depth=2
	v_lshl_add_u64 v[16:17], v[16:17], 0, -1
	v_cmp_eq_u64_e64 s[12:13], 0, v[16:17]
	v_lshl_add_u64 v[12:13], v[12:13], 0, 2
	v_lshl_add_u64 v[14:15], v[14:15], 0, 2
	s_andn2_b64 s[58:59], s[58:59], exec
	s_orn2_b64 s[62:63], s[12:13], exec
	s_branch .LBB1115_1442
.LBB1115_1447:                          ;   in Loop: Header=BB1115_1423 Depth=1
	s_or_b64 exec, exec, s[46:47]
	s_xor_b64 s[12:13], s[56:57], -1
	s_andn2_b64 s[18:19], s[18:19], exec
	s_and_b64 s[12:13], s[12:13], exec
	s_or_b64 s[18:19], s[18:19], s[12:13]
.LBB1115_1448:                          ;   in Loop: Header=BB1115_1423 Depth=1
	s_or_b64 exec, exec, s[20:21]
	v_cndmask_b32_e64 v12, v36, v34, s[18:19]
	v_cndmask_b32_e64 v13, v96, v32, s[18:19]
	v_add_u32_e32 v14, 1, v12
	v_add_u32_e32 v12, -1, v13
	v_min_u32_e32 v12, v14, v12
	v_lshlrev_b32_e32 v12, 3, v12
	ds_read_b64 v[12:13], v12
	v_cndmask_b32_e64 v18, v14, v36, s[18:19]
	v_cndmask_b32_e64 v19, v34, v14, s[18:19]
	v_cmp_lt_u32_e64 s[12:13], v18, v96
	s_mov_b64 s[46:47], -1
	s_waitcnt lgkmcnt(0)
	v_cndmask_b32_e64 v24, v13, v23, s[18:19]
	v_cndmask_b32_e64 v31, v12, v22, s[18:19]
	;; [unrolled: 1-line block ×4, first 2 shown]
	s_mov_b64 s[20:21], -1
	s_and_saveexec_b64 s[56:57], s[12:13]
	s_cbranch_execz .LBB1115_1458
; %bb.1449:                             ;   in Loop: Header=BB1115_1423 Depth=1
	v_cmp_lt_u32_e64 s[20:21], v19, v32
	s_and_b64 s[12:13], s[20:21], s[28:29]
	s_and_saveexec_b64 s[58:59], s[12:13]
	s_cbranch_execz .LBB1115_1457
; %bb.1450:                             ;   in Loop: Header=BB1115_1423 Depth=1
	v_mad_u64_u32 v[12:13], s[12:13], v2, v33, v[8:9]
	v_mul_lo_u32 v14, v2, v25
	v_mul_lo_u32 v15, v3, v33
	v_add3_u32 v13, v15, v13, v14
	v_mad_u64_u32 v[14:15], s[12:13], v2, v31, v[8:9]
	v_mul_lo_u32 v16, v2, v24
	v_mul_lo_u32 v17, v3, v31
	v_add3_u32 v15, v17, v15, v16
	s_mov_b64 s[60:61], 0
	v_mov_b64_e32 v[16:17], v[6:7]
                                        ; implicit-def: $sgpr62_sgpr63
                                        ; implicit-def: $sgpr72_sgpr73
                                        ; implicit-def: $sgpr78_sgpr79
	s_branch .LBB1115_1452
.LBB1115_1451:                          ;   in Loop: Header=BB1115_1452 Depth=2
	s_or_b64 exec, exec, s[78:79]
	s_and_b64 s[12:13], exec, s[76:77]
	s_or_b64 s[60:61], s[12:13], s[60:61]
	s_andn2_b64 s[12:13], s[62:63], exec
	s_and_b64 s[62:63], s[72:73], exec
	s_or_b64 s[62:63], s[12:13], s[62:63]
	s_mov_b64 s[78:79], s[74:75]
	s_andn2_b64 exec, exec, s[60:61]
	s_cbranch_execz .LBB1115_1456
.LBB1115_1452:                          ;   Parent Loop BB1115_1423 Depth=1
                                        ; =>  This Inner Loop Header: Depth=2
	flat_load_ushort v20, v[14:15]
	flat_load_ushort v21, v[12:13]
	s_mov_b64 s[76:77], -1
	s_mov_b64 s[88:89], 0
	s_mov_b64 s[74:75], -1
	s_waitcnt vmcnt(0) lgkmcnt(0)
	v_lshlrev_b32_e32 v20, 16, v20
	v_lshlrev_b32_e32 v21, 16, v21
	v_cmp_nlt_f32_e64 s[12:13], v20, v21
	s_and_saveexec_b64 s[90:91], s[12:13]
; %bb.1453:                             ;   in Loop: Header=BB1115_1452 Depth=2
	v_cmp_ngt_f32_e64 s[12:13], v20, v21
	s_and_b64 s[74:75], s[12:13], s[78:79]
	s_orn2_b64 s[74:75], s[74:75], exec
	s_and_b64 s[88:89], s[12:13], exec
; %bb.1454:                             ;   in Loop: Header=BB1115_1452 Depth=2
	s_or_b64 exec, exec, s[90:91]
	s_andn2_b64 s[12:13], s[72:73], exec
	s_and_b64 s[72:73], s[74:75], exec
	s_or_b64 s[72:73], s[12:13], s[72:73]
	s_and_saveexec_b64 s[78:79], s[88:89]
	s_cbranch_execz .LBB1115_1451
; %bb.1455:                             ;   in Loop: Header=BB1115_1452 Depth=2
	v_lshl_add_u64 v[16:17], v[16:17], 0, -1
	v_cmp_eq_u64_e64 s[12:13], 0, v[16:17]
	v_lshl_add_u64 v[12:13], v[12:13], 0, 2
	v_lshl_add_u64 v[14:15], v[14:15], 0, 2
	s_andn2_b64 s[72:73], s[72:73], exec
	s_orn2_b64 s[76:77], s[12:13], exec
	s_branch .LBB1115_1451
.LBB1115_1456:                          ;   in Loop: Header=BB1115_1423 Depth=1
	s_or_b64 exec, exec, s[60:61]
	s_xor_b64 s[12:13], s[62:63], -1
	s_andn2_b64 s[20:21], s[20:21], exec
	s_and_b64 s[12:13], s[12:13], exec
	s_or_b64 s[20:21], s[20:21], s[12:13]
.LBB1115_1457:                          ;   in Loop: Header=BB1115_1423 Depth=1
	s_or_b64 exec, exec, s[58:59]
	s_orn2_b64 s[20:21], s[20:21], exec
.LBB1115_1458:                          ;   in Loop: Header=BB1115_1423 Depth=1
	s_or_b64 exec, exec, s[56:57]
	v_cndmask_b32_e64 v12, v18, v19, s[20:21]
	v_cndmask_b32_e64 v13, v96, v32, s[20:21]
	v_add_u32_e32 v14, 1, v12
	v_add_u32_e32 v12, -1, v13
	v_min_u32_e32 v12, v14, v12
	v_lshlrev_b32_e32 v12, 3, v12
	ds_read_b64 v[12:13], v12
	v_cndmask_b32_e64 v18, v14, v18, s[20:21]
	v_cndmask_b32_e64 v19, v19, v14, s[20:21]
	v_cmp_lt_u32_e64 s[12:13], v18, v96
	s_waitcnt lgkmcnt(0)
	v_cndmask_b32_e64 v34, v13, v24, s[20:21]
	v_cndmask_b32_e64 v36, v12, v31, s[20:21]
	;; [unrolled: 1-line block ×4, first 2 shown]
	s_and_saveexec_b64 s[56:57], s[12:13]
	s_cbranch_execz .LBB1115_1468
; %bb.1459:                             ;   in Loop: Header=BB1115_1423 Depth=1
	v_cmp_lt_u32_e64 s[46:47], v19, v32
	s_and_b64 s[12:13], s[46:47], s[28:29]
	s_and_saveexec_b64 s[58:59], s[12:13]
	s_cbranch_execz .LBB1115_1467
; %bb.1460:                             ;   in Loop: Header=BB1115_1423 Depth=1
	v_mad_u64_u32 v[12:13], s[12:13], v2, v38, v[8:9]
	v_mul_lo_u32 v14, v2, v37
	v_mul_lo_u32 v15, v3, v38
	v_add3_u32 v13, v15, v13, v14
	v_mad_u64_u32 v[14:15], s[12:13], v2, v36, v[8:9]
	v_mul_lo_u32 v16, v2, v34
	v_mul_lo_u32 v17, v3, v36
	v_add3_u32 v15, v17, v15, v16
	s_mov_b64 s[60:61], 0
	v_mov_b64_e32 v[16:17], v[6:7]
                                        ; implicit-def: $sgpr62_sgpr63
                                        ; implicit-def: $sgpr72_sgpr73
                                        ; implicit-def: $sgpr78_sgpr79
	s_branch .LBB1115_1462
.LBB1115_1461:                          ;   in Loop: Header=BB1115_1462 Depth=2
	s_or_b64 exec, exec, s[78:79]
	s_and_b64 s[12:13], exec, s[76:77]
	s_or_b64 s[60:61], s[12:13], s[60:61]
	s_andn2_b64 s[12:13], s[62:63], exec
	s_and_b64 s[62:63], s[72:73], exec
	s_or_b64 s[62:63], s[12:13], s[62:63]
	s_mov_b64 s[78:79], s[74:75]
	s_andn2_b64 exec, exec, s[60:61]
	s_cbranch_execz .LBB1115_1466
.LBB1115_1462:                          ;   Parent Loop BB1115_1423 Depth=1
                                        ; =>  This Inner Loop Header: Depth=2
	flat_load_ushort v20, v[14:15]
	flat_load_ushort v21, v[12:13]
	s_mov_b64 s[76:77], -1
	s_mov_b64 s[88:89], 0
	s_mov_b64 s[74:75], -1
	s_waitcnt vmcnt(0) lgkmcnt(0)
	v_lshlrev_b32_e32 v20, 16, v20
	v_lshlrev_b32_e32 v21, 16, v21
	v_cmp_nlt_f32_e64 s[12:13], v20, v21
	s_and_saveexec_b64 s[90:91], s[12:13]
; %bb.1463:                             ;   in Loop: Header=BB1115_1462 Depth=2
	v_cmp_ngt_f32_e64 s[12:13], v20, v21
	s_and_b64 s[74:75], s[12:13], s[78:79]
	s_orn2_b64 s[74:75], s[74:75], exec
	s_and_b64 s[88:89], s[12:13], exec
; %bb.1464:                             ;   in Loop: Header=BB1115_1462 Depth=2
	s_or_b64 exec, exec, s[90:91]
	s_andn2_b64 s[12:13], s[72:73], exec
	s_and_b64 s[72:73], s[74:75], exec
	s_or_b64 s[72:73], s[12:13], s[72:73]
	s_and_saveexec_b64 s[78:79], s[88:89]
	s_cbranch_execz .LBB1115_1461
; %bb.1465:                             ;   in Loop: Header=BB1115_1462 Depth=2
	v_lshl_add_u64 v[16:17], v[16:17], 0, -1
	v_cmp_eq_u64_e64 s[12:13], 0, v[16:17]
	v_lshl_add_u64 v[12:13], v[12:13], 0, 2
	v_lshl_add_u64 v[14:15], v[14:15], 0, 2
	s_andn2_b64 s[72:73], s[72:73], exec
	s_orn2_b64 s[76:77], s[12:13], exec
	s_branch .LBB1115_1461
.LBB1115_1466:                          ;   in Loop: Header=BB1115_1423 Depth=1
	s_or_b64 exec, exec, s[60:61]
	s_xor_b64 s[12:13], s[62:63], -1
	s_andn2_b64 s[46:47], s[46:47], exec
	s_and_b64 s[12:13], s[12:13], exec
	s_or_b64 s[46:47], s[46:47], s[12:13]
.LBB1115_1467:                          ;   in Loop: Header=BB1115_1423 Depth=1
	s_or_b64 exec, exec, s[58:59]
	s_orn2_b64 s[46:47], s[46:47], exec
.LBB1115_1468:                          ;   in Loop: Header=BB1115_1423 Depth=1
	s_or_b64 exec, exec, s[56:57]
	v_cndmask_b32_e64 v12, v18, v19, s[46:47]
	v_cndmask_b32_e64 v13, v96, v32, s[46:47]
	v_add_u32_e32 v14, 1, v12
	v_add_u32_e32 v12, -1, v13
	v_min_u32_e32 v12, v14, v12
	v_lshlrev_b32_e32 v12, 3, v12
	ds_read_b64 v[12:13], v12
	v_cndmask_b32_e64 v18, v14, v18, s[46:47]
	v_cndmask_b32_e64 v19, v19, v14, s[46:47]
	v_cmp_lt_u32_e64 s[12:13], v18, v96
	s_mov_b64 s[58:59], -1
	s_waitcnt lgkmcnt(0)
	v_cndmask_b32_e64 v20, v13, v34, s[46:47]
	v_cndmask_b32_e64 v39, v12, v36, s[46:47]
	;; [unrolled: 1-line block ×4, first 2 shown]
	s_mov_b64 s[56:57], -1
	s_and_saveexec_b64 s[60:61], s[12:13]
	s_cbranch_execz .LBB1115_1478
; %bb.1469:                             ;   in Loop: Header=BB1115_1423 Depth=1
	v_cmp_lt_u32_e64 s[56:57], v19, v32
	s_and_b64 s[12:13], s[56:57], s[28:29]
	s_and_saveexec_b64 s[62:63], s[12:13]
	s_cbranch_execz .LBB1115_1477
; %bb.1470:                             ;   in Loop: Header=BB1115_1423 Depth=1
	v_mad_u64_u32 v[12:13], s[12:13], v2, v48, v[8:9]
	v_mul_lo_u32 v14, v2, v21
	v_mul_lo_u32 v15, v3, v48
	v_add3_u32 v13, v15, v13, v14
	v_mad_u64_u32 v[14:15], s[12:13], v2, v39, v[8:9]
	v_mul_lo_u32 v16, v2, v20
	v_mul_lo_u32 v17, v3, v39
	v_add3_u32 v15, v17, v15, v16
	s_mov_b64 s[72:73], 0
	v_mov_b64_e32 v[16:17], v[6:7]
                                        ; implicit-def: $sgpr74_sgpr75
                                        ; implicit-def: $sgpr76_sgpr77
                                        ; implicit-def: $sgpr90_sgpr91
	s_branch .LBB1115_1472
.LBB1115_1471:                          ;   in Loop: Header=BB1115_1472 Depth=2
	s_or_b64 exec, exec, s[90:91]
	s_and_b64 s[12:13], exec, s[88:89]
	s_or_b64 s[72:73], s[12:13], s[72:73]
	s_andn2_b64 s[12:13], s[74:75], exec
	s_and_b64 s[74:75], s[76:77], exec
	s_or_b64 s[74:75], s[12:13], s[74:75]
	s_mov_b64 s[90:91], s[78:79]
	s_andn2_b64 exec, exec, s[72:73]
	s_cbranch_execz .LBB1115_1476
.LBB1115_1472:                          ;   Parent Loop BB1115_1423 Depth=1
                                        ; =>  This Inner Loop Header: Depth=2
	flat_load_ushort v49, v[14:15]
	flat_load_ushort v50, v[12:13]
	s_mov_b64 s[88:89], -1
	s_mov_b64 s[92:93], 0
	s_mov_b64 s[78:79], -1
	s_waitcnt vmcnt(0) lgkmcnt(0)
	v_lshlrev_b32_e32 v49, 16, v49
	v_lshlrev_b32_e32 v50, 16, v50
	v_cmp_nlt_f32_e64 s[12:13], v49, v50
	s_and_saveexec_b64 s[94:95], s[12:13]
; %bb.1473:                             ;   in Loop: Header=BB1115_1472 Depth=2
	v_cmp_ngt_f32_e64 s[12:13], v49, v50
	s_and_b64 s[78:79], s[12:13], s[90:91]
	s_orn2_b64 s[78:79], s[78:79], exec
	s_and_b64 s[92:93], s[12:13], exec
; %bb.1474:                             ;   in Loop: Header=BB1115_1472 Depth=2
	s_or_b64 exec, exec, s[94:95]
	s_andn2_b64 s[12:13], s[76:77], exec
	s_and_b64 s[76:77], s[78:79], exec
	s_or_b64 s[76:77], s[12:13], s[76:77]
	s_and_saveexec_b64 s[90:91], s[92:93]
	s_cbranch_execz .LBB1115_1471
; %bb.1475:                             ;   in Loop: Header=BB1115_1472 Depth=2
	v_lshl_add_u64 v[16:17], v[16:17], 0, -1
	v_cmp_eq_u64_e64 s[12:13], 0, v[16:17]
	v_lshl_add_u64 v[12:13], v[12:13], 0, 2
	v_lshl_add_u64 v[14:15], v[14:15], 0, 2
	s_andn2_b64 s[76:77], s[76:77], exec
	s_orn2_b64 s[88:89], s[12:13], exec
	s_branch .LBB1115_1471
.LBB1115_1476:                          ;   in Loop: Header=BB1115_1423 Depth=1
	s_or_b64 exec, exec, s[72:73]
	s_xor_b64 s[12:13], s[74:75], -1
	s_andn2_b64 s[56:57], s[56:57], exec
	s_and_b64 s[12:13], s[12:13], exec
	s_or_b64 s[56:57], s[56:57], s[12:13]
.LBB1115_1477:                          ;   in Loop: Header=BB1115_1423 Depth=1
	s_or_b64 exec, exec, s[62:63]
	s_orn2_b64 s[56:57], s[56:57], exec
.LBB1115_1478:                          ;   in Loop: Header=BB1115_1423 Depth=1
	s_or_b64 exec, exec, s[60:61]
	v_cndmask_b32_e64 v12, v18, v19, s[56:57]
	v_cndmask_b32_e64 v13, v96, v32, s[56:57]
	v_add_u32_e32 v14, 1, v12
	v_add_u32_e32 v12, -1, v13
	v_min_u32_e32 v12, v14, v12
	v_lshlrev_b32_e32 v12, 3, v12
	ds_read_b64 v[12:13], v12
	v_cndmask_b32_e64 v18, v14, v18, s[56:57]
	v_cndmask_b32_e64 v19, v19, v14, s[56:57]
	v_cmp_lt_u32_e64 s[12:13], v18, v96
	s_waitcnt lgkmcnt(0)
	v_cndmask_b32_e64 v49, v13, v20, s[56:57]
	v_cndmask_b32_e64 v50, v12, v39, s[56:57]
	;; [unrolled: 1-line block ×4, first 2 shown]
	s_and_saveexec_b64 s[60:61], s[12:13]
	s_cbranch_execz .LBB1115_1488
; %bb.1479:                             ;   in Loop: Header=BB1115_1423 Depth=1
	v_cmp_lt_u32_e64 s[58:59], v19, v32
	s_and_b64 s[12:13], s[58:59], s[28:29]
	s_and_saveexec_b64 s[62:63], s[12:13]
	s_cbranch_execz .LBB1115_1487
; %bb.1480:                             ;   in Loop: Header=BB1115_1423 Depth=1
	v_mad_u64_u32 v[12:13], s[12:13], v2, v97, v[8:9]
	v_mul_lo_u32 v14, v2, v51
	v_mul_lo_u32 v15, v3, v97
	v_add3_u32 v13, v15, v13, v14
	v_mad_u64_u32 v[14:15], s[12:13], v2, v50, v[8:9]
	v_mul_lo_u32 v16, v2, v49
	v_mul_lo_u32 v17, v3, v50
	v_add3_u32 v15, v17, v15, v16
	s_mov_b64 s[72:73], 0
	v_mov_b64_e32 v[16:17], v[6:7]
                                        ; implicit-def: $sgpr74_sgpr75
                                        ; implicit-def: $sgpr76_sgpr77
                                        ; implicit-def: $sgpr90_sgpr91
	s_branch .LBB1115_1482
.LBB1115_1481:                          ;   in Loop: Header=BB1115_1482 Depth=2
	s_or_b64 exec, exec, s[90:91]
	s_and_b64 s[12:13], exec, s[88:89]
	s_or_b64 s[72:73], s[12:13], s[72:73]
	s_andn2_b64 s[12:13], s[74:75], exec
	s_and_b64 s[74:75], s[76:77], exec
	s_or_b64 s[74:75], s[12:13], s[74:75]
	s_mov_b64 s[90:91], s[78:79]
	s_andn2_b64 exec, exec, s[72:73]
	s_cbranch_execz .LBB1115_1486
.LBB1115_1482:                          ;   Parent Loop BB1115_1423 Depth=1
                                        ; =>  This Inner Loop Header: Depth=2
	flat_load_ushort v98, v[14:15]
	flat_load_ushort v99, v[12:13]
	s_mov_b64 s[88:89], -1
	s_mov_b64 s[92:93], 0
	s_mov_b64 s[78:79], -1
	s_waitcnt vmcnt(0) lgkmcnt(0)
	v_lshlrev_b32_e32 v98, 16, v98
	v_lshlrev_b32_e32 v99, 16, v99
	v_cmp_nlt_f32_e64 s[12:13], v98, v99
	s_and_saveexec_b64 s[94:95], s[12:13]
; %bb.1483:                             ;   in Loop: Header=BB1115_1482 Depth=2
	v_cmp_ngt_f32_e64 s[12:13], v98, v99
	s_and_b64 s[78:79], s[12:13], s[90:91]
	s_orn2_b64 s[78:79], s[78:79], exec
	s_and_b64 s[92:93], s[12:13], exec
; %bb.1484:                             ;   in Loop: Header=BB1115_1482 Depth=2
	s_or_b64 exec, exec, s[94:95]
	s_andn2_b64 s[12:13], s[76:77], exec
	s_and_b64 s[76:77], s[78:79], exec
	s_or_b64 s[76:77], s[12:13], s[76:77]
	s_and_saveexec_b64 s[90:91], s[92:93]
	s_cbranch_execz .LBB1115_1481
; %bb.1485:                             ;   in Loop: Header=BB1115_1482 Depth=2
	v_lshl_add_u64 v[16:17], v[16:17], 0, -1
	v_cmp_eq_u64_e64 s[12:13], 0, v[16:17]
	v_lshl_add_u64 v[12:13], v[12:13], 0, 2
	v_lshl_add_u64 v[14:15], v[14:15], 0, 2
	s_andn2_b64 s[76:77], s[76:77], exec
	s_orn2_b64 s[88:89], s[12:13], exec
	s_branch .LBB1115_1481
.LBB1115_1486:                          ;   in Loop: Header=BB1115_1423 Depth=1
	s_or_b64 exec, exec, s[72:73]
	s_xor_b64 s[12:13], s[74:75], -1
	s_andn2_b64 s[58:59], s[58:59], exec
	s_and_b64 s[12:13], s[12:13], exec
	s_or_b64 s[58:59], s[58:59], s[12:13]
.LBB1115_1487:                          ;   in Loop: Header=BB1115_1423 Depth=1
	s_or_b64 exec, exec, s[62:63]
	s_orn2_b64 s[58:59], s[58:59], exec
.LBB1115_1488:                          ;   in Loop: Header=BB1115_1423 Depth=1
	s_or_b64 exec, exec, s[60:61]
	v_cndmask_b32_e64 v12, v18, v19, s[58:59]
	v_cndmask_b32_e64 v13, v96, v32, s[58:59]
	v_add_u32_e32 v14, 1, v12
	v_add_u32_e32 v12, -1, v13
	v_min_u32_e32 v12, v14, v12
	v_lshlrev_b32_e32 v12, 3, v12
	ds_read_b64 v[12:13], v12
	v_cndmask_b32_e64 v18, v14, v18, s[58:59]
	v_cndmask_b32_e64 v19, v19, v14, s[58:59]
	v_cmp_lt_u32_e64 s[12:13], v18, v96
	s_mov_b64 s[60:61], -1
	s_waitcnt lgkmcnt(0)
	v_cndmask_b32_e64 v98, v13, v49, s[58:59]
	v_cndmask_b32_e64 v99, v12, v50, s[58:59]
	;; [unrolled: 1-line block ×4, first 2 shown]
	s_mov_b64 s[62:63], -1
	s_and_saveexec_b64 s[72:73], s[12:13]
	s_cbranch_execz .LBB1115_1498
; %bb.1489:                             ;   in Loop: Header=BB1115_1423 Depth=1
	v_cmp_lt_u32_e64 s[62:63], v19, v32
	s_and_b64 s[12:13], s[62:63], s[28:29]
	s_and_saveexec_b64 s[74:75], s[12:13]
	s_cbranch_execz .LBB1115_1497
; %bb.1490:                             ;   in Loop: Header=BB1115_1423 Depth=1
	v_mad_u64_u32 v[12:13], s[12:13], v2, v101, v[8:9]
	v_mul_lo_u32 v14, v2, v100
	v_mul_lo_u32 v15, v3, v101
	v_add3_u32 v13, v15, v13, v14
	v_mad_u64_u32 v[14:15], s[12:13], v2, v99, v[8:9]
	v_mul_lo_u32 v16, v2, v98
	v_mul_lo_u32 v17, v3, v99
	v_add3_u32 v15, v17, v15, v16
	s_mov_b64 s[76:77], 0
	v_mov_b64_e32 v[16:17], v[6:7]
                                        ; implicit-def: $sgpr78_sgpr79
                                        ; implicit-def: $sgpr88_sgpr89
                                        ; implicit-def: $sgpr94_sgpr95
	s_branch .LBB1115_1492
.LBB1115_1491:                          ;   in Loop: Header=BB1115_1492 Depth=2
	s_or_b64 exec, exec, s[94:95]
	s_and_b64 s[12:13], exec, s[92:93]
	s_or_b64 s[76:77], s[12:13], s[76:77]
	s_andn2_b64 s[12:13], s[78:79], exec
	s_and_b64 s[78:79], s[88:89], exec
	s_or_b64 s[78:79], s[12:13], s[78:79]
	s_mov_b64 s[94:95], s[90:91]
	s_andn2_b64 exec, exec, s[76:77]
	s_cbranch_execz .LBB1115_1496
.LBB1115_1492:                          ;   Parent Loop BB1115_1423 Depth=1
                                        ; =>  This Inner Loop Header: Depth=2
	flat_load_ushort v102, v[14:15]
	flat_load_ushort v103, v[12:13]
	s_mov_b64 s[92:93], -1
	s_mov_b64 s[30:31], 0
	s_mov_b64 s[90:91], -1
	s_waitcnt vmcnt(0) lgkmcnt(0)
	v_lshlrev_b32_e32 v102, 16, v102
	v_lshlrev_b32_e32 v103, 16, v103
	v_cmp_nlt_f32_e64 s[12:13], v102, v103
	s_and_saveexec_b64 s[34:35], s[12:13]
; %bb.1493:                             ;   in Loop: Header=BB1115_1492 Depth=2
	v_cmp_ngt_f32_e64 s[12:13], v102, v103
	s_and_b64 s[90:91], s[12:13], s[94:95]
	s_orn2_b64 s[90:91], s[90:91], exec
	s_and_b64 s[30:31], s[12:13], exec
; %bb.1494:                             ;   in Loop: Header=BB1115_1492 Depth=2
	s_or_b64 exec, exec, s[34:35]
	s_andn2_b64 s[12:13], s[88:89], exec
	s_and_b64 s[88:89], s[90:91], exec
	s_or_b64 s[88:89], s[12:13], s[88:89]
	s_and_saveexec_b64 s[94:95], s[30:31]
	s_cbranch_execz .LBB1115_1491
; %bb.1495:                             ;   in Loop: Header=BB1115_1492 Depth=2
	v_lshl_add_u64 v[16:17], v[16:17], 0, -1
	v_cmp_eq_u64_e64 s[12:13], 0, v[16:17]
	v_lshl_add_u64 v[12:13], v[12:13], 0, 2
	v_lshl_add_u64 v[14:15], v[14:15], 0, 2
	s_andn2_b64 s[88:89], s[88:89], exec
	s_orn2_b64 s[92:93], s[12:13], exec
	s_branch .LBB1115_1491
.LBB1115_1496:                          ;   in Loop: Header=BB1115_1423 Depth=1
	s_or_b64 exec, exec, s[76:77]
	s_xor_b64 s[12:13], s[78:79], -1
	s_andn2_b64 s[62:63], s[62:63], exec
	s_and_b64 s[12:13], s[12:13], exec
	s_or_b64 s[62:63], s[62:63], s[12:13]
.LBB1115_1497:                          ;   in Loop: Header=BB1115_1423 Depth=1
	s_or_b64 exec, exec, s[74:75]
	s_orn2_b64 s[62:63], s[62:63], exec
.LBB1115_1498:                          ;   in Loop: Header=BB1115_1423 Depth=1
	s_or_b64 exec, exec, s[72:73]
	v_cndmask_b32_e64 v12, v18, v19, s[62:63]
	v_cndmask_b32_e64 v13, v96, v32, s[62:63]
	v_add_u32_e32 v14, 1, v12
	v_add_u32_e32 v12, -1, v13
	v_min_u32_e32 v12, v14, v12
	v_lshlrev_b32_e32 v12, 3, v12
	ds_read_b64 v[12:13], v12
	v_cndmask_b32_e64 v114, v14, v18, s[62:63]
	v_cndmask_b32_e64 v18, v19, v14, s[62:63]
	v_cmp_lt_u32_e64 s[12:13], v114, v96
	s_waitcnt lgkmcnt(0)
	v_cndmask_b32_e64 v102, v13, v98, s[62:63]
	v_cndmask_b32_e64 v103, v12, v99, s[62:63]
	;; [unrolled: 1-line block ×4, first 2 shown]
	s_and_saveexec_b64 s[72:73], s[12:13]
	s_cbranch_execz .LBB1115_1508
; %bb.1499:                             ;   in Loop: Header=BB1115_1423 Depth=1
	v_cmp_lt_u32_e64 s[60:61], v18, v32
	s_and_b64 s[12:13], s[60:61], s[28:29]
	s_and_saveexec_b64 s[74:75], s[12:13]
	s_cbranch_execz .LBB1115_1507
; %bb.1500:                             ;   in Loop: Header=BB1115_1423 Depth=1
	v_mad_u64_u32 v[12:13], s[12:13], v2, v113, v[8:9]
	v_mul_lo_u32 v14, v2, v112
	v_mul_lo_u32 v15, v3, v113
	v_add3_u32 v13, v15, v13, v14
	v_mad_u64_u32 v[14:15], s[12:13], v2, v103, v[8:9]
	v_mul_lo_u32 v16, v2, v102
	v_mul_lo_u32 v17, v3, v103
	v_add3_u32 v15, v17, v15, v16
	s_mov_b64 s[76:77], 0
	v_mov_b64_e32 v[16:17], v[6:7]
                                        ; implicit-def: $sgpr78_sgpr79
                                        ; implicit-def: $sgpr88_sgpr89
                                        ; implicit-def: $sgpr94_sgpr95
	s_branch .LBB1115_1502
.LBB1115_1501:                          ;   in Loop: Header=BB1115_1502 Depth=2
	s_or_b64 exec, exec, s[94:95]
	s_and_b64 s[12:13], exec, s[92:93]
	s_or_b64 s[76:77], s[12:13], s[76:77]
	s_andn2_b64 s[12:13], s[78:79], exec
	s_and_b64 s[78:79], s[88:89], exec
	s_or_b64 s[78:79], s[12:13], s[78:79]
	s_mov_b64 s[94:95], s[90:91]
	s_andn2_b64 exec, exec, s[76:77]
	s_cbranch_execz .LBB1115_1506
.LBB1115_1502:                          ;   Parent Loop BB1115_1423 Depth=1
                                        ; =>  This Inner Loop Header: Depth=2
	flat_load_ushort v19, v[14:15]
	flat_load_ushort v115, v[12:13]
	s_mov_b64 s[92:93], -1
	s_mov_b64 s[30:31], 0
	s_mov_b64 s[90:91], -1
	s_waitcnt vmcnt(0) lgkmcnt(0)
	v_lshlrev_b32_e32 v19, 16, v19
	v_lshlrev_b32_e32 v115, 16, v115
	v_cmp_nlt_f32_e64 s[12:13], v19, v115
	s_and_saveexec_b64 s[34:35], s[12:13]
; %bb.1503:                             ;   in Loop: Header=BB1115_1502 Depth=2
	v_cmp_ngt_f32_e64 s[12:13], v19, v115
	s_and_b64 s[90:91], s[12:13], s[94:95]
	s_orn2_b64 s[90:91], s[90:91], exec
	s_and_b64 s[30:31], s[12:13], exec
; %bb.1504:                             ;   in Loop: Header=BB1115_1502 Depth=2
	s_or_b64 exec, exec, s[34:35]
	s_andn2_b64 s[12:13], s[88:89], exec
	s_and_b64 s[88:89], s[90:91], exec
	s_or_b64 s[88:89], s[12:13], s[88:89]
	s_and_saveexec_b64 s[94:95], s[30:31]
	s_cbranch_execz .LBB1115_1501
; %bb.1505:                             ;   in Loop: Header=BB1115_1502 Depth=2
	v_lshl_add_u64 v[16:17], v[16:17], 0, -1
	v_cmp_eq_u64_e64 s[12:13], 0, v[16:17]
	v_lshl_add_u64 v[12:13], v[12:13], 0, 2
	v_lshl_add_u64 v[14:15], v[14:15], 0, 2
	s_andn2_b64 s[88:89], s[88:89], exec
	s_orn2_b64 s[92:93], s[12:13], exec
	s_branch .LBB1115_1501
.LBB1115_1506:                          ;   in Loop: Header=BB1115_1423 Depth=1
	s_or_b64 exec, exec, s[76:77]
	s_xor_b64 s[12:13], s[78:79], -1
	s_andn2_b64 s[60:61], s[60:61], exec
	s_and_b64 s[12:13], s[12:13], exec
	s_or_b64 s[60:61], s[60:61], s[12:13]
.LBB1115_1507:                          ;   in Loop: Header=BB1115_1423 Depth=1
	s_or_b64 exec, exec, s[74:75]
	s_orn2_b64 s[60:61], s[60:61], exec
.LBB1115_1508:                          ;   in Loop: Header=BB1115_1423 Depth=1
	s_or_b64 exec, exec, s[72:73]
	v_cndmask_b32_e64 v12, v114, v18, s[60:61]
	v_cndmask_b32_e64 v13, v96, v32, s[60:61]
	v_add_u32_e32 v16, 1, v12
	v_add_u32_e32 v12, -1, v13
	v_min_u32_e32 v12, v16, v12
	v_lshlrev_b32_e32 v12, 3, v12
	ds_read_b64 v[14:15], v12
	v_cndmask_b32_e64 v17, v16, v114, s[60:61]
	v_cmp_lt_u32_e64 s[12:13], v17, v96
	s_waitcnt lgkmcnt(0)
	v_cndmask_b32_e64 v13, v112, v15, s[60:61]
	v_cndmask_b32_e64 v12, v113, v14, s[60:61]
	s_and_saveexec_b64 s[72:73], s[12:13]
	s_cbranch_execz .LBB1115_1421
; %bb.1509:                             ;   in Loop: Header=BB1115_1423 Depth=1
	v_cndmask_b32_e64 v114, v14, v103, s[60:61]
	v_cndmask_b32_e64 v14, v18, v16, s[60:61]
	v_cndmask_b32_e64 v96, v15, v102, s[60:61]
	v_cmp_ge_u32_e64 s[12:13], v14, v32
	s_nor_b64 s[76:77], s[12:13], s[8:9]
	s_nop 0
	v_cndmask_b32_e64 v15, v13, v96, s[12:13]
	v_cndmask_b32_e64 v14, v12, v114, s[12:13]
	s_and_saveexec_b64 s[74:75], s[76:77]
	s_cbranch_execz .LBB1115_1420
; %bb.1510:                             ;   in Loop: Header=BB1115_1423 Depth=1
	v_mad_u64_u32 v[14:15], s[12:13], v2, v12, v[8:9]
	v_mul_lo_u32 v16, v2, v13
	v_mul_lo_u32 v17, v3, v12
	v_add3_u32 v15, v17, v15, v16
	v_mad_u64_u32 v[16:17], s[12:13], v2, v114, v[8:9]
	v_mul_lo_u32 v18, v2, v96
	v_mul_lo_u32 v19, v3, v114
	v_add3_u32 v17, v19, v17, v18
	s_mov_b64 s[76:77], 0
	v_mov_b64_e32 v[18:19], v[6:7]
                                        ; implicit-def: $sgpr78_sgpr79
                                        ; implicit-def: $sgpr88_sgpr89
                                        ; implicit-def: $sgpr94_sgpr95
	s_branch .LBB1115_1512
.LBB1115_1511:                          ;   in Loop: Header=BB1115_1512 Depth=2
	s_or_b64 exec, exec, s[94:95]
	s_and_b64 s[12:13], exec, s[92:93]
	s_or_b64 s[76:77], s[12:13], s[76:77]
	s_andn2_b64 s[12:13], s[78:79], exec
	s_and_b64 s[78:79], s[88:89], exec
	s_or_b64 s[78:79], s[12:13], s[78:79]
	s_mov_b64 s[94:95], s[90:91]
	s_andn2_b64 exec, exec, s[76:77]
	s_cbranch_execz .LBB1115_1419
.LBB1115_1512:                          ;   Parent Loop BB1115_1423 Depth=1
                                        ; =>  This Inner Loop Header: Depth=2
	flat_load_ushort v32, v[16:17]
	flat_load_ushort v115, v[14:15]
	s_mov_b64 s[92:93], -1
	s_mov_b64 s[30:31], 0
	s_mov_b64 s[90:91], -1
	s_waitcnt vmcnt(0) lgkmcnt(0)
	v_lshlrev_b32_e32 v32, 16, v32
	v_lshlrev_b32_e32 v115, 16, v115
	v_cmp_nlt_f32_e64 s[12:13], v32, v115
	s_and_saveexec_b64 s[34:35], s[12:13]
; %bb.1513:                             ;   in Loop: Header=BB1115_1512 Depth=2
	v_cmp_ngt_f32_e64 s[12:13], v32, v115
	s_and_b64 s[90:91], s[12:13], s[94:95]
	s_orn2_b64 s[90:91], s[90:91], exec
	s_and_b64 s[30:31], s[12:13], exec
; %bb.1514:                             ;   in Loop: Header=BB1115_1512 Depth=2
	s_or_b64 exec, exec, s[34:35]
	s_andn2_b64 s[12:13], s[88:89], exec
	s_and_b64 s[88:89], s[90:91], exec
	s_or_b64 s[88:89], s[12:13], s[88:89]
	s_and_saveexec_b64 s[94:95], s[30:31]
	s_cbranch_execz .LBB1115_1511
; %bb.1515:                             ;   in Loop: Header=BB1115_1512 Depth=2
	v_lshl_add_u64 v[18:19], v[18:19], 0, -1
	v_cmp_eq_u64_e64 s[12:13], 0, v[18:19]
	v_lshl_add_u64 v[14:15], v[14:15], 0, 2
	v_lshl_add_u64 v[16:17], v[16:17], 0, 2
	s_andn2_b64 s[88:89], s[88:89], exec
	s_orn2_b64 s[92:93], s[12:13], exec
	s_branch .LBB1115_1511
.LBB1115_1516:
	s_or_b64 exec, exec, s[42:43]
.LBB1115_1517:
	s_or_b64 exec, exec, s[40:41]
	s_barrier
	ds_write_b64 v64, v[22:23]
	ds_write_b64 v66, v[24:25]
	;; [unrolled: 1-line block ×8, first 2 shown]
	s_waitcnt lgkmcnt(0)
	s_barrier
	ds_read_b64 v[14:15], v65
	ds_read_b64 v[12:13], v1
	;; [unrolled: 1-line block ×7, first 2 shown]
	v_mov_b32_e32 v29, 0
	v_lshl_add_u64 v[2:3], v[4:5], 0, v[28:29]
	s_and_saveexec_b64 s[8:9], vcc
	s_cbranch_execnz .LBB1115_1526
; %bb.1518:
	s_or_b64 exec, exec, s[8:9]
	s_and_saveexec_b64 s[8:9], s[0:1]
	s_cbranch_execnz .LBB1115_1527
.LBB1115_1519:
	s_or_b64 exec, exec, s[8:9]
	s_and_saveexec_b64 s[0:1], s[2:3]
	s_cbranch_execnz .LBB1115_1528
.LBB1115_1520:
	s_or_b64 exec, exec, s[0:1]
	s_and_saveexec_b64 s[0:1], s[4:5]
	s_cbranch_execnz .LBB1115_1529
.LBB1115_1521:
	s_or_b64 exec, exec, s[0:1]
	s_and_saveexec_b64 s[0:1], s[6:7]
	s_cbranch_execnz .LBB1115_1530
.LBB1115_1522:
	s_or_b64 exec, exec, s[0:1]
	s_and_saveexec_b64 s[0:1], s[10:11]
	s_cbranch_execnz .LBB1115_1531
.LBB1115_1523:
	s_or_b64 exec, exec, s[0:1]
	s_and_saveexec_b64 s[0:1], s[22:23]
	s_cbranch_execz .LBB1115_1525
.LBB1115_1524:
	v_add_co_u32_e32 v2, vcc, 0x3000, v2
	s_nop 1
	v_addc_co_u32_e32 v3, vcc, 0, v3, vcc
	s_waitcnt lgkmcnt(0)
	flat_store_dwordx2 v[2:3], v[0:1]
.LBB1115_1525:
	s_or_b64 exec, exec, s[0:1]
	s_andn2_b64 s[0:1], s[24:25], exec
	s_and_b64 s[2:3], s[14:15], exec
	v_mov_b32_e32 v27, v29
	s_or_b64 s[24:25], s[0:1], s[2:3]
	s_or_b64 exec, exec, s[26:27]
	s_and_saveexec_b64 s[0:1], s[24:25]
	s_cbranch_execnz .LBB1115_3
	s_branch .LBB1115_4
.LBB1115_1526:
	ds_read_b64 v[18:19], v27
	s_waitcnt lgkmcnt(0)
	flat_store_dwordx2 v[2:3], v[18:19]
	s_or_b64 exec, exec, s[8:9]
	s_and_saveexec_b64 s[8:9], s[0:1]
	s_cbranch_execz .LBB1115_1519
.LBB1115_1527:
	s_waitcnt lgkmcnt(0)
	flat_store_dwordx2 v[2:3], v[14:15] offset:2048
	s_or_b64 exec, exec, s[8:9]
	s_and_saveexec_b64 s[0:1], s[2:3]
	s_cbranch_execz .LBB1115_1520
.LBB1115_1528:
	s_waitcnt lgkmcnt(0)
	v_add_co_u32_e32 v14, vcc, 0x1000, v2
	s_nop 1
	v_addc_co_u32_e32 v15, vcc, 0, v3, vcc
	flat_store_dwordx2 v[14:15], v[12:13]
	s_or_b64 exec, exec, s[0:1]
	s_and_saveexec_b64 s[0:1], s[4:5]
	s_cbranch_execz .LBB1115_1521
.LBB1115_1529:
	s_waitcnt lgkmcnt(0)
	v_add_co_u32_e32 v12, vcc, 0x1000, v2
	s_nop 1
	v_addc_co_u32_e32 v13, vcc, 0, v3, vcc
	flat_store_dwordx2 v[12:13], v[10:11] offset:2048
	s_or_b64 exec, exec, s[0:1]
	s_and_saveexec_b64 s[0:1], s[6:7]
	s_cbranch_execz .LBB1115_1522
.LBB1115_1530:
	s_waitcnt lgkmcnt(0)
	v_add_co_u32_e32 v10, vcc, 0x2000, v2
	s_nop 1
	v_addc_co_u32_e32 v11, vcc, 0, v3, vcc
	flat_store_dwordx2 v[10:11], v[8:9]
	s_or_b64 exec, exec, s[0:1]
	s_and_saveexec_b64 s[0:1], s[10:11]
	s_cbranch_execz .LBB1115_1523
.LBB1115_1531:
	s_waitcnt lgkmcnt(0)
	v_add_co_u32_e32 v8, vcc, 0x2000, v2
	s_nop 1
	v_addc_co_u32_e32 v9, vcc, 0, v3, vcc
	flat_store_dwordx2 v[8:9], v[6:7] offset:2048
	s_or_b64 exec, exec, s[0:1]
	s_and_saveexec_b64 s[0:1], s[22:23]
	s_cbranch_execnz .LBB1115_1524
	s_branch .LBB1115_1525
.Lfunc_end1115:
	.size	_ZN7rocprim17ROCPRIM_400000_NS6detail15block_sort_implIlNS0_10empty_typeELj256ELj8ELNS0_4arch9wavefront6targetE1EvE4sortIPlS9_PS3_SA_ZN2at6native12_GLOBAL__N_124unique_dim_cuda_templateIN3c108BFloat16EEESt5tupleIJNSB_6TensorESI_SI_EERKSI_lbbbEUlllE_EEvjbT_T0_T1_T2_T3_RNS7_12storage_typeE, .Lfunc_end1115-_ZN7rocprim17ROCPRIM_400000_NS6detail15block_sort_implIlNS0_10empty_typeELj256ELj8ELNS0_4arch9wavefront6targetE1EvE4sortIPlS9_PS3_SA_ZN2at6native12_GLOBAL__N_124unique_dim_cuda_templateIN3c108BFloat16EEESt5tupleIJNSB_6TensorESI_SI_EERKSI_lbbbEUlllE_EEvjbT_T0_T1_T2_T3_RNS7_12storage_typeE
                                        ; -- End function
	.set .L_ZN7rocprim17ROCPRIM_400000_NS6detail15block_sort_implIlNS0_10empty_typeELj256ELj8ELNS0_4arch9wavefront6targetE1EvE4sortIPlS9_PS3_SA_ZN2at6native12_GLOBAL__N_124unique_dim_cuda_templateIN3c108BFloat16EEESt5tupleIJNSB_6TensorESI_SI_EERKSI_lbbbEUlllE_EEvjbT_T0_T1_T2_T3_RNS7_12storage_typeE.num_vgpr, 119
	.set .L_ZN7rocprim17ROCPRIM_400000_NS6detail15block_sort_implIlNS0_10empty_typeELj256ELj8ELNS0_4arch9wavefront6targetE1EvE4sortIPlS9_PS3_SA_ZN2at6native12_GLOBAL__N_124unique_dim_cuda_templateIN3c108BFloat16EEESt5tupleIJNSB_6TensorESI_SI_EERKSI_lbbbEUlllE_EEvjbT_T0_T1_T2_T3_RNS7_12storage_typeE.num_agpr, 0
	.set .L_ZN7rocprim17ROCPRIM_400000_NS6detail15block_sort_implIlNS0_10empty_typeELj256ELj8ELNS0_4arch9wavefront6targetE1EvE4sortIPlS9_PS3_SA_ZN2at6native12_GLOBAL__N_124unique_dim_cuda_templateIN3c108BFloat16EEESt5tupleIJNSB_6TensorESI_SI_EERKSI_lbbbEUlllE_EEvjbT_T0_T1_T2_T3_RNS7_12storage_typeE.numbered_sgpr, 96
	.set .L_ZN7rocprim17ROCPRIM_400000_NS6detail15block_sort_implIlNS0_10empty_typeELj256ELj8ELNS0_4arch9wavefront6targetE1EvE4sortIPlS9_PS3_SA_ZN2at6native12_GLOBAL__N_124unique_dim_cuda_templateIN3c108BFloat16EEESt5tupleIJNSB_6TensorESI_SI_EERKSI_lbbbEUlllE_EEvjbT_T0_T1_T2_T3_RNS7_12storage_typeE.num_named_barrier, 0
	.set .L_ZN7rocprim17ROCPRIM_400000_NS6detail15block_sort_implIlNS0_10empty_typeELj256ELj8ELNS0_4arch9wavefront6targetE1EvE4sortIPlS9_PS3_SA_ZN2at6native12_GLOBAL__N_124unique_dim_cuda_templateIN3c108BFloat16EEESt5tupleIJNSB_6TensorESI_SI_EERKSI_lbbbEUlllE_EEvjbT_T0_T1_T2_T3_RNS7_12storage_typeE.private_seg_size, 8
	.set .L_ZN7rocprim17ROCPRIM_400000_NS6detail15block_sort_implIlNS0_10empty_typeELj256ELj8ELNS0_4arch9wavefront6targetE1EvE4sortIPlS9_PS3_SA_ZN2at6native12_GLOBAL__N_124unique_dim_cuda_templateIN3c108BFloat16EEESt5tupleIJNSB_6TensorESI_SI_EERKSI_lbbbEUlllE_EEvjbT_T0_T1_T2_T3_RNS7_12storage_typeE.uses_vcc, 1
	.set .L_ZN7rocprim17ROCPRIM_400000_NS6detail15block_sort_implIlNS0_10empty_typeELj256ELj8ELNS0_4arch9wavefront6targetE1EvE4sortIPlS9_PS3_SA_ZN2at6native12_GLOBAL__N_124unique_dim_cuda_templateIN3c108BFloat16EEESt5tupleIJNSB_6TensorESI_SI_EERKSI_lbbbEUlllE_EEvjbT_T0_T1_T2_T3_RNS7_12storage_typeE.uses_flat_scratch, 0
	.set .L_ZN7rocprim17ROCPRIM_400000_NS6detail15block_sort_implIlNS0_10empty_typeELj256ELj8ELNS0_4arch9wavefront6targetE1EvE4sortIPlS9_PS3_SA_ZN2at6native12_GLOBAL__N_124unique_dim_cuda_templateIN3c108BFloat16EEESt5tupleIJNSB_6TensorESI_SI_EERKSI_lbbbEUlllE_EEvjbT_T0_T1_T2_T3_RNS7_12storage_typeE.has_dyn_sized_stack, 0
	.set .L_ZN7rocprim17ROCPRIM_400000_NS6detail15block_sort_implIlNS0_10empty_typeELj256ELj8ELNS0_4arch9wavefront6targetE1EvE4sortIPlS9_PS3_SA_ZN2at6native12_GLOBAL__N_124unique_dim_cuda_templateIN3c108BFloat16EEESt5tupleIJNSB_6TensorESI_SI_EERKSI_lbbbEUlllE_EEvjbT_T0_T1_T2_T3_RNS7_12storage_typeE.has_recursion, 0
	.set .L_ZN7rocprim17ROCPRIM_400000_NS6detail15block_sort_implIlNS0_10empty_typeELj256ELj8ELNS0_4arch9wavefront6targetE1EvE4sortIPlS9_PS3_SA_ZN2at6native12_GLOBAL__N_124unique_dim_cuda_templateIN3c108BFloat16EEESt5tupleIJNSB_6TensorESI_SI_EERKSI_lbbbEUlllE_EEvjbT_T0_T1_T2_T3_RNS7_12storage_typeE.has_indirect_call, 0
	.section	.AMDGPU.csdata,"",@progbits
; Function info:
; codeLenInByte = 63788
; TotalNumSgprs: 102
; NumVgprs: 119
; NumAgprs: 0
; TotalNumVgprs: 119
; ScratchSize: 8
; MemoryBound: 0
	.section	.text._ZN7rocprim17ROCPRIM_400000_NS6detail17trampoline_kernelINS0_14default_configENS1_37merge_sort_block_sort_config_selectorIlNS0_10empty_typeEEEZNS1_21merge_sort_block_sortIS3_PlS8_PS5_S9_ZN2at6native12_GLOBAL__N_124unique_dim_cuda_templateIN3c108BFloat16EEESt5tupleIJNSA_6TensorESH_SH_EERKSH_lbbbEUlllE_EE10hipError_tT0_T1_T2_T3_mRjT4_P12ihipStream_tbNS1_7vsmem_tEEUlT_E_NS1_11comp_targetILNS1_3genE0ELNS1_11target_archE4294967295ELNS1_3gpuE0ELNS1_3repE0EEENS1_30default_config_static_selectorELNS0_4arch9wavefront6targetE1EEEvSO_,"axG",@progbits,_ZN7rocprim17ROCPRIM_400000_NS6detail17trampoline_kernelINS0_14default_configENS1_37merge_sort_block_sort_config_selectorIlNS0_10empty_typeEEEZNS1_21merge_sort_block_sortIS3_PlS8_PS5_S9_ZN2at6native12_GLOBAL__N_124unique_dim_cuda_templateIN3c108BFloat16EEESt5tupleIJNSA_6TensorESH_SH_EERKSH_lbbbEUlllE_EE10hipError_tT0_T1_T2_T3_mRjT4_P12ihipStream_tbNS1_7vsmem_tEEUlT_E_NS1_11comp_targetILNS1_3genE0ELNS1_11target_archE4294967295ELNS1_3gpuE0ELNS1_3repE0EEENS1_30default_config_static_selectorELNS0_4arch9wavefront6targetE1EEEvSO_,comdat
	.globl	_ZN7rocprim17ROCPRIM_400000_NS6detail17trampoline_kernelINS0_14default_configENS1_37merge_sort_block_sort_config_selectorIlNS0_10empty_typeEEEZNS1_21merge_sort_block_sortIS3_PlS8_PS5_S9_ZN2at6native12_GLOBAL__N_124unique_dim_cuda_templateIN3c108BFloat16EEESt5tupleIJNSA_6TensorESH_SH_EERKSH_lbbbEUlllE_EE10hipError_tT0_T1_T2_T3_mRjT4_P12ihipStream_tbNS1_7vsmem_tEEUlT_E_NS1_11comp_targetILNS1_3genE0ELNS1_11target_archE4294967295ELNS1_3gpuE0ELNS1_3repE0EEENS1_30default_config_static_selectorELNS0_4arch9wavefront6targetE1EEEvSO_ ; -- Begin function _ZN7rocprim17ROCPRIM_400000_NS6detail17trampoline_kernelINS0_14default_configENS1_37merge_sort_block_sort_config_selectorIlNS0_10empty_typeEEEZNS1_21merge_sort_block_sortIS3_PlS8_PS5_S9_ZN2at6native12_GLOBAL__N_124unique_dim_cuda_templateIN3c108BFloat16EEESt5tupleIJNSA_6TensorESH_SH_EERKSH_lbbbEUlllE_EE10hipError_tT0_T1_T2_T3_mRjT4_P12ihipStream_tbNS1_7vsmem_tEEUlT_E_NS1_11comp_targetILNS1_3genE0ELNS1_11target_archE4294967295ELNS1_3gpuE0ELNS1_3repE0EEENS1_30default_config_static_selectorELNS0_4arch9wavefront6targetE1EEEvSO_
	.p2align	8
	.type	_ZN7rocprim17ROCPRIM_400000_NS6detail17trampoline_kernelINS0_14default_configENS1_37merge_sort_block_sort_config_selectorIlNS0_10empty_typeEEEZNS1_21merge_sort_block_sortIS3_PlS8_PS5_S9_ZN2at6native12_GLOBAL__N_124unique_dim_cuda_templateIN3c108BFloat16EEESt5tupleIJNSA_6TensorESH_SH_EERKSH_lbbbEUlllE_EE10hipError_tT0_T1_T2_T3_mRjT4_P12ihipStream_tbNS1_7vsmem_tEEUlT_E_NS1_11comp_targetILNS1_3genE0ELNS1_11target_archE4294967295ELNS1_3gpuE0ELNS1_3repE0EEENS1_30default_config_static_selectorELNS0_4arch9wavefront6targetE1EEEvSO_,@function
_ZN7rocprim17ROCPRIM_400000_NS6detail17trampoline_kernelINS0_14default_configENS1_37merge_sort_block_sort_config_selectorIlNS0_10empty_typeEEEZNS1_21merge_sort_block_sortIS3_PlS8_PS5_S9_ZN2at6native12_GLOBAL__N_124unique_dim_cuda_templateIN3c108BFloat16EEESt5tupleIJNSA_6TensorESH_SH_EERKSH_lbbbEUlllE_EE10hipError_tT0_T1_T2_T3_mRjT4_P12ihipStream_tbNS1_7vsmem_tEEUlT_E_NS1_11comp_targetILNS1_3genE0ELNS1_11target_archE4294967295ELNS1_3gpuE0ELNS1_3repE0EEENS1_30default_config_static_selectorELNS0_4arch9wavefront6targetE1EEEvSO_: ; @_ZN7rocprim17ROCPRIM_400000_NS6detail17trampoline_kernelINS0_14default_configENS1_37merge_sort_block_sort_config_selectorIlNS0_10empty_typeEEEZNS1_21merge_sort_block_sortIS3_PlS8_PS5_S9_ZN2at6native12_GLOBAL__N_124unique_dim_cuda_templateIN3c108BFloat16EEESt5tupleIJNSA_6TensorESH_SH_EERKSH_lbbbEUlllE_EE10hipError_tT0_T1_T2_T3_mRjT4_P12ihipStream_tbNS1_7vsmem_tEEUlT_E_NS1_11comp_targetILNS1_3genE0ELNS1_11target_archE4294967295ELNS1_3gpuE0ELNS1_3repE0EEENS1_30default_config_static_selectorELNS0_4arch9wavefront6targetE1EEEvSO_
; %bb.0:
	s_load_dwordx2 s[8:9], s[2:3], 0x48
	s_load_dword s7, s[2:3], 0x0
	s_mov_b32 s32, 0
	s_waitcnt lgkmcnt(0)
	s_mul_i32 s6, s9, s6
	s_add_i32 s6, s6, s5
	s_mul_i32 s6, s6, s8
	s_add_i32 s6, s6, s4
	s_cmp_ge_u32 s6, s7
	s_cbranch_scc1 .LBB1116_2
; %bb.1:
	s_load_dwordx4 s[8:11], s[2:3], 0x18
	s_load_dwordx2 s[12:13], s[2:3], 0x8
	s_load_dwordx4 s[16:19], s[2:3], 0x38
	s_mov_b32 s7, 0
	s_lshl_b64 s[20:21], s[6:7], 14
	s_waitcnt lgkmcnt(0)
	s_add_u32 s10, s10, s20
	s_mov_b64 s[14:15], src_shared_base
	s_addc_u32 s11, s11, s21
	s_add_u32 s14, s8, s20
	s_addc_u32 s20, s9, s21
	s_lshr_b64 s[8:9], s[12:13], 11
	s_cmp_eq_u64 s[8:9], s[6:7]
	s_cselect_b64 s[8:9], -1, 0
	s_lshl_b32 s6, s6, 11
	s_sub_i32 s21, s12, s6
	v_cndmask_b32_e64 v1, 0, 1, s[8:9]
	s_add_u32 s8, s2, 0x48
	s_addc_u32 s9, s3, 0
	s_getpc_b64 s[2:3]
	s_add_u32 s2, s2, _ZN7rocprim17ROCPRIM_400000_NS6detail15block_sort_implIlNS0_10empty_typeELj256ELj8ELNS0_4arch9wavefront6targetE1EvE4sortIPlS9_PS3_SA_ZN2at6native12_GLOBAL__N_124unique_dim_cuda_templateIN3c108BFloat16EEESt5tupleIJNSB_6TensorESI_SI_EERKSI_lbbbEUlllE_EEvjbT_T0_T1_T2_T3_RNS7_12storage_typeE@rel32@lo+4
	s_addc_u32 s3, s3, _ZN7rocprim17ROCPRIM_400000_NS6detail15block_sort_implIlNS0_10empty_typeELj256ELj8ELNS0_4arch9wavefront6targetE1EvE4sortIPlS9_PS3_SA_ZN2at6native12_GLOBAL__N_124unique_dim_cuda_templateIN3c108BFloat16EEESt5tupleIJNSB_6TensorESI_SI_EERKSI_lbbbEUlllE_EEvjbT_T0_T1_T2_T3_RNS7_12storage_typeE@rel32@hi+12
	s_mov_b64 s[6:7], s[0:1]
	s_mov_b32 s12, s4
	s_mov_b32 s13, s5
	v_mov_b32_e32 v31, v0
	v_mov_b32_e32 v0, s21
	v_mov_b32_e32 v2, s14
	v_mov_b32_e32 v3, s20
	v_mov_b32_e32 v4, s10
	v_mov_b32_e32 v5, s11
	v_mov_b32_e32 v6, s16
	v_mov_b32_e32 v7, s17
	v_mov_b32_e32 v8, s18
	v_mov_b32_e32 v9, s19
	v_mov_b32_e32 v10, 0
	v_mov_b32_e32 v11, s15
	s_swappc_b64 s[30:31], s[2:3]
.LBB1116_2:
	s_endpgm
	.section	.rodata,"a",@progbits
	.p2align	6, 0x0
	.amdhsa_kernel _ZN7rocprim17ROCPRIM_400000_NS6detail17trampoline_kernelINS0_14default_configENS1_37merge_sort_block_sort_config_selectorIlNS0_10empty_typeEEEZNS1_21merge_sort_block_sortIS3_PlS8_PS5_S9_ZN2at6native12_GLOBAL__N_124unique_dim_cuda_templateIN3c108BFloat16EEESt5tupleIJNSA_6TensorESH_SH_EERKSH_lbbbEUlllE_EE10hipError_tT0_T1_T2_T3_mRjT4_P12ihipStream_tbNS1_7vsmem_tEEUlT_E_NS1_11comp_targetILNS1_3genE0ELNS1_11target_archE4294967295ELNS1_3gpuE0ELNS1_3repE0EEENS1_30default_config_static_selectorELNS0_4arch9wavefront6targetE1EEEvSO_
		.amdhsa_group_segment_fixed_size 16896
		.amdhsa_private_segment_fixed_size 8
		.amdhsa_kernarg_size 328
		.amdhsa_user_sgpr_count 4
		.amdhsa_user_sgpr_dispatch_ptr 0
		.amdhsa_user_sgpr_queue_ptr 1
		.amdhsa_user_sgpr_kernarg_segment_ptr 1
		.amdhsa_user_sgpr_dispatch_id 0
		.amdhsa_user_sgpr_kernarg_preload_length 0
		.amdhsa_user_sgpr_kernarg_preload_offset 0
		.amdhsa_user_sgpr_private_segment_size 0
		.amdhsa_uses_dynamic_stack 0
		.amdhsa_enable_private_segment 1
		.amdhsa_system_sgpr_workgroup_id_x 1
		.amdhsa_system_sgpr_workgroup_id_y 1
		.amdhsa_system_sgpr_workgroup_id_z 1
		.amdhsa_system_sgpr_workgroup_info 0
		.amdhsa_system_vgpr_workitem_id 2
		.amdhsa_next_free_vgpr 119
		.amdhsa_next_free_sgpr 96
		.amdhsa_accum_offset 120
		.amdhsa_reserve_vcc 1
		.amdhsa_float_round_mode_32 0
		.amdhsa_float_round_mode_16_64 0
		.amdhsa_float_denorm_mode_32 3
		.amdhsa_float_denorm_mode_16_64 3
		.amdhsa_dx10_clamp 1
		.amdhsa_ieee_mode 1
		.amdhsa_fp16_overflow 0
		.amdhsa_tg_split 0
		.amdhsa_exception_fp_ieee_invalid_op 0
		.amdhsa_exception_fp_denorm_src 0
		.amdhsa_exception_fp_ieee_div_zero 0
		.amdhsa_exception_fp_ieee_overflow 0
		.amdhsa_exception_fp_ieee_underflow 0
		.amdhsa_exception_fp_ieee_inexact 0
		.amdhsa_exception_int_div_zero 0
	.end_amdhsa_kernel
	.section	.text._ZN7rocprim17ROCPRIM_400000_NS6detail17trampoline_kernelINS0_14default_configENS1_37merge_sort_block_sort_config_selectorIlNS0_10empty_typeEEEZNS1_21merge_sort_block_sortIS3_PlS8_PS5_S9_ZN2at6native12_GLOBAL__N_124unique_dim_cuda_templateIN3c108BFloat16EEESt5tupleIJNSA_6TensorESH_SH_EERKSH_lbbbEUlllE_EE10hipError_tT0_T1_T2_T3_mRjT4_P12ihipStream_tbNS1_7vsmem_tEEUlT_E_NS1_11comp_targetILNS1_3genE0ELNS1_11target_archE4294967295ELNS1_3gpuE0ELNS1_3repE0EEENS1_30default_config_static_selectorELNS0_4arch9wavefront6targetE1EEEvSO_,"axG",@progbits,_ZN7rocprim17ROCPRIM_400000_NS6detail17trampoline_kernelINS0_14default_configENS1_37merge_sort_block_sort_config_selectorIlNS0_10empty_typeEEEZNS1_21merge_sort_block_sortIS3_PlS8_PS5_S9_ZN2at6native12_GLOBAL__N_124unique_dim_cuda_templateIN3c108BFloat16EEESt5tupleIJNSA_6TensorESH_SH_EERKSH_lbbbEUlllE_EE10hipError_tT0_T1_T2_T3_mRjT4_P12ihipStream_tbNS1_7vsmem_tEEUlT_E_NS1_11comp_targetILNS1_3genE0ELNS1_11target_archE4294967295ELNS1_3gpuE0ELNS1_3repE0EEENS1_30default_config_static_selectorELNS0_4arch9wavefront6targetE1EEEvSO_,comdat
.Lfunc_end1116:
	.size	_ZN7rocprim17ROCPRIM_400000_NS6detail17trampoline_kernelINS0_14default_configENS1_37merge_sort_block_sort_config_selectorIlNS0_10empty_typeEEEZNS1_21merge_sort_block_sortIS3_PlS8_PS5_S9_ZN2at6native12_GLOBAL__N_124unique_dim_cuda_templateIN3c108BFloat16EEESt5tupleIJNSA_6TensorESH_SH_EERKSH_lbbbEUlllE_EE10hipError_tT0_T1_T2_T3_mRjT4_P12ihipStream_tbNS1_7vsmem_tEEUlT_E_NS1_11comp_targetILNS1_3genE0ELNS1_11target_archE4294967295ELNS1_3gpuE0ELNS1_3repE0EEENS1_30default_config_static_selectorELNS0_4arch9wavefront6targetE1EEEvSO_, .Lfunc_end1116-_ZN7rocprim17ROCPRIM_400000_NS6detail17trampoline_kernelINS0_14default_configENS1_37merge_sort_block_sort_config_selectorIlNS0_10empty_typeEEEZNS1_21merge_sort_block_sortIS3_PlS8_PS5_S9_ZN2at6native12_GLOBAL__N_124unique_dim_cuda_templateIN3c108BFloat16EEESt5tupleIJNSA_6TensorESH_SH_EERKSH_lbbbEUlllE_EE10hipError_tT0_T1_T2_T3_mRjT4_P12ihipStream_tbNS1_7vsmem_tEEUlT_E_NS1_11comp_targetILNS1_3genE0ELNS1_11target_archE4294967295ELNS1_3gpuE0ELNS1_3repE0EEENS1_30default_config_static_selectorELNS0_4arch9wavefront6targetE1EEEvSO_
                                        ; -- End function
	.set _ZN7rocprim17ROCPRIM_400000_NS6detail17trampoline_kernelINS0_14default_configENS1_37merge_sort_block_sort_config_selectorIlNS0_10empty_typeEEEZNS1_21merge_sort_block_sortIS3_PlS8_PS5_S9_ZN2at6native12_GLOBAL__N_124unique_dim_cuda_templateIN3c108BFloat16EEESt5tupleIJNSA_6TensorESH_SH_EERKSH_lbbbEUlllE_EE10hipError_tT0_T1_T2_T3_mRjT4_P12ihipStream_tbNS1_7vsmem_tEEUlT_E_NS1_11comp_targetILNS1_3genE0ELNS1_11target_archE4294967295ELNS1_3gpuE0ELNS1_3repE0EEENS1_30default_config_static_selectorELNS0_4arch9wavefront6targetE1EEEvSO_.num_vgpr, max(32, .L_ZN7rocprim17ROCPRIM_400000_NS6detail15block_sort_implIlNS0_10empty_typeELj256ELj8ELNS0_4arch9wavefront6targetE1EvE4sortIPlS9_PS3_SA_ZN2at6native12_GLOBAL__N_124unique_dim_cuda_templateIN3c108BFloat16EEESt5tupleIJNSB_6TensorESI_SI_EERKSI_lbbbEUlllE_EEvjbT_T0_T1_T2_T3_RNS7_12storage_typeE.num_vgpr)
	.set _ZN7rocprim17ROCPRIM_400000_NS6detail17trampoline_kernelINS0_14default_configENS1_37merge_sort_block_sort_config_selectorIlNS0_10empty_typeEEEZNS1_21merge_sort_block_sortIS3_PlS8_PS5_S9_ZN2at6native12_GLOBAL__N_124unique_dim_cuda_templateIN3c108BFloat16EEESt5tupleIJNSA_6TensorESH_SH_EERKSH_lbbbEUlllE_EE10hipError_tT0_T1_T2_T3_mRjT4_P12ihipStream_tbNS1_7vsmem_tEEUlT_E_NS1_11comp_targetILNS1_3genE0ELNS1_11target_archE4294967295ELNS1_3gpuE0ELNS1_3repE0EEENS1_30default_config_static_selectorELNS0_4arch9wavefront6targetE1EEEvSO_.num_agpr, max(0, .L_ZN7rocprim17ROCPRIM_400000_NS6detail15block_sort_implIlNS0_10empty_typeELj256ELj8ELNS0_4arch9wavefront6targetE1EvE4sortIPlS9_PS3_SA_ZN2at6native12_GLOBAL__N_124unique_dim_cuda_templateIN3c108BFloat16EEESt5tupleIJNSB_6TensorESI_SI_EERKSI_lbbbEUlllE_EEvjbT_T0_T1_T2_T3_RNS7_12storage_typeE.num_agpr)
	.set _ZN7rocprim17ROCPRIM_400000_NS6detail17trampoline_kernelINS0_14default_configENS1_37merge_sort_block_sort_config_selectorIlNS0_10empty_typeEEEZNS1_21merge_sort_block_sortIS3_PlS8_PS5_S9_ZN2at6native12_GLOBAL__N_124unique_dim_cuda_templateIN3c108BFloat16EEESt5tupleIJNSA_6TensorESH_SH_EERKSH_lbbbEUlllE_EE10hipError_tT0_T1_T2_T3_mRjT4_P12ihipStream_tbNS1_7vsmem_tEEUlT_E_NS1_11comp_targetILNS1_3genE0ELNS1_11target_archE4294967295ELNS1_3gpuE0ELNS1_3repE0EEENS1_30default_config_static_selectorELNS0_4arch9wavefront6targetE1EEEvSO_.numbered_sgpr, max(33, .L_ZN7rocprim17ROCPRIM_400000_NS6detail15block_sort_implIlNS0_10empty_typeELj256ELj8ELNS0_4arch9wavefront6targetE1EvE4sortIPlS9_PS3_SA_ZN2at6native12_GLOBAL__N_124unique_dim_cuda_templateIN3c108BFloat16EEESt5tupleIJNSB_6TensorESI_SI_EERKSI_lbbbEUlllE_EEvjbT_T0_T1_T2_T3_RNS7_12storage_typeE.numbered_sgpr)
	.set _ZN7rocprim17ROCPRIM_400000_NS6detail17trampoline_kernelINS0_14default_configENS1_37merge_sort_block_sort_config_selectorIlNS0_10empty_typeEEEZNS1_21merge_sort_block_sortIS3_PlS8_PS5_S9_ZN2at6native12_GLOBAL__N_124unique_dim_cuda_templateIN3c108BFloat16EEESt5tupleIJNSA_6TensorESH_SH_EERKSH_lbbbEUlllE_EE10hipError_tT0_T1_T2_T3_mRjT4_P12ihipStream_tbNS1_7vsmem_tEEUlT_E_NS1_11comp_targetILNS1_3genE0ELNS1_11target_archE4294967295ELNS1_3gpuE0ELNS1_3repE0EEENS1_30default_config_static_selectorELNS0_4arch9wavefront6targetE1EEEvSO_.num_named_barrier, max(0, .L_ZN7rocprim17ROCPRIM_400000_NS6detail15block_sort_implIlNS0_10empty_typeELj256ELj8ELNS0_4arch9wavefront6targetE1EvE4sortIPlS9_PS3_SA_ZN2at6native12_GLOBAL__N_124unique_dim_cuda_templateIN3c108BFloat16EEESt5tupleIJNSB_6TensorESI_SI_EERKSI_lbbbEUlllE_EEvjbT_T0_T1_T2_T3_RNS7_12storage_typeE.num_named_barrier)
	.set _ZN7rocprim17ROCPRIM_400000_NS6detail17trampoline_kernelINS0_14default_configENS1_37merge_sort_block_sort_config_selectorIlNS0_10empty_typeEEEZNS1_21merge_sort_block_sortIS3_PlS8_PS5_S9_ZN2at6native12_GLOBAL__N_124unique_dim_cuda_templateIN3c108BFloat16EEESt5tupleIJNSA_6TensorESH_SH_EERKSH_lbbbEUlllE_EE10hipError_tT0_T1_T2_T3_mRjT4_P12ihipStream_tbNS1_7vsmem_tEEUlT_E_NS1_11comp_targetILNS1_3genE0ELNS1_11target_archE4294967295ELNS1_3gpuE0ELNS1_3repE0EEENS1_30default_config_static_selectorELNS0_4arch9wavefront6targetE1EEEvSO_.private_seg_size, 0+max(.L_ZN7rocprim17ROCPRIM_400000_NS6detail15block_sort_implIlNS0_10empty_typeELj256ELj8ELNS0_4arch9wavefront6targetE1EvE4sortIPlS9_PS3_SA_ZN2at6native12_GLOBAL__N_124unique_dim_cuda_templateIN3c108BFloat16EEESt5tupleIJNSB_6TensorESI_SI_EERKSI_lbbbEUlllE_EEvjbT_T0_T1_T2_T3_RNS7_12storage_typeE.private_seg_size)
	.set _ZN7rocprim17ROCPRIM_400000_NS6detail17trampoline_kernelINS0_14default_configENS1_37merge_sort_block_sort_config_selectorIlNS0_10empty_typeEEEZNS1_21merge_sort_block_sortIS3_PlS8_PS5_S9_ZN2at6native12_GLOBAL__N_124unique_dim_cuda_templateIN3c108BFloat16EEESt5tupleIJNSA_6TensorESH_SH_EERKSH_lbbbEUlllE_EE10hipError_tT0_T1_T2_T3_mRjT4_P12ihipStream_tbNS1_7vsmem_tEEUlT_E_NS1_11comp_targetILNS1_3genE0ELNS1_11target_archE4294967295ELNS1_3gpuE0ELNS1_3repE0EEENS1_30default_config_static_selectorELNS0_4arch9wavefront6targetE1EEEvSO_.uses_vcc, or(1, .L_ZN7rocprim17ROCPRIM_400000_NS6detail15block_sort_implIlNS0_10empty_typeELj256ELj8ELNS0_4arch9wavefront6targetE1EvE4sortIPlS9_PS3_SA_ZN2at6native12_GLOBAL__N_124unique_dim_cuda_templateIN3c108BFloat16EEESt5tupleIJNSB_6TensorESI_SI_EERKSI_lbbbEUlllE_EEvjbT_T0_T1_T2_T3_RNS7_12storage_typeE.uses_vcc)
	.set _ZN7rocprim17ROCPRIM_400000_NS6detail17trampoline_kernelINS0_14default_configENS1_37merge_sort_block_sort_config_selectorIlNS0_10empty_typeEEEZNS1_21merge_sort_block_sortIS3_PlS8_PS5_S9_ZN2at6native12_GLOBAL__N_124unique_dim_cuda_templateIN3c108BFloat16EEESt5tupleIJNSA_6TensorESH_SH_EERKSH_lbbbEUlllE_EE10hipError_tT0_T1_T2_T3_mRjT4_P12ihipStream_tbNS1_7vsmem_tEEUlT_E_NS1_11comp_targetILNS1_3genE0ELNS1_11target_archE4294967295ELNS1_3gpuE0ELNS1_3repE0EEENS1_30default_config_static_selectorELNS0_4arch9wavefront6targetE1EEEvSO_.uses_flat_scratch, or(0, .L_ZN7rocprim17ROCPRIM_400000_NS6detail15block_sort_implIlNS0_10empty_typeELj256ELj8ELNS0_4arch9wavefront6targetE1EvE4sortIPlS9_PS3_SA_ZN2at6native12_GLOBAL__N_124unique_dim_cuda_templateIN3c108BFloat16EEESt5tupleIJNSB_6TensorESI_SI_EERKSI_lbbbEUlllE_EEvjbT_T0_T1_T2_T3_RNS7_12storage_typeE.uses_flat_scratch)
	.set _ZN7rocprim17ROCPRIM_400000_NS6detail17trampoline_kernelINS0_14default_configENS1_37merge_sort_block_sort_config_selectorIlNS0_10empty_typeEEEZNS1_21merge_sort_block_sortIS3_PlS8_PS5_S9_ZN2at6native12_GLOBAL__N_124unique_dim_cuda_templateIN3c108BFloat16EEESt5tupleIJNSA_6TensorESH_SH_EERKSH_lbbbEUlllE_EE10hipError_tT0_T1_T2_T3_mRjT4_P12ihipStream_tbNS1_7vsmem_tEEUlT_E_NS1_11comp_targetILNS1_3genE0ELNS1_11target_archE4294967295ELNS1_3gpuE0ELNS1_3repE0EEENS1_30default_config_static_selectorELNS0_4arch9wavefront6targetE1EEEvSO_.has_dyn_sized_stack, or(0, .L_ZN7rocprim17ROCPRIM_400000_NS6detail15block_sort_implIlNS0_10empty_typeELj256ELj8ELNS0_4arch9wavefront6targetE1EvE4sortIPlS9_PS3_SA_ZN2at6native12_GLOBAL__N_124unique_dim_cuda_templateIN3c108BFloat16EEESt5tupleIJNSB_6TensorESI_SI_EERKSI_lbbbEUlllE_EEvjbT_T0_T1_T2_T3_RNS7_12storage_typeE.has_dyn_sized_stack)
	.set _ZN7rocprim17ROCPRIM_400000_NS6detail17trampoline_kernelINS0_14default_configENS1_37merge_sort_block_sort_config_selectorIlNS0_10empty_typeEEEZNS1_21merge_sort_block_sortIS3_PlS8_PS5_S9_ZN2at6native12_GLOBAL__N_124unique_dim_cuda_templateIN3c108BFloat16EEESt5tupleIJNSA_6TensorESH_SH_EERKSH_lbbbEUlllE_EE10hipError_tT0_T1_T2_T3_mRjT4_P12ihipStream_tbNS1_7vsmem_tEEUlT_E_NS1_11comp_targetILNS1_3genE0ELNS1_11target_archE4294967295ELNS1_3gpuE0ELNS1_3repE0EEENS1_30default_config_static_selectorELNS0_4arch9wavefront6targetE1EEEvSO_.has_recursion, or(0, .L_ZN7rocprim17ROCPRIM_400000_NS6detail15block_sort_implIlNS0_10empty_typeELj256ELj8ELNS0_4arch9wavefront6targetE1EvE4sortIPlS9_PS3_SA_ZN2at6native12_GLOBAL__N_124unique_dim_cuda_templateIN3c108BFloat16EEESt5tupleIJNSB_6TensorESI_SI_EERKSI_lbbbEUlllE_EEvjbT_T0_T1_T2_T3_RNS7_12storage_typeE.has_recursion)
	.set _ZN7rocprim17ROCPRIM_400000_NS6detail17trampoline_kernelINS0_14default_configENS1_37merge_sort_block_sort_config_selectorIlNS0_10empty_typeEEEZNS1_21merge_sort_block_sortIS3_PlS8_PS5_S9_ZN2at6native12_GLOBAL__N_124unique_dim_cuda_templateIN3c108BFloat16EEESt5tupleIJNSA_6TensorESH_SH_EERKSH_lbbbEUlllE_EE10hipError_tT0_T1_T2_T3_mRjT4_P12ihipStream_tbNS1_7vsmem_tEEUlT_E_NS1_11comp_targetILNS1_3genE0ELNS1_11target_archE4294967295ELNS1_3gpuE0ELNS1_3repE0EEENS1_30default_config_static_selectorELNS0_4arch9wavefront6targetE1EEEvSO_.has_indirect_call, or(0, .L_ZN7rocprim17ROCPRIM_400000_NS6detail15block_sort_implIlNS0_10empty_typeELj256ELj8ELNS0_4arch9wavefront6targetE1EvE4sortIPlS9_PS3_SA_ZN2at6native12_GLOBAL__N_124unique_dim_cuda_templateIN3c108BFloat16EEESt5tupleIJNSB_6TensorESI_SI_EERKSI_lbbbEUlllE_EEvjbT_T0_T1_T2_T3_RNS7_12storage_typeE.has_indirect_call)
	.section	.AMDGPU.csdata,"",@progbits
; Kernel info:
; codeLenInByte = 232
; TotalNumSgprs: 102
; NumVgprs: 119
; NumAgprs: 0
; TotalNumVgprs: 119
; ScratchSize: 8
; MemoryBound: 0
; FloatMode: 240
; IeeeMode: 1
; LDSByteSize: 16896 bytes/workgroup (compile time only)
; SGPRBlocks: 12
; VGPRBlocks: 14
; NumSGPRsForWavesPerEU: 102
; NumVGPRsForWavesPerEU: 119
; AccumOffset: 120
; Occupancy: 4
; WaveLimiterHint : 1
; COMPUTE_PGM_RSRC2:SCRATCH_EN: 1
; COMPUTE_PGM_RSRC2:USER_SGPR: 4
; COMPUTE_PGM_RSRC2:TRAP_HANDLER: 0
; COMPUTE_PGM_RSRC2:TGID_X_EN: 1
; COMPUTE_PGM_RSRC2:TGID_Y_EN: 1
; COMPUTE_PGM_RSRC2:TGID_Z_EN: 1
; COMPUTE_PGM_RSRC2:TIDIG_COMP_CNT: 2
; COMPUTE_PGM_RSRC3_GFX90A:ACCUM_OFFSET: 29
; COMPUTE_PGM_RSRC3_GFX90A:TG_SPLIT: 0
	.section	.text._ZN7rocprim17ROCPRIM_400000_NS6detail17trampoline_kernelINS0_14default_configENS1_37merge_sort_block_sort_config_selectorIlNS0_10empty_typeEEEZNS1_21merge_sort_block_sortIS3_PlS8_PS5_S9_ZN2at6native12_GLOBAL__N_124unique_dim_cuda_templateIN3c108BFloat16EEESt5tupleIJNSA_6TensorESH_SH_EERKSH_lbbbEUlllE_EE10hipError_tT0_T1_T2_T3_mRjT4_P12ihipStream_tbNS1_7vsmem_tEEUlT_E_NS1_11comp_targetILNS1_3genE5ELNS1_11target_archE942ELNS1_3gpuE9ELNS1_3repE0EEENS1_30default_config_static_selectorELNS0_4arch9wavefront6targetE1EEEvSO_,"axG",@progbits,_ZN7rocprim17ROCPRIM_400000_NS6detail17trampoline_kernelINS0_14default_configENS1_37merge_sort_block_sort_config_selectorIlNS0_10empty_typeEEEZNS1_21merge_sort_block_sortIS3_PlS8_PS5_S9_ZN2at6native12_GLOBAL__N_124unique_dim_cuda_templateIN3c108BFloat16EEESt5tupleIJNSA_6TensorESH_SH_EERKSH_lbbbEUlllE_EE10hipError_tT0_T1_T2_T3_mRjT4_P12ihipStream_tbNS1_7vsmem_tEEUlT_E_NS1_11comp_targetILNS1_3genE5ELNS1_11target_archE942ELNS1_3gpuE9ELNS1_3repE0EEENS1_30default_config_static_selectorELNS0_4arch9wavefront6targetE1EEEvSO_,comdat
	.globl	_ZN7rocprim17ROCPRIM_400000_NS6detail17trampoline_kernelINS0_14default_configENS1_37merge_sort_block_sort_config_selectorIlNS0_10empty_typeEEEZNS1_21merge_sort_block_sortIS3_PlS8_PS5_S9_ZN2at6native12_GLOBAL__N_124unique_dim_cuda_templateIN3c108BFloat16EEESt5tupleIJNSA_6TensorESH_SH_EERKSH_lbbbEUlllE_EE10hipError_tT0_T1_T2_T3_mRjT4_P12ihipStream_tbNS1_7vsmem_tEEUlT_E_NS1_11comp_targetILNS1_3genE5ELNS1_11target_archE942ELNS1_3gpuE9ELNS1_3repE0EEENS1_30default_config_static_selectorELNS0_4arch9wavefront6targetE1EEEvSO_ ; -- Begin function _ZN7rocprim17ROCPRIM_400000_NS6detail17trampoline_kernelINS0_14default_configENS1_37merge_sort_block_sort_config_selectorIlNS0_10empty_typeEEEZNS1_21merge_sort_block_sortIS3_PlS8_PS5_S9_ZN2at6native12_GLOBAL__N_124unique_dim_cuda_templateIN3c108BFloat16EEESt5tupleIJNSA_6TensorESH_SH_EERKSH_lbbbEUlllE_EE10hipError_tT0_T1_T2_T3_mRjT4_P12ihipStream_tbNS1_7vsmem_tEEUlT_E_NS1_11comp_targetILNS1_3genE5ELNS1_11target_archE942ELNS1_3gpuE9ELNS1_3repE0EEENS1_30default_config_static_selectorELNS0_4arch9wavefront6targetE1EEEvSO_
	.p2align	8
	.type	_ZN7rocprim17ROCPRIM_400000_NS6detail17trampoline_kernelINS0_14default_configENS1_37merge_sort_block_sort_config_selectorIlNS0_10empty_typeEEEZNS1_21merge_sort_block_sortIS3_PlS8_PS5_S9_ZN2at6native12_GLOBAL__N_124unique_dim_cuda_templateIN3c108BFloat16EEESt5tupleIJNSA_6TensorESH_SH_EERKSH_lbbbEUlllE_EE10hipError_tT0_T1_T2_T3_mRjT4_P12ihipStream_tbNS1_7vsmem_tEEUlT_E_NS1_11comp_targetILNS1_3genE5ELNS1_11target_archE942ELNS1_3gpuE9ELNS1_3repE0EEENS1_30default_config_static_selectorELNS0_4arch9wavefront6targetE1EEEvSO_,@function
_ZN7rocprim17ROCPRIM_400000_NS6detail17trampoline_kernelINS0_14default_configENS1_37merge_sort_block_sort_config_selectorIlNS0_10empty_typeEEEZNS1_21merge_sort_block_sortIS3_PlS8_PS5_S9_ZN2at6native12_GLOBAL__N_124unique_dim_cuda_templateIN3c108BFloat16EEESt5tupleIJNSA_6TensorESH_SH_EERKSH_lbbbEUlllE_EE10hipError_tT0_T1_T2_T3_mRjT4_P12ihipStream_tbNS1_7vsmem_tEEUlT_E_NS1_11comp_targetILNS1_3genE5ELNS1_11target_archE942ELNS1_3gpuE9ELNS1_3repE0EEENS1_30default_config_static_selectorELNS0_4arch9wavefront6targetE1EEEvSO_: ; @_ZN7rocprim17ROCPRIM_400000_NS6detail17trampoline_kernelINS0_14default_configENS1_37merge_sort_block_sort_config_selectorIlNS0_10empty_typeEEEZNS1_21merge_sort_block_sortIS3_PlS8_PS5_S9_ZN2at6native12_GLOBAL__N_124unique_dim_cuda_templateIN3c108BFloat16EEESt5tupleIJNSA_6TensorESH_SH_EERKSH_lbbbEUlllE_EE10hipError_tT0_T1_T2_T3_mRjT4_P12ihipStream_tbNS1_7vsmem_tEEUlT_E_NS1_11comp_targetILNS1_3genE5ELNS1_11target_archE942ELNS1_3gpuE9ELNS1_3repE0EEENS1_30default_config_static_selectorELNS0_4arch9wavefront6targetE1EEEvSO_
; %bb.0:
	.section	.rodata,"a",@progbits
	.p2align	6, 0x0
	.amdhsa_kernel _ZN7rocprim17ROCPRIM_400000_NS6detail17trampoline_kernelINS0_14default_configENS1_37merge_sort_block_sort_config_selectorIlNS0_10empty_typeEEEZNS1_21merge_sort_block_sortIS3_PlS8_PS5_S9_ZN2at6native12_GLOBAL__N_124unique_dim_cuda_templateIN3c108BFloat16EEESt5tupleIJNSA_6TensorESH_SH_EERKSH_lbbbEUlllE_EE10hipError_tT0_T1_T2_T3_mRjT4_P12ihipStream_tbNS1_7vsmem_tEEUlT_E_NS1_11comp_targetILNS1_3genE5ELNS1_11target_archE942ELNS1_3gpuE9ELNS1_3repE0EEENS1_30default_config_static_selectorELNS0_4arch9wavefront6targetE1EEEvSO_
		.amdhsa_group_segment_fixed_size 0
		.amdhsa_private_segment_fixed_size 0
		.amdhsa_kernarg_size 72
		.amdhsa_user_sgpr_count 2
		.amdhsa_user_sgpr_dispatch_ptr 0
		.amdhsa_user_sgpr_queue_ptr 0
		.amdhsa_user_sgpr_kernarg_segment_ptr 1
		.amdhsa_user_sgpr_dispatch_id 0
		.amdhsa_user_sgpr_kernarg_preload_length 0
		.amdhsa_user_sgpr_kernarg_preload_offset 0
		.amdhsa_user_sgpr_private_segment_size 0
		.amdhsa_uses_dynamic_stack 0
		.amdhsa_enable_private_segment 0
		.amdhsa_system_sgpr_workgroup_id_x 1
		.amdhsa_system_sgpr_workgroup_id_y 0
		.amdhsa_system_sgpr_workgroup_id_z 0
		.amdhsa_system_sgpr_workgroup_info 0
		.amdhsa_system_vgpr_workitem_id 0
		.amdhsa_next_free_vgpr 1
		.amdhsa_next_free_sgpr 0
		.amdhsa_accum_offset 4
		.amdhsa_reserve_vcc 0
		.amdhsa_float_round_mode_32 0
		.amdhsa_float_round_mode_16_64 0
		.amdhsa_float_denorm_mode_32 3
		.amdhsa_float_denorm_mode_16_64 3
		.amdhsa_dx10_clamp 1
		.amdhsa_ieee_mode 1
		.amdhsa_fp16_overflow 0
		.amdhsa_tg_split 0
		.amdhsa_exception_fp_ieee_invalid_op 0
		.amdhsa_exception_fp_denorm_src 0
		.amdhsa_exception_fp_ieee_div_zero 0
		.amdhsa_exception_fp_ieee_overflow 0
		.amdhsa_exception_fp_ieee_underflow 0
		.amdhsa_exception_fp_ieee_inexact 0
		.amdhsa_exception_int_div_zero 0
	.end_amdhsa_kernel
	.section	.text._ZN7rocprim17ROCPRIM_400000_NS6detail17trampoline_kernelINS0_14default_configENS1_37merge_sort_block_sort_config_selectorIlNS0_10empty_typeEEEZNS1_21merge_sort_block_sortIS3_PlS8_PS5_S9_ZN2at6native12_GLOBAL__N_124unique_dim_cuda_templateIN3c108BFloat16EEESt5tupleIJNSA_6TensorESH_SH_EERKSH_lbbbEUlllE_EE10hipError_tT0_T1_T2_T3_mRjT4_P12ihipStream_tbNS1_7vsmem_tEEUlT_E_NS1_11comp_targetILNS1_3genE5ELNS1_11target_archE942ELNS1_3gpuE9ELNS1_3repE0EEENS1_30default_config_static_selectorELNS0_4arch9wavefront6targetE1EEEvSO_,"axG",@progbits,_ZN7rocprim17ROCPRIM_400000_NS6detail17trampoline_kernelINS0_14default_configENS1_37merge_sort_block_sort_config_selectorIlNS0_10empty_typeEEEZNS1_21merge_sort_block_sortIS3_PlS8_PS5_S9_ZN2at6native12_GLOBAL__N_124unique_dim_cuda_templateIN3c108BFloat16EEESt5tupleIJNSA_6TensorESH_SH_EERKSH_lbbbEUlllE_EE10hipError_tT0_T1_T2_T3_mRjT4_P12ihipStream_tbNS1_7vsmem_tEEUlT_E_NS1_11comp_targetILNS1_3genE5ELNS1_11target_archE942ELNS1_3gpuE9ELNS1_3repE0EEENS1_30default_config_static_selectorELNS0_4arch9wavefront6targetE1EEEvSO_,comdat
.Lfunc_end1117:
	.size	_ZN7rocprim17ROCPRIM_400000_NS6detail17trampoline_kernelINS0_14default_configENS1_37merge_sort_block_sort_config_selectorIlNS0_10empty_typeEEEZNS1_21merge_sort_block_sortIS3_PlS8_PS5_S9_ZN2at6native12_GLOBAL__N_124unique_dim_cuda_templateIN3c108BFloat16EEESt5tupleIJNSA_6TensorESH_SH_EERKSH_lbbbEUlllE_EE10hipError_tT0_T1_T2_T3_mRjT4_P12ihipStream_tbNS1_7vsmem_tEEUlT_E_NS1_11comp_targetILNS1_3genE5ELNS1_11target_archE942ELNS1_3gpuE9ELNS1_3repE0EEENS1_30default_config_static_selectorELNS0_4arch9wavefront6targetE1EEEvSO_, .Lfunc_end1117-_ZN7rocprim17ROCPRIM_400000_NS6detail17trampoline_kernelINS0_14default_configENS1_37merge_sort_block_sort_config_selectorIlNS0_10empty_typeEEEZNS1_21merge_sort_block_sortIS3_PlS8_PS5_S9_ZN2at6native12_GLOBAL__N_124unique_dim_cuda_templateIN3c108BFloat16EEESt5tupleIJNSA_6TensorESH_SH_EERKSH_lbbbEUlllE_EE10hipError_tT0_T1_T2_T3_mRjT4_P12ihipStream_tbNS1_7vsmem_tEEUlT_E_NS1_11comp_targetILNS1_3genE5ELNS1_11target_archE942ELNS1_3gpuE9ELNS1_3repE0EEENS1_30default_config_static_selectorELNS0_4arch9wavefront6targetE1EEEvSO_
                                        ; -- End function
	.set _ZN7rocprim17ROCPRIM_400000_NS6detail17trampoline_kernelINS0_14default_configENS1_37merge_sort_block_sort_config_selectorIlNS0_10empty_typeEEEZNS1_21merge_sort_block_sortIS3_PlS8_PS5_S9_ZN2at6native12_GLOBAL__N_124unique_dim_cuda_templateIN3c108BFloat16EEESt5tupleIJNSA_6TensorESH_SH_EERKSH_lbbbEUlllE_EE10hipError_tT0_T1_T2_T3_mRjT4_P12ihipStream_tbNS1_7vsmem_tEEUlT_E_NS1_11comp_targetILNS1_3genE5ELNS1_11target_archE942ELNS1_3gpuE9ELNS1_3repE0EEENS1_30default_config_static_selectorELNS0_4arch9wavefront6targetE1EEEvSO_.num_vgpr, 0
	.set _ZN7rocprim17ROCPRIM_400000_NS6detail17trampoline_kernelINS0_14default_configENS1_37merge_sort_block_sort_config_selectorIlNS0_10empty_typeEEEZNS1_21merge_sort_block_sortIS3_PlS8_PS5_S9_ZN2at6native12_GLOBAL__N_124unique_dim_cuda_templateIN3c108BFloat16EEESt5tupleIJNSA_6TensorESH_SH_EERKSH_lbbbEUlllE_EE10hipError_tT0_T1_T2_T3_mRjT4_P12ihipStream_tbNS1_7vsmem_tEEUlT_E_NS1_11comp_targetILNS1_3genE5ELNS1_11target_archE942ELNS1_3gpuE9ELNS1_3repE0EEENS1_30default_config_static_selectorELNS0_4arch9wavefront6targetE1EEEvSO_.num_agpr, 0
	.set _ZN7rocprim17ROCPRIM_400000_NS6detail17trampoline_kernelINS0_14default_configENS1_37merge_sort_block_sort_config_selectorIlNS0_10empty_typeEEEZNS1_21merge_sort_block_sortIS3_PlS8_PS5_S9_ZN2at6native12_GLOBAL__N_124unique_dim_cuda_templateIN3c108BFloat16EEESt5tupleIJNSA_6TensorESH_SH_EERKSH_lbbbEUlllE_EE10hipError_tT0_T1_T2_T3_mRjT4_P12ihipStream_tbNS1_7vsmem_tEEUlT_E_NS1_11comp_targetILNS1_3genE5ELNS1_11target_archE942ELNS1_3gpuE9ELNS1_3repE0EEENS1_30default_config_static_selectorELNS0_4arch9wavefront6targetE1EEEvSO_.numbered_sgpr, 0
	.set _ZN7rocprim17ROCPRIM_400000_NS6detail17trampoline_kernelINS0_14default_configENS1_37merge_sort_block_sort_config_selectorIlNS0_10empty_typeEEEZNS1_21merge_sort_block_sortIS3_PlS8_PS5_S9_ZN2at6native12_GLOBAL__N_124unique_dim_cuda_templateIN3c108BFloat16EEESt5tupleIJNSA_6TensorESH_SH_EERKSH_lbbbEUlllE_EE10hipError_tT0_T1_T2_T3_mRjT4_P12ihipStream_tbNS1_7vsmem_tEEUlT_E_NS1_11comp_targetILNS1_3genE5ELNS1_11target_archE942ELNS1_3gpuE9ELNS1_3repE0EEENS1_30default_config_static_selectorELNS0_4arch9wavefront6targetE1EEEvSO_.num_named_barrier, 0
	.set _ZN7rocprim17ROCPRIM_400000_NS6detail17trampoline_kernelINS0_14default_configENS1_37merge_sort_block_sort_config_selectorIlNS0_10empty_typeEEEZNS1_21merge_sort_block_sortIS3_PlS8_PS5_S9_ZN2at6native12_GLOBAL__N_124unique_dim_cuda_templateIN3c108BFloat16EEESt5tupleIJNSA_6TensorESH_SH_EERKSH_lbbbEUlllE_EE10hipError_tT0_T1_T2_T3_mRjT4_P12ihipStream_tbNS1_7vsmem_tEEUlT_E_NS1_11comp_targetILNS1_3genE5ELNS1_11target_archE942ELNS1_3gpuE9ELNS1_3repE0EEENS1_30default_config_static_selectorELNS0_4arch9wavefront6targetE1EEEvSO_.private_seg_size, 0
	.set _ZN7rocprim17ROCPRIM_400000_NS6detail17trampoline_kernelINS0_14default_configENS1_37merge_sort_block_sort_config_selectorIlNS0_10empty_typeEEEZNS1_21merge_sort_block_sortIS3_PlS8_PS5_S9_ZN2at6native12_GLOBAL__N_124unique_dim_cuda_templateIN3c108BFloat16EEESt5tupleIJNSA_6TensorESH_SH_EERKSH_lbbbEUlllE_EE10hipError_tT0_T1_T2_T3_mRjT4_P12ihipStream_tbNS1_7vsmem_tEEUlT_E_NS1_11comp_targetILNS1_3genE5ELNS1_11target_archE942ELNS1_3gpuE9ELNS1_3repE0EEENS1_30default_config_static_selectorELNS0_4arch9wavefront6targetE1EEEvSO_.uses_vcc, 0
	.set _ZN7rocprim17ROCPRIM_400000_NS6detail17trampoline_kernelINS0_14default_configENS1_37merge_sort_block_sort_config_selectorIlNS0_10empty_typeEEEZNS1_21merge_sort_block_sortIS3_PlS8_PS5_S9_ZN2at6native12_GLOBAL__N_124unique_dim_cuda_templateIN3c108BFloat16EEESt5tupleIJNSA_6TensorESH_SH_EERKSH_lbbbEUlllE_EE10hipError_tT0_T1_T2_T3_mRjT4_P12ihipStream_tbNS1_7vsmem_tEEUlT_E_NS1_11comp_targetILNS1_3genE5ELNS1_11target_archE942ELNS1_3gpuE9ELNS1_3repE0EEENS1_30default_config_static_selectorELNS0_4arch9wavefront6targetE1EEEvSO_.uses_flat_scratch, 0
	.set _ZN7rocprim17ROCPRIM_400000_NS6detail17trampoline_kernelINS0_14default_configENS1_37merge_sort_block_sort_config_selectorIlNS0_10empty_typeEEEZNS1_21merge_sort_block_sortIS3_PlS8_PS5_S9_ZN2at6native12_GLOBAL__N_124unique_dim_cuda_templateIN3c108BFloat16EEESt5tupleIJNSA_6TensorESH_SH_EERKSH_lbbbEUlllE_EE10hipError_tT0_T1_T2_T3_mRjT4_P12ihipStream_tbNS1_7vsmem_tEEUlT_E_NS1_11comp_targetILNS1_3genE5ELNS1_11target_archE942ELNS1_3gpuE9ELNS1_3repE0EEENS1_30default_config_static_selectorELNS0_4arch9wavefront6targetE1EEEvSO_.has_dyn_sized_stack, 0
	.set _ZN7rocprim17ROCPRIM_400000_NS6detail17trampoline_kernelINS0_14default_configENS1_37merge_sort_block_sort_config_selectorIlNS0_10empty_typeEEEZNS1_21merge_sort_block_sortIS3_PlS8_PS5_S9_ZN2at6native12_GLOBAL__N_124unique_dim_cuda_templateIN3c108BFloat16EEESt5tupleIJNSA_6TensorESH_SH_EERKSH_lbbbEUlllE_EE10hipError_tT0_T1_T2_T3_mRjT4_P12ihipStream_tbNS1_7vsmem_tEEUlT_E_NS1_11comp_targetILNS1_3genE5ELNS1_11target_archE942ELNS1_3gpuE9ELNS1_3repE0EEENS1_30default_config_static_selectorELNS0_4arch9wavefront6targetE1EEEvSO_.has_recursion, 0
	.set _ZN7rocprim17ROCPRIM_400000_NS6detail17trampoline_kernelINS0_14default_configENS1_37merge_sort_block_sort_config_selectorIlNS0_10empty_typeEEEZNS1_21merge_sort_block_sortIS3_PlS8_PS5_S9_ZN2at6native12_GLOBAL__N_124unique_dim_cuda_templateIN3c108BFloat16EEESt5tupleIJNSA_6TensorESH_SH_EERKSH_lbbbEUlllE_EE10hipError_tT0_T1_T2_T3_mRjT4_P12ihipStream_tbNS1_7vsmem_tEEUlT_E_NS1_11comp_targetILNS1_3genE5ELNS1_11target_archE942ELNS1_3gpuE9ELNS1_3repE0EEENS1_30default_config_static_selectorELNS0_4arch9wavefront6targetE1EEEvSO_.has_indirect_call, 0
	.section	.AMDGPU.csdata,"",@progbits
; Kernel info:
; codeLenInByte = 0
; TotalNumSgprs: 6
; NumVgprs: 0
; NumAgprs: 0
; TotalNumVgprs: 0
; ScratchSize: 0
; MemoryBound: 0
; FloatMode: 240
; IeeeMode: 1
; LDSByteSize: 0 bytes/workgroup (compile time only)
; SGPRBlocks: 0
; VGPRBlocks: 0
; NumSGPRsForWavesPerEU: 6
; NumVGPRsForWavesPerEU: 1
; AccumOffset: 4
; Occupancy: 8
; WaveLimiterHint : 0
; COMPUTE_PGM_RSRC2:SCRATCH_EN: 0
; COMPUTE_PGM_RSRC2:USER_SGPR: 2
; COMPUTE_PGM_RSRC2:TRAP_HANDLER: 0
; COMPUTE_PGM_RSRC2:TGID_X_EN: 1
; COMPUTE_PGM_RSRC2:TGID_Y_EN: 0
; COMPUTE_PGM_RSRC2:TGID_Z_EN: 0
; COMPUTE_PGM_RSRC2:TIDIG_COMP_CNT: 0
; COMPUTE_PGM_RSRC3_GFX90A:ACCUM_OFFSET: 0
; COMPUTE_PGM_RSRC3_GFX90A:TG_SPLIT: 0
	.section	.text._ZN7rocprim17ROCPRIM_400000_NS6detail17trampoline_kernelINS0_14default_configENS1_37merge_sort_block_sort_config_selectorIlNS0_10empty_typeEEEZNS1_21merge_sort_block_sortIS3_PlS8_PS5_S9_ZN2at6native12_GLOBAL__N_124unique_dim_cuda_templateIN3c108BFloat16EEESt5tupleIJNSA_6TensorESH_SH_EERKSH_lbbbEUlllE_EE10hipError_tT0_T1_T2_T3_mRjT4_P12ihipStream_tbNS1_7vsmem_tEEUlT_E_NS1_11comp_targetILNS1_3genE4ELNS1_11target_archE910ELNS1_3gpuE8ELNS1_3repE0EEENS1_30default_config_static_selectorELNS0_4arch9wavefront6targetE1EEEvSO_,"axG",@progbits,_ZN7rocprim17ROCPRIM_400000_NS6detail17trampoline_kernelINS0_14default_configENS1_37merge_sort_block_sort_config_selectorIlNS0_10empty_typeEEEZNS1_21merge_sort_block_sortIS3_PlS8_PS5_S9_ZN2at6native12_GLOBAL__N_124unique_dim_cuda_templateIN3c108BFloat16EEESt5tupleIJNSA_6TensorESH_SH_EERKSH_lbbbEUlllE_EE10hipError_tT0_T1_T2_T3_mRjT4_P12ihipStream_tbNS1_7vsmem_tEEUlT_E_NS1_11comp_targetILNS1_3genE4ELNS1_11target_archE910ELNS1_3gpuE8ELNS1_3repE0EEENS1_30default_config_static_selectorELNS0_4arch9wavefront6targetE1EEEvSO_,comdat
	.globl	_ZN7rocprim17ROCPRIM_400000_NS6detail17trampoline_kernelINS0_14default_configENS1_37merge_sort_block_sort_config_selectorIlNS0_10empty_typeEEEZNS1_21merge_sort_block_sortIS3_PlS8_PS5_S9_ZN2at6native12_GLOBAL__N_124unique_dim_cuda_templateIN3c108BFloat16EEESt5tupleIJNSA_6TensorESH_SH_EERKSH_lbbbEUlllE_EE10hipError_tT0_T1_T2_T3_mRjT4_P12ihipStream_tbNS1_7vsmem_tEEUlT_E_NS1_11comp_targetILNS1_3genE4ELNS1_11target_archE910ELNS1_3gpuE8ELNS1_3repE0EEENS1_30default_config_static_selectorELNS0_4arch9wavefront6targetE1EEEvSO_ ; -- Begin function _ZN7rocprim17ROCPRIM_400000_NS6detail17trampoline_kernelINS0_14default_configENS1_37merge_sort_block_sort_config_selectorIlNS0_10empty_typeEEEZNS1_21merge_sort_block_sortIS3_PlS8_PS5_S9_ZN2at6native12_GLOBAL__N_124unique_dim_cuda_templateIN3c108BFloat16EEESt5tupleIJNSA_6TensorESH_SH_EERKSH_lbbbEUlllE_EE10hipError_tT0_T1_T2_T3_mRjT4_P12ihipStream_tbNS1_7vsmem_tEEUlT_E_NS1_11comp_targetILNS1_3genE4ELNS1_11target_archE910ELNS1_3gpuE8ELNS1_3repE0EEENS1_30default_config_static_selectorELNS0_4arch9wavefront6targetE1EEEvSO_
	.p2align	8
	.type	_ZN7rocprim17ROCPRIM_400000_NS6detail17trampoline_kernelINS0_14default_configENS1_37merge_sort_block_sort_config_selectorIlNS0_10empty_typeEEEZNS1_21merge_sort_block_sortIS3_PlS8_PS5_S9_ZN2at6native12_GLOBAL__N_124unique_dim_cuda_templateIN3c108BFloat16EEESt5tupleIJNSA_6TensorESH_SH_EERKSH_lbbbEUlllE_EE10hipError_tT0_T1_T2_T3_mRjT4_P12ihipStream_tbNS1_7vsmem_tEEUlT_E_NS1_11comp_targetILNS1_3genE4ELNS1_11target_archE910ELNS1_3gpuE8ELNS1_3repE0EEENS1_30default_config_static_selectorELNS0_4arch9wavefront6targetE1EEEvSO_,@function
_ZN7rocprim17ROCPRIM_400000_NS6detail17trampoline_kernelINS0_14default_configENS1_37merge_sort_block_sort_config_selectorIlNS0_10empty_typeEEEZNS1_21merge_sort_block_sortIS3_PlS8_PS5_S9_ZN2at6native12_GLOBAL__N_124unique_dim_cuda_templateIN3c108BFloat16EEESt5tupleIJNSA_6TensorESH_SH_EERKSH_lbbbEUlllE_EE10hipError_tT0_T1_T2_T3_mRjT4_P12ihipStream_tbNS1_7vsmem_tEEUlT_E_NS1_11comp_targetILNS1_3genE4ELNS1_11target_archE910ELNS1_3gpuE8ELNS1_3repE0EEENS1_30default_config_static_selectorELNS0_4arch9wavefront6targetE1EEEvSO_: ; @_ZN7rocprim17ROCPRIM_400000_NS6detail17trampoline_kernelINS0_14default_configENS1_37merge_sort_block_sort_config_selectorIlNS0_10empty_typeEEEZNS1_21merge_sort_block_sortIS3_PlS8_PS5_S9_ZN2at6native12_GLOBAL__N_124unique_dim_cuda_templateIN3c108BFloat16EEESt5tupleIJNSA_6TensorESH_SH_EERKSH_lbbbEUlllE_EE10hipError_tT0_T1_T2_T3_mRjT4_P12ihipStream_tbNS1_7vsmem_tEEUlT_E_NS1_11comp_targetILNS1_3genE4ELNS1_11target_archE910ELNS1_3gpuE8ELNS1_3repE0EEENS1_30default_config_static_selectorELNS0_4arch9wavefront6targetE1EEEvSO_
; %bb.0:
	.section	.rodata,"a",@progbits
	.p2align	6, 0x0
	.amdhsa_kernel _ZN7rocprim17ROCPRIM_400000_NS6detail17trampoline_kernelINS0_14default_configENS1_37merge_sort_block_sort_config_selectorIlNS0_10empty_typeEEEZNS1_21merge_sort_block_sortIS3_PlS8_PS5_S9_ZN2at6native12_GLOBAL__N_124unique_dim_cuda_templateIN3c108BFloat16EEESt5tupleIJNSA_6TensorESH_SH_EERKSH_lbbbEUlllE_EE10hipError_tT0_T1_T2_T3_mRjT4_P12ihipStream_tbNS1_7vsmem_tEEUlT_E_NS1_11comp_targetILNS1_3genE4ELNS1_11target_archE910ELNS1_3gpuE8ELNS1_3repE0EEENS1_30default_config_static_selectorELNS0_4arch9wavefront6targetE1EEEvSO_
		.amdhsa_group_segment_fixed_size 0
		.amdhsa_private_segment_fixed_size 0
		.amdhsa_kernarg_size 72
		.amdhsa_user_sgpr_count 2
		.amdhsa_user_sgpr_dispatch_ptr 0
		.amdhsa_user_sgpr_queue_ptr 0
		.amdhsa_user_sgpr_kernarg_segment_ptr 1
		.amdhsa_user_sgpr_dispatch_id 0
		.amdhsa_user_sgpr_kernarg_preload_length 0
		.amdhsa_user_sgpr_kernarg_preload_offset 0
		.amdhsa_user_sgpr_private_segment_size 0
		.amdhsa_uses_dynamic_stack 0
		.amdhsa_enable_private_segment 0
		.amdhsa_system_sgpr_workgroup_id_x 1
		.amdhsa_system_sgpr_workgroup_id_y 0
		.amdhsa_system_sgpr_workgroup_id_z 0
		.amdhsa_system_sgpr_workgroup_info 0
		.amdhsa_system_vgpr_workitem_id 0
		.amdhsa_next_free_vgpr 1
		.amdhsa_next_free_sgpr 0
		.amdhsa_accum_offset 4
		.amdhsa_reserve_vcc 0
		.amdhsa_float_round_mode_32 0
		.amdhsa_float_round_mode_16_64 0
		.amdhsa_float_denorm_mode_32 3
		.amdhsa_float_denorm_mode_16_64 3
		.amdhsa_dx10_clamp 1
		.amdhsa_ieee_mode 1
		.amdhsa_fp16_overflow 0
		.amdhsa_tg_split 0
		.amdhsa_exception_fp_ieee_invalid_op 0
		.amdhsa_exception_fp_denorm_src 0
		.amdhsa_exception_fp_ieee_div_zero 0
		.amdhsa_exception_fp_ieee_overflow 0
		.amdhsa_exception_fp_ieee_underflow 0
		.amdhsa_exception_fp_ieee_inexact 0
		.amdhsa_exception_int_div_zero 0
	.end_amdhsa_kernel
	.section	.text._ZN7rocprim17ROCPRIM_400000_NS6detail17trampoline_kernelINS0_14default_configENS1_37merge_sort_block_sort_config_selectorIlNS0_10empty_typeEEEZNS1_21merge_sort_block_sortIS3_PlS8_PS5_S9_ZN2at6native12_GLOBAL__N_124unique_dim_cuda_templateIN3c108BFloat16EEESt5tupleIJNSA_6TensorESH_SH_EERKSH_lbbbEUlllE_EE10hipError_tT0_T1_T2_T3_mRjT4_P12ihipStream_tbNS1_7vsmem_tEEUlT_E_NS1_11comp_targetILNS1_3genE4ELNS1_11target_archE910ELNS1_3gpuE8ELNS1_3repE0EEENS1_30default_config_static_selectorELNS0_4arch9wavefront6targetE1EEEvSO_,"axG",@progbits,_ZN7rocprim17ROCPRIM_400000_NS6detail17trampoline_kernelINS0_14default_configENS1_37merge_sort_block_sort_config_selectorIlNS0_10empty_typeEEEZNS1_21merge_sort_block_sortIS3_PlS8_PS5_S9_ZN2at6native12_GLOBAL__N_124unique_dim_cuda_templateIN3c108BFloat16EEESt5tupleIJNSA_6TensorESH_SH_EERKSH_lbbbEUlllE_EE10hipError_tT0_T1_T2_T3_mRjT4_P12ihipStream_tbNS1_7vsmem_tEEUlT_E_NS1_11comp_targetILNS1_3genE4ELNS1_11target_archE910ELNS1_3gpuE8ELNS1_3repE0EEENS1_30default_config_static_selectorELNS0_4arch9wavefront6targetE1EEEvSO_,comdat
.Lfunc_end1118:
	.size	_ZN7rocprim17ROCPRIM_400000_NS6detail17trampoline_kernelINS0_14default_configENS1_37merge_sort_block_sort_config_selectorIlNS0_10empty_typeEEEZNS1_21merge_sort_block_sortIS3_PlS8_PS5_S9_ZN2at6native12_GLOBAL__N_124unique_dim_cuda_templateIN3c108BFloat16EEESt5tupleIJNSA_6TensorESH_SH_EERKSH_lbbbEUlllE_EE10hipError_tT0_T1_T2_T3_mRjT4_P12ihipStream_tbNS1_7vsmem_tEEUlT_E_NS1_11comp_targetILNS1_3genE4ELNS1_11target_archE910ELNS1_3gpuE8ELNS1_3repE0EEENS1_30default_config_static_selectorELNS0_4arch9wavefront6targetE1EEEvSO_, .Lfunc_end1118-_ZN7rocprim17ROCPRIM_400000_NS6detail17trampoline_kernelINS0_14default_configENS1_37merge_sort_block_sort_config_selectorIlNS0_10empty_typeEEEZNS1_21merge_sort_block_sortIS3_PlS8_PS5_S9_ZN2at6native12_GLOBAL__N_124unique_dim_cuda_templateIN3c108BFloat16EEESt5tupleIJNSA_6TensorESH_SH_EERKSH_lbbbEUlllE_EE10hipError_tT0_T1_T2_T3_mRjT4_P12ihipStream_tbNS1_7vsmem_tEEUlT_E_NS1_11comp_targetILNS1_3genE4ELNS1_11target_archE910ELNS1_3gpuE8ELNS1_3repE0EEENS1_30default_config_static_selectorELNS0_4arch9wavefront6targetE1EEEvSO_
                                        ; -- End function
	.set _ZN7rocprim17ROCPRIM_400000_NS6detail17trampoline_kernelINS0_14default_configENS1_37merge_sort_block_sort_config_selectorIlNS0_10empty_typeEEEZNS1_21merge_sort_block_sortIS3_PlS8_PS5_S9_ZN2at6native12_GLOBAL__N_124unique_dim_cuda_templateIN3c108BFloat16EEESt5tupleIJNSA_6TensorESH_SH_EERKSH_lbbbEUlllE_EE10hipError_tT0_T1_T2_T3_mRjT4_P12ihipStream_tbNS1_7vsmem_tEEUlT_E_NS1_11comp_targetILNS1_3genE4ELNS1_11target_archE910ELNS1_3gpuE8ELNS1_3repE0EEENS1_30default_config_static_selectorELNS0_4arch9wavefront6targetE1EEEvSO_.num_vgpr, 0
	.set _ZN7rocprim17ROCPRIM_400000_NS6detail17trampoline_kernelINS0_14default_configENS1_37merge_sort_block_sort_config_selectorIlNS0_10empty_typeEEEZNS1_21merge_sort_block_sortIS3_PlS8_PS5_S9_ZN2at6native12_GLOBAL__N_124unique_dim_cuda_templateIN3c108BFloat16EEESt5tupleIJNSA_6TensorESH_SH_EERKSH_lbbbEUlllE_EE10hipError_tT0_T1_T2_T3_mRjT4_P12ihipStream_tbNS1_7vsmem_tEEUlT_E_NS1_11comp_targetILNS1_3genE4ELNS1_11target_archE910ELNS1_3gpuE8ELNS1_3repE0EEENS1_30default_config_static_selectorELNS0_4arch9wavefront6targetE1EEEvSO_.num_agpr, 0
	.set _ZN7rocprim17ROCPRIM_400000_NS6detail17trampoline_kernelINS0_14default_configENS1_37merge_sort_block_sort_config_selectorIlNS0_10empty_typeEEEZNS1_21merge_sort_block_sortIS3_PlS8_PS5_S9_ZN2at6native12_GLOBAL__N_124unique_dim_cuda_templateIN3c108BFloat16EEESt5tupleIJNSA_6TensorESH_SH_EERKSH_lbbbEUlllE_EE10hipError_tT0_T1_T2_T3_mRjT4_P12ihipStream_tbNS1_7vsmem_tEEUlT_E_NS1_11comp_targetILNS1_3genE4ELNS1_11target_archE910ELNS1_3gpuE8ELNS1_3repE0EEENS1_30default_config_static_selectorELNS0_4arch9wavefront6targetE1EEEvSO_.numbered_sgpr, 0
	.set _ZN7rocprim17ROCPRIM_400000_NS6detail17trampoline_kernelINS0_14default_configENS1_37merge_sort_block_sort_config_selectorIlNS0_10empty_typeEEEZNS1_21merge_sort_block_sortIS3_PlS8_PS5_S9_ZN2at6native12_GLOBAL__N_124unique_dim_cuda_templateIN3c108BFloat16EEESt5tupleIJNSA_6TensorESH_SH_EERKSH_lbbbEUlllE_EE10hipError_tT0_T1_T2_T3_mRjT4_P12ihipStream_tbNS1_7vsmem_tEEUlT_E_NS1_11comp_targetILNS1_3genE4ELNS1_11target_archE910ELNS1_3gpuE8ELNS1_3repE0EEENS1_30default_config_static_selectorELNS0_4arch9wavefront6targetE1EEEvSO_.num_named_barrier, 0
	.set _ZN7rocprim17ROCPRIM_400000_NS6detail17trampoline_kernelINS0_14default_configENS1_37merge_sort_block_sort_config_selectorIlNS0_10empty_typeEEEZNS1_21merge_sort_block_sortIS3_PlS8_PS5_S9_ZN2at6native12_GLOBAL__N_124unique_dim_cuda_templateIN3c108BFloat16EEESt5tupleIJNSA_6TensorESH_SH_EERKSH_lbbbEUlllE_EE10hipError_tT0_T1_T2_T3_mRjT4_P12ihipStream_tbNS1_7vsmem_tEEUlT_E_NS1_11comp_targetILNS1_3genE4ELNS1_11target_archE910ELNS1_3gpuE8ELNS1_3repE0EEENS1_30default_config_static_selectorELNS0_4arch9wavefront6targetE1EEEvSO_.private_seg_size, 0
	.set _ZN7rocprim17ROCPRIM_400000_NS6detail17trampoline_kernelINS0_14default_configENS1_37merge_sort_block_sort_config_selectorIlNS0_10empty_typeEEEZNS1_21merge_sort_block_sortIS3_PlS8_PS5_S9_ZN2at6native12_GLOBAL__N_124unique_dim_cuda_templateIN3c108BFloat16EEESt5tupleIJNSA_6TensorESH_SH_EERKSH_lbbbEUlllE_EE10hipError_tT0_T1_T2_T3_mRjT4_P12ihipStream_tbNS1_7vsmem_tEEUlT_E_NS1_11comp_targetILNS1_3genE4ELNS1_11target_archE910ELNS1_3gpuE8ELNS1_3repE0EEENS1_30default_config_static_selectorELNS0_4arch9wavefront6targetE1EEEvSO_.uses_vcc, 0
	.set _ZN7rocprim17ROCPRIM_400000_NS6detail17trampoline_kernelINS0_14default_configENS1_37merge_sort_block_sort_config_selectorIlNS0_10empty_typeEEEZNS1_21merge_sort_block_sortIS3_PlS8_PS5_S9_ZN2at6native12_GLOBAL__N_124unique_dim_cuda_templateIN3c108BFloat16EEESt5tupleIJNSA_6TensorESH_SH_EERKSH_lbbbEUlllE_EE10hipError_tT0_T1_T2_T3_mRjT4_P12ihipStream_tbNS1_7vsmem_tEEUlT_E_NS1_11comp_targetILNS1_3genE4ELNS1_11target_archE910ELNS1_3gpuE8ELNS1_3repE0EEENS1_30default_config_static_selectorELNS0_4arch9wavefront6targetE1EEEvSO_.uses_flat_scratch, 0
	.set _ZN7rocprim17ROCPRIM_400000_NS6detail17trampoline_kernelINS0_14default_configENS1_37merge_sort_block_sort_config_selectorIlNS0_10empty_typeEEEZNS1_21merge_sort_block_sortIS3_PlS8_PS5_S9_ZN2at6native12_GLOBAL__N_124unique_dim_cuda_templateIN3c108BFloat16EEESt5tupleIJNSA_6TensorESH_SH_EERKSH_lbbbEUlllE_EE10hipError_tT0_T1_T2_T3_mRjT4_P12ihipStream_tbNS1_7vsmem_tEEUlT_E_NS1_11comp_targetILNS1_3genE4ELNS1_11target_archE910ELNS1_3gpuE8ELNS1_3repE0EEENS1_30default_config_static_selectorELNS0_4arch9wavefront6targetE1EEEvSO_.has_dyn_sized_stack, 0
	.set _ZN7rocprim17ROCPRIM_400000_NS6detail17trampoline_kernelINS0_14default_configENS1_37merge_sort_block_sort_config_selectorIlNS0_10empty_typeEEEZNS1_21merge_sort_block_sortIS3_PlS8_PS5_S9_ZN2at6native12_GLOBAL__N_124unique_dim_cuda_templateIN3c108BFloat16EEESt5tupleIJNSA_6TensorESH_SH_EERKSH_lbbbEUlllE_EE10hipError_tT0_T1_T2_T3_mRjT4_P12ihipStream_tbNS1_7vsmem_tEEUlT_E_NS1_11comp_targetILNS1_3genE4ELNS1_11target_archE910ELNS1_3gpuE8ELNS1_3repE0EEENS1_30default_config_static_selectorELNS0_4arch9wavefront6targetE1EEEvSO_.has_recursion, 0
	.set _ZN7rocprim17ROCPRIM_400000_NS6detail17trampoline_kernelINS0_14default_configENS1_37merge_sort_block_sort_config_selectorIlNS0_10empty_typeEEEZNS1_21merge_sort_block_sortIS3_PlS8_PS5_S9_ZN2at6native12_GLOBAL__N_124unique_dim_cuda_templateIN3c108BFloat16EEESt5tupleIJNSA_6TensorESH_SH_EERKSH_lbbbEUlllE_EE10hipError_tT0_T1_T2_T3_mRjT4_P12ihipStream_tbNS1_7vsmem_tEEUlT_E_NS1_11comp_targetILNS1_3genE4ELNS1_11target_archE910ELNS1_3gpuE8ELNS1_3repE0EEENS1_30default_config_static_selectorELNS0_4arch9wavefront6targetE1EEEvSO_.has_indirect_call, 0
	.section	.AMDGPU.csdata,"",@progbits
; Kernel info:
; codeLenInByte = 0
; TotalNumSgprs: 6
; NumVgprs: 0
; NumAgprs: 0
; TotalNumVgprs: 0
; ScratchSize: 0
; MemoryBound: 0
; FloatMode: 240
; IeeeMode: 1
; LDSByteSize: 0 bytes/workgroup (compile time only)
; SGPRBlocks: 0
; VGPRBlocks: 0
; NumSGPRsForWavesPerEU: 6
; NumVGPRsForWavesPerEU: 1
; AccumOffset: 4
; Occupancy: 8
; WaveLimiterHint : 0
; COMPUTE_PGM_RSRC2:SCRATCH_EN: 0
; COMPUTE_PGM_RSRC2:USER_SGPR: 2
; COMPUTE_PGM_RSRC2:TRAP_HANDLER: 0
; COMPUTE_PGM_RSRC2:TGID_X_EN: 1
; COMPUTE_PGM_RSRC2:TGID_Y_EN: 0
; COMPUTE_PGM_RSRC2:TGID_Z_EN: 0
; COMPUTE_PGM_RSRC2:TIDIG_COMP_CNT: 0
; COMPUTE_PGM_RSRC3_GFX90A:ACCUM_OFFSET: 0
; COMPUTE_PGM_RSRC3_GFX90A:TG_SPLIT: 0
	.section	.text._ZN7rocprim17ROCPRIM_400000_NS6detail17trampoline_kernelINS0_14default_configENS1_37merge_sort_block_sort_config_selectorIlNS0_10empty_typeEEEZNS1_21merge_sort_block_sortIS3_PlS8_PS5_S9_ZN2at6native12_GLOBAL__N_124unique_dim_cuda_templateIN3c108BFloat16EEESt5tupleIJNSA_6TensorESH_SH_EERKSH_lbbbEUlllE_EE10hipError_tT0_T1_T2_T3_mRjT4_P12ihipStream_tbNS1_7vsmem_tEEUlT_E_NS1_11comp_targetILNS1_3genE3ELNS1_11target_archE908ELNS1_3gpuE7ELNS1_3repE0EEENS1_30default_config_static_selectorELNS0_4arch9wavefront6targetE1EEEvSO_,"axG",@progbits,_ZN7rocprim17ROCPRIM_400000_NS6detail17trampoline_kernelINS0_14default_configENS1_37merge_sort_block_sort_config_selectorIlNS0_10empty_typeEEEZNS1_21merge_sort_block_sortIS3_PlS8_PS5_S9_ZN2at6native12_GLOBAL__N_124unique_dim_cuda_templateIN3c108BFloat16EEESt5tupleIJNSA_6TensorESH_SH_EERKSH_lbbbEUlllE_EE10hipError_tT0_T1_T2_T3_mRjT4_P12ihipStream_tbNS1_7vsmem_tEEUlT_E_NS1_11comp_targetILNS1_3genE3ELNS1_11target_archE908ELNS1_3gpuE7ELNS1_3repE0EEENS1_30default_config_static_selectorELNS0_4arch9wavefront6targetE1EEEvSO_,comdat
	.globl	_ZN7rocprim17ROCPRIM_400000_NS6detail17trampoline_kernelINS0_14default_configENS1_37merge_sort_block_sort_config_selectorIlNS0_10empty_typeEEEZNS1_21merge_sort_block_sortIS3_PlS8_PS5_S9_ZN2at6native12_GLOBAL__N_124unique_dim_cuda_templateIN3c108BFloat16EEESt5tupleIJNSA_6TensorESH_SH_EERKSH_lbbbEUlllE_EE10hipError_tT0_T1_T2_T3_mRjT4_P12ihipStream_tbNS1_7vsmem_tEEUlT_E_NS1_11comp_targetILNS1_3genE3ELNS1_11target_archE908ELNS1_3gpuE7ELNS1_3repE0EEENS1_30default_config_static_selectorELNS0_4arch9wavefront6targetE1EEEvSO_ ; -- Begin function _ZN7rocprim17ROCPRIM_400000_NS6detail17trampoline_kernelINS0_14default_configENS1_37merge_sort_block_sort_config_selectorIlNS0_10empty_typeEEEZNS1_21merge_sort_block_sortIS3_PlS8_PS5_S9_ZN2at6native12_GLOBAL__N_124unique_dim_cuda_templateIN3c108BFloat16EEESt5tupleIJNSA_6TensorESH_SH_EERKSH_lbbbEUlllE_EE10hipError_tT0_T1_T2_T3_mRjT4_P12ihipStream_tbNS1_7vsmem_tEEUlT_E_NS1_11comp_targetILNS1_3genE3ELNS1_11target_archE908ELNS1_3gpuE7ELNS1_3repE0EEENS1_30default_config_static_selectorELNS0_4arch9wavefront6targetE1EEEvSO_
	.p2align	8
	.type	_ZN7rocprim17ROCPRIM_400000_NS6detail17trampoline_kernelINS0_14default_configENS1_37merge_sort_block_sort_config_selectorIlNS0_10empty_typeEEEZNS1_21merge_sort_block_sortIS3_PlS8_PS5_S9_ZN2at6native12_GLOBAL__N_124unique_dim_cuda_templateIN3c108BFloat16EEESt5tupleIJNSA_6TensorESH_SH_EERKSH_lbbbEUlllE_EE10hipError_tT0_T1_T2_T3_mRjT4_P12ihipStream_tbNS1_7vsmem_tEEUlT_E_NS1_11comp_targetILNS1_3genE3ELNS1_11target_archE908ELNS1_3gpuE7ELNS1_3repE0EEENS1_30default_config_static_selectorELNS0_4arch9wavefront6targetE1EEEvSO_,@function
_ZN7rocprim17ROCPRIM_400000_NS6detail17trampoline_kernelINS0_14default_configENS1_37merge_sort_block_sort_config_selectorIlNS0_10empty_typeEEEZNS1_21merge_sort_block_sortIS3_PlS8_PS5_S9_ZN2at6native12_GLOBAL__N_124unique_dim_cuda_templateIN3c108BFloat16EEESt5tupleIJNSA_6TensorESH_SH_EERKSH_lbbbEUlllE_EE10hipError_tT0_T1_T2_T3_mRjT4_P12ihipStream_tbNS1_7vsmem_tEEUlT_E_NS1_11comp_targetILNS1_3genE3ELNS1_11target_archE908ELNS1_3gpuE7ELNS1_3repE0EEENS1_30default_config_static_selectorELNS0_4arch9wavefront6targetE1EEEvSO_: ; @_ZN7rocprim17ROCPRIM_400000_NS6detail17trampoline_kernelINS0_14default_configENS1_37merge_sort_block_sort_config_selectorIlNS0_10empty_typeEEEZNS1_21merge_sort_block_sortIS3_PlS8_PS5_S9_ZN2at6native12_GLOBAL__N_124unique_dim_cuda_templateIN3c108BFloat16EEESt5tupleIJNSA_6TensorESH_SH_EERKSH_lbbbEUlllE_EE10hipError_tT0_T1_T2_T3_mRjT4_P12ihipStream_tbNS1_7vsmem_tEEUlT_E_NS1_11comp_targetILNS1_3genE3ELNS1_11target_archE908ELNS1_3gpuE7ELNS1_3repE0EEENS1_30default_config_static_selectorELNS0_4arch9wavefront6targetE1EEEvSO_
; %bb.0:
	.section	.rodata,"a",@progbits
	.p2align	6, 0x0
	.amdhsa_kernel _ZN7rocprim17ROCPRIM_400000_NS6detail17trampoline_kernelINS0_14default_configENS1_37merge_sort_block_sort_config_selectorIlNS0_10empty_typeEEEZNS1_21merge_sort_block_sortIS3_PlS8_PS5_S9_ZN2at6native12_GLOBAL__N_124unique_dim_cuda_templateIN3c108BFloat16EEESt5tupleIJNSA_6TensorESH_SH_EERKSH_lbbbEUlllE_EE10hipError_tT0_T1_T2_T3_mRjT4_P12ihipStream_tbNS1_7vsmem_tEEUlT_E_NS1_11comp_targetILNS1_3genE3ELNS1_11target_archE908ELNS1_3gpuE7ELNS1_3repE0EEENS1_30default_config_static_selectorELNS0_4arch9wavefront6targetE1EEEvSO_
		.amdhsa_group_segment_fixed_size 0
		.amdhsa_private_segment_fixed_size 0
		.amdhsa_kernarg_size 72
		.amdhsa_user_sgpr_count 2
		.amdhsa_user_sgpr_dispatch_ptr 0
		.amdhsa_user_sgpr_queue_ptr 0
		.amdhsa_user_sgpr_kernarg_segment_ptr 1
		.amdhsa_user_sgpr_dispatch_id 0
		.amdhsa_user_sgpr_kernarg_preload_length 0
		.amdhsa_user_sgpr_kernarg_preload_offset 0
		.amdhsa_user_sgpr_private_segment_size 0
		.amdhsa_uses_dynamic_stack 0
		.amdhsa_enable_private_segment 0
		.amdhsa_system_sgpr_workgroup_id_x 1
		.amdhsa_system_sgpr_workgroup_id_y 0
		.amdhsa_system_sgpr_workgroup_id_z 0
		.amdhsa_system_sgpr_workgroup_info 0
		.amdhsa_system_vgpr_workitem_id 0
		.amdhsa_next_free_vgpr 1
		.amdhsa_next_free_sgpr 0
		.amdhsa_accum_offset 4
		.amdhsa_reserve_vcc 0
		.amdhsa_float_round_mode_32 0
		.amdhsa_float_round_mode_16_64 0
		.amdhsa_float_denorm_mode_32 3
		.amdhsa_float_denorm_mode_16_64 3
		.amdhsa_dx10_clamp 1
		.amdhsa_ieee_mode 1
		.amdhsa_fp16_overflow 0
		.amdhsa_tg_split 0
		.amdhsa_exception_fp_ieee_invalid_op 0
		.amdhsa_exception_fp_denorm_src 0
		.amdhsa_exception_fp_ieee_div_zero 0
		.amdhsa_exception_fp_ieee_overflow 0
		.amdhsa_exception_fp_ieee_underflow 0
		.amdhsa_exception_fp_ieee_inexact 0
		.amdhsa_exception_int_div_zero 0
	.end_amdhsa_kernel
	.section	.text._ZN7rocprim17ROCPRIM_400000_NS6detail17trampoline_kernelINS0_14default_configENS1_37merge_sort_block_sort_config_selectorIlNS0_10empty_typeEEEZNS1_21merge_sort_block_sortIS3_PlS8_PS5_S9_ZN2at6native12_GLOBAL__N_124unique_dim_cuda_templateIN3c108BFloat16EEESt5tupleIJNSA_6TensorESH_SH_EERKSH_lbbbEUlllE_EE10hipError_tT0_T1_T2_T3_mRjT4_P12ihipStream_tbNS1_7vsmem_tEEUlT_E_NS1_11comp_targetILNS1_3genE3ELNS1_11target_archE908ELNS1_3gpuE7ELNS1_3repE0EEENS1_30default_config_static_selectorELNS0_4arch9wavefront6targetE1EEEvSO_,"axG",@progbits,_ZN7rocprim17ROCPRIM_400000_NS6detail17trampoline_kernelINS0_14default_configENS1_37merge_sort_block_sort_config_selectorIlNS0_10empty_typeEEEZNS1_21merge_sort_block_sortIS3_PlS8_PS5_S9_ZN2at6native12_GLOBAL__N_124unique_dim_cuda_templateIN3c108BFloat16EEESt5tupleIJNSA_6TensorESH_SH_EERKSH_lbbbEUlllE_EE10hipError_tT0_T1_T2_T3_mRjT4_P12ihipStream_tbNS1_7vsmem_tEEUlT_E_NS1_11comp_targetILNS1_3genE3ELNS1_11target_archE908ELNS1_3gpuE7ELNS1_3repE0EEENS1_30default_config_static_selectorELNS0_4arch9wavefront6targetE1EEEvSO_,comdat
.Lfunc_end1119:
	.size	_ZN7rocprim17ROCPRIM_400000_NS6detail17trampoline_kernelINS0_14default_configENS1_37merge_sort_block_sort_config_selectorIlNS0_10empty_typeEEEZNS1_21merge_sort_block_sortIS3_PlS8_PS5_S9_ZN2at6native12_GLOBAL__N_124unique_dim_cuda_templateIN3c108BFloat16EEESt5tupleIJNSA_6TensorESH_SH_EERKSH_lbbbEUlllE_EE10hipError_tT0_T1_T2_T3_mRjT4_P12ihipStream_tbNS1_7vsmem_tEEUlT_E_NS1_11comp_targetILNS1_3genE3ELNS1_11target_archE908ELNS1_3gpuE7ELNS1_3repE0EEENS1_30default_config_static_selectorELNS0_4arch9wavefront6targetE1EEEvSO_, .Lfunc_end1119-_ZN7rocprim17ROCPRIM_400000_NS6detail17trampoline_kernelINS0_14default_configENS1_37merge_sort_block_sort_config_selectorIlNS0_10empty_typeEEEZNS1_21merge_sort_block_sortIS3_PlS8_PS5_S9_ZN2at6native12_GLOBAL__N_124unique_dim_cuda_templateIN3c108BFloat16EEESt5tupleIJNSA_6TensorESH_SH_EERKSH_lbbbEUlllE_EE10hipError_tT0_T1_T2_T3_mRjT4_P12ihipStream_tbNS1_7vsmem_tEEUlT_E_NS1_11comp_targetILNS1_3genE3ELNS1_11target_archE908ELNS1_3gpuE7ELNS1_3repE0EEENS1_30default_config_static_selectorELNS0_4arch9wavefront6targetE1EEEvSO_
                                        ; -- End function
	.set _ZN7rocprim17ROCPRIM_400000_NS6detail17trampoline_kernelINS0_14default_configENS1_37merge_sort_block_sort_config_selectorIlNS0_10empty_typeEEEZNS1_21merge_sort_block_sortIS3_PlS8_PS5_S9_ZN2at6native12_GLOBAL__N_124unique_dim_cuda_templateIN3c108BFloat16EEESt5tupleIJNSA_6TensorESH_SH_EERKSH_lbbbEUlllE_EE10hipError_tT0_T1_T2_T3_mRjT4_P12ihipStream_tbNS1_7vsmem_tEEUlT_E_NS1_11comp_targetILNS1_3genE3ELNS1_11target_archE908ELNS1_3gpuE7ELNS1_3repE0EEENS1_30default_config_static_selectorELNS0_4arch9wavefront6targetE1EEEvSO_.num_vgpr, 0
	.set _ZN7rocprim17ROCPRIM_400000_NS6detail17trampoline_kernelINS0_14default_configENS1_37merge_sort_block_sort_config_selectorIlNS0_10empty_typeEEEZNS1_21merge_sort_block_sortIS3_PlS8_PS5_S9_ZN2at6native12_GLOBAL__N_124unique_dim_cuda_templateIN3c108BFloat16EEESt5tupleIJNSA_6TensorESH_SH_EERKSH_lbbbEUlllE_EE10hipError_tT0_T1_T2_T3_mRjT4_P12ihipStream_tbNS1_7vsmem_tEEUlT_E_NS1_11comp_targetILNS1_3genE3ELNS1_11target_archE908ELNS1_3gpuE7ELNS1_3repE0EEENS1_30default_config_static_selectorELNS0_4arch9wavefront6targetE1EEEvSO_.num_agpr, 0
	.set _ZN7rocprim17ROCPRIM_400000_NS6detail17trampoline_kernelINS0_14default_configENS1_37merge_sort_block_sort_config_selectorIlNS0_10empty_typeEEEZNS1_21merge_sort_block_sortIS3_PlS8_PS5_S9_ZN2at6native12_GLOBAL__N_124unique_dim_cuda_templateIN3c108BFloat16EEESt5tupleIJNSA_6TensorESH_SH_EERKSH_lbbbEUlllE_EE10hipError_tT0_T1_T2_T3_mRjT4_P12ihipStream_tbNS1_7vsmem_tEEUlT_E_NS1_11comp_targetILNS1_3genE3ELNS1_11target_archE908ELNS1_3gpuE7ELNS1_3repE0EEENS1_30default_config_static_selectorELNS0_4arch9wavefront6targetE1EEEvSO_.numbered_sgpr, 0
	.set _ZN7rocprim17ROCPRIM_400000_NS6detail17trampoline_kernelINS0_14default_configENS1_37merge_sort_block_sort_config_selectorIlNS0_10empty_typeEEEZNS1_21merge_sort_block_sortIS3_PlS8_PS5_S9_ZN2at6native12_GLOBAL__N_124unique_dim_cuda_templateIN3c108BFloat16EEESt5tupleIJNSA_6TensorESH_SH_EERKSH_lbbbEUlllE_EE10hipError_tT0_T1_T2_T3_mRjT4_P12ihipStream_tbNS1_7vsmem_tEEUlT_E_NS1_11comp_targetILNS1_3genE3ELNS1_11target_archE908ELNS1_3gpuE7ELNS1_3repE0EEENS1_30default_config_static_selectorELNS0_4arch9wavefront6targetE1EEEvSO_.num_named_barrier, 0
	.set _ZN7rocprim17ROCPRIM_400000_NS6detail17trampoline_kernelINS0_14default_configENS1_37merge_sort_block_sort_config_selectorIlNS0_10empty_typeEEEZNS1_21merge_sort_block_sortIS3_PlS8_PS5_S9_ZN2at6native12_GLOBAL__N_124unique_dim_cuda_templateIN3c108BFloat16EEESt5tupleIJNSA_6TensorESH_SH_EERKSH_lbbbEUlllE_EE10hipError_tT0_T1_T2_T3_mRjT4_P12ihipStream_tbNS1_7vsmem_tEEUlT_E_NS1_11comp_targetILNS1_3genE3ELNS1_11target_archE908ELNS1_3gpuE7ELNS1_3repE0EEENS1_30default_config_static_selectorELNS0_4arch9wavefront6targetE1EEEvSO_.private_seg_size, 0
	.set _ZN7rocprim17ROCPRIM_400000_NS6detail17trampoline_kernelINS0_14default_configENS1_37merge_sort_block_sort_config_selectorIlNS0_10empty_typeEEEZNS1_21merge_sort_block_sortIS3_PlS8_PS5_S9_ZN2at6native12_GLOBAL__N_124unique_dim_cuda_templateIN3c108BFloat16EEESt5tupleIJNSA_6TensorESH_SH_EERKSH_lbbbEUlllE_EE10hipError_tT0_T1_T2_T3_mRjT4_P12ihipStream_tbNS1_7vsmem_tEEUlT_E_NS1_11comp_targetILNS1_3genE3ELNS1_11target_archE908ELNS1_3gpuE7ELNS1_3repE0EEENS1_30default_config_static_selectorELNS0_4arch9wavefront6targetE1EEEvSO_.uses_vcc, 0
	.set _ZN7rocprim17ROCPRIM_400000_NS6detail17trampoline_kernelINS0_14default_configENS1_37merge_sort_block_sort_config_selectorIlNS0_10empty_typeEEEZNS1_21merge_sort_block_sortIS3_PlS8_PS5_S9_ZN2at6native12_GLOBAL__N_124unique_dim_cuda_templateIN3c108BFloat16EEESt5tupleIJNSA_6TensorESH_SH_EERKSH_lbbbEUlllE_EE10hipError_tT0_T1_T2_T3_mRjT4_P12ihipStream_tbNS1_7vsmem_tEEUlT_E_NS1_11comp_targetILNS1_3genE3ELNS1_11target_archE908ELNS1_3gpuE7ELNS1_3repE0EEENS1_30default_config_static_selectorELNS0_4arch9wavefront6targetE1EEEvSO_.uses_flat_scratch, 0
	.set _ZN7rocprim17ROCPRIM_400000_NS6detail17trampoline_kernelINS0_14default_configENS1_37merge_sort_block_sort_config_selectorIlNS0_10empty_typeEEEZNS1_21merge_sort_block_sortIS3_PlS8_PS5_S9_ZN2at6native12_GLOBAL__N_124unique_dim_cuda_templateIN3c108BFloat16EEESt5tupleIJNSA_6TensorESH_SH_EERKSH_lbbbEUlllE_EE10hipError_tT0_T1_T2_T3_mRjT4_P12ihipStream_tbNS1_7vsmem_tEEUlT_E_NS1_11comp_targetILNS1_3genE3ELNS1_11target_archE908ELNS1_3gpuE7ELNS1_3repE0EEENS1_30default_config_static_selectorELNS0_4arch9wavefront6targetE1EEEvSO_.has_dyn_sized_stack, 0
	.set _ZN7rocprim17ROCPRIM_400000_NS6detail17trampoline_kernelINS0_14default_configENS1_37merge_sort_block_sort_config_selectorIlNS0_10empty_typeEEEZNS1_21merge_sort_block_sortIS3_PlS8_PS5_S9_ZN2at6native12_GLOBAL__N_124unique_dim_cuda_templateIN3c108BFloat16EEESt5tupleIJNSA_6TensorESH_SH_EERKSH_lbbbEUlllE_EE10hipError_tT0_T1_T2_T3_mRjT4_P12ihipStream_tbNS1_7vsmem_tEEUlT_E_NS1_11comp_targetILNS1_3genE3ELNS1_11target_archE908ELNS1_3gpuE7ELNS1_3repE0EEENS1_30default_config_static_selectorELNS0_4arch9wavefront6targetE1EEEvSO_.has_recursion, 0
	.set _ZN7rocprim17ROCPRIM_400000_NS6detail17trampoline_kernelINS0_14default_configENS1_37merge_sort_block_sort_config_selectorIlNS0_10empty_typeEEEZNS1_21merge_sort_block_sortIS3_PlS8_PS5_S9_ZN2at6native12_GLOBAL__N_124unique_dim_cuda_templateIN3c108BFloat16EEESt5tupleIJNSA_6TensorESH_SH_EERKSH_lbbbEUlllE_EE10hipError_tT0_T1_T2_T3_mRjT4_P12ihipStream_tbNS1_7vsmem_tEEUlT_E_NS1_11comp_targetILNS1_3genE3ELNS1_11target_archE908ELNS1_3gpuE7ELNS1_3repE0EEENS1_30default_config_static_selectorELNS0_4arch9wavefront6targetE1EEEvSO_.has_indirect_call, 0
	.section	.AMDGPU.csdata,"",@progbits
; Kernel info:
; codeLenInByte = 0
; TotalNumSgprs: 6
; NumVgprs: 0
; NumAgprs: 0
; TotalNumVgprs: 0
; ScratchSize: 0
; MemoryBound: 0
; FloatMode: 240
; IeeeMode: 1
; LDSByteSize: 0 bytes/workgroup (compile time only)
; SGPRBlocks: 0
; VGPRBlocks: 0
; NumSGPRsForWavesPerEU: 6
; NumVGPRsForWavesPerEU: 1
; AccumOffset: 4
; Occupancy: 8
; WaveLimiterHint : 0
; COMPUTE_PGM_RSRC2:SCRATCH_EN: 0
; COMPUTE_PGM_RSRC2:USER_SGPR: 2
; COMPUTE_PGM_RSRC2:TRAP_HANDLER: 0
; COMPUTE_PGM_RSRC2:TGID_X_EN: 1
; COMPUTE_PGM_RSRC2:TGID_Y_EN: 0
; COMPUTE_PGM_RSRC2:TGID_Z_EN: 0
; COMPUTE_PGM_RSRC2:TIDIG_COMP_CNT: 0
; COMPUTE_PGM_RSRC3_GFX90A:ACCUM_OFFSET: 0
; COMPUTE_PGM_RSRC3_GFX90A:TG_SPLIT: 0
	.section	.text._ZN7rocprim17ROCPRIM_400000_NS6detail17trampoline_kernelINS0_14default_configENS1_37merge_sort_block_sort_config_selectorIlNS0_10empty_typeEEEZNS1_21merge_sort_block_sortIS3_PlS8_PS5_S9_ZN2at6native12_GLOBAL__N_124unique_dim_cuda_templateIN3c108BFloat16EEESt5tupleIJNSA_6TensorESH_SH_EERKSH_lbbbEUlllE_EE10hipError_tT0_T1_T2_T3_mRjT4_P12ihipStream_tbNS1_7vsmem_tEEUlT_E_NS1_11comp_targetILNS1_3genE2ELNS1_11target_archE906ELNS1_3gpuE6ELNS1_3repE0EEENS1_30default_config_static_selectorELNS0_4arch9wavefront6targetE1EEEvSO_,"axG",@progbits,_ZN7rocprim17ROCPRIM_400000_NS6detail17trampoline_kernelINS0_14default_configENS1_37merge_sort_block_sort_config_selectorIlNS0_10empty_typeEEEZNS1_21merge_sort_block_sortIS3_PlS8_PS5_S9_ZN2at6native12_GLOBAL__N_124unique_dim_cuda_templateIN3c108BFloat16EEESt5tupleIJNSA_6TensorESH_SH_EERKSH_lbbbEUlllE_EE10hipError_tT0_T1_T2_T3_mRjT4_P12ihipStream_tbNS1_7vsmem_tEEUlT_E_NS1_11comp_targetILNS1_3genE2ELNS1_11target_archE906ELNS1_3gpuE6ELNS1_3repE0EEENS1_30default_config_static_selectorELNS0_4arch9wavefront6targetE1EEEvSO_,comdat
	.globl	_ZN7rocprim17ROCPRIM_400000_NS6detail17trampoline_kernelINS0_14default_configENS1_37merge_sort_block_sort_config_selectorIlNS0_10empty_typeEEEZNS1_21merge_sort_block_sortIS3_PlS8_PS5_S9_ZN2at6native12_GLOBAL__N_124unique_dim_cuda_templateIN3c108BFloat16EEESt5tupleIJNSA_6TensorESH_SH_EERKSH_lbbbEUlllE_EE10hipError_tT0_T1_T2_T3_mRjT4_P12ihipStream_tbNS1_7vsmem_tEEUlT_E_NS1_11comp_targetILNS1_3genE2ELNS1_11target_archE906ELNS1_3gpuE6ELNS1_3repE0EEENS1_30default_config_static_selectorELNS0_4arch9wavefront6targetE1EEEvSO_ ; -- Begin function _ZN7rocprim17ROCPRIM_400000_NS6detail17trampoline_kernelINS0_14default_configENS1_37merge_sort_block_sort_config_selectorIlNS0_10empty_typeEEEZNS1_21merge_sort_block_sortIS3_PlS8_PS5_S9_ZN2at6native12_GLOBAL__N_124unique_dim_cuda_templateIN3c108BFloat16EEESt5tupleIJNSA_6TensorESH_SH_EERKSH_lbbbEUlllE_EE10hipError_tT0_T1_T2_T3_mRjT4_P12ihipStream_tbNS1_7vsmem_tEEUlT_E_NS1_11comp_targetILNS1_3genE2ELNS1_11target_archE906ELNS1_3gpuE6ELNS1_3repE0EEENS1_30default_config_static_selectorELNS0_4arch9wavefront6targetE1EEEvSO_
	.p2align	8
	.type	_ZN7rocprim17ROCPRIM_400000_NS6detail17trampoline_kernelINS0_14default_configENS1_37merge_sort_block_sort_config_selectorIlNS0_10empty_typeEEEZNS1_21merge_sort_block_sortIS3_PlS8_PS5_S9_ZN2at6native12_GLOBAL__N_124unique_dim_cuda_templateIN3c108BFloat16EEESt5tupleIJNSA_6TensorESH_SH_EERKSH_lbbbEUlllE_EE10hipError_tT0_T1_T2_T3_mRjT4_P12ihipStream_tbNS1_7vsmem_tEEUlT_E_NS1_11comp_targetILNS1_3genE2ELNS1_11target_archE906ELNS1_3gpuE6ELNS1_3repE0EEENS1_30default_config_static_selectorELNS0_4arch9wavefront6targetE1EEEvSO_,@function
_ZN7rocprim17ROCPRIM_400000_NS6detail17trampoline_kernelINS0_14default_configENS1_37merge_sort_block_sort_config_selectorIlNS0_10empty_typeEEEZNS1_21merge_sort_block_sortIS3_PlS8_PS5_S9_ZN2at6native12_GLOBAL__N_124unique_dim_cuda_templateIN3c108BFloat16EEESt5tupleIJNSA_6TensorESH_SH_EERKSH_lbbbEUlllE_EE10hipError_tT0_T1_T2_T3_mRjT4_P12ihipStream_tbNS1_7vsmem_tEEUlT_E_NS1_11comp_targetILNS1_3genE2ELNS1_11target_archE906ELNS1_3gpuE6ELNS1_3repE0EEENS1_30default_config_static_selectorELNS0_4arch9wavefront6targetE1EEEvSO_: ; @_ZN7rocprim17ROCPRIM_400000_NS6detail17trampoline_kernelINS0_14default_configENS1_37merge_sort_block_sort_config_selectorIlNS0_10empty_typeEEEZNS1_21merge_sort_block_sortIS3_PlS8_PS5_S9_ZN2at6native12_GLOBAL__N_124unique_dim_cuda_templateIN3c108BFloat16EEESt5tupleIJNSA_6TensorESH_SH_EERKSH_lbbbEUlllE_EE10hipError_tT0_T1_T2_T3_mRjT4_P12ihipStream_tbNS1_7vsmem_tEEUlT_E_NS1_11comp_targetILNS1_3genE2ELNS1_11target_archE906ELNS1_3gpuE6ELNS1_3repE0EEENS1_30default_config_static_selectorELNS0_4arch9wavefront6targetE1EEEvSO_
; %bb.0:
	.section	.rodata,"a",@progbits
	.p2align	6, 0x0
	.amdhsa_kernel _ZN7rocprim17ROCPRIM_400000_NS6detail17trampoline_kernelINS0_14default_configENS1_37merge_sort_block_sort_config_selectorIlNS0_10empty_typeEEEZNS1_21merge_sort_block_sortIS3_PlS8_PS5_S9_ZN2at6native12_GLOBAL__N_124unique_dim_cuda_templateIN3c108BFloat16EEESt5tupleIJNSA_6TensorESH_SH_EERKSH_lbbbEUlllE_EE10hipError_tT0_T1_T2_T3_mRjT4_P12ihipStream_tbNS1_7vsmem_tEEUlT_E_NS1_11comp_targetILNS1_3genE2ELNS1_11target_archE906ELNS1_3gpuE6ELNS1_3repE0EEENS1_30default_config_static_selectorELNS0_4arch9wavefront6targetE1EEEvSO_
		.amdhsa_group_segment_fixed_size 0
		.amdhsa_private_segment_fixed_size 0
		.amdhsa_kernarg_size 72
		.amdhsa_user_sgpr_count 2
		.amdhsa_user_sgpr_dispatch_ptr 0
		.amdhsa_user_sgpr_queue_ptr 0
		.amdhsa_user_sgpr_kernarg_segment_ptr 1
		.amdhsa_user_sgpr_dispatch_id 0
		.amdhsa_user_sgpr_kernarg_preload_length 0
		.amdhsa_user_sgpr_kernarg_preload_offset 0
		.amdhsa_user_sgpr_private_segment_size 0
		.amdhsa_uses_dynamic_stack 0
		.amdhsa_enable_private_segment 0
		.amdhsa_system_sgpr_workgroup_id_x 1
		.amdhsa_system_sgpr_workgroup_id_y 0
		.amdhsa_system_sgpr_workgroup_id_z 0
		.amdhsa_system_sgpr_workgroup_info 0
		.amdhsa_system_vgpr_workitem_id 0
		.amdhsa_next_free_vgpr 1
		.amdhsa_next_free_sgpr 0
		.amdhsa_accum_offset 4
		.amdhsa_reserve_vcc 0
		.amdhsa_float_round_mode_32 0
		.amdhsa_float_round_mode_16_64 0
		.amdhsa_float_denorm_mode_32 3
		.amdhsa_float_denorm_mode_16_64 3
		.amdhsa_dx10_clamp 1
		.amdhsa_ieee_mode 1
		.amdhsa_fp16_overflow 0
		.amdhsa_tg_split 0
		.amdhsa_exception_fp_ieee_invalid_op 0
		.amdhsa_exception_fp_denorm_src 0
		.amdhsa_exception_fp_ieee_div_zero 0
		.amdhsa_exception_fp_ieee_overflow 0
		.amdhsa_exception_fp_ieee_underflow 0
		.amdhsa_exception_fp_ieee_inexact 0
		.amdhsa_exception_int_div_zero 0
	.end_amdhsa_kernel
	.section	.text._ZN7rocprim17ROCPRIM_400000_NS6detail17trampoline_kernelINS0_14default_configENS1_37merge_sort_block_sort_config_selectorIlNS0_10empty_typeEEEZNS1_21merge_sort_block_sortIS3_PlS8_PS5_S9_ZN2at6native12_GLOBAL__N_124unique_dim_cuda_templateIN3c108BFloat16EEESt5tupleIJNSA_6TensorESH_SH_EERKSH_lbbbEUlllE_EE10hipError_tT0_T1_T2_T3_mRjT4_P12ihipStream_tbNS1_7vsmem_tEEUlT_E_NS1_11comp_targetILNS1_3genE2ELNS1_11target_archE906ELNS1_3gpuE6ELNS1_3repE0EEENS1_30default_config_static_selectorELNS0_4arch9wavefront6targetE1EEEvSO_,"axG",@progbits,_ZN7rocprim17ROCPRIM_400000_NS6detail17trampoline_kernelINS0_14default_configENS1_37merge_sort_block_sort_config_selectorIlNS0_10empty_typeEEEZNS1_21merge_sort_block_sortIS3_PlS8_PS5_S9_ZN2at6native12_GLOBAL__N_124unique_dim_cuda_templateIN3c108BFloat16EEESt5tupleIJNSA_6TensorESH_SH_EERKSH_lbbbEUlllE_EE10hipError_tT0_T1_T2_T3_mRjT4_P12ihipStream_tbNS1_7vsmem_tEEUlT_E_NS1_11comp_targetILNS1_3genE2ELNS1_11target_archE906ELNS1_3gpuE6ELNS1_3repE0EEENS1_30default_config_static_selectorELNS0_4arch9wavefront6targetE1EEEvSO_,comdat
.Lfunc_end1120:
	.size	_ZN7rocprim17ROCPRIM_400000_NS6detail17trampoline_kernelINS0_14default_configENS1_37merge_sort_block_sort_config_selectorIlNS0_10empty_typeEEEZNS1_21merge_sort_block_sortIS3_PlS8_PS5_S9_ZN2at6native12_GLOBAL__N_124unique_dim_cuda_templateIN3c108BFloat16EEESt5tupleIJNSA_6TensorESH_SH_EERKSH_lbbbEUlllE_EE10hipError_tT0_T1_T2_T3_mRjT4_P12ihipStream_tbNS1_7vsmem_tEEUlT_E_NS1_11comp_targetILNS1_3genE2ELNS1_11target_archE906ELNS1_3gpuE6ELNS1_3repE0EEENS1_30default_config_static_selectorELNS0_4arch9wavefront6targetE1EEEvSO_, .Lfunc_end1120-_ZN7rocprim17ROCPRIM_400000_NS6detail17trampoline_kernelINS0_14default_configENS1_37merge_sort_block_sort_config_selectorIlNS0_10empty_typeEEEZNS1_21merge_sort_block_sortIS3_PlS8_PS5_S9_ZN2at6native12_GLOBAL__N_124unique_dim_cuda_templateIN3c108BFloat16EEESt5tupleIJNSA_6TensorESH_SH_EERKSH_lbbbEUlllE_EE10hipError_tT0_T1_T2_T3_mRjT4_P12ihipStream_tbNS1_7vsmem_tEEUlT_E_NS1_11comp_targetILNS1_3genE2ELNS1_11target_archE906ELNS1_3gpuE6ELNS1_3repE0EEENS1_30default_config_static_selectorELNS0_4arch9wavefront6targetE1EEEvSO_
                                        ; -- End function
	.set _ZN7rocprim17ROCPRIM_400000_NS6detail17trampoline_kernelINS0_14default_configENS1_37merge_sort_block_sort_config_selectorIlNS0_10empty_typeEEEZNS1_21merge_sort_block_sortIS3_PlS8_PS5_S9_ZN2at6native12_GLOBAL__N_124unique_dim_cuda_templateIN3c108BFloat16EEESt5tupleIJNSA_6TensorESH_SH_EERKSH_lbbbEUlllE_EE10hipError_tT0_T1_T2_T3_mRjT4_P12ihipStream_tbNS1_7vsmem_tEEUlT_E_NS1_11comp_targetILNS1_3genE2ELNS1_11target_archE906ELNS1_3gpuE6ELNS1_3repE0EEENS1_30default_config_static_selectorELNS0_4arch9wavefront6targetE1EEEvSO_.num_vgpr, 0
	.set _ZN7rocprim17ROCPRIM_400000_NS6detail17trampoline_kernelINS0_14default_configENS1_37merge_sort_block_sort_config_selectorIlNS0_10empty_typeEEEZNS1_21merge_sort_block_sortIS3_PlS8_PS5_S9_ZN2at6native12_GLOBAL__N_124unique_dim_cuda_templateIN3c108BFloat16EEESt5tupleIJNSA_6TensorESH_SH_EERKSH_lbbbEUlllE_EE10hipError_tT0_T1_T2_T3_mRjT4_P12ihipStream_tbNS1_7vsmem_tEEUlT_E_NS1_11comp_targetILNS1_3genE2ELNS1_11target_archE906ELNS1_3gpuE6ELNS1_3repE0EEENS1_30default_config_static_selectorELNS0_4arch9wavefront6targetE1EEEvSO_.num_agpr, 0
	.set _ZN7rocprim17ROCPRIM_400000_NS6detail17trampoline_kernelINS0_14default_configENS1_37merge_sort_block_sort_config_selectorIlNS0_10empty_typeEEEZNS1_21merge_sort_block_sortIS3_PlS8_PS5_S9_ZN2at6native12_GLOBAL__N_124unique_dim_cuda_templateIN3c108BFloat16EEESt5tupleIJNSA_6TensorESH_SH_EERKSH_lbbbEUlllE_EE10hipError_tT0_T1_T2_T3_mRjT4_P12ihipStream_tbNS1_7vsmem_tEEUlT_E_NS1_11comp_targetILNS1_3genE2ELNS1_11target_archE906ELNS1_3gpuE6ELNS1_3repE0EEENS1_30default_config_static_selectorELNS0_4arch9wavefront6targetE1EEEvSO_.numbered_sgpr, 0
	.set _ZN7rocprim17ROCPRIM_400000_NS6detail17trampoline_kernelINS0_14default_configENS1_37merge_sort_block_sort_config_selectorIlNS0_10empty_typeEEEZNS1_21merge_sort_block_sortIS3_PlS8_PS5_S9_ZN2at6native12_GLOBAL__N_124unique_dim_cuda_templateIN3c108BFloat16EEESt5tupleIJNSA_6TensorESH_SH_EERKSH_lbbbEUlllE_EE10hipError_tT0_T1_T2_T3_mRjT4_P12ihipStream_tbNS1_7vsmem_tEEUlT_E_NS1_11comp_targetILNS1_3genE2ELNS1_11target_archE906ELNS1_3gpuE6ELNS1_3repE0EEENS1_30default_config_static_selectorELNS0_4arch9wavefront6targetE1EEEvSO_.num_named_barrier, 0
	.set _ZN7rocprim17ROCPRIM_400000_NS6detail17trampoline_kernelINS0_14default_configENS1_37merge_sort_block_sort_config_selectorIlNS0_10empty_typeEEEZNS1_21merge_sort_block_sortIS3_PlS8_PS5_S9_ZN2at6native12_GLOBAL__N_124unique_dim_cuda_templateIN3c108BFloat16EEESt5tupleIJNSA_6TensorESH_SH_EERKSH_lbbbEUlllE_EE10hipError_tT0_T1_T2_T3_mRjT4_P12ihipStream_tbNS1_7vsmem_tEEUlT_E_NS1_11comp_targetILNS1_3genE2ELNS1_11target_archE906ELNS1_3gpuE6ELNS1_3repE0EEENS1_30default_config_static_selectorELNS0_4arch9wavefront6targetE1EEEvSO_.private_seg_size, 0
	.set _ZN7rocprim17ROCPRIM_400000_NS6detail17trampoline_kernelINS0_14default_configENS1_37merge_sort_block_sort_config_selectorIlNS0_10empty_typeEEEZNS1_21merge_sort_block_sortIS3_PlS8_PS5_S9_ZN2at6native12_GLOBAL__N_124unique_dim_cuda_templateIN3c108BFloat16EEESt5tupleIJNSA_6TensorESH_SH_EERKSH_lbbbEUlllE_EE10hipError_tT0_T1_T2_T3_mRjT4_P12ihipStream_tbNS1_7vsmem_tEEUlT_E_NS1_11comp_targetILNS1_3genE2ELNS1_11target_archE906ELNS1_3gpuE6ELNS1_3repE0EEENS1_30default_config_static_selectorELNS0_4arch9wavefront6targetE1EEEvSO_.uses_vcc, 0
	.set _ZN7rocprim17ROCPRIM_400000_NS6detail17trampoline_kernelINS0_14default_configENS1_37merge_sort_block_sort_config_selectorIlNS0_10empty_typeEEEZNS1_21merge_sort_block_sortIS3_PlS8_PS5_S9_ZN2at6native12_GLOBAL__N_124unique_dim_cuda_templateIN3c108BFloat16EEESt5tupleIJNSA_6TensorESH_SH_EERKSH_lbbbEUlllE_EE10hipError_tT0_T1_T2_T3_mRjT4_P12ihipStream_tbNS1_7vsmem_tEEUlT_E_NS1_11comp_targetILNS1_3genE2ELNS1_11target_archE906ELNS1_3gpuE6ELNS1_3repE0EEENS1_30default_config_static_selectorELNS0_4arch9wavefront6targetE1EEEvSO_.uses_flat_scratch, 0
	.set _ZN7rocprim17ROCPRIM_400000_NS6detail17trampoline_kernelINS0_14default_configENS1_37merge_sort_block_sort_config_selectorIlNS0_10empty_typeEEEZNS1_21merge_sort_block_sortIS3_PlS8_PS5_S9_ZN2at6native12_GLOBAL__N_124unique_dim_cuda_templateIN3c108BFloat16EEESt5tupleIJNSA_6TensorESH_SH_EERKSH_lbbbEUlllE_EE10hipError_tT0_T1_T2_T3_mRjT4_P12ihipStream_tbNS1_7vsmem_tEEUlT_E_NS1_11comp_targetILNS1_3genE2ELNS1_11target_archE906ELNS1_3gpuE6ELNS1_3repE0EEENS1_30default_config_static_selectorELNS0_4arch9wavefront6targetE1EEEvSO_.has_dyn_sized_stack, 0
	.set _ZN7rocprim17ROCPRIM_400000_NS6detail17trampoline_kernelINS0_14default_configENS1_37merge_sort_block_sort_config_selectorIlNS0_10empty_typeEEEZNS1_21merge_sort_block_sortIS3_PlS8_PS5_S9_ZN2at6native12_GLOBAL__N_124unique_dim_cuda_templateIN3c108BFloat16EEESt5tupleIJNSA_6TensorESH_SH_EERKSH_lbbbEUlllE_EE10hipError_tT0_T1_T2_T3_mRjT4_P12ihipStream_tbNS1_7vsmem_tEEUlT_E_NS1_11comp_targetILNS1_3genE2ELNS1_11target_archE906ELNS1_3gpuE6ELNS1_3repE0EEENS1_30default_config_static_selectorELNS0_4arch9wavefront6targetE1EEEvSO_.has_recursion, 0
	.set _ZN7rocprim17ROCPRIM_400000_NS6detail17trampoline_kernelINS0_14default_configENS1_37merge_sort_block_sort_config_selectorIlNS0_10empty_typeEEEZNS1_21merge_sort_block_sortIS3_PlS8_PS5_S9_ZN2at6native12_GLOBAL__N_124unique_dim_cuda_templateIN3c108BFloat16EEESt5tupleIJNSA_6TensorESH_SH_EERKSH_lbbbEUlllE_EE10hipError_tT0_T1_T2_T3_mRjT4_P12ihipStream_tbNS1_7vsmem_tEEUlT_E_NS1_11comp_targetILNS1_3genE2ELNS1_11target_archE906ELNS1_3gpuE6ELNS1_3repE0EEENS1_30default_config_static_selectorELNS0_4arch9wavefront6targetE1EEEvSO_.has_indirect_call, 0
	.section	.AMDGPU.csdata,"",@progbits
; Kernel info:
; codeLenInByte = 0
; TotalNumSgprs: 6
; NumVgprs: 0
; NumAgprs: 0
; TotalNumVgprs: 0
; ScratchSize: 0
; MemoryBound: 0
; FloatMode: 240
; IeeeMode: 1
; LDSByteSize: 0 bytes/workgroup (compile time only)
; SGPRBlocks: 0
; VGPRBlocks: 0
; NumSGPRsForWavesPerEU: 6
; NumVGPRsForWavesPerEU: 1
; AccumOffset: 4
; Occupancy: 8
; WaveLimiterHint : 0
; COMPUTE_PGM_RSRC2:SCRATCH_EN: 0
; COMPUTE_PGM_RSRC2:USER_SGPR: 2
; COMPUTE_PGM_RSRC2:TRAP_HANDLER: 0
; COMPUTE_PGM_RSRC2:TGID_X_EN: 1
; COMPUTE_PGM_RSRC2:TGID_Y_EN: 0
; COMPUTE_PGM_RSRC2:TGID_Z_EN: 0
; COMPUTE_PGM_RSRC2:TIDIG_COMP_CNT: 0
; COMPUTE_PGM_RSRC3_GFX90A:ACCUM_OFFSET: 0
; COMPUTE_PGM_RSRC3_GFX90A:TG_SPLIT: 0
	.section	.text._ZN7rocprim17ROCPRIM_400000_NS6detail17trampoline_kernelINS0_14default_configENS1_37merge_sort_block_sort_config_selectorIlNS0_10empty_typeEEEZNS1_21merge_sort_block_sortIS3_PlS8_PS5_S9_ZN2at6native12_GLOBAL__N_124unique_dim_cuda_templateIN3c108BFloat16EEESt5tupleIJNSA_6TensorESH_SH_EERKSH_lbbbEUlllE_EE10hipError_tT0_T1_T2_T3_mRjT4_P12ihipStream_tbNS1_7vsmem_tEEUlT_E_NS1_11comp_targetILNS1_3genE10ELNS1_11target_archE1201ELNS1_3gpuE5ELNS1_3repE0EEENS1_30default_config_static_selectorELNS0_4arch9wavefront6targetE1EEEvSO_,"axG",@progbits,_ZN7rocprim17ROCPRIM_400000_NS6detail17trampoline_kernelINS0_14default_configENS1_37merge_sort_block_sort_config_selectorIlNS0_10empty_typeEEEZNS1_21merge_sort_block_sortIS3_PlS8_PS5_S9_ZN2at6native12_GLOBAL__N_124unique_dim_cuda_templateIN3c108BFloat16EEESt5tupleIJNSA_6TensorESH_SH_EERKSH_lbbbEUlllE_EE10hipError_tT0_T1_T2_T3_mRjT4_P12ihipStream_tbNS1_7vsmem_tEEUlT_E_NS1_11comp_targetILNS1_3genE10ELNS1_11target_archE1201ELNS1_3gpuE5ELNS1_3repE0EEENS1_30default_config_static_selectorELNS0_4arch9wavefront6targetE1EEEvSO_,comdat
	.globl	_ZN7rocprim17ROCPRIM_400000_NS6detail17trampoline_kernelINS0_14default_configENS1_37merge_sort_block_sort_config_selectorIlNS0_10empty_typeEEEZNS1_21merge_sort_block_sortIS3_PlS8_PS5_S9_ZN2at6native12_GLOBAL__N_124unique_dim_cuda_templateIN3c108BFloat16EEESt5tupleIJNSA_6TensorESH_SH_EERKSH_lbbbEUlllE_EE10hipError_tT0_T1_T2_T3_mRjT4_P12ihipStream_tbNS1_7vsmem_tEEUlT_E_NS1_11comp_targetILNS1_3genE10ELNS1_11target_archE1201ELNS1_3gpuE5ELNS1_3repE0EEENS1_30default_config_static_selectorELNS0_4arch9wavefront6targetE1EEEvSO_ ; -- Begin function _ZN7rocprim17ROCPRIM_400000_NS6detail17trampoline_kernelINS0_14default_configENS1_37merge_sort_block_sort_config_selectorIlNS0_10empty_typeEEEZNS1_21merge_sort_block_sortIS3_PlS8_PS5_S9_ZN2at6native12_GLOBAL__N_124unique_dim_cuda_templateIN3c108BFloat16EEESt5tupleIJNSA_6TensorESH_SH_EERKSH_lbbbEUlllE_EE10hipError_tT0_T1_T2_T3_mRjT4_P12ihipStream_tbNS1_7vsmem_tEEUlT_E_NS1_11comp_targetILNS1_3genE10ELNS1_11target_archE1201ELNS1_3gpuE5ELNS1_3repE0EEENS1_30default_config_static_selectorELNS0_4arch9wavefront6targetE1EEEvSO_
	.p2align	8
	.type	_ZN7rocprim17ROCPRIM_400000_NS6detail17trampoline_kernelINS0_14default_configENS1_37merge_sort_block_sort_config_selectorIlNS0_10empty_typeEEEZNS1_21merge_sort_block_sortIS3_PlS8_PS5_S9_ZN2at6native12_GLOBAL__N_124unique_dim_cuda_templateIN3c108BFloat16EEESt5tupleIJNSA_6TensorESH_SH_EERKSH_lbbbEUlllE_EE10hipError_tT0_T1_T2_T3_mRjT4_P12ihipStream_tbNS1_7vsmem_tEEUlT_E_NS1_11comp_targetILNS1_3genE10ELNS1_11target_archE1201ELNS1_3gpuE5ELNS1_3repE0EEENS1_30default_config_static_selectorELNS0_4arch9wavefront6targetE1EEEvSO_,@function
_ZN7rocprim17ROCPRIM_400000_NS6detail17trampoline_kernelINS0_14default_configENS1_37merge_sort_block_sort_config_selectorIlNS0_10empty_typeEEEZNS1_21merge_sort_block_sortIS3_PlS8_PS5_S9_ZN2at6native12_GLOBAL__N_124unique_dim_cuda_templateIN3c108BFloat16EEESt5tupleIJNSA_6TensorESH_SH_EERKSH_lbbbEUlllE_EE10hipError_tT0_T1_T2_T3_mRjT4_P12ihipStream_tbNS1_7vsmem_tEEUlT_E_NS1_11comp_targetILNS1_3genE10ELNS1_11target_archE1201ELNS1_3gpuE5ELNS1_3repE0EEENS1_30default_config_static_selectorELNS0_4arch9wavefront6targetE1EEEvSO_: ; @_ZN7rocprim17ROCPRIM_400000_NS6detail17trampoline_kernelINS0_14default_configENS1_37merge_sort_block_sort_config_selectorIlNS0_10empty_typeEEEZNS1_21merge_sort_block_sortIS3_PlS8_PS5_S9_ZN2at6native12_GLOBAL__N_124unique_dim_cuda_templateIN3c108BFloat16EEESt5tupleIJNSA_6TensorESH_SH_EERKSH_lbbbEUlllE_EE10hipError_tT0_T1_T2_T3_mRjT4_P12ihipStream_tbNS1_7vsmem_tEEUlT_E_NS1_11comp_targetILNS1_3genE10ELNS1_11target_archE1201ELNS1_3gpuE5ELNS1_3repE0EEENS1_30default_config_static_selectorELNS0_4arch9wavefront6targetE1EEEvSO_
; %bb.0:
	.section	.rodata,"a",@progbits
	.p2align	6, 0x0
	.amdhsa_kernel _ZN7rocprim17ROCPRIM_400000_NS6detail17trampoline_kernelINS0_14default_configENS1_37merge_sort_block_sort_config_selectorIlNS0_10empty_typeEEEZNS1_21merge_sort_block_sortIS3_PlS8_PS5_S9_ZN2at6native12_GLOBAL__N_124unique_dim_cuda_templateIN3c108BFloat16EEESt5tupleIJNSA_6TensorESH_SH_EERKSH_lbbbEUlllE_EE10hipError_tT0_T1_T2_T3_mRjT4_P12ihipStream_tbNS1_7vsmem_tEEUlT_E_NS1_11comp_targetILNS1_3genE10ELNS1_11target_archE1201ELNS1_3gpuE5ELNS1_3repE0EEENS1_30default_config_static_selectorELNS0_4arch9wavefront6targetE1EEEvSO_
		.amdhsa_group_segment_fixed_size 0
		.amdhsa_private_segment_fixed_size 0
		.amdhsa_kernarg_size 72
		.amdhsa_user_sgpr_count 2
		.amdhsa_user_sgpr_dispatch_ptr 0
		.amdhsa_user_sgpr_queue_ptr 0
		.amdhsa_user_sgpr_kernarg_segment_ptr 1
		.amdhsa_user_sgpr_dispatch_id 0
		.amdhsa_user_sgpr_kernarg_preload_length 0
		.amdhsa_user_sgpr_kernarg_preload_offset 0
		.amdhsa_user_sgpr_private_segment_size 0
		.amdhsa_uses_dynamic_stack 0
		.amdhsa_enable_private_segment 0
		.amdhsa_system_sgpr_workgroup_id_x 1
		.amdhsa_system_sgpr_workgroup_id_y 0
		.amdhsa_system_sgpr_workgroup_id_z 0
		.amdhsa_system_sgpr_workgroup_info 0
		.amdhsa_system_vgpr_workitem_id 0
		.amdhsa_next_free_vgpr 1
		.amdhsa_next_free_sgpr 0
		.amdhsa_accum_offset 4
		.amdhsa_reserve_vcc 0
		.amdhsa_float_round_mode_32 0
		.amdhsa_float_round_mode_16_64 0
		.amdhsa_float_denorm_mode_32 3
		.amdhsa_float_denorm_mode_16_64 3
		.amdhsa_dx10_clamp 1
		.amdhsa_ieee_mode 1
		.amdhsa_fp16_overflow 0
		.amdhsa_tg_split 0
		.amdhsa_exception_fp_ieee_invalid_op 0
		.amdhsa_exception_fp_denorm_src 0
		.amdhsa_exception_fp_ieee_div_zero 0
		.amdhsa_exception_fp_ieee_overflow 0
		.amdhsa_exception_fp_ieee_underflow 0
		.amdhsa_exception_fp_ieee_inexact 0
		.amdhsa_exception_int_div_zero 0
	.end_amdhsa_kernel
	.section	.text._ZN7rocprim17ROCPRIM_400000_NS6detail17trampoline_kernelINS0_14default_configENS1_37merge_sort_block_sort_config_selectorIlNS0_10empty_typeEEEZNS1_21merge_sort_block_sortIS3_PlS8_PS5_S9_ZN2at6native12_GLOBAL__N_124unique_dim_cuda_templateIN3c108BFloat16EEESt5tupleIJNSA_6TensorESH_SH_EERKSH_lbbbEUlllE_EE10hipError_tT0_T1_T2_T3_mRjT4_P12ihipStream_tbNS1_7vsmem_tEEUlT_E_NS1_11comp_targetILNS1_3genE10ELNS1_11target_archE1201ELNS1_3gpuE5ELNS1_3repE0EEENS1_30default_config_static_selectorELNS0_4arch9wavefront6targetE1EEEvSO_,"axG",@progbits,_ZN7rocprim17ROCPRIM_400000_NS6detail17trampoline_kernelINS0_14default_configENS1_37merge_sort_block_sort_config_selectorIlNS0_10empty_typeEEEZNS1_21merge_sort_block_sortIS3_PlS8_PS5_S9_ZN2at6native12_GLOBAL__N_124unique_dim_cuda_templateIN3c108BFloat16EEESt5tupleIJNSA_6TensorESH_SH_EERKSH_lbbbEUlllE_EE10hipError_tT0_T1_T2_T3_mRjT4_P12ihipStream_tbNS1_7vsmem_tEEUlT_E_NS1_11comp_targetILNS1_3genE10ELNS1_11target_archE1201ELNS1_3gpuE5ELNS1_3repE0EEENS1_30default_config_static_selectorELNS0_4arch9wavefront6targetE1EEEvSO_,comdat
.Lfunc_end1121:
	.size	_ZN7rocprim17ROCPRIM_400000_NS6detail17trampoline_kernelINS0_14default_configENS1_37merge_sort_block_sort_config_selectorIlNS0_10empty_typeEEEZNS1_21merge_sort_block_sortIS3_PlS8_PS5_S9_ZN2at6native12_GLOBAL__N_124unique_dim_cuda_templateIN3c108BFloat16EEESt5tupleIJNSA_6TensorESH_SH_EERKSH_lbbbEUlllE_EE10hipError_tT0_T1_T2_T3_mRjT4_P12ihipStream_tbNS1_7vsmem_tEEUlT_E_NS1_11comp_targetILNS1_3genE10ELNS1_11target_archE1201ELNS1_3gpuE5ELNS1_3repE0EEENS1_30default_config_static_selectorELNS0_4arch9wavefront6targetE1EEEvSO_, .Lfunc_end1121-_ZN7rocprim17ROCPRIM_400000_NS6detail17trampoline_kernelINS0_14default_configENS1_37merge_sort_block_sort_config_selectorIlNS0_10empty_typeEEEZNS1_21merge_sort_block_sortIS3_PlS8_PS5_S9_ZN2at6native12_GLOBAL__N_124unique_dim_cuda_templateIN3c108BFloat16EEESt5tupleIJNSA_6TensorESH_SH_EERKSH_lbbbEUlllE_EE10hipError_tT0_T1_T2_T3_mRjT4_P12ihipStream_tbNS1_7vsmem_tEEUlT_E_NS1_11comp_targetILNS1_3genE10ELNS1_11target_archE1201ELNS1_3gpuE5ELNS1_3repE0EEENS1_30default_config_static_selectorELNS0_4arch9wavefront6targetE1EEEvSO_
                                        ; -- End function
	.set _ZN7rocprim17ROCPRIM_400000_NS6detail17trampoline_kernelINS0_14default_configENS1_37merge_sort_block_sort_config_selectorIlNS0_10empty_typeEEEZNS1_21merge_sort_block_sortIS3_PlS8_PS5_S9_ZN2at6native12_GLOBAL__N_124unique_dim_cuda_templateIN3c108BFloat16EEESt5tupleIJNSA_6TensorESH_SH_EERKSH_lbbbEUlllE_EE10hipError_tT0_T1_T2_T3_mRjT4_P12ihipStream_tbNS1_7vsmem_tEEUlT_E_NS1_11comp_targetILNS1_3genE10ELNS1_11target_archE1201ELNS1_3gpuE5ELNS1_3repE0EEENS1_30default_config_static_selectorELNS0_4arch9wavefront6targetE1EEEvSO_.num_vgpr, 0
	.set _ZN7rocprim17ROCPRIM_400000_NS6detail17trampoline_kernelINS0_14default_configENS1_37merge_sort_block_sort_config_selectorIlNS0_10empty_typeEEEZNS1_21merge_sort_block_sortIS3_PlS8_PS5_S9_ZN2at6native12_GLOBAL__N_124unique_dim_cuda_templateIN3c108BFloat16EEESt5tupleIJNSA_6TensorESH_SH_EERKSH_lbbbEUlllE_EE10hipError_tT0_T1_T2_T3_mRjT4_P12ihipStream_tbNS1_7vsmem_tEEUlT_E_NS1_11comp_targetILNS1_3genE10ELNS1_11target_archE1201ELNS1_3gpuE5ELNS1_3repE0EEENS1_30default_config_static_selectorELNS0_4arch9wavefront6targetE1EEEvSO_.num_agpr, 0
	.set _ZN7rocprim17ROCPRIM_400000_NS6detail17trampoline_kernelINS0_14default_configENS1_37merge_sort_block_sort_config_selectorIlNS0_10empty_typeEEEZNS1_21merge_sort_block_sortIS3_PlS8_PS5_S9_ZN2at6native12_GLOBAL__N_124unique_dim_cuda_templateIN3c108BFloat16EEESt5tupleIJNSA_6TensorESH_SH_EERKSH_lbbbEUlllE_EE10hipError_tT0_T1_T2_T3_mRjT4_P12ihipStream_tbNS1_7vsmem_tEEUlT_E_NS1_11comp_targetILNS1_3genE10ELNS1_11target_archE1201ELNS1_3gpuE5ELNS1_3repE0EEENS1_30default_config_static_selectorELNS0_4arch9wavefront6targetE1EEEvSO_.numbered_sgpr, 0
	.set _ZN7rocprim17ROCPRIM_400000_NS6detail17trampoline_kernelINS0_14default_configENS1_37merge_sort_block_sort_config_selectorIlNS0_10empty_typeEEEZNS1_21merge_sort_block_sortIS3_PlS8_PS5_S9_ZN2at6native12_GLOBAL__N_124unique_dim_cuda_templateIN3c108BFloat16EEESt5tupleIJNSA_6TensorESH_SH_EERKSH_lbbbEUlllE_EE10hipError_tT0_T1_T2_T3_mRjT4_P12ihipStream_tbNS1_7vsmem_tEEUlT_E_NS1_11comp_targetILNS1_3genE10ELNS1_11target_archE1201ELNS1_3gpuE5ELNS1_3repE0EEENS1_30default_config_static_selectorELNS0_4arch9wavefront6targetE1EEEvSO_.num_named_barrier, 0
	.set _ZN7rocprim17ROCPRIM_400000_NS6detail17trampoline_kernelINS0_14default_configENS1_37merge_sort_block_sort_config_selectorIlNS0_10empty_typeEEEZNS1_21merge_sort_block_sortIS3_PlS8_PS5_S9_ZN2at6native12_GLOBAL__N_124unique_dim_cuda_templateIN3c108BFloat16EEESt5tupleIJNSA_6TensorESH_SH_EERKSH_lbbbEUlllE_EE10hipError_tT0_T1_T2_T3_mRjT4_P12ihipStream_tbNS1_7vsmem_tEEUlT_E_NS1_11comp_targetILNS1_3genE10ELNS1_11target_archE1201ELNS1_3gpuE5ELNS1_3repE0EEENS1_30default_config_static_selectorELNS0_4arch9wavefront6targetE1EEEvSO_.private_seg_size, 0
	.set _ZN7rocprim17ROCPRIM_400000_NS6detail17trampoline_kernelINS0_14default_configENS1_37merge_sort_block_sort_config_selectorIlNS0_10empty_typeEEEZNS1_21merge_sort_block_sortIS3_PlS8_PS5_S9_ZN2at6native12_GLOBAL__N_124unique_dim_cuda_templateIN3c108BFloat16EEESt5tupleIJNSA_6TensorESH_SH_EERKSH_lbbbEUlllE_EE10hipError_tT0_T1_T2_T3_mRjT4_P12ihipStream_tbNS1_7vsmem_tEEUlT_E_NS1_11comp_targetILNS1_3genE10ELNS1_11target_archE1201ELNS1_3gpuE5ELNS1_3repE0EEENS1_30default_config_static_selectorELNS0_4arch9wavefront6targetE1EEEvSO_.uses_vcc, 0
	.set _ZN7rocprim17ROCPRIM_400000_NS6detail17trampoline_kernelINS0_14default_configENS1_37merge_sort_block_sort_config_selectorIlNS0_10empty_typeEEEZNS1_21merge_sort_block_sortIS3_PlS8_PS5_S9_ZN2at6native12_GLOBAL__N_124unique_dim_cuda_templateIN3c108BFloat16EEESt5tupleIJNSA_6TensorESH_SH_EERKSH_lbbbEUlllE_EE10hipError_tT0_T1_T2_T3_mRjT4_P12ihipStream_tbNS1_7vsmem_tEEUlT_E_NS1_11comp_targetILNS1_3genE10ELNS1_11target_archE1201ELNS1_3gpuE5ELNS1_3repE0EEENS1_30default_config_static_selectorELNS0_4arch9wavefront6targetE1EEEvSO_.uses_flat_scratch, 0
	.set _ZN7rocprim17ROCPRIM_400000_NS6detail17trampoline_kernelINS0_14default_configENS1_37merge_sort_block_sort_config_selectorIlNS0_10empty_typeEEEZNS1_21merge_sort_block_sortIS3_PlS8_PS5_S9_ZN2at6native12_GLOBAL__N_124unique_dim_cuda_templateIN3c108BFloat16EEESt5tupleIJNSA_6TensorESH_SH_EERKSH_lbbbEUlllE_EE10hipError_tT0_T1_T2_T3_mRjT4_P12ihipStream_tbNS1_7vsmem_tEEUlT_E_NS1_11comp_targetILNS1_3genE10ELNS1_11target_archE1201ELNS1_3gpuE5ELNS1_3repE0EEENS1_30default_config_static_selectorELNS0_4arch9wavefront6targetE1EEEvSO_.has_dyn_sized_stack, 0
	.set _ZN7rocprim17ROCPRIM_400000_NS6detail17trampoline_kernelINS0_14default_configENS1_37merge_sort_block_sort_config_selectorIlNS0_10empty_typeEEEZNS1_21merge_sort_block_sortIS3_PlS8_PS5_S9_ZN2at6native12_GLOBAL__N_124unique_dim_cuda_templateIN3c108BFloat16EEESt5tupleIJNSA_6TensorESH_SH_EERKSH_lbbbEUlllE_EE10hipError_tT0_T1_T2_T3_mRjT4_P12ihipStream_tbNS1_7vsmem_tEEUlT_E_NS1_11comp_targetILNS1_3genE10ELNS1_11target_archE1201ELNS1_3gpuE5ELNS1_3repE0EEENS1_30default_config_static_selectorELNS0_4arch9wavefront6targetE1EEEvSO_.has_recursion, 0
	.set _ZN7rocprim17ROCPRIM_400000_NS6detail17trampoline_kernelINS0_14default_configENS1_37merge_sort_block_sort_config_selectorIlNS0_10empty_typeEEEZNS1_21merge_sort_block_sortIS3_PlS8_PS5_S9_ZN2at6native12_GLOBAL__N_124unique_dim_cuda_templateIN3c108BFloat16EEESt5tupleIJNSA_6TensorESH_SH_EERKSH_lbbbEUlllE_EE10hipError_tT0_T1_T2_T3_mRjT4_P12ihipStream_tbNS1_7vsmem_tEEUlT_E_NS1_11comp_targetILNS1_3genE10ELNS1_11target_archE1201ELNS1_3gpuE5ELNS1_3repE0EEENS1_30default_config_static_selectorELNS0_4arch9wavefront6targetE1EEEvSO_.has_indirect_call, 0
	.section	.AMDGPU.csdata,"",@progbits
; Kernel info:
; codeLenInByte = 0
; TotalNumSgprs: 6
; NumVgprs: 0
; NumAgprs: 0
; TotalNumVgprs: 0
; ScratchSize: 0
; MemoryBound: 0
; FloatMode: 240
; IeeeMode: 1
; LDSByteSize: 0 bytes/workgroup (compile time only)
; SGPRBlocks: 0
; VGPRBlocks: 0
; NumSGPRsForWavesPerEU: 6
; NumVGPRsForWavesPerEU: 1
; AccumOffset: 4
; Occupancy: 8
; WaveLimiterHint : 0
; COMPUTE_PGM_RSRC2:SCRATCH_EN: 0
; COMPUTE_PGM_RSRC2:USER_SGPR: 2
; COMPUTE_PGM_RSRC2:TRAP_HANDLER: 0
; COMPUTE_PGM_RSRC2:TGID_X_EN: 1
; COMPUTE_PGM_RSRC2:TGID_Y_EN: 0
; COMPUTE_PGM_RSRC2:TGID_Z_EN: 0
; COMPUTE_PGM_RSRC2:TIDIG_COMP_CNT: 0
; COMPUTE_PGM_RSRC3_GFX90A:ACCUM_OFFSET: 0
; COMPUTE_PGM_RSRC3_GFX90A:TG_SPLIT: 0
	.section	.text._ZN7rocprim17ROCPRIM_400000_NS6detail17trampoline_kernelINS0_14default_configENS1_37merge_sort_block_sort_config_selectorIlNS0_10empty_typeEEEZNS1_21merge_sort_block_sortIS3_PlS8_PS5_S9_ZN2at6native12_GLOBAL__N_124unique_dim_cuda_templateIN3c108BFloat16EEESt5tupleIJNSA_6TensorESH_SH_EERKSH_lbbbEUlllE_EE10hipError_tT0_T1_T2_T3_mRjT4_P12ihipStream_tbNS1_7vsmem_tEEUlT_E_NS1_11comp_targetILNS1_3genE10ELNS1_11target_archE1200ELNS1_3gpuE4ELNS1_3repE0EEENS1_30default_config_static_selectorELNS0_4arch9wavefront6targetE1EEEvSO_,"axG",@progbits,_ZN7rocprim17ROCPRIM_400000_NS6detail17trampoline_kernelINS0_14default_configENS1_37merge_sort_block_sort_config_selectorIlNS0_10empty_typeEEEZNS1_21merge_sort_block_sortIS3_PlS8_PS5_S9_ZN2at6native12_GLOBAL__N_124unique_dim_cuda_templateIN3c108BFloat16EEESt5tupleIJNSA_6TensorESH_SH_EERKSH_lbbbEUlllE_EE10hipError_tT0_T1_T2_T3_mRjT4_P12ihipStream_tbNS1_7vsmem_tEEUlT_E_NS1_11comp_targetILNS1_3genE10ELNS1_11target_archE1200ELNS1_3gpuE4ELNS1_3repE0EEENS1_30default_config_static_selectorELNS0_4arch9wavefront6targetE1EEEvSO_,comdat
	.globl	_ZN7rocprim17ROCPRIM_400000_NS6detail17trampoline_kernelINS0_14default_configENS1_37merge_sort_block_sort_config_selectorIlNS0_10empty_typeEEEZNS1_21merge_sort_block_sortIS3_PlS8_PS5_S9_ZN2at6native12_GLOBAL__N_124unique_dim_cuda_templateIN3c108BFloat16EEESt5tupleIJNSA_6TensorESH_SH_EERKSH_lbbbEUlllE_EE10hipError_tT0_T1_T2_T3_mRjT4_P12ihipStream_tbNS1_7vsmem_tEEUlT_E_NS1_11comp_targetILNS1_3genE10ELNS1_11target_archE1200ELNS1_3gpuE4ELNS1_3repE0EEENS1_30default_config_static_selectorELNS0_4arch9wavefront6targetE1EEEvSO_ ; -- Begin function _ZN7rocprim17ROCPRIM_400000_NS6detail17trampoline_kernelINS0_14default_configENS1_37merge_sort_block_sort_config_selectorIlNS0_10empty_typeEEEZNS1_21merge_sort_block_sortIS3_PlS8_PS5_S9_ZN2at6native12_GLOBAL__N_124unique_dim_cuda_templateIN3c108BFloat16EEESt5tupleIJNSA_6TensorESH_SH_EERKSH_lbbbEUlllE_EE10hipError_tT0_T1_T2_T3_mRjT4_P12ihipStream_tbNS1_7vsmem_tEEUlT_E_NS1_11comp_targetILNS1_3genE10ELNS1_11target_archE1200ELNS1_3gpuE4ELNS1_3repE0EEENS1_30default_config_static_selectorELNS0_4arch9wavefront6targetE1EEEvSO_
	.p2align	8
	.type	_ZN7rocprim17ROCPRIM_400000_NS6detail17trampoline_kernelINS0_14default_configENS1_37merge_sort_block_sort_config_selectorIlNS0_10empty_typeEEEZNS1_21merge_sort_block_sortIS3_PlS8_PS5_S9_ZN2at6native12_GLOBAL__N_124unique_dim_cuda_templateIN3c108BFloat16EEESt5tupleIJNSA_6TensorESH_SH_EERKSH_lbbbEUlllE_EE10hipError_tT0_T1_T2_T3_mRjT4_P12ihipStream_tbNS1_7vsmem_tEEUlT_E_NS1_11comp_targetILNS1_3genE10ELNS1_11target_archE1200ELNS1_3gpuE4ELNS1_3repE0EEENS1_30default_config_static_selectorELNS0_4arch9wavefront6targetE1EEEvSO_,@function
_ZN7rocprim17ROCPRIM_400000_NS6detail17trampoline_kernelINS0_14default_configENS1_37merge_sort_block_sort_config_selectorIlNS0_10empty_typeEEEZNS1_21merge_sort_block_sortIS3_PlS8_PS5_S9_ZN2at6native12_GLOBAL__N_124unique_dim_cuda_templateIN3c108BFloat16EEESt5tupleIJNSA_6TensorESH_SH_EERKSH_lbbbEUlllE_EE10hipError_tT0_T1_T2_T3_mRjT4_P12ihipStream_tbNS1_7vsmem_tEEUlT_E_NS1_11comp_targetILNS1_3genE10ELNS1_11target_archE1200ELNS1_3gpuE4ELNS1_3repE0EEENS1_30default_config_static_selectorELNS0_4arch9wavefront6targetE1EEEvSO_: ; @_ZN7rocprim17ROCPRIM_400000_NS6detail17trampoline_kernelINS0_14default_configENS1_37merge_sort_block_sort_config_selectorIlNS0_10empty_typeEEEZNS1_21merge_sort_block_sortIS3_PlS8_PS5_S9_ZN2at6native12_GLOBAL__N_124unique_dim_cuda_templateIN3c108BFloat16EEESt5tupleIJNSA_6TensorESH_SH_EERKSH_lbbbEUlllE_EE10hipError_tT0_T1_T2_T3_mRjT4_P12ihipStream_tbNS1_7vsmem_tEEUlT_E_NS1_11comp_targetILNS1_3genE10ELNS1_11target_archE1200ELNS1_3gpuE4ELNS1_3repE0EEENS1_30default_config_static_selectorELNS0_4arch9wavefront6targetE1EEEvSO_
; %bb.0:
	.section	.rodata,"a",@progbits
	.p2align	6, 0x0
	.amdhsa_kernel _ZN7rocprim17ROCPRIM_400000_NS6detail17trampoline_kernelINS0_14default_configENS1_37merge_sort_block_sort_config_selectorIlNS0_10empty_typeEEEZNS1_21merge_sort_block_sortIS3_PlS8_PS5_S9_ZN2at6native12_GLOBAL__N_124unique_dim_cuda_templateIN3c108BFloat16EEESt5tupleIJNSA_6TensorESH_SH_EERKSH_lbbbEUlllE_EE10hipError_tT0_T1_T2_T3_mRjT4_P12ihipStream_tbNS1_7vsmem_tEEUlT_E_NS1_11comp_targetILNS1_3genE10ELNS1_11target_archE1200ELNS1_3gpuE4ELNS1_3repE0EEENS1_30default_config_static_selectorELNS0_4arch9wavefront6targetE1EEEvSO_
		.amdhsa_group_segment_fixed_size 0
		.amdhsa_private_segment_fixed_size 0
		.amdhsa_kernarg_size 72
		.amdhsa_user_sgpr_count 2
		.amdhsa_user_sgpr_dispatch_ptr 0
		.amdhsa_user_sgpr_queue_ptr 0
		.amdhsa_user_sgpr_kernarg_segment_ptr 1
		.amdhsa_user_sgpr_dispatch_id 0
		.amdhsa_user_sgpr_kernarg_preload_length 0
		.amdhsa_user_sgpr_kernarg_preload_offset 0
		.amdhsa_user_sgpr_private_segment_size 0
		.amdhsa_uses_dynamic_stack 0
		.amdhsa_enable_private_segment 0
		.amdhsa_system_sgpr_workgroup_id_x 1
		.amdhsa_system_sgpr_workgroup_id_y 0
		.amdhsa_system_sgpr_workgroup_id_z 0
		.amdhsa_system_sgpr_workgroup_info 0
		.amdhsa_system_vgpr_workitem_id 0
		.amdhsa_next_free_vgpr 1
		.amdhsa_next_free_sgpr 0
		.amdhsa_accum_offset 4
		.amdhsa_reserve_vcc 0
		.amdhsa_float_round_mode_32 0
		.amdhsa_float_round_mode_16_64 0
		.amdhsa_float_denorm_mode_32 3
		.amdhsa_float_denorm_mode_16_64 3
		.amdhsa_dx10_clamp 1
		.amdhsa_ieee_mode 1
		.amdhsa_fp16_overflow 0
		.amdhsa_tg_split 0
		.amdhsa_exception_fp_ieee_invalid_op 0
		.amdhsa_exception_fp_denorm_src 0
		.amdhsa_exception_fp_ieee_div_zero 0
		.amdhsa_exception_fp_ieee_overflow 0
		.amdhsa_exception_fp_ieee_underflow 0
		.amdhsa_exception_fp_ieee_inexact 0
		.amdhsa_exception_int_div_zero 0
	.end_amdhsa_kernel
	.section	.text._ZN7rocprim17ROCPRIM_400000_NS6detail17trampoline_kernelINS0_14default_configENS1_37merge_sort_block_sort_config_selectorIlNS0_10empty_typeEEEZNS1_21merge_sort_block_sortIS3_PlS8_PS5_S9_ZN2at6native12_GLOBAL__N_124unique_dim_cuda_templateIN3c108BFloat16EEESt5tupleIJNSA_6TensorESH_SH_EERKSH_lbbbEUlllE_EE10hipError_tT0_T1_T2_T3_mRjT4_P12ihipStream_tbNS1_7vsmem_tEEUlT_E_NS1_11comp_targetILNS1_3genE10ELNS1_11target_archE1200ELNS1_3gpuE4ELNS1_3repE0EEENS1_30default_config_static_selectorELNS0_4arch9wavefront6targetE1EEEvSO_,"axG",@progbits,_ZN7rocprim17ROCPRIM_400000_NS6detail17trampoline_kernelINS0_14default_configENS1_37merge_sort_block_sort_config_selectorIlNS0_10empty_typeEEEZNS1_21merge_sort_block_sortIS3_PlS8_PS5_S9_ZN2at6native12_GLOBAL__N_124unique_dim_cuda_templateIN3c108BFloat16EEESt5tupleIJNSA_6TensorESH_SH_EERKSH_lbbbEUlllE_EE10hipError_tT0_T1_T2_T3_mRjT4_P12ihipStream_tbNS1_7vsmem_tEEUlT_E_NS1_11comp_targetILNS1_3genE10ELNS1_11target_archE1200ELNS1_3gpuE4ELNS1_3repE0EEENS1_30default_config_static_selectorELNS0_4arch9wavefront6targetE1EEEvSO_,comdat
.Lfunc_end1122:
	.size	_ZN7rocprim17ROCPRIM_400000_NS6detail17trampoline_kernelINS0_14default_configENS1_37merge_sort_block_sort_config_selectorIlNS0_10empty_typeEEEZNS1_21merge_sort_block_sortIS3_PlS8_PS5_S9_ZN2at6native12_GLOBAL__N_124unique_dim_cuda_templateIN3c108BFloat16EEESt5tupleIJNSA_6TensorESH_SH_EERKSH_lbbbEUlllE_EE10hipError_tT0_T1_T2_T3_mRjT4_P12ihipStream_tbNS1_7vsmem_tEEUlT_E_NS1_11comp_targetILNS1_3genE10ELNS1_11target_archE1200ELNS1_3gpuE4ELNS1_3repE0EEENS1_30default_config_static_selectorELNS0_4arch9wavefront6targetE1EEEvSO_, .Lfunc_end1122-_ZN7rocprim17ROCPRIM_400000_NS6detail17trampoline_kernelINS0_14default_configENS1_37merge_sort_block_sort_config_selectorIlNS0_10empty_typeEEEZNS1_21merge_sort_block_sortIS3_PlS8_PS5_S9_ZN2at6native12_GLOBAL__N_124unique_dim_cuda_templateIN3c108BFloat16EEESt5tupleIJNSA_6TensorESH_SH_EERKSH_lbbbEUlllE_EE10hipError_tT0_T1_T2_T3_mRjT4_P12ihipStream_tbNS1_7vsmem_tEEUlT_E_NS1_11comp_targetILNS1_3genE10ELNS1_11target_archE1200ELNS1_3gpuE4ELNS1_3repE0EEENS1_30default_config_static_selectorELNS0_4arch9wavefront6targetE1EEEvSO_
                                        ; -- End function
	.set _ZN7rocprim17ROCPRIM_400000_NS6detail17trampoline_kernelINS0_14default_configENS1_37merge_sort_block_sort_config_selectorIlNS0_10empty_typeEEEZNS1_21merge_sort_block_sortIS3_PlS8_PS5_S9_ZN2at6native12_GLOBAL__N_124unique_dim_cuda_templateIN3c108BFloat16EEESt5tupleIJNSA_6TensorESH_SH_EERKSH_lbbbEUlllE_EE10hipError_tT0_T1_T2_T3_mRjT4_P12ihipStream_tbNS1_7vsmem_tEEUlT_E_NS1_11comp_targetILNS1_3genE10ELNS1_11target_archE1200ELNS1_3gpuE4ELNS1_3repE0EEENS1_30default_config_static_selectorELNS0_4arch9wavefront6targetE1EEEvSO_.num_vgpr, 0
	.set _ZN7rocprim17ROCPRIM_400000_NS6detail17trampoline_kernelINS0_14default_configENS1_37merge_sort_block_sort_config_selectorIlNS0_10empty_typeEEEZNS1_21merge_sort_block_sortIS3_PlS8_PS5_S9_ZN2at6native12_GLOBAL__N_124unique_dim_cuda_templateIN3c108BFloat16EEESt5tupleIJNSA_6TensorESH_SH_EERKSH_lbbbEUlllE_EE10hipError_tT0_T1_T2_T3_mRjT4_P12ihipStream_tbNS1_7vsmem_tEEUlT_E_NS1_11comp_targetILNS1_3genE10ELNS1_11target_archE1200ELNS1_3gpuE4ELNS1_3repE0EEENS1_30default_config_static_selectorELNS0_4arch9wavefront6targetE1EEEvSO_.num_agpr, 0
	.set _ZN7rocprim17ROCPRIM_400000_NS6detail17trampoline_kernelINS0_14default_configENS1_37merge_sort_block_sort_config_selectorIlNS0_10empty_typeEEEZNS1_21merge_sort_block_sortIS3_PlS8_PS5_S9_ZN2at6native12_GLOBAL__N_124unique_dim_cuda_templateIN3c108BFloat16EEESt5tupleIJNSA_6TensorESH_SH_EERKSH_lbbbEUlllE_EE10hipError_tT0_T1_T2_T3_mRjT4_P12ihipStream_tbNS1_7vsmem_tEEUlT_E_NS1_11comp_targetILNS1_3genE10ELNS1_11target_archE1200ELNS1_3gpuE4ELNS1_3repE0EEENS1_30default_config_static_selectorELNS0_4arch9wavefront6targetE1EEEvSO_.numbered_sgpr, 0
	.set _ZN7rocprim17ROCPRIM_400000_NS6detail17trampoline_kernelINS0_14default_configENS1_37merge_sort_block_sort_config_selectorIlNS0_10empty_typeEEEZNS1_21merge_sort_block_sortIS3_PlS8_PS5_S9_ZN2at6native12_GLOBAL__N_124unique_dim_cuda_templateIN3c108BFloat16EEESt5tupleIJNSA_6TensorESH_SH_EERKSH_lbbbEUlllE_EE10hipError_tT0_T1_T2_T3_mRjT4_P12ihipStream_tbNS1_7vsmem_tEEUlT_E_NS1_11comp_targetILNS1_3genE10ELNS1_11target_archE1200ELNS1_3gpuE4ELNS1_3repE0EEENS1_30default_config_static_selectorELNS0_4arch9wavefront6targetE1EEEvSO_.num_named_barrier, 0
	.set _ZN7rocprim17ROCPRIM_400000_NS6detail17trampoline_kernelINS0_14default_configENS1_37merge_sort_block_sort_config_selectorIlNS0_10empty_typeEEEZNS1_21merge_sort_block_sortIS3_PlS8_PS5_S9_ZN2at6native12_GLOBAL__N_124unique_dim_cuda_templateIN3c108BFloat16EEESt5tupleIJNSA_6TensorESH_SH_EERKSH_lbbbEUlllE_EE10hipError_tT0_T1_T2_T3_mRjT4_P12ihipStream_tbNS1_7vsmem_tEEUlT_E_NS1_11comp_targetILNS1_3genE10ELNS1_11target_archE1200ELNS1_3gpuE4ELNS1_3repE0EEENS1_30default_config_static_selectorELNS0_4arch9wavefront6targetE1EEEvSO_.private_seg_size, 0
	.set _ZN7rocprim17ROCPRIM_400000_NS6detail17trampoline_kernelINS0_14default_configENS1_37merge_sort_block_sort_config_selectorIlNS0_10empty_typeEEEZNS1_21merge_sort_block_sortIS3_PlS8_PS5_S9_ZN2at6native12_GLOBAL__N_124unique_dim_cuda_templateIN3c108BFloat16EEESt5tupleIJNSA_6TensorESH_SH_EERKSH_lbbbEUlllE_EE10hipError_tT0_T1_T2_T3_mRjT4_P12ihipStream_tbNS1_7vsmem_tEEUlT_E_NS1_11comp_targetILNS1_3genE10ELNS1_11target_archE1200ELNS1_3gpuE4ELNS1_3repE0EEENS1_30default_config_static_selectorELNS0_4arch9wavefront6targetE1EEEvSO_.uses_vcc, 0
	.set _ZN7rocprim17ROCPRIM_400000_NS6detail17trampoline_kernelINS0_14default_configENS1_37merge_sort_block_sort_config_selectorIlNS0_10empty_typeEEEZNS1_21merge_sort_block_sortIS3_PlS8_PS5_S9_ZN2at6native12_GLOBAL__N_124unique_dim_cuda_templateIN3c108BFloat16EEESt5tupleIJNSA_6TensorESH_SH_EERKSH_lbbbEUlllE_EE10hipError_tT0_T1_T2_T3_mRjT4_P12ihipStream_tbNS1_7vsmem_tEEUlT_E_NS1_11comp_targetILNS1_3genE10ELNS1_11target_archE1200ELNS1_3gpuE4ELNS1_3repE0EEENS1_30default_config_static_selectorELNS0_4arch9wavefront6targetE1EEEvSO_.uses_flat_scratch, 0
	.set _ZN7rocprim17ROCPRIM_400000_NS6detail17trampoline_kernelINS0_14default_configENS1_37merge_sort_block_sort_config_selectorIlNS0_10empty_typeEEEZNS1_21merge_sort_block_sortIS3_PlS8_PS5_S9_ZN2at6native12_GLOBAL__N_124unique_dim_cuda_templateIN3c108BFloat16EEESt5tupleIJNSA_6TensorESH_SH_EERKSH_lbbbEUlllE_EE10hipError_tT0_T1_T2_T3_mRjT4_P12ihipStream_tbNS1_7vsmem_tEEUlT_E_NS1_11comp_targetILNS1_3genE10ELNS1_11target_archE1200ELNS1_3gpuE4ELNS1_3repE0EEENS1_30default_config_static_selectorELNS0_4arch9wavefront6targetE1EEEvSO_.has_dyn_sized_stack, 0
	.set _ZN7rocprim17ROCPRIM_400000_NS6detail17trampoline_kernelINS0_14default_configENS1_37merge_sort_block_sort_config_selectorIlNS0_10empty_typeEEEZNS1_21merge_sort_block_sortIS3_PlS8_PS5_S9_ZN2at6native12_GLOBAL__N_124unique_dim_cuda_templateIN3c108BFloat16EEESt5tupleIJNSA_6TensorESH_SH_EERKSH_lbbbEUlllE_EE10hipError_tT0_T1_T2_T3_mRjT4_P12ihipStream_tbNS1_7vsmem_tEEUlT_E_NS1_11comp_targetILNS1_3genE10ELNS1_11target_archE1200ELNS1_3gpuE4ELNS1_3repE0EEENS1_30default_config_static_selectorELNS0_4arch9wavefront6targetE1EEEvSO_.has_recursion, 0
	.set _ZN7rocprim17ROCPRIM_400000_NS6detail17trampoline_kernelINS0_14default_configENS1_37merge_sort_block_sort_config_selectorIlNS0_10empty_typeEEEZNS1_21merge_sort_block_sortIS3_PlS8_PS5_S9_ZN2at6native12_GLOBAL__N_124unique_dim_cuda_templateIN3c108BFloat16EEESt5tupleIJNSA_6TensorESH_SH_EERKSH_lbbbEUlllE_EE10hipError_tT0_T1_T2_T3_mRjT4_P12ihipStream_tbNS1_7vsmem_tEEUlT_E_NS1_11comp_targetILNS1_3genE10ELNS1_11target_archE1200ELNS1_3gpuE4ELNS1_3repE0EEENS1_30default_config_static_selectorELNS0_4arch9wavefront6targetE1EEEvSO_.has_indirect_call, 0
	.section	.AMDGPU.csdata,"",@progbits
; Kernel info:
; codeLenInByte = 0
; TotalNumSgprs: 6
; NumVgprs: 0
; NumAgprs: 0
; TotalNumVgprs: 0
; ScratchSize: 0
; MemoryBound: 0
; FloatMode: 240
; IeeeMode: 1
; LDSByteSize: 0 bytes/workgroup (compile time only)
; SGPRBlocks: 0
; VGPRBlocks: 0
; NumSGPRsForWavesPerEU: 6
; NumVGPRsForWavesPerEU: 1
; AccumOffset: 4
; Occupancy: 8
; WaveLimiterHint : 0
; COMPUTE_PGM_RSRC2:SCRATCH_EN: 0
; COMPUTE_PGM_RSRC2:USER_SGPR: 2
; COMPUTE_PGM_RSRC2:TRAP_HANDLER: 0
; COMPUTE_PGM_RSRC2:TGID_X_EN: 1
; COMPUTE_PGM_RSRC2:TGID_Y_EN: 0
; COMPUTE_PGM_RSRC2:TGID_Z_EN: 0
; COMPUTE_PGM_RSRC2:TIDIG_COMP_CNT: 0
; COMPUTE_PGM_RSRC3_GFX90A:ACCUM_OFFSET: 0
; COMPUTE_PGM_RSRC3_GFX90A:TG_SPLIT: 0
	.section	.text._ZN7rocprim17ROCPRIM_400000_NS6detail17trampoline_kernelINS0_14default_configENS1_37merge_sort_block_sort_config_selectorIlNS0_10empty_typeEEEZNS1_21merge_sort_block_sortIS3_PlS8_PS5_S9_ZN2at6native12_GLOBAL__N_124unique_dim_cuda_templateIN3c108BFloat16EEESt5tupleIJNSA_6TensorESH_SH_EERKSH_lbbbEUlllE_EE10hipError_tT0_T1_T2_T3_mRjT4_P12ihipStream_tbNS1_7vsmem_tEEUlT_E_NS1_11comp_targetILNS1_3genE9ELNS1_11target_archE1100ELNS1_3gpuE3ELNS1_3repE0EEENS1_30default_config_static_selectorELNS0_4arch9wavefront6targetE1EEEvSO_,"axG",@progbits,_ZN7rocprim17ROCPRIM_400000_NS6detail17trampoline_kernelINS0_14default_configENS1_37merge_sort_block_sort_config_selectorIlNS0_10empty_typeEEEZNS1_21merge_sort_block_sortIS3_PlS8_PS5_S9_ZN2at6native12_GLOBAL__N_124unique_dim_cuda_templateIN3c108BFloat16EEESt5tupleIJNSA_6TensorESH_SH_EERKSH_lbbbEUlllE_EE10hipError_tT0_T1_T2_T3_mRjT4_P12ihipStream_tbNS1_7vsmem_tEEUlT_E_NS1_11comp_targetILNS1_3genE9ELNS1_11target_archE1100ELNS1_3gpuE3ELNS1_3repE0EEENS1_30default_config_static_selectorELNS0_4arch9wavefront6targetE1EEEvSO_,comdat
	.globl	_ZN7rocprim17ROCPRIM_400000_NS6detail17trampoline_kernelINS0_14default_configENS1_37merge_sort_block_sort_config_selectorIlNS0_10empty_typeEEEZNS1_21merge_sort_block_sortIS3_PlS8_PS5_S9_ZN2at6native12_GLOBAL__N_124unique_dim_cuda_templateIN3c108BFloat16EEESt5tupleIJNSA_6TensorESH_SH_EERKSH_lbbbEUlllE_EE10hipError_tT0_T1_T2_T3_mRjT4_P12ihipStream_tbNS1_7vsmem_tEEUlT_E_NS1_11comp_targetILNS1_3genE9ELNS1_11target_archE1100ELNS1_3gpuE3ELNS1_3repE0EEENS1_30default_config_static_selectorELNS0_4arch9wavefront6targetE1EEEvSO_ ; -- Begin function _ZN7rocprim17ROCPRIM_400000_NS6detail17trampoline_kernelINS0_14default_configENS1_37merge_sort_block_sort_config_selectorIlNS0_10empty_typeEEEZNS1_21merge_sort_block_sortIS3_PlS8_PS5_S9_ZN2at6native12_GLOBAL__N_124unique_dim_cuda_templateIN3c108BFloat16EEESt5tupleIJNSA_6TensorESH_SH_EERKSH_lbbbEUlllE_EE10hipError_tT0_T1_T2_T3_mRjT4_P12ihipStream_tbNS1_7vsmem_tEEUlT_E_NS1_11comp_targetILNS1_3genE9ELNS1_11target_archE1100ELNS1_3gpuE3ELNS1_3repE0EEENS1_30default_config_static_selectorELNS0_4arch9wavefront6targetE1EEEvSO_
	.p2align	8
	.type	_ZN7rocprim17ROCPRIM_400000_NS6detail17trampoline_kernelINS0_14default_configENS1_37merge_sort_block_sort_config_selectorIlNS0_10empty_typeEEEZNS1_21merge_sort_block_sortIS3_PlS8_PS5_S9_ZN2at6native12_GLOBAL__N_124unique_dim_cuda_templateIN3c108BFloat16EEESt5tupleIJNSA_6TensorESH_SH_EERKSH_lbbbEUlllE_EE10hipError_tT0_T1_T2_T3_mRjT4_P12ihipStream_tbNS1_7vsmem_tEEUlT_E_NS1_11comp_targetILNS1_3genE9ELNS1_11target_archE1100ELNS1_3gpuE3ELNS1_3repE0EEENS1_30default_config_static_selectorELNS0_4arch9wavefront6targetE1EEEvSO_,@function
_ZN7rocprim17ROCPRIM_400000_NS6detail17trampoline_kernelINS0_14default_configENS1_37merge_sort_block_sort_config_selectorIlNS0_10empty_typeEEEZNS1_21merge_sort_block_sortIS3_PlS8_PS5_S9_ZN2at6native12_GLOBAL__N_124unique_dim_cuda_templateIN3c108BFloat16EEESt5tupleIJNSA_6TensorESH_SH_EERKSH_lbbbEUlllE_EE10hipError_tT0_T1_T2_T3_mRjT4_P12ihipStream_tbNS1_7vsmem_tEEUlT_E_NS1_11comp_targetILNS1_3genE9ELNS1_11target_archE1100ELNS1_3gpuE3ELNS1_3repE0EEENS1_30default_config_static_selectorELNS0_4arch9wavefront6targetE1EEEvSO_: ; @_ZN7rocprim17ROCPRIM_400000_NS6detail17trampoline_kernelINS0_14default_configENS1_37merge_sort_block_sort_config_selectorIlNS0_10empty_typeEEEZNS1_21merge_sort_block_sortIS3_PlS8_PS5_S9_ZN2at6native12_GLOBAL__N_124unique_dim_cuda_templateIN3c108BFloat16EEESt5tupleIJNSA_6TensorESH_SH_EERKSH_lbbbEUlllE_EE10hipError_tT0_T1_T2_T3_mRjT4_P12ihipStream_tbNS1_7vsmem_tEEUlT_E_NS1_11comp_targetILNS1_3genE9ELNS1_11target_archE1100ELNS1_3gpuE3ELNS1_3repE0EEENS1_30default_config_static_selectorELNS0_4arch9wavefront6targetE1EEEvSO_
; %bb.0:
	.section	.rodata,"a",@progbits
	.p2align	6, 0x0
	.amdhsa_kernel _ZN7rocprim17ROCPRIM_400000_NS6detail17trampoline_kernelINS0_14default_configENS1_37merge_sort_block_sort_config_selectorIlNS0_10empty_typeEEEZNS1_21merge_sort_block_sortIS3_PlS8_PS5_S9_ZN2at6native12_GLOBAL__N_124unique_dim_cuda_templateIN3c108BFloat16EEESt5tupleIJNSA_6TensorESH_SH_EERKSH_lbbbEUlllE_EE10hipError_tT0_T1_T2_T3_mRjT4_P12ihipStream_tbNS1_7vsmem_tEEUlT_E_NS1_11comp_targetILNS1_3genE9ELNS1_11target_archE1100ELNS1_3gpuE3ELNS1_3repE0EEENS1_30default_config_static_selectorELNS0_4arch9wavefront6targetE1EEEvSO_
		.amdhsa_group_segment_fixed_size 0
		.amdhsa_private_segment_fixed_size 0
		.amdhsa_kernarg_size 72
		.amdhsa_user_sgpr_count 2
		.amdhsa_user_sgpr_dispatch_ptr 0
		.amdhsa_user_sgpr_queue_ptr 0
		.amdhsa_user_sgpr_kernarg_segment_ptr 1
		.amdhsa_user_sgpr_dispatch_id 0
		.amdhsa_user_sgpr_kernarg_preload_length 0
		.amdhsa_user_sgpr_kernarg_preload_offset 0
		.amdhsa_user_sgpr_private_segment_size 0
		.amdhsa_uses_dynamic_stack 0
		.amdhsa_enable_private_segment 0
		.amdhsa_system_sgpr_workgroup_id_x 1
		.amdhsa_system_sgpr_workgroup_id_y 0
		.amdhsa_system_sgpr_workgroup_id_z 0
		.amdhsa_system_sgpr_workgroup_info 0
		.amdhsa_system_vgpr_workitem_id 0
		.amdhsa_next_free_vgpr 1
		.amdhsa_next_free_sgpr 0
		.amdhsa_accum_offset 4
		.amdhsa_reserve_vcc 0
		.amdhsa_float_round_mode_32 0
		.amdhsa_float_round_mode_16_64 0
		.amdhsa_float_denorm_mode_32 3
		.amdhsa_float_denorm_mode_16_64 3
		.amdhsa_dx10_clamp 1
		.amdhsa_ieee_mode 1
		.amdhsa_fp16_overflow 0
		.amdhsa_tg_split 0
		.amdhsa_exception_fp_ieee_invalid_op 0
		.amdhsa_exception_fp_denorm_src 0
		.amdhsa_exception_fp_ieee_div_zero 0
		.amdhsa_exception_fp_ieee_overflow 0
		.amdhsa_exception_fp_ieee_underflow 0
		.amdhsa_exception_fp_ieee_inexact 0
		.amdhsa_exception_int_div_zero 0
	.end_amdhsa_kernel
	.section	.text._ZN7rocprim17ROCPRIM_400000_NS6detail17trampoline_kernelINS0_14default_configENS1_37merge_sort_block_sort_config_selectorIlNS0_10empty_typeEEEZNS1_21merge_sort_block_sortIS3_PlS8_PS5_S9_ZN2at6native12_GLOBAL__N_124unique_dim_cuda_templateIN3c108BFloat16EEESt5tupleIJNSA_6TensorESH_SH_EERKSH_lbbbEUlllE_EE10hipError_tT0_T1_T2_T3_mRjT4_P12ihipStream_tbNS1_7vsmem_tEEUlT_E_NS1_11comp_targetILNS1_3genE9ELNS1_11target_archE1100ELNS1_3gpuE3ELNS1_3repE0EEENS1_30default_config_static_selectorELNS0_4arch9wavefront6targetE1EEEvSO_,"axG",@progbits,_ZN7rocprim17ROCPRIM_400000_NS6detail17trampoline_kernelINS0_14default_configENS1_37merge_sort_block_sort_config_selectorIlNS0_10empty_typeEEEZNS1_21merge_sort_block_sortIS3_PlS8_PS5_S9_ZN2at6native12_GLOBAL__N_124unique_dim_cuda_templateIN3c108BFloat16EEESt5tupleIJNSA_6TensorESH_SH_EERKSH_lbbbEUlllE_EE10hipError_tT0_T1_T2_T3_mRjT4_P12ihipStream_tbNS1_7vsmem_tEEUlT_E_NS1_11comp_targetILNS1_3genE9ELNS1_11target_archE1100ELNS1_3gpuE3ELNS1_3repE0EEENS1_30default_config_static_selectorELNS0_4arch9wavefront6targetE1EEEvSO_,comdat
.Lfunc_end1123:
	.size	_ZN7rocprim17ROCPRIM_400000_NS6detail17trampoline_kernelINS0_14default_configENS1_37merge_sort_block_sort_config_selectorIlNS0_10empty_typeEEEZNS1_21merge_sort_block_sortIS3_PlS8_PS5_S9_ZN2at6native12_GLOBAL__N_124unique_dim_cuda_templateIN3c108BFloat16EEESt5tupleIJNSA_6TensorESH_SH_EERKSH_lbbbEUlllE_EE10hipError_tT0_T1_T2_T3_mRjT4_P12ihipStream_tbNS1_7vsmem_tEEUlT_E_NS1_11comp_targetILNS1_3genE9ELNS1_11target_archE1100ELNS1_3gpuE3ELNS1_3repE0EEENS1_30default_config_static_selectorELNS0_4arch9wavefront6targetE1EEEvSO_, .Lfunc_end1123-_ZN7rocprim17ROCPRIM_400000_NS6detail17trampoline_kernelINS0_14default_configENS1_37merge_sort_block_sort_config_selectorIlNS0_10empty_typeEEEZNS1_21merge_sort_block_sortIS3_PlS8_PS5_S9_ZN2at6native12_GLOBAL__N_124unique_dim_cuda_templateIN3c108BFloat16EEESt5tupleIJNSA_6TensorESH_SH_EERKSH_lbbbEUlllE_EE10hipError_tT0_T1_T2_T3_mRjT4_P12ihipStream_tbNS1_7vsmem_tEEUlT_E_NS1_11comp_targetILNS1_3genE9ELNS1_11target_archE1100ELNS1_3gpuE3ELNS1_3repE0EEENS1_30default_config_static_selectorELNS0_4arch9wavefront6targetE1EEEvSO_
                                        ; -- End function
	.set _ZN7rocprim17ROCPRIM_400000_NS6detail17trampoline_kernelINS0_14default_configENS1_37merge_sort_block_sort_config_selectorIlNS0_10empty_typeEEEZNS1_21merge_sort_block_sortIS3_PlS8_PS5_S9_ZN2at6native12_GLOBAL__N_124unique_dim_cuda_templateIN3c108BFloat16EEESt5tupleIJNSA_6TensorESH_SH_EERKSH_lbbbEUlllE_EE10hipError_tT0_T1_T2_T3_mRjT4_P12ihipStream_tbNS1_7vsmem_tEEUlT_E_NS1_11comp_targetILNS1_3genE9ELNS1_11target_archE1100ELNS1_3gpuE3ELNS1_3repE0EEENS1_30default_config_static_selectorELNS0_4arch9wavefront6targetE1EEEvSO_.num_vgpr, 0
	.set _ZN7rocprim17ROCPRIM_400000_NS6detail17trampoline_kernelINS0_14default_configENS1_37merge_sort_block_sort_config_selectorIlNS0_10empty_typeEEEZNS1_21merge_sort_block_sortIS3_PlS8_PS5_S9_ZN2at6native12_GLOBAL__N_124unique_dim_cuda_templateIN3c108BFloat16EEESt5tupleIJNSA_6TensorESH_SH_EERKSH_lbbbEUlllE_EE10hipError_tT0_T1_T2_T3_mRjT4_P12ihipStream_tbNS1_7vsmem_tEEUlT_E_NS1_11comp_targetILNS1_3genE9ELNS1_11target_archE1100ELNS1_3gpuE3ELNS1_3repE0EEENS1_30default_config_static_selectorELNS0_4arch9wavefront6targetE1EEEvSO_.num_agpr, 0
	.set _ZN7rocprim17ROCPRIM_400000_NS6detail17trampoline_kernelINS0_14default_configENS1_37merge_sort_block_sort_config_selectorIlNS0_10empty_typeEEEZNS1_21merge_sort_block_sortIS3_PlS8_PS5_S9_ZN2at6native12_GLOBAL__N_124unique_dim_cuda_templateIN3c108BFloat16EEESt5tupleIJNSA_6TensorESH_SH_EERKSH_lbbbEUlllE_EE10hipError_tT0_T1_T2_T3_mRjT4_P12ihipStream_tbNS1_7vsmem_tEEUlT_E_NS1_11comp_targetILNS1_3genE9ELNS1_11target_archE1100ELNS1_3gpuE3ELNS1_3repE0EEENS1_30default_config_static_selectorELNS0_4arch9wavefront6targetE1EEEvSO_.numbered_sgpr, 0
	.set _ZN7rocprim17ROCPRIM_400000_NS6detail17trampoline_kernelINS0_14default_configENS1_37merge_sort_block_sort_config_selectorIlNS0_10empty_typeEEEZNS1_21merge_sort_block_sortIS3_PlS8_PS5_S9_ZN2at6native12_GLOBAL__N_124unique_dim_cuda_templateIN3c108BFloat16EEESt5tupleIJNSA_6TensorESH_SH_EERKSH_lbbbEUlllE_EE10hipError_tT0_T1_T2_T3_mRjT4_P12ihipStream_tbNS1_7vsmem_tEEUlT_E_NS1_11comp_targetILNS1_3genE9ELNS1_11target_archE1100ELNS1_3gpuE3ELNS1_3repE0EEENS1_30default_config_static_selectorELNS0_4arch9wavefront6targetE1EEEvSO_.num_named_barrier, 0
	.set _ZN7rocprim17ROCPRIM_400000_NS6detail17trampoline_kernelINS0_14default_configENS1_37merge_sort_block_sort_config_selectorIlNS0_10empty_typeEEEZNS1_21merge_sort_block_sortIS3_PlS8_PS5_S9_ZN2at6native12_GLOBAL__N_124unique_dim_cuda_templateIN3c108BFloat16EEESt5tupleIJNSA_6TensorESH_SH_EERKSH_lbbbEUlllE_EE10hipError_tT0_T1_T2_T3_mRjT4_P12ihipStream_tbNS1_7vsmem_tEEUlT_E_NS1_11comp_targetILNS1_3genE9ELNS1_11target_archE1100ELNS1_3gpuE3ELNS1_3repE0EEENS1_30default_config_static_selectorELNS0_4arch9wavefront6targetE1EEEvSO_.private_seg_size, 0
	.set _ZN7rocprim17ROCPRIM_400000_NS6detail17trampoline_kernelINS0_14default_configENS1_37merge_sort_block_sort_config_selectorIlNS0_10empty_typeEEEZNS1_21merge_sort_block_sortIS3_PlS8_PS5_S9_ZN2at6native12_GLOBAL__N_124unique_dim_cuda_templateIN3c108BFloat16EEESt5tupleIJNSA_6TensorESH_SH_EERKSH_lbbbEUlllE_EE10hipError_tT0_T1_T2_T3_mRjT4_P12ihipStream_tbNS1_7vsmem_tEEUlT_E_NS1_11comp_targetILNS1_3genE9ELNS1_11target_archE1100ELNS1_3gpuE3ELNS1_3repE0EEENS1_30default_config_static_selectorELNS0_4arch9wavefront6targetE1EEEvSO_.uses_vcc, 0
	.set _ZN7rocprim17ROCPRIM_400000_NS6detail17trampoline_kernelINS0_14default_configENS1_37merge_sort_block_sort_config_selectorIlNS0_10empty_typeEEEZNS1_21merge_sort_block_sortIS3_PlS8_PS5_S9_ZN2at6native12_GLOBAL__N_124unique_dim_cuda_templateIN3c108BFloat16EEESt5tupleIJNSA_6TensorESH_SH_EERKSH_lbbbEUlllE_EE10hipError_tT0_T1_T2_T3_mRjT4_P12ihipStream_tbNS1_7vsmem_tEEUlT_E_NS1_11comp_targetILNS1_3genE9ELNS1_11target_archE1100ELNS1_3gpuE3ELNS1_3repE0EEENS1_30default_config_static_selectorELNS0_4arch9wavefront6targetE1EEEvSO_.uses_flat_scratch, 0
	.set _ZN7rocprim17ROCPRIM_400000_NS6detail17trampoline_kernelINS0_14default_configENS1_37merge_sort_block_sort_config_selectorIlNS0_10empty_typeEEEZNS1_21merge_sort_block_sortIS3_PlS8_PS5_S9_ZN2at6native12_GLOBAL__N_124unique_dim_cuda_templateIN3c108BFloat16EEESt5tupleIJNSA_6TensorESH_SH_EERKSH_lbbbEUlllE_EE10hipError_tT0_T1_T2_T3_mRjT4_P12ihipStream_tbNS1_7vsmem_tEEUlT_E_NS1_11comp_targetILNS1_3genE9ELNS1_11target_archE1100ELNS1_3gpuE3ELNS1_3repE0EEENS1_30default_config_static_selectorELNS0_4arch9wavefront6targetE1EEEvSO_.has_dyn_sized_stack, 0
	.set _ZN7rocprim17ROCPRIM_400000_NS6detail17trampoline_kernelINS0_14default_configENS1_37merge_sort_block_sort_config_selectorIlNS0_10empty_typeEEEZNS1_21merge_sort_block_sortIS3_PlS8_PS5_S9_ZN2at6native12_GLOBAL__N_124unique_dim_cuda_templateIN3c108BFloat16EEESt5tupleIJNSA_6TensorESH_SH_EERKSH_lbbbEUlllE_EE10hipError_tT0_T1_T2_T3_mRjT4_P12ihipStream_tbNS1_7vsmem_tEEUlT_E_NS1_11comp_targetILNS1_3genE9ELNS1_11target_archE1100ELNS1_3gpuE3ELNS1_3repE0EEENS1_30default_config_static_selectorELNS0_4arch9wavefront6targetE1EEEvSO_.has_recursion, 0
	.set _ZN7rocprim17ROCPRIM_400000_NS6detail17trampoline_kernelINS0_14default_configENS1_37merge_sort_block_sort_config_selectorIlNS0_10empty_typeEEEZNS1_21merge_sort_block_sortIS3_PlS8_PS5_S9_ZN2at6native12_GLOBAL__N_124unique_dim_cuda_templateIN3c108BFloat16EEESt5tupleIJNSA_6TensorESH_SH_EERKSH_lbbbEUlllE_EE10hipError_tT0_T1_T2_T3_mRjT4_P12ihipStream_tbNS1_7vsmem_tEEUlT_E_NS1_11comp_targetILNS1_3genE9ELNS1_11target_archE1100ELNS1_3gpuE3ELNS1_3repE0EEENS1_30default_config_static_selectorELNS0_4arch9wavefront6targetE1EEEvSO_.has_indirect_call, 0
	.section	.AMDGPU.csdata,"",@progbits
; Kernel info:
; codeLenInByte = 0
; TotalNumSgprs: 6
; NumVgprs: 0
; NumAgprs: 0
; TotalNumVgprs: 0
; ScratchSize: 0
; MemoryBound: 0
; FloatMode: 240
; IeeeMode: 1
; LDSByteSize: 0 bytes/workgroup (compile time only)
; SGPRBlocks: 0
; VGPRBlocks: 0
; NumSGPRsForWavesPerEU: 6
; NumVGPRsForWavesPerEU: 1
; AccumOffset: 4
; Occupancy: 8
; WaveLimiterHint : 0
; COMPUTE_PGM_RSRC2:SCRATCH_EN: 0
; COMPUTE_PGM_RSRC2:USER_SGPR: 2
; COMPUTE_PGM_RSRC2:TRAP_HANDLER: 0
; COMPUTE_PGM_RSRC2:TGID_X_EN: 1
; COMPUTE_PGM_RSRC2:TGID_Y_EN: 0
; COMPUTE_PGM_RSRC2:TGID_Z_EN: 0
; COMPUTE_PGM_RSRC2:TIDIG_COMP_CNT: 0
; COMPUTE_PGM_RSRC3_GFX90A:ACCUM_OFFSET: 0
; COMPUTE_PGM_RSRC3_GFX90A:TG_SPLIT: 0
	.section	.text._ZN7rocprim17ROCPRIM_400000_NS6detail17trampoline_kernelINS0_14default_configENS1_37merge_sort_block_sort_config_selectorIlNS0_10empty_typeEEEZNS1_21merge_sort_block_sortIS3_PlS8_PS5_S9_ZN2at6native12_GLOBAL__N_124unique_dim_cuda_templateIN3c108BFloat16EEESt5tupleIJNSA_6TensorESH_SH_EERKSH_lbbbEUlllE_EE10hipError_tT0_T1_T2_T3_mRjT4_P12ihipStream_tbNS1_7vsmem_tEEUlT_E_NS1_11comp_targetILNS1_3genE8ELNS1_11target_archE1030ELNS1_3gpuE2ELNS1_3repE0EEENS1_30default_config_static_selectorELNS0_4arch9wavefront6targetE1EEEvSO_,"axG",@progbits,_ZN7rocprim17ROCPRIM_400000_NS6detail17trampoline_kernelINS0_14default_configENS1_37merge_sort_block_sort_config_selectorIlNS0_10empty_typeEEEZNS1_21merge_sort_block_sortIS3_PlS8_PS5_S9_ZN2at6native12_GLOBAL__N_124unique_dim_cuda_templateIN3c108BFloat16EEESt5tupleIJNSA_6TensorESH_SH_EERKSH_lbbbEUlllE_EE10hipError_tT0_T1_T2_T3_mRjT4_P12ihipStream_tbNS1_7vsmem_tEEUlT_E_NS1_11comp_targetILNS1_3genE8ELNS1_11target_archE1030ELNS1_3gpuE2ELNS1_3repE0EEENS1_30default_config_static_selectorELNS0_4arch9wavefront6targetE1EEEvSO_,comdat
	.globl	_ZN7rocprim17ROCPRIM_400000_NS6detail17trampoline_kernelINS0_14default_configENS1_37merge_sort_block_sort_config_selectorIlNS0_10empty_typeEEEZNS1_21merge_sort_block_sortIS3_PlS8_PS5_S9_ZN2at6native12_GLOBAL__N_124unique_dim_cuda_templateIN3c108BFloat16EEESt5tupleIJNSA_6TensorESH_SH_EERKSH_lbbbEUlllE_EE10hipError_tT0_T1_T2_T3_mRjT4_P12ihipStream_tbNS1_7vsmem_tEEUlT_E_NS1_11comp_targetILNS1_3genE8ELNS1_11target_archE1030ELNS1_3gpuE2ELNS1_3repE0EEENS1_30default_config_static_selectorELNS0_4arch9wavefront6targetE1EEEvSO_ ; -- Begin function _ZN7rocprim17ROCPRIM_400000_NS6detail17trampoline_kernelINS0_14default_configENS1_37merge_sort_block_sort_config_selectorIlNS0_10empty_typeEEEZNS1_21merge_sort_block_sortIS3_PlS8_PS5_S9_ZN2at6native12_GLOBAL__N_124unique_dim_cuda_templateIN3c108BFloat16EEESt5tupleIJNSA_6TensorESH_SH_EERKSH_lbbbEUlllE_EE10hipError_tT0_T1_T2_T3_mRjT4_P12ihipStream_tbNS1_7vsmem_tEEUlT_E_NS1_11comp_targetILNS1_3genE8ELNS1_11target_archE1030ELNS1_3gpuE2ELNS1_3repE0EEENS1_30default_config_static_selectorELNS0_4arch9wavefront6targetE1EEEvSO_
	.p2align	8
	.type	_ZN7rocprim17ROCPRIM_400000_NS6detail17trampoline_kernelINS0_14default_configENS1_37merge_sort_block_sort_config_selectorIlNS0_10empty_typeEEEZNS1_21merge_sort_block_sortIS3_PlS8_PS5_S9_ZN2at6native12_GLOBAL__N_124unique_dim_cuda_templateIN3c108BFloat16EEESt5tupleIJNSA_6TensorESH_SH_EERKSH_lbbbEUlllE_EE10hipError_tT0_T1_T2_T3_mRjT4_P12ihipStream_tbNS1_7vsmem_tEEUlT_E_NS1_11comp_targetILNS1_3genE8ELNS1_11target_archE1030ELNS1_3gpuE2ELNS1_3repE0EEENS1_30default_config_static_selectorELNS0_4arch9wavefront6targetE1EEEvSO_,@function
_ZN7rocprim17ROCPRIM_400000_NS6detail17trampoline_kernelINS0_14default_configENS1_37merge_sort_block_sort_config_selectorIlNS0_10empty_typeEEEZNS1_21merge_sort_block_sortIS3_PlS8_PS5_S9_ZN2at6native12_GLOBAL__N_124unique_dim_cuda_templateIN3c108BFloat16EEESt5tupleIJNSA_6TensorESH_SH_EERKSH_lbbbEUlllE_EE10hipError_tT0_T1_T2_T3_mRjT4_P12ihipStream_tbNS1_7vsmem_tEEUlT_E_NS1_11comp_targetILNS1_3genE8ELNS1_11target_archE1030ELNS1_3gpuE2ELNS1_3repE0EEENS1_30default_config_static_selectorELNS0_4arch9wavefront6targetE1EEEvSO_: ; @_ZN7rocprim17ROCPRIM_400000_NS6detail17trampoline_kernelINS0_14default_configENS1_37merge_sort_block_sort_config_selectorIlNS0_10empty_typeEEEZNS1_21merge_sort_block_sortIS3_PlS8_PS5_S9_ZN2at6native12_GLOBAL__N_124unique_dim_cuda_templateIN3c108BFloat16EEESt5tupleIJNSA_6TensorESH_SH_EERKSH_lbbbEUlllE_EE10hipError_tT0_T1_T2_T3_mRjT4_P12ihipStream_tbNS1_7vsmem_tEEUlT_E_NS1_11comp_targetILNS1_3genE8ELNS1_11target_archE1030ELNS1_3gpuE2ELNS1_3repE0EEENS1_30default_config_static_selectorELNS0_4arch9wavefront6targetE1EEEvSO_
; %bb.0:
	.section	.rodata,"a",@progbits
	.p2align	6, 0x0
	.amdhsa_kernel _ZN7rocprim17ROCPRIM_400000_NS6detail17trampoline_kernelINS0_14default_configENS1_37merge_sort_block_sort_config_selectorIlNS0_10empty_typeEEEZNS1_21merge_sort_block_sortIS3_PlS8_PS5_S9_ZN2at6native12_GLOBAL__N_124unique_dim_cuda_templateIN3c108BFloat16EEESt5tupleIJNSA_6TensorESH_SH_EERKSH_lbbbEUlllE_EE10hipError_tT0_T1_T2_T3_mRjT4_P12ihipStream_tbNS1_7vsmem_tEEUlT_E_NS1_11comp_targetILNS1_3genE8ELNS1_11target_archE1030ELNS1_3gpuE2ELNS1_3repE0EEENS1_30default_config_static_selectorELNS0_4arch9wavefront6targetE1EEEvSO_
		.amdhsa_group_segment_fixed_size 0
		.amdhsa_private_segment_fixed_size 0
		.amdhsa_kernarg_size 72
		.amdhsa_user_sgpr_count 2
		.amdhsa_user_sgpr_dispatch_ptr 0
		.amdhsa_user_sgpr_queue_ptr 0
		.amdhsa_user_sgpr_kernarg_segment_ptr 1
		.amdhsa_user_sgpr_dispatch_id 0
		.amdhsa_user_sgpr_kernarg_preload_length 0
		.amdhsa_user_sgpr_kernarg_preload_offset 0
		.amdhsa_user_sgpr_private_segment_size 0
		.amdhsa_uses_dynamic_stack 0
		.amdhsa_enable_private_segment 0
		.amdhsa_system_sgpr_workgroup_id_x 1
		.amdhsa_system_sgpr_workgroup_id_y 0
		.amdhsa_system_sgpr_workgroup_id_z 0
		.amdhsa_system_sgpr_workgroup_info 0
		.amdhsa_system_vgpr_workitem_id 0
		.amdhsa_next_free_vgpr 1
		.amdhsa_next_free_sgpr 0
		.amdhsa_accum_offset 4
		.amdhsa_reserve_vcc 0
		.amdhsa_float_round_mode_32 0
		.amdhsa_float_round_mode_16_64 0
		.amdhsa_float_denorm_mode_32 3
		.amdhsa_float_denorm_mode_16_64 3
		.amdhsa_dx10_clamp 1
		.amdhsa_ieee_mode 1
		.amdhsa_fp16_overflow 0
		.amdhsa_tg_split 0
		.amdhsa_exception_fp_ieee_invalid_op 0
		.amdhsa_exception_fp_denorm_src 0
		.amdhsa_exception_fp_ieee_div_zero 0
		.amdhsa_exception_fp_ieee_overflow 0
		.amdhsa_exception_fp_ieee_underflow 0
		.amdhsa_exception_fp_ieee_inexact 0
		.amdhsa_exception_int_div_zero 0
	.end_amdhsa_kernel
	.section	.text._ZN7rocprim17ROCPRIM_400000_NS6detail17trampoline_kernelINS0_14default_configENS1_37merge_sort_block_sort_config_selectorIlNS0_10empty_typeEEEZNS1_21merge_sort_block_sortIS3_PlS8_PS5_S9_ZN2at6native12_GLOBAL__N_124unique_dim_cuda_templateIN3c108BFloat16EEESt5tupleIJNSA_6TensorESH_SH_EERKSH_lbbbEUlllE_EE10hipError_tT0_T1_T2_T3_mRjT4_P12ihipStream_tbNS1_7vsmem_tEEUlT_E_NS1_11comp_targetILNS1_3genE8ELNS1_11target_archE1030ELNS1_3gpuE2ELNS1_3repE0EEENS1_30default_config_static_selectorELNS0_4arch9wavefront6targetE1EEEvSO_,"axG",@progbits,_ZN7rocprim17ROCPRIM_400000_NS6detail17trampoline_kernelINS0_14default_configENS1_37merge_sort_block_sort_config_selectorIlNS0_10empty_typeEEEZNS1_21merge_sort_block_sortIS3_PlS8_PS5_S9_ZN2at6native12_GLOBAL__N_124unique_dim_cuda_templateIN3c108BFloat16EEESt5tupleIJNSA_6TensorESH_SH_EERKSH_lbbbEUlllE_EE10hipError_tT0_T1_T2_T3_mRjT4_P12ihipStream_tbNS1_7vsmem_tEEUlT_E_NS1_11comp_targetILNS1_3genE8ELNS1_11target_archE1030ELNS1_3gpuE2ELNS1_3repE0EEENS1_30default_config_static_selectorELNS0_4arch9wavefront6targetE1EEEvSO_,comdat
.Lfunc_end1124:
	.size	_ZN7rocprim17ROCPRIM_400000_NS6detail17trampoline_kernelINS0_14default_configENS1_37merge_sort_block_sort_config_selectorIlNS0_10empty_typeEEEZNS1_21merge_sort_block_sortIS3_PlS8_PS5_S9_ZN2at6native12_GLOBAL__N_124unique_dim_cuda_templateIN3c108BFloat16EEESt5tupleIJNSA_6TensorESH_SH_EERKSH_lbbbEUlllE_EE10hipError_tT0_T1_T2_T3_mRjT4_P12ihipStream_tbNS1_7vsmem_tEEUlT_E_NS1_11comp_targetILNS1_3genE8ELNS1_11target_archE1030ELNS1_3gpuE2ELNS1_3repE0EEENS1_30default_config_static_selectorELNS0_4arch9wavefront6targetE1EEEvSO_, .Lfunc_end1124-_ZN7rocprim17ROCPRIM_400000_NS6detail17trampoline_kernelINS0_14default_configENS1_37merge_sort_block_sort_config_selectorIlNS0_10empty_typeEEEZNS1_21merge_sort_block_sortIS3_PlS8_PS5_S9_ZN2at6native12_GLOBAL__N_124unique_dim_cuda_templateIN3c108BFloat16EEESt5tupleIJNSA_6TensorESH_SH_EERKSH_lbbbEUlllE_EE10hipError_tT0_T1_T2_T3_mRjT4_P12ihipStream_tbNS1_7vsmem_tEEUlT_E_NS1_11comp_targetILNS1_3genE8ELNS1_11target_archE1030ELNS1_3gpuE2ELNS1_3repE0EEENS1_30default_config_static_selectorELNS0_4arch9wavefront6targetE1EEEvSO_
                                        ; -- End function
	.set _ZN7rocprim17ROCPRIM_400000_NS6detail17trampoline_kernelINS0_14default_configENS1_37merge_sort_block_sort_config_selectorIlNS0_10empty_typeEEEZNS1_21merge_sort_block_sortIS3_PlS8_PS5_S9_ZN2at6native12_GLOBAL__N_124unique_dim_cuda_templateIN3c108BFloat16EEESt5tupleIJNSA_6TensorESH_SH_EERKSH_lbbbEUlllE_EE10hipError_tT0_T1_T2_T3_mRjT4_P12ihipStream_tbNS1_7vsmem_tEEUlT_E_NS1_11comp_targetILNS1_3genE8ELNS1_11target_archE1030ELNS1_3gpuE2ELNS1_3repE0EEENS1_30default_config_static_selectorELNS0_4arch9wavefront6targetE1EEEvSO_.num_vgpr, 0
	.set _ZN7rocprim17ROCPRIM_400000_NS6detail17trampoline_kernelINS0_14default_configENS1_37merge_sort_block_sort_config_selectorIlNS0_10empty_typeEEEZNS1_21merge_sort_block_sortIS3_PlS8_PS5_S9_ZN2at6native12_GLOBAL__N_124unique_dim_cuda_templateIN3c108BFloat16EEESt5tupleIJNSA_6TensorESH_SH_EERKSH_lbbbEUlllE_EE10hipError_tT0_T1_T2_T3_mRjT4_P12ihipStream_tbNS1_7vsmem_tEEUlT_E_NS1_11comp_targetILNS1_3genE8ELNS1_11target_archE1030ELNS1_3gpuE2ELNS1_3repE0EEENS1_30default_config_static_selectorELNS0_4arch9wavefront6targetE1EEEvSO_.num_agpr, 0
	.set _ZN7rocprim17ROCPRIM_400000_NS6detail17trampoline_kernelINS0_14default_configENS1_37merge_sort_block_sort_config_selectorIlNS0_10empty_typeEEEZNS1_21merge_sort_block_sortIS3_PlS8_PS5_S9_ZN2at6native12_GLOBAL__N_124unique_dim_cuda_templateIN3c108BFloat16EEESt5tupleIJNSA_6TensorESH_SH_EERKSH_lbbbEUlllE_EE10hipError_tT0_T1_T2_T3_mRjT4_P12ihipStream_tbNS1_7vsmem_tEEUlT_E_NS1_11comp_targetILNS1_3genE8ELNS1_11target_archE1030ELNS1_3gpuE2ELNS1_3repE0EEENS1_30default_config_static_selectorELNS0_4arch9wavefront6targetE1EEEvSO_.numbered_sgpr, 0
	.set _ZN7rocprim17ROCPRIM_400000_NS6detail17trampoline_kernelINS0_14default_configENS1_37merge_sort_block_sort_config_selectorIlNS0_10empty_typeEEEZNS1_21merge_sort_block_sortIS3_PlS8_PS5_S9_ZN2at6native12_GLOBAL__N_124unique_dim_cuda_templateIN3c108BFloat16EEESt5tupleIJNSA_6TensorESH_SH_EERKSH_lbbbEUlllE_EE10hipError_tT0_T1_T2_T3_mRjT4_P12ihipStream_tbNS1_7vsmem_tEEUlT_E_NS1_11comp_targetILNS1_3genE8ELNS1_11target_archE1030ELNS1_3gpuE2ELNS1_3repE0EEENS1_30default_config_static_selectorELNS0_4arch9wavefront6targetE1EEEvSO_.num_named_barrier, 0
	.set _ZN7rocprim17ROCPRIM_400000_NS6detail17trampoline_kernelINS0_14default_configENS1_37merge_sort_block_sort_config_selectorIlNS0_10empty_typeEEEZNS1_21merge_sort_block_sortIS3_PlS8_PS5_S9_ZN2at6native12_GLOBAL__N_124unique_dim_cuda_templateIN3c108BFloat16EEESt5tupleIJNSA_6TensorESH_SH_EERKSH_lbbbEUlllE_EE10hipError_tT0_T1_T2_T3_mRjT4_P12ihipStream_tbNS1_7vsmem_tEEUlT_E_NS1_11comp_targetILNS1_3genE8ELNS1_11target_archE1030ELNS1_3gpuE2ELNS1_3repE0EEENS1_30default_config_static_selectorELNS0_4arch9wavefront6targetE1EEEvSO_.private_seg_size, 0
	.set _ZN7rocprim17ROCPRIM_400000_NS6detail17trampoline_kernelINS0_14default_configENS1_37merge_sort_block_sort_config_selectorIlNS0_10empty_typeEEEZNS1_21merge_sort_block_sortIS3_PlS8_PS5_S9_ZN2at6native12_GLOBAL__N_124unique_dim_cuda_templateIN3c108BFloat16EEESt5tupleIJNSA_6TensorESH_SH_EERKSH_lbbbEUlllE_EE10hipError_tT0_T1_T2_T3_mRjT4_P12ihipStream_tbNS1_7vsmem_tEEUlT_E_NS1_11comp_targetILNS1_3genE8ELNS1_11target_archE1030ELNS1_3gpuE2ELNS1_3repE0EEENS1_30default_config_static_selectorELNS0_4arch9wavefront6targetE1EEEvSO_.uses_vcc, 0
	.set _ZN7rocprim17ROCPRIM_400000_NS6detail17trampoline_kernelINS0_14default_configENS1_37merge_sort_block_sort_config_selectorIlNS0_10empty_typeEEEZNS1_21merge_sort_block_sortIS3_PlS8_PS5_S9_ZN2at6native12_GLOBAL__N_124unique_dim_cuda_templateIN3c108BFloat16EEESt5tupleIJNSA_6TensorESH_SH_EERKSH_lbbbEUlllE_EE10hipError_tT0_T1_T2_T3_mRjT4_P12ihipStream_tbNS1_7vsmem_tEEUlT_E_NS1_11comp_targetILNS1_3genE8ELNS1_11target_archE1030ELNS1_3gpuE2ELNS1_3repE0EEENS1_30default_config_static_selectorELNS0_4arch9wavefront6targetE1EEEvSO_.uses_flat_scratch, 0
	.set _ZN7rocprim17ROCPRIM_400000_NS6detail17trampoline_kernelINS0_14default_configENS1_37merge_sort_block_sort_config_selectorIlNS0_10empty_typeEEEZNS1_21merge_sort_block_sortIS3_PlS8_PS5_S9_ZN2at6native12_GLOBAL__N_124unique_dim_cuda_templateIN3c108BFloat16EEESt5tupleIJNSA_6TensorESH_SH_EERKSH_lbbbEUlllE_EE10hipError_tT0_T1_T2_T3_mRjT4_P12ihipStream_tbNS1_7vsmem_tEEUlT_E_NS1_11comp_targetILNS1_3genE8ELNS1_11target_archE1030ELNS1_3gpuE2ELNS1_3repE0EEENS1_30default_config_static_selectorELNS0_4arch9wavefront6targetE1EEEvSO_.has_dyn_sized_stack, 0
	.set _ZN7rocprim17ROCPRIM_400000_NS6detail17trampoline_kernelINS0_14default_configENS1_37merge_sort_block_sort_config_selectorIlNS0_10empty_typeEEEZNS1_21merge_sort_block_sortIS3_PlS8_PS5_S9_ZN2at6native12_GLOBAL__N_124unique_dim_cuda_templateIN3c108BFloat16EEESt5tupleIJNSA_6TensorESH_SH_EERKSH_lbbbEUlllE_EE10hipError_tT0_T1_T2_T3_mRjT4_P12ihipStream_tbNS1_7vsmem_tEEUlT_E_NS1_11comp_targetILNS1_3genE8ELNS1_11target_archE1030ELNS1_3gpuE2ELNS1_3repE0EEENS1_30default_config_static_selectorELNS0_4arch9wavefront6targetE1EEEvSO_.has_recursion, 0
	.set _ZN7rocprim17ROCPRIM_400000_NS6detail17trampoline_kernelINS0_14default_configENS1_37merge_sort_block_sort_config_selectorIlNS0_10empty_typeEEEZNS1_21merge_sort_block_sortIS3_PlS8_PS5_S9_ZN2at6native12_GLOBAL__N_124unique_dim_cuda_templateIN3c108BFloat16EEESt5tupleIJNSA_6TensorESH_SH_EERKSH_lbbbEUlllE_EE10hipError_tT0_T1_T2_T3_mRjT4_P12ihipStream_tbNS1_7vsmem_tEEUlT_E_NS1_11comp_targetILNS1_3genE8ELNS1_11target_archE1030ELNS1_3gpuE2ELNS1_3repE0EEENS1_30default_config_static_selectorELNS0_4arch9wavefront6targetE1EEEvSO_.has_indirect_call, 0
	.section	.AMDGPU.csdata,"",@progbits
; Kernel info:
; codeLenInByte = 0
; TotalNumSgprs: 6
; NumVgprs: 0
; NumAgprs: 0
; TotalNumVgprs: 0
; ScratchSize: 0
; MemoryBound: 0
; FloatMode: 240
; IeeeMode: 1
; LDSByteSize: 0 bytes/workgroup (compile time only)
; SGPRBlocks: 0
; VGPRBlocks: 0
; NumSGPRsForWavesPerEU: 6
; NumVGPRsForWavesPerEU: 1
; AccumOffset: 4
; Occupancy: 8
; WaveLimiterHint : 0
; COMPUTE_PGM_RSRC2:SCRATCH_EN: 0
; COMPUTE_PGM_RSRC2:USER_SGPR: 2
; COMPUTE_PGM_RSRC2:TRAP_HANDLER: 0
; COMPUTE_PGM_RSRC2:TGID_X_EN: 1
; COMPUTE_PGM_RSRC2:TGID_Y_EN: 0
; COMPUTE_PGM_RSRC2:TGID_Z_EN: 0
; COMPUTE_PGM_RSRC2:TIDIG_COMP_CNT: 0
; COMPUTE_PGM_RSRC3_GFX90A:ACCUM_OFFSET: 0
; COMPUTE_PGM_RSRC3_GFX90A:TG_SPLIT: 0
	.section	.text._ZN7rocprim17ROCPRIM_400000_NS6detail17trampoline_kernelINS0_14default_configENS1_38merge_sort_block_merge_config_selectorIlNS0_10empty_typeEEEZZNS1_27merge_sort_block_merge_implIS3_PlPS5_mZN2at6native12_GLOBAL__N_124unique_dim_cuda_templateIN3c108BFloat16EEESt5tupleIJNSA_6TensorESH_SH_EERKSH_lbbbEUlllE_EE10hipError_tT0_T1_T2_jT3_P12ihipStream_tbPNSt15iterator_traitsISN_E10value_typeEPNST_ISO_E10value_typeEPSP_NS1_7vsmem_tEENKUlT_SN_SO_SP_E_clIS8_S8_S9_S9_EESM_S12_SN_SO_SP_EUlS12_E_NS1_11comp_targetILNS1_3genE0ELNS1_11target_archE4294967295ELNS1_3gpuE0ELNS1_3repE0EEENS1_48merge_mergepath_partition_config_static_selectorELNS0_4arch9wavefront6targetE1EEEvSO_,"axG",@progbits,_ZN7rocprim17ROCPRIM_400000_NS6detail17trampoline_kernelINS0_14default_configENS1_38merge_sort_block_merge_config_selectorIlNS0_10empty_typeEEEZZNS1_27merge_sort_block_merge_implIS3_PlPS5_mZN2at6native12_GLOBAL__N_124unique_dim_cuda_templateIN3c108BFloat16EEESt5tupleIJNSA_6TensorESH_SH_EERKSH_lbbbEUlllE_EE10hipError_tT0_T1_T2_jT3_P12ihipStream_tbPNSt15iterator_traitsISN_E10value_typeEPNST_ISO_E10value_typeEPSP_NS1_7vsmem_tEENKUlT_SN_SO_SP_E_clIS8_S8_S9_S9_EESM_S12_SN_SO_SP_EUlS12_E_NS1_11comp_targetILNS1_3genE0ELNS1_11target_archE4294967295ELNS1_3gpuE0ELNS1_3repE0EEENS1_48merge_mergepath_partition_config_static_selectorELNS0_4arch9wavefront6targetE1EEEvSO_,comdat
	.globl	_ZN7rocprim17ROCPRIM_400000_NS6detail17trampoline_kernelINS0_14default_configENS1_38merge_sort_block_merge_config_selectorIlNS0_10empty_typeEEEZZNS1_27merge_sort_block_merge_implIS3_PlPS5_mZN2at6native12_GLOBAL__N_124unique_dim_cuda_templateIN3c108BFloat16EEESt5tupleIJNSA_6TensorESH_SH_EERKSH_lbbbEUlllE_EE10hipError_tT0_T1_T2_jT3_P12ihipStream_tbPNSt15iterator_traitsISN_E10value_typeEPNST_ISO_E10value_typeEPSP_NS1_7vsmem_tEENKUlT_SN_SO_SP_E_clIS8_S8_S9_S9_EESM_S12_SN_SO_SP_EUlS12_E_NS1_11comp_targetILNS1_3genE0ELNS1_11target_archE4294967295ELNS1_3gpuE0ELNS1_3repE0EEENS1_48merge_mergepath_partition_config_static_selectorELNS0_4arch9wavefront6targetE1EEEvSO_ ; -- Begin function _ZN7rocprim17ROCPRIM_400000_NS6detail17trampoline_kernelINS0_14default_configENS1_38merge_sort_block_merge_config_selectorIlNS0_10empty_typeEEEZZNS1_27merge_sort_block_merge_implIS3_PlPS5_mZN2at6native12_GLOBAL__N_124unique_dim_cuda_templateIN3c108BFloat16EEESt5tupleIJNSA_6TensorESH_SH_EERKSH_lbbbEUlllE_EE10hipError_tT0_T1_T2_jT3_P12ihipStream_tbPNSt15iterator_traitsISN_E10value_typeEPNST_ISO_E10value_typeEPSP_NS1_7vsmem_tEENKUlT_SN_SO_SP_E_clIS8_S8_S9_S9_EESM_S12_SN_SO_SP_EUlS12_E_NS1_11comp_targetILNS1_3genE0ELNS1_11target_archE4294967295ELNS1_3gpuE0ELNS1_3repE0EEENS1_48merge_mergepath_partition_config_static_selectorELNS0_4arch9wavefront6targetE1EEEvSO_
	.p2align	8
	.type	_ZN7rocprim17ROCPRIM_400000_NS6detail17trampoline_kernelINS0_14default_configENS1_38merge_sort_block_merge_config_selectorIlNS0_10empty_typeEEEZZNS1_27merge_sort_block_merge_implIS3_PlPS5_mZN2at6native12_GLOBAL__N_124unique_dim_cuda_templateIN3c108BFloat16EEESt5tupleIJNSA_6TensorESH_SH_EERKSH_lbbbEUlllE_EE10hipError_tT0_T1_T2_jT3_P12ihipStream_tbPNSt15iterator_traitsISN_E10value_typeEPNST_ISO_E10value_typeEPSP_NS1_7vsmem_tEENKUlT_SN_SO_SP_E_clIS8_S8_S9_S9_EESM_S12_SN_SO_SP_EUlS12_E_NS1_11comp_targetILNS1_3genE0ELNS1_11target_archE4294967295ELNS1_3gpuE0ELNS1_3repE0EEENS1_48merge_mergepath_partition_config_static_selectorELNS0_4arch9wavefront6targetE1EEEvSO_,@function
_ZN7rocprim17ROCPRIM_400000_NS6detail17trampoline_kernelINS0_14default_configENS1_38merge_sort_block_merge_config_selectorIlNS0_10empty_typeEEEZZNS1_27merge_sort_block_merge_implIS3_PlPS5_mZN2at6native12_GLOBAL__N_124unique_dim_cuda_templateIN3c108BFloat16EEESt5tupleIJNSA_6TensorESH_SH_EERKSH_lbbbEUlllE_EE10hipError_tT0_T1_T2_jT3_P12ihipStream_tbPNSt15iterator_traitsISN_E10value_typeEPNST_ISO_E10value_typeEPSP_NS1_7vsmem_tEENKUlT_SN_SO_SP_E_clIS8_S8_S9_S9_EESM_S12_SN_SO_SP_EUlS12_E_NS1_11comp_targetILNS1_3genE0ELNS1_11target_archE4294967295ELNS1_3gpuE0ELNS1_3repE0EEENS1_48merge_mergepath_partition_config_static_selectorELNS0_4arch9wavefront6targetE1EEEvSO_: ; @_ZN7rocprim17ROCPRIM_400000_NS6detail17trampoline_kernelINS0_14default_configENS1_38merge_sort_block_merge_config_selectorIlNS0_10empty_typeEEEZZNS1_27merge_sort_block_merge_implIS3_PlPS5_mZN2at6native12_GLOBAL__N_124unique_dim_cuda_templateIN3c108BFloat16EEESt5tupleIJNSA_6TensorESH_SH_EERKSH_lbbbEUlllE_EE10hipError_tT0_T1_T2_jT3_P12ihipStream_tbPNSt15iterator_traitsISN_E10value_typeEPNST_ISO_E10value_typeEPSP_NS1_7vsmem_tEENKUlT_SN_SO_SP_E_clIS8_S8_S9_S9_EESM_S12_SN_SO_SP_EUlS12_E_NS1_11comp_targetILNS1_3genE0ELNS1_11target_archE4294967295ELNS1_3gpuE0ELNS1_3repE0EEENS1_48merge_mergepath_partition_config_static_selectorELNS0_4arch9wavefront6targetE1EEEvSO_
; %bb.0:
	s_load_dword s3, s[0:1], 0x0
	v_lshl_or_b32 v0, s2, 7, v0
	s_waitcnt lgkmcnt(0)
	v_cmp_gt_u32_e32 vcc, s3, v0
	s_and_saveexec_b64 s[2:3], vcc
	s_cbranch_execz .LBB1125_14
; %bb.1:
	s_load_dwordx4 s[12:15], s[0:1], 0x8
	s_load_dwordx8 s[4:11], s[0:1], 0x18
	v_mov_b32_e32 v5, 0
	v_mov_b32_e32 v7, v5
	s_waitcnt lgkmcnt(0)
	s_lshr_b64 s[0:1], s[12:13], 9
	s_and_b32 s0, s0, -2
	s_add_i32 s1, s0, -1
	s_sub_i32 s0, 0, s0
	v_and_b32_e32 v4, s0, v0
	v_lshlrev_b64 v[8:9], 10, v[4:5]
	v_mov_b32_e32 v1, s15
	v_cmp_lt_u64_e32 vcc, s[14:15], v[8:9]
	v_mov_b32_e32 v4, s14
	v_and_b32_e32 v6, s1, v0
	v_cndmask_b32_e32 v3, v9, v1, vcc
	v_cndmask_b32_e32 v2, v8, v4, vcc
	v_lshl_add_u64 v[8:9], v[8:9], 0, s[12:13]
	v_cmp_lt_u64_e32 vcc, s[14:15], v[8:9]
	s_nop 1
	v_cndmask_b32_e32 v11, v9, v1, vcc
	v_cndmask_b32_e32 v10, v8, v4, vcc
	v_lshl_add_u64 v[8:9], v[10:11], 0, s[12:13]
	v_cmp_lt_u64_e32 vcc, s[14:15], v[8:9]
	s_nop 1
	v_cndmask_b32_e32 v14, v8, v4, vcc
	v_cndmask_b32_e32 v1, v9, v1, vcc
	v_sub_co_u32_e32 v8, vcc, v14, v2
	v_lshlrev_b64 v[4:5], 10, v[6:7]
	s_nop 0
	v_subb_co_u32_e32 v9, vcc, v1, v3, vcc
	v_cmp_lt_u64_e32 vcc, v[8:9], v[4:5]
	s_nop 1
	v_cndmask_b32_e32 v13, v5, v9, vcc
	v_cndmask_b32_e32 v12, v4, v8, vcc
	v_sub_co_u32_e32 v6, vcc, v10, v2
	s_nop 1
	v_subb_co_u32_e32 v7, vcc, v11, v3, vcc
	v_sub_co_u32_e32 v4, vcc, v10, v14
	s_nop 1
	v_subb_co_u32_e32 v5, vcc, v11, v1, vcc
	v_lshl_add_u64 v[4:5], v[12:13], 0, v[4:5]
	v_cmp_gt_u64_e32 vcc, v[4:5], v[12:13]
	s_nop 1
	v_cndmask_b32_e64 v5, v5, 0, vcc
	v_cndmask_b32_e64 v4, v4, 0, vcc
	v_cmp_lt_u64_e32 vcc, v[12:13], v[6:7]
	s_nop 1
	v_cndmask_b32_e32 v7, v7, v13, vcc
	v_cndmask_b32_e32 v6, v6, v12, vcc
	v_cmp_lt_u64_e32 vcc, v[4:5], v[6:7]
	s_and_saveexec_b64 s[2:3], vcc
	s_cbranch_execz .LBB1125_13
; %bb.2:
	v_cmp_gt_i64_e64 s[0:1], s[6:7], 0
	v_lshl_add_u64 v[10:11], v[10:11], 3, s[4:5]
	v_lshl_add_u64 v[8:9], v[2:3], 3, s[4:5]
	v_cndmask_b32_e64 v1, 0, 1, s[0:1]
	s_mov_b64 s[4:5], 0
	v_lshl_add_u64 v[10:11], v[12:13], 3, v[10:11]
	s_lshl_b64 s[12:13], s[6:7], 1
	v_cmp_ne_u32_e64 s[0:1], 1, v1
	s_branch .LBB1125_5
.LBB1125_3:                             ;   in Loop: Header=BB1125_5 Depth=1
	s_or_b64 exec, exec, s[16:17]
.LBB1125_4:                             ;   in Loop: Header=BB1125_5 Depth=1
	v_lshl_add_u64 v[14:15], v[12:13], 0, 1
	v_cndmask_b32_e64 v7, v7, v13, s[14:15]
	v_cndmask_b32_e64 v6, v6, v12, s[14:15]
	;; [unrolled: 1-line block ×4, first 2 shown]
	v_cmp_ge_u64_e32 vcc, v[4:5], v[6:7]
	s_or_b64 s[4:5], vcc, s[4:5]
	s_andn2_b64 exec, exec, s[4:5]
	s_cbranch_execz .LBB1125_12
.LBB1125_5:                             ; =>This Loop Header: Depth=1
                                        ;     Child Loop BB1125_8 Depth 2
	v_lshl_add_u64 v[12:13], v[6:7], 0, v[4:5]
	v_lshrrev_b64 v[12:13], 1, v[12:13]
	s_and_b64 vcc, exec, s[0:1]
	s_mov_b64 s[14:15], 0
	s_cbranch_vccnz .LBB1125_4
; %bb.6:                                ;   in Loop: Header=BB1125_5 Depth=1
	v_not_b32_e32 v15, v13
	v_not_b32_e32 v14, v12
	v_lshl_add_u64 v[14:15], v[14:15], 3, v[10:11]
	v_lshl_add_u64 v[16:17], v[12:13], 3, v[8:9]
	global_load_dwordx2 v[14:15], v[14:15], off
	v_mov_b64_e32 v[18:19], s[8:9]
	global_load_dwordx2 v[16:17], v[16:17], off
	s_mov_b64 s[16:17], 0
                                        ; implicit-def: $sgpr14_sgpr15
                                        ; implicit-def: $sgpr18_sgpr19
                                        ; implicit-def: $sgpr26_sgpr27
	s_waitcnt vmcnt(1)
	v_mul_lo_u32 v1, s12, v15
	v_mul_lo_u32 v20, s13, v14
	v_mad_u64_u32 v[14:15], s[20:21], s12, v14, v[18:19]
	s_waitcnt vmcnt(0)
	v_mul_lo_u32 v21, s12, v17
	v_mul_lo_u32 v22, s13, v16
	v_mad_u64_u32 v[16:17], s[20:21], s12, v16, v[18:19]
	v_add3_u32 v15, v20, v15, v1
	v_add3_u32 v17, v22, v17, v21
	s_mov_b64 s[20:21], s[6:7]
	s_branch .LBB1125_8
.LBB1125_7:                             ;   in Loop: Header=BB1125_8 Depth=2
	s_or_b64 exec, exec, s[26:27]
	s_and_b64 s[24:25], exec, s[24:25]
	s_or_b64 s[16:17], s[24:25], s[16:17]
	s_andn2_b64 s[14:15], s[14:15], exec
	s_and_b64 s[24:25], s[18:19], exec
	s_or_b64 s[14:15], s[14:15], s[24:25]
	s_mov_b64 s[26:27], s[22:23]
	s_andn2_b64 exec, exec, s[16:17]
	s_cbranch_execz .LBB1125_3
.LBB1125_8:                             ;   Parent Loop BB1125_5 Depth=1
                                        ; =>  This Inner Loop Header: Depth=2
	global_load_ushort v1, v[14:15], off
	global_load_ushort v18, v[16:17], off
	s_mov_b64 s[24:25], -1
	s_mov_b64 s[28:29], 0
	s_mov_b64 s[22:23], -1
	s_waitcnt vmcnt(1)
	v_lshlrev_b32_e32 v1, 16, v1
	s_waitcnt vmcnt(0)
	v_lshlrev_b32_e32 v18, 16, v18
	v_cmp_nlt_f32_e32 vcc, v1, v18
	s_and_saveexec_b64 s[30:31], vcc
; %bb.9:                                ;   in Loop: Header=BB1125_8 Depth=2
	v_cmp_ngt_f32_e32 vcc, v1, v18
	s_and_b64 s[22:23], vcc, s[26:27]
	s_orn2_b64 s[22:23], s[22:23], exec
	s_and_b64 s[28:29], vcc, exec
; %bb.10:                               ;   in Loop: Header=BB1125_8 Depth=2
	s_or_b64 exec, exec, s[30:31]
	s_andn2_b64 s[18:19], s[18:19], exec
	s_and_b64 s[26:27], s[22:23], exec
	s_or_b64 s[18:19], s[18:19], s[26:27]
	s_and_saveexec_b64 s[26:27], s[28:29]
	s_cbranch_execz .LBB1125_7
; %bb.11:                               ;   in Loop: Header=BB1125_8 Depth=2
	s_add_u32 s20, s20, -1
	s_addc_u32 s21, s21, -1
	s_cmp_eq_u64 s[20:21], 0
	s_cselect_b64 s[24:25], -1, 0
	v_lshl_add_u64 v[14:15], v[14:15], 0, 2
	v_lshl_add_u64 v[16:17], v[16:17], 0, 2
	s_andn2_b64 s[18:19], s[18:19], exec
	s_orn2_b64 s[24:25], s[24:25], exec
	s_branch .LBB1125_7
.LBB1125_12:
	s_or_b64 exec, exec, s[4:5]
.LBB1125_13:
	s_or_b64 exec, exec, s[2:3]
	v_mov_b32_e32 v6, s10
	v_mov_b32_e32 v7, s11
	;; [unrolled: 1-line block ×3, first 2 shown]
	v_lshl_add_u64 v[2:3], v[4:5], 0, v[2:3]
	v_lshl_add_u64 v[0:1], v[0:1], 3, v[6:7]
	global_store_dwordx2 v[0:1], v[2:3], off
.LBB1125_14:
	s_endpgm
	.section	.rodata,"a",@progbits
	.p2align	6, 0x0
	.amdhsa_kernel _ZN7rocprim17ROCPRIM_400000_NS6detail17trampoline_kernelINS0_14default_configENS1_38merge_sort_block_merge_config_selectorIlNS0_10empty_typeEEEZZNS1_27merge_sort_block_merge_implIS3_PlPS5_mZN2at6native12_GLOBAL__N_124unique_dim_cuda_templateIN3c108BFloat16EEESt5tupleIJNSA_6TensorESH_SH_EERKSH_lbbbEUlllE_EE10hipError_tT0_T1_T2_jT3_P12ihipStream_tbPNSt15iterator_traitsISN_E10value_typeEPNST_ISO_E10value_typeEPSP_NS1_7vsmem_tEENKUlT_SN_SO_SP_E_clIS8_S8_S9_S9_EESM_S12_SN_SO_SP_EUlS12_E_NS1_11comp_targetILNS1_3genE0ELNS1_11target_archE4294967295ELNS1_3gpuE0ELNS1_3repE0EEENS1_48merge_mergepath_partition_config_static_selectorELNS0_4arch9wavefront6targetE1EEEvSO_
		.amdhsa_group_segment_fixed_size 0
		.amdhsa_private_segment_fixed_size 0
		.amdhsa_kernarg_size 56
		.amdhsa_user_sgpr_count 2
		.amdhsa_user_sgpr_dispatch_ptr 0
		.amdhsa_user_sgpr_queue_ptr 0
		.amdhsa_user_sgpr_kernarg_segment_ptr 1
		.amdhsa_user_sgpr_dispatch_id 0
		.amdhsa_user_sgpr_kernarg_preload_length 0
		.amdhsa_user_sgpr_kernarg_preload_offset 0
		.amdhsa_user_sgpr_private_segment_size 0
		.amdhsa_uses_dynamic_stack 0
		.amdhsa_enable_private_segment 0
		.amdhsa_system_sgpr_workgroup_id_x 1
		.amdhsa_system_sgpr_workgroup_id_y 0
		.amdhsa_system_sgpr_workgroup_id_z 0
		.amdhsa_system_sgpr_workgroup_info 0
		.amdhsa_system_vgpr_workitem_id 0
		.amdhsa_next_free_vgpr 23
		.amdhsa_next_free_sgpr 32
		.amdhsa_accum_offset 24
		.amdhsa_reserve_vcc 1
		.amdhsa_float_round_mode_32 0
		.amdhsa_float_round_mode_16_64 0
		.amdhsa_float_denorm_mode_32 3
		.amdhsa_float_denorm_mode_16_64 3
		.amdhsa_dx10_clamp 1
		.amdhsa_ieee_mode 1
		.amdhsa_fp16_overflow 0
		.amdhsa_tg_split 0
		.amdhsa_exception_fp_ieee_invalid_op 0
		.amdhsa_exception_fp_denorm_src 0
		.amdhsa_exception_fp_ieee_div_zero 0
		.amdhsa_exception_fp_ieee_overflow 0
		.amdhsa_exception_fp_ieee_underflow 0
		.amdhsa_exception_fp_ieee_inexact 0
		.amdhsa_exception_int_div_zero 0
	.end_amdhsa_kernel
	.section	.text._ZN7rocprim17ROCPRIM_400000_NS6detail17trampoline_kernelINS0_14default_configENS1_38merge_sort_block_merge_config_selectorIlNS0_10empty_typeEEEZZNS1_27merge_sort_block_merge_implIS3_PlPS5_mZN2at6native12_GLOBAL__N_124unique_dim_cuda_templateIN3c108BFloat16EEESt5tupleIJNSA_6TensorESH_SH_EERKSH_lbbbEUlllE_EE10hipError_tT0_T1_T2_jT3_P12ihipStream_tbPNSt15iterator_traitsISN_E10value_typeEPNST_ISO_E10value_typeEPSP_NS1_7vsmem_tEENKUlT_SN_SO_SP_E_clIS8_S8_S9_S9_EESM_S12_SN_SO_SP_EUlS12_E_NS1_11comp_targetILNS1_3genE0ELNS1_11target_archE4294967295ELNS1_3gpuE0ELNS1_3repE0EEENS1_48merge_mergepath_partition_config_static_selectorELNS0_4arch9wavefront6targetE1EEEvSO_,"axG",@progbits,_ZN7rocprim17ROCPRIM_400000_NS6detail17trampoline_kernelINS0_14default_configENS1_38merge_sort_block_merge_config_selectorIlNS0_10empty_typeEEEZZNS1_27merge_sort_block_merge_implIS3_PlPS5_mZN2at6native12_GLOBAL__N_124unique_dim_cuda_templateIN3c108BFloat16EEESt5tupleIJNSA_6TensorESH_SH_EERKSH_lbbbEUlllE_EE10hipError_tT0_T1_T2_jT3_P12ihipStream_tbPNSt15iterator_traitsISN_E10value_typeEPNST_ISO_E10value_typeEPSP_NS1_7vsmem_tEENKUlT_SN_SO_SP_E_clIS8_S8_S9_S9_EESM_S12_SN_SO_SP_EUlS12_E_NS1_11comp_targetILNS1_3genE0ELNS1_11target_archE4294967295ELNS1_3gpuE0ELNS1_3repE0EEENS1_48merge_mergepath_partition_config_static_selectorELNS0_4arch9wavefront6targetE1EEEvSO_,comdat
.Lfunc_end1125:
	.size	_ZN7rocprim17ROCPRIM_400000_NS6detail17trampoline_kernelINS0_14default_configENS1_38merge_sort_block_merge_config_selectorIlNS0_10empty_typeEEEZZNS1_27merge_sort_block_merge_implIS3_PlPS5_mZN2at6native12_GLOBAL__N_124unique_dim_cuda_templateIN3c108BFloat16EEESt5tupleIJNSA_6TensorESH_SH_EERKSH_lbbbEUlllE_EE10hipError_tT0_T1_T2_jT3_P12ihipStream_tbPNSt15iterator_traitsISN_E10value_typeEPNST_ISO_E10value_typeEPSP_NS1_7vsmem_tEENKUlT_SN_SO_SP_E_clIS8_S8_S9_S9_EESM_S12_SN_SO_SP_EUlS12_E_NS1_11comp_targetILNS1_3genE0ELNS1_11target_archE4294967295ELNS1_3gpuE0ELNS1_3repE0EEENS1_48merge_mergepath_partition_config_static_selectorELNS0_4arch9wavefront6targetE1EEEvSO_, .Lfunc_end1125-_ZN7rocprim17ROCPRIM_400000_NS6detail17trampoline_kernelINS0_14default_configENS1_38merge_sort_block_merge_config_selectorIlNS0_10empty_typeEEEZZNS1_27merge_sort_block_merge_implIS3_PlPS5_mZN2at6native12_GLOBAL__N_124unique_dim_cuda_templateIN3c108BFloat16EEESt5tupleIJNSA_6TensorESH_SH_EERKSH_lbbbEUlllE_EE10hipError_tT0_T1_T2_jT3_P12ihipStream_tbPNSt15iterator_traitsISN_E10value_typeEPNST_ISO_E10value_typeEPSP_NS1_7vsmem_tEENKUlT_SN_SO_SP_E_clIS8_S8_S9_S9_EESM_S12_SN_SO_SP_EUlS12_E_NS1_11comp_targetILNS1_3genE0ELNS1_11target_archE4294967295ELNS1_3gpuE0ELNS1_3repE0EEENS1_48merge_mergepath_partition_config_static_selectorELNS0_4arch9wavefront6targetE1EEEvSO_
                                        ; -- End function
	.set _ZN7rocprim17ROCPRIM_400000_NS6detail17trampoline_kernelINS0_14default_configENS1_38merge_sort_block_merge_config_selectorIlNS0_10empty_typeEEEZZNS1_27merge_sort_block_merge_implIS3_PlPS5_mZN2at6native12_GLOBAL__N_124unique_dim_cuda_templateIN3c108BFloat16EEESt5tupleIJNSA_6TensorESH_SH_EERKSH_lbbbEUlllE_EE10hipError_tT0_T1_T2_jT3_P12ihipStream_tbPNSt15iterator_traitsISN_E10value_typeEPNST_ISO_E10value_typeEPSP_NS1_7vsmem_tEENKUlT_SN_SO_SP_E_clIS8_S8_S9_S9_EESM_S12_SN_SO_SP_EUlS12_E_NS1_11comp_targetILNS1_3genE0ELNS1_11target_archE4294967295ELNS1_3gpuE0ELNS1_3repE0EEENS1_48merge_mergepath_partition_config_static_selectorELNS0_4arch9wavefront6targetE1EEEvSO_.num_vgpr, 23
	.set _ZN7rocprim17ROCPRIM_400000_NS6detail17trampoline_kernelINS0_14default_configENS1_38merge_sort_block_merge_config_selectorIlNS0_10empty_typeEEEZZNS1_27merge_sort_block_merge_implIS3_PlPS5_mZN2at6native12_GLOBAL__N_124unique_dim_cuda_templateIN3c108BFloat16EEESt5tupleIJNSA_6TensorESH_SH_EERKSH_lbbbEUlllE_EE10hipError_tT0_T1_T2_jT3_P12ihipStream_tbPNSt15iterator_traitsISN_E10value_typeEPNST_ISO_E10value_typeEPSP_NS1_7vsmem_tEENKUlT_SN_SO_SP_E_clIS8_S8_S9_S9_EESM_S12_SN_SO_SP_EUlS12_E_NS1_11comp_targetILNS1_3genE0ELNS1_11target_archE4294967295ELNS1_3gpuE0ELNS1_3repE0EEENS1_48merge_mergepath_partition_config_static_selectorELNS0_4arch9wavefront6targetE1EEEvSO_.num_agpr, 0
	.set _ZN7rocprim17ROCPRIM_400000_NS6detail17trampoline_kernelINS0_14default_configENS1_38merge_sort_block_merge_config_selectorIlNS0_10empty_typeEEEZZNS1_27merge_sort_block_merge_implIS3_PlPS5_mZN2at6native12_GLOBAL__N_124unique_dim_cuda_templateIN3c108BFloat16EEESt5tupleIJNSA_6TensorESH_SH_EERKSH_lbbbEUlllE_EE10hipError_tT0_T1_T2_jT3_P12ihipStream_tbPNSt15iterator_traitsISN_E10value_typeEPNST_ISO_E10value_typeEPSP_NS1_7vsmem_tEENKUlT_SN_SO_SP_E_clIS8_S8_S9_S9_EESM_S12_SN_SO_SP_EUlS12_E_NS1_11comp_targetILNS1_3genE0ELNS1_11target_archE4294967295ELNS1_3gpuE0ELNS1_3repE0EEENS1_48merge_mergepath_partition_config_static_selectorELNS0_4arch9wavefront6targetE1EEEvSO_.numbered_sgpr, 32
	.set _ZN7rocprim17ROCPRIM_400000_NS6detail17trampoline_kernelINS0_14default_configENS1_38merge_sort_block_merge_config_selectorIlNS0_10empty_typeEEEZZNS1_27merge_sort_block_merge_implIS3_PlPS5_mZN2at6native12_GLOBAL__N_124unique_dim_cuda_templateIN3c108BFloat16EEESt5tupleIJNSA_6TensorESH_SH_EERKSH_lbbbEUlllE_EE10hipError_tT0_T1_T2_jT3_P12ihipStream_tbPNSt15iterator_traitsISN_E10value_typeEPNST_ISO_E10value_typeEPSP_NS1_7vsmem_tEENKUlT_SN_SO_SP_E_clIS8_S8_S9_S9_EESM_S12_SN_SO_SP_EUlS12_E_NS1_11comp_targetILNS1_3genE0ELNS1_11target_archE4294967295ELNS1_3gpuE0ELNS1_3repE0EEENS1_48merge_mergepath_partition_config_static_selectorELNS0_4arch9wavefront6targetE1EEEvSO_.num_named_barrier, 0
	.set _ZN7rocprim17ROCPRIM_400000_NS6detail17trampoline_kernelINS0_14default_configENS1_38merge_sort_block_merge_config_selectorIlNS0_10empty_typeEEEZZNS1_27merge_sort_block_merge_implIS3_PlPS5_mZN2at6native12_GLOBAL__N_124unique_dim_cuda_templateIN3c108BFloat16EEESt5tupleIJNSA_6TensorESH_SH_EERKSH_lbbbEUlllE_EE10hipError_tT0_T1_T2_jT3_P12ihipStream_tbPNSt15iterator_traitsISN_E10value_typeEPNST_ISO_E10value_typeEPSP_NS1_7vsmem_tEENKUlT_SN_SO_SP_E_clIS8_S8_S9_S9_EESM_S12_SN_SO_SP_EUlS12_E_NS1_11comp_targetILNS1_3genE0ELNS1_11target_archE4294967295ELNS1_3gpuE0ELNS1_3repE0EEENS1_48merge_mergepath_partition_config_static_selectorELNS0_4arch9wavefront6targetE1EEEvSO_.private_seg_size, 0
	.set _ZN7rocprim17ROCPRIM_400000_NS6detail17trampoline_kernelINS0_14default_configENS1_38merge_sort_block_merge_config_selectorIlNS0_10empty_typeEEEZZNS1_27merge_sort_block_merge_implIS3_PlPS5_mZN2at6native12_GLOBAL__N_124unique_dim_cuda_templateIN3c108BFloat16EEESt5tupleIJNSA_6TensorESH_SH_EERKSH_lbbbEUlllE_EE10hipError_tT0_T1_T2_jT3_P12ihipStream_tbPNSt15iterator_traitsISN_E10value_typeEPNST_ISO_E10value_typeEPSP_NS1_7vsmem_tEENKUlT_SN_SO_SP_E_clIS8_S8_S9_S9_EESM_S12_SN_SO_SP_EUlS12_E_NS1_11comp_targetILNS1_3genE0ELNS1_11target_archE4294967295ELNS1_3gpuE0ELNS1_3repE0EEENS1_48merge_mergepath_partition_config_static_selectorELNS0_4arch9wavefront6targetE1EEEvSO_.uses_vcc, 1
	.set _ZN7rocprim17ROCPRIM_400000_NS6detail17trampoline_kernelINS0_14default_configENS1_38merge_sort_block_merge_config_selectorIlNS0_10empty_typeEEEZZNS1_27merge_sort_block_merge_implIS3_PlPS5_mZN2at6native12_GLOBAL__N_124unique_dim_cuda_templateIN3c108BFloat16EEESt5tupleIJNSA_6TensorESH_SH_EERKSH_lbbbEUlllE_EE10hipError_tT0_T1_T2_jT3_P12ihipStream_tbPNSt15iterator_traitsISN_E10value_typeEPNST_ISO_E10value_typeEPSP_NS1_7vsmem_tEENKUlT_SN_SO_SP_E_clIS8_S8_S9_S9_EESM_S12_SN_SO_SP_EUlS12_E_NS1_11comp_targetILNS1_3genE0ELNS1_11target_archE4294967295ELNS1_3gpuE0ELNS1_3repE0EEENS1_48merge_mergepath_partition_config_static_selectorELNS0_4arch9wavefront6targetE1EEEvSO_.uses_flat_scratch, 0
	.set _ZN7rocprim17ROCPRIM_400000_NS6detail17trampoline_kernelINS0_14default_configENS1_38merge_sort_block_merge_config_selectorIlNS0_10empty_typeEEEZZNS1_27merge_sort_block_merge_implIS3_PlPS5_mZN2at6native12_GLOBAL__N_124unique_dim_cuda_templateIN3c108BFloat16EEESt5tupleIJNSA_6TensorESH_SH_EERKSH_lbbbEUlllE_EE10hipError_tT0_T1_T2_jT3_P12ihipStream_tbPNSt15iterator_traitsISN_E10value_typeEPNST_ISO_E10value_typeEPSP_NS1_7vsmem_tEENKUlT_SN_SO_SP_E_clIS8_S8_S9_S9_EESM_S12_SN_SO_SP_EUlS12_E_NS1_11comp_targetILNS1_3genE0ELNS1_11target_archE4294967295ELNS1_3gpuE0ELNS1_3repE0EEENS1_48merge_mergepath_partition_config_static_selectorELNS0_4arch9wavefront6targetE1EEEvSO_.has_dyn_sized_stack, 0
	.set _ZN7rocprim17ROCPRIM_400000_NS6detail17trampoline_kernelINS0_14default_configENS1_38merge_sort_block_merge_config_selectorIlNS0_10empty_typeEEEZZNS1_27merge_sort_block_merge_implIS3_PlPS5_mZN2at6native12_GLOBAL__N_124unique_dim_cuda_templateIN3c108BFloat16EEESt5tupleIJNSA_6TensorESH_SH_EERKSH_lbbbEUlllE_EE10hipError_tT0_T1_T2_jT3_P12ihipStream_tbPNSt15iterator_traitsISN_E10value_typeEPNST_ISO_E10value_typeEPSP_NS1_7vsmem_tEENKUlT_SN_SO_SP_E_clIS8_S8_S9_S9_EESM_S12_SN_SO_SP_EUlS12_E_NS1_11comp_targetILNS1_3genE0ELNS1_11target_archE4294967295ELNS1_3gpuE0ELNS1_3repE0EEENS1_48merge_mergepath_partition_config_static_selectorELNS0_4arch9wavefront6targetE1EEEvSO_.has_recursion, 0
	.set _ZN7rocprim17ROCPRIM_400000_NS6detail17trampoline_kernelINS0_14default_configENS1_38merge_sort_block_merge_config_selectorIlNS0_10empty_typeEEEZZNS1_27merge_sort_block_merge_implIS3_PlPS5_mZN2at6native12_GLOBAL__N_124unique_dim_cuda_templateIN3c108BFloat16EEESt5tupleIJNSA_6TensorESH_SH_EERKSH_lbbbEUlllE_EE10hipError_tT0_T1_T2_jT3_P12ihipStream_tbPNSt15iterator_traitsISN_E10value_typeEPNST_ISO_E10value_typeEPSP_NS1_7vsmem_tEENKUlT_SN_SO_SP_E_clIS8_S8_S9_S9_EESM_S12_SN_SO_SP_EUlS12_E_NS1_11comp_targetILNS1_3genE0ELNS1_11target_archE4294967295ELNS1_3gpuE0ELNS1_3repE0EEENS1_48merge_mergepath_partition_config_static_selectorELNS0_4arch9wavefront6targetE1EEEvSO_.has_indirect_call, 0
	.section	.AMDGPU.csdata,"",@progbits
; Kernel info:
; codeLenInByte = 776
; TotalNumSgprs: 38
; NumVgprs: 23
; NumAgprs: 0
; TotalNumVgprs: 23
; ScratchSize: 0
; MemoryBound: 0
; FloatMode: 240
; IeeeMode: 1
; LDSByteSize: 0 bytes/workgroup (compile time only)
; SGPRBlocks: 4
; VGPRBlocks: 2
; NumSGPRsForWavesPerEU: 38
; NumVGPRsForWavesPerEU: 23
; AccumOffset: 24
; Occupancy: 8
; WaveLimiterHint : 0
; COMPUTE_PGM_RSRC2:SCRATCH_EN: 0
; COMPUTE_PGM_RSRC2:USER_SGPR: 2
; COMPUTE_PGM_RSRC2:TRAP_HANDLER: 0
; COMPUTE_PGM_RSRC2:TGID_X_EN: 1
; COMPUTE_PGM_RSRC2:TGID_Y_EN: 0
; COMPUTE_PGM_RSRC2:TGID_Z_EN: 0
; COMPUTE_PGM_RSRC2:TIDIG_COMP_CNT: 0
; COMPUTE_PGM_RSRC3_GFX90A:ACCUM_OFFSET: 5
; COMPUTE_PGM_RSRC3_GFX90A:TG_SPLIT: 0
	.section	.text._ZN7rocprim17ROCPRIM_400000_NS6detail17trampoline_kernelINS0_14default_configENS1_38merge_sort_block_merge_config_selectorIlNS0_10empty_typeEEEZZNS1_27merge_sort_block_merge_implIS3_PlPS5_mZN2at6native12_GLOBAL__N_124unique_dim_cuda_templateIN3c108BFloat16EEESt5tupleIJNSA_6TensorESH_SH_EERKSH_lbbbEUlllE_EE10hipError_tT0_T1_T2_jT3_P12ihipStream_tbPNSt15iterator_traitsISN_E10value_typeEPNST_ISO_E10value_typeEPSP_NS1_7vsmem_tEENKUlT_SN_SO_SP_E_clIS8_S8_S9_S9_EESM_S12_SN_SO_SP_EUlS12_E_NS1_11comp_targetILNS1_3genE10ELNS1_11target_archE1201ELNS1_3gpuE5ELNS1_3repE0EEENS1_48merge_mergepath_partition_config_static_selectorELNS0_4arch9wavefront6targetE1EEEvSO_,"axG",@progbits,_ZN7rocprim17ROCPRIM_400000_NS6detail17trampoline_kernelINS0_14default_configENS1_38merge_sort_block_merge_config_selectorIlNS0_10empty_typeEEEZZNS1_27merge_sort_block_merge_implIS3_PlPS5_mZN2at6native12_GLOBAL__N_124unique_dim_cuda_templateIN3c108BFloat16EEESt5tupleIJNSA_6TensorESH_SH_EERKSH_lbbbEUlllE_EE10hipError_tT0_T1_T2_jT3_P12ihipStream_tbPNSt15iterator_traitsISN_E10value_typeEPNST_ISO_E10value_typeEPSP_NS1_7vsmem_tEENKUlT_SN_SO_SP_E_clIS8_S8_S9_S9_EESM_S12_SN_SO_SP_EUlS12_E_NS1_11comp_targetILNS1_3genE10ELNS1_11target_archE1201ELNS1_3gpuE5ELNS1_3repE0EEENS1_48merge_mergepath_partition_config_static_selectorELNS0_4arch9wavefront6targetE1EEEvSO_,comdat
	.globl	_ZN7rocprim17ROCPRIM_400000_NS6detail17trampoline_kernelINS0_14default_configENS1_38merge_sort_block_merge_config_selectorIlNS0_10empty_typeEEEZZNS1_27merge_sort_block_merge_implIS3_PlPS5_mZN2at6native12_GLOBAL__N_124unique_dim_cuda_templateIN3c108BFloat16EEESt5tupleIJNSA_6TensorESH_SH_EERKSH_lbbbEUlllE_EE10hipError_tT0_T1_T2_jT3_P12ihipStream_tbPNSt15iterator_traitsISN_E10value_typeEPNST_ISO_E10value_typeEPSP_NS1_7vsmem_tEENKUlT_SN_SO_SP_E_clIS8_S8_S9_S9_EESM_S12_SN_SO_SP_EUlS12_E_NS1_11comp_targetILNS1_3genE10ELNS1_11target_archE1201ELNS1_3gpuE5ELNS1_3repE0EEENS1_48merge_mergepath_partition_config_static_selectorELNS0_4arch9wavefront6targetE1EEEvSO_ ; -- Begin function _ZN7rocprim17ROCPRIM_400000_NS6detail17trampoline_kernelINS0_14default_configENS1_38merge_sort_block_merge_config_selectorIlNS0_10empty_typeEEEZZNS1_27merge_sort_block_merge_implIS3_PlPS5_mZN2at6native12_GLOBAL__N_124unique_dim_cuda_templateIN3c108BFloat16EEESt5tupleIJNSA_6TensorESH_SH_EERKSH_lbbbEUlllE_EE10hipError_tT0_T1_T2_jT3_P12ihipStream_tbPNSt15iterator_traitsISN_E10value_typeEPNST_ISO_E10value_typeEPSP_NS1_7vsmem_tEENKUlT_SN_SO_SP_E_clIS8_S8_S9_S9_EESM_S12_SN_SO_SP_EUlS12_E_NS1_11comp_targetILNS1_3genE10ELNS1_11target_archE1201ELNS1_3gpuE5ELNS1_3repE0EEENS1_48merge_mergepath_partition_config_static_selectorELNS0_4arch9wavefront6targetE1EEEvSO_
	.p2align	8
	.type	_ZN7rocprim17ROCPRIM_400000_NS6detail17trampoline_kernelINS0_14default_configENS1_38merge_sort_block_merge_config_selectorIlNS0_10empty_typeEEEZZNS1_27merge_sort_block_merge_implIS3_PlPS5_mZN2at6native12_GLOBAL__N_124unique_dim_cuda_templateIN3c108BFloat16EEESt5tupleIJNSA_6TensorESH_SH_EERKSH_lbbbEUlllE_EE10hipError_tT0_T1_T2_jT3_P12ihipStream_tbPNSt15iterator_traitsISN_E10value_typeEPNST_ISO_E10value_typeEPSP_NS1_7vsmem_tEENKUlT_SN_SO_SP_E_clIS8_S8_S9_S9_EESM_S12_SN_SO_SP_EUlS12_E_NS1_11comp_targetILNS1_3genE10ELNS1_11target_archE1201ELNS1_3gpuE5ELNS1_3repE0EEENS1_48merge_mergepath_partition_config_static_selectorELNS0_4arch9wavefront6targetE1EEEvSO_,@function
_ZN7rocprim17ROCPRIM_400000_NS6detail17trampoline_kernelINS0_14default_configENS1_38merge_sort_block_merge_config_selectorIlNS0_10empty_typeEEEZZNS1_27merge_sort_block_merge_implIS3_PlPS5_mZN2at6native12_GLOBAL__N_124unique_dim_cuda_templateIN3c108BFloat16EEESt5tupleIJNSA_6TensorESH_SH_EERKSH_lbbbEUlllE_EE10hipError_tT0_T1_T2_jT3_P12ihipStream_tbPNSt15iterator_traitsISN_E10value_typeEPNST_ISO_E10value_typeEPSP_NS1_7vsmem_tEENKUlT_SN_SO_SP_E_clIS8_S8_S9_S9_EESM_S12_SN_SO_SP_EUlS12_E_NS1_11comp_targetILNS1_3genE10ELNS1_11target_archE1201ELNS1_3gpuE5ELNS1_3repE0EEENS1_48merge_mergepath_partition_config_static_selectorELNS0_4arch9wavefront6targetE1EEEvSO_: ; @_ZN7rocprim17ROCPRIM_400000_NS6detail17trampoline_kernelINS0_14default_configENS1_38merge_sort_block_merge_config_selectorIlNS0_10empty_typeEEEZZNS1_27merge_sort_block_merge_implIS3_PlPS5_mZN2at6native12_GLOBAL__N_124unique_dim_cuda_templateIN3c108BFloat16EEESt5tupleIJNSA_6TensorESH_SH_EERKSH_lbbbEUlllE_EE10hipError_tT0_T1_T2_jT3_P12ihipStream_tbPNSt15iterator_traitsISN_E10value_typeEPNST_ISO_E10value_typeEPSP_NS1_7vsmem_tEENKUlT_SN_SO_SP_E_clIS8_S8_S9_S9_EESM_S12_SN_SO_SP_EUlS12_E_NS1_11comp_targetILNS1_3genE10ELNS1_11target_archE1201ELNS1_3gpuE5ELNS1_3repE0EEENS1_48merge_mergepath_partition_config_static_selectorELNS0_4arch9wavefront6targetE1EEEvSO_
; %bb.0:
	.section	.rodata,"a",@progbits
	.p2align	6, 0x0
	.amdhsa_kernel _ZN7rocprim17ROCPRIM_400000_NS6detail17trampoline_kernelINS0_14default_configENS1_38merge_sort_block_merge_config_selectorIlNS0_10empty_typeEEEZZNS1_27merge_sort_block_merge_implIS3_PlPS5_mZN2at6native12_GLOBAL__N_124unique_dim_cuda_templateIN3c108BFloat16EEESt5tupleIJNSA_6TensorESH_SH_EERKSH_lbbbEUlllE_EE10hipError_tT0_T1_T2_jT3_P12ihipStream_tbPNSt15iterator_traitsISN_E10value_typeEPNST_ISO_E10value_typeEPSP_NS1_7vsmem_tEENKUlT_SN_SO_SP_E_clIS8_S8_S9_S9_EESM_S12_SN_SO_SP_EUlS12_E_NS1_11comp_targetILNS1_3genE10ELNS1_11target_archE1201ELNS1_3gpuE5ELNS1_3repE0EEENS1_48merge_mergepath_partition_config_static_selectorELNS0_4arch9wavefront6targetE1EEEvSO_
		.amdhsa_group_segment_fixed_size 0
		.amdhsa_private_segment_fixed_size 0
		.amdhsa_kernarg_size 56
		.amdhsa_user_sgpr_count 2
		.amdhsa_user_sgpr_dispatch_ptr 0
		.amdhsa_user_sgpr_queue_ptr 0
		.amdhsa_user_sgpr_kernarg_segment_ptr 1
		.amdhsa_user_sgpr_dispatch_id 0
		.amdhsa_user_sgpr_kernarg_preload_length 0
		.amdhsa_user_sgpr_kernarg_preload_offset 0
		.amdhsa_user_sgpr_private_segment_size 0
		.amdhsa_uses_dynamic_stack 0
		.amdhsa_enable_private_segment 0
		.amdhsa_system_sgpr_workgroup_id_x 1
		.amdhsa_system_sgpr_workgroup_id_y 0
		.amdhsa_system_sgpr_workgroup_id_z 0
		.amdhsa_system_sgpr_workgroup_info 0
		.amdhsa_system_vgpr_workitem_id 0
		.amdhsa_next_free_vgpr 1
		.amdhsa_next_free_sgpr 0
		.amdhsa_accum_offset 4
		.amdhsa_reserve_vcc 0
		.amdhsa_float_round_mode_32 0
		.amdhsa_float_round_mode_16_64 0
		.amdhsa_float_denorm_mode_32 3
		.amdhsa_float_denorm_mode_16_64 3
		.amdhsa_dx10_clamp 1
		.amdhsa_ieee_mode 1
		.amdhsa_fp16_overflow 0
		.amdhsa_tg_split 0
		.amdhsa_exception_fp_ieee_invalid_op 0
		.amdhsa_exception_fp_denorm_src 0
		.amdhsa_exception_fp_ieee_div_zero 0
		.amdhsa_exception_fp_ieee_overflow 0
		.amdhsa_exception_fp_ieee_underflow 0
		.amdhsa_exception_fp_ieee_inexact 0
		.amdhsa_exception_int_div_zero 0
	.end_amdhsa_kernel
	.section	.text._ZN7rocprim17ROCPRIM_400000_NS6detail17trampoline_kernelINS0_14default_configENS1_38merge_sort_block_merge_config_selectorIlNS0_10empty_typeEEEZZNS1_27merge_sort_block_merge_implIS3_PlPS5_mZN2at6native12_GLOBAL__N_124unique_dim_cuda_templateIN3c108BFloat16EEESt5tupleIJNSA_6TensorESH_SH_EERKSH_lbbbEUlllE_EE10hipError_tT0_T1_T2_jT3_P12ihipStream_tbPNSt15iterator_traitsISN_E10value_typeEPNST_ISO_E10value_typeEPSP_NS1_7vsmem_tEENKUlT_SN_SO_SP_E_clIS8_S8_S9_S9_EESM_S12_SN_SO_SP_EUlS12_E_NS1_11comp_targetILNS1_3genE10ELNS1_11target_archE1201ELNS1_3gpuE5ELNS1_3repE0EEENS1_48merge_mergepath_partition_config_static_selectorELNS0_4arch9wavefront6targetE1EEEvSO_,"axG",@progbits,_ZN7rocprim17ROCPRIM_400000_NS6detail17trampoline_kernelINS0_14default_configENS1_38merge_sort_block_merge_config_selectorIlNS0_10empty_typeEEEZZNS1_27merge_sort_block_merge_implIS3_PlPS5_mZN2at6native12_GLOBAL__N_124unique_dim_cuda_templateIN3c108BFloat16EEESt5tupleIJNSA_6TensorESH_SH_EERKSH_lbbbEUlllE_EE10hipError_tT0_T1_T2_jT3_P12ihipStream_tbPNSt15iterator_traitsISN_E10value_typeEPNST_ISO_E10value_typeEPSP_NS1_7vsmem_tEENKUlT_SN_SO_SP_E_clIS8_S8_S9_S9_EESM_S12_SN_SO_SP_EUlS12_E_NS1_11comp_targetILNS1_3genE10ELNS1_11target_archE1201ELNS1_3gpuE5ELNS1_3repE0EEENS1_48merge_mergepath_partition_config_static_selectorELNS0_4arch9wavefront6targetE1EEEvSO_,comdat
.Lfunc_end1126:
	.size	_ZN7rocprim17ROCPRIM_400000_NS6detail17trampoline_kernelINS0_14default_configENS1_38merge_sort_block_merge_config_selectorIlNS0_10empty_typeEEEZZNS1_27merge_sort_block_merge_implIS3_PlPS5_mZN2at6native12_GLOBAL__N_124unique_dim_cuda_templateIN3c108BFloat16EEESt5tupleIJNSA_6TensorESH_SH_EERKSH_lbbbEUlllE_EE10hipError_tT0_T1_T2_jT3_P12ihipStream_tbPNSt15iterator_traitsISN_E10value_typeEPNST_ISO_E10value_typeEPSP_NS1_7vsmem_tEENKUlT_SN_SO_SP_E_clIS8_S8_S9_S9_EESM_S12_SN_SO_SP_EUlS12_E_NS1_11comp_targetILNS1_3genE10ELNS1_11target_archE1201ELNS1_3gpuE5ELNS1_3repE0EEENS1_48merge_mergepath_partition_config_static_selectorELNS0_4arch9wavefront6targetE1EEEvSO_, .Lfunc_end1126-_ZN7rocprim17ROCPRIM_400000_NS6detail17trampoline_kernelINS0_14default_configENS1_38merge_sort_block_merge_config_selectorIlNS0_10empty_typeEEEZZNS1_27merge_sort_block_merge_implIS3_PlPS5_mZN2at6native12_GLOBAL__N_124unique_dim_cuda_templateIN3c108BFloat16EEESt5tupleIJNSA_6TensorESH_SH_EERKSH_lbbbEUlllE_EE10hipError_tT0_T1_T2_jT3_P12ihipStream_tbPNSt15iterator_traitsISN_E10value_typeEPNST_ISO_E10value_typeEPSP_NS1_7vsmem_tEENKUlT_SN_SO_SP_E_clIS8_S8_S9_S9_EESM_S12_SN_SO_SP_EUlS12_E_NS1_11comp_targetILNS1_3genE10ELNS1_11target_archE1201ELNS1_3gpuE5ELNS1_3repE0EEENS1_48merge_mergepath_partition_config_static_selectorELNS0_4arch9wavefront6targetE1EEEvSO_
                                        ; -- End function
	.set _ZN7rocprim17ROCPRIM_400000_NS6detail17trampoline_kernelINS0_14default_configENS1_38merge_sort_block_merge_config_selectorIlNS0_10empty_typeEEEZZNS1_27merge_sort_block_merge_implIS3_PlPS5_mZN2at6native12_GLOBAL__N_124unique_dim_cuda_templateIN3c108BFloat16EEESt5tupleIJNSA_6TensorESH_SH_EERKSH_lbbbEUlllE_EE10hipError_tT0_T1_T2_jT3_P12ihipStream_tbPNSt15iterator_traitsISN_E10value_typeEPNST_ISO_E10value_typeEPSP_NS1_7vsmem_tEENKUlT_SN_SO_SP_E_clIS8_S8_S9_S9_EESM_S12_SN_SO_SP_EUlS12_E_NS1_11comp_targetILNS1_3genE10ELNS1_11target_archE1201ELNS1_3gpuE5ELNS1_3repE0EEENS1_48merge_mergepath_partition_config_static_selectorELNS0_4arch9wavefront6targetE1EEEvSO_.num_vgpr, 0
	.set _ZN7rocprim17ROCPRIM_400000_NS6detail17trampoline_kernelINS0_14default_configENS1_38merge_sort_block_merge_config_selectorIlNS0_10empty_typeEEEZZNS1_27merge_sort_block_merge_implIS3_PlPS5_mZN2at6native12_GLOBAL__N_124unique_dim_cuda_templateIN3c108BFloat16EEESt5tupleIJNSA_6TensorESH_SH_EERKSH_lbbbEUlllE_EE10hipError_tT0_T1_T2_jT3_P12ihipStream_tbPNSt15iterator_traitsISN_E10value_typeEPNST_ISO_E10value_typeEPSP_NS1_7vsmem_tEENKUlT_SN_SO_SP_E_clIS8_S8_S9_S9_EESM_S12_SN_SO_SP_EUlS12_E_NS1_11comp_targetILNS1_3genE10ELNS1_11target_archE1201ELNS1_3gpuE5ELNS1_3repE0EEENS1_48merge_mergepath_partition_config_static_selectorELNS0_4arch9wavefront6targetE1EEEvSO_.num_agpr, 0
	.set _ZN7rocprim17ROCPRIM_400000_NS6detail17trampoline_kernelINS0_14default_configENS1_38merge_sort_block_merge_config_selectorIlNS0_10empty_typeEEEZZNS1_27merge_sort_block_merge_implIS3_PlPS5_mZN2at6native12_GLOBAL__N_124unique_dim_cuda_templateIN3c108BFloat16EEESt5tupleIJNSA_6TensorESH_SH_EERKSH_lbbbEUlllE_EE10hipError_tT0_T1_T2_jT3_P12ihipStream_tbPNSt15iterator_traitsISN_E10value_typeEPNST_ISO_E10value_typeEPSP_NS1_7vsmem_tEENKUlT_SN_SO_SP_E_clIS8_S8_S9_S9_EESM_S12_SN_SO_SP_EUlS12_E_NS1_11comp_targetILNS1_3genE10ELNS1_11target_archE1201ELNS1_3gpuE5ELNS1_3repE0EEENS1_48merge_mergepath_partition_config_static_selectorELNS0_4arch9wavefront6targetE1EEEvSO_.numbered_sgpr, 0
	.set _ZN7rocprim17ROCPRIM_400000_NS6detail17trampoline_kernelINS0_14default_configENS1_38merge_sort_block_merge_config_selectorIlNS0_10empty_typeEEEZZNS1_27merge_sort_block_merge_implIS3_PlPS5_mZN2at6native12_GLOBAL__N_124unique_dim_cuda_templateIN3c108BFloat16EEESt5tupleIJNSA_6TensorESH_SH_EERKSH_lbbbEUlllE_EE10hipError_tT0_T1_T2_jT3_P12ihipStream_tbPNSt15iterator_traitsISN_E10value_typeEPNST_ISO_E10value_typeEPSP_NS1_7vsmem_tEENKUlT_SN_SO_SP_E_clIS8_S8_S9_S9_EESM_S12_SN_SO_SP_EUlS12_E_NS1_11comp_targetILNS1_3genE10ELNS1_11target_archE1201ELNS1_3gpuE5ELNS1_3repE0EEENS1_48merge_mergepath_partition_config_static_selectorELNS0_4arch9wavefront6targetE1EEEvSO_.num_named_barrier, 0
	.set _ZN7rocprim17ROCPRIM_400000_NS6detail17trampoline_kernelINS0_14default_configENS1_38merge_sort_block_merge_config_selectorIlNS0_10empty_typeEEEZZNS1_27merge_sort_block_merge_implIS3_PlPS5_mZN2at6native12_GLOBAL__N_124unique_dim_cuda_templateIN3c108BFloat16EEESt5tupleIJNSA_6TensorESH_SH_EERKSH_lbbbEUlllE_EE10hipError_tT0_T1_T2_jT3_P12ihipStream_tbPNSt15iterator_traitsISN_E10value_typeEPNST_ISO_E10value_typeEPSP_NS1_7vsmem_tEENKUlT_SN_SO_SP_E_clIS8_S8_S9_S9_EESM_S12_SN_SO_SP_EUlS12_E_NS1_11comp_targetILNS1_3genE10ELNS1_11target_archE1201ELNS1_3gpuE5ELNS1_3repE0EEENS1_48merge_mergepath_partition_config_static_selectorELNS0_4arch9wavefront6targetE1EEEvSO_.private_seg_size, 0
	.set _ZN7rocprim17ROCPRIM_400000_NS6detail17trampoline_kernelINS0_14default_configENS1_38merge_sort_block_merge_config_selectorIlNS0_10empty_typeEEEZZNS1_27merge_sort_block_merge_implIS3_PlPS5_mZN2at6native12_GLOBAL__N_124unique_dim_cuda_templateIN3c108BFloat16EEESt5tupleIJNSA_6TensorESH_SH_EERKSH_lbbbEUlllE_EE10hipError_tT0_T1_T2_jT3_P12ihipStream_tbPNSt15iterator_traitsISN_E10value_typeEPNST_ISO_E10value_typeEPSP_NS1_7vsmem_tEENKUlT_SN_SO_SP_E_clIS8_S8_S9_S9_EESM_S12_SN_SO_SP_EUlS12_E_NS1_11comp_targetILNS1_3genE10ELNS1_11target_archE1201ELNS1_3gpuE5ELNS1_3repE0EEENS1_48merge_mergepath_partition_config_static_selectorELNS0_4arch9wavefront6targetE1EEEvSO_.uses_vcc, 0
	.set _ZN7rocprim17ROCPRIM_400000_NS6detail17trampoline_kernelINS0_14default_configENS1_38merge_sort_block_merge_config_selectorIlNS0_10empty_typeEEEZZNS1_27merge_sort_block_merge_implIS3_PlPS5_mZN2at6native12_GLOBAL__N_124unique_dim_cuda_templateIN3c108BFloat16EEESt5tupleIJNSA_6TensorESH_SH_EERKSH_lbbbEUlllE_EE10hipError_tT0_T1_T2_jT3_P12ihipStream_tbPNSt15iterator_traitsISN_E10value_typeEPNST_ISO_E10value_typeEPSP_NS1_7vsmem_tEENKUlT_SN_SO_SP_E_clIS8_S8_S9_S9_EESM_S12_SN_SO_SP_EUlS12_E_NS1_11comp_targetILNS1_3genE10ELNS1_11target_archE1201ELNS1_3gpuE5ELNS1_3repE0EEENS1_48merge_mergepath_partition_config_static_selectorELNS0_4arch9wavefront6targetE1EEEvSO_.uses_flat_scratch, 0
	.set _ZN7rocprim17ROCPRIM_400000_NS6detail17trampoline_kernelINS0_14default_configENS1_38merge_sort_block_merge_config_selectorIlNS0_10empty_typeEEEZZNS1_27merge_sort_block_merge_implIS3_PlPS5_mZN2at6native12_GLOBAL__N_124unique_dim_cuda_templateIN3c108BFloat16EEESt5tupleIJNSA_6TensorESH_SH_EERKSH_lbbbEUlllE_EE10hipError_tT0_T1_T2_jT3_P12ihipStream_tbPNSt15iterator_traitsISN_E10value_typeEPNST_ISO_E10value_typeEPSP_NS1_7vsmem_tEENKUlT_SN_SO_SP_E_clIS8_S8_S9_S9_EESM_S12_SN_SO_SP_EUlS12_E_NS1_11comp_targetILNS1_3genE10ELNS1_11target_archE1201ELNS1_3gpuE5ELNS1_3repE0EEENS1_48merge_mergepath_partition_config_static_selectorELNS0_4arch9wavefront6targetE1EEEvSO_.has_dyn_sized_stack, 0
	.set _ZN7rocprim17ROCPRIM_400000_NS6detail17trampoline_kernelINS0_14default_configENS1_38merge_sort_block_merge_config_selectorIlNS0_10empty_typeEEEZZNS1_27merge_sort_block_merge_implIS3_PlPS5_mZN2at6native12_GLOBAL__N_124unique_dim_cuda_templateIN3c108BFloat16EEESt5tupleIJNSA_6TensorESH_SH_EERKSH_lbbbEUlllE_EE10hipError_tT0_T1_T2_jT3_P12ihipStream_tbPNSt15iterator_traitsISN_E10value_typeEPNST_ISO_E10value_typeEPSP_NS1_7vsmem_tEENKUlT_SN_SO_SP_E_clIS8_S8_S9_S9_EESM_S12_SN_SO_SP_EUlS12_E_NS1_11comp_targetILNS1_3genE10ELNS1_11target_archE1201ELNS1_3gpuE5ELNS1_3repE0EEENS1_48merge_mergepath_partition_config_static_selectorELNS0_4arch9wavefront6targetE1EEEvSO_.has_recursion, 0
	.set _ZN7rocprim17ROCPRIM_400000_NS6detail17trampoline_kernelINS0_14default_configENS1_38merge_sort_block_merge_config_selectorIlNS0_10empty_typeEEEZZNS1_27merge_sort_block_merge_implIS3_PlPS5_mZN2at6native12_GLOBAL__N_124unique_dim_cuda_templateIN3c108BFloat16EEESt5tupleIJNSA_6TensorESH_SH_EERKSH_lbbbEUlllE_EE10hipError_tT0_T1_T2_jT3_P12ihipStream_tbPNSt15iterator_traitsISN_E10value_typeEPNST_ISO_E10value_typeEPSP_NS1_7vsmem_tEENKUlT_SN_SO_SP_E_clIS8_S8_S9_S9_EESM_S12_SN_SO_SP_EUlS12_E_NS1_11comp_targetILNS1_3genE10ELNS1_11target_archE1201ELNS1_3gpuE5ELNS1_3repE0EEENS1_48merge_mergepath_partition_config_static_selectorELNS0_4arch9wavefront6targetE1EEEvSO_.has_indirect_call, 0
	.section	.AMDGPU.csdata,"",@progbits
; Kernel info:
; codeLenInByte = 0
; TotalNumSgprs: 6
; NumVgprs: 0
; NumAgprs: 0
; TotalNumVgprs: 0
; ScratchSize: 0
; MemoryBound: 0
; FloatMode: 240
; IeeeMode: 1
; LDSByteSize: 0 bytes/workgroup (compile time only)
; SGPRBlocks: 0
; VGPRBlocks: 0
; NumSGPRsForWavesPerEU: 6
; NumVGPRsForWavesPerEU: 1
; AccumOffset: 4
; Occupancy: 8
; WaveLimiterHint : 0
; COMPUTE_PGM_RSRC2:SCRATCH_EN: 0
; COMPUTE_PGM_RSRC2:USER_SGPR: 2
; COMPUTE_PGM_RSRC2:TRAP_HANDLER: 0
; COMPUTE_PGM_RSRC2:TGID_X_EN: 1
; COMPUTE_PGM_RSRC2:TGID_Y_EN: 0
; COMPUTE_PGM_RSRC2:TGID_Z_EN: 0
; COMPUTE_PGM_RSRC2:TIDIG_COMP_CNT: 0
; COMPUTE_PGM_RSRC3_GFX90A:ACCUM_OFFSET: 0
; COMPUTE_PGM_RSRC3_GFX90A:TG_SPLIT: 0
	.section	.text._ZN7rocprim17ROCPRIM_400000_NS6detail17trampoline_kernelINS0_14default_configENS1_38merge_sort_block_merge_config_selectorIlNS0_10empty_typeEEEZZNS1_27merge_sort_block_merge_implIS3_PlPS5_mZN2at6native12_GLOBAL__N_124unique_dim_cuda_templateIN3c108BFloat16EEESt5tupleIJNSA_6TensorESH_SH_EERKSH_lbbbEUlllE_EE10hipError_tT0_T1_T2_jT3_P12ihipStream_tbPNSt15iterator_traitsISN_E10value_typeEPNST_ISO_E10value_typeEPSP_NS1_7vsmem_tEENKUlT_SN_SO_SP_E_clIS8_S8_S9_S9_EESM_S12_SN_SO_SP_EUlS12_E_NS1_11comp_targetILNS1_3genE5ELNS1_11target_archE942ELNS1_3gpuE9ELNS1_3repE0EEENS1_48merge_mergepath_partition_config_static_selectorELNS0_4arch9wavefront6targetE1EEEvSO_,"axG",@progbits,_ZN7rocprim17ROCPRIM_400000_NS6detail17trampoline_kernelINS0_14default_configENS1_38merge_sort_block_merge_config_selectorIlNS0_10empty_typeEEEZZNS1_27merge_sort_block_merge_implIS3_PlPS5_mZN2at6native12_GLOBAL__N_124unique_dim_cuda_templateIN3c108BFloat16EEESt5tupleIJNSA_6TensorESH_SH_EERKSH_lbbbEUlllE_EE10hipError_tT0_T1_T2_jT3_P12ihipStream_tbPNSt15iterator_traitsISN_E10value_typeEPNST_ISO_E10value_typeEPSP_NS1_7vsmem_tEENKUlT_SN_SO_SP_E_clIS8_S8_S9_S9_EESM_S12_SN_SO_SP_EUlS12_E_NS1_11comp_targetILNS1_3genE5ELNS1_11target_archE942ELNS1_3gpuE9ELNS1_3repE0EEENS1_48merge_mergepath_partition_config_static_selectorELNS0_4arch9wavefront6targetE1EEEvSO_,comdat
	.globl	_ZN7rocprim17ROCPRIM_400000_NS6detail17trampoline_kernelINS0_14default_configENS1_38merge_sort_block_merge_config_selectorIlNS0_10empty_typeEEEZZNS1_27merge_sort_block_merge_implIS3_PlPS5_mZN2at6native12_GLOBAL__N_124unique_dim_cuda_templateIN3c108BFloat16EEESt5tupleIJNSA_6TensorESH_SH_EERKSH_lbbbEUlllE_EE10hipError_tT0_T1_T2_jT3_P12ihipStream_tbPNSt15iterator_traitsISN_E10value_typeEPNST_ISO_E10value_typeEPSP_NS1_7vsmem_tEENKUlT_SN_SO_SP_E_clIS8_S8_S9_S9_EESM_S12_SN_SO_SP_EUlS12_E_NS1_11comp_targetILNS1_3genE5ELNS1_11target_archE942ELNS1_3gpuE9ELNS1_3repE0EEENS1_48merge_mergepath_partition_config_static_selectorELNS0_4arch9wavefront6targetE1EEEvSO_ ; -- Begin function _ZN7rocprim17ROCPRIM_400000_NS6detail17trampoline_kernelINS0_14default_configENS1_38merge_sort_block_merge_config_selectorIlNS0_10empty_typeEEEZZNS1_27merge_sort_block_merge_implIS3_PlPS5_mZN2at6native12_GLOBAL__N_124unique_dim_cuda_templateIN3c108BFloat16EEESt5tupleIJNSA_6TensorESH_SH_EERKSH_lbbbEUlllE_EE10hipError_tT0_T1_T2_jT3_P12ihipStream_tbPNSt15iterator_traitsISN_E10value_typeEPNST_ISO_E10value_typeEPSP_NS1_7vsmem_tEENKUlT_SN_SO_SP_E_clIS8_S8_S9_S9_EESM_S12_SN_SO_SP_EUlS12_E_NS1_11comp_targetILNS1_3genE5ELNS1_11target_archE942ELNS1_3gpuE9ELNS1_3repE0EEENS1_48merge_mergepath_partition_config_static_selectorELNS0_4arch9wavefront6targetE1EEEvSO_
	.p2align	8
	.type	_ZN7rocprim17ROCPRIM_400000_NS6detail17trampoline_kernelINS0_14default_configENS1_38merge_sort_block_merge_config_selectorIlNS0_10empty_typeEEEZZNS1_27merge_sort_block_merge_implIS3_PlPS5_mZN2at6native12_GLOBAL__N_124unique_dim_cuda_templateIN3c108BFloat16EEESt5tupleIJNSA_6TensorESH_SH_EERKSH_lbbbEUlllE_EE10hipError_tT0_T1_T2_jT3_P12ihipStream_tbPNSt15iterator_traitsISN_E10value_typeEPNST_ISO_E10value_typeEPSP_NS1_7vsmem_tEENKUlT_SN_SO_SP_E_clIS8_S8_S9_S9_EESM_S12_SN_SO_SP_EUlS12_E_NS1_11comp_targetILNS1_3genE5ELNS1_11target_archE942ELNS1_3gpuE9ELNS1_3repE0EEENS1_48merge_mergepath_partition_config_static_selectorELNS0_4arch9wavefront6targetE1EEEvSO_,@function
_ZN7rocprim17ROCPRIM_400000_NS6detail17trampoline_kernelINS0_14default_configENS1_38merge_sort_block_merge_config_selectorIlNS0_10empty_typeEEEZZNS1_27merge_sort_block_merge_implIS3_PlPS5_mZN2at6native12_GLOBAL__N_124unique_dim_cuda_templateIN3c108BFloat16EEESt5tupleIJNSA_6TensorESH_SH_EERKSH_lbbbEUlllE_EE10hipError_tT0_T1_T2_jT3_P12ihipStream_tbPNSt15iterator_traitsISN_E10value_typeEPNST_ISO_E10value_typeEPSP_NS1_7vsmem_tEENKUlT_SN_SO_SP_E_clIS8_S8_S9_S9_EESM_S12_SN_SO_SP_EUlS12_E_NS1_11comp_targetILNS1_3genE5ELNS1_11target_archE942ELNS1_3gpuE9ELNS1_3repE0EEENS1_48merge_mergepath_partition_config_static_selectorELNS0_4arch9wavefront6targetE1EEEvSO_: ; @_ZN7rocprim17ROCPRIM_400000_NS6detail17trampoline_kernelINS0_14default_configENS1_38merge_sort_block_merge_config_selectorIlNS0_10empty_typeEEEZZNS1_27merge_sort_block_merge_implIS3_PlPS5_mZN2at6native12_GLOBAL__N_124unique_dim_cuda_templateIN3c108BFloat16EEESt5tupleIJNSA_6TensorESH_SH_EERKSH_lbbbEUlllE_EE10hipError_tT0_T1_T2_jT3_P12ihipStream_tbPNSt15iterator_traitsISN_E10value_typeEPNST_ISO_E10value_typeEPSP_NS1_7vsmem_tEENKUlT_SN_SO_SP_E_clIS8_S8_S9_S9_EESM_S12_SN_SO_SP_EUlS12_E_NS1_11comp_targetILNS1_3genE5ELNS1_11target_archE942ELNS1_3gpuE9ELNS1_3repE0EEENS1_48merge_mergepath_partition_config_static_selectorELNS0_4arch9wavefront6targetE1EEEvSO_
; %bb.0:
	.section	.rodata,"a",@progbits
	.p2align	6, 0x0
	.amdhsa_kernel _ZN7rocprim17ROCPRIM_400000_NS6detail17trampoline_kernelINS0_14default_configENS1_38merge_sort_block_merge_config_selectorIlNS0_10empty_typeEEEZZNS1_27merge_sort_block_merge_implIS3_PlPS5_mZN2at6native12_GLOBAL__N_124unique_dim_cuda_templateIN3c108BFloat16EEESt5tupleIJNSA_6TensorESH_SH_EERKSH_lbbbEUlllE_EE10hipError_tT0_T1_T2_jT3_P12ihipStream_tbPNSt15iterator_traitsISN_E10value_typeEPNST_ISO_E10value_typeEPSP_NS1_7vsmem_tEENKUlT_SN_SO_SP_E_clIS8_S8_S9_S9_EESM_S12_SN_SO_SP_EUlS12_E_NS1_11comp_targetILNS1_3genE5ELNS1_11target_archE942ELNS1_3gpuE9ELNS1_3repE0EEENS1_48merge_mergepath_partition_config_static_selectorELNS0_4arch9wavefront6targetE1EEEvSO_
		.amdhsa_group_segment_fixed_size 0
		.amdhsa_private_segment_fixed_size 0
		.amdhsa_kernarg_size 56
		.amdhsa_user_sgpr_count 2
		.amdhsa_user_sgpr_dispatch_ptr 0
		.amdhsa_user_sgpr_queue_ptr 0
		.amdhsa_user_sgpr_kernarg_segment_ptr 1
		.amdhsa_user_sgpr_dispatch_id 0
		.amdhsa_user_sgpr_kernarg_preload_length 0
		.amdhsa_user_sgpr_kernarg_preload_offset 0
		.amdhsa_user_sgpr_private_segment_size 0
		.amdhsa_uses_dynamic_stack 0
		.amdhsa_enable_private_segment 0
		.amdhsa_system_sgpr_workgroup_id_x 1
		.amdhsa_system_sgpr_workgroup_id_y 0
		.amdhsa_system_sgpr_workgroup_id_z 0
		.amdhsa_system_sgpr_workgroup_info 0
		.amdhsa_system_vgpr_workitem_id 0
		.amdhsa_next_free_vgpr 1
		.amdhsa_next_free_sgpr 0
		.amdhsa_accum_offset 4
		.amdhsa_reserve_vcc 0
		.amdhsa_float_round_mode_32 0
		.amdhsa_float_round_mode_16_64 0
		.amdhsa_float_denorm_mode_32 3
		.amdhsa_float_denorm_mode_16_64 3
		.amdhsa_dx10_clamp 1
		.amdhsa_ieee_mode 1
		.amdhsa_fp16_overflow 0
		.amdhsa_tg_split 0
		.amdhsa_exception_fp_ieee_invalid_op 0
		.amdhsa_exception_fp_denorm_src 0
		.amdhsa_exception_fp_ieee_div_zero 0
		.amdhsa_exception_fp_ieee_overflow 0
		.amdhsa_exception_fp_ieee_underflow 0
		.amdhsa_exception_fp_ieee_inexact 0
		.amdhsa_exception_int_div_zero 0
	.end_amdhsa_kernel
	.section	.text._ZN7rocprim17ROCPRIM_400000_NS6detail17trampoline_kernelINS0_14default_configENS1_38merge_sort_block_merge_config_selectorIlNS0_10empty_typeEEEZZNS1_27merge_sort_block_merge_implIS3_PlPS5_mZN2at6native12_GLOBAL__N_124unique_dim_cuda_templateIN3c108BFloat16EEESt5tupleIJNSA_6TensorESH_SH_EERKSH_lbbbEUlllE_EE10hipError_tT0_T1_T2_jT3_P12ihipStream_tbPNSt15iterator_traitsISN_E10value_typeEPNST_ISO_E10value_typeEPSP_NS1_7vsmem_tEENKUlT_SN_SO_SP_E_clIS8_S8_S9_S9_EESM_S12_SN_SO_SP_EUlS12_E_NS1_11comp_targetILNS1_3genE5ELNS1_11target_archE942ELNS1_3gpuE9ELNS1_3repE0EEENS1_48merge_mergepath_partition_config_static_selectorELNS0_4arch9wavefront6targetE1EEEvSO_,"axG",@progbits,_ZN7rocprim17ROCPRIM_400000_NS6detail17trampoline_kernelINS0_14default_configENS1_38merge_sort_block_merge_config_selectorIlNS0_10empty_typeEEEZZNS1_27merge_sort_block_merge_implIS3_PlPS5_mZN2at6native12_GLOBAL__N_124unique_dim_cuda_templateIN3c108BFloat16EEESt5tupleIJNSA_6TensorESH_SH_EERKSH_lbbbEUlllE_EE10hipError_tT0_T1_T2_jT3_P12ihipStream_tbPNSt15iterator_traitsISN_E10value_typeEPNST_ISO_E10value_typeEPSP_NS1_7vsmem_tEENKUlT_SN_SO_SP_E_clIS8_S8_S9_S9_EESM_S12_SN_SO_SP_EUlS12_E_NS1_11comp_targetILNS1_3genE5ELNS1_11target_archE942ELNS1_3gpuE9ELNS1_3repE0EEENS1_48merge_mergepath_partition_config_static_selectorELNS0_4arch9wavefront6targetE1EEEvSO_,comdat
.Lfunc_end1127:
	.size	_ZN7rocprim17ROCPRIM_400000_NS6detail17trampoline_kernelINS0_14default_configENS1_38merge_sort_block_merge_config_selectorIlNS0_10empty_typeEEEZZNS1_27merge_sort_block_merge_implIS3_PlPS5_mZN2at6native12_GLOBAL__N_124unique_dim_cuda_templateIN3c108BFloat16EEESt5tupleIJNSA_6TensorESH_SH_EERKSH_lbbbEUlllE_EE10hipError_tT0_T1_T2_jT3_P12ihipStream_tbPNSt15iterator_traitsISN_E10value_typeEPNST_ISO_E10value_typeEPSP_NS1_7vsmem_tEENKUlT_SN_SO_SP_E_clIS8_S8_S9_S9_EESM_S12_SN_SO_SP_EUlS12_E_NS1_11comp_targetILNS1_3genE5ELNS1_11target_archE942ELNS1_3gpuE9ELNS1_3repE0EEENS1_48merge_mergepath_partition_config_static_selectorELNS0_4arch9wavefront6targetE1EEEvSO_, .Lfunc_end1127-_ZN7rocprim17ROCPRIM_400000_NS6detail17trampoline_kernelINS0_14default_configENS1_38merge_sort_block_merge_config_selectorIlNS0_10empty_typeEEEZZNS1_27merge_sort_block_merge_implIS3_PlPS5_mZN2at6native12_GLOBAL__N_124unique_dim_cuda_templateIN3c108BFloat16EEESt5tupleIJNSA_6TensorESH_SH_EERKSH_lbbbEUlllE_EE10hipError_tT0_T1_T2_jT3_P12ihipStream_tbPNSt15iterator_traitsISN_E10value_typeEPNST_ISO_E10value_typeEPSP_NS1_7vsmem_tEENKUlT_SN_SO_SP_E_clIS8_S8_S9_S9_EESM_S12_SN_SO_SP_EUlS12_E_NS1_11comp_targetILNS1_3genE5ELNS1_11target_archE942ELNS1_3gpuE9ELNS1_3repE0EEENS1_48merge_mergepath_partition_config_static_selectorELNS0_4arch9wavefront6targetE1EEEvSO_
                                        ; -- End function
	.set _ZN7rocprim17ROCPRIM_400000_NS6detail17trampoline_kernelINS0_14default_configENS1_38merge_sort_block_merge_config_selectorIlNS0_10empty_typeEEEZZNS1_27merge_sort_block_merge_implIS3_PlPS5_mZN2at6native12_GLOBAL__N_124unique_dim_cuda_templateIN3c108BFloat16EEESt5tupleIJNSA_6TensorESH_SH_EERKSH_lbbbEUlllE_EE10hipError_tT0_T1_T2_jT3_P12ihipStream_tbPNSt15iterator_traitsISN_E10value_typeEPNST_ISO_E10value_typeEPSP_NS1_7vsmem_tEENKUlT_SN_SO_SP_E_clIS8_S8_S9_S9_EESM_S12_SN_SO_SP_EUlS12_E_NS1_11comp_targetILNS1_3genE5ELNS1_11target_archE942ELNS1_3gpuE9ELNS1_3repE0EEENS1_48merge_mergepath_partition_config_static_selectorELNS0_4arch9wavefront6targetE1EEEvSO_.num_vgpr, 0
	.set _ZN7rocprim17ROCPRIM_400000_NS6detail17trampoline_kernelINS0_14default_configENS1_38merge_sort_block_merge_config_selectorIlNS0_10empty_typeEEEZZNS1_27merge_sort_block_merge_implIS3_PlPS5_mZN2at6native12_GLOBAL__N_124unique_dim_cuda_templateIN3c108BFloat16EEESt5tupleIJNSA_6TensorESH_SH_EERKSH_lbbbEUlllE_EE10hipError_tT0_T1_T2_jT3_P12ihipStream_tbPNSt15iterator_traitsISN_E10value_typeEPNST_ISO_E10value_typeEPSP_NS1_7vsmem_tEENKUlT_SN_SO_SP_E_clIS8_S8_S9_S9_EESM_S12_SN_SO_SP_EUlS12_E_NS1_11comp_targetILNS1_3genE5ELNS1_11target_archE942ELNS1_3gpuE9ELNS1_3repE0EEENS1_48merge_mergepath_partition_config_static_selectorELNS0_4arch9wavefront6targetE1EEEvSO_.num_agpr, 0
	.set _ZN7rocprim17ROCPRIM_400000_NS6detail17trampoline_kernelINS0_14default_configENS1_38merge_sort_block_merge_config_selectorIlNS0_10empty_typeEEEZZNS1_27merge_sort_block_merge_implIS3_PlPS5_mZN2at6native12_GLOBAL__N_124unique_dim_cuda_templateIN3c108BFloat16EEESt5tupleIJNSA_6TensorESH_SH_EERKSH_lbbbEUlllE_EE10hipError_tT0_T1_T2_jT3_P12ihipStream_tbPNSt15iterator_traitsISN_E10value_typeEPNST_ISO_E10value_typeEPSP_NS1_7vsmem_tEENKUlT_SN_SO_SP_E_clIS8_S8_S9_S9_EESM_S12_SN_SO_SP_EUlS12_E_NS1_11comp_targetILNS1_3genE5ELNS1_11target_archE942ELNS1_3gpuE9ELNS1_3repE0EEENS1_48merge_mergepath_partition_config_static_selectorELNS0_4arch9wavefront6targetE1EEEvSO_.numbered_sgpr, 0
	.set _ZN7rocprim17ROCPRIM_400000_NS6detail17trampoline_kernelINS0_14default_configENS1_38merge_sort_block_merge_config_selectorIlNS0_10empty_typeEEEZZNS1_27merge_sort_block_merge_implIS3_PlPS5_mZN2at6native12_GLOBAL__N_124unique_dim_cuda_templateIN3c108BFloat16EEESt5tupleIJNSA_6TensorESH_SH_EERKSH_lbbbEUlllE_EE10hipError_tT0_T1_T2_jT3_P12ihipStream_tbPNSt15iterator_traitsISN_E10value_typeEPNST_ISO_E10value_typeEPSP_NS1_7vsmem_tEENKUlT_SN_SO_SP_E_clIS8_S8_S9_S9_EESM_S12_SN_SO_SP_EUlS12_E_NS1_11comp_targetILNS1_3genE5ELNS1_11target_archE942ELNS1_3gpuE9ELNS1_3repE0EEENS1_48merge_mergepath_partition_config_static_selectorELNS0_4arch9wavefront6targetE1EEEvSO_.num_named_barrier, 0
	.set _ZN7rocprim17ROCPRIM_400000_NS6detail17trampoline_kernelINS0_14default_configENS1_38merge_sort_block_merge_config_selectorIlNS0_10empty_typeEEEZZNS1_27merge_sort_block_merge_implIS3_PlPS5_mZN2at6native12_GLOBAL__N_124unique_dim_cuda_templateIN3c108BFloat16EEESt5tupleIJNSA_6TensorESH_SH_EERKSH_lbbbEUlllE_EE10hipError_tT0_T1_T2_jT3_P12ihipStream_tbPNSt15iterator_traitsISN_E10value_typeEPNST_ISO_E10value_typeEPSP_NS1_7vsmem_tEENKUlT_SN_SO_SP_E_clIS8_S8_S9_S9_EESM_S12_SN_SO_SP_EUlS12_E_NS1_11comp_targetILNS1_3genE5ELNS1_11target_archE942ELNS1_3gpuE9ELNS1_3repE0EEENS1_48merge_mergepath_partition_config_static_selectorELNS0_4arch9wavefront6targetE1EEEvSO_.private_seg_size, 0
	.set _ZN7rocprim17ROCPRIM_400000_NS6detail17trampoline_kernelINS0_14default_configENS1_38merge_sort_block_merge_config_selectorIlNS0_10empty_typeEEEZZNS1_27merge_sort_block_merge_implIS3_PlPS5_mZN2at6native12_GLOBAL__N_124unique_dim_cuda_templateIN3c108BFloat16EEESt5tupleIJNSA_6TensorESH_SH_EERKSH_lbbbEUlllE_EE10hipError_tT0_T1_T2_jT3_P12ihipStream_tbPNSt15iterator_traitsISN_E10value_typeEPNST_ISO_E10value_typeEPSP_NS1_7vsmem_tEENKUlT_SN_SO_SP_E_clIS8_S8_S9_S9_EESM_S12_SN_SO_SP_EUlS12_E_NS1_11comp_targetILNS1_3genE5ELNS1_11target_archE942ELNS1_3gpuE9ELNS1_3repE0EEENS1_48merge_mergepath_partition_config_static_selectorELNS0_4arch9wavefront6targetE1EEEvSO_.uses_vcc, 0
	.set _ZN7rocprim17ROCPRIM_400000_NS6detail17trampoline_kernelINS0_14default_configENS1_38merge_sort_block_merge_config_selectorIlNS0_10empty_typeEEEZZNS1_27merge_sort_block_merge_implIS3_PlPS5_mZN2at6native12_GLOBAL__N_124unique_dim_cuda_templateIN3c108BFloat16EEESt5tupleIJNSA_6TensorESH_SH_EERKSH_lbbbEUlllE_EE10hipError_tT0_T1_T2_jT3_P12ihipStream_tbPNSt15iterator_traitsISN_E10value_typeEPNST_ISO_E10value_typeEPSP_NS1_7vsmem_tEENKUlT_SN_SO_SP_E_clIS8_S8_S9_S9_EESM_S12_SN_SO_SP_EUlS12_E_NS1_11comp_targetILNS1_3genE5ELNS1_11target_archE942ELNS1_3gpuE9ELNS1_3repE0EEENS1_48merge_mergepath_partition_config_static_selectorELNS0_4arch9wavefront6targetE1EEEvSO_.uses_flat_scratch, 0
	.set _ZN7rocprim17ROCPRIM_400000_NS6detail17trampoline_kernelINS0_14default_configENS1_38merge_sort_block_merge_config_selectorIlNS0_10empty_typeEEEZZNS1_27merge_sort_block_merge_implIS3_PlPS5_mZN2at6native12_GLOBAL__N_124unique_dim_cuda_templateIN3c108BFloat16EEESt5tupleIJNSA_6TensorESH_SH_EERKSH_lbbbEUlllE_EE10hipError_tT0_T1_T2_jT3_P12ihipStream_tbPNSt15iterator_traitsISN_E10value_typeEPNST_ISO_E10value_typeEPSP_NS1_7vsmem_tEENKUlT_SN_SO_SP_E_clIS8_S8_S9_S9_EESM_S12_SN_SO_SP_EUlS12_E_NS1_11comp_targetILNS1_3genE5ELNS1_11target_archE942ELNS1_3gpuE9ELNS1_3repE0EEENS1_48merge_mergepath_partition_config_static_selectorELNS0_4arch9wavefront6targetE1EEEvSO_.has_dyn_sized_stack, 0
	.set _ZN7rocprim17ROCPRIM_400000_NS6detail17trampoline_kernelINS0_14default_configENS1_38merge_sort_block_merge_config_selectorIlNS0_10empty_typeEEEZZNS1_27merge_sort_block_merge_implIS3_PlPS5_mZN2at6native12_GLOBAL__N_124unique_dim_cuda_templateIN3c108BFloat16EEESt5tupleIJNSA_6TensorESH_SH_EERKSH_lbbbEUlllE_EE10hipError_tT0_T1_T2_jT3_P12ihipStream_tbPNSt15iterator_traitsISN_E10value_typeEPNST_ISO_E10value_typeEPSP_NS1_7vsmem_tEENKUlT_SN_SO_SP_E_clIS8_S8_S9_S9_EESM_S12_SN_SO_SP_EUlS12_E_NS1_11comp_targetILNS1_3genE5ELNS1_11target_archE942ELNS1_3gpuE9ELNS1_3repE0EEENS1_48merge_mergepath_partition_config_static_selectorELNS0_4arch9wavefront6targetE1EEEvSO_.has_recursion, 0
	.set _ZN7rocprim17ROCPRIM_400000_NS6detail17trampoline_kernelINS0_14default_configENS1_38merge_sort_block_merge_config_selectorIlNS0_10empty_typeEEEZZNS1_27merge_sort_block_merge_implIS3_PlPS5_mZN2at6native12_GLOBAL__N_124unique_dim_cuda_templateIN3c108BFloat16EEESt5tupleIJNSA_6TensorESH_SH_EERKSH_lbbbEUlllE_EE10hipError_tT0_T1_T2_jT3_P12ihipStream_tbPNSt15iterator_traitsISN_E10value_typeEPNST_ISO_E10value_typeEPSP_NS1_7vsmem_tEENKUlT_SN_SO_SP_E_clIS8_S8_S9_S9_EESM_S12_SN_SO_SP_EUlS12_E_NS1_11comp_targetILNS1_3genE5ELNS1_11target_archE942ELNS1_3gpuE9ELNS1_3repE0EEENS1_48merge_mergepath_partition_config_static_selectorELNS0_4arch9wavefront6targetE1EEEvSO_.has_indirect_call, 0
	.section	.AMDGPU.csdata,"",@progbits
; Kernel info:
; codeLenInByte = 0
; TotalNumSgprs: 6
; NumVgprs: 0
; NumAgprs: 0
; TotalNumVgprs: 0
; ScratchSize: 0
; MemoryBound: 0
; FloatMode: 240
; IeeeMode: 1
; LDSByteSize: 0 bytes/workgroup (compile time only)
; SGPRBlocks: 0
; VGPRBlocks: 0
; NumSGPRsForWavesPerEU: 6
; NumVGPRsForWavesPerEU: 1
; AccumOffset: 4
; Occupancy: 8
; WaveLimiterHint : 0
; COMPUTE_PGM_RSRC2:SCRATCH_EN: 0
; COMPUTE_PGM_RSRC2:USER_SGPR: 2
; COMPUTE_PGM_RSRC2:TRAP_HANDLER: 0
; COMPUTE_PGM_RSRC2:TGID_X_EN: 1
; COMPUTE_PGM_RSRC2:TGID_Y_EN: 0
; COMPUTE_PGM_RSRC2:TGID_Z_EN: 0
; COMPUTE_PGM_RSRC2:TIDIG_COMP_CNT: 0
; COMPUTE_PGM_RSRC3_GFX90A:ACCUM_OFFSET: 0
; COMPUTE_PGM_RSRC3_GFX90A:TG_SPLIT: 0
	.section	.text._ZN7rocprim17ROCPRIM_400000_NS6detail17trampoline_kernelINS0_14default_configENS1_38merge_sort_block_merge_config_selectorIlNS0_10empty_typeEEEZZNS1_27merge_sort_block_merge_implIS3_PlPS5_mZN2at6native12_GLOBAL__N_124unique_dim_cuda_templateIN3c108BFloat16EEESt5tupleIJNSA_6TensorESH_SH_EERKSH_lbbbEUlllE_EE10hipError_tT0_T1_T2_jT3_P12ihipStream_tbPNSt15iterator_traitsISN_E10value_typeEPNST_ISO_E10value_typeEPSP_NS1_7vsmem_tEENKUlT_SN_SO_SP_E_clIS8_S8_S9_S9_EESM_S12_SN_SO_SP_EUlS12_E_NS1_11comp_targetILNS1_3genE4ELNS1_11target_archE910ELNS1_3gpuE8ELNS1_3repE0EEENS1_48merge_mergepath_partition_config_static_selectorELNS0_4arch9wavefront6targetE1EEEvSO_,"axG",@progbits,_ZN7rocprim17ROCPRIM_400000_NS6detail17trampoline_kernelINS0_14default_configENS1_38merge_sort_block_merge_config_selectorIlNS0_10empty_typeEEEZZNS1_27merge_sort_block_merge_implIS3_PlPS5_mZN2at6native12_GLOBAL__N_124unique_dim_cuda_templateIN3c108BFloat16EEESt5tupleIJNSA_6TensorESH_SH_EERKSH_lbbbEUlllE_EE10hipError_tT0_T1_T2_jT3_P12ihipStream_tbPNSt15iterator_traitsISN_E10value_typeEPNST_ISO_E10value_typeEPSP_NS1_7vsmem_tEENKUlT_SN_SO_SP_E_clIS8_S8_S9_S9_EESM_S12_SN_SO_SP_EUlS12_E_NS1_11comp_targetILNS1_3genE4ELNS1_11target_archE910ELNS1_3gpuE8ELNS1_3repE0EEENS1_48merge_mergepath_partition_config_static_selectorELNS0_4arch9wavefront6targetE1EEEvSO_,comdat
	.globl	_ZN7rocprim17ROCPRIM_400000_NS6detail17trampoline_kernelINS0_14default_configENS1_38merge_sort_block_merge_config_selectorIlNS0_10empty_typeEEEZZNS1_27merge_sort_block_merge_implIS3_PlPS5_mZN2at6native12_GLOBAL__N_124unique_dim_cuda_templateIN3c108BFloat16EEESt5tupleIJNSA_6TensorESH_SH_EERKSH_lbbbEUlllE_EE10hipError_tT0_T1_T2_jT3_P12ihipStream_tbPNSt15iterator_traitsISN_E10value_typeEPNST_ISO_E10value_typeEPSP_NS1_7vsmem_tEENKUlT_SN_SO_SP_E_clIS8_S8_S9_S9_EESM_S12_SN_SO_SP_EUlS12_E_NS1_11comp_targetILNS1_3genE4ELNS1_11target_archE910ELNS1_3gpuE8ELNS1_3repE0EEENS1_48merge_mergepath_partition_config_static_selectorELNS0_4arch9wavefront6targetE1EEEvSO_ ; -- Begin function _ZN7rocprim17ROCPRIM_400000_NS6detail17trampoline_kernelINS0_14default_configENS1_38merge_sort_block_merge_config_selectorIlNS0_10empty_typeEEEZZNS1_27merge_sort_block_merge_implIS3_PlPS5_mZN2at6native12_GLOBAL__N_124unique_dim_cuda_templateIN3c108BFloat16EEESt5tupleIJNSA_6TensorESH_SH_EERKSH_lbbbEUlllE_EE10hipError_tT0_T1_T2_jT3_P12ihipStream_tbPNSt15iterator_traitsISN_E10value_typeEPNST_ISO_E10value_typeEPSP_NS1_7vsmem_tEENKUlT_SN_SO_SP_E_clIS8_S8_S9_S9_EESM_S12_SN_SO_SP_EUlS12_E_NS1_11comp_targetILNS1_3genE4ELNS1_11target_archE910ELNS1_3gpuE8ELNS1_3repE0EEENS1_48merge_mergepath_partition_config_static_selectorELNS0_4arch9wavefront6targetE1EEEvSO_
	.p2align	8
	.type	_ZN7rocprim17ROCPRIM_400000_NS6detail17trampoline_kernelINS0_14default_configENS1_38merge_sort_block_merge_config_selectorIlNS0_10empty_typeEEEZZNS1_27merge_sort_block_merge_implIS3_PlPS5_mZN2at6native12_GLOBAL__N_124unique_dim_cuda_templateIN3c108BFloat16EEESt5tupleIJNSA_6TensorESH_SH_EERKSH_lbbbEUlllE_EE10hipError_tT0_T1_T2_jT3_P12ihipStream_tbPNSt15iterator_traitsISN_E10value_typeEPNST_ISO_E10value_typeEPSP_NS1_7vsmem_tEENKUlT_SN_SO_SP_E_clIS8_S8_S9_S9_EESM_S12_SN_SO_SP_EUlS12_E_NS1_11comp_targetILNS1_3genE4ELNS1_11target_archE910ELNS1_3gpuE8ELNS1_3repE0EEENS1_48merge_mergepath_partition_config_static_selectorELNS0_4arch9wavefront6targetE1EEEvSO_,@function
_ZN7rocprim17ROCPRIM_400000_NS6detail17trampoline_kernelINS0_14default_configENS1_38merge_sort_block_merge_config_selectorIlNS0_10empty_typeEEEZZNS1_27merge_sort_block_merge_implIS3_PlPS5_mZN2at6native12_GLOBAL__N_124unique_dim_cuda_templateIN3c108BFloat16EEESt5tupleIJNSA_6TensorESH_SH_EERKSH_lbbbEUlllE_EE10hipError_tT0_T1_T2_jT3_P12ihipStream_tbPNSt15iterator_traitsISN_E10value_typeEPNST_ISO_E10value_typeEPSP_NS1_7vsmem_tEENKUlT_SN_SO_SP_E_clIS8_S8_S9_S9_EESM_S12_SN_SO_SP_EUlS12_E_NS1_11comp_targetILNS1_3genE4ELNS1_11target_archE910ELNS1_3gpuE8ELNS1_3repE0EEENS1_48merge_mergepath_partition_config_static_selectorELNS0_4arch9wavefront6targetE1EEEvSO_: ; @_ZN7rocprim17ROCPRIM_400000_NS6detail17trampoline_kernelINS0_14default_configENS1_38merge_sort_block_merge_config_selectorIlNS0_10empty_typeEEEZZNS1_27merge_sort_block_merge_implIS3_PlPS5_mZN2at6native12_GLOBAL__N_124unique_dim_cuda_templateIN3c108BFloat16EEESt5tupleIJNSA_6TensorESH_SH_EERKSH_lbbbEUlllE_EE10hipError_tT0_T1_T2_jT3_P12ihipStream_tbPNSt15iterator_traitsISN_E10value_typeEPNST_ISO_E10value_typeEPSP_NS1_7vsmem_tEENKUlT_SN_SO_SP_E_clIS8_S8_S9_S9_EESM_S12_SN_SO_SP_EUlS12_E_NS1_11comp_targetILNS1_3genE4ELNS1_11target_archE910ELNS1_3gpuE8ELNS1_3repE0EEENS1_48merge_mergepath_partition_config_static_selectorELNS0_4arch9wavefront6targetE1EEEvSO_
; %bb.0:
	.section	.rodata,"a",@progbits
	.p2align	6, 0x0
	.amdhsa_kernel _ZN7rocprim17ROCPRIM_400000_NS6detail17trampoline_kernelINS0_14default_configENS1_38merge_sort_block_merge_config_selectorIlNS0_10empty_typeEEEZZNS1_27merge_sort_block_merge_implIS3_PlPS5_mZN2at6native12_GLOBAL__N_124unique_dim_cuda_templateIN3c108BFloat16EEESt5tupleIJNSA_6TensorESH_SH_EERKSH_lbbbEUlllE_EE10hipError_tT0_T1_T2_jT3_P12ihipStream_tbPNSt15iterator_traitsISN_E10value_typeEPNST_ISO_E10value_typeEPSP_NS1_7vsmem_tEENKUlT_SN_SO_SP_E_clIS8_S8_S9_S9_EESM_S12_SN_SO_SP_EUlS12_E_NS1_11comp_targetILNS1_3genE4ELNS1_11target_archE910ELNS1_3gpuE8ELNS1_3repE0EEENS1_48merge_mergepath_partition_config_static_selectorELNS0_4arch9wavefront6targetE1EEEvSO_
		.amdhsa_group_segment_fixed_size 0
		.amdhsa_private_segment_fixed_size 0
		.amdhsa_kernarg_size 56
		.amdhsa_user_sgpr_count 2
		.amdhsa_user_sgpr_dispatch_ptr 0
		.amdhsa_user_sgpr_queue_ptr 0
		.amdhsa_user_sgpr_kernarg_segment_ptr 1
		.amdhsa_user_sgpr_dispatch_id 0
		.amdhsa_user_sgpr_kernarg_preload_length 0
		.amdhsa_user_sgpr_kernarg_preload_offset 0
		.amdhsa_user_sgpr_private_segment_size 0
		.amdhsa_uses_dynamic_stack 0
		.amdhsa_enable_private_segment 0
		.amdhsa_system_sgpr_workgroup_id_x 1
		.amdhsa_system_sgpr_workgroup_id_y 0
		.amdhsa_system_sgpr_workgroup_id_z 0
		.amdhsa_system_sgpr_workgroup_info 0
		.amdhsa_system_vgpr_workitem_id 0
		.amdhsa_next_free_vgpr 1
		.amdhsa_next_free_sgpr 0
		.amdhsa_accum_offset 4
		.amdhsa_reserve_vcc 0
		.amdhsa_float_round_mode_32 0
		.amdhsa_float_round_mode_16_64 0
		.amdhsa_float_denorm_mode_32 3
		.amdhsa_float_denorm_mode_16_64 3
		.amdhsa_dx10_clamp 1
		.amdhsa_ieee_mode 1
		.amdhsa_fp16_overflow 0
		.amdhsa_tg_split 0
		.amdhsa_exception_fp_ieee_invalid_op 0
		.amdhsa_exception_fp_denorm_src 0
		.amdhsa_exception_fp_ieee_div_zero 0
		.amdhsa_exception_fp_ieee_overflow 0
		.amdhsa_exception_fp_ieee_underflow 0
		.amdhsa_exception_fp_ieee_inexact 0
		.amdhsa_exception_int_div_zero 0
	.end_amdhsa_kernel
	.section	.text._ZN7rocprim17ROCPRIM_400000_NS6detail17trampoline_kernelINS0_14default_configENS1_38merge_sort_block_merge_config_selectorIlNS0_10empty_typeEEEZZNS1_27merge_sort_block_merge_implIS3_PlPS5_mZN2at6native12_GLOBAL__N_124unique_dim_cuda_templateIN3c108BFloat16EEESt5tupleIJNSA_6TensorESH_SH_EERKSH_lbbbEUlllE_EE10hipError_tT0_T1_T2_jT3_P12ihipStream_tbPNSt15iterator_traitsISN_E10value_typeEPNST_ISO_E10value_typeEPSP_NS1_7vsmem_tEENKUlT_SN_SO_SP_E_clIS8_S8_S9_S9_EESM_S12_SN_SO_SP_EUlS12_E_NS1_11comp_targetILNS1_3genE4ELNS1_11target_archE910ELNS1_3gpuE8ELNS1_3repE0EEENS1_48merge_mergepath_partition_config_static_selectorELNS0_4arch9wavefront6targetE1EEEvSO_,"axG",@progbits,_ZN7rocprim17ROCPRIM_400000_NS6detail17trampoline_kernelINS0_14default_configENS1_38merge_sort_block_merge_config_selectorIlNS0_10empty_typeEEEZZNS1_27merge_sort_block_merge_implIS3_PlPS5_mZN2at6native12_GLOBAL__N_124unique_dim_cuda_templateIN3c108BFloat16EEESt5tupleIJNSA_6TensorESH_SH_EERKSH_lbbbEUlllE_EE10hipError_tT0_T1_T2_jT3_P12ihipStream_tbPNSt15iterator_traitsISN_E10value_typeEPNST_ISO_E10value_typeEPSP_NS1_7vsmem_tEENKUlT_SN_SO_SP_E_clIS8_S8_S9_S9_EESM_S12_SN_SO_SP_EUlS12_E_NS1_11comp_targetILNS1_3genE4ELNS1_11target_archE910ELNS1_3gpuE8ELNS1_3repE0EEENS1_48merge_mergepath_partition_config_static_selectorELNS0_4arch9wavefront6targetE1EEEvSO_,comdat
.Lfunc_end1128:
	.size	_ZN7rocprim17ROCPRIM_400000_NS6detail17trampoline_kernelINS0_14default_configENS1_38merge_sort_block_merge_config_selectorIlNS0_10empty_typeEEEZZNS1_27merge_sort_block_merge_implIS3_PlPS5_mZN2at6native12_GLOBAL__N_124unique_dim_cuda_templateIN3c108BFloat16EEESt5tupleIJNSA_6TensorESH_SH_EERKSH_lbbbEUlllE_EE10hipError_tT0_T1_T2_jT3_P12ihipStream_tbPNSt15iterator_traitsISN_E10value_typeEPNST_ISO_E10value_typeEPSP_NS1_7vsmem_tEENKUlT_SN_SO_SP_E_clIS8_S8_S9_S9_EESM_S12_SN_SO_SP_EUlS12_E_NS1_11comp_targetILNS1_3genE4ELNS1_11target_archE910ELNS1_3gpuE8ELNS1_3repE0EEENS1_48merge_mergepath_partition_config_static_selectorELNS0_4arch9wavefront6targetE1EEEvSO_, .Lfunc_end1128-_ZN7rocprim17ROCPRIM_400000_NS6detail17trampoline_kernelINS0_14default_configENS1_38merge_sort_block_merge_config_selectorIlNS0_10empty_typeEEEZZNS1_27merge_sort_block_merge_implIS3_PlPS5_mZN2at6native12_GLOBAL__N_124unique_dim_cuda_templateIN3c108BFloat16EEESt5tupleIJNSA_6TensorESH_SH_EERKSH_lbbbEUlllE_EE10hipError_tT0_T1_T2_jT3_P12ihipStream_tbPNSt15iterator_traitsISN_E10value_typeEPNST_ISO_E10value_typeEPSP_NS1_7vsmem_tEENKUlT_SN_SO_SP_E_clIS8_S8_S9_S9_EESM_S12_SN_SO_SP_EUlS12_E_NS1_11comp_targetILNS1_3genE4ELNS1_11target_archE910ELNS1_3gpuE8ELNS1_3repE0EEENS1_48merge_mergepath_partition_config_static_selectorELNS0_4arch9wavefront6targetE1EEEvSO_
                                        ; -- End function
	.set _ZN7rocprim17ROCPRIM_400000_NS6detail17trampoline_kernelINS0_14default_configENS1_38merge_sort_block_merge_config_selectorIlNS0_10empty_typeEEEZZNS1_27merge_sort_block_merge_implIS3_PlPS5_mZN2at6native12_GLOBAL__N_124unique_dim_cuda_templateIN3c108BFloat16EEESt5tupleIJNSA_6TensorESH_SH_EERKSH_lbbbEUlllE_EE10hipError_tT0_T1_T2_jT3_P12ihipStream_tbPNSt15iterator_traitsISN_E10value_typeEPNST_ISO_E10value_typeEPSP_NS1_7vsmem_tEENKUlT_SN_SO_SP_E_clIS8_S8_S9_S9_EESM_S12_SN_SO_SP_EUlS12_E_NS1_11comp_targetILNS1_3genE4ELNS1_11target_archE910ELNS1_3gpuE8ELNS1_3repE0EEENS1_48merge_mergepath_partition_config_static_selectorELNS0_4arch9wavefront6targetE1EEEvSO_.num_vgpr, 0
	.set _ZN7rocprim17ROCPRIM_400000_NS6detail17trampoline_kernelINS0_14default_configENS1_38merge_sort_block_merge_config_selectorIlNS0_10empty_typeEEEZZNS1_27merge_sort_block_merge_implIS3_PlPS5_mZN2at6native12_GLOBAL__N_124unique_dim_cuda_templateIN3c108BFloat16EEESt5tupleIJNSA_6TensorESH_SH_EERKSH_lbbbEUlllE_EE10hipError_tT0_T1_T2_jT3_P12ihipStream_tbPNSt15iterator_traitsISN_E10value_typeEPNST_ISO_E10value_typeEPSP_NS1_7vsmem_tEENKUlT_SN_SO_SP_E_clIS8_S8_S9_S9_EESM_S12_SN_SO_SP_EUlS12_E_NS1_11comp_targetILNS1_3genE4ELNS1_11target_archE910ELNS1_3gpuE8ELNS1_3repE0EEENS1_48merge_mergepath_partition_config_static_selectorELNS0_4arch9wavefront6targetE1EEEvSO_.num_agpr, 0
	.set _ZN7rocprim17ROCPRIM_400000_NS6detail17trampoline_kernelINS0_14default_configENS1_38merge_sort_block_merge_config_selectorIlNS0_10empty_typeEEEZZNS1_27merge_sort_block_merge_implIS3_PlPS5_mZN2at6native12_GLOBAL__N_124unique_dim_cuda_templateIN3c108BFloat16EEESt5tupleIJNSA_6TensorESH_SH_EERKSH_lbbbEUlllE_EE10hipError_tT0_T1_T2_jT3_P12ihipStream_tbPNSt15iterator_traitsISN_E10value_typeEPNST_ISO_E10value_typeEPSP_NS1_7vsmem_tEENKUlT_SN_SO_SP_E_clIS8_S8_S9_S9_EESM_S12_SN_SO_SP_EUlS12_E_NS1_11comp_targetILNS1_3genE4ELNS1_11target_archE910ELNS1_3gpuE8ELNS1_3repE0EEENS1_48merge_mergepath_partition_config_static_selectorELNS0_4arch9wavefront6targetE1EEEvSO_.numbered_sgpr, 0
	.set _ZN7rocprim17ROCPRIM_400000_NS6detail17trampoline_kernelINS0_14default_configENS1_38merge_sort_block_merge_config_selectorIlNS0_10empty_typeEEEZZNS1_27merge_sort_block_merge_implIS3_PlPS5_mZN2at6native12_GLOBAL__N_124unique_dim_cuda_templateIN3c108BFloat16EEESt5tupleIJNSA_6TensorESH_SH_EERKSH_lbbbEUlllE_EE10hipError_tT0_T1_T2_jT3_P12ihipStream_tbPNSt15iterator_traitsISN_E10value_typeEPNST_ISO_E10value_typeEPSP_NS1_7vsmem_tEENKUlT_SN_SO_SP_E_clIS8_S8_S9_S9_EESM_S12_SN_SO_SP_EUlS12_E_NS1_11comp_targetILNS1_3genE4ELNS1_11target_archE910ELNS1_3gpuE8ELNS1_3repE0EEENS1_48merge_mergepath_partition_config_static_selectorELNS0_4arch9wavefront6targetE1EEEvSO_.num_named_barrier, 0
	.set _ZN7rocprim17ROCPRIM_400000_NS6detail17trampoline_kernelINS0_14default_configENS1_38merge_sort_block_merge_config_selectorIlNS0_10empty_typeEEEZZNS1_27merge_sort_block_merge_implIS3_PlPS5_mZN2at6native12_GLOBAL__N_124unique_dim_cuda_templateIN3c108BFloat16EEESt5tupleIJNSA_6TensorESH_SH_EERKSH_lbbbEUlllE_EE10hipError_tT0_T1_T2_jT3_P12ihipStream_tbPNSt15iterator_traitsISN_E10value_typeEPNST_ISO_E10value_typeEPSP_NS1_7vsmem_tEENKUlT_SN_SO_SP_E_clIS8_S8_S9_S9_EESM_S12_SN_SO_SP_EUlS12_E_NS1_11comp_targetILNS1_3genE4ELNS1_11target_archE910ELNS1_3gpuE8ELNS1_3repE0EEENS1_48merge_mergepath_partition_config_static_selectorELNS0_4arch9wavefront6targetE1EEEvSO_.private_seg_size, 0
	.set _ZN7rocprim17ROCPRIM_400000_NS6detail17trampoline_kernelINS0_14default_configENS1_38merge_sort_block_merge_config_selectorIlNS0_10empty_typeEEEZZNS1_27merge_sort_block_merge_implIS3_PlPS5_mZN2at6native12_GLOBAL__N_124unique_dim_cuda_templateIN3c108BFloat16EEESt5tupleIJNSA_6TensorESH_SH_EERKSH_lbbbEUlllE_EE10hipError_tT0_T1_T2_jT3_P12ihipStream_tbPNSt15iterator_traitsISN_E10value_typeEPNST_ISO_E10value_typeEPSP_NS1_7vsmem_tEENKUlT_SN_SO_SP_E_clIS8_S8_S9_S9_EESM_S12_SN_SO_SP_EUlS12_E_NS1_11comp_targetILNS1_3genE4ELNS1_11target_archE910ELNS1_3gpuE8ELNS1_3repE0EEENS1_48merge_mergepath_partition_config_static_selectorELNS0_4arch9wavefront6targetE1EEEvSO_.uses_vcc, 0
	.set _ZN7rocprim17ROCPRIM_400000_NS6detail17trampoline_kernelINS0_14default_configENS1_38merge_sort_block_merge_config_selectorIlNS0_10empty_typeEEEZZNS1_27merge_sort_block_merge_implIS3_PlPS5_mZN2at6native12_GLOBAL__N_124unique_dim_cuda_templateIN3c108BFloat16EEESt5tupleIJNSA_6TensorESH_SH_EERKSH_lbbbEUlllE_EE10hipError_tT0_T1_T2_jT3_P12ihipStream_tbPNSt15iterator_traitsISN_E10value_typeEPNST_ISO_E10value_typeEPSP_NS1_7vsmem_tEENKUlT_SN_SO_SP_E_clIS8_S8_S9_S9_EESM_S12_SN_SO_SP_EUlS12_E_NS1_11comp_targetILNS1_3genE4ELNS1_11target_archE910ELNS1_3gpuE8ELNS1_3repE0EEENS1_48merge_mergepath_partition_config_static_selectorELNS0_4arch9wavefront6targetE1EEEvSO_.uses_flat_scratch, 0
	.set _ZN7rocprim17ROCPRIM_400000_NS6detail17trampoline_kernelINS0_14default_configENS1_38merge_sort_block_merge_config_selectorIlNS0_10empty_typeEEEZZNS1_27merge_sort_block_merge_implIS3_PlPS5_mZN2at6native12_GLOBAL__N_124unique_dim_cuda_templateIN3c108BFloat16EEESt5tupleIJNSA_6TensorESH_SH_EERKSH_lbbbEUlllE_EE10hipError_tT0_T1_T2_jT3_P12ihipStream_tbPNSt15iterator_traitsISN_E10value_typeEPNST_ISO_E10value_typeEPSP_NS1_7vsmem_tEENKUlT_SN_SO_SP_E_clIS8_S8_S9_S9_EESM_S12_SN_SO_SP_EUlS12_E_NS1_11comp_targetILNS1_3genE4ELNS1_11target_archE910ELNS1_3gpuE8ELNS1_3repE0EEENS1_48merge_mergepath_partition_config_static_selectorELNS0_4arch9wavefront6targetE1EEEvSO_.has_dyn_sized_stack, 0
	.set _ZN7rocprim17ROCPRIM_400000_NS6detail17trampoline_kernelINS0_14default_configENS1_38merge_sort_block_merge_config_selectorIlNS0_10empty_typeEEEZZNS1_27merge_sort_block_merge_implIS3_PlPS5_mZN2at6native12_GLOBAL__N_124unique_dim_cuda_templateIN3c108BFloat16EEESt5tupleIJNSA_6TensorESH_SH_EERKSH_lbbbEUlllE_EE10hipError_tT0_T1_T2_jT3_P12ihipStream_tbPNSt15iterator_traitsISN_E10value_typeEPNST_ISO_E10value_typeEPSP_NS1_7vsmem_tEENKUlT_SN_SO_SP_E_clIS8_S8_S9_S9_EESM_S12_SN_SO_SP_EUlS12_E_NS1_11comp_targetILNS1_3genE4ELNS1_11target_archE910ELNS1_3gpuE8ELNS1_3repE0EEENS1_48merge_mergepath_partition_config_static_selectorELNS0_4arch9wavefront6targetE1EEEvSO_.has_recursion, 0
	.set _ZN7rocprim17ROCPRIM_400000_NS6detail17trampoline_kernelINS0_14default_configENS1_38merge_sort_block_merge_config_selectorIlNS0_10empty_typeEEEZZNS1_27merge_sort_block_merge_implIS3_PlPS5_mZN2at6native12_GLOBAL__N_124unique_dim_cuda_templateIN3c108BFloat16EEESt5tupleIJNSA_6TensorESH_SH_EERKSH_lbbbEUlllE_EE10hipError_tT0_T1_T2_jT3_P12ihipStream_tbPNSt15iterator_traitsISN_E10value_typeEPNST_ISO_E10value_typeEPSP_NS1_7vsmem_tEENKUlT_SN_SO_SP_E_clIS8_S8_S9_S9_EESM_S12_SN_SO_SP_EUlS12_E_NS1_11comp_targetILNS1_3genE4ELNS1_11target_archE910ELNS1_3gpuE8ELNS1_3repE0EEENS1_48merge_mergepath_partition_config_static_selectorELNS0_4arch9wavefront6targetE1EEEvSO_.has_indirect_call, 0
	.section	.AMDGPU.csdata,"",@progbits
; Kernel info:
; codeLenInByte = 0
; TotalNumSgprs: 6
; NumVgprs: 0
; NumAgprs: 0
; TotalNumVgprs: 0
; ScratchSize: 0
; MemoryBound: 0
; FloatMode: 240
; IeeeMode: 1
; LDSByteSize: 0 bytes/workgroup (compile time only)
; SGPRBlocks: 0
; VGPRBlocks: 0
; NumSGPRsForWavesPerEU: 6
; NumVGPRsForWavesPerEU: 1
; AccumOffset: 4
; Occupancy: 8
; WaveLimiterHint : 0
; COMPUTE_PGM_RSRC2:SCRATCH_EN: 0
; COMPUTE_PGM_RSRC2:USER_SGPR: 2
; COMPUTE_PGM_RSRC2:TRAP_HANDLER: 0
; COMPUTE_PGM_RSRC2:TGID_X_EN: 1
; COMPUTE_PGM_RSRC2:TGID_Y_EN: 0
; COMPUTE_PGM_RSRC2:TGID_Z_EN: 0
; COMPUTE_PGM_RSRC2:TIDIG_COMP_CNT: 0
; COMPUTE_PGM_RSRC3_GFX90A:ACCUM_OFFSET: 0
; COMPUTE_PGM_RSRC3_GFX90A:TG_SPLIT: 0
	.section	.text._ZN7rocprim17ROCPRIM_400000_NS6detail17trampoline_kernelINS0_14default_configENS1_38merge_sort_block_merge_config_selectorIlNS0_10empty_typeEEEZZNS1_27merge_sort_block_merge_implIS3_PlPS5_mZN2at6native12_GLOBAL__N_124unique_dim_cuda_templateIN3c108BFloat16EEESt5tupleIJNSA_6TensorESH_SH_EERKSH_lbbbEUlllE_EE10hipError_tT0_T1_T2_jT3_P12ihipStream_tbPNSt15iterator_traitsISN_E10value_typeEPNST_ISO_E10value_typeEPSP_NS1_7vsmem_tEENKUlT_SN_SO_SP_E_clIS8_S8_S9_S9_EESM_S12_SN_SO_SP_EUlS12_E_NS1_11comp_targetILNS1_3genE3ELNS1_11target_archE908ELNS1_3gpuE7ELNS1_3repE0EEENS1_48merge_mergepath_partition_config_static_selectorELNS0_4arch9wavefront6targetE1EEEvSO_,"axG",@progbits,_ZN7rocprim17ROCPRIM_400000_NS6detail17trampoline_kernelINS0_14default_configENS1_38merge_sort_block_merge_config_selectorIlNS0_10empty_typeEEEZZNS1_27merge_sort_block_merge_implIS3_PlPS5_mZN2at6native12_GLOBAL__N_124unique_dim_cuda_templateIN3c108BFloat16EEESt5tupleIJNSA_6TensorESH_SH_EERKSH_lbbbEUlllE_EE10hipError_tT0_T1_T2_jT3_P12ihipStream_tbPNSt15iterator_traitsISN_E10value_typeEPNST_ISO_E10value_typeEPSP_NS1_7vsmem_tEENKUlT_SN_SO_SP_E_clIS8_S8_S9_S9_EESM_S12_SN_SO_SP_EUlS12_E_NS1_11comp_targetILNS1_3genE3ELNS1_11target_archE908ELNS1_3gpuE7ELNS1_3repE0EEENS1_48merge_mergepath_partition_config_static_selectorELNS0_4arch9wavefront6targetE1EEEvSO_,comdat
	.globl	_ZN7rocprim17ROCPRIM_400000_NS6detail17trampoline_kernelINS0_14default_configENS1_38merge_sort_block_merge_config_selectorIlNS0_10empty_typeEEEZZNS1_27merge_sort_block_merge_implIS3_PlPS5_mZN2at6native12_GLOBAL__N_124unique_dim_cuda_templateIN3c108BFloat16EEESt5tupleIJNSA_6TensorESH_SH_EERKSH_lbbbEUlllE_EE10hipError_tT0_T1_T2_jT3_P12ihipStream_tbPNSt15iterator_traitsISN_E10value_typeEPNST_ISO_E10value_typeEPSP_NS1_7vsmem_tEENKUlT_SN_SO_SP_E_clIS8_S8_S9_S9_EESM_S12_SN_SO_SP_EUlS12_E_NS1_11comp_targetILNS1_3genE3ELNS1_11target_archE908ELNS1_3gpuE7ELNS1_3repE0EEENS1_48merge_mergepath_partition_config_static_selectorELNS0_4arch9wavefront6targetE1EEEvSO_ ; -- Begin function _ZN7rocprim17ROCPRIM_400000_NS6detail17trampoline_kernelINS0_14default_configENS1_38merge_sort_block_merge_config_selectorIlNS0_10empty_typeEEEZZNS1_27merge_sort_block_merge_implIS3_PlPS5_mZN2at6native12_GLOBAL__N_124unique_dim_cuda_templateIN3c108BFloat16EEESt5tupleIJNSA_6TensorESH_SH_EERKSH_lbbbEUlllE_EE10hipError_tT0_T1_T2_jT3_P12ihipStream_tbPNSt15iterator_traitsISN_E10value_typeEPNST_ISO_E10value_typeEPSP_NS1_7vsmem_tEENKUlT_SN_SO_SP_E_clIS8_S8_S9_S9_EESM_S12_SN_SO_SP_EUlS12_E_NS1_11comp_targetILNS1_3genE3ELNS1_11target_archE908ELNS1_3gpuE7ELNS1_3repE0EEENS1_48merge_mergepath_partition_config_static_selectorELNS0_4arch9wavefront6targetE1EEEvSO_
	.p2align	8
	.type	_ZN7rocprim17ROCPRIM_400000_NS6detail17trampoline_kernelINS0_14default_configENS1_38merge_sort_block_merge_config_selectorIlNS0_10empty_typeEEEZZNS1_27merge_sort_block_merge_implIS3_PlPS5_mZN2at6native12_GLOBAL__N_124unique_dim_cuda_templateIN3c108BFloat16EEESt5tupleIJNSA_6TensorESH_SH_EERKSH_lbbbEUlllE_EE10hipError_tT0_T1_T2_jT3_P12ihipStream_tbPNSt15iterator_traitsISN_E10value_typeEPNST_ISO_E10value_typeEPSP_NS1_7vsmem_tEENKUlT_SN_SO_SP_E_clIS8_S8_S9_S9_EESM_S12_SN_SO_SP_EUlS12_E_NS1_11comp_targetILNS1_3genE3ELNS1_11target_archE908ELNS1_3gpuE7ELNS1_3repE0EEENS1_48merge_mergepath_partition_config_static_selectorELNS0_4arch9wavefront6targetE1EEEvSO_,@function
_ZN7rocprim17ROCPRIM_400000_NS6detail17trampoline_kernelINS0_14default_configENS1_38merge_sort_block_merge_config_selectorIlNS0_10empty_typeEEEZZNS1_27merge_sort_block_merge_implIS3_PlPS5_mZN2at6native12_GLOBAL__N_124unique_dim_cuda_templateIN3c108BFloat16EEESt5tupleIJNSA_6TensorESH_SH_EERKSH_lbbbEUlllE_EE10hipError_tT0_T1_T2_jT3_P12ihipStream_tbPNSt15iterator_traitsISN_E10value_typeEPNST_ISO_E10value_typeEPSP_NS1_7vsmem_tEENKUlT_SN_SO_SP_E_clIS8_S8_S9_S9_EESM_S12_SN_SO_SP_EUlS12_E_NS1_11comp_targetILNS1_3genE3ELNS1_11target_archE908ELNS1_3gpuE7ELNS1_3repE0EEENS1_48merge_mergepath_partition_config_static_selectorELNS0_4arch9wavefront6targetE1EEEvSO_: ; @_ZN7rocprim17ROCPRIM_400000_NS6detail17trampoline_kernelINS0_14default_configENS1_38merge_sort_block_merge_config_selectorIlNS0_10empty_typeEEEZZNS1_27merge_sort_block_merge_implIS3_PlPS5_mZN2at6native12_GLOBAL__N_124unique_dim_cuda_templateIN3c108BFloat16EEESt5tupleIJNSA_6TensorESH_SH_EERKSH_lbbbEUlllE_EE10hipError_tT0_T1_T2_jT3_P12ihipStream_tbPNSt15iterator_traitsISN_E10value_typeEPNST_ISO_E10value_typeEPSP_NS1_7vsmem_tEENKUlT_SN_SO_SP_E_clIS8_S8_S9_S9_EESM_S12_SN_SO_SP_EUlS12_E_NS1_11comp_targetILNS1_3genE3ELNS1_11target_archE908ELNS1_3gpuE7ELNS1_3repE0EEENS1_48merge_mergepath_partition_config_static_selectorELNS0_4arch9wavefront6targetE1EEEvSO_
; %bb.0:
	.section	.rodata,"a",@progbits
	.p2align	6, 0x0
	.amdhsa_kernel _ZN7rocprim17ROCPRIM_400000_NS6detail17trampoline_kernelINS0_14default_configENS1_38merge_sort_block_merge_config_selectorIlNS0_10empty_typeEEEZZNS1_27merge_sort_block_merge_implIS3_PlPS5_mZN2at6native12_GLOBAL__N_124unique_dim_cuda_templateIN3c108BFloat16EEESt5tupleIJNSA_6TensorESH_SH_EERKSH_lbbbEUlllE_EE10hipError_tT0_T1_T2_jT3_P12ihipStream_tbPNSt15iterator_traitsISN_E10value_typeEPNST_ISO_E10value_typeEPSP_NS1_7vsmem_tEENKUlT_SN_SO_SP_E_clIS8_S8_S9_S9_EESM_S12_SN_SO_SP_EUlS12_E_NS1_11comp_targetILNS1_3genE3ELNS1_11target_archE908ELNS1_3gpuE7ELNS1_3repE0EEENS1_48merge_mergepath_partition_config_static_selectorELNS0_4arch9wavefront6targetE1EEEvSO_
		.amdhsa_group_segment_fixed_size 0
		.amdhsa_private_segment_fixed_size 0
		.amdhsa_kernarg_size 56
		.amdhsa_user_sgpr_count 2
		.amdhsa_user_sgpr_dispatch_ptr 0
		.amdhsa_user_sgpr_queue_ptr 0
		.amdhsa_user_sgpr_kernarg_segment_ptr 1
		.amdhsa_user_sgpr_dispatch_id 0
		.amdhsa_user_sgpr_kernarg_preload_length 0
		.amdhsa_user_sgpr_kernarg_preload_offset 0
		.amdhsa_user_sgpr_private_segment_size 0
		.amdhsa_uses_dynamic_stack 0
		.amdhsa_enable_private_segment 0
		.amdhsa_system_sgpr_workgroup_id_x 1
		.amdhsa_system_sgpr_workgroup_id_y 0
		.amdhsa_system_sgpr_workgroup_id_z 0
		.amdhsa_system_sgpr_workgroup_info 0
		.amdhsa_system_vgpr_workitem_id 0
		.amdhsa_next_free_vgpr 1
		.amdhsa_next_free_sgpr 0
		.amdhsa_accum_offset 4
		.amdhsa_reserve_vcc 0
		.amdhsa_float_round_mode_32 0
		.amdhsa_float_round_mode_16_64 0
		.amdhsa_float_denorm_mode_32 3
		.amdhsa_float_denorm_mode_16_64 3
		.amdhsa_dx10_clamp 1
		.amdhsa_ieee_mode 1
		.amdhsa_fp16_overflow 0
		.amdhsa_tg_split 0
		.amdhsa_exception_fp_ieee_invalid_op 0
		.amdhsa_exception_fp_denorm_src 0
		.amdhsa_exception_fp_ieee_div_zero 0
		.amdhsa_exception_fp_ieee_overflow 0
		.amdhsa_exception_fp_ieee_underflow 0
		.amdhsa_exception_fp_ieee_inexact 0
		.amdhsa_exception_int_div_zero 0
	.end_amdhsa_kernel
	.section	.text._ZN7rocprim17ROCPRIM_400000_NS6detail17trampoline_kernelINS0_14default_configENS1_38merge_sort_block_merge_config_selectorIlNS0_10empty_typeEEEZZNS1_27merge_sort_block_merge_implIS3_PlPS5_mZN2at6native12_GLOBAL__N_124unique_dim_cuda_templateIN3c108BFloat16EEESt5tupleIJNSA_6TensorESH_SH_EERKSH_lbbbEUlllE_EE10hipError_tT0_T1_T2_jT3_P12ihipStream_tbPNSt15iterator_traitsISN_E10value_typeEPNST_ISO_E10value_typeEPSP_NS1_7vsmem_tEENKUlT_SN_SO_SP_E_clIS8_S8_S9_S9_EESM_S12_SN_SO_SP_EUlS12_E_NS1_11comp_targetILNS1_3genE3ELNS1_11target_archE908ELNS1_3gpuE7ELNS1_3repE0EEENS1_48merge_mergepath_partition_config_static_selectorELNS0_4arch9wavefront6targetE1EEEvSO_,"axG",@progbits,_ZN7rocprim17ROCPRIM_400000_NS6detail17trampoline_kernelINS0_14default_configENS1_38merge_sort_block_merge_config_selectorIlNS0_10empty_typeEEEZZNS1_27merge_sort_block_merge_implIS3_PlPS5_mZN2at6native12_GLOBAL__N_124unique_dim_cuda_templateIN3c108BFloat16EEESt5tupleIJNSA_6TensorESH_SH_EERKSH_lbbbEUlllE_EE10hipError_tT0_T1_T2_jT3_P12ihipStream_tbPNSt15iterator_traitsISN_E10value_typeEPNST_ISO_E10value_typeEPSP_NS1_7vsmem_tEENKUlT_SN_SO_SP_E_clIS8_S8_S9_S9_EESM_S12_SN_SO_SP_EUlS12_E_NS1_11comp_targetILNS1_3genE3ELNS1_11target_archE908ELNS1_3gpuE7ELNS1_3repE0EEENS1_48merge_mergepath_partition_config_static_selectorELNS0_4arch9wavefront6targetE1EEEvSO_,comdat
.Lfunc_end1129:
	.size	_ZN7rocprim17ROCPRIM_400000_NS6detail17trampoline_kernelINS0_14default_configENS1_38merge_sort_block_merge_config_selectorIlNS0_10empty_typeEEEZZNS1_27merge_sort_block_merge_implIS3_PlPS5_mZN2at6native12_GLOBAL__N_124unique_dim_cuda_templateIN3c108BFloat16EEESt5tupleIJNSA_6TensorESH_SH_EERKSH_lbbbEUlllE_EE10hipError_tT0_T1_T2_jT3_P12ihipStream_tbPNSt15iterator_traitsISN_E10value_typeEPNST_ISO_E10value_typeEPSP_NS1_7vsmem_tEENKUlT_SN_SO_SP_E_clIS8_S8_S9_S9_EESM_S12_SN_SO_SP_EUlS12_E_NS1_11comp_targetILNS1_3genE3ELNS1_11target_archE908ELNS1_3gpuE7ELNS1_3repE0EEENS1_48merge_mergepath_partition_config_static_selectorELNS0_4arch9wavefront6targetE1EEEvSO_, .Lfunc_end1129-_ZN7rocprim17ROCPRIM_400000_NS6detail17trampoline_kernelINS0_14default_configENS1_38merge_sort_block_merge_config_selectorIlNS0_10empty_typeEEEZZNS1_27merge_sort_block_merge_implIS3_PlPS5_mZN2at6native12_GLOBAL__N_124unique_dim_cuda_templateIN3c108BFloat16EEESt5tupleIJNSA_6TensorESH_SH_EERKSH_lbbbEUlllE_EE10hipError_tT0_T1_T2_jT3_P12ihipStream_tbPNSt15iterator_traitsISN_E10value_typeEPNST_ISO_E10value_typeEPSP_NS1_7vsmem_tEENKUlT_SN_SO_SP_E_clIS8_S8_S9_S9_EESM_S12_SN_SO_SP_EUlS12_E_NS1_11comp_targetILNS1_3genE3ELNS1_11target_archE908ELNS1_3gpuE7ELNS1_3repE0EEENS1_48merge_mergepath_partition_config_static_selectorELNS0_4arch9wavefront6targetE1EEEvSO_
                                        ; -- End function
	.set _ZN7rocprim17ROCPRIM_400000_NS6detail17trampoline_kernelINS0_14default_configENS1_38merge_sort_block_merge_config_selectorIlNS0_10empty_typeEEEZZNS1_27merge_sort_block_merge_implIS3_PlPS5_mZN2at6native12_GLOBAL__N_124unique_dim_cuda_templateIN3c108BFloat16EEESt5tupleIJNSA_6TensorESH_SH_EERKSH_lbbbEUlllE_EE10hipError_tT0_T1_T2_jT3_P12ihipStream_tbPNSt15iterator_traitsISN_E10value_typeEPNST_ISO_E10value_typeEPSP_NS1_7vsmem_tEENKUlT_SN_SO_SP_E_clIS8_S8_S9_S9_EESM_S12_SN_SO_SP_EUlS12_E_NS1_11comp_targetILNS1_3genE3ELNS1_11target_archE908ELNS1_3gpuE7ELNS1_3repE0EEENS1_48merge_mergepath_partition_config_static_selectorELNS0_4arch9wavefront6targetE1EEEvSO_.num_vgpr, 0
	.set _ZN7rocprim17ROCPRIM_400000_NS6detail17trampoline_kernelINS0_14default_configENS1_38merge_sort_block_merge_config_selectorIlNS0_10empty_typeEEEZZNS1_27merge_sort_block_merge_implIS3_PlPS5_mZN2at6native12_GLOBAL__N_124unique_dim_cuda_templateIN3c108BFloat16EEESt5tupleIJNSA_6TensorESH_SH_EERKSH_lbbbEUlllE_EE10hipError_tT0_T1_T2_jT3_P12ihipStream_tbPNSt15iterator_traitsISN_E10value_typeEPNST_ISO_E10value_typeEPSP_NS1_7vsmem_tEENKUlT_SN_SO_SP_E_clIS8_S8_S9_S9_EESM_S12_SN_SO_SP_EUlS12_E_NS1_11comp_targetILNS1_3genE3ELNS1_11target_archE908ELNS1_3gpuE7ELNS1_3repE0EEENS1_48merge_mergepath_partition_config_static_selectorELNS0_4arch9wavefront6targetE1EEEvSO_.num_agpr, 0
	.set _ZN7rocprim17ROCPRIM_400000_NS6detail17trampoline_kernelINS0_14default_configENS1_38merge_sort_block_merge_config_selectorIlNS0_10empty_typeEEEZZNS1_27merge_sort_block_merge_implIS3_PlPS5_mZN2at6native12_GLOBAL__N_124unique_dim_cuda_templateIN3c108BFloat16EEESt5tupleIJNSA_6TensorESH_SH_EERKSH_lbbbEUlllE_EE10hipError_tT0_T1_T2_jT3_P12ihipStream_tbPNSt15iterator_traitsISN_E10value_typeEPNST_ISO_E10value_typeEPSP_NS1_7vsmem_tEENKUlT_SN_SO_SP_E_clIS8_S8_S9_S9_EESM_S12_SN_SO_SP_EUlS12_E_NS1_11comp_targetILNS1_3genE3ELNS1_11target_archE908ELNS1_3gpuE7ELNS1_3repE0EEENS1_48merge_mergepath_partition_config_static_selectorELNS0_4arch9wavefront6targetE1EEEvSO_.numbered_sgpr, 0
	.set _ZN7rocprim17ROCPRIM_400000_NS6detail17trampoline_kernelINS0_14default_configENS1_38merge_sort_block_merge_config_selectorIlNS0_10empty_typeEEEZZNS1_27merge_sort_block_merge_implIS3_PlPS5_mZN2at6native12_GLOBAL__N_124unique_dim_cuda_templateIN3c108BFloat16EEESt5tupleIJNSA_6TensorESH_SH_EERKSH_lbbbEUlllE_EE10hipError_tT0_T1_T2_jT3_P12ihipStream_tbPNSt15iterator_traitsISN_E10value_typeEPNST_ISO_E10value_typeEPSP_NS1_7vsmem_tEENKUlT_SN_SO_SP_E_clIS8_S8_S9_S9_EESM_S12_SN_SO_SP_EUlS12_E_NS1_11comp_targetILNS1_3genE3ELNS1_11target_archE908ELNS1_3gpuE7ELNS1_3repE0EEENS1_48merge_mergepath_partition_config_static_selectorELNS0_4arch9wavefront6targetE1EEEvSO_.num_named_barrier, 0
	.set _ZN7rocprim17ROCPRIM_400000_NS6detail17trampoline_kernelINS0_14default_configENS1_38merge_sort_block_merge_config_selectorIlNS0_10empty_typeEEEZZNS1_27merge_sort_block_merge_implIS3_PlPS5_mZN2at6native12_GLOBAL__N_124unique_dim_cuda_templateIN3c108BFloat16EEESt5tupleIJNSA_6TensorESH_SH_EERKSH_lbbbEUlllE_EE10hipError_tT0_T1_T2_jT3_P12ihipStream_tbPNSt15iterator_traitsISN_E10value_typeEPNST_ISO_E10value_typeEPSP_NS1_7vsmem_tEENKUlT_SN_SO_SP_E_clIS8_S8_S9_S9_EESM_S12_SN_SO_SP_EUlS12_E_NS1_11comp_targetILNS1_3genE3ELNS1_11target_archE908ELNS1_3gpuE7ELNS1_3repE0EEENS1_48merge_mergepath_partition_config_static_selectorELNS0_4arch9wavefront6targetE1EEEvSO_.private_seg_size, 0
	.set _ZN7rocprim17ROCPRIM_400000_NS6detail17trampoline_kernelINS0_14default_configENS1_38merge_sort_block_merge_config_selectorIlNS0_10empty_typeEEEZZNS1_27merge_sort_block_merge_implIS3_PlPS5_mZN2at6native12_GLOBAL__N_124unique_dim_cuda_templateIN3c108BFloat16EEESt5tupleIJNSA_6TensorESH_SH_EERKSH_lbbbEUlllE_EE10hipError_tT0_T1_T2_jT3_P12ihipStream_tbPNSt15iterator_traitsISN_E10value_typeEPNST_ISO_E10value_typeEPSP_NS1_7vsmem_tEENKUlT_SN_SO_SP_E_clIS8_S8_S9_S9_EESM_S12_SN_SO_SP_EUlS12_E_NS1_11comp_targetILNS1_3genE3ELNS1_11target_archE908ELNS1_3gpuE7ELNS1_3repE0EEENS1_48merge_mergepath_partition_config_static_selectorELNS0_4arch9wavefront6targetE1EEEvSO_.uses_vcc, 0
	.set _ZN7rocprim17ROCPRIM_400000_NS6detail17trampoline_kernelINS0_14default_configENS1_38merge_sort_block_merge_config_selectorIlNS0_10empty_typeEEEZZNS1_27merge_sort_block_merge_implIS3_PlPS5_mZN2at6native12_GLOBAL__N_124unique_dim_cuda_templateIN3c108BFloat16EEESt5tupleIJNSA_6TensorESH_SH_EERKSH_lbbbEUlllE_EE10hipError_tT0_T1_T2_jT3_P12ihipStream_tbPNSt15iterator_traitsISN_E10value_typeEPNST_ISO_E10value_typeEPSP_NS1_7vsmem_tEENKUlT_SN_SO_SP_E_clIS8_S8_S9_S9_EESM_S12_SN_SO_SP_EUlS12_E_NS1_11comp_targetILNS1_3genE3ELNS1_11target_archE908ELNS1_3gpuE7ELNS1_3repE0EEENS1_48merge_mergepath_partition_config_static_selectorELNS0_4arch9wavefront6targetE1EEEvSO_.uses_flat_scratch, 0
	.set _ZN7rocprim17ROCPRIM_400000_NS6detail17trampoline_kernelINS0_14default_configENS1_38merge_sort_block_merge_config_selectorIlNS0_10empty_typeEEEZZNS1_27merge_sort_block_merge_implIS3_PlPS5_mZN2at6native12_GLOBAL__N_124unique_dim_cuda_templateIN3c108BFloat16EEESt5tupleIJNSA_6TensorESH_SH_EERKSH_lbbbEUlllE_EE10hipError_tT0_T1_T2_jT3_P12ihipStream_tbPNSt15iterator_traitsISN_E10value_typeEPNST_ISO_E10value_typeEPSP_NS1_7vsmem_tEENKUlT_SN_SO_SP_E_clIS8_S8_S9_S9_EESM_S12_SN_SO_SP_EUlS12_E_NS1_11comp_targetILNS1_3genE3ELNS1_11target_archE908ELNS1_3gpuE7ELNS1_3repE0EEENS1_48merge_mergepath_partition_config_static_selectorELNS0_4arch9wavefront6targetE1EEEvSO_.has_dyn_sized_stack, 0
	.set _ZN7rocprim17ROCPRIM_400000_NS6detail17trampoline_kernelINS0_14default_configENS1_38merge_sort_block_merge_config_selectorIlNS0_10empty_typeEEEZZNS1_27merge_sort_block_merge_implIS3_PlPS5_mZN2at6native12_GLOBAL__N_124unique_dim_cuda_templateIN3c108BFloat16EEESt5tupleIJNSA_6TensorESH_SH_EERKSH_lbbbEUlllE_EE10hipError_tT0_T1_T2_jT3_P12ihipStream_tbPNSt15iterator_traitsISN_E10value_typeEPNST_ISO_E10value_typeEPSP_NS1_7vsmem_tEENKUlT_SN_SO_SP_E_clIS8_S8_S9_S9_EESM_S12_SN_SO_SP_EUlS12_E_NS1_11comp_targetILNS1_3genE3ELNS1_11target_archE908ELNS1_3gpuE7ELNS1_3repE0EEENS1_48merge_mergepath_partition_config_static_selectorELNS0_4arch9wavefront6targetE1EEEvSO_.has_recursion, 0
	.set _ZN7rocprim17ROCPRIM_400000_NS6detail17trampoline_kernelINS0_14default_configENS1_38merge_sort_block_merge_config_selectorIlNS0_10empty_typeEEEZZNS1_27merge_sort_block_merge_implIS3_PlPS5_mZN2at6native12_GLOBAL__N_124unique_dim_cuda_templateIN3c108BFloat16EEESt5tupleIJNSA_6TensorESH_SH_EERKSH_lbbbEUlllE_EE10hipError_tT0_T1_T2_jT3_P12ihipStream_tbPNSt15iterator_traitsISN_E10value_typeEPNST_ISO_E10value_typeEPSP_NS1_7vsmem_tEENKUlT_SN_SO_SP_E_clIS8_S8_S9_S9_EESM_S12_SN_SO_SP_EUlS12_E_NS1_11comp_targetILNS1_3genE3ELNS1_11target_archE908ELNS1_3gpuE7ELNS1_3repE0EEENS1_48merge_mergepath_partition_config_static_selectorELNS0_4arch9wavefront6targetE1EEEvSO_.has_indirect_call, 0
	.section	.AMDGPU.csdata,"",@progbits
; Kernel info:
; codeLenInByte = 0
; TotalNumSgprs: 6
; NumVgprs: 0
; NumAgprs: 0
; TotalNumVgprs: 0
; ScratchSize: 0
; MemoryBound: 0
; FloatMode: 240
; IeeeMode: 1
; LDSByteSize: 0 bytes/workgroup (compile time only)
; SGPRBlocks: 0
; VGPRBlocks: 0
; NumSGPRsForWavesPerEU: 6
; NumVGPRsForWavesPerEU: 1
; AccumOffset: 4
; Occupancy: 8
; WaveLimiterHint : 0
; COMPUTE_PGM_RSRC2:SCRATCH_EN: 0
; COMPUTE_PGM_RSRC2:USER_SGPR: 2
; COMPUTE_PGM_RSRC2:TRAP_HANDLER: 0
; COMPUTE_PGM_RSRC2:TGID_X_EN: 1
; COMPUTE_PGM_RSRC2:TGID_Y_EN: 0
; COMPUTE_PGM_RSRC2:TGID_Z_EN: 0
; COMPUTE_PGM_RSRC2:TIDIG_COMP_CNT: 0
; COMPUTE_PGM_RSRC3_GFX90A:ACCUM_OFFSET: 0
; COMPUTE_PGM_RSRC3_GFX90A:TG_SPLIT: 0
	.section	.text._ZN7rocprim17ROCPRIM_400000_NS6detail17trampoline_kernelINS0_14default_configENS1_38merge_sort_block_merge_config_selectorIlNS0_10empty_typeEEEZZNS1_27merge_sort_block_merge_implIS3_PlPS5_mZN2at6native12_GLOBAL__N_124unique_dim_cuda_templateIN3c108BFloat16EEESt5tupleIJNSA_6TensorESH_SH_EERKSH_lbbbEUlllE_EE10hipError_tT0_T1_T2_jT3_P12ihipStream_tbPNSt15iterator_traitsISN_E10value_typeEPNST_ISO_E10value_typeEPSP_NS1_7vsmem_tEENKUlT_SN_SO_SP_E_clIS8_S8_S9_S9_EESM_S12_SN_SO_SP_EUlS12_E_NS1_11comp_targetILNS1_3genE2ELNS1_11target_archE906ELNS1_3gpuE6ELNS1_3repE0EEENS1_48merge_mergepath_partition_config_static_selectorELNS0_4arch9wavefront6targetE1EEEvSO_,"axG",@progbits,_ZN7rocprim17ROCPRIM_400000_NS6detail17trampoline_kernelINS0_14default_configENS1_38merge_sort_block_merge_config_selectorIlNS0_10empty_typeEEEZZNS1_27merge_sort_block_merge_implIS3_PlPS5_mZN2at6native12_GLOBAL__N_124unique_dim_cuda_templateIN3c108BFloat16EEESt5tupleIJNSA_6TensorESH_SH_EERKSH_lbbbEUlllE_EE10hipError_tT0_T1_T2_jT3_P12ihipStream_tbPNSt15iterator_traitsISN_E10value_typeEPNST_ISO_E10value_typeEPSP_NS1_7vsmem_tEENKUlT_SN_SO_SP_E_clIS8_S8_S9_S9_EESM_S12_SN_SO_SP_EUlS12_E_NS1_11comp_targetILNS1_3genE2ELNS1_11target_archE906ELNS1_3gpuE6ELNS1_3repE0EEENS1_48merge_mergepath_partition_config_static_selectorELNS0_4arch9wavefront6targetE1EEEvSO_,comdat
	.globl	_ZN7rocprim17ROCPRIM_400000_NS6detail17trampoline_kernelINS0_14default_configENS1_38merge_sort_block_merge_config_selectorIlNS0_10empty_typeEEEZZNS1_27merge_sort_block_merge_implIS3_PlPS5_mZN2at6native12_GLOBAL__N_124unique_dim_cuda_templateIN3c108BFloat16EEESt5tupleIJNSA_6TensorESH_SH_EERKSH_lbbbEUlllE_EE10hipError_tT0_T1_T2_jT3_P12ihipStream_tbPNSt15iterator_traitsISN_E10value_typeEPNST_ISO_E10value_typeEPSP_NS1_7vsmem_tEENKUlT_SN_SO_SP_E_clIS8_S8_S9_S9_EESM_S12_SN_SO_SP_EUlS12_E_NS1_11comp_targetILNS1_3genE2ELNS1_11target_archE906ELNS1_3gpuE6ELNS1_3repE0EEENS1_48merge_mergepath_partition_config_static_selectorELNS0_4arch9wavefront6targetE1EEEvSO_ ; -- Begin function _ZN7rocprim17ROCPRIM_400000_NS6detail17trampoline_kernelINS0_14default_configENS1_38merge_sort_block_merge_config_selectorIlNS0_10empty_typeEEEZZNS1_27merge_sort_block_merge_implIS3_PlPS5_mZN2at6native12_GLOBAL__N_124unique_dim_cuda_templateIN3c108BFloat16EEESt5tupleIJNSA_6TensorESH_SH_EERKSH_lbbbEUlllE_EE10hipError_tT0_T1_T2_jT3_P12ihipStream_tbPNSt15iterator_traitsISN_E10value_typeEPNST_ISO_E10value_typeEPSP_NS1_7vsmem_tEENKUlT_SN_SO_SP_E_clIS8_S8_S9_S9_EESM_S12_SN_SO_SP_EUlS12_E_NS1_11comp_targetILNS1_3genE2ELNS1_11target_archE906ELNS1_3gpuE6ELNS1_3repE0EEENS1_48merge_mergepath_partition_config_static_selectorELNS0_4arch9wavefront6targetE1EEEvSO_
	.p2align	8
	.type	_ZN7rocprim17ROCPRIM_400000_NS6detail17trampoline_kernelINS0_14default_configENS1_38merge_sort_block_merge_config_selectorIlNS0_10empty_typeEEEZZNS1_27merge_sort_block_merge_implIS3_PlPS5_mZN2at6native12_GLOBAL__N_124unique_dim_cuda_templateIN3c108BFloat16EEESt5tupleIJNSA_6TensorESH_SH_EERKSH_lbbbEUlllE_EE10hipError_tT0_T1_T2_jT3_P12ihipStream_tbPNSt15iterator_traitsISN_E10value_typeEPNST_ISO_E10value_typeEPSP_NS1_7vsmem_tEENKUlT_SN_SO_SP_E_clIS8_S8_S9_S9_EESM_S12_SN_SO_SP_EUlS12_E_NS1_11comp_targetILNS1_3genE2ELNS1_11target_archE906ELNS1_3gpuE6ELNS1_3repE0EEENS1_48merge_mergepath_partition_config_static_selectorELNS0_4arch9wavefront6targetE1EEEvSO_,@function
_ZN7rocprim17ROCPRIM_400000_NS6detail17trampoline_kernelINS0_14default_configENS1_38merge_sort_block_merge_config_selectorIlNS0_10empty_typeEEEZZNS1_27merge_sort_block_merge_implIS3_PlPS5_mZN2at6native12_GLOBAL__N_124unique_dim_cuda_templateIN3c108BFloat16EEESt5tupleIJNSA_6TensorESH_SH_EERKSH_lbbbEUlllE_EE10hipError_tT0_T1_T2_jT3_P12ihipStream_tbPNSt15iterator_traitsISN_E10value_typeEPNST_ISO_E10value_typeEPSP_NS1_7vsmem_tEENKUlT_SN_SO_SP_E_clIS8_S8_S9_S9_EESM_S12_SN_SO_SP_EUlS12_E_NS1_11comp_targetILNS1_3genE2ELNS1_11target_archE906ELNS1_3gpuE6ELNS1_3repE0EEENS1_48merge_mergepath_partition_config_static_selectorELNS0_4arch9wavefront6targetE1EEEvSO_: ; @_ZN7rocprim17ROCPRIM_400000_NS6detail17trampoline_kernelINS0_14default_configENS1_38merge_sort_block_merge_config_selectorIlNS0_10empty_typeEEEZZNS1_27merge_sort_block_merge_implIS3_PlPS5_mZN2at6native12_GLOBAL__N_124unique_dim_cuda_templateIN3c108BFloat16EEESt5tupleIJNSA_6TensorESH_SH_EERKSH_lbbbEUlllE_EE10hipError_tT0_T1_T2_jT3_P12ihipStream_tbPNSt15iterator_traitsISN_E10value_typeEPNST_ISO_E10value_typeEPSP_NS1_7vsmem_tEENKUlT_SN_SO_SP_E_clIS8_S8_S9_S9_EESM_S12_SN_SO_SP_EUlS12_E_NS1_11comp_targetILNS1_3genE2ELNS1_11target_archE906ELNS1_3gpuE6ELNS1_3repE0EEENS1_48merge_mergepath_partition_config_static_selectorELNS0_4arch9wavefront6targetE1EEEvSO_
; %bb.0:
	.section	.rodata,"a",@progbits
	.p2align	6, 0x0
	.amdhsa_kernel _ZN7rocprim17ROCPRIM_400000_NS6detail17trampoline_kernelINS0_14default_configENS1_38merge_sort_block_merge_config_selectorIlNS0_10empty_typeEEEZZNS1_27merge_sort_block_merge_implIS3_PlPS5_mZN2at6native12_GLOBAL__N_124unique_dim_cuda_templateIN3c108BFloat16EEESt5tupleIJNSA_6TensorESH_SH_EERKSH_lbbbEUlllE_EE10hipError_tT0_T1_T2_jT3_P12ihipStream_tbPNSt15iterator_traitsISN_E10value_typeEPNST_ISO_E10value_typeEPSP_NS1_7vsmem_tEENKUlT_SN_SO_SP_E_clIS8_S8_S9_S9_EESM_S12_SN_SO_SP_EUlS12_E_NS1_11comp_targetILNS1_3genE2ELNS1_11target_archE906ELNS1_3gpuE6ELNS1_3repE0EEENS1_48merge_mergepath_partition_config_static_selectorELNS0_4arch9wavefront6targetE1EEEvSO_
		.amdhsa_group_segment_fixed_size 0
		.amdhsa_private_segment_fixed_size 0
		.amdhsa_kernarg_size 56
		.amdhsa_user_sgpr_count 2
		.amdhsa_user_sgpr_dispatch_ptr 0
		.amdhsa_user_sgpr_queue_ptr 0
		.amdhsa_user_sgpr_kernarg_segment_ptr 1
		.amdhsa_user_sgpr_dispatch_id 0
		.amdhsa_user_sgpr_kernarg_preload_length 0
		.amdhsa_user_sgpr_kernarg_preload_offset 0
		.amdhsa_user_sgpr_private_segment_size 0
		.amdhsa_uses_dynamic_stack 0
		.amdhsa_enable_private_segment 0
		.amdhsa_system_sgpr_workgroup_id_x 1
		.amdhsa_system_sgpr_workgroup_id_y 0
		.amdhsa_system_sgpr_workgroup_id_z 0
		.amdhsa_system_sgpr_workgroup_info 0
		.amdhsa_system_vgpr_workitem_id 0
		.amdhsa_next_free_vgpr 1
		.amdhsa_next_free_sgpr 0
		.amdhsa_accum_offset 4
		.amdhsa_reserve_vcc 0
		.amdhsa_float_round_mode_32 0
		.amdhsa_float_round_mode_16_64 0
		.amdhsa_float_denorm_mode_32 3
		.amdhsa_float_denorm_mode_16_64 3
		.amdhsa_dx10_clamp 1
		.amdhsa_ieee_mode 1
		.amdhsa_fp16_overflow 0
		.amdhsa_tg_split 0
		.amdhsa_exception_fp_ieee_invalid_op 0
		.amdhsa_exception_fp_denorm_src 0
		.amdhsa_exception_fp_ieee_div_zero 0
		.amdhsa_exception_fp_ieee_overflow 0
		.amdhsa_exception_fp_ieee_underflow 0
		.amdhsa_exception_fp_ieee_inexact 0
		.amdhsa_exception_int_div_zero 0
	.end_amdhsa_kernel
	.section	.text._ZN7rocprim17ROCPRIM_400000_NS6detail17trampoline_kernelINS0_14default_configENS1_38merge_sort_block_merge_config_selectorIlNS0_10empty_typeEEEZZNS1_27merge_sort_block_merge_implIS3_PlPS5_mZN2at6native12_GLOBAL__N_124unique_dim_cuda_templateIN3c108BFloat16EEESt5tupleIJNSA_6TensorESH_SH_EERKSH_lbbbEUlllE_EE10hipError_tT0_T1_T2_jT3_P12ihipStream_tbPNSt15iterator_traitsISN_E10value_typeEPNST_ISO_E10value_typeEPSP_NS1_7vsmem_tEENKUlT_SN_SO_SP_E_clIS8_S8_S9_S9_EESM_S12_SN_SO_SP_EUlS12_E_NS1_11comp_targetILNS1_3genE2ELNS1_11target_archE906ELNS1_3gpuE6ELNS1_3repE0EEENS1_48merge_mergepath_partition_config_static_selectorELNS0_4arch9wavefront6targetE1EEEvSO_,"axG",@progbits,_ZN7rocprim17ROCPRIM_400000_NS6detail17trampoline_kernelINS0_14default_configENS1_38merge_sort_block_merge_config_selectorIlNS0_10empty_typeEEEZZNS1_27merge_sort_block_merge_implIS3_PlPS5_mZN2at6native12_GLOBAL__N_124unique_dim_cuda_templateIN3c108BFloat16EEESt5tupleIJNSA_6TensorESH_SH_EERKSH_lbbbEUlllE_EE10hipError_tT0_T1_T2_jT3_P12ihipStream_tbPNSt15iterator_traitsISN_E10value_typeEPNST_ISO_E10value_typeEPSP_NS1_7vsmem_tEENKUlT_SN_SO_SP_E_clIS8_S8_S9_S9_EESM_S12_SN_SO_SP_EUlS12_E_NS1_11comp_targetILNS1_3genE2ELNS1_11target_archE906ELNS1_3gpuE6ELNS1_3repE0EEENS1_48merge_mergepath_partition_config_static_selectorELNS0_4arch9wavefront6targetE1EEEvSO_,comdat
.Lfunc_end1130:
	.size	_ZN7rocprim17ROCPRIM_400000_NS6detail17trampoline_kernelINS0_14default_configENS1_38merge_sort_block_merge_config_selectorIlNS0_10empty_typeEEEZZNS1_27merge_sort_block_merge_implIS3_PlPS5_mZN2at6native12_GLOBAL__N_124unique_dim_cuda_templateIN3c108BFloat16EEESt5tupleIJNSA_6TensorESH_SH_EERKSH_lbbbEUlllE_EE10hipError_tT0_T1_T2_jT3_P12ihipStream_tbPNSt15iterator_traitsISN_E10value_typeEPNST_ISO_E10value_typeEPSP_NS1_7vsmem_tEENKUlT_SN_SO_SP_E_clIS8_S8_S9_S9_EESM_S12_SN_SO_SP_EUlS12_E_NS1_11comp_targetILNS1_3genE2ELNS1_11target_archE906ELNS1_3gpuE6ELNS1_3repE0EEENS1_48merge_mergepath_partition_config_static_selectorELNS0_4arch9wavefront6targetE1EEEvSO_, .Lfunc_end1130-_ZN7rocprim17ROCPRIM_400000_NS6detail17trampoline_kernelINS0_14default_configENS1_38merge_sort_block_merge_config_selectorIlNS0_10empty_typeEEEZZNS1_27merge_sort_block_merge_implIS3_PlPS5_mZN2at6native12_GLOBAL__N_124unique_dim_cuda_templateIN3c108BFloat16EEESt5tupleIJNSA_6TensorESH_SH_EERKSH_lbbbEUlllE_EE10hipError_tT0_T1_T2_jT3_P12ihipStream_tbPNSt15iterator_traitsISN_E10value_typeEPNST_ISO_E10value_typeEPSP_NS1_7vsmem_tEENKUlT_SN_SO_SP_E_clIS8_S8_S9_S9_EESM_S12_SN_SO_SP_EUlS12_E_NS1_11comp_targetILNS1_3genE2ELNS1_11target_archE906ELNS1_3gpuE6ELNS1_3repE0EEENS1_48merge_mergepath_partition_config_static_selectorELNS0_4arch9wavefront6targetE1EEEvSO_
                                        ; -- End function
	.set _ZN7rocprim17ROCPRIM_400000_NS6detail17trampoline_kernelINS0_14default_configENS1_38merge_sort_block_merge_config_selectorIlNS0_10empty_typeEEEZZNS1_27merge_sort_block_merge_implIS3_PlPS5_mZN2at6native12_GLOBAL__N_124unique_dim_cuda_templateIN3c108BFloat16EEESt5tupleIJNSA_6TensorESH_SH_EERKSH_lbbbEUlllE_EE10hipError_tT0_T1_T2_jT3_P12ihipStream_tbPNSt15iterator_traitsISN_E10value_typeEPNST_ISO_E10value_typeEPSP_NS1_7vsmem_tEENKUlT_SN_SO_SP_E_clIS8_S8_S9_S9_EESM_S12_SN_SO_SP_EUlS12_E_NS1_11comp_targetILNS1_3genE2ELNS1_11target_archE906ELNS1_3gpuE6ELNS1_3repE0EEENS1_48merge_mergepath_partition_config_static_selectorELNS0_4arch9wavefront6targetE1EEEvSO_.num_vgpr, 0
	.set _ZN7rocprim17ROCPRIM_400000_NS6detail17trampoline_kernelINS0_14default_configENS1_38merge_sort_block_merge_config_selectorIlNS0_10empty_typeEEEZZNS1_27merge_sort_block_merge_implIS3_PlPS5_mZN2at6native12_GLOBAL__N_124unique_dim_cuda_templateIN3c108BFloat16EEESt5tupleIJNSA_6TensorESH_SH_EERKSH_lbbbEUlllE_EE10hipError_tT0_T1_T2_jT3_P12ihipStream_tbPNSt15iterator_traitsISN_E10value_typeEPNST_ISO_E10value_typeEPSP_NS1_7vsmem_tEENKUlT_SN_SO_SP_E_clIS8_S8_S9_S9_EESM_S12_SN_SO_SP_EUlS12_E_NS1_11comp_targetILNS1_3genE2ELNS1_11target_archE906ELNS1_3gpuE6ELNS1_3repE0EEENS1_48merge_mergepath_partition_config_static_selectorELNS0_4arch9wavefront6targetE1EEEvSO_.num_agpr, 0
	.set _ZN7rocprim17ROCPRIM_400000_NS6detail17trampoline_kernelINS0_14default_configENS1_38merge_sort_block_merge_config_selectorIlNS0_10empty_typeEEEZZNS1_27merge_sort_block_merge_implIS3_PlPS5_mZN2at6native12_GLOBAL__N_124unique_dim_cuda_templateIN3c108BFloat16EEESt5tupleIJNSA_6TensorESH_SH_EERKSH_lbbbEUlllE_EE10hipError_tT0_T1_T2_jT3_P12ihipStream_tbPNSt15iterator_traitsISN_E10value_typeEPNST_ISO_E10value_typeEPSP_NS1_7vsmem_tEENKUlT_SN_SO_SP_E_clIS8_S8_S9_S9_EESM_S12_SN_SO_SP_EUlS12_E_NS1_11comp_targetILNS1_3genE2ELNS1_11target_archE906ELNS1_3gpuE6ELNS1_3repE0EEENS1_48merge_mergepath_partition_config_static_selectorELNS0_4arch9wavefront6targetE1EEEvSO_.numbered_sgpr, 0
	.set _ZN7rocprim17ROCPRIM_400000_NS6detail17trampoline_kernelINS0_14default_configENS1_38merge_sort_block_merge_config_selectorIlNS0_10empty_typeEEEZZNS1_27merge_sort_block_merge_implIS3_PlPS5_mZN2at6native12_GLOBAL__N_124unique_dim_cuda_templateIN3c108BFloat16EEESt5tupleIJNSA_6TensorESH_SH_EERKSH_lbbbEUlllE_EE10hipError_tT0_T1_T2_jT3_P12ihipStream_tbPNSt15iterator_traitsISN_E10value_typeEPNST_ISO_E10value_typeEPSP_NS1_7vsmem_tEENKUlT_SN_SO_SP_E_clIS8_S8_S9_S9_EESM_S12_SN_SO_SP_EUlS12_E_NS1_11comp_targetILNS1_3genE2ELNS1_11target_archE906ELNS1_3gpuE6ELNS1_3repE0EEENS1_48merge_mergepath_partition_config_static_selectorELNS0_4arch9wavefront6targetE1EEEvSO_.num_named_barrier, 0
	.set _ZN7rocprim17ROCPRIM_400000_NS6detail17trampoline_kernelINS0_14default_configENS1_38merge_sort_block_merge_config_selectorIlNS0_10empty_typeEEEZZNS1_27merge_sort_block_merge_implIS3_PlPS5_mZN2at6native12_GLOBAL__N_124unique_dim_cuda_templateIN3c108BFloat16EEESt5tupleIJNSA_6TensorESH_SH_EERKSH_lbbbEUlllE_EE10hipError_tT0_T1_T2_jT3_P12ihipStream_tbPNSt15iterator_traitsISN_E10value_typeEPNST_ISO_E10value_typeEPSP_NS1_7vsmem_tEENKUlT_SN_SO_SP_E_clIS8_S8_S9_S9_EESM_S12_SN_SO_SP_EUlS12_E_NS1_11comp_targetILNS1_3genE2ELNS1_11target_archE906ELNS1_3gpuE6ELNS1_3repE0EEENS1_48merge_mergepath_partition_config_static_selectorELNS0_4arch9wavefront6targetE1EEEvSO_.private_seg_size, 0
	.set _ZN7rocprim17ROCPRIM_400000_NS6detail17trampoline_kernelINS0_14default_configENS1_38merge_sort_block_merge_config_selectorIlNS0_10empty_typeEEEZZNS1_27merge_sort_block_merge_implIS3_PlPS5_mZN2at6native12_GLOBAL__N_124unique_dim_cuda_templateIN3c108BFloat16EEESt5tupleIJNSA_6TensorESH_SH_EERKSH_lbbbEUlllE_EE10hipError_tT0_T1_T2_jT3_P12ihipStream_tbPNSt15iterator_traitsISN_E10value_typeEPNST_ISO_E10value_typeEPSP_NS1_7vsmem_tEENKUlT_SN_SO_SP_E_clIS8_S8_S9_S9_EESM_S12_SN_SO_SP_EUlS12_E_NS1_11comp_targetILNS1_3genE2ELNS1_11target_archE906ELNS1_3gpuE6ELNS1_3repE0EEENS1_48merge_mergepath_partition_config_static_selectorELNS0_4arch9wavefront6targetE1EEEvSO_.uses_vcc, 0
	.set _ZN7rocprim17ROCPRIM_400000_NS6detail17trampoline_kernelINS0_14default_configENS1_38merge_sort_block_merge_config_selectorIlNS0_10empty_typeEEEZZNS1_27merge_sort_block_merge_implIS3_PlPS5_mZN2at6native12_GLOBAL__N_124unique_dim_cuda_templateIN3c108BFloat16EEESt5tupleIJNSA_6TensorESH_SH_EERKSH_lbbbEUlllE_EE10hipError_tT0_T1_T2_jT3_P12ihipStream_tbPNSt15iterator_traitsISN_E10value_typeEPNST_ISO_E10value_typeEPSP_NS1_7vsmem_tEENKUlT_SN_SO_SP_E_clIS8_S8_S9_S9_EESM_S12_SN_SO_SP_EUlS12_E_NS1_11comp_targetILNS1_3genE2ELNS1_11target_archE906ELNS1_3gpuE6ELNS1_3repE0EEENS1_48merge_mergepath_partition_config_static_selectorELNS0_4arch9wavefront6targetE1EEEvSO_.uses_flat_scratch, 0
	.set _ZN7rocprim17ROCPRIM_400000_NS6detail17trampoline_kernelINS0_14default_configENS1_38merge_sort_block_merge_config_selectorIlNS0_10empty_typeEEEZZNS1_27merge_sort_block_merge_implIS3_PlPS5_mZN2at6native12_GLOBAL__N_124unique_dim_cuda_templateIN3c108BFloat16EEESt5tupleIJNSA_6TensorESH_SH_EERKSH_lbbbEUlllE_EE10hipError_tT0_T1_T2_jT3_P12ihipStream_tbPNSt15iterator_traitsISN_E10value_typeEPNST_ISO_E10value_typeEPSP_NS1_7vsmem_tEENKUlT_SN_SO_SP_E_clIS8_S8_S9_S9_EESM_S12_SN_SO_SP_EUlS12_E_NS1_11comp_targetILNS1_3genE2ELNS1_11target_archE906ELNS1_3gpuE6ELNS1_3repE0EEENS1_48merge_mergepath_partition_config_static_selectorELNS0_4arch9wavefront6targetE1EEEvSO_.has_dyn_sized_stack, 0
	.set _ZN7rocprim17ROCPRIM_400000_NS6detail17trampoline_kernelINS0_14default_configENS1_38merge_sort_block_merge_config_selectorIlNS0_10empty_typeEEEZZNS1_27merge_sort_block_merge_implIS3_PlPS5_mZN2at6native12_GLOBAL__N_124unique_dim_cuda_templateIN3c108BFloat16EEESt5tupleIJNSA_6TensorESH_SH_EERKSH_lbbbEUlllE_EE10hipError_tT0_T1_T2_jT3_P12ihipStream_tbPNSt15iterator_traitsISN_E10value_typeEPNST_ISO_E10value_typeEPSP_NS1_7vsmem_tEENKUlT_SN_SO_SP_E_clIS8_S8_S9_S9_EESM_S12_SN_SO_SP_EUlS12_E_NS1_11comp_targetILNS1_3genE2ELNS1_11target_archE906ELNS1_3gpuE6ELNS1_3repE0EEENS1_48merge_mergepath_partition_config_static_selectorELNS0_4arch9wavefront6targetE1EEEvSO_.has_recursion, 0
	.set _ZN7rocprim17ROCPRIM_400000_NS6detail17trampoline_kernelINS0_14default_configENS1_38merge_sort_block_merge_config_selectorIlNS0_10empty_typeEEEZZNS1_27merge_sort_block_merge_implIS3_PlPS5_mZN2at6native12_GLOBAL__N_124unique_dim_cuda_templateIN3c108BFloat16EEESt5tupleIJNSA_6TensorESH_SH_EERKSH_lbbbEUlllE_EE10hipError_tT0_T1_T2_jT3_P12ihipStream_tbPNSt15iterator_traitsISN_E10value_typeEPNST_ISO_E10value_typeEPSP_NS1_7vsmem_tEENKUlT_SN_SO_SP_E_clIS8_S8_S9_S9_EESM_S12_SN_SO_SP_EUlS12_E_NS1_11comp_targetILNS1_3genE2ELNS1_11target_archE906ELNS1_3gpuE6ELNS1_3repE0EEENS1_48merge_mergepath_partition_config_static_selectorELNS0_4arch9wavefront6targetE1EEEvSO_.has_indirect_call, 0
	.section	.AMDGPU.csdata,"",@progbits
; Kernel info:
; codeLenInByte = 0
; TotalNumSgprs: 6
; NumVgprs: 0
; NumAgprs: 0
; TotalNumVgprs: 0
; ScratchSize: 0
; MemoryBound: 0
; FloatMode: 240
; IeeeMode: 1
; LDSByteSize: 0 bytes/workgroup (compile time only)
; SGPRBlocks: 0
; VGPRBlocks: 0
; NumSGPRsForWavesPerEU: 6
; NumVGPRsForWavesPerEU: 1
; AccumOffset: 4
; Occupancy: 8
; WaveLimiterHint : 0
; COMPUTE_PGM_RSRC2:SCRATCH_EN: 0
; COMPUTE_PGM_RSRC2:USER_SGPR: 2
; COMPUTE_PGM_RSRC2:TRAP_HANDLER: 0
; COMPUTE_PGM_RSRC2:TGID_X_EN: 1
; COMPUTE_PGM_RSRC2:TGID_Y_EN: 0
; COMPUTE_PGM_RSRC2:TGID_Z_EN: 0
; COMPUTE_PGM_RSRC2:TIDIG_COMP_CNT: 0
; COMPUTE_PGM_RSRC3_GFX90A:ACCUM_OFFSET: 0
; COMPUTE_PGM_RSRC3_GFX90A:TG_SPLIT: 0
	.section	.text._ZN7rocprim17ROCPRIM_400000_NS6detail17trampoline_kernelINS0_14default_configENS1_38merge_sort_block_merge_config_selectorIlNS0_10empty_typeEEEZZNS1_27merge_sort_block_merge_implIS3_PlPS5_mZN2at6native12_GLOBAL__N_124unique_dim_cuda_templateIN3c108BFloat16EEESt5tupleIJNSA_6TensorESH_SH_EERKSH_lbbbEUlllE_EE10hipError_tT0_T1_T2_jT3_P12ihipStream_tbPNSt15iterator_traitsISN_E10value_typeEPNST_ISO_E10value_typeEPSP_NS1_7vsmem_tEENKUlT_SN_SO_SP_E_clIS8_S8_S9_S9_EESM_S12_SN_SO_SP_EUlS12_E_NS1_11comp_targetILNS1_3genE9ELNS1_11target_archE1100ELNS1_3gpuE3ELNS1_3repE0EEENS1_48merge_mergepath_partition_config_static_selectorELNS0_4arch9wavefront6targetE1EEEvSO_,"axG",@progbits,_ZN7rocprim17ROCPRIM_400000_NS6detail17trampoline_kernelINS0_14default_configENS1_38merge_sort_block_merge_config_selectorIlNS0_10empty_typeEEEZZNS1_27merge_sort_block_merge_implIS3_PlPS5_mZN2at6native12_GLOBAL__N_124unique_dim_cuda_templateIN3c108BFloat16EEESt5tupleIJNSA_6TensorESH_SH_EERKSH_lbbbEUlllE_EE10hipError_tT0_T1_T2_jT3_P12ihipStream_tbPNSt15iterator_traitsISN_E10value_typeEPNST_ISO_E10value_typeEPSP_NS1_7vsmem_tEENKUlT_SN_SO_SP_E_clIS8_S8_S9_S9_EESM_S12_SN_SO_SP_EUlS12_E_NS1_11comp_targetILNS1_3genE9ELNS1_11target_archE1100ELNS1_3gpuE3ELNS1_3repE0EEENS1_48merge_mergepath_partition_config_static_selectorELNS0_4arch9wavefront6targetE1EEEvSO_,comdat
	.globl	_ZN7rocprim17ROCPRIM_400000_NS6detail17trampoline_kernelINS0_14default_configENS1_38merge_sort_block_merge_config_selectorIlNS0_10empty_typeEEEZZNS1_27merge_sort_block_merge_implIS3_PlPS5_mZN2at6native12_GLOBAL__N_124unique_dim_cuda_templateIN3c108BFloat16EEESt5tupleIJNSA_6TensorESH_SH_EERKSH_lbbbEUlllE_EE10hipError_tT0_T1_T2_jT3_P12ihipStream_tbPNSt15iterator_traitsISN_E10value_typeEPNST_ISO_E10value_typeEPSP_NS1_7vsmem_tEENKUlT_SN_SO_SP_E_clIS8_S8_S9_S9_EESM_S12_SN_SO_SP_EUlS12_E_NS1_11comp_targetILNS1_3genE9ELNS1_11target_archE1100ELNS1_3gpuE3ELNS1_3repE0EEENS1_48merge_mergepath_partition_config_static_selectorELNS0_4arch9wavefront6targetE1EEEvSO_ ; -- Begin function _ZN7rocprim17ROCPRIM_400000_NS6detail17trampoline_kernelINS0_14default_configENS1_38merge_sort_block_merge_config_selectorIlNS0_10empty_typeEEEZZNS1_27merge_sort_block_merge_implIS3_PlPS5_mZN2at6native12_GLOBAL__N_124unique_dim_cuda_templateIN3c108BFloat16EEESt5tupleIJNSA_6TensorESH_SH_EERKSH_lbbbEUlllE_EE10hipError_tT0_T1_T2_jT3_P12ihipStream_tbPNSt15iterator_traitsISN_E10value_typeEPNST_ISO_E10value_typeEPSP_NS1_7vsmem_tEENKUlT_SN_SO_SP_E_clIS8_S8_S9_S9_EESM_S12_SN_SO_SP_EUlS12_E_NS1_11comp_targetILNS1_3genE9ELNS1_11target_archE1100ELNS1_3gpuE3ELNS1_3repE0EEENS1_48merge_mergepath_partition_config_static_selectorELNS0_4arch9wavefront6targetE1EEEvSO_
	.p2align	8
	.type	_ZN7rocprim17ROCPRIM_400000_NS6detail17trampoline_kernelINS0_14default_configENS1_38merge_sort_block_merge_config_selectorIlNS0_10empty_typeEEEZZNS1_27merge_sort_block_merge_implIS3_PlPS5_mZN2at6native12_GLOBAL__N_124unique_dim_cuda_templateIN3c108BFloat16EEESt5tupleIJNSA_6TensorESH_SH_EERKSH_lbbbEUlllE_EE10hipError_tT0_T1_T2_jT3_P12ihipStream_tbPNSt15iterator_traitsISN_E10value_typeEPNST_ISO_E10value_typeEPSP_NS1_7vsmem_tEENKUlT_SN_SO_SP_E_clIS8_S8_S9_S9_EESM_S12_SN_SO_SP_EUlS12_E_NS1_11comp_targetILNS1_3genE9ELNS1_11target_archE1100ELNS1_3gpuE3ELNS1_3repE0EEENS1_48merge_mergepath_partition_config_static_selectorELNS0_4arch9wavefront6targetE1EEEvSO_,@function
_ZN7rocprim17ROCPRIM_400000_NS6detail17trampoline_kernelINS0_14default_configENS1_38merge_sort_block_merge_config_selectorIlNS0_10empty_typeEEEZZNS1_27merge_sort_block_merge_implIS3_PlPS5_mZN2at6native12_GLOBAL__N_124unique_dim_cuda_templateIN3c108BFloat16EEESt5tupleIJNSA_6TensorESH_SH_EERKSH_lbbbEUlllE_EE10hipError_tT0_T1_T2_jT3_P12ihipStream_tbPNSt15iterator_traitsISN_E10value_typeEPNST_ISO_E10value_typeEPSP_NS1_7vsmem_tEENKUlT_SN_SO_SP_E_clIS8_S8_S9_S9_EESM_S12_SN_SO_SP_EUlS12_E_NS1_11comp_targetILNS1_3genE9ELNS1_11target_archE1100ELNS1_3gpuE3ELNS1_3repE0EEENS1_48merge_mergepath_partition_config_static_selectorELNS0_4arch9wavefront6targetE1EEEvSO_: ; @_ZN7rocprim17ROCPRIM_400000_NS6detail17trampoline_kernelINS0_14default_configENS1_38merge_sort_block_merge_config_selectorIlNS0_10empty_typeEEEZZNS1_27merge_sort_block_merge_implIS3_PlPS5_mZN2at6native12_GLOBAL__N_124unique_dim_cuda_templateIN3c108BFloat16EEESt5tupleIJNSA_6TensorESH_SH_EERKSH_lbbbEUlllE_EE10hipError_tT0_T1_T2_jT3_P12ihipStream_tbPNSt15iterator_traitsISN_E10value_typeEPNST_ISO_E10value_typeEPSP_NS1_7vsmem_tEENKUlT_SN_SO_SP_E_clIS8_S8_S9_S9_EESM_S12_SN_SO_SP_EUlS12_E_NS1_11comp_targetILNS1_3genE9ELNS1_11target_archE1100ELNS1_3gpuE3ELNS1_3repE0EEENS1_48merge_mergepath_partition_config_static_selectorELNS0_4arch9wavefront6targetE1EEEvSO_
; %bb.0:
	.section	.rodata,"a",@progbits
	.p2align	6, 0x0
	.amdhsa_kernel _ZN7rocprim17ROCPRIM_400000_NS6detail17trampoline_kernelINS0_14default_configENS1_38merge_sort_block_merge_config_selectorIlNS0_10empty_typeEEEZZNS1_27merge_sort_block_merge_implIS3_PlPS5_mZN2at6native12_GLOBAL__N_124unique_dim_cuda_templateIN3c108BFloat16EEESt5tupleIJNSA_6TensorESH_SH_EERKSH_lbbbEUlllE_EE10hipError_tT0_T1_T2_jT3_P12ihipStream_tbPNSt15iterator_traitsISN_E10value_typeEPNST_ISO_E10value_typeEPSP_NS1_7vsmem_tEENKUlT_SN_SO_SP_E_clIS8_S8_S9_S9_EESM_S12_SN_SO_SP_EUlS12_E_NS1_11comp_targetILNS1_3genE9ELNS1_11target_archE1100ELNS1_3gpuE3ELNS1_3repE0EEENS1_48merge_mergepath_partition_config_static_selectorELNS0_4arch9wavefront6targetE1EEEvSO_
		.amdhsa_group_segment_fixed_size 0
		.amdhsa_private_segment_fixed_size 0
		.amdhsa_kernarg_size 56
		.amdhsa_user_sgpr_count 2
		.amdhsa_user_sgpr_dispatch_ptr 0
		.amdhsa_user_sgpr_queue_ptr 0
		.amdhsa_user_sgpr_kernarg_segment_ptr 1
		.amdhsa_user_sgpr_dispatch_id 0
		.amdhsa_user_sgpr_kernarg_preload_length 0
		.amdhsa_user_sgpr_kernarg_preload_offset 0
		.amdhsa_user_sgpr_private_segment_size 0
		.amdhsa_uses_dynamic_stack 0
		.amdhsa_enable_private_segment 0
		.amdhsa_system_sgpr_workgroup_id_x 1
		.amdhsa_system_sgpr_workgroup_id_y 0
		.amdhsa_system_sgpr_workgroup_id_z 0
		.amdhsa_system_sgpr_workgroup_info 0
		.amdhsa_system_vgpr_workitem_id 0
		.amdhsa_next_free_vgpr 1
		.amdhsa_next_free_sgpr 0
		.amdhsa_accum_offset 4
		.amdhsa_reserve_vcc 0
		.amdhsa_float_round_mode_32 0
		.amdhsa_float_round_mode_16_64 0
		.amdhsa_float_denorm_mode_32 3
		.amdhsa_float_denorm_mode_16_64 3
		.amdhsa_dx10_clamp 1
		.amdhsa_ieee_mode 1
		.amdhsa_fp16_overflow 0
		.amdhsa_tg_split 0
		.amdhsa_exception_fp_ieee_invalid_op 0
		.amdhsa_exception_fp_denorm_src 0
		.amdhsa_exception_fp_ieee_div_zero 0
		.amdhsa_exception_fp_ieee_overflow 0
		.amdhsa_exception_fp_ieee_underflow 0
		.amdhsa_exception_fp_ieee_inexact 0
		.amdhsa_exception_int_div_zero 0
	.end_amdhsa_kernel
	.section	.text._ZN7rocprim17ROCPRIM_400000_NS6detail17trampoline_kernelINS0_14default_configENS1_38merge_sort_block_merge_config_selectorIlNS0_10empty_typeEEEZZNS1_27merge_sort_block_merge_implIS3_PlPS5_mZN2at6native12_GLOBAL__N_124unique_dim_cuda_templateIN3c108BFloat16EEESt5tupleIJNSA_6TensorESH_SH_EERKSH_lbbbEUlllE_EE10hipError_tT0_T1_T2_jT3_P12ihipStream_tbPNSt15iterator_traitsISN_E10value_typeEPNST_ISO_E10value_typeEPSP_NS1_7vsmem_tEENKUlT_SN_SO_SP_E_clIS8_S8_S9_S9_EESM_S12_SN_SO_SP_EUlS12_E_NS1_11comp_targetILNS1_3genE9ELNS1_11target_archE1100ELNS1_3gpuE3ELNS1_3repE0EEENS1_48merge_mergepath_partition_config_static_selectorELNS0_4arch9wavefront6targetE1EEEvSO_,"axG",@progbits,_ZN7rocprim17ROCPRIM_400000_NS6detail17trampoline_kernelINS0_14default_configENS1_38merge_sort_block_merge_config_selectorIlNS0_10empty_typeEEEZZNS1_27merge_sort_block_merge_implIS3_PlPS5_mZN2at6native12_GLOBAL__N_124unique_dim_cuda_templateIN3c108BFloat16EEESt5tupleIJNSA_6TensorESH_SH_EERKSH_lbbbEUlllE_EE10hipError_tT0_T1_T2_jT3_P12ihipStream_tbPNSt15iterator_traitsISN_E10value_typeEPNST_ISO_E10value_typeEPSP_NS1_7vsmem_tEENKUlT_SN_SO_SP_E_clIS8_S8_S9_S9_EESM_S12_SN_SO_SP_EUlS12_E_NS1_11comp_targetILNS1_3genE9ELNS1_11target_archE1100ELNS1_3gpuE3ELNS1_3repE0EEENS1_48merge_mergepath_partition_config_static_selectorELNS0_4arch9wavefront6targetE1EEEvSO_,comdat
.Lfunc_end1131:
	.size	_ZN7rocprim17ROCPRIM_400000_NS6detail17trampoline_kernelINS0_14default_configENS1_38merge_sort_block_merge_config_selectorIlNS0_10empty_typeEEEZZNS1_27merge_sort_block_merge_implIS3_PlPS5_mZN2at6native12_GLOBAL__N_124unique_dim_cuda_templateIN3c108BFloat16EEESt5tupleIJNSA_6TensorESH_SH_EERKSH_lbbbEUlllE_EE10hipError_tT0_T1_T2_jT3_P12ihipStream_tbPNSt15iterator_traitsISN_E10value_typeEPNST_ISO_E10value_typeEPSP_NS1_7vsmem_tEENKUlT_SN_SO_SP_E_clIS8_S8_S9_S9_EESM_S12_SN_SO_SP_EUlS12_E_NS1_11comp_targetILNS1_3genE9ELNS1_11target_archE1100ELNS1_3gpuE3ELNS1_3repE0EEENS1_48merge_mergepath_partition_config_static_selectorELNS0_4arch9wavefront6targetE1EEEvSO_, .Lfunc_end1131-_ZN7rocprim17ROCPRIM_400000_NS6detail17trampoline_kernelINS0_14default_configENS1_38merge_sort_block_merge_config_selectorIlNS0_10empty_typeEEEZZNS1_27merge_sort_block_merge_implIS3_PlPS5_mZN2at6native12_GLOBAL__N_124unique_dim_cuda_templateIN3c108BFloat16EEESt5tupleIJNSA_6TensorESH_SH_EERKSH_lbbbEUlllE_EE10hipError_tT0_T1_T2_jT3_P12ihipStream_tbPNSt15iterator_traitsISN_E10value_typeEPNST_ISO_E10value_typeEPSP_NS1_7vsmem_tEENKUlT_SN_SO_SP_E_clIS8_S8_S9_S9_EESM_S12_SN_SO_SP_EUlS12_E_NS1_11comp_targetILNS1_3genE9ELNS1_11target_archE1100ELNS1_3gpuE3ELNS1_3repE0EEENS1_48merge_mergepath_partition_config_static_selectorELNS0_4arch9wavefront6targetE1EEEvSO_
                                        ; -- End function
	.set _ZN7rocprim17ROCPRIM_400000_NS6detail17trampoline_kernelINS0_14default_configENS1_38merge_sort_block_merge_config_selectorIlNS0_10empty_typeEEEZZNS1_27merge_sort_block_merge_implIS3_PlPS5_mZN2at6native12_GLOBAL__N_124unique_dim_cuda_templateIN3c108BFloat16EEESt5tupleIJNSA_6TensorESH_SH_EERKSH_lbbbEUlllE_EE10hipError_tT0_T1_T2_jT3_P12ihipStream_tbPNSt15iterator_traitsISN_E10value_typeEPNST_ISO_E10value_typeEPSP_NS1_7vsmem_tEENKUlT_SN_SO_SP_E_clIS8_S8_S9_S9_EESM_S12_SN_SO_SP_EUlS12_E_NS1_11comp_targetILNS1_3genE9ELNS1_11target_archE1100ELNS1_3gpuE3ELNS1_3repE0EEENS1_48merge_mergepath_partition_config_static_selectorELNS0_4arch9wavefront6targetE1EEEvSO_.num_vgpr, 0
	.set _ZN7rocprim17ROCPRIM_400000_NS6detail17trampoline_kernelINS0_14default_configENS1_38merge_sort_block_merge_config_selectorIlNS0_10empty_typeEEEZZNS1_27merge_sort_block_merge_implIS3_PlPS5_mZN2at6native12_GLOBAL__N_124unique_dim_cuda_templateIN3c108BFloat16EEESt5tupleIJNSA_6TensorESH_SH_EERKSH_lbbbEUlllE_EE10hipError_tT0_T1_T2_jT3_P12ihipStream_tbPNSt15iterator_traitsISN_E10value_typeEPNST_ISO_E10value_typeEPSP_NS1_7vsmem_tEENKUlT_SN_SO_SP_E_clIS8_S8_S9_S9_EESM_S12_SN_SO_SP_EUlS12_E_NS1_11comp_targetILNS1_3genE9ELNS1_11target_archE1100ELNS1_3gpuE3ELNS1_3repE0EEENS1_48merge_mergepath_partition_config_static_selectorELNS0_4arch9wavefront6targetE1EEEvSO_.num_agpr, 0
	.set _ZN7rocprim17ROCPRIM_400000_NS6detail17trampoline_kernelINS0_14default_configENS1_38merge_sort_block_merge_config_selectorIlNS0_10empty_typeEEEZZNS1_27merge_sort_block_merge_implIS3_PlPS5_mZN2at6native12_GLOBAL__N_124unique_dim_cuda_templateIN3c108BFloat16EEESt5tupleIJNSA_6TensorESH_SH_EERKSH_lbbbEUlllE_EE10hipError_tT0_T1_T2_jT3_P12ihipStream_tbPNSt15iterator_traitsISN_E10value_typeEPNST_ISO_E10value_typeEPSP_NS1_7vsmem_tEENKUlT_SN_SO_SP_E_clIS8_S8_S9_S9_EESM_S12_SN_SO_SP_EUlS12_E_NS1_11comp_targetILNS1_3genE9ELNS1_11target_archE1100ELNS1_3gpuE3ELNS1_3repE0EEENS1_48merge_mergepath_partition_config_static_selectorELNS0_4arch9wavefront6targetE1EEEvSO_.numbered_sgpr, 0
	.set _ZN7rocprim17ROCPRIM_400000_NS6detail17trampoline_kernelINS0_14default_configENS1_38merge_sort_block_merge_config_selectorIlNS0_10empty_typeEEEZZNS1_27merge_sort_block_merge_implIS3_PlPS5_mZN2at6native12_GLOBAL__N_124unique_dim_cuda_templateIN3c108BFloat16EEESt5tupleIJNSA_6TensorESH_SH_EERKSH_lbbbEUlllE_EE10hipError_tT0_T1_T2_jT3_P12ihipStream_tbPNSt15iterator_traitsISN_E10value_typeEPNST_ISO_E10value_typeEPSP_NS1_7vsmem_tEENKUlT_SN_SO_SP_E_clIS8_S8_S9_S9_EESM_S12_SN_SO_SP_EUlS12_E_NS1_11comp_targetILNS1_3genE9ELNS1_11target_archE1100ELNS1_3gpuE3ELNS1_3repE0EEENS1_48merge_mergepath_partition_config_static_selectorELNS0_4arch9wavefront6targetE1EEEvSO_.num_named_barrier, 0
	.set _ZN7rocprim17ROCPRIM_400000_NS6detail17trampoline_kernelINS0_14default_configENS1_38merge_sort_block_merge_config_selectorIlNS0_10empty_typeEEEZZNS1_27merge_sort_block_merge_implIS3_PlPS5_mZN2at6native12_GLOBAL__N_124unique_dim_cuda_templateIN3c108BFloat16EEESt5tupleIJNSA_6TensorESH_SH_EERKSH_lbbbEUlllE_EE10hipError_tT0_T1_T2_jT3_P12ihipStream_tbPNSt15iterator_traitsISN_E10value_typeEPNST_ISO_E10value_typeEPSP_NS1_7vsmem_tEENKUlT_SN_SO_SP_E_clIS8_S8_S9_S9_EESM_S12_SN_SO_SP_EUlS12_E_NS1_11comp_targetILNS1_3genE9ELNS1_11target_archE1100ELNS1_3gpuE3ELNS1_3repE0EEENS1_48merge_mergepath_partition_config_static_selectorELNS0_4arch9wavefront6targetE1EEEvSO_.private_seg_size, 0
	.set _ZN7rocprim17ROCPRIM_400000_NS6detail17trampoline_kernelINS0_14default_configENS1_38merge_sort_block_merge_config_selectorIlNS0_10empty_typeEEEZZNS1_27merge_sort_block_merge_implIS3_PlPS5_mZN2at6native12_GLOBAL__N_124unique_dim_cuda_templateIN3c108BFloat16EEESt5tupleIJNSA_6TensorESH_SH_EERKSH_lbbbEUlllE_EE10hipError_tT0_T1_T2_jT3_P12ihipStream_tbPNSt15iterator_traitsISN_E10value_typeEPNST_ISO_E10value_typeEPSP_NS1_7vsmem_tEENKUlT_SN_SO_SP_E_clIS8_S8_S9_S9_EESM_S12_SN_SO_SP_EUlS12_E_NS1_11comp_targetILNS1_3genE9ELNS1_11target_archE1100ELNS1_3gpuE3ELNS1_3repE0EEENS1_48merge_mergepath_partition_config_static_selectorELNS0_4arch9wavefront6targetE1EEEvSO_.uses_vcc, 0
	.set _ZN7rocprim17ROCPRIM_400000_NS6detail17trampoline_kernelINS0_14default_configENS1_38merge_sort_block_merge_config_selectorIlNS0_10empty_typeEEEZZNS1_27merge_sort_block_merge_implIS3_PlPS5_mZN2at6native12_GLOBAL__N_124unique_dim_cuda_templateIN3c108BFloat16EEESt5tupleIJNSA_6TensorESH_SH_EERKSH_lbbbEUlllE_EE10hipError_tT0_T1_T2_jT3_P12ihipStream_tbPNSt15iterator_traitsISN_E10value_typeEPNST_ISO_E10value_typeEPSP_NS1_7vsmem_tEENKUlT_SN_SO_SP_E_clIS8_S8_S9_S9_EESM_S12_SN_SO_SP_EUlS12_E_NS1_11comp_targetILNS1_3genE9ELNS1_11target_archE1100ELNS1_3gpuE3ELNS1_3repE0EEENS1_48merge_mergepath_partition_config_static_selectorELNS0_4arch9wavefront6targetE1EEEvSO_.uses_flat_scratch, 0
	.set _ZN7rocprim17ROCPRIM_400000_NS6detail17trampoline_kernelINS0_14default_configENS1_38merge_sort_block_merge_config_selectorIlNS0_10empty_typeEEEZZNS1_27merge_sort_block_merge_implIS3_PlPS5_mZN2at6native12_GLOBAL__N_124unique_dim_cuda_templateIN3c108BFloat16EEESt5tupleIJNSA_6TensorESH_SH_EERKSH_lbbbEUlllE_EE10hipError_tT0_T1_T2_jT3_P12ihipStream_tbPNSt15iterator_traitsISN_E10value_typeEPNST_ISO_E10value_typeEPSP_NS1_7vsmem_tEENKUlT_SN_SO_SP_E_clIS8_S8_S9_S9_EESM_S12_SN_SO_SP_EUlS12_E_NS1_11comp_targetILNS1_3genE9ELNS1_11target_archE1100ELNS1_3gpuE3ELNS1_3repE0EEENS1_48merge_mergepath_partition_config_static_selectorELNS0_4arch9wavefront6targetE1EEEvSO_.has_dyn_sized_stack, 0
	.set _ZN7rocprim17ROCPRIM_400000_NS6detail17trampoline_kernelINS0_14default_configENS1_38merge_sort_block_merge_config_selectorIlNS0_10empty_typeEEEZZNS1_27merge_sort_block_merge_implIS3_PlPS5_mZN2at6native12_GLOBAL__N_124unique_dim_cuda_templateIN3c108BFloat16EEESt5tupleIJNSA_6TensorESH_SH_EERKSH_lbbbEUlllE_EE10hipError_tT0_T1_T2_jT3_P12ihipStream_tbPNSt15iterator_traitsISN_E10value_typeEPNST_ISO_E10value_typeEPSP_NS1_7vsmem_tEENKUlT_SN_SO_SP_E_clIS8_S8_S9_S9_EESM_S12_SN_SO_SP_EUlS12_E_NS1_11comp_targetILNS1_3genE9ELNS1_11target_archE1100ELNS1_3gpuE3ELNS1_3repE0EEENS1_48merge_mergepath_partition_config_static_selectorELNS0_4arch9wavefront6targetE1EEEvSO_.has_recursion, 0
	.set _ZN7rocprim17ROCPRIM_400000_NS6detail17trampoline_kernelINS0_14default_configENS1_38merge_sort_block_merge_config_selectorIlNS0_10empty_typeEEEZZNS1_27merge_sort_block_merge_implIS3_PlPS5_mZN2at6native12_GLOBAL__N_124unique_dim_cuda_templateIN3c108BFloat16EEESt5tupleIJNSA_6TensorESH_SH_EERKSH_lbbbEUlllE_EE10hipError_tT0_T1_T2_jT3_P12ihipStream_tbPNSt15iterator_traitsISN_E10value_typeEPNST_ISO_E10value_typeEPSP_NS1_7vsmem_tEENKUlT_SN_SO_SP_E_clIS8_S8_S9_S9_EESM_S12_SN_SO_SP_EUlS12_E_NS1_11comp_targetILNS1_3genE9ELNS1_11target_archE1100ELNS1_3gpuE3ELNS1_3repE0EEENS1_48merge_mergepath_partition_config_static_selectorELNS0_4arch9wavefront6targetE1EEEvSO_.has_indirect_call, 0
	.section	.AMDGPU.csdata,"",@progbits
; Kernel info:
; codeLenInByte = 0
; TotalNumSgprs: 6
; NumVgprs: 0
; NumAgprs: 0
; TotalNumVgprs: 0
; ScratchSize: 0
; MemoryBound: 0
; FloatMode: 240
; IeeeMode: 1
; LDSByteSize: 0 bytes/workgroup (compile time only)
; SGPRBlocks: 0
; VGPRBlocks: 0
; NumSGPRsForWavesPerEU: 6
; NumVGPRsForWavesPerEU: 1
; AccumOffset: 4
; Occupancy: 8
; WaveLimiterHint : 0
; COMPUTE_PGM_RSRC2:SCRATCH_EN: 0
; COMPUTE_PGM_RSRC2:USER_SGPR: 2
; COMPUTE_PGM_RSRC2:TRAP_HANDLER: 0
; COMPUTE_PGM_RSRC2:TGID_X_EN: 1
; COMPUTE_PGM_RSRC2:TGID_Y_EN: 0
; COMPUTE_PGM_RSRC2:TGID_Z_EN: 0
; COMPUTE_PGM_RSRC2:TIDIG_COMP_CNT: 0
; COMPUTE_PGM_RSRC3_GFX90A:ACCUM_OFFSET: 0
; COMPUTE_PGM_RSRC3_GFX90A:TG_SPLIT: 0
	.section	.text._ZN7rocprim17ROCPRIM_400000_NS6detail17trampoline_kernelINS0_14default_configENS1_38merge_sort_block_merge_config_selectorIlNS0_10empty_typeEEEZZNS1_27merge_sort_block_merge_implIS3_PlPS5_mZN2at6native12_GLOBAL__N_124unique_dim_cuda_templateIN3c108BFloat16EEESt5tupleIJNSA_6TensorESH_SH_EERKSH_lbbbEUlllE_EE10hipError_tT0_T1_T2_jT3_P12ihipStream_tbPNSt15iterator_traitsISN_E10value_typeEPNST_ISO_E10value_typeEPSP_NS1_7vsmem_tEENKUlT_SN_SO_SP_E_clIS8_S8_S9_S9_EESM_S12_SN_SO_SP_EUlS12_E_NS1_11comp_targetILNS1_3genE8ELNS1_11target_archE1030ELNS1_3gpuE2ELNS1_3repE0EEENS1_48merge_mergepath_partition_config_static_selectorELNS0_4arch9wavefront6targetE1EEEvSO_,"axG",@progbits,_ZN7rocprim17ROCPRIM_400000_NS6detail17trampoline_kernelINS0_14default_configENS1_38merge_sort_block_merge_config_selectorIlNS0_10empty_typeEEEZZNS1_27merge_sort_block_merge_implIS3_PlPS5_mZN2at6native12_GLOBAL__N_124unique_dim_cuda_templateIN3c108BFloat16EEESt5tupleIJNSA_6TensorESH_SH_EERKSH_lbbbEUlllE_EE10hipError_tT0_T1_T2_jT3_P12ihipStream_tbPNSt15iterator_traitsISN_E10value_typeEPNST_ISO_E10value_typeEPSP_NS1_7vsmem_tEENKUlT_SN_SO_SP_E_clIS8_S8_S9_S9_EESM_S12_SN_SO_SP_EUlS12_E_NS1_11comp_targetILNS1_3genE8ELNS1_11target_archE1030ELNS1_3gpuE2ELNS1_3repE0EEENS1_48merge_mergepath_partition_config_static_selectorELNS0_4arch9wavefront6targetE1EEEvSO_,comdat
	.globl	_ZN7rocprim17ROCPRIM_400000_NS6detail17trampoline_kernelINS0_14default_configENS1_38merge_sort_block_merge_config_selectorIlNS0_10empty_typeEEEZZNS1_27merge_sort_block_merge_implIS3_PlPS5_mZN2at6native12_GLOBAL__N_124unique_dim_cuda_templateIN3c108BFloat16EEESt5tupleIJNSA_6TensorESH_SH_EERKSH_lbbbEUlllE_EE10hipError_tT0_T1_T2_jT3_P12ihipStream_tbPNSt15iterator_traitsISN_E10value_typeEPNST_ISO_E10value_typeEPSP_NS1_7vsmem_tEENKUlT_SN_SO_SP_E_clIS8_S8_S9_S9_EESM_S12_SN_SO_SP_EUlS12_E_NS1_11comp_targetILNS1_3genE8ELNS1_11target_archE1030ELNS1_3gpuE2ELNS1_3repE0EEENS1_48merge_mergepath_partition_config_static_selectorELNS0_4arch9wavefront6targetE1EEEvSO_ ; -- Begin function _ZN7rocprim17ROCPRIM_400000_NS6detail17trampoline_kernelINS0_14default_configENS1_38merge_sort_block_merge_config_selectorIlNS0_10empty_typeEEEZZNS1_27merge_sort_block_merge_implIS3_PlPS5_mZN2at6native12_GLOBAL__N_124unique_dim_cuda_templateIN3c108BFloat16EEESt5tupleIJNSA_6TensorESH_SH_EERKSH_lbbbEUlllE_EE10hipError_tT0_T1_T2_jT3_P12ihipStream_tbPNSt15iterator_traitsISN_E10value_typeEPNST_ISO_E10value_typeEPSP_NS1_7vsmem_tEENKUlT_SN_SO_SP_E_clIS8_S8_S9_S9_EESM_S12_SN_SO_SP_EUlS12_E_NS1_11comp_targetILNS1_3genE8ELNS1_11target_archE1030ELNS1_3gpuE2ELNS1_3repE0EEENS1_48merge_mergepath_partition_config_static_selectorELNS0_4arch9wavefront6targetE1EEEvSO_
	.p2align	8
	.type	_ZN7rocprim17ROCPRIM_400000_NS6detail17trampoline_kernelINS0_14default_configENS1_38merge_sort_block_merge_config_selectorIlNS0_10empty_typeEEEZZNS1_27merge_sort_block_merge_implIS3_PlPS5_mZN2at6native12_GLOBAL__N_124unique_dim_cuda_templateIN3c108BFloat16EEESt5tupleIJNSA_6TensorESH_SH_EERKSH_lbbbEUlllE_EE10hipError_tT0_T1_T2_jT3_P12ihipStream_tbPNSt15iterator_traitsISN_E10value_typeEPNST_ISO_E10value_typeEPSP_NS1_7vsmem_tEENKUlT_SN_SO_SP_E_clIS8_S8_S9_S9_EESM_S12_SN_SO_SP_EUlS12_E_NS1_11comp_targetILNS1_3genE8ELNS1_11target_archE1030ELNS1_3gpuE2ELNS1_3repE0EEENS1_48merge_mergepath_partition_config_static_selectorELNS0_4arch9wavefront6targetE1EEEvSO_,@function
_ZN7rocprim17ROCPRIM_400000_NS6detail17trampoline_kernelINS0_14default_configENS1_38merge_sort_block_merge_config_selectorIlNS0_10empty_typeEEEZZNS1_27merge_sort_block_merge_implIS3_PlPS5_mZN2at6native12_GLOBAL__N_124unique_dim_cuda_templateIN3c108BFloat16EEESt5tupleIJNSA_6TensorESH_SH_EERKSH_lbbbEUlllE_EE10hipError_tT0_T1_T2_jT3_P12ihipStream_tbPNSt15iterator_traitsISN_E10value_typeEPNST_ISO_E10value_typeEPSP_NS1_7vsmem_tEENKUlT_SN_SO_SP_E_clIS8_S8_S9_S9_EESM_S12_SN_SO_SP_EUlS12_E_NS1_11comp_targetILNS1_3genE8ELNS1_11target_archE1030ELNS1_3gpuE2ELNS1_3repE0EEENS1_48merge_mergepath_partition_config_static_selectorELNS0_4arch9wavefront6targetE1EEEvSO_: ; @_ZN7rocprim17ROCPRIM_400000_NS6detail17trampoline_kernelINS0_14default_configENS1_38merge_sort_block_merge_config_selectorIlNS0_10empty_typeEEEZZNS1_27merge_sort_block_merge_implIS3_PlPS5_mZN2at6native12_GLOBAL__N_124unique_dim_cuda_templateIN3c108BFloat16EEESt5tupleIJNSA_6TensorESH_SH_EERKSH_lbbbEUlllE_EE10hipError_tT0_T1_T2_jT3_P12ihipStream_tbPNSt15iterator_traitsISN_E10value_typeEPNST_ISO_E10value_typeEPSP_NS1_7vsmem_tEENKUlT_SN_SO_SP_E_clIS8_S8_S9_S9_EESM_S12_SN_SO_SP_EUlS12_E_NS1_11comp_targetILNS1_3genE8ELNS1_11target_archE1030ELNS1_3gpuE2ELNS1_3repE0EEENS1_48merge_mergepath_partition_config_static_selectorELNS0_4arch9wavefront6targetE1EEEvSO_
; %bb.0:
	.section	.rodata,"a",@progbits
	.p2align	6, 0x0
	.amdhsa_kernel _ZN7rocprim17ROCPRIM_400000_NS6detail17trampoline_kernelINS0_14default_configENS1_38merge_sort_block_merge_config_selectorIlNS0_10empty_typeEEEZZNS1_27merge_sort_block_merge_implIS3_PlPS5_mZN2at6native12_GLOBAL__N_124unique_dim_cuda_templateIN3c108BFloat16EEESt5tupleIJNSA_6TensorESH_SH_EERKSH_lbbbEUlllE_EE10hipError_tT0_T1_T2_jT3_P12ihipStream_tbPNSt15iterator_traitsISN_E10value_typeEPNST_ISO_E10value_typeEPSP_NS1_7vsmem_tEENKUlT_SN_SO_SP_E_clIS8_S8_S9_S9_EESM_S12_SN_SO_SP_EUlS12_E_NS1_11comp_targetILNS1_3genE8ELNS1_11target_archE1030ELNS1_3gpuE2ELNS1_3repE0EEENS1_48merge_mergepath_partition_config_static_selectorELNS0_4arch9wavefront6targetE1EEEvSO_
		.amdhsa_group_segment_fixed_size 0
		.amdhsa_private_segment_fixed_size 0
		.amdhsa_kernarg_size 56
		.amdhsa_user_sgpr_count 2
		.amdhsa_user_sgpr_dispatch_ptr 0
		.amdhsa_user_sgpr_queue_ptr 0
		.amdhsa_user_sgpr_kernarg_segment_ptr 1
		.amdhsa_user_sgpr_dispatch_id 0
		.amdhsa_user_sgpr_kernarg_preload_length 0
		.amdhsa_user_sgpr_kernarg_preload_offset 0
		.amdhsa_user_sgpr_private_segment_size 0
		.amdhsa_uses_dynamic_stack 0
		.amdhsa_enable_private_segment 0
		.amdhsa_system_sgpr_workgroup_id_x 1
		.amdhsa_system_sgpr_workgroup_id_y 0
		.amdhsa_system_sgpr_workgroup_id_z 0
		.amdhsa_system_sgpr_workgroup_info 0
		.amdhsa_system_vgpr_workitem_id 0
		.amdhsa_next_free_vgpr 1
		.amdhsa_next_free_sgpr 0
		.amdhsa_accum_offset 4
		.amdhsa_reserve_vcc 0
		.amdhsa_float_round_mode_32 0
		.amdhsa_float_round_mode_16_64 0
		.amdhsa_float_denorm_mode_32 3
		.amdhsa_float_denorm_mode_16_64 3
		.amdhsa_dx10_clamp 1
		.amdhsa_ieee_mode 1
		.amdhsa_fp16_overflow 0
		.amdhsa_tg_split 0
		.amdhsa_exception_fp_ieee_invalid_op 0
		.amdhsa_exception_fp_denorm_src 0
		.amdhsa_exception_fp_ieee_div_zero 0
		.amdhsa_exception_fp_ieee_overflow 0
		.amdhsa_exception_fp_ieee_underflow 0
		.amdhsa_exception_fp_ieee_inexact 0
		.amdhsa_exception_int_div_zero 0
	.end_amdhsa_kernel
	.section	.text._ZN7rocprim17ROCPRIM_400000_NS6detail17trampoline_kernelINS0_14default_configENS1_38merge_sort_block_merge_config_selectorIlNS0_10empty_typeEEEZZNS1_27merge_sort_block_merge_implIS3_PlPS5_mZN2at6native12_GLOBAL__N_124unique_dim_cuda_templateIN3c108BFloat16EEESt5tupleIJNSA_6TensorESH_SH_EERKSH_lbbbEUlllE_EE10hipError_tT0_T1_T2_jT3_P12ihipStream_tbPNSt15iterator_traitsISN_E10value_typeEPNST_ISO_E10value_typeEPSP_NS1_7vsmem_tEENKUlT_SN_SO_SP_E_clIS8_S8_S9_S9_EESM_S12_SN_SO_SP_EUlS12_E_NS1_11comp_targetILNS1_3genE8ELNS1_11target_archE1030ELNS1_3gpuE2ELNS1_3repE0EEENS1_48merge_mergepath_partition_config_static_selectorELNS0_4arch9wavefront6targetE1EEEvSO_,"axG",@progbits,_ZN7rocprim17ROCPRIM_400000_NS6detail17trampoline_kernelINS0_14default_configENS1_38merge_sort_block_merge_config_selectorIlNS0_10empty_typeEEEZZNS1_27merge_sort_block_merge_implIS3_PlPS5_mZN2at6native12_GLOBAL__N_124unique_dim_cuda_templateIN3c108BFloat16EEESt5tupleIJNSA_6TensorESH_SH_EERKSH_lbbbEUlllE_EE10hipError_tT0_T1_T2_jT3_P12ihipStream_tbPNSt15iterator_traitsISN_E10value_typeEPNST_ISO_E10value_typeEPSP_NS1_7vsmem_tEENKUlT_SN_SO_SP_E_clIS8_S8_S9_S9_EESM_S12_SN_SO_SP_EUlS12_E_NS1_11comp_targetILNS1_3genE8ELNS1_11target_archE1030ELNS1_3gpuE2ELNS1_3repE0EEENS1_48merge_mergepath_partition_config_static_selectorELNS0_4arch9wavefront6targetE1EEEvSO_,comdat
.Lfunc_end1132:
	.size	_ZN7rocprim17ROCPRIM_400000_NS6detail17trampoline_kernelINS0_14default_configENS1_38merge_sort_block_merge_config_selectorIlNS0_10empty_typeEEEZZNS1_27merge_sort_block_merge_implIS3_PlPS5_mZN2at6native12_GLOBAL__N_124unique_dim_cuda_templateIN3c108BFloat16EEESt5tupleIJNSA_6TensorESH_SH_EERKSH_lbbbEUlllE_EE10hipError_tT0_T1_T2_jT3_P12ihipStream_tbPNSt15iterator_traitsISN_E10value_typeEPNST_ISO_E10value_typeEPSP_NS1_7vsmem_tEENKUlT_SN_SO_SP_E_clIS8_S8_S9_S9_EESM_S12_SN_SO_SP_EUlS12_E_NS1_11comp_targetILNS1_3genE8ELNS1_11target_archE1030ELNS1_3gpuE2ELNS1_3repE0EEENS1_48merge_mergepath_partition_config_static_selectorELNS0_4arch9wavefront6targetE1EEEvSO_, .Lfunc_end1132-_ZN7rocprim17ROCPRIM_400000_NS6detail17trampoline_kernelINS0_14default_configENS1_38merge_sort_block_merge_config_selectorIlNS0_10empty_typeEEEZZNS1_27merge_sort_block_merge_implIS3_PlPS5_mZN2at6native12_GLOBAL__N_124unique_dim_cuda_templateIN3c108BFloat16EEESt5tupleIJNSA_6TensorESH_SH_EERKSH_lbbbEUlllE_EE10hipError_tT0_T1_T2_jT3_P12ihipStream_tbPNSt15iterator_traitsISN_E10value_typeEPNST_ISO_E10value_typeEPSP_NS1_7vsmem_tEENKUlT_SN_SO_SP_E_clIS8_S8_S9_S9_EESM_S12_SN_SO_SP_EUlS12_E_NS1_11comp_targetILNS1_3genE8ELNS1_11target_archE1030ELNS1_3gpuE2ELNS1_3repE0EEENS1_48merge_mergepath_partition_config_static_selectorELNS0_4arch9wavefront6targetE1EEEvSO_
                                        ; -- End function
	.set _ZN7rocprim17ROCPRIM_400000_NS6detail17trampoline_kernelINS0_14default_configENS1_38merge_sort_block_merge_config_selectorIlNS0_10empty_typeEEEZZNS1_27merge_sort_block_merge_implIS3_PlPS5_mZN2at6native12_GLOBAL__N_124unique_dim_cuda_templateIN3c108BFloat16EEESt5tupleIJNSA_6TensorESH_SH_EERKSH_lbbbEUlllE_EE10hipError_tT0_T1_T2_jT3_P12ihipStream_tbPNSt15iterator_traitsISN_E10value_typeEPNST_ISO_E10value_typeEPSP_NS1_7vsmem_tEENKUlT_SN_SO_SP_E_clIS8_S8_S9_S9_EESM_S12_SN_SO_SP_EUlS12_E_NS1_11comp_targetILNS1_3genE8ELNS1_11target_archE1030ELNS1_3gpuE2ELNS1_3repE0EEENS1_48merge_mergepath_partition_config_static_selectorELNS0_4arch9wavefront6targetE1EEEvSO_.num_vgpr, 0
	.set _ZN7rocprim17ROCPRIM_400000_NS6detail17trampoline_kernelINS0_14default_configENS1_38merge_sort_block_merge_config_selectorIlNS0_10empty_typeEEEZZNS1_27merge_sort_block_merge_implIS3_PlPS5_mZN2at6native12_GLOBAL__N_124unique_dim_cuda_templateIN3c108BFloat16EEESt5tupleIJNSA_6TensorESH_SH_EERKSH_lbbbEUlllE_EE10hipError_tT0_T1_T2_jT3_P12ihipStream_tbPNSt15iterator_traitsISN_E10value_typeEPNST_ISO_E10value_typeEPSP_NS1_7vsmem_tEENKUlT_SN_SO_SP_E_clIS8_S8_S9_S9_EESM_S12_SN_SO_SP_EUlS12_E_NS1_11comp_targetILNS1_3genE8ELNS1_11target_archE1030ELNS1_3gpuE2ELNS1_3repE0EEENS1_48merge_mergepath_partition_config_static_selectorELNS0_4arch9wavefront6targetE1EEEvSO_.num_agpr, 0
	.set _ZN7rocprim17ROCPRIM_400000_NS6detail17trampoline_kernelINS0_14default_configENS1_38merge_sort_block_merge_config_selectorIlNS0_10empty_typeEEEZZNS1_27merge_sort_block_merge_implIS3_PlPS5_mZN2at6native12_GLOBAL__N_124unique_dim_cuda_templateIN3c108BFloat16EEESt5tupleIJNSA_6TensorESH_SH_EERKSH_lbbbEUlllE_EE10hipError_tT0_T1_T2_jT3_P12ihipStream_tbPNSt15iterator_traitsISN_E10value_typeEPNST_ISO_E10value_typeEPSP_NS1_7vsmem_tEENKUlT_SN_SO_SP_E_clIS8_S8_S9_S9_EESM_S12_SN_SO_SP_EUlS12_E_NS1_11comp_targetILNS1_3genE8ELNS1_11target_archE1030ELNS1_3gpuE2ELNS1_3repE0EEENS1_48merge_mergepath_partition_config_static_selectorELNS0_4arch9wavefront6targetE1EEEvSO_.numbered_sgpr, 0
	.set _ZN7rocprim17ROCPRIM_400000_NS6detail17trampoline_kernelINS0_14default_configENS1_38merge_sort_block_merge_config_selectorIlNS0_10empty_typeEEEZZNS1_27merge_sort_block_merge_implIS3_PlPS5_mZN2at6native12_GLOBAL__N_124unique_dim_cuda_templateIN3c108BFloat16EEESt5tupleIJNSA_6TensorESH_SH_EERKSH_lbbbEUlllE_EE10hipError_tT0_T1_T2_jT3_P12ihipStream_tbPNSt15iterator_traitsISN_E10value_typeEPNST_ISO_E10value_typeEPSP_NS1_7vsmem_tEENKUlT_SN_SO_SP_E_clIS8_S8_S9_S9_EESM_S12_SN_SO_SP_EUlS12_E_NS1_11comp_targetILNS1_3genE8ELNS1_11target_archE1030ELNS1_3gpuE2ELNS1_3repE0EEENS1_48merge_mergepath_partition_config_static_selectorELNS0_4arch9wavefront6targetE1EEEvSO_.num_named_barrier, 0
	.set _ZN7rocprim17ROCPRIM_400000_NS6detail17trampoline_kernelINS0_14default_configENS1_38merge_sort_block_merge_config_selectorIlNS0_10empty_typeEEEZZNS1_27merge_sort_block_merge_implIS3_PlPS5_mZN2at6native12_GLOBAL__N_124unique_dim_cuda_templateIN3c108BFloat16EEESt5tupleIJNSA_6TensorESH_SH_EERKSH_lbbbEUlllE_EE10hipError_tT0_T1_T2_jT3_P12ihipStream_tbPNSt15iterator_traitsISN_E10value_typeEPNST_ISO_E10value_typeEPSP_NS1_7vsmem_tEENKUlT_SN_SO_SP_E_clIS8_S8_S9_S9_EESM_S12_SN_SO_SP_EUlS12_E_NS1_11comp_targetILNS1_3genE8ELNS1_11target_archE1030ELNS1_3gpuE2ELNS1_3repE0EEENS1_48merge_mergepath_partition_config_static_selectorELNS0_4arch9wavefront6targetE1EEEvSO_.private_seg_size, 0
	.set _ZN7rocprim17ROCPRIM_400000_NS6detail17trampoline_kernelINS0_14default_configENS1_38merge_sort_block_merge_config_selectorIlNS0_10empty_typeEEEZZNS1_27merge_sort_block_merge_implIS3_PlPS5_mZN2at6native12_GLOBAL__N_124unique_dim_cuda_templateIN3c108BFloat16EEESt5tupleIJNSA_6TensorESH_SH_EERKSH_lbbbEUlllE_EE10hipError_tT0_T1_T2_jT3_P12ihipStream_tbPNSt15iterator_traitsISN_E10value_typeEPNST_ISO_E10value_typeEPSP_NS1_7vsmem_tEENKUlT_SN_SO_SP_E_clIS8_S8_S9_S9_EESM_S12_SN_SO_SP_EUlS12_E_NS1_11comp_targetILNS1_3genE8ELNS1_11target_archE1030ELNS1_3gpuE2ELNS1_3repE0EEENS1_48merge_mergepath_partition_config_static_selectorELNS0_4arch9wavefront6targetE1EEEvSO_.uses_vcc, 0
	.set _ZN7rocprim17ROCPRIM_400000_NS6detail17trampoline_kernelINS0_14default_configENS1_38merge_sort_block_merge_config_selectorIlNS0_10empty_typeEEEZZNS1_27merge_sort_block_merge_implIS3_PlPS5_mZN2at6native12_GLOBAL__N_124unique_dim_cuda_templateIN3c108BFloat16EEESt5tupleIJNSA_6TensorESH_SH_EERKSH_lbbbEUlllE_EE10hipError_tT0_T1_T2_jT3_P12ihipStream_tbPNSt15iterator_traitsISN_E10value_typeEPNST_ISO_E10value_typeEPSP_NS1_7vsmem_tEENKUlT_SN_SO_SP_E_clIS8_S8_S9_S9_EESM_S12_SN_SO_SP_EUlS12_E_NS1_11comp_targetILNS1_3genE8ELNS1_11target_archE1030ELNS1_3gpuE2ELNS1_3repE0EEENS1_48merge_mergepath_partition_config_static_selectorELNS0_4arch9wavefront6targetE1EEEvSO_.uses_flat_scratch, 0
	.set _ZN7rocprim17ROCPRIM_400000_NS6detail17trampoline_kernelINS0_14default_configENS1_38merge_sort_block_merge_config_selectorIlNS0_10empty_typeEEEZZNS1_27merge_sort_block_merge_implIS3_PlPS5_mZN2at6native12_GLOBAL__N_124unique_dim_cuda_templateIN3c108BFloat16EEESt5tupleIJNSA_6TensorESH_SH_EERKSH_lbbbEUlllE_EE10hipError_tT0_T1_T2_jT3_P12ihipStream_tbPNSt15iterator_traitsISN_E10value_typeEPNST_ISO_E10value_typeEPSP_NS1_7vsmem_tEENKUlT_SN_SO_SP_E_clIS8_S8_S9_S9_EESM_S12_SN_SO_SP_EUlS12_E_NS1_11comp_targetILNS1_3genE8ELNS1_11target_archE1030ELNS1_3gpuE2ELNS1_3repE0EEENS1_48merge_mergepath_partition_config_static_selectorELNS0_4arch9wavefront6targetE1EEEvSO_.has_dyn_sized_stack, 0
	.set _ZN7rocprim17ROCPRIM_400000_NS6detail17trampoline_kernelINS0_14default_configENS1_38merge_sort_block_merge_config_selectorIlNS0_10empty_typeEEEZZNS1_27merge_sort_block_merge_implIS3_PlPS5_mZN2at6native12_GLOBAL__N_124unique_dim_cuda_templateIN3c108BFloat16EEESt5tupleIJNSA_6TensorESH_SH_EERKSH_lbbbEUlllE_EE10hipError_tT0_T1_T2_jT3_P12ihipStream_tbPNSt15iterator_traitsISN_E10value_typeEPNST_ISO_E10value_typeEPSP_NS1_7vsmem_tEENKUlT_SN_SO_SP_E_clIS8_S8_S9_S9_EESM_S12_SN_SO_SP_EUlS12_E_NS1_11comp_targetILNS1_3genE8ELNS1_11target_archE1030ELNS1_3gpuE2ELNS1_3repE0EEENS1_48merge_mergepath_partition_config_static_selectorELNS0_4arch9wavefront6targetE1EEEvSO_.has_recursion, 0
	.set _ZN7rocprim17ROCPRIM_400000_NS6detail17trampoline_kernelINS0_14default_configENS1_38merge_sort_block_merge_config_selectorIlNS0_10empty_typeEEEZZNS1_27merge_sort_block_merge_implIS3_PlPS5_mZN2at6native12_GLOBAL__N_124unique_dim_cuda_templateIN3c108BFloat16EEESt5tupleIJNSA_6TensorESH_SH_EERKSH_lbbbEUlllE_EE10hipError_tT0_T1_T2_jT3_P12ihipStream_tbPNSt15iterator_traitsISN_E10value_typeEPNST_ISO_E10value_typeEPSP_NS1_7vsmem_tEENKUlT_SN_SO_SP_E_clIS8_S8_S9_S9_EESM_S12_SN_SO_SP_EUlS12_E_NS1_11comp_targetILNS1_3genE8ELNS1_11target_archE1030ELNS1_3gpuE2ELNS1_3repE0EEENS1_48merge_mergepath_partition_config_static_selectorELNS0_4arch9wavefront6targetE1EEEvSO_.has_indirect_call, 0
	.section	.AMDGPU.csdata,"",@progbits
; Kernel info:
; codeLenInByte = 0
; TotalNumSgprs: 6
; NumVgprs: 0
; NumAgprs: 0
; TotalNumVgprs: 0
; ScratchSize: 0
; MemoryBound: 0
; FloatMode: 240
; IeeeMode: 1
; LDSByteSize: 0 bytes/workgroup (compile time only)
; SGPRBlocks: 0
; VGPRBlocks: 0
; NumSGPRsForWavesPerEU: 6
; NumVGPRsForWavesPerEU: 1
; AccumOffset: 4
; Occupancy: 8
; WaveLimiterHint : 0
; COMPUTE_PGM_RSRC2:SCRATCH_EN: 0
; COMPUTE_PGM_RSRC2:USER_SGPR: 2
; COMPUTE_PGM_RSRC2:TRAP_HANDLER: 0
; COMPUTE_PGM_RSRC2:TGID_X_EN: 1
; COMPUTE_PGM_RSRC2:TGID_Y_EN: 0
; COMPUTE_PGM_RSRC2:TGID_Z_EN: 0
; COMPUTE_PGM_RSRC2:TIDIG_COMP_CNT: 0
; COMPUTE_PGM_RSRC3_GFX90A:ACCUM_OFFSET: 0
; COMPUTE_PGM_RSRC3_GFX90A:TG_SPLIT: 0
	.section	.text._ZN7rocprim17ROCPRIM_400000_NS6detail17trampoline_kernelINS0_14default_configENS1_38merge_sort_block_merge_config_selectorIlNS0_10empty_typeEEEZZNS1_27merge_sort_block_merge_implIS3_PlPS5_mZN2at6native12_GLOBAL__N_124unique_dim_cuda_templateIN3c108BFloat16EEESt5tupleIJNSA_6TensorESH_SH_EERKSH_lbbbEUlllE_EE10hipError_tT0_T1_T2_jT3_P12ihipStream_tbPNSt15iterator_traitsISN_E10value_typeEPNST_ISO_E10value_typeEPSP_NS1_7vsmem_tEENKUlT_SN_SO_SP_E_clIS8_S8_S9_S9_EESM_S12_SN_SO_SP_EUlS12_E0_NS1_11comp_targetILNS1_3genE0ELNS1_11target_archE4294967295ELNS1_3gpuE0ELNS1_3repE0EEENS1_38merge_mergepath_config_static_selectorELNS0_4arch9wavefront6targetE1EEEvSO_,"axG",@progbits,_ZN7rocprim17ROCPRIM_400000_NS6detail17trampoline_kernelINS0_14default_configENS1_38merge_sort_block_merge_config_selectorIlNS0_10empty_typeEEEZZNS1_27merge_sort_block_merge_implIS3_PlPS5_mZN2at6native12_GLOBAL__N_124unique_dim_cuda_templateIN3c108BFloat16EEESt5tupleIJNSA_6TensorESH_SH_EERKSH_lbbbEUlllE_EE10hipError_tT0_T1_T2_jT3_P12ihipStream_tbPNSt15iterator_traitsISN_E10value_typeEPNST_ISO_E10value_typeEPSP_NS1_7vsmem_tEENKUlT_SN_SO_SP_E_clIS8_S8_S9_S9_EESM_S12_SN_SO_SP_EUlS12_E0_NS1_11comp_targetILNS1_3genE0ELNS1_11target_archE4294967295ELNS1_3gpuE0ELNS1_3repE0EEENS1_38merge_mergepath_config_static_selectorELNS0_4arch9wavefront6targetE1EEEvSO_,comdat
	.globl	_ZN7rocprim17ROCPRIM_400000_NS6detail17trampoline_kernelINS0_14default_configENS1_38merge_sort_block_merge_config_selectorIlNS0_10empty_typeEEEZZNS1_27merge_sort_block_merge_implIS3_PlPS5_mZN2at6native12_GLOBAL__N_124unique_dim_cuda_templateIN3c108BFloat16EEESt5tupleIJNSA_6TensorESH_SH_EERKSH_lbbbEUlllE_EE10hipError_tT0_T1_T2_jT3_P12ihipStream_tbPNSt15iterator_traitsISN_E10value_typeEPNST_ISO_E10value_typeEPSP_NS1_7vsmem_tEENKUlT_SN_SO_SP_E_clIS8_S8_S9_S9_EESM_S12_SN_SO_SP_EUlS12_E0_NS1_11comp_targetILNS1_3genE0ELNS1_11target_archE4294967295ELNS1_3gpuE0ELNS1_3repE0EEENS1_38merge_mergepath_config_static_selectorELNS0_4arch9wavefront6targetE1EEEvSO_ ; -- Begin function _ZN7rocprim17ROCPRIM_400000_NS6detail17trampoline_kernelINS0_14default_configENS1_38merge_sort_block_merge_config_selectorIlNS0_10empty_typeEEEZZNS1_27merge_sort_block_merge_implIS3_PlPS5_mZN2at6native12_GLOBAL__N_124unique_dim_cuda_templateIN3c108BFloat16EEESt5tupleIJNSA_6TensorESH_SH_EERKSH_lbbbEUlllE_EE10hipError_tT0_T1_T2_jT3_P12ihipStream_tbPNSt15iterator_traitsISN_E10value_typeEPNST_ISO_E10value_typeEPSP_NS1_7vsmem_tEENKUlT_SN_SO_SP_E_clIS8_S8_S9_S9_EESM_S12_SN_SO_SP_EUlS12_E0_NS1_11comp_targetILNS1_3genE0ELNS1_11target_archE4294967295ELNS1_3gpuE0ELNS1_3repE0EEENS1_38merge_mergepath_config_static_selectorELNS0_4arch9wavefront6targetE1EEEvSO_
	.p2align	8
	.type	_ZN7rocprim17ROCPRIM_400000_NS6detail17trampoline_kernelINS0_14default_configENS1_38merge_sort_block_merge_config_selectorIlNS0_10empty_typeEEEZZNS1_27merge_sort_block_merge_implIS3_PlPS5_mZN2at6native12_GLOBAL__N_124unique_dim_cuda_templateIN3c108BFloat16EEESt5tupleIJNSA_6TensorESH_SH_EERKSH_lbbbEUlllE_EE10hipError_tT0_T1_T2_jT3_P12ihipStream_tbPNSt15iterator_traitsISN_E10value_typeEPNST_ISO_E10value_typeEPSP_NS1_7vsmem_tEENKUlT_SN_SO_SP_E_clIS8_S8_S9_S9_EESM_S12_SN_SO_SP_EUlS12_E0_NS1_11comp_targetILNS1_3genE0ELNS1_11target_archE4294967295ELNS1_3gpuE0ELNS1_3repE0EEENS1_38merge_mergepath_config_static_selectorELNS0_4arch9wavefront6targetE1EEEvSO_,@function
_ZN7rocprim17ROCPRIM_400000_NS6detail17trampoline_kernelINS0_14default_configENS1_38merge_sort_block_merge_config_selectorIlNS0_10empty_typeEEEZZNS1_27merge_sort_block_merge_implIS3_PlPS5_mZN2at6native12_GLOBAL__N_124unique_dim_cuda_templateIN3c108BFloat16EEESt5tupleIJNSA_6TensorESH_SH_EERKSH_lbbbEUlllE_EE10hipError_tT0_T1_T2_jT3_P12ihipStream_tbPNSt15iterator_traitsISN_E10value_typeEPNST_ISO_E10value_typeEPSP_NS1_7vsmem_tEENKUlT_SN_SO_SP_E_clIS8_S8_S9_S9_EESM_S12_SN_SO_SP_EUlS12_E0_NS1_11comp_targetILNS1_3genE0ELNS1_11target_archE4294967295ELNS1_3gpuE0ELNS1_3repE0EEENS1_38merge_mergepath_config_static_selectorELNS0_4arch9wavefront6targetE1EEEvSO_: ; @_ZN7rocprim17ROCPRIM_400000_NS6detail17trampoline_kernelINS0_14default_configENS1_38merge_sort_block_merge_config_selectorIlNS0_10empty_typeEEEZZNS1_27merge_sort_block_merge_implIS3_PlPS5_mZN2at6native12_GLOBAL__N_124unique_dim_cuda_templateIN3c108BFloat16EEESt5tupleIJNSA_6TensorESH_SH_EERKSH_lbbbEUlllE_EE10hipError_tT0_T1_T2_jT3_P12ihipStream_tbPNSt15iterator_traitsISN_E10value_typeEPNST_ISO_E10value_typeEPSP_NS1_7vsmem_tEENKUlT_SN_SO_SP_E_clIS8_S8_S9_S9_EESM_S12_SN_SO_SP_EUlS12_E0_NS1_11comp_targetILNS1_3genE0ELNS1_11target_archE4294967295ELNS1_3gpuE0ELNS1_3repE0EEENS1_38merge_mergepath_config_static_selectorELNS0_4arch9wavefront6targetE1EEEvSO_
; %bb.0:
	s_load_dwordx2 s[22:23], s[0:1], 0x58
	s_load_dword s5, s[0:1], 0x38
	s_add_u32 s18, s0, 0x58
	s_addc_u32 s19, s1, 0
	s_waitcnt lgkmcnt(0)
	s_mul_i32 s4, s23, s4
	s_add_i32 s3, s4, s3
	s_mul_i32 s3, s3, s22
	s_add_i32 s20, s3, s2
	s_cmp_ge_u32 s20, s5
	s_cbranch_scc1 .LBB1133_133
; %bb.1:
	s_load_dwordx2 s[12:13], s[0:1], 0x50
	s_load_dwordx4 s[8:11], s[0:1], 0x8
	s_load_dwordx4 s[4:7], s[0:1], 0x28
	s_mov_b32 s21, 0
	s_lshl_b64 s[14:15], s[20:21], 3
	s_waitcnt lgkmcnt(0)
	s_add_u32 s16, s12, s14
	s_addc_u32 s17, s13, s15
	s_load_dwordx4 s[12:15], s[16:17], 0x0
	s_lshr_b64 s[16:17], s[6:7], 9
	s_and_b32 s3, s16, -2
	s_sub_i32 s33, 0, s3
	s_and_b32 s26, s20, s33
	s_mov_b32 s27, s21
	s_lshl_b64 s[24:25], s[26:27], 10
	s_lshl_b64 s[16:17], s[20:21], 10
	s_sub_u32 s3, s16, s24
	s_subb_u32 s23, s17, s25
	s_lshl_b64 s[26:27], s[26:27], 11
	s_add_u32 s26, s26, s6
	s_addc_u32 s27, s27, s7
	s_add_u32 s3, s26, s3
	s_addc_u32 s23, s27, s23
	s_waitcnt lgkmcnt(0)
	s_sub_u32 s28, s3, s14
	s_subb_u32 s15, s23, s15
	s_add_u32 s28, s28, 0x400
	s_addc_u32 s29, s15, 0
	v_mov_b64_e32 v[2:3], s[28:29]
	v_cmp_lt_u64_e32 vcc, s[4:5], v[2:3]
	s_and_b64 s[30:31], vcc, exec
	s_cselect_b32 s15, s4, s28
	s_or_b32 s28, s20, s33
	s_cmp_lg_u32 s28, -1
	s_cbranch_scc1 .LBB1133_3
; %bb.2:
	s_sub_u32 s24, s26, s24
	s_subb_u32 s25, s27, s25
	v_mov_b64_e32 v[2:3], s[24:25]
	v_cmp_lt_u64_e32 vcc, s[4:5], v[2:3]
	s_and_b64 s[14:15], vcc, exec
	s_cselect_b32 s14, s4, s24
	s_add_u32 s6, s24, s6
	s_addc_u32 s7, s25, s7
	v_mov_b64_e32 v[2:3], s[6:7]
	v_cmp_lt_u64_e32 vcc, s[4:5], v[2:3]
	s_and_b64 s[24:25], vcc, exec
	s_cselect_b32 s15, s4, s6
.LBB1133_3:
	s_lshr_b64 s[24:25], s[4:5], 10
	s_cmp_lg_u64 s[24:25], s[20:21]
	s_cselect_b64 s[6:7], -1, 0
	s_sub_u32 s26, s3, s12
	s_subb_u32 s27, s23, s13
	v_mov_b64_e32 v[2:3], s[26:27]
	v_cmp_lt_u64_e32 vcc, s[4:5], v[2:3]
	s_and_b64 s[28:29], vcc, exec
	s_cselect_b32 s26, s4, s26
	s_cselect_b32 s27, s5, s27
	s_sub_i32 s5, s14, s12
	s_sub_i32 s23, s15, s26
	s_lshl_b64 s[12:13], s[12:13], 3
	s_add_u32 s12, s8, s12
	s_addc_u32 s13, s9, s13
	s_lshl_b64 s[14:15], s[26:27], 3
	s_add_u32 s8, s8, s14
	s_addc_u32 s9, s9, s15
	s_cmp_lt_u32 s2, s22
	v_mov_b32_e32 v19, 0
	s_cselect_b32 s2, 12, 18
	global_load_dword v1, v19, s[18:19] offset:14
	s_add_u32 s2, s18, s2
	s_addc_u32 s3, s19, 0
	global_load_ushort v2, v19, s[2:3]
	s_cmp_eq_u64 s[24:25], s[20:21]
	v_lshlrev_b32_e32 v18, 3, v0
	s_waitcnt vmcnt(1)
	v_lshrrev_b32_e32 v3, 16, v1
	v_and_b32_e32 v1, 0xffff, v1
	v_mul_lo_u32 v1, v1, v3
	s_waitcnt vmcnt(0)
	v_mul_lo_u32 v1, v1, v2
	s_cbranch_scc1 .LBB1133_5
; %bb.4:
	v_subrev_co_u32_e32 v4, vcc, s5, v0
	v_mov_b32_e32 v5, v19
	v_lshl_add_u64 v[2:3], s[12:13], 0, v[18:19]
	v_lshl_add_u64 v[4:5], v[4:5], 3, s[8:9]
	v_add_u32_e32 v6, v1, v0
	v_cndmask_b32_e32 v3, v5, v3, vcc
	v_cndmask_b32_e32 v2, v4, v2, vcc
	v_mov_b32_e32 v7, v19
	v_subrev_co_u32_e32 v8, vcc, s5, v6
	v_mov_b32_e32 v9, v19
	v_lshl_add_u64 v[4:5], v[6:7], 3, s[12:13]
	v_lshl_add_u64 v[8:9], v[8:9], 3, s[8:9]
	v_cndmask_b32_e32 v4, v8, v4, vcc
	v_add_u32_e32 v8, v6, v1
	v_cndmask_b32_e32 v5, v9, v5, vcc
	v_mov_b32_e32 v9, v19
	v_subrev_co_u32_e32 v10, vcc, s5, v8
	v_mov_b32_e32 v11, v19
	v_lshl_add_u64 v[6:7], v[8:9], 3, s[12:13]
	v_lshl_add_u64 v[10:11], v[10:11], 3, s[8:9]
	v_cndmask_b32_e32 v6, v10, v6, vcc
	v_add_u32_e32 v10, v8, v1
	;; [unrolled: 8-line block ×5, first 2 shown]
	v_cndmask_b32_e32 v13, v17, v13, vcc
	v_mov_b32_e32 v17, v19
	v_subrev_co_u32_e32 v20, vcc, s5, v16
	v_mov_b32_e32 v21, v19
	v_lshl_add_u64 v[14:15], v[16:17], 3, s[12:13]
	v_lshl_add_u64 v[20:21], v[20:21], 3, s[8:9]
	v_add_u32_e32 v16, v16, v1
	v_cndmask_b32_e32 v15, v21, v15, vcc
	v_cndmask_b32_e32 v14, v20, v14, vcc
	v_lshl_add_u64 v[20:21], v[16:17], 3, s[12:13]
	v_subrev_co_u32_e32 v16, vcc, s5, v16
	v_lshl_add_u64 v[16:17], v[16:17], 3, s[8:9]
	s_nop 0
	v_cndmask_b32_e32 v17, v17, v21, vcc
	v_cndmask_b32_e32 v16, v16, v20, vcc
	global_load_dwordx2 v[2:3], v[2:3], off
	s_add_i32 s33, s5, s23
	global_load_dwordx2 v[4:5], v[4:5], off
	s_nop 0
	global_load_dwordx2 v[6:7], v[6:7], off
	s_nop 0
	;; [unrolled: 2-line block ×6, first 2 shown]
	global_load_dwordx2 v[16:17], v[16:17], off
	s_cbranch_execz .LBB1133_6
	s_branch .LBB1133_23
.LBB1133_5:
                                        ; implicit-def: $vgpr2_vgpr3_vgpr4_vgpr5_vgpr6_vgpr7_vgpr8_vgpr9_vgpr10_vgpr11_vgpr12_vgpr13_vgpr14_vgpr15_vgpr16_vgpr17
                                        ; implicit-def: $sgpr33
.LBB1133_6:
	s_add_i32 s33, s5, s23
	s_waitcnt vmcnt(7)
	v_mov_b32_e32 v2, 0
	v_cmp_gt_u32_e32 vcc, s33, v0
	v_mov_b32_e32 v3, v2
	s_waitcnt vmcnt(6)
	v_mov_b32_e32 v4, v2
	v_mov_b32_e32 v5, v2
	s_waitcnt vmcnt(5)
	v_mov_b32_e32 v6, v2
	;; [unrolled: 3-line block ×7, first 2 shown]
	v_mov_b32_e32 v17, v2
	s_and_saveexec_b64 s[2:3], vcc
	s_cbranch_execz .LBB1133_8
; %bb.7:
	v_mov_b32_e32 v19, v2
	v_subrev_co_u32_e32 v6, vcc, s5, v0
	v_mov_b32_e32 v7, v2
	v_lshl_add_u64 v[4:5], s[12:13], 0, v[18:19]
	v_lshl_add_u64 v[6:7], v[6:7], 3, s[8:9]
	v_cndmask_b32_e32 v5, v7, v5, vcc
	v_cndmask_b32_e32 v4, v6, v4, vcc
	global_load_dwordx2 v[20:21], v[4:5], off
	v_mov_b32_e32 v22, v2
	v_mov_b32_e32 v23, v2
	;; [unrolled: 1-line block ×14, first 2 shown]
	s_waitcnt vmcnt(0)
	v_mov_b64_e32 v[2:3], v[20:21]
	v_mov_b64_e32 v[4:5], v[22:23]
	;; [unrolled: 1-line block ×8, first 2 shown]
.LBB1133_8:
	s_or_b64 exec, exec, s[2:3]
	v_add_u32_e32 v20, v1, v0
	v_cmp_gt_u32_e32 vcc, s33, v20
	s_and_saveexec_b64 s[2:3], vcc
	s_cbranch_execz .LBB1133_10
; %bb.9:
	v_mov_b32_e32 v21, 0
	v_subrev_co_u32_e32 v22, vcc, s5, v20
	v_mov_b32_e32 v23, v21
	v_lshl_add_u64 v[4:5], v[20:21], 3, s[12:13]
	v_lshl_add_u64 v[22:23], v[22:23], 3, s[8:9]
	v_cndmask_b32_e32 v5, v23, v5, vcc
	v_cndmask_b32_e32 v4, v22, v4, vcc
	global_load_dwordx2 v[4:5], v[4:5], off
.LBB1133_10:
	s_or_b64 exec, exec, s[2:3]
	v_add_u32_e32 v20, v20, v1
	v_cmp_gt_u32_e32 vcc, s33, v20
	s_and_saveexec_b64 s[2:3], vcc
	s_cbranch_execz .LBB1133_12
; %bb.11:
	v_mov_b32_e32 v21, 0
	v_subrev_co_u32_e32 v22, vcc, s5, v20
	v_mov_b32_e32 v23, v21
	v_lshl_add_u64 v[6:7], v[20:21], 3, s[12:13]
	v_lshl_add_u64 v[22:23], v[22:23], 3, s[8:9]
	v_cndmask_b32_e32 v7, v23, v7, vcc
	v_cndmask_b32_e32 v6, v22, v6, vcc
	global_load_dwordx2 v[6:7], v[6:7], off
.LBB1133_12:
	s_or_b64 exec, exec, s[2:3]
	v_add_u32_e32 v20, v20, v1
	v_cmp_gt_u32_e32 vcc, s33, v20
	s_and_saveexec_b64 s[2:3], vcc
	s_cbranch_execz .LBB1133_14
; %bb.13:
	v_mov_b32_e32 v21, 0
	v_subrev_co_u32_e32 v22, vcc, s5, v20
	v_mov_b32_e32 v23, v21
	v_lshl_add_u64 v[8:9], v[20:21], 3, s[12:13]
	v_lshl_add_u64 v[22:23], v[22:23], 3, s[8:9]
	v_cndmask_b32_e32 v9, v23, v9, vcc
	v_cndmask_b32_e32 v8, v22, v8, vcc
	global_load_dwordx2 v[8:9], v[8:9], off
.LBB1133_14:
	s_or_b64 exec, exec, s[2:3]
	v_add_u32_e32 v20, v20, v1
	v_cmp_gt_u32_e32 vcc, s33, v20
	s_and_saveexec_b64 s[2:3], vcc
	s_cbranch_execz .LBB1133_16
; %bb.15:
	v_mov_b32_e32 v21, 0
	v_subrev_co_u32_e32 v22, vcc, s5, v20
	v_mov_b32_e32 v23, v21
	v_lshl_add_u64 v[10:11], v[20:21], 3, s[12:13]
	v_lshl_add_u64 v[22:23], v[22:23], 3, s[8:9]
	v_cndmask_b32_e32 v11, v23, v11, vcc
	v_cndmask_b32_e32 v10, v22, v10, vcc
	global_load_dwordx2 v[10:11], v[10:11], off
.LBB1133_16:
	s_or_b64 exec, exec, s[2:3]
	v_add_u32_e32 v20, v20, v1
	v_cmp_gt_u32_e32 vcc, s33, v20
	s_and_saveexec_b64 s[2:3], vcc
	s_cbranch_execz .LBB1133_18
; %bb.17:
	v_mov_b32_e32 v21, 0
	v_subrev_co_u32_e32 v22, vcc, s5, v20
	v_mov_b32_e32 v23, v21
	v_lshl_add_u64 v[12:13], v[20:21], 3, s[12:13]
	v_lshl_add_u64 v[22:23], v[22:23], 3, s[8:9]
	v_cndmask_b32_e32 v13, v23, v13, vcc
	v_cndmask_b32_e32 v12, v22, v12, vcc
	global_load_dwordx2 v[12:13], v[12:13], off
.LBB1133_18:
	s_or_b64 exec, exec, s[2:3]
	v_add_u32_e32 v20, v20, v1
	v_cmp_gt_u32_e32 vcc, s33, v20
	s_and_saveexec_b64 s[2:3], vcc
	s_cbranch_execz .LBB1133_20
; %bb.19:
	v_mov_b32_e32 v21, 0
	v_subrev_co_u32_e32 v22, vcc, s5, v20
	v_mov_b32_e32 v23, v21
	v_lshl_add_u64 v[14:15], v[20:21], 3, s[12:13]
	v_lshl_add_u64 v[22:23], v[22:23], 3, s[8:9]
	v_cndmask_b32_e32 v15, v23, v15, vcc
	v_cndmask_b32_e32 v14, v22, v14, vcc
	global_load_dwordx2 v[14:15], v[14:15], off
.LBB1133_20:
	s_or_b64 exec, exec, s[2:3]
	v_add_u32_e32 v20, v20, v1
	v_cmp_gt_u32_e32 vcc, s33, v20
	s_and_saveexec_b64 s[2:3], vcc
	s_cbranch_execz .LBB1133_22
; %bb.21:
	v_mov_b32_e32 v21, 0
	v_lshl_add_u64 v[16:17], v[20:21], 3, s[12:13]
	v_subrev_co_u32_e32 v20, vcc, s5, v20
	v_lshl_add_u64 v[20:21], v[20:21], 3, s[8:9]
	s_nop 0
	v_cndmask_b32_e32 v17, v21, v17, vcc
	v_cndmask_b32_e32 v16, v20, v16, vcc
	global_load_dwordx2 v[16:17], v[16:17], off
.LBB1133_22:
	s_or_b64 exec, exec, s[2:3]
.LBB1133_23:
	s_load_dwordx4 s[12:15], s[0:1], 0x40
	v_min_u32_e32 v1, s33, v18
	v_sub_u32_e64 v24, v1, s23 clamp
	v_min_u32_e32 v19, s5, v1
	v_cmp_lt_u32_e32 vcc, v24, v19
	s_waitcnt vmcnt(0)
	ds_write2st64_b64 v18, v[2:3], v[4:5] offset1:2
	ds_write2st64_b64 v18, v[6:7], v[8:9] offset0:4 offset1:6
	ds_write2st64_b64 v18, v[10:11], v[12:13] offset0:8 offset1:10
	;; [unrolled: 1-line block ×3, first 2 shown]
	s_waitcnt lgkmcnt(0)
	s_barrier
	s_and_saveexec_b64 s[2:3], vcc
	s_cbranch_execz .LBB1133_35
; %bb.24:
	v_lshlrev_b32_e32 v20, 3, v1
	v_cmp_gt_i64_e64 s[0:1], s[12:13], 0
	v_lshl_add_u32 v25, s5, 3, v20
	s_mov_b64 s[8:9], 0
	v_cndmask_b32_e64 v20, 0, 1, s[0:1]
	s_lshl_b64 s[18:19], s[12:13], 1
	v_cmp_ne_u32_e64 s[0:1], 1, v20
	s_branch .LBB1133_27
.LBB1133_25:                            ;   in Loop: Header=BB1133_27 Depth=1
	s_or_b64 exec, exec, s[22:23]
.LBB1133_26:                            ;   in Loop: Header=BB1133_27 Depth=1
	v_add_u32_e32 v20, 1, v26
	v_cndmask_b32_e64 v19, v19, v26, s[20:21]
	v_cndmask_b32_e64 v24, v20, v24, s[20:21]
	v_cmp_ge_u32_e32 vcc, v24, v19
	s_or_b64 s[8:9], vcc, s[8:9]
	s_andn2_b64 exec, exec, s[8:9]
	s_cbranch_execz .LBB1133_34
.LBB1133_27:                            ; =>This Loop Header: Depth=1
                                        ;     Child Loop BB1133_30 Depth 2
	v_add_u32_e32 v20, v19, v24
	v_lshrrev_b32_e32 v26, 1, v20
	s_and_b64 vcc, exec, s[0:1]
	s_mov_b64 s[20:21], 0
	s_cbranch_vccnz .LBB1133_26
; %bb.28:                               ;   in Loop: Header=BB1133_27 Depth=1
	v_not_b32_e32 v20, v26
	v_lshl_add_u32 v20, v20, 3, v25
	ds_read_b64 v[20:21], v20
	v_lshlrev_b32_e32 v27, 3, v26
	ds_read_b64 v[28:29], v27
	v_mov_b64_e32 v[22:23], s[14:15]
	s_mov_b64 s[22:23], 0
	s_waitcnt lgkmcnt(1)
	v_mul_lo_u32 v27, s18, v21
	v_mul_lo_u32 v30, s19, v20
	v_mad_u64_u32 v[20:21], s[20:21], s18, v20, v[22:23]
	v_add3_u32 v21, v30, v21, v27
	s_waitcnt lgkmcnt(0)
	v_mul_lo_u32 v27, s18, v29
	v_mul_lo_u32 v29, s19, v28
	v_mad_u64_u32 v[22:23], s[20:21], s18, v28, v[22:23]
	v_add3_u32 v23, v29, v23, v27
	s_mov_b64 s[26:27], s[12:13]
                                        ; implicit-def: $sgpr20_sgpr21
                                        ; implicit-def: $sgpr24_sgpr25
                                        ; implicit-def: $sgpr34_sgpr35
	s_branch .LBB1133_30
.LBB1133_29:                            ;   in Loop: Header=BB1133_30 Depth=2
	s_or_b64 exec, exec, s[34:35]
	s_and_b64 s[30:31], exec, s[30:31]
	s_or_b64 s[22:23], s[30:31], s[22:23]
	s_andn2_b64 s[20:21], s[20:21], exec
	s_and_b64 s[30:31], s[24:25], exec
	s_or_b64 s[20:21], s[20:21], s[30:31]
	s_mov_b64 s[34:35], s[28:29]
	s_andn2_b64 exec, exec, s[22:23]
	s_cbranch_execz .LBB1133_25
.LBB1133_30:                            ;   Parent Loop BB1133_27 Depth=1
                                        ; =>  This Inner Loop Header: Depth=2
	global_load_ushort v27, v[20:21], off
	global_load_ushort v28, v[22:23], off
	s_mov_b64 s[30:31], -1
	s_mov_b64 s[36:37], 0
	s_mov_b64 s[28:29], -1
	s_waitcnt vmcnt(1)
	v_lshlrev_b32_e32 v27, 16, v27
	s_waitcnt vmcnt(0)
	v_lshlrev_b32_e32 v28, 16, v28
	v_cmp_nlt_f32_e32 vcc, v27, v28
	s_and_saveexec_b64 s[38:39], vcc
; %bb.31:                               ;   in Loop: Header=BB1133_30 Depth=2
	v_cmp_ngt_f32_e32 vcc, v27, v28
	s_and_b64 s[28:29], vcc, s[34:35]
	s_orn2_b64 s[28:29], s[28:29], exec
	s_and_b64 s[36:37], vcc, exec
; %bb.32:                               ;   in Loop: Header=BB1133_30 Depth=2
	s_or_b64 exec, exec, s[38:39]
	s_andn2_b64 s[24:25], s[24:25], exec
	s_and_b64 s[34:35], s[28:29], exec
	s_or_b64 s[24:25], s[24:25], s[34:35]
	s_and_saveexec_b64 s[34:35], s[36:37]
	s_cbranch_execz .LBB1133_29
; %bb.33:                               ;   in Loop: Header=BB1133_30 Depth=2
	s_add_u32 s26, s26, -1
	s_addc_u32 s27, s27, -1
	s_cmp_eq_u64 s[26:27], 0
	s_cselect_b64 s[30:31], -1, 0
	v_lshl_add_u64 v[20:21], v[20:21], 0, 2
	v_lshl_add_u64 v[22:23], v[22:23], 0, 2
	s_andn2_b64 s[24:25], s[24:25], exec
	s_orn2_b64 s[30:31], s[30:31], exec
	s_branch .LBB1133_29
.LBB1133_34:
	s_or_b64 exec, exec, s[8:9]
.LBB1133_35:
	s_or_b64 exec, exec, s[2:3]
	v_sub_u32_e32 v1, v1, v24
	v_add_u32_e32 v22, s5, v1
	v_cmp_ge_u32_e32 vcc, s5, v24
	v_cmp_ge_u32_e64 s[0:1], s33, v22
	s_or_b64 s[0:1], vcc, s[0:1]
	s_and_saveexec_b64 s[8:9], s[0:1]
	s_cbranch_execz .LBB1133_119
; %bb.36:
	v_cmp_le_u32_e32 vcc, s5, v24
	v_cmp_gt_u32_e64 s[0:1], s5, v24
                                        ; implicit-def: $vgpr2_vgpr3
	s_and_saveexec_b64 s[2:3], s[0:1]
; %bb.37:
	v_lshlrev_b32_e32 v1, 3, v24
	ds_read_b64 v[2:3], v1
; %bb.38:
	s_or_b64 exec, exec, s[2:3]
	v_cmp_le_u32_e64 s[0:1], s33, v22
	v_cmp_gt_u32_e64 s[2:3], s33, v22
                                        ; implicit-def: $vgpr16_vgpr17
	s_and_saveexec_b64 s[18:19], s[2:3]
; %bb.39:
	v_lshlrev_b32_e32 v1, 3, v22
	ds_read_b64 v[16:17], v1
; %bb.40:
	s_or_b64 exec, exec, s[18:19]
	v_cmp_lt_i64_e64 s[2:3], s[12:13], 1
	s_or_b64 s[18:19], vcc, s[0:1]
	s_nor_b64 s[20:21], s[18:19], s[2:3]
	s_xor_b64 s[18:19], vcc, -1
	s_or_b64 s[0:1], s[0:1], s[18:19]
	s_and_saveexec_b64 s[18:19], s[20:21]
	s_cbranch_execz .LBB1133_48
; %bb.41:
	s_waitcnt lgkmcnt(0)
	v_mul_lo_u32 v1, v17, s12
	v_mul_lo_u32 v6, v16, s13
	v_mad_u64_u32 v[4:5], s[20:21], v16, s12, 0
	v_add3_u32 v5, v5, v6, v1
	v_mul_lo_u32 v1, v3, s12
	v_mul_lo_u32 v8, v2, s13
	v_mad_u64_u32 v[6:7], s[20:21], v2, s12, 0
	v_add3_u32 v7, v7, v8, v1
	v_lshl_add_u64 v[4:5], v[4:5], 1, s[14:15]
	v_lshl_add_u64 v[6:7], v[6:7], 1, s[14:15]
	s_mov_b64 s[20:21], 0
	s_mov_b64 s[26:27], s[12:13]
                                        ; implicit-def: $sgpr22_sgpr23
                                        ; implicit-def: $sgpr24_sgpr25
                                        ; implicit-def: $sgpr30_sgpr31
	s_branch .LBB1133_43
.LBB1133_42:                            ;   in Loop: Header=BB1133_43 Depth=1
	s_or_b64 exec, exec, s[36:37]
	s_and_b64 s[30:31], exec, s[30:31]
	s_or_b64 s[20:21], s[30:31], s[20:21]
	s_andn2_b64 s[22:23], s[22:23], exec
	s_and_b64 s[30:31], s[24:25], exec
	s_or_b64 s[22:23], s[22:23], s[30:31]
	s_mov_b64 s[30:31], s[28:29]
	s_andn2_b64 exec, exec, s[20:21]
	s_cbranch_execz .LBB1133_47
.LBB1133_43:                            ; =>This Inner Loop Header: Depth=1
	global_load_ushort v1, v[4:5], off
	global_load_ushort v8, v[6:7], off
	s_mov_b64 s[34:35], 0
	s_mov_b64 s[28:29], -1
	s_waitcnt vmcnt(1)
	v_lshlrev_b32_e32 v1, 16, v1
	s_waitcnt vmcnt(0)
	v_lshlrev_b32_e32 v8, 16, v8
	v_cmp_nlt_f32_e32 vcc, v1, v8
	s_and_saveexec_b64 s[36:37], vcc
; %bb.44:                               ;   in Loop: Header=BB1133_43 Depth=1
	v_cmp_ngt_f32_e32 vcc, v1, v8
	s_and_b64 s[28:29], vcc, s[30:31]
	s_orn2_b64 s[28:29], s[28:29], exec
	s_and_b64 s[34:35], vcc, exec
; %bb.45:                               ;   in Loop: Header=BB1133_43 Depth=1
	s_or_b64 exec, exec, s[36:37]
	s_andn2_b64 s[24:25], s[24:25], exec
	s_and_b64 s[36:37], s[28:29], exec
	s_mov_b64 s[30:31], -1
	s_or_b64 s[24:25], s[24:25], s[36:37]
	s_and_saveexec_b64 s[36:37], s[34:35]
	s_cbranch_execz .LBB1133_42
; %bb.46:                               ;   in Loop: Header=BB1133_43 Depth=1
	s_add_u32 s26, s26, -1
	s_addc_u32 s27, s27, -1
	s_cmp_eq_u64 s[26:27], 0
	s_cselect_b64 s[30:31], -1, 0
	v_lshl_add_u64 v[4:5], v[4:5], 0, 2
	v_lshl_add_u64 v[6:7], v[6:7], 0, 2
	s_andn2_b64 s[24:25], s[24:25], exec
	s_orn2_b64 s[30:31], s[30:31], exec
	s_branch .LBB1133_42
.LBB1133_47:
	s_or_b64 exec, exec, s[20:21]
	s_xor_b64 s[20:21], s[22:23], -1
	s_andn2_b64 s[0:1], s[0:1], exec
	s_and_b64 s[20:21], s[20:21], exec
	s_or_b64 s[0:1], s[0:1], s[20:21]
.LBB1133_48:
	s_or_b64 exec, exec, s[18:19]
	v_mov_b32_e32 v4, s33
	v_mov_b32_e32 v5, s5
	v_cndmask_b32_e64 v1, v22, v24, s[0:1]
	v_cndmask_b32_e64 v4, v4, v5, s[0:1]
	v_add_u32_e32 v6, 1, v1
	v_add_u32_e32 v1, -1, v4
	v_min_u32_e32 v1, v6, v1
	v_lshlrev_b32_e32 v1, 3, v1
	ds_read_b64 v[4:5], v1
	v_cndmask_b32_e64 v8, v6, v22, s[0:1]
	v_cndmask_b32_e64 v9, v24, v6, s[0:1]
	v_cmp_gt_u32_e32 vcc, s33, v8
	s_mov_b64 s[20:21], -1
	s_waitcnt lgkmcnt(0)
	v_cndmask_b32_e64 v1, v5, v17, s[0:1]
	v_cndmask_b32_e64 v19, v4, v16, s[0:1]
	;; [unrolled: 1-line block ×4, first 2 shown]
	s_mov_b64 s[18:19], -1
	s_and_saveexec_b64 s[22:23], vcc
	s_cbranch_execz .LBB1133_58
; %bb.49:
	v_cmp_gt_u32_e64 s[18:19], s5, v9
	s_xor_b64 s[24:25], s[2:3], -1
	s_and_b64 s[26:27], s[18:19], s[24:25]
	s_and_saveexec_b64 s[24:25], s[26:27]
	s_cbranch_execz .LBB1133_57
; %bb.50:
	v_mul_lo_u32 v6, v1, s12
	v_mul_lo_u32 v7, v19, s13
	v_mad_u64_u32 v[4:5], s[26:27], v19, s12, 0
	v_add3_u32 v5, v5, v7, v6
	v_mul_lo_u32 v10, v20, s12
	v_mul_lo_u32 v11, v21, s13
	v_mad_u64_u32 v[6:7], s[26:27], v21, s12, 0
	v_add3_u32 v7, v7, v11, v10
	v_lshl_add_u64 v[4:5], v[4:5], 1, s[14:15]
	v_lshl_add_u64 v[6:7], v[6:7], 1, s[14:15]
	s_mov_b64 s[26:27], 0
	s_mov_b64 s[34:35], s[12:13]
                                        ; implicit-def: $sgpr28_sgpr29
                                        ; implicit-def: $sgpr30_sgpr31
                                        ; implicit-def: $sgpr38_sgpr39
	s_branch .LBB1133_52
.LBB1133_51:                            ;   in Loop: Header=BB1133_52 Depth=1
	s_or_b64 exec, exec, s[42:43]
	s_and_b64 s[38:39], exec, s[38:39]
	s_or_b64 s[26:27], s[38:39], s[26:27]
	s_andn2_b64 s[28:29], s[28:29], exec
	s_and_b64 s[38:39], s[30:31], exec
	s_or_b64 s[28:29], s[28:29], s[38:39]
	s_mov_b64 s[38:39], s[36:37]
	s_andn2_b64 exec, exec, s[26:27]
	s_cbranch_execz .LBB1133_56
.LBB1133_52:                            ; =>This Inner Loop Header: Depth=1
	global_load_ushort v10, v[4:5], off
	global_load_ushort v11, v[6:7], off
	s_mov_b64 s[40:41], 0
	s_mov_b64 s[36:37], -1
	s_waitcnt vmcnt(1)
	v_lshlrev_b32_e32 v10, 16, v10
	s_waitcnt vmcnt(0)
	v_lshlrev_b32_e32 v11, 16, v11
	v_cmp_nlt_f32_e32 vcc, v10, v11
	s_and_saveexec_b64 s[42:43], vcc
; %bb.53:                               ;   in Loop: Header=BB1133_52 Depth=1
	v_cmp_ngt_f32_e32 vcc, v10, v11
	s_and_b64 s[36:37], vcc, s[38:39]
	s_orn2_b64 s[36:37], s[36:37], exec
	s_and_b64 s[40:41], vcc, exec
; %bb.54:                               ;   in Loop: Header=BB1133_52 Depth=1
	s_or_b64 exec, exec, s[42:43]
	s_andn2_b64 s[30:31], s[30:31], exec
	s_and_b64 s[42:43], s[36:37], exec
	s_mov_b64 s[38:39], -1
	s_or_b64 s[30:31], s[30:31], s[42:43]
	s_and_saveexec_b64 s[42:43], s[40:41]
	s_cbranch_execz .LBB1133_51
; %bb.55:                               ;   in Loop: Header=BB1133_52 Depth=1
	s_add_u32 s34, s34, -1
	s_addc_u32 s35, s35, -1
	s_cmp_eq_u64 s[34:35], 0
	s_cselect_b64 s[38:39], -1, 0
	v_lshl_add_u64 v[4:5], v[4:5], 0, 2
	v_lshl_add_u64 v[6:7], v[6:7], 0, 2
	s_andn2_b64 s[30:31], s[30:31], exec
	s_orn2_b64 s[38:39], s[38:39], exec
	s_branch .LBB1133_51
.LBB1133_56:
	s_or_b64 exec, exec, s[26:27]
	s_xor_b64 s[26:27], s[28:29], -1
	s_andn2_b64 s[18:19], s[18:19], exec
	s_and_b64 s[26:27], s[26:27], exec
	s_or_b64 s[18:19], s[18:19], s[26:27]
.LBB1133_57:
	s_or_b64 exec, exec, s[24:25]
	s_orn2_b64 s[18:19], s[18:19], exec
.LBB1133_58:
	s_or_b64 exec, exec, s[22:23]
	v_mov_b32_e32 v5, s33
	v_mov_b32_e32 v6, s5
	v_cndmask_b32_e64 v4, v8, v9, s[18:19]
	v_cndmask_b32_e64 v5, v5, v6, s[18:19]
	v_add_u32_e32 v6, 1, v4
	v_add_u32_e32 v4, -1, v5
	v_min_u32_e32 v4, v6, v4
	v_lshlrev_b32_e32 v4, 3, v4
	ds_read_b64 v[4:5], v4
	v_cndmask_b32_e64 v10, v6, v8, s[18:19]
	v_cndmask_b32_e64 v11, v9, v6, s[18:19]
	v_cmp_gt_u32_e32 vcc, s33, v10
	s_waitcnt lgkmcnt(0)
	v_cndmask_b32_e64 v22, v5, v1, s[18:19]
	v_cndmask_b32_e64 v23, v4, v19, s[18:19]
	;; [unrolled: 1-line block ×4, first 2 shown]
	s_and_saveexec_b64 s[22:23], vcc
	s_cbranch_execz .LBB1133_68
; %bb.59:
	v_cmp_gt_u32_e64 s[20:21], s5, v11
	s_xor_b64 s[24:25], s[2:3], -1
	s_and_b64 s[26:27], s[20:21], s[24:25]
	s_and_saveexec_b64 s[24:25], s[26:27]
	s_cbranch_execz .LBB1133_67
; %bb.60:
	v_mul_lo_u32 v6, v22, s12
	v_mul_lo_u32 v7, v23, s13
	v_mad_u64_u32 v[4:5], s[26:27], v23, s12, 0
	v_add3_u32 v5, v5, v7, v6
	v_mul_lo_u32 v8, v24, s12
	v_mul_lo_u32 v9, v25, s13
	v_mad_u64_u32 v[6:7], s[26:27], v25, s12, 0
	v_add3_u32 v7, v7, v9, v8
	v_lshl_add_u64 v[4:5], v[4:5], 1, s[14:15]
	v_lshl_add_u64 v[6:7], v[6:7], 1, s[14:15]
	s_mov_b64 s[26:27], 0
	s_mov_b64 s[34:35], s[12:13]
                                        ; implicit-def: $sgpr28_sgpr29
                                        ; implicit-def: $sgpr30_sgpr31
                                        ; implicit-def: $sgpr38_sgpr39
	s_branch .LBB1133_62
.LBB1133_61:                            ;   in Loop: Header=BB1133_62 Depth=1
	s_or_b64 exec, exec, s[42:43]
	s_and_b64 s[38:39], exec, s[38:39]
	s_or_b64 s[26:27], s[38:39], s[26:27]
	s_andn2_b64 s[28:29], s[28:29], exec
	s_and_b64 s[38:39], s[30:31], exec
	s_or_b64 s[28:29], s[28:29], s[38:39]
	s_mov_b64 s[38:39], s[36:37]
	s_andn2_b64 exec, exec, s[26:27]
	s_cbranch_execz .LBB1133_66
.LBB1133_62:                            ; =>This Inner Loop Header: Depth=1
	global_load_ushort v8, v[4:5], off
	global_load_ushort v9, v[6:7], off
	s_mov_b64 s[40:41], 0
	s_mov_b64 s[36:37], -1
	s_waitcnt vmcnt(1)
	v_lshlrev_b32_e32 v8, 16, v8
	s_waitcnt vmcnt(0)
	v_lshlrev_b32_e32 v9, 16, v9
	v_cmp_nlt_f32_e32 vcc, v8, v9
	s_and_saveexec_b64 s[42:43], vcc
; %bb.63:                               ;   in Loop: Header=BB1133_62 Depth=1
	v_cmp_ngt_f32_e32 vcc, v8, v9
	s_and_b64 s[36:37], vcc, s[38:39]
	s_orn2_b64 s[36:37], s[36:37], exec
	s_and_b64 s[40:41], vcc, exec
; %bb.64:                               ;   in Loop: Header=BB1133_62 Depth=1
	s_or_b64 exec, exec, s[42:43]
	s_andn2_b64 s[30:31], s[30:31], exec
	s_and_b64 s[42:43], s[36:37], exec
	s_mov_b64 s[38:39], -1
	s_or_b64 s[30:31], s[30:31], s[42:43]
	s_and_saveexec_b64 s[42:43], s[40:41]
	s_cbranch_execz .LBB1133_61
; %bb.65:                               ;   in Loop: Header=BB1133_62 Depth=1
	s_add_u32 s34, s34, -1
	s_addc_u32 s35, s35, -1
	s_cmp_eq_u64 s[34:35], 0
	s_cselect_b64 s[38:39], -1, 0
	v_lshl_add_u64 v[4:5], v[4:5], 0, 2
	v_lshl_add_u64 v[6:7], v[6:7], 0, 2
	s_andn2_b64 s[30:31], s[30:31], exec
	s_orn2_b64 s[38:39], s[38:39], exec
	s_branch .LBB1133_61
.LBB1133_66:
	s_or_b64 exec, exec, s[26:27]
	s_xor_b64 s[26:27], s[28:29], -1
	s_andn2_b64 s[20:21], s[20:21], exec
	s_and_b64 s[26:27], s[26:27], exec
	s_or_b64 s[20:21], s[20:21], s[26:27]
.LBB1133_67:
	s_or_b64 exec, exec, s[24:25]
	s_orn2_b64 s[20:21], s[20:21], exec
.LBB1133_68:
	s_or_b64 exec, exec, s[22:23]
	v_mov_b32_e32 v5, s33
	v_mov_b32_e32 v6, s5
	v_cndmask_b32_e64 v4, v10, v11, s[20:21]
	v_cndmask_b32_e64 v5, v5, v6, s[20:21]
	v_add_u32_e32 v6, 1, v4
	v_add_u32_e32 v4, -1, v5
	v_min_u32_e32 v4, v6, v4
	v_lshlrev_b32_e32 v4, 3, v4
	ds_read_b64 v[4:5], v4
	v_cndmask_b32_e64 v12, v6, v10, s[20:21]
	v_cndmask_b32_e64 v13, v11, v6, s[20:21]
	v_cmp_gt_u32_e32 vcc, s33, v12
	s_mov_b64 s[24:25], -1
	s_waitcnt lgkmcnt(0)
	v_cndmask_b32_e64 v8, v5, v22, s[20:21]
	v_cndmask_b32_e64 v26, v4, v23, s[20:21]
	;; [unrolled: 1-line block ×4, first 2 shown]
	s_mov_b64 s[22:23], -1
	s_and_saveexec_b64 s[26:27], vcc
	s_cbranch_execz .LBB1133_78
; %bb.69:
	v_cmp_gt_u32_e64 s[22:23], s5, v13
	s_xor_b64 s[28:29], s[2:3], -1
	s_and_b64 s[30:31], s[22:23], s[28:29]
	s_and_saveexec_b64 s[28:29], s[30:31]
	s_cbranch_execz .LBB1133_77
; %bb.70:
	v_mul_lo_u32 v6, v8, s12
	v_mul_lo_u32 v7, v26, s13
	v_mad_u64_u32 v[4:5], s[30:31], v26, s12, 0
	v_add3_u32 v5, v5, v7, v6
	v_mul_lo_u32 v10, v9, s12
	v_mul_lo_u32 v11, v27, s13
	v_mad_u64_u32 v[6:7], s[30:31], v27, s12, 0
	v_add3_u32 v7, v7, v11, v10
	v_lshl_add_u64 v[4:5], v[4:5], 1, s[14:15]
	v_lshl_add_u64 v[6:7], v[6:7], 1, s[14:15]
	s_mov_b64 s[30:31], 0
	s_mov_b64 s[38:39], s[12:13]
                                        ; implicit-def: $sgpr34_sgpr35
                                        ; implicit-def: $sgpr36_sgpr37
                                        ; implicit-def: $sgpr42_sgpr43
	s_branch .LBB1133_72
.LBB1133_71:                            ;   in Loop: Header=BB1133_72 Depth=1
	s_or_b64 exec, exec, s[46:47]
	s_and_b64 s[42:43], exec, s[42:43]
	s_or_b64 s[30:31], s[42:43], s[30:31]
	s_andn2_b64 s[34:35], s[34:35], exec
	s_and_b64 s[42:43], s[36:37], exec
	s_or_b64 s[34:35], s[34:35], s[42:43]
	s_mov_b64 s[42:43], s[40:41]
	s_andn2_b64 exec, exec, s[30:31]
	s_cbranch_execz .LBB1133_76
.LBB1133_72:                            ; =>This Inner Loop Header: Depth=1
	global_load_ushort v10, v[4:5], off
	global_load_ushort v11, v[6:7], off
	s_mov_b64 s[44:45], 0
	s_mov_b64 s[40:41], -1
	s_waitcnt vmcnt(1)
	v_lshlrev_b32_e32 v10, 16, v10
	s_waitcnt vmcnt(0)
	v_lshlrev_b32_e32 v11, 16, v11
	v_cmp_nlt_f32_e32 vcc, v10, v11
	s_and_saveexec_b64 s[46:47], vcc
; %bb.73:                               ;   in Loop: Header=BB1133_72 Depth=1
	v_cmp_ngt_f32_e32 vcc, v10, v11
	s_and_b64 s[40:41], vcc, s[42:43]
	s_orn2_b64 s[40:41], s[40:41], exec
	s_and_b64 s[44:45], vcc, exec
; %bb.74:                               ;   in Loop: Header=BB1133_72 Depth=1
	s_or_b64 exec, exec, s[46:47]
	s_andn2_b64 s[36:37], s[36:37], exec
	s_and_b64 s[46:47], s[40:41], exec
	s_mov_b64 s[42:43], -1
	s_or_b64 s[36:37], s[36:37], s[46:47]
	s_and_saveexec_b64 s[46:47], s[44:45]
	s_cbranch_execz .LBB1133_71
; %bb.75:                               ;   in Loop: Header=BB1133_72 Depth=1
	s_add_u32 s38, s38, -1
	s_addc_u32 s39, s39, -1
	s_cmp_eq_u64 s[38:39], 0
	s_cselect_b64 s[42:43], -1, 0
	v_lshl_add_u64 v[4:5], v[4:5], 0, 2
	v_lshl_add_u64 v[6:7], v[6:7], 0, 2
	s_andn2_b64 s[36:37], s[36:37], exec
	s_orn2_b64 s[42:43], s[42:43], exec
	s_branch .LBB1133_71
.LBB1133_76:
	s_or_b64 exec, exec, s[30:31]
	s_xor_b64 s[30:31], s[34:35], -1
	s_andn2_b64 s[22:23], s[22:23], exec
	s_and_b64 s[30:31], s[30:31], exec
	s_or_b64 s[22:23], s[22:23], s[30:31]
.LBB1133_77:
	s_or_b64 exec, exec, s[28:29]
	s_orn2_b64 s[22:23], s[22:23], exec
.LBB1133_78:
	s_or_b64 exec, exec, s[26:27]
	v_mov_b32_e32 v5, s33
	v_mov_b32_e32 v6, s5
	v_cndmask_b32_e64 v4, v12, v13, s[22:23]
	v_cndmask_b32_e64 v5, v5, v6, s[22:23]
	v_add_u32_e32 v6, 1, v4
	v_add_u32_e32 v4, -1, v5
	v_min_u32_e32 v4, v6, v4
	v_lshlrev_b32_e32 v4, 3, v4
	ds_read_b64 v[4:5], v4
	v_cndmask_b32_e64 v14, v6, v12, s[22:23]
	v_cndmask_b32_e64 v15, v13, v6, s[22:23]
	v_cmp_gt_u32_e32 vcc, s33, v14
	s_waitcnt lgkmcnt(0)
	v_cndmask_b32_e64 v10, v5, v8, s[22:23]
	v_cndmask_b32_e64 v28, v4, v26, s[22:23]
	;; [unrolled: 1-line block ×4, first 2 shown]
	s_and_saveexec_b64 s[26:27], vcc
	s_cbranch_execz .LBB1133_88
; %bb.79:
	v_cmp_gt_u32_e64 s[24:25], s5, v15
	s_xor_b64 s[28:29], s[2:3], -1
	s_and_b64 s[30:31], s[24:25], s[28:29]
	s_and_saveexec_b64 s[28:29], s[30:31]
	s_cbranch_execz .LBB1133_87
; %bb.80:
	v_mul_lo_u32 v6, v10, s12
	v_mul_lo_u32 v7, v28, s13
	v_mad_u64_u32 v[4:5], s[30:31], v28, s12, 0
	v_add3_u32 v5, v5, v7, v6
	v_mul_lo_u32 v12, v11, s12
	v_mul_lo_u32 v13, v29, s13
	v_mad_u64_u32 v[6:7], s[30:31], v29, s12, 0
	v_add3_u32 v7, v7, v13, v12
	v_lshl_add_u64 v[4:5], v[4:5], 1, s[14:15]
	v_lshl_add_u64 v[6:7], v[6:7], 1, s[14:15]
	s_mov_b64 s[30:31], 0
	s_mov_b64 s[38:39], s[12:13]
                                        ; implicit-def: $sgpr34_sgpr35
                                        ; implicit-def: $sgpr36_sgpr37
                                        ; implicit-def: $sgpr42_sgpr43
	s_branch .LBB1133_82
.LBB1133_81:                            ;   in Loop: Header=BB1133_82 Depth=1
	s_or_b64 exec, exec, s[46:47]
	s_and_b64 s[42:43], exec, s[42:43]
	s_or_b64 s[30:31], s[42:43], s[30:31]
	s_andn2_b64 s[34:35], s[34:35], exec
	s_and_b64 s[42:43], s[36:37], exec
	s_or_b64 s[34:35], s[34:35], s[42:43]
	s_mov_b64 s[42:43], s[40:41]
	s_andn2_b64 exec, exec, s[30:31]
	s_cbranch_execz .LBB1133_86
.LBB1133_82:                            ; =>This Inner Loop Header: Depth=1
	global_load_ushort v12, v[4:5], off
	global_load_ushort v13, v[6:7], off
	s_mov_b64 s[44:45], 0
	s_mov_b64 s[40:41], -1
	s_waitcnt vmcnt(1)
	v_lshlrev_b32_e32 v12, 16, v12
	s_waitcnt vmcnt(0)
	v_lshlrev_b32_e32 v13, 16, v13
	v_cmp_nlt_f32_e32 vcc, v12, v13
	s_and_saveexec_b64 s[46:47], vcc
; %bb.83:                               ;   in Loop: Header=BB1133_82 Depth=1
	v_cmp_ngt_f32_e32 vcc, v12, v13
	s_and_b64 s[40:41], vcc, s[42:43]
	s_orn2_b64 s[40:41], s[40:41], exec
	s_and_b64 s[44:45], vcc, exec
; %bb.84:                               ;   in Loop: Header=BB1133_82 Depth=1
	s_or_b64 exec, exec, s[46:47]
	s_andn2_b64 s[36:37], s[36:37], exec
	s_and_b64 s[46:47], s[40:41], exec
	s_mov_b64 s[42:43], -1
	s_or_b64 s[36:37], s[36:37], s[46:47]
	s_and_saveexec_b64 s[46:47], s[44:45]
	s_cbranch_execz .LBB1133_81
; %bb.85:                               ;   in Loop: Header=BB1133_82 Depth=1
	s_add_u32 s38, s38, -1
	s_addc_u32 s39, s39, -1
	s_cmp_eq_u64 s[38:39], 0
	s_cselect_b64 s[42:43], -1, 0
	v_lshl_add_u64 v[4:5], v[4:5], 0, 2
	v_lshl_add_u64 v[6:7], v[6:7], 0, 2
	s_andn2_b64 s[36:37], s[36:37], exec
	s_orn2_b64 s[42:43], s[42:43], exec
	s_branch .LBB1133_81
.LBB1133_86:
	s_or_b64 exec, exec, s[30:31]
	s_xor_b64 s[30:31], s[34:35], -1
	s_andn2_b64 s[24:25], s[24:25], exec
	s_and_b64 s[30:31], s[30:31], exec
	s_or_b64 s[24:25], s[24:25], s[30:31]
.LBB1133_87:
	s_or_b64 exec, exec, s[28:29]
	s_orn2_b64 s[24:25], s[24:25], exec
.LBB1133_88:
	s_or_b64 exec, exec, s[26:27]
	v_mov_b32_e32 v5, s33
	v_mov_b32_e32 v6, s5
	v_cndmask_b32_e64 v4, v14, v15, s[24:25]
	v_cndmask_b32_e64 v5, v5, v6, s[24:25]
	v_add_u32_e32 v6, 1, v4
	v_add_u32_e32 v4, -1, v5
	v_min_u32_e32 v4, v6, v4
	v_lshlrev_b32_e32 v4, 3, v4
	ds_read_b64 v[4:5], v4
	v_cndmask_b32_e64 v34, v6, v14, s[24:25]
	v_cndmask_b32_e64 v35, v15, v6, s[24:25]
	v_cmp_gt_u32_e32 vcc, s33, v34
	s_mov_b64 s[28:29], -1
	s_waitcnt lgkmcnt(0)
	v_cndmask_b32_e64 v12, v5, v10, s[24:25]
	v_cndmask_b32_e64 v30, v4, v28, s[24:25]
	;; [unrolled: 1-line block ×4, first 2 shown]
	s_mov_b64 s[26:27], -1
	s_and_saveexec_b64 s[30:31], vcc
	s_cbranch_execz .LBB1133_98
; %bb.89:
	v_cmp_gt_u32_e64 s[26:27], s5, v35
	s_xor_b64 s[34:35], s[2:3], -1
	s_and_b64 s[36:37], s[26:27], s[34:35]
	s_and_saveexec_b64 s[34:35], s[36:37]
	s_cbranch_execz .LBB1133_97
; %bb.90:
	v_mul_lo_u32 v6, v12, s12
	v_mul_lo_u32 v7, v30, s13
	v_mad_u64_u32 v[4:5], s[36:37], v30, s12, 0
	v_add3_u32 v5, v5, v7, v6
	v_mul_lo_u32 v14, v13, s12
	v_mul_lo_u32 v15, v31, s13
	v_mad_u64_u32 v[6:7], s[36:37], v31, s12, 0
	v_add3_u32 v7, v7, v15, v14
	v_lshl_add_u64 v[4:5], v[4:5], 1, s[14:15]
	v_lshl_add_u64 v[6:7], v[6:7], 1, s[14:15]
	s_mov_b64 s[36:37], 0
	s_mov_b64 s[42:43], s[12:13]
                                        ; implicit-def: $sgpr38_sgpr39
                                        ; implicit-def: $sgpr40_sgpr41
                                        ; implicit-def: $sgpr46_sgpr47
	s_branch .LBB1133_92
.LBB1133_91:                            ;   in Loop: Header=BB1133_92 Depth=1
	s_or_b64 exec, exec, s[50:51]
	s_and_b64 s[46:47], exec, s[46:47]
	s_or_b64 s[36:37], s[46:47], s[36:37]
	s_andn2_b64 s[38:39], s[38:39], exec
	s_and_b64 s[46:47], s[40:41], exec
	s_or_b64 s[38:39], s[38:39], s[46:47]
	s_mov_b64 s[46:47], s[44:45]
	s_andn2_b64 exec, exec, s[36:37]
	s_cbranch_execz .LBB1133_96
.LBB1133_92:                            ; =>This Inner Loop Header: Depth=1
	global_load_ushort v14, v[4:5], off
	global_load_ushort v15, v[6:7], off
	s_mov_b64 s[48:49], 0
	s_mov_b64 s[44:45], -1
	s_waitcnt vmcnt(1)
	v_lshlrev_b32_e32 v14, 16, v14
	s_waitcnt vmcnt(0)
	v_lshlrev_b32_e32 v15, 16, v15
	v_cmp_nlt_f32_e32 vcc, v14, v15
	s_and_saveexec_b64 s[50:51], vcc
; %bb.93:                               ;   in Loop: Header=BB1133_92 Depth=1
	v_cmp_ngt_f32_e32 vcc, v14, v15
	s_and_b64 s[44:45], vcc, s[46:47]
	s_orn2_b64 s[44:45], s[44:45], exec
	s_and_b64 s[48:49], vcc, exec
; %bb.94:                               ;   in Loop: Header=BB1133_92 Depth=1
	s_or_b64 exec, exec, s[50:51]
	s_andn2_b64 s[40:41], s[40:41], exec
	s_and_b64 s[50:51], s[44:45], exec
	s_mov_b64 s[46:47], -1
	s_or_b64 s[40:41], s[40:41], s[50:51]
	s_and_saveexec_b64 s[50:51], s[48:49]
	s_cbranch_execz .LBB1133_91
; %bb.95:                               ;   in Loop: Header=BB1133_92 Depth=1
	s_add_u32 s42, s42, -1
	s_addc_u32 s43, s43, -1
	s_cmp_eq_u64 s[42:43], 0
	s_cselect_b64 s[46:47], -1, 0
	v_lshl_add_u64 v[4:5], v[4:5], 0, 2
	v_lshl_add_u64 v[6:7], v[6:7], 0, 2
	s_andn2_b64 s[40:41], s[40:41], exec
	s_orn2_b64 s[46:47], s[46:47], exec
	s_branch .LBB1133_91
.LBB1133_96:
	s_or_b64 exec, exec, s[36:37]
	s_xor_b64 s[36:37], s[38:39], -1
	s_andn2_b64 s[26:27], s[26:27], exec
	s_and_b64 s[36:37], s[36:37], exec
	s_or_b64 s[26:27], s[26:27], s[36:37]
.LBB1133_97:
	s_or_b64 exec, exec, s[34:35]
	s_orn2_b64 s[26:27], s[26:27], exec
.LBB1133_98:
	s_or_b64 exec, exec, s[30:31]
	v_mov_b32_e32 v5, s33
	v_mov_b32_e32 v6, s5
	v_cndmask_b32_e64 v4, v34, v35, s[26:27]
	v_cndmask_b32_e64 v5, v5, v6, s[26:27]
	v_add_u32_e32 v6, 1, v4
	v_add_u32_e32 v4, -1, v5
	v_min_u32_e32 v4, v6, v4
	v_lshlrev_b32_e32 v4, 3, v4
	ds_read_b64 v[4:5], v4
	v_cndmask_b32_e64 v39, v6, v34, s[26:27]
	v_cndmask_b32_e64 v38, v35, v6, s[26:27]
	v_cmp_gt_u32_e32 vcc, s33, v39
	s_waitcnt lgkmcnt(0)
	v_cndmask_b32_e64 v14, v5, v12, s[26:27]
	v_cndmask_b32_e64 v32, v4, v30, s[26:27]
	;; [unrolled: 1-line block ×4, first 2 shown]
	s_and_saveexec_b64 s[30:31], vcc
	s_cbranch_execz .LBB1133_108
; %bb.99:
	v_cmp_gt_u32_e64 s[28:29], s5, v38
	s_xor_b64 s[34:35], s[2:3], -1
	s_and_b64 s[36:37], s[28:29], s[34:35]
	s_and_saveexec_b64 s[34:35], s[36:37]
	s_cbranch_execz .LBB1133_107
; %bb.100:
	v_mul_lo_u32 v6, v14, s12
	v_mul_lo_u32 v7, v32, s13
	v_mad_u64_u32 v[4:5], s[36:37], v32, s12, 0
	v_add3_u32 v5, v5, v7, v6
	v_mul_lo_u32 v34, v15, s12
	v_mul_lo_u32 v35, v33, s13
	v_mad_u64_u32 v[6:7], s[36:37], v33, s12, 0
	v_add3_u32 v7, v7, v35, v34
	v_lshl_add_u64 v[4:5], v[4:5], 1, s[14:15]
	v_lshl_add_u64 v[6:7], v[6:7], 1, s[14:15]
	s_mov_b64 s[36:37], 0
	s_mov_b64 s[42:43], s[12:13]
                                        ; implicit-def: $sgpr38_sgpr39
                                        ; implicit-def: $sgpr40_sgpr41
                                        ; implicit-def: $sgpr46_sgpr47
	s_branch .LBB1133_102
.LBB1133_101:                           ;   in Loop: Header=BB1133_102 Depth=1
	s_or_b64 exec, exec, s[50:51]
	s_and_b64 s[46:47], exec, s[46:47]
	s_or_b64 s[36:37], s[46:47], s[36:37]
	s_andn2_b64 s[38:39], s[38:39], exec
	s_and_b64 s[46:47], s[40:41], exec
	s_or_b64 s[38:39], s[38:39], s[46:47]
	s_mov_b64 s[46:47], s[44:45]
	s_andn2_b64 exec, exec, s[36:37]
	s_cbranch_execz .LBB1133_106
.LBB1133_102:                           ; =>This Inner Loop Header: Depth=1
	global_load_ushort v34, v[4:5], off
	global_load_ushort v35, v[6:7], off
	s_mov_b64 s[48:49], 0
	s_mov_b64 s[44:45], -1
	s_waitcnt vmcnt(1)
	v_lshlrev_b32_e32 v34, 16, v34
	s_waitcnt vmcnt(0)
	v_lshlrev_b32_e32 v35, 16, v35
	v_cmp_nlt_f32_e32 vcc, v34, v35
	s_and_saveexec_b64 s[50:51], vcc
; %bb.103:                              ;   in Loop: Header=BB1133_102 Depth=1
	v_cmp_ngt_f32_e32 vcc, v34, v35
	s_and_b64 s[44:45], vcc, s[46:47]
	s_orn2_b64 s[44:45], s[44:45], exec
	s_and_b64 s[48:49], vcc, exec
; %bb.104:                              ;   in Loop: Header=BB1133_102 Depth=1
	s_or_b64 exec, exec, s[50:51]
	s_andn2_b64 s[40:41], s[40:41], exec
	s_and_b64 s[50:51], s[44:45], exec
	s_mov_b64 s[46:47], -1
	s_or_b64 s[40:41], s[40:41], s[50:51]
	s_and_saveexec_b64 s[50:51], s[48:49]
	s_cbranch_execz .LBB1133_101
; %bb.105:                              ;   in Loop: Header=BB1133_102 Depth=1
	s_add_u32 s42, s42, -1
	s_addc_u32 s43, s43, -1
	s_cmp_eq_u64 s[42:43], 0
	s_cselect_b64 s[46:47], -1, 0
	v_lshl_add_u64 v[4:5], v[4:5], 0, 2
	v_lshl_add_u64 v[6:7], v[6:7], 0, 2
	s_andn2_b64 s[40:41], s[40:41], exec
	s_orn2_b64 s[46:47], s[46:47], exec
	s_branch .LBB1133_101
.LBB1133_106:
	s_or_b64 exec, exec, s[36:37]
	s_xor_b64 s[36:37], s[38:39], -1
	s_andn2_b64 s[28:29], s[28:29], exec
	s_and_b64 s[36:37], s[36:37], exec
	s_or_b64 s[28:29], s[28:29], s[36:37]
.LBB1133_107:
	s_or_b64 exec, exec, s[34:35]
	s_orn2_b64 s[28:29], s[28:29], exec
.LBB1133_108:
	s_or_b64 exec, exec, s[30:31]
	v_mov_b32_e32 v5, s33
	v_mov_b32_e32 v6, s5
	v_cndmask_b32_e64 v4, v39, v38, s[28:29]
	v_cndmask_b32_e64 v5, v5, v6, s[28:29]
	v_add_u32_e32 v4, 1, v4
	v_add_u32_e32 v5, -1, v5
	v_min_u32_e32 v5, v4, v5
	v_lshlrev_b32_e32 v5, 3, v5
	ds_read_b64 v[6:7], v5
	v_cndmask_b32_e64 v5, v4, v39, s[28:29]
	v_cmp_gt_u32_e32 vcc, s33, v5
	s_mov_b64 s[34:35], -1
	s_waitcnt lgkmcnt(0)
	v_cndmask_b32_e64 v34, v7, v14, s[28:29]
	v_cndmask_b32_e64 v35, v6, v32, s[28:29]
	;; [unrolled: 1-line block ×4, first 2 shown]
	s_and_saveexec_b64 s[30:31], vcc
	s_cbranch_execz .LBB1133_118
; %bb.109:
	v_cndmask_b32_e64 v4, v38, v4, s[28:29]
	v_cmp_gt_u32_e64 s[34:35], s5, v4
	s_xor_b64 s[2:3], s[2:3], -1
	s_and_b64 s[36:37], s[34:35], s[2:3]
	s_and_saveexec_b64 s[2:3], s[36:37]
	s_cbranch_execz .LBB1133_117
; %bb.110:
	v_mul_lo_u32 v6, v34, s12
	v_mul_lo_u32 v7, v35, s13
	v_mad_u64_u32 v[4:5], s[36:37], v35, s12, 0
	v_add3_u32 v5, v5, v7, v6
	v_mul_lo_u32 v38, v36, s12
	v_mul_lo_u32 v39, v37, s13
	v_mad_u64_u32 v[6:7], s[36:37], v37, s12, 0
	v_add3_u32 v7, v7, v39, v38
	v_lshl_add_u64 v[4:5], v[4:5], 1, s[14:15]
	v_lshl_add_u64 v[6:7], v[6:7], 1, s[14:15]
	s_mov_b64 s[14:15], 0
                                        ; implicit-def: $sgpr36_sgpr37
                                        ; implicit-def: $sgpr38_sgpr39
                                        ; implicit-def: $sgpr42_sgpr43
	s_branch .LBB1133_112
.LBB1133_111:                           ;   in Loop: Header=BB1133_112 Depth=1
	s_or_b64 exec, exec, s[46:47]
	s_and_b64 s[42:43], exec, s[42:43]
	s_or_b64 s[14:15], s[42:43], s[14:15]
	s_andn2_b64 s[36:37], s[36:37], exec
	s_and_b64 s[42:43], s[38:39], exec
	s_or_b64 s[36:37], s[36:37], s[42:43]
	s_mov_b64 s[42:43], s[40:41]
	s_andn2_b64 exec, exec, s[14:15]
	s_cbranch_execz .LBB1133_116
.LBB1133_112:                           ; =>This Inner Loop Header: Depth=1
	global_load_ushort v38, v[4:5], off
	global_load_ushort v39, v[6:7], off
	s_mov_b64 s[44:45], 0
	s_mov_b64 s[40:41], -1
	s_waitcnt vmcnt(1)
	v_lshlrev_b32_e32 v38, 16, v38
	s_waitcnt vmcnt(0)
	v_lshlrev_b32_e32 v39, 16, v39
	v_cmp_nlt_f32_e32 vcc, v38, v39
	s_and_saveexec_b64 s[46:47], vcc
; %bb.113:                              ;   in Loop: Header=BB1133_112 Depth=1
	v_cmp_ngt_f32_e32 vcc, v38, v39
	s_and_b64 s[40:41], vcc, s[42:43]
	s_orn2_b64 s[40:41], s[40:41], exec
	s_and_b64 s[44:45], vcc, exec
; %bb.114:                              ;   in Loop: Header=BB1133_112 Depth=1
	s_or_b64 exec, exec, s[46:47]
	s_andn2_b64 s[38:39], s[38:39], exec
	s_and_b64 s[46:47], s[40:41], exec
	s_mov_b64 s[42:43], -1
	s_or_b64 s[38:39], s[38:39], s[46:47]
	s_and_saveexec_b64 s[46:47], s[44:45]
	s_cbranch_execz .LBB1133_111
; %bb.115:                              ;   in Loop: Header=BB1133_112 Depth=1
	s_add_u32 s12, s12, -1
	s_addc_u32 s13, s13, -1
	s_cmp_eq_u64 s[12:13], 0
	s_cselect_b64 s[42:43], -1, 0
	v_lshl_add_u64 v[4:5], v[4:5], 0, 2
	v_lshl_add_u64 v[6:7], v[6:7], 0, 2
	s_andn2_b64 s[38:39], s[38:39], exec
	s_orn2_b64 s[42:43], s[42:43], exec
	s_branch .LBB1133_111
.LBB1133_116:
	s_or_b64 exec, exec, s[14:15]
	s_xor_b64 s[12:13], s[36:37], -1
	s_andn2_b64 s[14:15], s[34:35], exec
	s_and_b64 s[12:13], s[12:13], exec
	s_or_b64 s[34:35], s[14:15], s[12:13]
.LBB1133_117:
	s_or_b64 exec, exec, s[2:3]
	s_orn2_b64 s[34:35], s[34:35], exec
.LBB1133_118:
	s_or_b64 exec, exec, s[30:31]
	v_cndmask_b32_e64 v15, v14, v15, s[28:29]
	v_cndmask_b32_e64 v14, v32, v33, s[28:29]
	;; [unrolled: 1-line block ×16, first 2 shown]
.LBB1133_119:
	s_or_b64 exec, exec, s[8:9]
	v_lshrrev_b32_e32 v1, 2, v0
	v_lshlrev_b32_e32 v19, 3, v18
	v_lshl_add_u32 v19, v1, 3, v19
	v_and_b32_e32 v1, 24, v1
	v_or_b32_e32 v23, 0x80, v0
	v_add_u32_e32 v24, v1, v18
	v_lshrrev_b32_e32 v1, 2, v23
	v_and_b32_e32 v1, 56, v1
	v_or_b32_e32 v22, 0x100, v0
	s_barrier
	s_barrier
	ds_write2_b64 v19, v[2:3], v[4:5] offset1:1
	ds_write2_b64 v19, v[6:7], v[8:9] offset0:2 offset1:3
	ds_write2_b64 v19, v[10:11], v[12:13] offset0:4 offset1:5
	;; [unrolled: 1-line block ×3, first 2 shown]
	v_add_u32_e32 v4, v1, v18
	v_lshrrev_b32_e32 v1, 2, v22
	v_and_b32_e32 v1, 0x58, v1
	v_or_b32_e32 v21, 0x180, v0
	v_add_u32_e32 v5, v1, v18
	v_lshrrev_b32_e32 v1, 2, v21
	v_and_b32_e32 v1, 0x78, v1
	v_or_b32_e32 v20, 0x200, v0
	;; [unrolled: 4-line block ×4, first 2 shown]
	v_add_u32_e32 v25, v1, v18
	v_lshrrev_b32_e32 v1, 2, v16
	v_and_b32_e32 v1, 0xd8, v1
	s_lshl_b64 s[0:1], s[16:17], 3
	v_add_u32_e32 v26, v1, v18
	v_or_b32_e32 v1, 0x380, v0
	s_add_u32 s0, s10, s0
	v_lshrrev_b32_e32 v2, 2, v1
	s_addc_u32 s1, s11, s1
	v_and_b32_e32 v2, 0xf8, v2
	v_mov_b32_e32 v19, 0
	v_add_u32_e32 v27, v2, v18
	v_lshl_add_u64 v[2:3], s[0:1], 0, v[18:19]
	s_and_b64 vcc, exec, s[6:7]
	s_waitcnt lgkmcnt(0)
	s_cbranch_vccz .LBB1133_121
; %bb.120:
	s_barrier
	ds_read_b64 v[8:9], v24
	ds_read_b64 v[10:11], v4 offset:1024
	ds_read_b64 v[12:13], v5 offset:2048
	;; [unrolled: 1-line block ×7, first 2 shown]
	s_waitcnt lgkmcnt(7)
	global_store_dwordx2 v[2:3], v[8:9], off
	s_waitcnt lgkmcnt(6)
	global_store_dwordx2 v[2:3], v[10:11], off offset:1024
	s_waitcnt lgkmcnt(5)
	global_store_dwordx2 v[2:3], v[12:13], off offset:2048
	;; [unrolled: 2-line block ×3, first 2 shown]
	v_add_co_u32_e32 v8, vcc, 0x1000, v2
	s_nop 1
	v_addc_co_u32_e32 v9, vcc, 0, v3, vcc
	s_waitcnt lgkmcnt(3)
	global_store_dwordx2 v[8:9], v[28:29], off
	s_waitcnt lgkmcnt(2)
	global_store_dwordx2 v[8:9], v[30:31], off offset:1024
	s_waitcnt lgkmcnt(1)
	global_store_dwordx2 v[8:9], v[32:33], off offset:2048
	s_mov_b64 s[0:1], -1
	s_cbranch_execz .LBB1133_122
	s_branch .LBB1133_131
.LBB1133_121:
	s_mov_b64 s[0:1], 0
                                        ; implicit-def: $vgpr18_vgpr19
.LBB1133_122:
	s_barrier
	s_waitcnt lgkmcnt(0)
	ds_read_b64 v[14:15], v4 offset:1024
	ds_read_b64 v[12:13], v5 offset:2048
	;; [unrolled: 1-line block ×7, first 2 shown]
	s_sub_i32 s2, s4, s16
	v_cmp_gt_u32_e32 vcc, s2, v0
	s_and_saveexec_b64 s[0:1], vcc
	s_cbranch_execnz .LBB1133_134
; %bb.123:
	s_or_b64 exec, exec, s[0:1]
	v_cmp_gt_u32_e32 vcc, s2, v23
	s_and_saveexec_b64 s[0:1], vcc
	s_cbranch_execnz .LBB1133_135
.LBB1133_124:
	s_or_b64 exec, exec, s[0:1]
	v_cmp_gt_u32_e32 vcc, s2, v22
	s_and_saveexec_b64 s[0:1], vcc
	s_cbranch_execnz .LBB1133_136
.LBB1133_125:
	s_or_b64 exec, exec, s[0:1]
	v_cmp_gt_u32_e32 vcc, s2, v21
	s_and_saveexec_b64 s[0:1], vcc
	s_cbranch_execnz .LBB1133_137
.LBB1133_126:
	s_or_b64 exec, exec, s[0:1]
	v_cmp_gt_u32_e32 vcc, s2, v20
	s_and_saveexec_b64 s[0:1], vcc
	s_cbranch_execnz .LBB1133_138
.LBB1133_127:
	s_or_b64 exec, exec, s[0:1]
	v_cmp_gt_u32_e32 vcc, s2, v17
	s_and_saveexec_b64 s[0:1], vcc
	s_cbranch_execnz .LBB1133_139
.LBB1133_128:
	s_or_b64 exec, exec, s[0:1]
	v_cmp_gt_u32_e32 vcc, s2, v16
	s_and_saveexec_b64 s[0:1], vcc
	s_cbranch_execz .LBB1133_130
.LBB1133_129:
	s_waitcnt lgkmcnt(2)
	v_add_co_u32_e32 v6, vcc, 0x1000, v2
	s_nop 1
	v_addc_co_u32_e32 v7, vcc, 0, v3, vcc
	s_waitcnt lgkmcnt(1)
	global_store_dwordx2 v[6:7], v[4:5], off offset:2048
.LBB1133_130:
	s_or_b64 exec, exec, s[0:1]
	v_cmp_gt_u32_e64 s[0:1], s2, v1
.LBB1133_131:
	s_and_saveexec_b64 s[2:3], s[0:1]
	s_cbranch_execz .LBB1133_133
; %bb.132:
	v_add_co_u32_e32 v0, vcc, 0x1000, v2
	s_nop 1
	v_addc_co_u32_e32 v1, vcc, 0, v3, vcc
	s_waitcnt lgkmcnt(0)
	global_store_dwordx2 v[0:1], v[18:19], off offset:3072
.LBB1133_133:
	s_endpgm
.LBB1133_134:
	ds_read_b64 v[24:25], v24
	s_waitcnt lgkmcnt(0)
	global_store_dwordx2 v[2:3], v[24:25], off
	s_or_b64 exec, exec, s[0:1]
	v_cmp_gt_u32_e32 vcc, s2, v23
	s_and_saveexec_b64 s[0:1], vcc
	s_cbranch_execz .LBB1133_124
.LBB1133_135:
	s_waitcnt lgkmcnt(6)
	global_store_dwordx2 v[2:3], v[14:15], off offset:1024
	s_or_b64 exec, exec, s[0:1]
	v_cmp_gt_u32_e32 vcc, s2, v22
	s_and_saveexec_b64 s[0:1], vcc
	s_cbranch_execz .LBB1133_125
.LBB1133_136:
	s_waitcnt lgkmcnt(5)
	global_store_dwordx2 v[2:3], v[12:13], off offset:2048
	s_or_b64 exec, exec, s[0:1]
	v_cmp_gt_u32_e32 vcc, s2, v21
	s_and_saveexec_b64 s[0:1], vcc
	s_cbranch_execz .LBB1133_126
.LBB1133_137:
	s_waitcnt lgkmcnt(4)
	global_store_dwordx2 v[2:3], v[10:11], off offset:3072
	s_or_b64 exec, exec, s[0:1]
	v_cmp_gt_u32_e32 vcc, s2, v20
	s_and_saveexec_b64 s[0:1], vcc
	s_cbranch_execz .LBB1133_127
.LBB1133_138:
	s_waitcnt lgkmcnt(4)
	v_add_co_u32_e32 v10, vcc, 0x1000, v2
	s_nop 1
	v_addc_co_u32_e32 v11, vcc, 0, v3, vcc
	s_waitcnt lgkmcnt(3)
	global_store_dwordx2 v[10:11], v[8:9], off
	s_or_b64 exec, exec, s[0:1]
	v_cmp_gt_u32_e32 vcc, s2, v17
	s_and_saveexec_b64 s[0:1], vcc
	s_cbranch_execz .LBB1133_128
.LBB1133_139:
	s_waitcnt lgkmcnt(3)
	v_add_co_u32_e32 v8, vcc, 0x1000, v2
	s_nop 1
	v_addc_co_u32_e32 v9, vcc, 0, v3, vcc
	s_waitcnt lgkmcnt(2)
	global_store_dwordx2 v[8:9], v[6:7], off offset:1024
	s_or_b64 exec, exec, s[0:1]
	v_cmp_gt_u32_e32 vcc, s2, v16
	s_and_saveexec_b64 s[0:1], vcc
	s_cbranch_execnz .LBB1133_129
	s_branch .LBB1133_130
	.section	.rodata,"a",@progbits
	.p2align	6, 0x0
	.amdhsa_kernel _ZN7rocprim17ROCPRIM_400000_NS6detail17trampoline_kernelINS0_14default_configENS1_38merge_sort_block_merge_config_selectorIlNS0_10empty_typeEEEZZNS1_27merge_sort_block_merge_implIS3_PlPS5_mZN2at6native12_GLOBAL__N_124unique_dim_cuda_templateIN3c108BFloat16EEESt5tupleIJNSA_6TensorESH_SH_EERKSH_lbbbEUlllE_EE10hipError_tT0_T1_T2_jT3_P12ihipStream_tbPNSt15iterator_traitsISN_E10value_typeEPNST_ISO_E10value_typeEPSP_NS1_7vsmem_tEENKUlT_SN_SO_SP_E_clIS8_S8_S9_S9_EESM_S12_SN_SO_SP_EUlS12_E0_NS1_11comp_targetILNS1_3genE0ELNS1_11target_archE4294967295ELNS1_3gpuE0ELNS1_3repE0EEENS1_38merge_mergepath_config_static_selectorELNS0_4arch9wavefront6targetE1EEEvSO_
		.amdhsa_group_segment_fixed_size 8448
		.amdhsa_private_segment_fixed_size 0
		.amdhsa_kernarg_size 344
		.amdhsa_user_sgpr_count 2
		.amdhsa_user_sgpr_dispatch_ptr 0
		.amdhsa_user_sgpr_queue_ptr 0
		.amdhsa_user_sgpr_kernarg_segment_ptr 1
		.amdhsa_user_sgpr_dispatch_id 0
		.amdhsa_user_sgpr_kernarg_preload_length 0
		.amdhsa_user_sgpr_kernarg_preload_offset 0
		.amdhsa_user_sgpr_private_segment_size 0
		.amdhsa_uses_dynamic_stack 0
		.amdhsa_enable_private_segment 0
		.amdhsa_system_sgpr_workgroup_id_x 1
		.amdhsa_system_sgpr_workgroup_id_y 1
		.amdhsa_system_sgpr_workgroup_id_z 1
		.amdhsa_system_sgpr_workgroup_info 0
		.amdhsa_system_vgpr_workitem_id 0
		.amdhsa_next_free_vgpr 40
		.amdhsa_next_free_sgpr 52
		.amdhsa_accum_offset 40
		.amdhsa_reserve_vcc 1
		.amdhsa_float_round_mode_32 0
		.amdhsa_float_round_mode_16_64 0
		.amdhsa_float_denorm_mode_32 3
		.amdhsa_float_denorm_mode_16_64 3
		.amdhsa_dx10_clamp 1
		.amdhsa_ieee_mode 1
		.amdhsa_fp16_overflow 0
		.amdhsa_tg_split 0
		.amdhsa_exception_fp_ieee_invalid_op 0
		.amdhsa_exception_fp_denorm_src 0
		.amdhsa_exception_fp_ieee_div_zero 0
		.amdhsa_exception_fp_ieee_overflow 0
		.amdhsa_exception_fp_ieee_underflow 0
		.amdhsa_exception_fp_ieee_inexact 0
		.amdhsa_exception_int_div_zero 0
	.end_amdhsa_kernel
	.section	.text._ZN7rocprim17ROCPRIM_400000_NS6detail17trampoline_kernelINS0_14default_configENS1_38merge_sort_block_merge_config_selectorIlNS0_10empty_typeEEEZZNS1_27merge_sort_block_merge_implIS3_PlPS5_mZN2at6native12_GLOBAL__N_124unique_dim_cuda_templateIN3c108BFloat16EEESt5tupleIJNSA_6TensorESH_SH_EERKSH_lbbbEUlllE_EE10hipError_tT0_T1_T2_jT3_P12ihipStream_tbPNSt15iterator_traitsISN_E10value_typeEPNST_ISO_E10value_typeEPSP_NS1_7vsmem_tEENKUlT_SN_SO_SP_E_clIS8_S8_S9_S9_EESM_S12_SN_SO_SP_EUlS12_E0_NS1_11comp_targetILNS1_3genE0ELNS1_11target_archE4294967295ELNS1_3gpuE0ELNS1_3repE0EEENS1_38merge_mergepath_config_static_selectorELNS0_4arch9wavefront6targetE1EEEvSO_,"axG",@progbits,_ZN7rocprim17ROCPRIM_400000_NS6detail17trampoline_kernelINS0_14default_configENS1_38merge_sort_block_merge_config_selectorIlNS0_10empty_typeEEEZZNS1_27merge_sort_block_merge_implIS3_PlPS5_mZN2at6native12_GLOBAL__N_124unique_dim_cuda_templateIN3c108BFloat16EEESt5tupleIJNSA_6TensorESH_SH_EERKSH_lbbbEUlllE_EE10hipError_tT0_T1_T2_jT3_P12ihipStream_tbPNSt15iterator_traitsISN_E10value_typeEPNST_ISO_E10value_typeEPSP_NS1_7vsmem_tEENKUlT_SN_SO_SP_E_clIS8_S8_S9_S9_EESM_S12_SN_SO_SP_EUlS12_E0_NS1_11comp_targetILNS1_3genE0ELNS1_11target_archE4294967295ELNS1_3gpuE0ELNS1_3repE0EEENS1_38merge_mergepath_config_static_selectorELNS0_4arch9wavefront6targetE1EEEvSO_,comdat
.Lfunc_end1133:
	.size	_ZN7rocprim17ROCPRIM_400000_NS6detail17trampoline_kernelINS0_14default_configENS1_38merge_sort_block_merge_config_selectorIlNS0_10empty_typeEEEZZNS1_27merge_sort_block_merge_implIS3_PlPS5_mZN2at6native12_GLOBAL__N_124unique_dim_cuda_templateIN3c108BFloat16EEESt5tupleIJNSA_6TensorESH_SH_EERKSH_lbbbEUlllE_EE10hipError_tT0_T1_T2_jT3_P12ihipStream_tbPNSt15iterator_traitsISN_E10value_typeEPNST_ISO_E10value_typeEPSP_NS1_7vsmem_tEENKUlT_SN_SO_SP_E_clIS8_S8_S9_S9_EESM_S12_SN_SO_SP_EUlS12_E0_NS1_11comp_targetILNS1_3genE0ELNS1_11target_archE4294967295ELNS1_3gpuE0ELNS1_3repE0EEENS1_38merge_mergepath_config_static_selectorELNS0_4arch9wavefront6targetE1EEEvSO_, .Lfunc_end1133-_ZN7rocprim17ROCPRIM_400000_NS6detail17trampoline_kernelINS0_14default_configENS1_38merge_sort_block_merge_config_selectorIlNS0_10empty_typeEEEZZNS1_27merge_sort_block_merge_implIS3_PlPS5_mZN2at6native12_GLOBAL__N_124unique_dim_cuda_templateIN3c108BFloat16EEESt5tupleIJNSA_6TensorESH_SH_EERKSH_lbbbEUlllE_EE10hipError_tT0_T1_T2_jT3_P12ihipStream_tbPNSt15iterator_traitsISN_E10value_typeEPNST_ISO_E10value_typeEPSP_NS1_7vsmem_tEENKUlT_SN_SO_SP_E_clIS8_S8_S9_S9_EESM_S12_SN_SO_SP_EUlS12_E0_NS1_11comp_targetILNS1_3genE0ELNS1_11target_archE4294967295ELNS1_3gpuE0ELNS1_3repE0EEENS1_38merge_mergepath_config_static_selectorELNS0_4arch9wavefront6targetE1EEEvSO_
                                        ; -- End function
	.set _ZN7rocprim17ROCPRIM_400000_NS6detail17trampoline_kernelINS0_14default_configENS1_38merge_sort_block_merge_config_selectorIlNS0_10empty_typeEEEZZNS1_27merge_sort_block_merge_implIS3_PlPS5_mZN2at6native12_GLOBAL__N_124unique_dim_cuda_templateIN3c108BFloat16EEESt5tupleIJNSA_6TensorESH_SH_EERKSH_lbbbEUlllE_EE10hipError_tT0_T1_T2_jT3_P12ihipStream_tbPNSt15iterator_traitsISN_E10value_typeEPNST_ISO_E10value_typeEPSP_NS1_7vsmem_tEENKUlT_SN_SO_SP_E_clIS8_S8_S9_S9_EESM_S12_SN_SO_SP_EUlS12_E0_NS1_11comp_targetILNS1_3genE0ELNS1_11target_archE4294967295ELNS1_3gpuE0ELNS1_3repE0EEENS1_38merge_mergepath_config_static_selectorELNS0_4arch9wavefront6targetE1EEEvSO_.num_vgpr, 40
	.set _ZN7rocprim17ROCPRIM_400000_NS6detail17trampoline_kernelINS0_14default_configENS1_38merge_sort_block_merge_config_selectorIlNS0_10empty_typeEEEZZNS1_27merge_sort_block_merge_implIS3_PlPS5_mZN2at6native12_GLOBAL__N_124unique_dim_cuda_templateIN3c108BFloat16EEESt5tupleIJNSA_6TensorESH_SH_EERKSH_lbbbEUlllE_EE10hipError_tT0_T1_T2_jT3_P12ihipStream_tbPNSt15iterator_traitsISN_E10value_typeEPNST_ISO_E10value_typeEPSP_NS1_7vsmem_tEENKUlT_SN_SO_SP_E_clIS8_S8_S9_S9_EESM_S12_SN_SO_SP_EUlS12_E0_NS1_11comp_targetILNS1_3genE0ELNS1_11target_archE4294967295ELNS1_3gpuE0ELNS1_3repE0EEENS1_38merge_mergepath_config_static_selectorELNS0_4arch9wavefront6targetE1EEEvSO_.num_agpr, 0
	.set _ZN7rocprim17ROCPRIM_400000_NS6detail17trampoline_kernelINS0_14default_configENS1_38merge_sort_block_merge_config_selectorIlNS0_10empty_typeEEEZZNS1_27merge_sort_block_merge_implIS3_PlPS5_mZN2at6native12_GLOBAL__N_124unique_dim_cuda_templateIN3c108BFloat16EEESt5tupleIJNSA_6TensorESH_SH_EERKSH_lbbbEUlllE_EE10hipError_tT0_T1_T2_jT3_P12ihipStream_tbPNSt15iterator_traitsISN_E10value_typeEPNST_ISO_E10value_typeEPSP_NS1_7vsmem_tEENKUlT_SN_SO_SP_E_clIS8_S8_S9_S9_EESM_S12_SN_SO_SP_EUlS12_E0_NS1_11comp_targetILNS1_3genE0ELNS1_11target_archE4294967295ELNS1_3gpuE0ELNS1_3repE0EEENS1_38merge_mergepath_config_static_selectorELNS0_4arch9wavefront6targetE1EEEvSO_.numbered_sgpr, 52
	.set _ZN7rocprim17ROCPRIM_400000_NS6detail17trampoline_kernelINS0_14default_configENS1_38merge_sort_block_merge_config_selectorIlNS0_10empty_typeEEEZZNS1_27merge_sort_block_merge_implIS3_PlPS5_mZN2at6native12_GLOBAL__N_124unique_dim_cuda_templateIN3c108BFloat16EEESt5tupleIJNSA_6TensorESH_SH_EERKSH_lbbbEUlllE_EE10hipError_tT0_T1_T2_jT3_P12ihipStream_tbPNSt15iterator_traitsISN_E10value_typeEPNST_ISO_E10value_typeEPSP_NS1_7vsmem_tEENKUlT_SN_SO_SP_E_clIS8_S8_S9_S9_EESM_S12_SN_SO_SP_EUlS12_E0_NS1_11comp_targetILNS1_3genE0ELNS1_11target_archE4294967295ELNS1_3gpuE0ELNS1_3repE0EEENS1_38merge_mergepath_config_static_selectorELNS0_4arch9wavefront6targetE1EEEvSO_.num_named_barrier, 0
	.set _ZN7rocprim17ROCPRIM_400000_NS6detail17trampoline_kernelINS0_14default_configENS1_38merge_sort_block_merge_config_selectorIlNS0_10empty_typeEEEZZNS1_27merge_sort_block_merge_implIS3_PlPS5_mZN2at6native12_GLOBAL__N_124unique_dim_cuda_templateIN3c108BFloat16EEESt5tupleIJNSA_6TensorESH_SH_EERKSH_lbbbEUlllE_EE10hipError_tT0_T1_T2_jT3_P12ihipStream_tbPNSt15iterator_traitsISN_E10value_typeEPNST_ISO_E10value_typeEPSP_NS1_7vsmem_tEENKUlT_SN_SO_SP_E_clIS8_S8_S9_S9_EESM_S12_SN_SO_SP_EUlS12_E0_NS1_11comp_targetILNS1_3genE0ELNS1_11target_archE4294967295ELNS1_3gpuE0ELNS1_3repE0EEENS1_38merge_mergepath_config_static_selectorELNS0_4arch9wavefront6targetE1EEEvSO_.private_seg_size, 0
	.set _ZN7rocprim17ROCPRIM_400000_NS6detail17trampoline_kernelINS0_14default_configENS1_38merge_sort_block_merge_config_selectorIlNS0_10empty_typeEEEZZNS1_27merge_sort_block_merge_implIS3_PlPS5_mZN2at6native12_GLOBAL__N_124unique_dim_cuda_templateIN3c108BFloat16EEESt5tupleIJNSA_6TensorESH_SH_EERKSH_lbbbEUlllE_EE10hipError_tT0_T1_T2_jT3_P12ihipStream_tbPNSt15iterator_traitsISN_E10value_typeEPNST_ISO_E10value_typeEPSP_NS1_7vsmem_tEENKUlT_SN_SO_SP_E_clIS8_S8_S9_S9_EESM_S12_SN_SO_SP_EUlS12_E0_NS1_11comp_targetILNS1_3genE0ELNS1_11target_archE4294967295ELNS1_3gpuE0ELNS1_3repE0EEENS1_38merge_mergepath_config_static_selectorELNS0_4arch9wavefront6targetE1EEEvSO_.uses_vcc, 1
	.set _ZN7rocprim17ROCPRIM_400000_NS6detail17trampoline_kernelINS0_14default_configENS1_38merge_sort_block_merge_config_selectorIlNS0_10empty_typeEEEZZNS1_27merge_sort_block_merge_implIS3_PlPS5_mZN2at6native12_GLOBAL__N_124unique_dim_cuda_templateIN3c108BFloat16EEESt5tupleIJNSA_6TensorESH_SH_EERKSH_lbbbEUlllE_EE10hipError_tT0_T1_T2_jT3_P12ihipStream_tbPNSt15iterator_traitsISN_E10value_typeEPNST_ISO_E10value_typeEPSP_NS1_7vsmem_tEENKUlT_SN_SO_SP_E_clIS8_S8_S9_S9_EESM_S12_SN_SO_SP_EUlS12_E0_NS1_11comp_targetILNS1_3genE0ELNS1_11target_archE4294967295ELNS1_3gpuE0ELNS1_3repE0EEENS1_38merge_mergepath_config_static_selectorELNS0_4arch9wavefront6targetE1EEEvSO_.uses_flat_scratch, 0
	.set _ZN7rocprim17ROCPRIM_400000_NS6detail17trampoline_kernelINS0_14default_configENS1_38merge_sort_block_merge_config_selectorIlNS0_10empty_typeEEEZZNS1_27merge_sort_block_merge_implIS3_PlPS5_mZN2at6native12_GLOBAL__N_124unique_dim_cuda_templateIN3c108BFloat16EEESt5tupleIJNSA_6TensorESH_SH_EERKSH_lbbbEUlllE_EE10hipError_tT0_T1_T2_jT3_P12ihipStream_tbPNSt15iterator_traitsISN_E10value_typeEPNST_ISO_E10value_typeEPSP_NS1_7vsmem_tEENKUlT_SN_SO_SP_E_clIS8_S8_S9_S9_EESM_S12_SN_SO_SP_EUlS12_E0_NS1_11comp_targetILNS1_3genE0ELNS1_11target_archE4294967295ELNS1_3gpuE0ELNS1_3repE0EEENS1_38merge_mergepath_config_static_selectorELNS0_4arch9wavefront6targetE1EEEvSO_.has_dyn_sized_stack, 0
	.set _ZN7rocprim17ROCPRIM_400000_NS6detail17trampoline_kernelINS0_14default_configENS1_38merge_sort_block_merge_config_selectorIlNS0_10empty_typeEEEZZNS1_27merge_sort_block_merge_implIS3_PlPS5_mZN2at6native12_GLOBAL__N_124unique_dim_cuda_templateIN3c108BFloat16EEESt5tupleIJNSA_6TensorESH_SH_EERKSH_lbbbEUlllE_EE10hipError_tT0_T1_T2_jT3_P12ihipStream_tbPNSt15iterator_traitsISN_E10value_typeEPNST_ISO_E10value_typeEPSP_NS1_7vsmem_tEENKUlT_SN_SO_SP_E_clIS8_S8_S9_S9_EESM_S12_SN_SO_SP_EUlS12_E0_NS1_11comp_targetILNS1_3genE0ELNS1_11target_archE4294967295ELNS1_3gpuE0ELNS1_3repE0EEENS1_38merge_mergepath_config_static_selectorELNS0_4arch9wavefront6targetE1EEEvSO_.has_recursion, 0
	.set _ZN7rocprim17ROCPRIM_400000_NS6detail17trampoline_kernelINS0_14default_configENS1_38merge_sort_block_merge_config_selectorIlNS0_10empty_typeEEEZZNS1_27merge_sort_block_merge_implIS3_PlPS5_mZN2at6native12_GLOBAL__N_124unique_dim_cuda_templateIN3c108BFloat16EEESt5tupleIJNSA_6TensorESH_SH_EERKSH_lbbbEUlllE_EE10hipError_tT0_T1_T2_jT3_P12ihipStream_tbPNSt15iterator_traitsISN_E10value_typeEPNST_ISO_E10value_typeEPSP_NS1_7vsmem_tEENKUlT_SN_SO_SP_E_clIS8_S8_S9_S9_EESM_S12_SN_SO_SP_EUlS12_E0_NS1_11comp_targetILNS1_3genE0ELNS1_11target_archE4294967295ELNS1_3gpuE0ELNS1_3repE0EEENS1_38merge_mergepath_config_static_selectorELNS0_4arch9wavefront6targetE1EEEvSO_.has_indirect_call, 0
	.section	.AMDGPU.csdata,"",@progbits
; Kernel info:
; codeLenInByte = 6548
; TotalNumSgprs: 58
; NumVgprs: 40
; NumAgprs: 0
; TotalNumVgprs: 40
; ScratchSize: 0
; MemoryBound: 0
; FloatMode: 240
; IeeeMode: 1
; LDSByteSize: 8448 bytes/workgroup (compile time only)
; SGPRBlocks: 7
; VGPRBlocks: 4
; NumSGPRsForWavesPerEU: 58
; NumVGPRsForWavesPerEU: 40
; AccumOffset: 40
; Occupancy: 8
; WaveLimiterHint : 1
; COMPUTE_PGM_RSRC2:SCRATCH_EN: 0
; COMPUTE_PGM_RSRC2:USER_SGPR: 2
; COMPUTE_PGM_RSRC2:TRAP_HANDLER: 0
; COMPUTE_PGM_RSRC2:TGID_X_EN: 1
; COMPUTE_PGM_RSRC2:TGID_Y_EN: 1
; COMPUTE_PGM_RSRC2:TGID_Z_EN: 1
; COMPUTE_PGM_RSRC2:TIDIG_COMP_CNT: 0
; COMPUTE_PGM_RSRC3_GFX90A:ACCUM_OFFSET: 9
; COMPUTE_PGM_RSRC3_GFX90A:TG_SPLIT: 0
	.section	.text._ZN7rocprim17ROCPRIM_400000_NS6detail17trampoline_kernelINS0_14default_configENS1_38merge_sort_block_merge_config_selectorIlNS0_10empty_typeEEEZZNS1_27merge_sort_block_merge_implIS3_PlPS5_mZN2at6native12_GLOBAL__N_124unique_dim_cuda_templateIN3c108BFloat16EEESt5tupleIJNSA_6TensorESH_SH_EERKSH_lbbbEUlllE_EE10hipError_tT0_T1_T2_jT3_P12ihipStream_tbPNSt15iterator_traitsISN_E10value_typeEPNST_ISO_E10value_typeEPSP_NS1_7vsmem_tEENKUlT_SN_SO_SP_E_clIS8_S8_S9_S9_EESM_S12_SN_SO_SP_EUlS12_E0_NS1_11comp_targetILNS1_3genE10ELNS1_11target_archE1201ELNS1_3gpuE5ELNS1_3repE0EEENS1_38merge_mergepath_config_static_selectorELNS0_4arch9wavefront6targetE1EEEvSO_,"axG",@progbits,_ZN7rocprim17ROCPRIM_400000_NS6detail17trampoline_kernelINS0_14default_configENS1_38merge_sort_block_merge_config_selectorIlNS0_10empty_typeEEEZZNS1_27merge_sort_block_merge_implIS3_PlPS5_mZN2at6native12_GLOBAL__N_124unique_dim_cuda_templateIN3c108BFloat16EEESt5tupleIJNSA_6TensorESH_SH_EERKSH_lbbbEUlllE_EE10hipError_tT0_T1_T2_jT3_P12ihipStream_tbPNSt15iterator_traitsISN_E10value_typeEPNST_ISO_E10value_typeEPSP_NS1_7vsmem_tEENKUlT_SN_SO_SP_E_clIS8_S8_S9_S9_EESM_S12_SN_SO_SP_EUlS12_E0_NS1_11comp_targetILNS1_3genE10ELNS1_11target_archE1201ELNS1_3gpuE5ELNS1_3repE0EEENS1_38merge_mergepath_config_static_selectorELNS0_4arch9wavefront6targetE1EEEvSO_,comdat
	.globl	_ZN7rocprim17ROCPRIM_400000_NS6detail17trampoline_kernelINS0_14default_configENS1_38merge_sort_block_merge_config_selectorIlNS0_10empty_typeEEEZZNS1_27merge_sort_block_merge_implIS3_PlPS5_mZN2at6native12_GLOBAL__N_124unique_dim_cuda_templateIN3c108BFloat16EEESt5tupleIJNSA_6TensorESH_SH_EERKSH_lbbbEUlllE_EE10hipError_tT0_T1_T2_jT3_P12ihipStream_tbPNSt15iterator_traitsISN_E10value_typeEPNST_ISO_E10value_typeEPSP_NS1_7vsmem_tEENKUlT_SN_SO_SP_E_clIS8_S8_S9_S9_EESM_S12_SN_SO_SP_EUlS12_E0_NS1_11comp_targetILNS1_3genE10ELNS1_11target_archE1201ELNS1_3gpuE5ELNS1_3repE0EEENS1_38merge_mergepath_config_static_selectorELNS0_4arch9wavefront6targetE1EEEvSO_ ; -- Begin function _ZN7rocprim17ROCPRIM_400000_NS6detail17trampoline_kernelINS0_14default_configENS1_38merge_sort_block_merge_config_selectorIlNS0_10empty_typeEEEZZNS1_27merge_sort_block_merge_implIS3_PlPS5_mZN2at6native12_GLOBAL__N_124unique_dim_cuda_templateIN3c108BFloat16EEESt5tupleIJNSA_6TensorESH_SH_EERKSH_lbbbEUlllE_EE10hipError_tT0_T1_T2_jT3_P12ihipStream_tbPNSt15iterator_traitsISN_E10value_typeEPNST_ISO_E10value_typeEPSP_NS1_7vsmem_tEENKUlT_SN_SO_SP_E_clIS8_S8_S9_S9_EESM_S12_SN_SO_SP_EUlS12_E0_NS1_11comp_targetILNS1_3genE10ELNS1_11target_archE1201ELNS1_3gpuE5ELNS1_3repE0EEENS1_38merge_mergepath_config_static_selectorELNS0_4arch9wavefront6targetE1EEEvSO_
	.p2align	8
	.type	_ZN7rocprim17ROCPRIM_400000_NS6detail17trampoline_kernelINS0_14default_configENS1_38merge_sort_block_merge_config_selectorIlNS0_10empty_typeEEEZZNS1_27merge_sort_block_merge_implIS3_PlPS5_mZN2at6native12_GLOBAL__N_124unique_dim_cuda_templateIN3c108BFloat16EEESt5tupleIJNSA_6TensorESH_SH_EERKSH_lbbbEUlllE_EE10hipError_tT0_T1_T2_jT3_P12ihipStream_tbPNSt15iterator_traitsISN_E10value_typeEPNST_ISO_E10value_typeEPSP_NS1_7vsmem_tEENKUlT_SN_SO_SP_E_clIS8_S8_S9_S9_EESM_S12_SN_SO_SP_EUlS12_E0_NS1_11comp_targetILNS1_3genE10ELNS1_11target_archE1201ELNS1_3gpuE5ELNS1_3repE0EEENS1_38merge_mergepath_config_static_selectorELNS0_4arch9wavefront6targetE1EEEvSO_,@function
_ZN7rocprim17ROCPRIM_400000_NS6detail17trampoline_kernelINS0_14default_configENS1_38merge_sort_block_merge_config_selectorIlNS0_10empty_typeEEEZZNS1_27merge_sort_block_merge_implIS3_PlPS5_mZN2at6native12_GLOBAL__N_124unique_dim_cuda_templateIN3c108BFloat16EEESt5tupleIJNSA_6TensorESH_SH_EERKSH_lbbbEUlllE_EE10hipError_tT0_T1_T2_jT3_P12ihipStream_tbPNSt15iterator_traitsISN_E10value_typeEPNST_ISO_E10value_typeEPSP_NS1_7vsmem_tEENKUlT_SN_SO_SP_E_clIS8_S8_S9_S9_EESM_S12_SN_SO_SP_EUlS12_E0_NS1_11comp_targetILNS1_3genE10ELNS1_11target_archE1201ELNS1_3gpuE5ELNS1_3repE0EEENS1_38merge_mergepath_config_static_selectorELNS0_4arch9wavefront6targetE1EEEvSO_: ; @_ZN7rocprim17ROCPRIM_400000_NS6detail17trampoline_kernelINS0_14default_configENS1_38merge_sort_block_merge_config_selectorIlNS0_10empty_typeEEEZZNS1_27merge_sort_block_merge_implIS3_PlPS5_mZN2at6native12_GLOBAL__N_124unique_dim_cuda_templateIN3c108BFloat16EEESt5tupleIJNSA_6TensorESH_SH_EERKSH_lbbbEUlllE_EE10hipError_tT0_T1_T2_jT3_P12ihipStream_tbPNSt15iterator_traitsISN_E10value_typeEPNST_ISO_E10value_typeEPSP_NS1_7vsmem_tEENKUlT_SN_SO_SP_E_clIS8_S8_S9_S9_EESM_S12_SN_SO_SP_EUlS12_E0_NS1_11comp_targetILNS1_3genE10ELNS1_11target_archE1201ELNS1_3gpuE5ELNS1_3repE0EEENS1_38merge_mergepath_config_static_selectorELNS0_4arch9wavefront6targetE1EEEvSO_
; %bb.0:
	.section	.rodata,"a",@progbits
	.p2align	6, 0x0
	.amdhsa_kernel _ZN7rocprim17ROCPRIM_400000_NS6detail17trampoline_kernelINS0_14default_configENS1_38merge_sort_block_merge_config_selectorIlNS0_10empty_typeEEEZZNS1_27merge_sort_block_merge_implIS3_PlPS5_mZN2at6native12_GLOBAL__N_124unique_dim_cuda_templateIN3c108BFloat16EEESt5tupleIJNSA_6TensorESH_SH_EERKSH_lbbbEUlllE_EE10hipError_tT0_T1_T2_jT3_P12ihipStream_tbPNSt15iterator_traitsISN_E10value_typeEPNST_ISO_E10value_typeEPSP_NS1_7vsmem_tEENKUlT_SN_SO_SP_E_clIS8_S8_S9_S9_EESM_S12_SN_SO_SP_EUlS12_E0_NS1_11comp_targetILNS1_3genE10ELNS1_11target_archE1201ELNS1_3gpuE5ELNS1_3repE0EEENS1_38merge_mergepath_config_static_selectorELNS0_4arch9wavefront6targetE1EEEvSO_
		.amdhsa_group_segment_fixed_size 0
		.amdhsa_private_segment_fixed_size 0
		.amdhsa_kernarg_size 88
		.amdhsa_user_sgpr_count 2
		.amdhsa_user_sgpr_dispatch_ptr 0
		.amdhsa_user_sgpr_queue_ptr 0
		.amdhsa_user_sgpr_kernarg_segment_ptr 1
		.amdhsa_user_sgpr_dispatch_id 0
		.amdhsa_user_sgpr_kernarg_preload_length 0
		.amdhsa_user_sgpr_kernarg_preload_offset 0
		.amdhsa_user_sgpr_private_segment_size 0
		.amdhsa_uses_dynamic_stack 0
		.amdhsa_enable_private_segment 0
		.amdhsa_system_sgpr_workgroup_id_x 1
		.amdhsa_system_sgpr_workgroup_id_y 0
		.amdhsa_system_sgpr_workgroup_id_z 0
		.amdhsa_system_sgpr_workgroup_info 0
		.amdhsa_system_vgpr_workitem_id 0
		.amdhsa_next_free_vgpr 1
		.amdhsa_next_free_sgpr 0
		.amdhsa_accum_offset 4
		.amdhsa_reserve_vcc 0
		.amdhsa_float_round_mode_32 0
		.amdhsa_float_round_mode_16_64 0
		.amdhsa_float_denorm_mode_32 3
		.amdhsa_float_denorm_mode_16_64 3
		.amdhsa_dx10_clamp 1
		.amdhsa_ieee_mode 1
		.amdhsa_fp16_overflow 0
		.amdhsa_tg_split 0
		.amdhsa_exception_fp_ieee_invalid_op 0
		.amdhsa_exception_fp_denorm_src 0
		.amdhsa_exception_fp_ieee_div_zero 0
		.amdhsa_exception_fp_ieee_overflow 0
		.amdhsa_exception_fp_ieee_underflow 0
		.amdhsa_exception_fp_ieee_inexact 0
		.amdhsa_exception_int_div_zero 0
	.end_amdhsa_kernel
	.section	.text._ZN7rocprim17ROCPRIM_400000_NS6detail17trampoline_kernelINS0_14default_configENS1_38merge_sort_block_merge_config_selectorIlNS0_10empty_typeEEEZZNS1_27merge_sort_block_merge_implIS3_PlPS5_mZN2at6native12_GLOBAL__N_124unique_dim_cuda_templateIN3c108BFloat16EEESt5tupleIJNSA_6TensorESH_SH_EERKSH_lbbbEUlllE_EE10hipError_tT0_T1_T2_jT3_P12ihipStream_tbPNSt15iterator_traitsISN_E10value_typeEPNST_ISO_E10value_typeEPSP_NS1_7vsmem_tEENKUlT_SN_SO_SP_E_clIS8_S8_S9_S9_EESM_S12_SN_SO_SP_EUlS12_E0_NS1_11comp_targetILNS1_3genE10ELNS1_11target_archE1201ELNS1_3gpuE5ELNS1_3repE0EEENS1_38merge_mergepath_config_static_selectorELNS0_4arch9wavefront6targetE1EEEvSO_,"axG",@progbits,_ZN7rocprim17ROCPRIM_400000_NS6detail17trampoline_kernelINS0_14default_configENS1_38merge_sort_block_merge_config_selectorIlNS0_10empty_typeEEEZZNS1_27merge_sort_block_merge_implIS3_PlPS5_mZN2at6native12_GLOBAL__N_124unique_dim_cuda_templateIN3c108BFloat16EEESt5tupleIJNSA_6TensorESH_SH_EERKSH_lbbbEUlllE_EE10hipError_tT0_T1_T2_jT3_P12ihipStream_tbPNSt15iterator_traitsISN_E10value_typeEPNST_ISO_E10value_typeEPSP_NS1_7vsmem_tEENKUlT_SN_SO_SP_E_clIS8_S8_S9_S9_EESM_S12_SN_SO_SP_EUlS12_E0_NS1_11comp_targetILNS1_3genE10ELNS1_11target_archE1201ELNS1_3gpuE5ELNS1_3repE0EEENS1_38merge_mergepath_config_static_selectorELNS0_4arch9wavefront6targetE1EEEvSO_,comdat
.Lfunc_end1134:
	.size	_ZN7rocprim17ROCPRIM_400000_NS6detail17trampoline_kernelINS0_14default_configENS1_38merge_sort_block_merge_config_selectorIlNS0_10empty_typeEEEZZNS1_27merge_sort_block_merge_implIS3_PlPS5_mZN2at6native12_GLOBAL__N_124unique_dim_cuda_templateIN3c108BFloat16EEESt5tupleIJNSA_6TensorESH_SH_EERKSH_lbbbEUlllE_EE10hipError_tT0_T1_T2_jT3_P12ihipStream_tbPNSt15iterator_traitsISN_E10value_typeEPNST_ISO_E10value_typeEPSP_NS1_7vsmem_tEENKUlT_SN_SO_SP_E_clIS8_S8_S9_S9_EESM_S12_SN_SO_SP_EUlS12_E0_NS1_11comp_targetILNS1_3genE10ELNS1_11target_archE1201ELNS1_3gpuE5ELNS1_3repE0EEENS1_38merge_mergepath_config_static_selectorELNS0_4arch9wavefront6targetE1EEEvSO_, .Lfunc_end1134-_ZN7rocprim17ROCPRIM_400000_NS6detail17trampoline_kernelINS0_14default_configENS1_38merge_sort_block_merge_config_selectorIlNS0_10empty_typeEEEZZNS1_27merge_sort_block_merge_implIS3_PlPS5_mZN2at6native12_GLOBAL__N_124unique_dim_cuda_templateIN3c108BFloat16EEESt5tupleIJNSA_6TensorESH_SH_EERKSH_lbbbEUlllE_EE10hipError_tT0_T1_T2_jT3_P12ihipStream_tbPNSt15iterator_traitsISN_E10value_typeEPNST_ISO_E10value_typeEPSP_NS1_7vsmem_tEENKUlT_SN_SO_SP_E_clIS8_S8_S9_S9_EESM_S12_SN_SO_SP_EUlS12_E0_NS1_11comp_targetILNS1_3genE10ELNS1_11target_archE1201ELNS1_3gpuE5ELNS1_3repE0EEENS1_38merge_mergepath_config_static_selectorELNS0_4arch9wavefront6targetE1EEEvSO_
                                        ; -- End function
	.set _ZN7rocprim17ROCPRIM_400000_NS6detail17trampoline_kernelINS0_14default_configENS1_38merge_sort_block_merge_config_selectorIlNS0_10empty_typeEEEZZNS1_27merge_sort_block_merge_implIS3_PlPS5_mZN2at6native12_GLOBAL__N_124unique_dim_cuda_templateIN3c108BFloat16EEESt5tupleIJNSA_6TensorESH_SH_EERKSH_lbbbEUlllE_EE10hipError_tT0_T1_T2_jT3_P12ihipStream_tbPNSt15iterator_traitsISN_E10value_typeEPNST_ISO_E10value_typeEPSP_NS1_7vsmem_tEENKUlT_SN_SO_SP_E_clIS8_S8_S9_S9_EESM_S12_SN_SO_SP_EUlS12_E0_NS1_11comp_targetILNS1_3genE10ELNS1_11target_archE1201ELNS1_3gpuE5ELNS1_3repE0EEENS1_38merge_mergepath_config_static_selectorELNS0_4arch9wavefront6targetE1EEEvSO_.num_vgpr, 0
	.set _ZN7rocprim17ROCPRIM_400000_NS6detail17trampoline_kernelINS0_14default_configENS1_38merge_sort_block_merge_config_selectorIlNS0_10empty_typeEEEZZNS1_27merge_sort_block_merge_implIS3_PlPS5_mZN2at6native12_GLOBAL__N_124unique_dim_cuda_templateIN3c108BFloat16EEESt5tupleIJNSA_6TensorESH_SH_EERKSH_lbbbEUlllE_EE10hipError_tT0_T1_T2_jT3_P12ihipStream_tbPNSt15iterator_traitsISN_E10value_typeEPNST_ISO_E10value_typeEPSP_NS1_7vsmem_tEENKUlT_SN_SO_SP_E_clIS8_S8_S9_S9_EESM_S12_SN_SO_SP_EUlS12_E0_NS1_11comp_targetILNS1_3genE10ELNS1_11target_archE1201ELNS1_3gpuE5ELNS1_3repE0EEENS1_38merge_mergepath_config_static_selectorELNS0_4arch9wavefront6targetE1EEEvSO_.num_agpr, 0
	.set _ZN7rocprim17ROCPRIM_400000_NS6detail17trampoline_kernelINS0_14default_configENS1_38merge_sort_block_merge_config_selectorIlNS0_10empty_typeEEEZZNS1_27merge_sort_block_merge_implIS3_PlPS5_mZN2at6native12_GLOBAL__N_124unique_dim_cuda_templateIN3c108BFloat16EEESt5tupleIJNSA_6TensorESH_SH_EERKSH_lbbbEUlllE_EE10hipError_tT0_T1_T2_jT3_P12ihipStream_tbPNSt15iterator_traitsISN_E10value_typeEPNST_ISO_E10value_typeEPSP_NS1_7vsmem_tEENKUlT_SN_SO_SP_E_clIS8_S8_S9_S9_EESM_S12_SN_SO_SP_EUlS12_E0_NS1_11comp_targetILNS1_3genE10ELNS1_11target_archE1201ELNS1_3gpuE5ELNS1_3repE0EEENS1_38merge_mergepath_config_static_selectorELNS0_4arch9wavefront6targetE1EEEvSO_.numbered_sgpr, 0
	.set _ZN7rocprim17ROCPRIM_400000_NS6detail17trampoline_kernelINS0_14default_configENS1_38merge_sort_block_merge_config_selectorIlNS0_10empty_typeEEEZZNS1_27merge_sort_block_merge_implIS3_PlPS5_mZN2at6native12_GLOBAL__N_124unique_dim_cuda_templateIN3c108BFloat16EEESt5tupleIJNSA_6TensorESH_SH_EERKSH_lbbbEUlllE_EE10hipError_tT0_T1_T2_jT3_P12ihipStream_tbPNSt15iterator_traitsISN_E10value_typeEPNST_ISO_E10value_typeEPSP_NS1_7vsmem_tEENKUlT_SN_SO_SP_E_clIS8_S8_S9_S9_EESM_S12_SN_SO_SP_EUlS12_E0_NS1_11comp_targetILNS1_3genE10ELNS1_11target_archE1201ELNS1_3gpuE5ELNS1_3repE0EEENS1_38merge_mergepath_config_static_selectorELNS0_4arch9wavefront6targetE1EEEvSO_.num_named_barrier, 0
	.set _ZN7rocprim17ROCPRIM_400000_NS6detail17trampoline_kernelINS0_14default_configENS1_38merge_sort_block_merge_config_selectorIlNS0_10empty_typeEEEZZNS1_27merge_sort_block_merge_implIS3_PlPS5_mZN2at6native12_GLOBAL__N_124unique_dim_cuda_templateIN3c108BFloat16EEESt5tupleIJNSA_6TensorESH_SH_EERKSH_lbbbEUlllE_EE10hipError_tT0_T1_T2_jT3_P12ihipStream_tbPNSt15iterator_traitsISN_E10value_typeEPNST_ISO_E10value_typeEPSP_NS1_7vsmem_tEENKUlT_SN_SO_SP_E_clIS8_S8_S9_S9_EESM_S12_SN_SO_SP_EUlS12_E0_NS1_11comp_targetILNS1_3genE10ELNS1_11target_archE1201ELNS1_3gpuE5ELNS1_3repE0EEENS1_38merge_mergepath_config_static_selectorELNS0_4arch9wavefront6targetE1EEEvSO_.private_seg_size, 0
	.set _ZN7rocprim17ROCPRIM_400000_NS6detail17trampoline_kernelINS0_14default_configENS1_38merge_sort_block_merge_config_selectorIlNS0_10empty_typeEEEZZNS1_27merge_sort_block_merge_implIS3_PlPS5_mZN2at6native12_GLOBAL__N_124unique_dim_cuda_templateIN3c108BFloat16EEESt5tupleIJNSA_6TensorESH_SH_EERKSH_lbbbEUlllE_EE10hipError_tT0_T1_T2_jT3_P12ihipStream_tbPNSt15iterator_traitsISN_E10value_typeEPNST_ISO_E10value_typeEPSP_NS1_7vsmem_tEENKUlT_SN_SO_SP_E_clIS8_S8_S9_S9_EESM_S12_SN_SO_SP_EUlS12_E0_NS1_11comp_targetILNS1_3genE10ELNS1_11target_archE1201ELNS1_3gpuE5ELNS1_3repE0EEENS1_38merge_mergepath_config_static_selectorELNS0_4arch9wavefront6targetE1EEEvSO_.uses_vcc, 0
	.set _ZN7rocprim17ROCPRIM_400000_NS6detail17trampoline_kernelINS0_14default_configENS1_38merge_sort_block_merge_config_selectorIlNS0_10empty_typeEEEZZNS1_27merge_sort_block_merge_implIS3_PlPS5_mZN2at6native12_GLOBAL__N_124unique_dim_cuda_templateIN3c108BFloat16EEESt5tupleIJNSA_6TensorESH_SH_EERKSH_lbbbEUlllE_EE10hipError_tT0_T1_T2_jT3_P12ihipStream_tbPNSt15iterator_traitsISN_E10value_typeEPNST_ISO_E10value_typeEPSP_NS1_7vsmem_tEENKUlT_SN_SO_SP_E_clIS8_S8_S9_S9_EESM_S12_SN_SO_SP_EUlS12_E0_NS1_11comp_targetILNS1_3genE10ELNS1_11target_archE1201ELNS1_3gpuE5ELNS1_3repE0EEENS1_38merge_mergepath_config_static_selectorELNS0_4arch9wavefront6targetE1EEEvSO_.uses_flat_scratch, 0
	.set _ZN7rocprim17ROCPRIM_400000_NS6detail17trampoline_kernelINS0_14default_configENS1_38merge_sort_block_merge_config_selectorIlNS0_10empty_typeEEEZZNS1_27merge_sort_block_merge_implIS3_PlPS5_mZN2at6native12_GLOBAL__N_124unique_dim_cuda_templateIN3c108BFloat16EEESt5tupleIJNSA_6TensorESH_SH_EERKSH_lbbbEUlllE_EE10hipError_tT0_T1_T2_jT3_P12ihipStream_tbPNSt15iterator_traitsISN_E10value_typeEPNST_ISO_E10value_typeEPSP_NS1_7vsmem_tEENKUlT_SN_SO_SP_E_clIS8_S8_S9_S9_EESM_S12_SN_SO_SP_EUlS12_E0_NS1_11comp_targetILNS1_3genE10ELNS1_11target_archE1201ELNS1_3gpuE5ELNS1_3repE0EEENS1_38merge_mergepath_config_static_selectorELNS0_4arch9wavefront6targetE1EEEvSO_.has_dyn_sized_stack, 0
	.set _ZN7rocprim17ROCPRIM_400000_NS6detail17trampoline_kernelINS0_14default_configENS1_38merge_sort_block_merge_config_selectorIlNS0_10empty_typeEEEZZNS1_27merge_sort_block_merge_implIS3_PlPS5_mZN2at6native12_GLOBAL__N_124unique_dim_cuda_templateIN3c108BFloat16EEESt5tupleIJNSA_6TensorESH_SH_EERKSH_lbbbEUlllE_EE10hipError_tT0_T1_T2_jT3_P12ihipStream_tbPNSt15iterator_traitsISN_E10value_typeEPNST_ISO_E10value_typeEPSP_NS1_7vsmem_tEENKUlT_SN_SO_SP_E_clIS8_S8_S9_S9_EESM_S12_SN_SO_SP_EUlS12_E0_NS1_11comp_targetILNS1_3genE10ELNS1_11target_archE1201ELNS1_3gpuE5ELNS1_3repE0EEENS1_38merge_mergepath_config_static_selectorELNS0_4arch9wavefront6targetE1EEEvSO_.has_recursion, 0
	.set _ZN7rocprim17ROCPRIM_400000_NS6detail17trampoline_kernelINS0_14default_configENS1_38merge_sort_block_merge_config_selectorIlNS0_10empty_typeEEEZZNS1_27merge_sort_block_merge_implIS3_PlPS5_mZN2at6native12_GLOBAL__N_124unique_dim_cuda_templateIN3c108BFloat16EEESt5tupleIJNSA_6TensorESH_SH_EERKSH_lbbbEUlllE_EE10hipError_tT0_T1_T2_jT3_P12ihipStream_tbPNSt15iterator_traitsISN_E10value_typeEPNST_ISO_E10value_typeEPSP_NS1_7vsmem_tEENKUlT_SN_SO_SP_E_clIS8_S8_S9_S9_EESM_S12_SN_SO_SP_EUlS12_E0_NS1_11comp_targetILNS1_3genE10ELNS1_11target_archE1201ELNS1_3gpuE5ELNS1_3repE0EEENS1_38merge_mergepath_config_static_selectorELNS0_4arch9wavefront6targetE1EEEvSO_.has_indirect_call, 0
	.section	.AMDGPU.csdata,"",@progbits
; Kernel info:
; codeLenInByte = 0
; TotalNumSgprs: 6
; NumVgprs: 0
; NumAgprs: 0
; TotalNumVgprs: 0
; ScratchSize: 0
; MemoryBound: 0
; FloatMode: 240
; IeeeMode: 1
; LDSByteSize: 0 bytes/workgroup (compile time only)
; SGPRBlocks: 0
; VGPRBlocks: 0
; NumSGPRsForWavesPerEU: 6
; NumVGPRsForWavesPerEU: 1
; AccumOffset: 4
; Occupancy: 8
; WaveLimiterHint : 0
; COMPUTE_PGM_RSRC2:SCRATCH_EN: 0
; COMPUTE_PGM_RSRC2:USER_SGPR: 2
; COMPUTE_PGM_RSRC2:TRAP_HANDLER: 0
; COMPUTE_PGM_RSRC2:TGID_X_EN: 1
; COMPUTE_PGM_RSRC2:TGID_Y_EN: 0
; COMPUTE_PGM_RSRC2:TGID_Z_EN: 0
; COMPUTE_PGM_RSRC2:TIDIG_COMP_CNT: 0
; COMPUTE_PGM_RSRC3_GFX90A:ACCUM_OFFSET: 0
; COMPUTE_PGM_RSRC3_GFX90A:TG_SPLIT: 0
	.section	.text._ZN7rocprim17ROCPRIM_400000_NS6detail17trampoline_kernelINS0_14default_configENS1_38merge_sort_block_merge_config_selectorIlNS0_10empty_typeEEEZZNS1_27merge_sort_block_merge_implIS3_PlPS5_mZN2at6native12_GLOBAL__N_124unique_dim_cuda_templateIN3c108BFloat16EEESt5tupleIJNSA_6TensorESH_SH_EERKSH_lbbbEUlllE_EE10hipError_tT0_T1_T2_jT3_P12ihipStream_tbPNSt15iterator_traitsISN_E10value_typeEPNST_ISO_E10value_typeEPSP_NS1_7vsmem_tEENKUlT_SN_SO_SP_E_clIS8_S8_S9_S9_EESM_S12_SN_SO_SP_EUlS12_E0_NS1_11comp_targetILNS1_3genE5ELNS1_11target_archE942ELNS1_3gpuE9ELNS1_3repE0EEENS1_38merge_mergepath_config_static_selectorELNS0_4arch9wavefront6targetE1EEEvSO_,"axG",@progbits,_ZN7rocprim17ROCPRIM_400000_NS6detail17trampoline_kernelINS0_14default_configENS1_38merge_sort_block_merge_config_selectorIlNS0_10empty_typeEEEZZNS1_27merge_sort_block_merge_implIS3_PlPS5_mZN2at6native12_GLOBAL__N_124unique_dim_cuda_templateIN3c108BFloat16EEESt5tupleIJNSA_6TensorESH_SH_EERKSH_lbbbEUlllE_EE10hipError_tT0_T1_T2_jT3_P12ihipStream_tbPNSt15iterator_traitsISN_E10value_typeEPNST_ISO_E10value_typeEPSP_NS1_7vsmem_tEENKUlT_SN_SO_SP_E_clIS8_S8_S9_S9_EESM_S12_SN_SO_SP_EUlS12_E0_NS1_11comp_targetILNS1_3genE5ELNS1_11target_archE942ELNS1_3gpuE9ELNS1_3repE0EEENS1_38merge_mergepath_config_static_selectorELNS0_4arch9wavefront6targetE1EEEvSO_,comdat
	.globl	_ZN7rocprim17ROCPRIM_400000_NS6detail17trampoline_kernelINS0_14default_configENS1_38merge_sort_block_merge_config_selectorIlNS0_10empty_typeEEEZZNS1_27merge_sort_block_merge_implIS3_PlPS5_mZN2at6native12_GLOBAL__N_124unique_dim_cuda_templateIN3c108BFloat16EEESt5tupleIJNSA_6TensorESH_SH_EERKSH_lbbbEUlllE_EE10hipError_tT0_T1_T2_jT3_P12ihipStream_tbPNSt15iterator_traitsISN_E10value_typeEPNST_ISO_E10value_typeEPSP_NS1_7vsmem_tEENKUlT_SN_SO_SP_E_clIS8_S8_S9_S9_EESM_S12_SN_SO_SP_EUlS12_E0_NS1_11comp_targetILNS1_3genE5ELNS1_11target_archE942ELNS1_3gpuE9ELNS1_3repE0EEENS1_38merge_mergepath_config_static_selectorELNS0_4arch9wavefront6targetE1EEEvSO_ ; -- Begin function _ZN7rocprim17ROCPRIM_400000_NS6detail17trampoline_kernelINS0_14default_configENS1_38merge_sort_block_merge_config_selectorIlNS0_10empty_typeEEEZZNS1_27merge_sort_block_merge_implIS3_PlPS5_mZN2at6native12_GLOBAL__N_124unique_dim_cuda_templateIN3c108BFloat16EEESt5tupleIJNSA_6TensorESH_SH_EERKSH_lbbbEUlllE_EE10hipError_tT0_T1_T2_jT3_P12ihipStream_tbPNSt15iterator_traitsISN_E10value_typeEPNST_ISO_E10value_typeEPSP_NS1_7vsmem_tEENKUlT_SN_SO_SP_E_clIS8_S8_S9_S9_EESM_S12_SN_SO_SP_EUlS12_E0_NS1_11comp_targetILNS1_3genE5ELNS1_11target_archE942ELNS1_3gpuE9ELNS1_3repE0EEENS1_38merge_mergepath_config_static_selectorELNS0_4arch9wavefront6targetE1EEEvSO_
	.p2align	8
	.type	_ZN7rocprim17ROCPRIM_400000_NS6detail17trampoline_kernelINS0_14default_configENS1_38merge_sort_block_merge_config_selectorIlNS0_10empty_typeEEEZZNS1_27merge_sort_block_merge_implIS3_PlPS5_mZN2at6native12_GLOBAL__N_124unique_dim_cuda_templateIN3c108BFloat16EEESt5tupleIJNSA_6TensorESH_SH_EERKSH_lbbbEUlllE_EE10hipError_tT0_T1_T2_jT3_P12ihipStream_tbPNSt15iterator_traitsISN_E10value_typeEPNST_ISO_E10value_typeEPSP_NS1_7vsmem_tEENKUlT_SN_SO_SP_E_clIS8_S8_S9_S9_EESM_S12_SN_SO_SP_EUlS12_E0_NS1_11comp_targetILNS1_3genE5ELNS1_11target_archE942ELNS1_3gpuE9ELNS1_3repE0EEENS1_38merge_mergepath_config_static_selectorELNS0_4arch9wavefront6targetE1EEEvSO_,@function
_ZN7rocprim17ROCPRIM_400000_NS6detail17trampoline_kernelINS0_14default_configENS1_38merge_sort_block_merge_config_selectorIlNS0_10empty_typeEEEZZNS1_27merge_sort_block_merge_implIS3_PlPS5_mZN2at6native12_GLOBAL__N_124unique_dim_cuda_templateIN3c108BFloat16EEESt5tupleIJNSA_6TensorESH_SH_EERKSH_lbbbEUlllE_EE10hipError_tT0_T1_T2_jT3_P12ihipStream_tbPNSt15iterator_traitsISN_E10value_typeEPNST_ISO_E10value_typeEPSP_NS1_7vsmem_tEENKUlT_SN_SO_SP_E_clIS8_S8_S9_S9_EESM_S12_SN_SO_SP_EUlS12_E0_NS1_11comp_targetILNS1_3genE5ELNS1_11target_archE942ELNS1_3gpuE9ELNS1_3repE0EEENS1_38merge_mergepath_config_static_selectorELNS0_4arch9wavefront6targetE1EEEvSO_: ; @_ZN7rocprim17ROCPRIM_400000_NS6detail17trampoline_kernelINS0_14default_configENS1_38merge_sort_block_merge_config_selectorIlNS0_10empty_typeEEEZZNS1_27merge_sort_block_merge_implIS3_PlPS5_mZN2at6native12_GLOBAL__N_124unique_dim_cuda_templateIN3c108BFloat16EEESt5tupleIJNSA_6TensorESH_SH_EERKSH_lbbbEUlllE_EE10hipError_tT0_T1_T2_jT3_P12ihipStream_tbPNSt15iterator_traitsISN_E10value_typeEPNST_ISO_E10value_typeEPSP_NS1_7vsmem_tEENKUlT_SN_SO_SP_E_clIS8_S8_S9_S9_EESM_S12_SN_SO_SP_EUlS12_E0_NS1_11comp_targetILNS1_3genE5ELNS1_11target_archE942ELNS1_3gpuE9ELNS1_3repE0EEENS1_38merge_mergepath_config_static_selectorELNS0_4arch9wavefront6targetE1EEEvSO_
; %bb.0:
	.section	.rodata,"a",@progbits
	.p2align	6, 0x0
	.amdhsa_kernel _ZN7rocprim17ROCPRIM_400000_NS6detail17trampoline_kernelINS0_14default_configENS1_38merge_sort_block_merge_config_selectorIlNS0_10empty_typeEEEZZNS1_27merge_sort_block_merge_implIS3_PlPS5_mZN2at6native12_GLOBAL__N_124unique_dim_cuda_templateIN3c108BFloat16EEESt5tupleIJNSA_6TensorESH_SH_EERKSH_lbbbEUlllE_EE10hipError_tT0_T1_T2_jT3_P12ihipStream_tbPNSt15iterator_traitsISN_E10value_typeEPNST_ISO_E10value_typeEPSP_NS1_7vsmem_tEENKUlT_SN_SO_SP_E_clIS8_S8_S9_S9_EESM_S12_SN_SO_SP_EUlS12_E0_NS1_11comp_targetILNS1_3genE5ELNS1_11target_archE942ELNS1_3gpuE9ELNS1_3repE0EEENS1_38merge_mergepath_config_static_selectorELNS0_4arch9wavefront6targetE1EEEvSO_
		.amdhsa_group_segment_fixed_size 0
		.amdhsa_private_segment_fixed_size 0
		.amdhsa_kernarg_size 88
		.amdhsa_user_sgpr_count 2
		.amdhsa_user_sgpr_dispatch_ptr 0
		.amdhsa_user_sgpr_queue_ptr 0
		.amdhsa_user_sgpr_kernarg_segment_ptr 1
		.amdhsa_user_sgpr_dispatch_id 0
		.amdhsa_user_sgpr_kernarg_preload_length 0
		.amdhsa_user_sgpr_kernarg_preload_offset 0
		.amdhsa_user_sgpr_private_segment_size 0
		.amdhsa_uses_dynamic_stack 0
		.amdhsa_enable_private_segment 0
		.amdhsa_system_sgpr_workgroup_id_x 1
		.amdhsa_system_sgpr_workgroup_id_y 0
		.amdhsa_system_sgpr_workgroup_id_z 0
		.amdhsa_system_sgpr_workgroup_info 0
		.amdhsa_system_vgpr_workitem_id 0
		.amdhsa_next_free_vgpr 1
		.amdhsa_next_free_sgpr 0
		.amdhsa_accum_offset 4
		.amdhsa_reserve_vcc 0
		.amdhsa_float_round_mode_32 0
		.amdhsa_float_round_mode_16_64 0
		.amdhsa_float_denorm_mode_32 3
		.amdhsa_float_denorm_mode_16_64 3
		.amdhsa_dx10_clamp 1
		.amdhsa_ieee_mode 1
		.amdhsa_fp16_overflow 0
		.amdhsa_tg_split 0
		.amdhsa_exception_fp_ieee_invalid_op 0
		.amdhsa_exception_fp_denorm_src 0
		.amdhsa_exception_fp_ieee_div_zero 0
		.amdhsa_exception_fp_ieee_overflow 0
		.amdhsa_exception_fp_ieee_underflow 0
		.amdhsa_exception_fp_ieee_inexact 0
		.amdhsa_exception_int_div_zero 0
	.end_amdhsa_kernel
	.section	.text._ZN7rocprim17ROCPRIM_400000_NS6detail17trampoline_kernelINS0_14default_configENS1_38merge_sort_block_merge_config_selectorIlNS0_10empty_typeEEEZZNS1_27merge_sort_block_merge_implIS3_PlPS5_mZN2at6native12_GLOBAL__N_124unique_dim_cuda_templateIN3c108BFloat16EEESt5tupleIJNSA_6TensorESH_SH_EERKSH_lbbbEUlllE_EE10hipError_tT0_T1_T2_jT3_P12ihipStream_tbPNSt15iterator_traitsISN_E10value_typeEPNST_ISO_E10value_typeEPSP_NS1_7vsmem_tEENKUlT_SN_SO_SP_E_clIS8_S8_S9_S9_EESM_S12_SN_SO_SP_EUlS12_E0_NS1_11comp_targetILNS1_3genE5ELNS1_11target_archE942ELNS1_3gpuE9ELNS1_3repE0EEENS1_38merge_mergepath_config_static_selectorELNS0_4arch9wavefront6targetE1EEEvSO_,"axG",@progbits,_ZN7rocprim17ROCPRIM_400000_NS6detail17trampoline_kernelINS0_14default_configENS1_38merge_sort_block_merge_config_selectorIlNS0_10empty_typeEEEZZNS1_27merge_sort_block_merge_implIS3_PlPS5_mZN2at6native12_GLOBAL__N_124unique_dim_cuda_templateIN3c108BFloat16EEESt5tupleIJNSA_6TensorESH_SH_EERKSH_lbbbEUlllE_EE10hipError_tT0_T1_T2_jT3_P12ihipStream_tbPNSt15iterator_traitsISN_E10value_typeEPNST_ISO_E10value_typeEPSP_NS1_7vsmem_tEENKUlT_SN_SO_SP_E_clIS8_S8_S9_S9_EESM_S12_SN_SO_SP_EUlS12_E0_NS1_11comp_targetILNS1_3genE5ELNS1_11target_archE942ELNS1_3gpuE9ELNS1_3repE0EEENS1_38merge_mergepath_config_static_selectorELNS0_4arch9wavefront6targetE1EEEvSO_,comdat
.Lfunc_end1135:
	.size	_ZN7rocprim17ROCPRIM_400000_NS6detail17trampoline_kernelINS0_14default_configENS1_38merge_sort_block_merge_config_selectorIlNS0_10empty_typeEEEZZNS1_27merge_sort_block_merge_implIS3_PlPS5_mZN2at6native12_GLOBAL__N_124unique_dim_cuda_templateIN3c108BFloat16EEESt5tupleIJNSA_6TensorESH_SH_EERKSH_lbbbEUlllE_EE10hipError_tT0_T1_T2_jT3_P12ihipStream_tbPNSt15iterator_traitsISN_E10value_typeEPNST_ISO_E10value_typeEPSP_NS1_7vsmem_tEENKUlT_SN_SO_SP_E_clIS8_S8_S9_S9_EESM_S12_SN_SO_SP_EUlS12_E0_NS1_11comp_targetILNS1_3genE5ELNS1_11target_archE942ELNS1_3gpuE9ELNS1_3repE0EEENS1_38merge_mergepath_config_static_selectorELNS0_4arch9wavefront6targetE1EEEvSO_, .Lfunc_end1135-_ZN7rocprim17ROCPRIM_400000_NS6detail17trampoline_kernelINS0_14default_configENS1_38merge_sort_block_merge_config_selectorIlNS0_10empty_typeEEEZZNS1_27merge_sort_block_merge_implIS3_PlPS5_mZN2at6native12_GLOBAL__N_124unique_dim_cuda_templateIN3c108BFloat16EEESt5tupleIJNSA_6TensorESH_SH_EERKSH_lbbbEUlllE_EE10hipError_tT0_T1_T2_jT3_P12ihipStream_tbPNSt15iterator_traitsISN_E10value_typeEPNST_ISO_E10value_typeEPSP_NS1_7vsmem_tEENKUlT_SN_SO_SP_E_clIS8_S8_S9_S9_EESM_S12_SN_SO_SP_EUlS12_E0_NS1_11comp_targetILNS1_3genE5ELNS1_11target_archE942ELNS1_3gpuE9ELNS1_3repE0EEENS1_38merge_mergepath_config_static_selectorELNS0_4arch9wavefront6targetE1EEEvSO_
                                        ; -- End function
	.set _ZN7rocprim17ROCPRIM_400000_NS6detail17trampoline_kernelINS0_14default_configENS1_38merge_sort_block_merge_config_selectorIlNS0_10empty_typeEEEZZNS1_27merge_sort_block_merge_implIS3_PlPS5_mZN2at6native12_GLOBAL__N_124unique_dim_cuda_templateIN3c108BFloat16EEESt5tupleIJNSA_6TensorESH_SH_EERKSH_lbbbEUlllE_EE10hipError_tT0_T1_T2_jT3_P12ihipStream_tbPNSt15iterator_traitsISN_E10value_typeEPNST_ISO_E10value_typeEPSP_NS1_7vsmem_tEENKUlT_SN_SO_SP_E_clIS8_S8_S9_S9_EESM_S12_SN_SO_SP_EUlS12_E0_NS1_11comp_targetILNS1_3genE5ELNS1_11target_archE942ELNS1_3gpuE9ELNS1_3repE0EEENS1_38merge_mergepath_config_static_selectorELNS0_4arch9wavefront6targetE1EEEvSO_.num_vgpr, 0
	.set _ZN7rocprim17ROCPRIM_400000_NS6detail17trampoline_kernelINS0_14default_configENS1_38merge_sort_block_merge_config_selectorIlNS0_10empty_typeEEEZZNS1_27merge_sort_block_merge_implIS3_PlPS5_mZN2at6native12_GLOBAL__N_124unique_dim_cuda_templateIN3c108BFloat16EEESt5tupleIJNSA_6TensorESH_SH_EERKSH_lbbbEUlllE_EE10hipError_tT0_T1_T2_jT3_P12ihipStream_tbPNSt15iterator_traitsISN_E10value_typeEPNST_ISO_E10value_typeEPSP_NS1_7vsmem_tEENKUlT_SN_SO_SP_E_clIS8_S8_S9_S9_EESM_S12_SN_SO_SP_EUlS12_E0_NS1_11comp_targetILNS1_3genE5ELNS1_11target_archE942ELNS1_3gpuE9ELNS1_3repE0EEENS1_38merge_mergepath_config_static_selectorELNS0_4arch9wavefront6targetE1EEEvSO_.num_agpr, 0
	.set _ZN7rocprim17ROCPRIM_400000_NS6detail17trampoline_kernelINS0_14default_configENS1_38merge_sort_block_merge_config_selectorIlNS0_10empty_typeEEEZZNS1_27merge_sort_block_merge_implIS3_PlPS5_mZN2at6native12_GLOBAL__N_124unique_dim_cuda_templateIN3c108BFloat16EEESt5tupleIJNSA_6TensorESH_SH_EERKSH_lbbbEUlllE_EE10hipError_tT0_T1_T2_jT3_P12ihipStream_tbPNSt15iterator_traitsISN_E10value_typeEPNST_ISO_E10value_typeEPSP_NS1_7vsmem_tEENKUlT_SN_SO_SP_E_clIS8_S8_S9_S9_EESM_S12_SN_SO_SP_EUlS12_E0_NS1_11comp_targetILNS1_3genE5ELNS1_11target_archE942ELNS1_3gpuE9ELNS1_3repE0EEENS1_38merge_mergepath_config_static_selectorELNS0_4arch9wavefront6targetE1EEEvSO_.numbered_sgpr, 0
	.set _ZN7rocprim17ROCPRIM_400000_NS6detail17trampoline_kernelINS0_14default_configENS1_38merge_sort_block_merge_config_selectorIlNS0_10empty_typeEEEZZNS1_27merge_sort_block_merge_implIS3_PlPS5_mZN2at6native12_GLOBAL__N_124unique_dim_cuda_templateIN3c108BFloat16EEESt5tupleIJNSA_6TensorESH_SH_EERKSH_lbbbEUlllE_EE10hipError_tT0_T1_T2_jT3_P12ihipStream_tbPNSt15iterator_traitsISN_E10value_typeEPNST_ISO_E10value_typeEPSP_NS1_7vsmem_tEENKUlT_SN_SO_SP_E_clIS8_S8_S9_S9_EESM_S12_SN_SO_SP_EUlS12_E0_NS1_11comp_targetILNS1_3genE5ELNS1_11target_archE942ELNS1_3gpuE9ELNS1_3repE0EEENS1_38merge_mergepath_config_static_selectorELNS0_4arch9wavefront6targetE1EEEvSO_.num_named_barrier, 0
	.set _ZN7rocprim17ROCPRIM_400000_NS6detail17trampoline_kernelINS0_14default_configENS1_38merge_sort_block_merge_config_selectorIlNS0_10empty_typeEEEZZNS1_27merge_sort_block_merge_implIS3_PlPS5_mZN2at6native12_GLOBAL__N_124unique_dim_cuda_templateIN3c108BFloat16EEESt5tupleIJNSA_6TensorESH_SH_EERKSH_lbbbEUlllE_EE10hipError_tT0_T1_T2_jT3_P12ihipStream_tbPNSt15iterator_traitsISN_E10value_typeEPNST_ISO_E10value_typeEPSP_NS1_7vsmem_tEENKUlT_SN_SO_SP_E_clIS8_S8_S9_S9_EESM_S12_SN_SO_SP_EUlS12_E0_NS1_11comp_targetILNS1_3genE5ELNS1_11target_archE942ELNS1_3gpuE9ELNS1_3repE0EEENS1_38merge_mergepath_config_static_selectorELNS0_4arch9wavefront6targetE1EEEvSO_.private_seg_size, 0
	.set _ZN7rocprim17ROCPRIM_400000_NS6detail17trampoline_kernelINS0_14default_configENS1_38merge_sort_block_merge_config_selectorIlNS0_10empty_typeEEEZZNS1_27merge_sort_block_merge_implIS3_PlPS5_mZN2at6native12_GLOBAL__N_124unique_dim_cuda_templateIN3c108BFloat16EEESt5tupleIJNSA_6TensorESH_SH_EERKSH_lbbbEUlllE_EE10hipError_tT0_T1_T2_jT3_P12ihipStream_tbPNSt15iterator_traitsISN_E10value_typeEPNST_ISO_E10value_typeEPSP_NS1_7vsmem_tEENKUlT_SN_SO_SP_E_clIS8_S8_S9_S9_EESM_S12_SN_SO_SP_EUlS12_E0_NS1_11comp_targetILNS1_3genE5ELNS1_11target_archE942ELNS1_3gpuE9ELNS1_3repE0EEENS1_38merge_mergepath_config_static_selectorELNS0_4arch9wavefront6targetE1EEEvSO_.uses_vcc, 0
	.set _ZN7rocprim17ROCPRIM_400000_NS6detail17trampoline_kernelINS0_14default_configENS1_38merge_sort_block_merge_config_selectorIlNS0_10empty_typeEEEZZNS1_27merge_sort_block_merge_implIS3_PlPS5_mZN2at6native12_GLOBAL__N_124unique_dim_cuda_templateIN3c108BFloat16EEESt5tupleIJNSA_6TensorESH_SH_EERKSH_lbbbEUlllE_EE10hipError_tT0_T1_T2_jT3_P12ihipStream_tbPNSt15iterator_traitsISN_E10value_typeEPNST_ISO_E10value_typeEPSP_NS1_7vsmem_tEENKUlT_SN_SO_SP_E_clIS8_S8_S9_S9_EESM_S12_SN_SO_SP_EUlS12_E0_NS1_11comp_targetILNS1_3genE5ELNS1_11target_archE942ELNS1_3gpuE9ELNS1_3repE0EEENS1_38merge_mergepath_config_static_selectorELNS0_4arch9wavefront6targetE1EEEvSO_.uses_flat_scratch, 0
	.set _ZN7rocprim17ROCPRIM_400000_NS6detail17trampoline_kernelINS0_14default_configENS1_38merge_sort_block_merge_config_selectorIlNS0_10empty_typeEEEZZNS1_27merge_sort_block_merge_implIS3_PlPS5_mZN2at6native12_GLOBAL__N_124unique_dim_cuda_templateIN3c108BFloat16EEESt5tupleIJNSA_6TensorESH_SH_EERKSH_lbbbEUlllE_EE10hipError_tT0_T1_T2_jT3_P12ihipStream_tbPNSt15iterator_traitsISN_E10value_typeEPNST_ISO_E10value_typeEPSP_NS1_7vsmem_tEENKUlT_SN_SO_SP_E_clIS8_S8_S9_S9_EESM_S12_SN_SO_SP_EUlS12_E0_NS1_11comp_targetILNS1_3genE5ELNS1_11target_archE942ELNS1_3gpuE9ELNS1_3repE0EEENS1_38merge_mergepath_config_static_selectorELNS0_4arch9wavefront6targetE1EEEvSO_.has_dyn_sized_stack, 0
	.set _ZN7rocprim17ROCPRIM_400000_NS6detail17trampoline_kernelINS0_14default_configENS1_38merge_sort_block_merge_config_selectorIlNS0_10empty_typeEEEZZNS1_27merge_sort_block_merge_implIS3_PlPS5_mZN2at6native12_GLOBAL__N_124unique_dim_cuda_templateIN3c108BFloat16EEESt5tupleIJNSA_6TensorESH_SH_EERKSH_lbbbEUlllE_EE10hipError_tT0_T1_T2_jT3_P12ihipStream_tbPNSt15iterator_traitsISN_E10value_typeEPNST_ISO_E10value_typeEPSP_NS1_7vsmem_tEENKUlT_SN_SO_SP_E_clIS8_S8_S9_S9_EESM_S12_SN_SO_SP_EUlS12_E0_NS1_11comp_targetILNS1_3genE5ELNS1_11target_archE942ELNS1_3gpuE9ELNS1_3repE0EEENS1_38merge_mergepath_config_static_selectorELNS0_4arch9wavefront6targetE1EEEvSO_.has_recursion, 0
	.set _ZN7rocprim17ROCPRIM_400000_NS6detail17trampoline_kernelINS0_14default_configENS1_38merge_sort_block_merge_config_selectorIlNS0_10empty_typeEEEZZNS1_27merge_sort_block_merge_implIS3_PlPS5_mZN2at6native12_GLOBAL__N_124unique_dim_cuda_templateIN3c108BFloat16EEESt5tupleIJNSA_6TensorESH_SH_EERKSH_lbbbEUlllE_EE10hipError_tT0_T1_T2_jT3_P12ihipStream_tbPNSt15iterator_traitsISN_E10value_typeEPNST_ISO_E10value_typeEPSP_NS1_7vsmem_tEENKUlT_SN_SO_SP_E_clIS8_S8_S9_S9_EESM_S12_SN_SO_SP_EUlS12_E0_NS1_11comp_targetILNS1_3genE5ELNS1_11target_archE942ELNS1_3gpuE9ELNS1_3repE0EEENS1_38merge_mergepath_config_static_selectorELNS0_4arch9wavefront6targetE1EEEvSO_.has_indirect_call, 0
	.section	.AMDGPU.csdata,"",@progbits
; Kernel info:
; codeLenInByte = 0
; TotalNumSgprs: 6
; NumVgprs: 0
; NumAgprs: 0
; TotalNumVgprs: 0
; ScratchSize: 0
; MemoryBound: 0
; FloatMode: 240
; IeeeMode: 1
; LDSByteSize: 0 bytes/workgroup (compile time only)
; SGPRBlocks: 0
; VGPRBlocks: 0
; NumSGPRsForWavesPerEU: 6
; NumVGPRsForWavesPerEU: 1
; AccumOffset: 4
; Occupancy: 8
; WaveLimiterHint : 0
; COMPUTE_PGM_RSRC2:SCRATCH_EN: 0
; COMPUTE_PGM_RSRC2:USER_SGPR: 2
; COMPUTE_PGM_RSRC2:TRAP_HANDLER: 0
; COMPUTE_PGM_RSRC2:TGID_X_EN: 1
; COMPUTE_PGM_RSRC2:TGID_Y_EN: 0
; COMPUTE_PGM_RSRC2:TGID_Z_EN: 0
; COMPUTE_PGM_RSRC2:TIDIG_COMP_CNT: 0
; COMPUTE_PGM_RSRC3_GFX90A:ACCUM_OFFSET: 0
; COMPUTE_PGM_RSRC3_GFX90A:TG_SPLIT: 0
	.section	.text._ZN7rocprim17ROCPRIM_400000_NS6detail17trampoline_kernelINS0_14default_configENS1_38merge_sort_block_merge_config_selectorIlNS0_10empty_typeEEEZZNS1_27merge_sort_block_merge_implIS3_PlPS5_mZN2at6native12_GLOBAL__N_124unique_dim_cuda_templateIN3c108BFloat16EEESt5tupleIJNSA_6TensorESH_SH_EERKSH_lbbbEUlllE_EE10hipError_tT0_T1_T2_jT3_P12ihipStream_tbPNSt15iterator_traitsISN_E10value_typeEPNST_ISO_E10value_typeEPSP_NS1_7vsmem_tEENKUlT_SN_SO_SP_E_clIS8_S8_S9_S9_EESM_S12_SN_SO_SP_EUlS12_E0_NS1_11comp_targetILNS1_3genE4ELNS1_11target_archE910ELNS1_3gpuE8ELNS1_3repE0EEENS1_38merge_mergepath_config_static_selectorELNS0_4arch9wavefront6targetE1EEEvSO_,"axG",@progbits,_ZN7rocprim17ROCPRIM_400000_NS6detail17trampoline_kernelINS0_14default_configENS1_38merge_sort_block_merge_config_selectorIlNS0_10empty_typeEEEZZNS1_27merge_sort_block_merge_implIS3_PlPS5_mZN2at6native12_GLOBAL__N_124unique_dim_cuda_templateIN3c108BFloat16EEESt5tupleIJNSA_6TensorESH_SH_EERKSH_lbbbEUlllE_EE10hipError_tT0_T1_T2_jT3_P12ihipStream_tbPNSt15iterator_traitsISN_E10value_typeEPNST_ISO_E10value_typeEPSP_NS1_7vsmem_tEENKUlT_SN_SO_SP_E_clIS8_S8_S9_S9_EESM_S12_SN_SO_SP_EUlS12_E0_NS1_11comp_targetILNS1_3genE4ELNS1_11target_archE910ELNS1_3gpuE8ELNS1_3repE0EEENS1_38merge_mergepath_config_static_selectorELNS0_4arch9wavefront6targetE1EEEvSO_,comdat
	.globl	_ZN7rocprim17ROCPRIM_400000_NS6detail17trampoline_kernelINS0_14default_configENS1_38merge_sort_block_merge_config_selectorIlNS0_10empty_typeEEEZZNS1_27merge_sort_block_merge_implIS3_PlPS5_mZN2at6native12_GLOBAL__N_124unique_dim_cuda_templateIN3c108BFloat16EEESt5tupleIJNSA_6TensorESH_SH_EERKSH_lbbbEUlllE_EE10hipError_tT0_T1_T2_jT3_P12ihipStream_tbPNSt15iterator_traitsISN_E10value_typeEPNST_ISO_E10value_typeEPSP_NS1_7vsmem_tEENKUlT_SN_SO_SP_E_clIS8_S8_S9_S9_EESM_S12_SN_SO_SP_EUlS12_E0_NS1_11comp_targetILNS1_3genE4ELNS1_11target_archE910ELNS1_3gpuE8ELNS1_3repE0EEENS1_38merge_mergepath_config_static_selectorELNS0_4arch9wavefront6targetE1EEEvSO_ ; -- Begin function _ZN7rocprim17ROCPRIM_400000_NS6detail17trampoline_kernelINS0_14default_configENS1_38merge_sort_block_merge_config_selectorIlNS0_10empty_typeEEEZZNS1_27merge_sort_block_merge_implIS3_PlPS5_mZN2at6native12_GLOBAL__N_124unique_dim_cuda_templateIN3c108BFloat16EEESt5tupleIJNSA_6TensorESH_SH_EERKSH_lbbbEUlllE_EE10hipError_tT0_T1_T2_jT3_P12ihipStream_tbPNSt15iterator_traitsISN_E10value_typeEPNST_ISO_E10value_typeEPSP_NS1_7vsmem_tEENKUlT_SN_SO_SP_E_clIS8_S8_S9_S9_EESM_S12_SN_SO_SP_EUlS12_E0_NS1_11comp_targetILNS1_3genE4ELNS1_11target_archE910ELNS1_3gpuE8ELNS1_3repE0EEENS1_38merge_mergepath_config_static_selectorELNS0_4arch9wavefront6targetE1EEEvSO_
	.p2align	8
	.type	_ZN7rocprim17ROCPRIM_400000_NS6detail17trampoline_kernelINS0_14default_configENS1_38merge_sort_block_merge_config_selectorIlNS0_10empty_typeEEEZZNS1_27merge_sort_block_merge_implIS3_PlPS5_mZN2at6native12_GLOBAL__N_124unique_dim_cuda_templateIN3c108BFloat16EEESt5tupleIJNSA_6TensorESH_SH_EERKSH_lbbbEUlllE_EE10hipError_tT0_T1_T2_jT3_P12ihipStream_tbPNSt15iterator_traitsISN_E10value_typeEPNST_ISO_E10value_typeEPSP_NS1_7vsmem_tEENKUlT_SN_SO_SP_E_clIS8_S8_S9_S9_EESM_S12_SN_SO_SP_EUlS12_E0_NS1_11comp_targetILNS1_3genE4ELNS1_11target_archE910ELNS1_3gpuE8ELNS1_3repE0EEENS1_38merge_mergepath_config_static_selectorELNS0_4arch9wavefront6targetE1EEEvSO_,@function
_ZN7rocprim17ROCPRIM_400000_NS6detail17trampoline_kernelINS0_14default_configENS1_38merge_sort_block_merge_config_selectorIlNS0_10empty_typeEEEZZNS1_27merge_sort_block_merge_implIS3_PlPS5_mZN2at6native12_GLOBAL__N_124unique_dim_cuda_templateIN3c108BFloat16EEESt5tupleIJNSA_6TensorESH_SH_EERKSH_lbbbEUlllE_EE10hipError_tT0_T1_T2_jT3_P12ihipStream_tbPNSt15iterator_traitsISN_E10value_typeEPNST_ISO_E10value_typeEPSP_NS1_7vsmem_tEENKUlT_SN_SO_SP_E_clIS8_S8_S9_S9_EESM_S12_SN_SO_SP_EUlS12_E0_NS1_11comp_targetILNS1_3genE4ELNS1_11target_archE910ELNS1_3gpuE8ELNS1_3repE0EEENS1_38merge_mergepath_config_static_selectorELNS0_4arch9wavefront6targetE1EEEvSO_: ; @_ZN7rocprim17ROCPRIM_400000_NS6detail17trampoline_kernelINS0_14default_configENS1_38merge_sort_block_merge_config_selectorIlNS0_10empty_typeEEEZZNS1_27merge_sort_block_merge_implIS3_PlPS5_mZN2at6native12_GLOBAL__N_124unique_dim_cuda_templateIN3c108BFloat16EEESt5tupleIJNSA_6TensorESH_SH_EERKSH_lbbbEUlllE_EE10hipError_tT0_T1_T2_jT3_P12ihipStream_tbPNSt15iterator_traitsISN_E10value_typeEPNST_ISO_E10value_typeEPSP_NS1_7vsmem_tEENKUlT_SN_SO_SP_E_clIS8_S8_S9_S9_EESM_S12_SN_SO_SP_EUlS12_E0_NS1_11comp_targetILNS1_3genE4ELNS1_11target_archE910ELNS1_3gpuE8ELNS1_3repE0EEENS1_38merge_mergepath_config_static_selectorELNS0_4arch9wavefront6targetE1EEEvSO_
; %bb.0:
	.section	.rodata,"a",@progbits
	.p2align	6, 0x0
	.amdhsa_kernel _ZN7rocprim17ROCPRIM_400000_NS6detail17trampoline_kernelINS0_14default_configENS1_38merge_sort_block_merge_config_selectorIlNS0_10empty_typeEEEZZNS1_27merge_sort_block_merge_implIS3_PlPS5_mZN2at6native12_GLOBAL__N_124unique_dim_cuda_templateIN3c108BFloat16EEESt5tupleIJNSA_6TensorESH_SH_EERKSH_lbbbEUlllE_EE10hipError_tT0_T1_T2_jT3_P12ihipStream_tbPNSt15iterator_traitsISN_E10value_typeEPNST_ISO_E10value_typeEPSP_NS1_7vsmem_tEENKUlT_SN_SO_SP_E_clIS8_S8_S9_S9_EESM_S12_SN_SO_SP_EUlS12_E0_NS1_11comp_targetILNS1_3genE4ELNS1_11target_archE910ELNS1_3gpuE8ELNS1_3repE0EEENS1_38merge_mergepath_config_static_selectorELNS0_4arch9wavefront6targetE1EEEvSO_
		.amdhsa_group_segment_fixed_size 0
		.amdhsa_private_segment_fixed_size 0
		.amdhsa_kernarg_size 88
		.amdhsa_user_sgpr_count 2
		.amdhsa_user_sgpr_dispatch_ptr 0
		.amdhsa_user_sgpr_queue_ptr 0
		.amdhsa_user_sgpr_kernarg_segment_ptr 1
		.amdhsa_user_sgpr_dispatch_id 0
		.amdhsa_user_sgpr_kernarg_preload_length 0
		.amdhsa_user_sgpr_kernarg_preload_offset 0
		.amdhsa_user_sgpr_private_segment_size 0
		.amdhsa_uses_dynamic_stack 0
		.amdhsa_enable_private_segment 0
		.amdhsa_system_sgpr_workgroup_id_x 1
		.amdhsa_system_sgpr_workgroup_id_y 0
		.amdhsa_system_sgpr_workgroup_id_z 0
		.amdhsa_system_sgpr_workgroup_info 0
		.amdhsa_system_vgpr_workitem_id 0
		.amdhsa_next_free_vgpr 1
		.amdhsa_next_free_sgpr 0
		.amdhsa_accum_offset 4
		.amdhsa_reserve_vcc 0
		.amdhsa_float_round_mode_32 0
		.amdhsa_float_round_mode_16_64 0
		.amdhsa_float_denorm_mode_32 3
		.amdhsa_float_denorm_mode_16_64 3
		.amdhsa_dx10_clamp 1
		.amdhsa_ieee_mode 1
		.amdhsa_fp16_overflow 0
		.amdhsa_tg_split 0
		.amdhsa_exception_fp_ieee_invalid_op 0
		.amdhsa_exception_fp_denorm_src 0
		.amdhsa_exception_fp_ieee_div_zero 0
		.amdhsa_exception_fp_ieee_overflow 0
		.amdhsa_exception_fp_ieee_underflow 0
		.amdhsa_exception_fp_ieee_inexact 0
		.amdhsa_exception_int_div_zero 0
	.end_amdhsa_kernel
	.section	.text._ZN7rocprim17ROCPRIM_400000_NS6detail17trampoline_kernelINS0_14default_configENS1_38merge_sort_block_merge_config_selectorIlNS0_10empty_typeEEEZZNS1_27merge_sort_block_merge_implIS3_PlPS5_mZN2at6native12_GLOBAL__N_124unique_dim_cuda_templateIN3c108BFloat16EEESt5tupleIJNSA_6TensorESH_SH_EERKSH_lbbbEUlllE_EE10hipError_tT0_T1_T2_jT3_P12ihipStream_tbPNSt15iterator_traitsISN_E10value_typeEPNST_ISO_E10value_typeEPSP_NS1_7vsmem_tEENKUlT_SN_SO_SP_E_clIS8_S8_S9_S9_EESM_S12_SN_SO_SP_EUlS12_E0_NS1_11comp_targetILNS1_3genE4ELNS1_11target_archE910ELNS1_3gpuE8ELNS1_3repE0EEENS1_38merge_mergepath_config_static_selectorELNS0_4arch9wavefront6targetE1EEEvSO_,"axG",@progbits,_ZN7rocprim17ROCPRIM_400000_NS6detail17trampoline_kernelINS0_14default_configENS1_38merge_sort_block_merge_config_selectorIlNS0_10empty_typeEEEZZNS1_27merge_sort_block_merge_implIS3_PlPS5_mZN2at6native12_GLOBAL__N_124unique_dim_cuda_templateIN3c108BFloat16EEESt5tupleIJNSA_6TensorESH_SH_EERKSH_lbbbEUlllE_EE10hipError_tT0_T1_T2_jT3_P12ihipStream_tbPNSt15iterator_traitsISN_E10value_typeEPNST_ISO_E10value_typeEPSP_NS1_7vsmem_tEENKUlT_SN_SO_SP_E_clIS8_S8_S9_S9_EESM_S12_SN_SO_SP_EUlS12_E0_NS1_11comp_targetILNS1_3genE4ELNS1_11target_archE910ELNS1_3gpuE8ELNS1_3repE0EEENS1_38merge_mergepath_config_static_selectorELNS0_4arch9wavefront6targetE1EEEvSO_,comdat
.Lfunc_end1136:
	.size	_ZN7rocprim17ROCPRIM_400000_NS6detail17trampoline_kernelINS0_14default_configENS1_38merge_sort_block_merge_config_selectorIlNS0_10empty_typeEEEZZNS1_27merge_sort_block_merge_implIS3_PlPS5_mZN2at6native12_GLOBAL__N_124unique_dim_cuda_templateIN3c108BFloat16EEESt5tupleIJNSA_6TensorESH_SH_EERKSH_lbbbEUlllE_EE10hipError_tT0_T1_T2_jT3_P12ihipStream_tbPNSt15iterator_traitsISN_E10value_typeEPNST_ISO_E10value_typeEPSP_NS1_7vsmem_tEENKUlT_SN_SO_SP_E_clIS8_S8_S9_S9_EESM_S12_SN_SO_SP_EUlS12_E0_NS1_11comp_targetILNS1_3genE4ELNS1_11target_archE910ELNS1_3gpuE8ELNS1_3repE0EEENS1_38merge_mergepath_config_static_selectorELNS0_4arch9wavefront6targetE1EEEvSO_, .Lfunc_end1136-_ZN7rocprim17ROCPRIM_400000_NS6detail17trampoline_kernelINS0_14default_configENS1_38merge_sort_block_merge_config_selectorIlNS0_10empty_typeEEEZZNS1_27merge_sort_block_merge_implIS3_PlPS5_mZN2at6native12_GLOBAL__N_124unique_dim_cuda_templateIN3c108BFloat16EEESt5tupleIJNSA_6TensorESH_SH_EERKSH_lbbbEUlllE_EE10hipError_tT0_T1_T2_jT3_P12ihipStream_tbPNSt15iterator_traitsISN_E10value_typeEPNST_ISO_E10value_typeEPSP_NS1_7vsmem_tEENKUlT_SN_SO_SP_E_clIS8_S8_S9_S9_EESM_S12_SN_SO_SP_EUlS12_E0_NS1_11comp_targetILNS1_3genE4ELNS1_11target_archE910ELNS1_3gpuE8ELNS1_3repE0EEENS1_38merge_mergepath_config_static_selectorELNS0_4arch9wavefront6targetE1EEEvSO_
                                        ; -- End function
	.set _ZN7rocprim17ROCPRIM_400000_NS6detail17trampoline_kernelINS0_14default_configENS1_38merge_sort_block_merge_config_selectorIlNS0_10empty_typeEEEZZNS1_27merge_sort_block_merge_implIS3_PlPS5_mZN2at6native12_GLOBAL__N_124unique_dim_cuda_templateIN3c108BFloat16EEESt5tupleIJNSA_6TensorESH_SH_EERKSH_lbbbEUlllE_EE10hipError_tT0_T1_T2_jT3_P12ihipStream_tbPNSt15iterator_traitsISN_E10value_typeEPNST_ISO_E10value_typeEPSP_NS1_7vsmem_tEENKUlT_SN_SO_SP_E_clIS8_S8_S9_S9_EESM_S12_SN_SO_SP_EUlS12_E0_NS1_11comp_targetILNS1_3genE4ELNS1_11target_archE910ELNS1_3gpuE8ELNS1_3repE0EEENS1_38merge_mergepath_config_static_selectorELNS0_4arch9wavefront6targetE1EEEvSO_.num_vgpr, 0
	.set _ZN7rocprim17ROCPRIM_400000_NS6detail17trampoline_kernelINS0_14default_configENS1_38merge_sort_block_merge_config_selectorIlNS0_10empty_typeEEEZZNS1_27merge_sort_block_merge_implIS3_PlPS5_mZN2at6native12_GLOBAL__N_124unique_dim_cuda_templateIN3c108BFloat16EEESt5tupleIJNSA_6TensorESH_SH_EERKSH_lbbbEUlllE_EE10hipError_tT0_T1_T2_jT3_P12ihipStream_tbPNSt15iterator_traitsISN_E10value_typeEPNST_ISO_E10value_typeEPSP_NS1_7vsmem_tEENKUlT_SN_SO_SP_E_clIS8_S8_S9_S9_EESM_S12_SN_SO_SP_EUlS12_E0_NS1_11comp_targetILNS1_3genE4ELNS1_11target_archE910ELNS1_3gpuE8ELNS1_3repE0EEENS1_38merge_mergepath_config_static_selectorELNS0_4arch9wavefront6targetE1EEEvSO_.num_agpr, 0
	.set _ZN7rocprim17ROCPRIM_400000_NS6detail17trampoline_kernelINS0_14default_configENS1_38merge_sort_block_merge_config_selectorIlNS0_10empty_typeEEEZZNS1_27merge_sort_block_merge_implIS3_PlPS5_mZN2at6native12_GLOBAL__N_124unique_dim_cuda_templateIN3c108BFloat16EEESt5tupleIJNSA_6TensorESH_SH_EERKSH_lbbbEUlllE_EE10hipError_tT0_T1_T2_jT3_P12ihipStream_tbPNSt15iterator_traitsISN_E10value_typeEPNST_ISO_E10value_typeEPSP_NS1_7vsmem_tEENKUlT_SN_SO_SP_E_clIS8_S8_S9_S9_EESM_S12_SN_SO_SP_EUlS12_E0_NS1_11comp_targetILNS1_3genE4ELNS1_11target_archE910ELNS1_3gpuE8ELNS1_3repE0EEENS1_38merge_mergepath_config_static_selectorELNS0_4arch9wavefront6targetE1EEEvSO_.numbered_sgpr, 0
	.set _ZN7rocprim17ROCPRIM_400000_NS6detail17trampoline_kernelINS0_14default_configENS1_38merge_sort_block_merge_config_selectorIlNS0_10empty_typeEEEZZNS1_27merge_sort_block_merge_implIS3_PlPS5_mZN2at6native12_GLOBAL__N_124unique_dim_cuda_templateIN3c108BFloat16EEESt5tupleIJNSA_6TensorESH_SH_EERKSH_lbbbEUlllE_EE10hipError_tT0_T1_T2_jT3_P12ihipStream_tbPNSt15iterator_traitsISN_E10value_typeEPNST_ISO_E10value_typeEPSP_NS1_7vsmem_tEENKUlT_SN_SO_SP_E_clIS8_S8_S9_S9_EESM_S12_SN_SO_SP_EUlS12_E0_NS1_11comp_targetILNS1_3genE4ELNS1_11target_archE910ELNS1_3gpuE8ELNS1_3repE0EEENS1_38merge_mergepath_config_static_selectorELNS0_4arch9wavefront6targetE1EEEvSO_.num_named_barrier, 0
	.set _ZN7rocprim17ROCPRIM_400000_NS6detail17trampoline_kernelINS0_14default_configENS1_38merge_sort_block_merge_config_selectorIlNS0_10empty_typeEEEZZNS1_27merge_sort_block_merge_implIS3_PlPS5_mZN2at6native12_GLOBAL__N_124unique_dim_cuda_templateIN3c108BFloat16EEESt5tupleIJNSA_6TensorESH_SH_EERKSH_lbbbEUlllE_EE10hipError_tT0_T1_T2_jT3_P12ihipStream_tbPNSt15iterator_traitsISN_E10value_typeEPNST_ISO_E10value_typeEPSP_NS1_7vsmem_tEENKUlT_SN_SO_SP_E_clIS8_S8_S9_S9_EESM_S12_SN_SO_SP_EUlS12_E0_NS1_11comp_targetILNS1_3genE4ELNS1_11target_archE910ELNS1_3gpuE8ELNS1_3repE0EEENS1_38merge_mergepath_config_static_selectorELNS0_4arch9wavefront6targetE1EEEvSO_.private_seg_size, 0
	.set _ZN7rocprim17ROCPRIM_400000_NS6detail17trampoline_kernelINS0_14default_configENS1_38merge_sort_block_merge_config_selectorIlNS0_10empty_typeEEEZZNS1_27merge_sort_block_merge_implIS3_PlPS5_mZN2at6native12_GLOBAL__N_124unique_dim_cuda_templateIN3c108BFloat16EEESt5tupleIJNSA_6TensorESH_SH_EERKSH_lbbbEUlllE_EE10hipError_tT0_T1_T2_jT3_P12ihipStream_tbPNSt15iterator_traitsISN_E10value_typeEPNST_ISO_E10value_typeEPSP_NS1_7vsmem_tEENKUlT_SN_SO_SP_E_clIS8_S8_S9_S9_EESM_S12_SN_SO_SP_EUlS12_E0_NS1_11comp_targetILNS1_3genE4ELNS1_11target_archE910ELNS1_3gpuE8ELNS1_3repE0EEENS1_38merge_mergepath_config_static_selectorELNS0_4arch9wavefront6targetE1EEEvSO_.uses_vcc, 0
	.set _ZN7rocprim17ROCPRIM_400000_NS6detail17trampoline_kernelINS0_14default_configENS1_38merge_sort_block_merge_config_selectorIlNS0_10empty_typeEEEZZNS1_27merge_sort_block_merge_implIS3_PlPS5_mZN2at6native12_GLOBAL__N_124unique_dim_cuda_templateIN3c108BFloat16EEESt5tupleIJNSA_6TensorESH_SH_EERKSH_lbbbEUlllE_EE10hipError_tT0_T1_T2_jT3_P12ihipStream_tbPNSt15iterator_traitsISN_E10value_typeEPNST_ISO_E10value_typeEPSP_NS1_7vsmem_tEENKUlT_SN_SO_SP_E_clIS8_S8_S9_S9_EESM_S12_SN_SO_SP_EUlS12_E0_NS1_11comp_targetILNS1_3genE4ELNS1_11target_archE910ELNS1_3gpuE8ELNS1_3repE0EEENS1_38merge_mergepath_config_static_selectorELNS0_4arch9wavefront6targetE1EEEvSO_.uses_flat_scratch, 0
	.set _ZN7rocprim17ROCPRIM_400000_NS6detail17trampoline_kernelINS0_14default_configENS1_38merge_sort_block_merge_config_selectorIlNS0_10empty_typeEEEZZNS1_27merge_sort_block_merge_implIS3_PlPS5_mZN2at6native12_GLOBAL__N_124unique_dim_cuda_templateIN3c108BFloat16EEESt5tupleIJNSA_6TensorESH_SH_EERKSH_lbbbEUlllE_EE10hipError_tT0_T1_T2_jT3_P12ihipStream_tbPNSt15iterator_traitsISN_E10value_typeEPNST_ISO_E10value_typeEPSP_NS1_7vsmem_tEENKUlT_SN_SO_SP_E_clIS8_S8_S9_S9_EESM_S12_SN_SO_SP_EUlS12_E0_NS1_11comp_targetILNS1_3genE4ELNS1_11target_archE910ELNS1_3gpuE8ELNS1_3repE0EEENS1_38merge_mergepath_config_static_selectorELNS0_4arch9wavefront6targetE1EEEvSO_.has_dyn_sized_stack, 0
	.set _ZN7rocprim17ROCPRIM_400000_NS6detail17trampoline_kernelINS0_14default_configENS1_38merge_sort_block_merge_config_selectorIlNS0_10empty_typeEEEZZNS1_27merge_sort_block_merge_implIS3_PlPS5_mZN2at6native12_GLOBAL__N_124unique_dim_cuda_templateIN3c108BFloat16EEESt5tupleIJNSA_6TensorESH_SH_EERKSH_lbbbEUlllE_EE10hipError_tT0_T1_T2_jT3_P12ihipStream_tbPNSt15iterator_traitsISN_E10value_typeEPNST_ISO_E10value_typeEPSP_NS1_7vsmem_tEENKUlT_SN_SO_SP_E_clIS8_S8_S9_S9_EESM_S12_SN_SO_SP_EUlS12_E0_NS1_11comp_targetILNS1_3genE4ELNS1_11target_archE910ELNS1_3gpuE8ELNS1_3repE0EEENS1_38merge_mergepath_config_static_selectorELNS0_4arch9wavefront6targetE1EEEvSO_.has_recursion, 0
	.set _ZN7rocprim17ROCPRIM_400000_NS6detail17trampoline_kernelINS0_14default_configENS1_38merge_sort_block_merge_config_selectorIlNS0_10empty_typeEEEZZNS1_27merge_sort_block_merge_implIS3_PlPS5_mZN2at6native12_GLOBAL__N_124unique_dim_cuda_templateIN3c108BFloat16EEESt5tupleIJNSA_6TensorESH_SH_EERKSH_lbbbEUlllE_EE10hipError_tT0_T1_T2_jT3_P12ihipStream_tbPNSt15iterator_traitsISN_E10value_typeEPNST_ISO_E10value_typeEPSP_NS1_7vsmem_tEENKUlT_SN_SO_SP_E_clIS8_S8_S9_S9_EESM_S12_SN_SO_SP_EUlS12_E0_NS1_11comp_targetILNS1_3genE4ELNS1_11target_archE910ELNS1_3gpuE8ELNS1_3repE0EEENS1_38merge_mergepath_config_static_selectorELNS0_4arch9wavefront6targetE1EEEvSO_.has_indirect_call, 0
	.section	.AMDGPU.csdata,"",@progbits
; Kernel info:
; codeLenInByte = 0
; TotalNumSgprs: 6
; NumVgprs: 0
; NumAgprs: 0
; TotalNumVgprs: 0
; ScratchSize: 0
; MemoryBound: 0
; FloatMode: 240
; IeeeMode: 1
; LDSByteSize: 0 bytes/workgroup (compile time only)
; SGPRBlocks: 0
; VGPRBlocks: 0
; NumSGPRsForWavesPerEU: 6
; NumVGPRsForWavesPerEU: 1
; AccumOffset: 4
; Occupancy: 8
; WaveLimiterHint : 0
; COMPUTE_PGM_RSRC2:SCRATCH_EN: 0
; COMPUTE_PGM_RSRC2:USER_SGPR: 2
; COMPUTE_PGM_RSRC2:TRAP_HANDLER: 0
; COMPUTE_PGM_RSRC2:TGID_X_EN: 1
; COMPUTE_PGM_RSRC2:TGID_Y_EN: 0
; COMPUTE_PGM_RSRC2:TGID_Z_EN: 0
; COMPUTE_PGM_RSRC2:TIDIG_COMP_CNT: 0
; COMPUTE_PGM_RSRC3_GFX90A:ACCUM_OFFSET: 0
; COMPUTE_PGM_RSRC3_GFX90A:TG_SPLIT: 0
	.section	.text._ZN7rocprim17ROCPRIM_400000_NS6detail17trampoline_kernelINS0_14default_configENS1_38merge_sort_block_merge_config_selectorIlNS0_10empty_typeEEEZZNS1_27merge_sort_block_merge_implIS3_PlPS5_mZN2at6native12_GLOBAL__N_124unique_dim_cuda_templateIN3c108BFloat16EEESt5tupleIJNSA_6TensorESH_SH_EERKSH_lbbbEUlllE_EE10hipError_tT0_T1_T2_jT3_P12ihipStream_tbPNSt15iterator_traitsISN_E10value_typeEPNST_ISO_E10value_typeEPSP_NS1_7vsmem_tEENKUlT_SN_SO_SP_E_clIS8_S8_S9_S9_EESM_S12_SN_SO_SP_EUlS12_E0_NS1_11comp_targetILNS1_3genE3ELNS1_11target_archE908ELNS1_3gpuE7ELNS1_3repE0EEENS1_38merge_mergepath_config_static_selectorELNS0_4arch9wavefront6targetE1EEEvSO_,"axG",@progbits,_ZN7rocprim17ROCPRIM_400000_NS6detail17trampoline_kernelINS0_14default_configENS1_38merge_sort_block_merge_config_selectorIlNS0_10empty_typeEEEZZNS1_27merge_sort_block_merge_implIS3_PlPS5_mZN2at6native12_GLOBAL__N_124unique_dim_cuda_templateIN3c108BFloat16EEESt5tupleIJNSA_6TensorESH_SH_EERKSH_lbbbEUlllE_EE10hipError_tT0_T1_T2_jT3_P12ihipStream_tbPNSt15iterator_traitsISN_E10value_typeEPNST_ISO_E10value_typeEPSP_NS1_7vsmem_tEENKUlT_SN_SO_SP_E_clIS8_S8_S9_S9_EESM_S12_SN_SO_SP_EUlS12_E0_NS1_11comp_targetILNS1_3genE3ELNS1_11target_archE908ELNS1_3gpuE7ELNS1_3repE0EEENS1_38merge_mergepath_config_static_selectorELNS0_4arch9wavefront6targetE1EEEvSO_,comdat
	.globl	_ZN7rocprim17ROCPRIM_400000_NS6detail17trampoline_kernelINS0_14default_configENS1_38merge_sort_block_merge_config_selectorIlNS0_10empty_typeEEEZZNS1_27merge_sort_block_merge_implIS3_PlPS5_mZN2at6native12_GLOBAL__N_124unique_dim_cuda_templateIN3c108BFloat16EEESt5tupleIJNSA_6TensorESH_SH_EERKSH_lbbbEUlllE_EE10hipError_tT0_T1_T2_jT3_P12ihipStream_tbPNSt15iterator_traitsISN_E10value_typeEPNST_ISO_E10value_typeEPSP_NS1_7vsmem_tEENKUlT_SN_SO_SP_E_clIS8_S8_S9_S9_EESM_S12_SN_SO_SP_EUlS12_E0_NS1_11comp_targetILNS1_3genE3ELNS1_11target_archE908ELNS1_3gpuE7ELNS1_3repE0EEENS1_38merge_mergepath_config_static_selectorELNS0_4arch9wavefront6targetE1EEEvSO_ ; -- Begin function _ZN7rocprim17ROCPRIM_400000_NS6detail17trampoline_kernelINS0_14default_configENS1_38merge_sort_block_merge_config_selectorIlNS0_10empty_typeEEEZZNS1_27merge_sort_block_merge_implIS3_PlPS5_mZN2at6native12_GLOBAL__N_124unique_dim_cuda_templateIN3c108BFloat16EEESt5tupleIJNSA_6TensorESH_SH_EERKSH_lbbbEUlllE_EE10hipError_tT0_T1_T2_jT3_P12ihipStream_tbPNSt15iterator_traitsISN_E10value_typeEPNST_ISO_E10value_typeEPSP_NS1_7vsmem_tEENKUlT_SN_SO_SP_E_clIS8_S8_S9_S9_EESM_S12_SN_SO_SP_EUlS12_E0_NS1_11comp_targetILNS1_3genE3ELNS1_11target_archE908ELNS1_3gpuE7ELNS1_3repE0EEENS1_38merge_mergepath_config_static_selectorELNS0_4arch9wavefront6targetE1EEEvSO_
	.p2align	8
	.type	_ZN7rocprim17ROCPRIM_400000_NS6detail17trampoline_kernelINS0_14default_configENS1_38merge_sort_block_merge_config_selectorIlNS0_10empty_typeEEEZZNS1_27merge_sort_block_merge_implIS3_PlPS5_mZN2at6native12_GLOBAL__N_124unique_dim_cuda_templateIN3c108BFloat16EEESt5tupleIJNSA_6TensorESH_SH_EERKSH_lbbbEUlllE_EE10hipError_tT0_T1_T2_jT3_P12ihipStream_tbPNSt15iterator_traitsISN_E10value_typeEPNST_ISO_E10value_typeEPSP_NS1_7vsmem_tEENKUlT_SN_SO_SP_E_clIS8_S8_S9_S9_EESM_S12_SN_SO_SP_EUlS12_E0_NS1_11comp_targetILNS1_3genE3ELNS1_11target_archE908ELNS1_3gpuE7ELNS1_3repE0EEENS1_38merge_mergepath_config_static_selectorELNS0_4arch9wavefront6targetE1EEEvSO_,@function
_ZN7rocprim17ROCPRIM_400000_NS6detail17trampoline_kernelINS0_14default_configENS1_38merge_sort_block_merge_config_selectorIlNS0_10empty_typeEEEZZNS1_27merge_sort_block_merge_implIS3_PlPS5_mZN2at6native12_GLOBAL__N_124unique_dim_cuda_templateIN3c108BFloat16EEESt5tupleIJNSA_6TensorESH_SH_EERKSH_lbbbEUlllE_EE10hipError_tT0_T1_T2_jT3_P12ihipStream_tbPNSt15iterator_traitsISN_E10value_typeEPNST_ISO_E10value_typeEPSP_NS1_7vsmem_tEENKUlT_SN_SO_SP_E_clIS8_S8_S9_S9_EESM_S12_SN_SO_SP_EUlS12_E0_NS1_11comp_targetILNS1_3genE3ELNS1_11target_archE908ELNS1_3gpuE7ELNS1_3repE0EEENS1_38merge_mergepath_config_static_selectorELNS0_4arch9wavefront6targetE1EEEvSO_: ; @_ZN7rocprim17ROCPRIM_400000_NS6detail17trampoline_kernelINS0_14default_configENS1_38merge_sort_block_merge_config_selectorIlNS0_10empty_typeEEEZZNS1_27merge_sort_block_merge_implIS3_PlPS5_mZN2at6native12_GLOBAL__N_124unique_dim_cuda_templateIN3c108BFloat16EEESt5tupleIJNSA_6TensorESH_SH_EERKSH_lbbbEUlllE_EE10hipError_tT0_T1_T2_jT3_P12ihipStream_tbPNSt15iterator_traitsISN_E10value_typeEPNST_ISO_E10value_typeEPSP_NS1_7vsmem_tEENKUlT_SN_SO_SP_E_clIS8_S8_S9_S9_EESM_S12_SN_SO_SP_EUlS12_E0_NS1_11comp_targetILNS1_3genE3ELNS1_11target_archE908ELNS1_3gpuE7ELNS1_3repE0EEENS1_38merge_mergepath_config_static_selectorELNS0_4arch9wavefront6targetE1EEEvSO_
; %bb.0:
	.section	.rodata,"a",@progbits
	.p2align	6, 0x0
	.amdhsa_kernel _ZN7rocprim17ROCPRIM_400000_NS6detail17trampoline_kernelINS0_14default_configENS1_38merge_sort_block_merge_config_selectorIlNS0_10empty_typeEEEZZNS1_27merge_sort_block_merge_implIS3_PlPS5_mZN2at6native12_GLOBAL__N_124unique_dim_cuda_templateIN3c108BFloat16EEESt5tupleIJNSA_6TensorESH_SH_EERKSH_lbbbEUlllE_EE10hipError_tT0_T1_T2_jT3_P12ihipStream_tbPNSt15iterator_traitsISN_E10value_typeEPNST_ISO_E10value_typeEPSP_NS1_7vsmem_tEENKUlT_SN_SO_SP_E_clIS8_S8_S9_S9_EESM_S12_SN_SO_SP_EUlS12_E0_NS1_11comp_targetILNS1_3genE3ELNS1_11target_archE908ELNS1_3gpuE7ELNS1_3repE0EEENS1_38merge_mergepath_config_static_selectorELNS0_4arch9wavefront6targetE1EEEvSO_
		.amdhsa_group_segment_fixed_size 0
		.amdhsa_private_segment_fixed_size 0
		.amdhsa_kernarg_size 88
		.amdhsa_user_sgpr_count 2
		.amdhsa_user_sgpr_dispatch_ptr 0
		.amdhsa_user_sgpr_queue_ptr 0
		.amdhsa_user_sgpr_kernarg_segment_ptr 1
		.amdhsa_user_sgpr_dispatch_id 0
		.amdhsa_user_sgpr_kernarg_preload_length 0
		.amdhsa_user_sgpr_kernarg_preload_offset 0
		.amdhsa_user_sgpr_private_segment_size 0
		.amdhsa_uses_dynamic_stack 0
		.amdhsa_enable_private_segment 0
		.amdhsa_system_sgpr_workgroup_id_x 1
		.amdhsa_system_sgpr_workgroup_id_y 0
		.amdhsa_system_sgpr_workgroup_id_z 0
		.amdhsa_system_sgpr_workgroup_info 0
		.amdhsa_system_vgpr_workitem_id 0
		.amdhsa_next_free_vgpr 1
		.amdhsa_next_free_sgpr 0
		.amdhsa_accum_offset 4
		.amdhsa_reserve_vcc 0
		.amdhsa_float_round_mode_32 0
		.amdhsa_float_round_mode_16_64 0
		.amdhsa_float_denorm_mode_32 3
		.amdhsa_float_denorm_mode_16_64 3
		.amdhsa_dx10_clamp 1
		.amdhsa_ieee_mode 1
		.amdhsa_fp16_overflow 0
		.amdhsa_tg_split 0
		.amdhsa_exception_fp_ieee_invalid_op 0
		.amdhsa_exception_fp_denorm_src 0
		.amdhsa_exception_fp_ieee_div_zero 0
		.amdhsa_exception_fp_ieee_overflow 0
		.amdhsa_exception_fp_ieee_underflow 0
		.amdhsa_exception_fp_ieee_inexact 0
		.amdhsa_exception_int_div_zero 0
	.end_amdhsa_kernel
	.section	.text._ZN7rocprim17ROCPRIM_400000_NS6detail17trampoline_kernelINS0_14default_configENS1_38merge_sort_block_merge_config_selectorIlNS0_10empty_typeEEEZZNS1_27merge_sort_block_merge_implIS3_PlPS5_mZN2at6native12_GLOBAL__N_124unique_dim_cuda_templateIN3c108BFloat16EEESt5tupleIJNSA_6TensorESH_SH_EERKSH_lbbbEUlllE_EE10hipError_tT0_T1_T2_jT3_P12ihipStream_tbPNSt15iterator_traitsISN_E10value_typeEPNST_ISO_E10value_typeEPSP_NS1_7vsmem_tEENKUlT_SN_SO_SP_E_clIS8_S8_S9_S9_EESM_S12_SN_SO_SP_EUlS12_E0_NS1_11comp_targetILNS1_3genE3ELNS1_11target_archE908ELNS1_3gpuE7ELNS1_3repE0EEENS1_38merge_mergepath_config_static_selectorELNS0_4arch9wavefront6targetE1EEEvSO_,"axG",@progbits,_ZN7rocprim17ROCPRIM_400000_NS6detail17trampoline_kernelINS0_14default_configENS1_38merge_sort_block_merge_config_selectorIlNS0_10empty_typeEEEZZNS1_27merge_sort_block_merge_implIS3_PlPS5_mZN2at6native12_GLOBAL__N_124unique_dim_cuda_templateIN3c108BFloat16EEESt5tupleIJNSA_6TensorESH_SH_EERKSH_lbbbEUlllE_EE10hipError_tT0_T1_T2_jT3_P12ihipStream_tbPNSt15iterator_traitsISN_E10value_typeEPNST_ISO_E10value_typeEPSP_NS1_7vsmem_tEENKUlT_SN_SO_SP_E_clIS8_S8_S9_S9_EESM_S12_SN_SO_SP_EUlS12_E0_NS1_11comp_targetILNS1_3genE3ELNS1_11target_archE908ELNS1_3gpuE7ELNS1_3repE0EEENS1_38merge_mergepath_config_static_selectorELNS0_4arch9wavefront6targetE1EEEvSO_,comdat
.Lfunc_end1137:
	.size	_ZN7rocprim17ROCPRIM_400000_NS6detail17trampoline_kernelINS0_14default_configENS1_38merge_sort_block_merge_config_selectorIlNS0_10empty_typeEEEZZNS1_27merge_sort_block_merge_implIS3_PlPS5_mZN2at6native12_GLOBAL__N_124unique_dim_cuda_templateIN3c108BFloat16EEESt5tupleIJNSA_6TensorESH_SH_EERKSH_lbbbEUlllE_EE10hipError_tT0_T1_T2_jT3_P12ihipStream_tbPNSt15iterator_traitsISN_E10value_typeEPNST_ISO_E10value_typeEPSP_NS1_7vsmem_tEENKUlT_SN_SO_SP_E_clIS8_S8_S9_S9_EESM_S12_SN_SO_SP_EUlS12_E0_NS1_11comp_targetILNS1_3genE3ELNS1_11target_archE908ELNS1_3gpuE7ELNS1_3repE0EEENS1_38merge_mergepath_config_static_selectorELNS0_4arch9wavefront6targetE1EEEvSO_, .Lfunc_end1137-_ZN7rocprim17ROCPRIM_400000_NS6detail17trampoline_kernelINS0_14default_configENS1_38merge_sort_block_merge_config_selectorIlNS0_10empty_typeEEEZZNS1_27merge_sort_block_merge_implIS3_PlPS5_mZN2at6native12_GLOBAL__N_124unique_dim_cuda_templateIN3c108BFloat16EEESt5tupleIJNSA_6TensorESH_SH_EERKSH_lbbbEUlllE_EE10hipError_tT0_T1_T2_jT3_P12ihipStream_tbPNSt15iterator_traitsISN_E10value_typeEPNST_ISO_E10value_typeEPSP_NS1_7vsmem_tEENKUlT_SN_SO_SP_E_clIS8_S8_S9_S9_EESM_S12_SN_SO_SP_EUlS12_E0_NS1_11comp_targetILNS1_3genE3ELNS1_11target_archE908ELNS1_3gpuE7ELNS1_3repE0EEENS1_38merge_mergepath_config_static_selectorELNS0_4arch9wavefront6targetE1EEEvSO_
                                        ; -- End function
	.set _ZN7rocprim17ROCPRIM_400000_NS6detail17trampoline_kernelINS0_14default_configENS1_38merge_sort_block_merge_config_selectorIlNS0_10empty_typeEEEZZNS1_27merge_sort_block_merge_implIS3_PlPS5_mZN2at6native12_GLOBAL__N_124unique_dim_cuda_templateIN3c108BFloat16EEESt5tupleIJNSA_6TensorESH_SH_EERKSH_lbbbEUlllE_EE10hipError_tT0_T1_T2_jT3_P12ihipStream_tbPNSt15iterator_traitsISN_E10value_typeEPNST_ISO_E10value_typeEPSP_NS1_7vsmem_tEENKUlT_SN_SO_SP_E_clIS8_S8_S9_S9_EESM_S12_SN_SO_SP_EUlS12_E0_NS1_11comp_targetILNS1_3genE3ELNS1_11target_archE908ELNS1_3gpuE7ELNS1_3repE0EEENS1_38merge_mergepath_config_static_selectorELNS0_4arch9wavefront6targetE1EEEvSO_.num_vgpr, 0
	.set _ZN7rocprim17ROCPRIM_400000_NS6detail17trampoline_kernelINS0_14default_configENS1_38merge_sort_block_merge_config_selectorIlNS0_10empty_typeEEEZZNS1_27merge_sort_block_merge_implIS3_PlPS5_mZN2at6native12_GLOBAL__N_124unique_dim_cuda_templateIN3c108BFloat16EEESt5tupleIJNSA_6TensorESH_SH_EERKSH_lbbbEUlllE_EE10hipError_tT0_T1_T2_jT3_P12ihipStream_tbPNSt15iterator_traitsISN_E10value_typeEPNST_ISO_E10value_typeEPSP_NS1_7vsmem_tEENKUlT_SN_SO_SP_E_clIS8_S8_S9_S9_EESM_S12_SN_SO_SP_EUlS12_E0_NS1_11comp_targetILNS1_3genE3ELNS1_11target_archE908ELNS1_3gpuE7ELNS1_3repE0EEENS1_38merge_mergepath_config_static_selectorELNS0_4arch9wavefront6targetE1EEEvSO_.num_agpr, 0
	.set _ZN7rocprim17ROCPRIM_400000_NS6detail17trampoline_kernelINS0_14default_configENS1_38merge_sort_block_merge_config_selectorIlNS0_10empty_typeEEEZZNS1_27merge_sort_block_merge_implIS3_PlPS5_mZN2at6native12_GLOBAL__N_124unique_dim_cuda_templateIN3c108BFloat16EEESt5tupleIJNSA_6TensorESH_SH_EERKSH_lbbbEUlllE_EE10hipError_tT0_T1_T2_jT3_P12ihipStream_tbPNSt15iterator_traitsISN_E10value_typeEPNST_ISO_E10value_typeEPSP_NS1_7vsmem_tEENKUlT_SN_SO_SP_E_clIS8_S8_S9_S9_EESM_S12_SN_SO_SP_EUlS12_E0_NS1_11comp_targetILNS1_3genE3ELNS1_11target_archE908ELNS1_3gpuE7ELNS1_3repE0EEENS1_38merge_mergepath_config_static_selectorELNS0_4arch9wavefront6targetE1EEEvSO_.numbered_sgpr, 0
	.set _ZN7rocprim17ROCPRIM_400000_NS6detail17trampoline_kernelINS0_14default_configENS1_38merge_sort_block_merge_config_selectorIlNS0_10empty_typeEEEZZNS1_27merge_sort_block_merge_implIS3_PlPS5_mZN2at6native12_GLOBAL__N_124unique_dim_cuda_templateIN3c108BFloat16EEESt5tupleIJNSA_6TensorESH_SH_EERKSH_lbbbEUlllE_EE10hipError_tT0_T1_T2_jT3_P12ihipStream_tbPNSt15iterator_traitsISN_E10value_typeEPNST_ISO_E10value_typeEPSP_NS1_7vsmem_tEENKUlT_SN_SO_SP_E_clIS8_S8_S9_S9_EESM_S12_SN_SO_SP_EUlS12_E0_NS1_11comp_targetILNS1_3genE3ELNS1_11target_archE908ELNS1_3gpuE7ELNS1_3repE0EEENS1_38merge_mergepath_config_static_selectorELNS0_4arch9wavefront6targetE1EEEvSO_.num_named_barrier, 0
	.set _ZN7rocprim17ROCPRIM_400000_NS6detail17trampoline_kernelINS0_14default_configENS1_38merge_sort_block_merge_config_selectorIlNS0_10empty_typeEEEZZNS1_27merge_sort_block_merge_implIS3_PlPS5_mZN2at6native12_GLOBAL__N_124unique_dim_cuda_templateIN3c108BFloat16EEESt5tupleIJNSA_6TensorESH_SH_EERKSH_lbbbEUlllE_EE10hipError_tT0_T1_T2_jT3_P12ihipStream_tbPNSt15iterator_traitsISN_E10value_typeEPNST_ISO_E10value_typeEPSP_NS1_7vsmem_tEENKUlT_SN_SO_SP_E_clIS8_S8_S9_S9_EESM_S12_SN_SO_SP_EUlS12_E0_NS1_11comp_targetILNS1_3genE3ELNS1_11target_archE908ELNS1_3gpuE7ELNS1_3repE0EEENS1_38merge_mergepath_config_static_selectorELNS0_4arch9wavefront6targetE1EEEvSO_.private_seg_size, 0
	.set _ZN7rocprim17ROCPRIM_400000_NS6detail17trampoline_kernelINS0_14default_configENS1_38merge_sort_block_merge_config_selectorIlNS0_10empty_typeEEEZZNS1_27merge_sort_block_merge_implIS3_PlPS5_mZN2at6native12_GLOBAL__N_124unique_dim_cuda_templateIN3c108BFloat16EEESt5tupleIJNSA_6TensorESH_SH_EERKSH_lbbbEUlllE_EE10hipError_tT0_T1_T2_jT3_P12ihipStream_tbPNSt15iterator_traitsISN_E10value_typeEPNST_ISO_E10value_typeEPSP_NS1_7vsmem_tEENKUlT_SN_SO_SP_E_clIS8_S8_S9_S9_EESM_S12_SN_SO_SP_EUlS12_E0_NS1_11comp_targetILNS1_3genE3ELNS1_11target_archE908ELNS1_3gpuE7ELNS1_3repE0EEENS1_38merge_mergepath_config_static_selectorELNS0_4arch9wavefront6targetE1EEEvSO_.uses_vcc, 0
	.set _ZN7rocprim17ROCPRIM_400000_NS6detail17trampoline_kernelINS0_14default_configENS1_38merge_sort_block_merge_config_selectorIlNS0_10empty_typeEEEZZNS1_27merge_sort_block_merge_implIS3_PlPS5_mZN2at6native12_GLOBAL__N_124unique_dim_cuda_templateIN3c108BFloat16EEESt5tupleIJNSA_6TensorESH_SH_EERKSH_lbbbEUlllE_EE10hipError_tT0_T1_T2_jT3_P12ihipStream_tbPNSt15iterator_traitsISN_E10value_typeEPNST_ISO_E10value_typeEPSP_NS1_7vsmem_tEENKUlT_SN_SO_SP_E_clIS8_S8_S9_S9_EESM_S12_SN_SO_SP_EUlS12_E0_NS1_11comp_targetILNS1_3genE3ELNS1_11target_archE908ELNS1_3gpuE7ELNS1_3repE0EEENS1_38merge_mergepath_config_static_selectorELNS0_4arch9wavefront6targetE1EEEvSO_.uses_flat_scratch, 0
	.set _ZN7rocprim17ROCPRIM_400000_NS6detail17trampoline_kernelINS0_14default_configENS1_38merge_sort_block_merge_config_selectorIlNS0_10empty_typeEEEZZNS1_27merge_sort_block_merge_implIS3_PlPS5_mZN2at6native12_GLOBAL__N_124unique_dim_cuda_templateIN3c108BFloat16EEESt5tupleIJNSA_6TensorESH_SH_EERKSH_lbbbEUlllE_EE10hipError_tT0_T1_T2_jT3_P12ihipStream_tbPNSt15iterator_traitsISN_E10value_typeEPNST_ISO_E10value_typeEPSP_NS1_7vsmem_tEENKUlT_SN_SO_SP_E_clIS8_S8_S9_S9_EESM_S12_SN_SO_SP_EUlS12_E0_NS1_11comp_targetILNS1_3genE3ELNS1_11target_archE908ELNS1_3gpuE7ELNS1_3repE0EEENS1_38merge_mergepath_config_static_selectorELNS0_4arch9wavefront6targetE1EEEvSO_.has_dyn_sized_stack, 0
	.set _ZN7rocprim17ROCPRIM_400000_NS6detail17trampoline_kernelINS0_14default_configENS1_38merge_sort_block_merge_config_selectorIlNS0_10empty_typeEEEZZNS1_27merge_sort_block_merge_implIS3_PlPS5_mZN2at6native12_GLOBAL__N_124unique_dim_cuda_templateIN3c108BFloat16EEESt5tupleIJNSA_6TensorESH_SH_EERKSH_lbbbEUlllE_EE10hipError_tT0_T1_T2_jT3_P12ihipStream_tbPNSt15iterator_traitsISN_E10value_typeEPNST_ISO_E10value_typeEPSP_NS1_7vsmem_tEENKUlT_SN_SO_SP_E_clIS8_S8_S9_S9_EESM_S12_SN_SO_SP_EUlS12_E0_NS1_11comp_targetILNS1_3genE3ELNS1_11target_archE908ELNS1_3gpuE7ELNS1_3repE0EEENS1_38merge_mergepath_config_static_selectorELNS0_4arch9wavefront6targetE1EEEvSO_.has_recursion, 0
	.set _ZN7rocprim17ROCPRIM_400000_NS6detail17trampoline_kernelINS0_14default_configENS1_38merge_sort_block_merge_config_selectorIlNS0_10empty_typeEEEZZNS1_27merge_sort_block_merge_implIS3_PlPS5_mZN2at6native12_GLOBAL__N_124unique_dim_cuda_templateIN3c108BFloat16EEESt5tupleIJNSA_6TensorESH_SH_EERKSH_lbbbEUlllE_EE10hipError_tT0_T1_T2_jT3_P12ihipStream_tbPNSt15iterator_traitsISN_E10value_typeEPNST_ISO_E10value_typeEPSP_NS1_7vsmem_tEENKUlT_SN_SO_SP_E_clIS8_S8_S9_S9_EESM_S12_SN_SO_SP_EUlS12_E0_NS1_11comp_targetILNS1_3genE3ELNS1_11target_archE908ELNS1_3gpuE7ELNS1_3repE0EEENS1_38merge_mergepath_config_static_selectorELNS0_4arch9wavefront6targetE1EEEvSO_.has_indirect_call, 0
	.section	.AMDGPU.csdata,"",@progbits
; Kernel info:
; codeLenInByte = 0
; TotalNumSgprs: 6
; NumVgprs: 0
; NumAgprs: 0
; TotalNumVgprs: 0
; ScratchSize: 0
; MemoryBound: 0
; FloatMode: 240
; IeeeMode: 1
; LDSByteSize: 0 bytes/workgroup (compile time only)
; SGPRBlocks: 0
; VGPRBlocks: 0
; NumSGPRsForWavesPerEU: 6
; NumVGPRsForWavesPerEU: 1
; AccumOffset: 4
; Occupancy: 8
; WaveLimiterHint : 0
; COMPUTE_PGM_RSRC2:SCRATCH_EN: 0
; COMPUTE_PGM_RSRC2:USER_SGPR: 2
; COMPUTE_PGM_RSRC2:TRAP_HANDLER: 0
; COMPUTE_PGM_RSRC2:TGID_X_EN: 1
; COMPUTE_PGM_RSRC2:TGID_Y_EN: 0
; COMPUTE_PGM_RSRC2:TGID_Z_EN: 0
; COMPUTE_PGM_RSRC2:TIDIG_COMP_CNT: 0
; COMPUTE_PGM_RSRC3_GFX90A:ACCUM_OFFSET: 0
; COMPUTE_PGM_RSRC3_GFX90A:TG_SPLIT: 0
	.section	.text._ZN7rocprim17ROCPRIM_400000_NS6detail17trampoline_kernelINS0_14default_configENS1_38merge_sort_block_merge_config_selectorIlNS0_10empty_typeEEEZZNS1_27merge_sort_block_merge_implIS3_PlPS5_mZN2at6native12_GLOBAL__N_124unique_dim_cuda_templateIN3c108BFloat16EEESt5tupleIJNSA_6TensorESH_SH_EERKSH_lbbbEUlllE_EE10hipError_tT0_T1_T2_jT3_P12ihipStream_tbPNSt15iterator_traitsISN_E10value_typeEPNST_ISO_E10value_typeEPSP_NS1_7vsmem_tEENKUlT_SN_SO_SP_E_clIS8_S8_S9_S9_EESM_S12_SN_SO_SP_EUlS12_E0_NS1_11comp_targetILNS1_3genE2ELNS1_11target_archE906ELNS1_3gpuE6ELNS1_3repE0EEENS1_38merge_mergepath_config_static_selectorELNS0_4arch9wavefront6targetE1EEEvSO_,"axG",@progbits,_ZN7rocprim17ROCPRIM_400000_NS6detail17trampoline_kernelINS0_14default_configENS1_38merge_sort_block_merge_config_selectorIlNS0_10empty_typeEEEZZNS1_27merge_sort_block_merge_implIS3_PlPS5_mZN2at6native12_GLOBAL__N_124unique_dim_cuda_templateIN3c108BFloat16EEESt5tupleIJNSA_6TensorESH_SH_EERKSH_lbbbEUlllE_EE10hipError_tT0_T1_T2_jT3_P12ihipStream_tbPNSt15iterator_traitsISN_E10value_typeEPNST_ISO_E10value_typeEPSP_NS1_7vsmem_tEENKUlT_SN_SO_SP_E_clIS8_S8_S9_S9_EESM_S12_SN_SO_SP_EUlS12_E0_NS1_11comp_targetILNS1_3genE2ELNS1_11target_archE906ELNS1_3gpuE6ELNS1_3repE0EEENS1_38merge_mergepath_config_static_selectorELNS0_4arch9wavefront6targetE1EEEvSO_,comdat
	.globl	_ZN7rocprim17ROCPRIM_400000_NS6detail17trampoline_kernelINS0_14default_configENS1_38merge_sort_block_merge_config_selectorIlNS0_10empty_typeEEEZZNS1_27merge_sort_block_merge_implIS3_PlPS5_mZN2at6native12_GLOBAL__N_124unique_dim_cuda_templateIN3c108BFloat16EEESt5tupleIJNSA_6TensorESH_SH_EERKSH_lbbbEUlllE_EE10hipError_tT0_T1_T2_jT3_P12ihipStream_tbPNSt15iterator_traitsISN_E10value_typeEPNST_ISO_E10value_typeEPSP_NS1_7vsmem_tEENKUlT_SN_SO_SP_E_clIS8_S8_S9_S9_EESM_S12_SN_SO_SP_EUlS12_E0_NS1_11comp_targetILNS1_3genE2ELNS1_11target_archE906ELNS1_3gpuE6ELNS1_3repE0EEENS1_38merge_mergepath_config_static_selectorELNS0_4arch9wavefront6targetE1EEEvSO_ ; -- Begin function _ZN7rocprim17ROCPRIM_400000_NS6detail17trampoline_kernelINS0_14default_configENS1_38merge_sort_block_merge_config_selectorIlNS0_10empty_typeEEEZZNS1_27merge_sort_block_merge_implIS3_PlPS5_mZN2at6native12_GLOBAL__N_124unique_dim_cuda_templateIN3c108BFloat16EEESt5tupleIJNSA_6TensorESH_SH_EERKSH_lbbbEUlllE_EE10hipError_tT0_T1_T2_jT3_P12ihipStream_tbPNSt15iterator_traitsISN_E10value_typeEPNST_ISO_E10value_typeEPSP_NS1_7vsmem_tEENKUlT_SN_SO_SP_E_clIS8_S8_S9_S9_EESM_S12_SN_SO_SP_EUlS12_E0_NS1_11comp_targetILNS1_3genE2ELNS1_11target_archE906ELNS1_3gpuE6ELNS1_3repE0EEENS1_38merge_mergepath_config_static_selectorELNS0_4arch9wavefront6targetE1EEEvSO_
	.p2align	8
	.type	_ZN7rocprim17ROCPRIM_400000_NS6detail17trampoline_kernelINS0_14default_configENS1_38merge_sort_block_merge_config_selectorIlNS0_10empty_typeEEEZZNS1_27merge_sort_block_merge_implIS3_PlPS5_mZN2at6native12_GLOBAL__N_124unique_dim_cuda_templateIN3c108BFloat16EEESt5tupleIJNSA_6TensorESH_SH_EERKSH_lbbbEUlllE_EE10hipError_tT0_T1_T2_jT3_P12ihipStream_tbPNSt15iterator_traitsISN_E10value_typeEPNST_ISO_E10value_typeEPSP_NS1_7vsmem_tEENKUlT_SN_SO_SP_E_clIS8_S8_S9_S9_EESM_S12_SN_SO_SP_EUlS12_E0_NS1_11comp_targetILNS1_3genE2ELNS1_11target_archE906ELNS1_3gpuE6ELNS1_3repE0EEENS1_38merge_mergepath_config_static_selectorELNS0_4arch9wavefront6targetE1EEEvSO_,@function
_ZN7rocprim17ROCPRIM_400000_NS6detail17trampoline_kernelINS0_14default_configENS1_38merge_sort_block_merge_config_selectorIlNS0_10empty_typeEEEZZNS1_27merge_sort_block_merge_implIS3_PlPS5_mZN2at6native12_GLOBAL__N_124unique_dim_cuda_templateIN3c108BFloat16EEESt5tupleIJNSA_6TensorESH_SH_EERKSH_lbbbEUlllE_EE10hipError_tT0_T1_T2_jT3_P12ihipStream_tbPNSt15iterator_traitsISN_E10value_typeEPNST_ISO_E10value_typeEPSP_NS1_7vsmem_tEENKUlT_SN_SO_SP_E_clIS8_S8_S9_S9_EESM_S12_SN_SO_SP_EUlS12_E0_NS1_11comp_targetILNS1_3genE2ELNS1_11target_archE906ELNS1_3gpuE6ELNS1_3repE0EEENS1_38merge_mergepath_config_static_selectorELNS0_4arch9wavefront6targetE1EEEvSO_: ; @_ZN7rocprim17ROCPRIM_400000_NS6detail17trampoline_kernelINS0_14default_configENS1_38merge_sort_block_merge_config_selectorIlNS0_10empty_typeEEEZZNS1_27merge_sort_block_merge_implIS3_PlPS5_mZN2at6native12_GLOBAL__N_124unique_dim_cuda_templateIN3c108BFloat16EEESt5tupleIJNSA_6TensorESH_SH_EERKSH_lbbbEUlllE_EE10hipError_tT0_T1_T2_jT3_P12ihipStream_tbPNSt15iterator_traitsISN_E10value_typeEPNST_ISO_E10value_typeEPSP_NS1_7vsmem_tEENKUlT_SN_SO_SP_E_clIS8_S8_S9_S9_EESM_S12_SN_SO_SP_EUlS12_E0_NS1_11comp_targetILNS1_3genE2ELNS1_11target_archE906ELNS1_3gpuE6ELNS1_3repE0EEENS1_38merge_mergepath_config_static_selectorELNS0_4arch9wavefront6targetE1EEEvSO_
; %bb.0:
	.section	.rodata,"a",@progbits
	.p2align	6, 0x0
	.amdhsa_kernel _ZN7rocprim17ROCPRIM_400000_NS6detail17trampoline_kernelINS0_14default_configENS1_38merge_sort_block_merge_config_selectorIlNS0_10empty_typeEEEZZNS1_27merge_sort_block_merge_implIS3_PlPS5_mZN2at6native12_GLOBAL__N_124unique_dim_cuda_templateIN3c108BFloat16EEESt5tupleIJNSA_6TensorESH_SH_EERKSH_lbbbEUlllE_EE10hipError_tT0_T1_T2_jT3_P12ihipStream_tbPNSt15iterator_traitsISN_E10value_typeEPNST_ISO_E10value_typeEPSP_NS1_7vsmem_tEENKUlT_SN_SO_SP_E_clIS8_S8_S9_S9_EESM_S12_SN_SO_SP_EUlS12_E0_NS1_11comp_targetILNS1_3genE2ELNS1_11target_archE906ELNS1_3gpuE6ELNS1_3repE0EEENS1_38merge_mergepath_config_static_selectorELNS0_4arch9wavefront6targetE1EEEvSO_
		.amdhsa_group_segment_fixed_size 0
		.amdhsa_private_segment_fixed_size 0
		.amdhsa_kernarg_size 88
		.amdhsa_user_sgpr_count 2
		.amdhsa_user_sgpr_dispatch_ptr 0
		.amdhsa_user_sgpr_queue_ptr 0
		.amdhsa_user_sgpr_kernarg_segment_ptr 1
		.amdhsa_user_sgpr_dispatch_id 0
		.amdhsa_user_sgpr_kernarg_preload_length 0
		.amdhsa_user_sgpr_kernarg_preload_offset 0
		.amdhsa_user_sgpr_private_segment_size 0
		.amdhsa_uses_dynamic_stack 0
		.amdhsa_enable_private_segment 0
		.amdhsa_system_sgpr_workgroup_id_x 1
		.amdhsa_system_sgpr_workgroup_id_y 0
		.amdhsa_system_sgpr_workgroup_id_z 0
		.amdhsa_system_sgpr_workgroup_info 0
		.amdhsa_system_vgpr_workitem_id 0
		.amdhsa_next_free_vgpr 1
		.amdhsa_next_free_sgpr 0
		.amdhsa_accum_offset 4
		.amdhsa_reserve_vcc 0
		.amdhsa_float_round_mode_32 0
		.amdhsa_float_round_mode_16_64 0
		.amdhsa_float_denorm_mode_32 3
		.amdhsa_float_denorm_mode_16_64 3
		.amdhsa_dx10_clamp 1
		.amdhsa_ieee_mode 1
		.amdhsa_fp16_overflow 0
		.amdhsa_tg_split 0
		.amdhsa_exception_fp_ieee_invalid_op 0
		.amdhsa_exception_fp_denorm_src 0
		.amdhsa_exception_fp_ieee_div_zero 0
		.amdhsa_exception_fp_ieee_overflow 0
		.amdhsa_exception_fp_ieee_underflow 0
		.amdhsa_exception_fp_ieee_inexact 0
		.amdhsa_exception_int_div_zero 0
	.end_amdhsa_kernel
	.section	.text._ZN7rocprim17ROCPRIM_400000_NS6detail17trampoline_kernelINS0_14default_configENS1_38merge_sort_block_merge_config_selectorIlNS0_10empty_typeEEEZZNS1_27merge_sort_block_merge_implIS3_PlPS5_mZN2at6native12_GLOBAL__N_124unique_dim_cuda_templateIN3c108BFloat16EEESt5tupleIJNSA_6TensorESH_SH_EERKSH_lbbbEUlllE_EE10hipError_tT0_T1_T2_jT3_P12ihipStream_tbPNSt15iterator_traitsISN_E10value_typeEPNST_ISO_E10value_typeEPSP_NS1_7vsmem_tEENKUlT_SN_SO_SP_E_clIS8_S8_S9_S9_EESM_S12_SN_SO_SP_EUlS12_E0_NS1_11comp_targetILNS1_3genE2ELNS1_11target_archE906ELNS1_3gpuE6ELNS1_3repE0EEENS1_38merge_mergepath_config_static_selectorELNS0_4arch9wavefront6targetE1EEEvSO_,"axG",@progbits,_ZN7rocprim17ROCPRIM_400000_NS6detail17trampoline_kernelINS0_14default_configENS1_38merge_sort_block_merge_config_selectorIlNS0_10empty_typeEEEZZNS1_27merge_sort_block_merge_implIS3_PlPS5_mZN2at6native12_GLOBAL__N_124unique_dim_cuda_templateIN3c108BFloat16EEESt5tupleIJNSA_6TensorESH_SH_EERKSH_lbbbEUlllE_EE10hipError_tT0_T1_T2_jT3_P12ihipStream_tbPNSt15iterator_traitsISN_E10value_typeEPNST_ISO_E10value_typeEPSP_NS1_7vsmem_tEENKUlT_SN_SO_SP_E_clIS8_S8_S9_S9_EESM_S12_SN_SO_SP_EUlS12_E0_NS1_11comp_targetILNS1_3genE2ELNS1_11target_archE906ELNS1_3gpuE6ELNS1_3repE0EEENS1_38merge_mergepath_config_static_selectorELNS0_4arch9wavefront6targetE1EEEvSO_,comdat
.Lfunc_end1138:
	.size	_ZN7rocprim17ROCPRIM_400000_NS6detail17trampoline_kernelINS0_14default_configENS1_38merge_sort_block_merge_config_selectorIlNS0_10empty_typeEEEZZNS1_27merge_sort_block_merge_implIS3_PlPS5_mZN2at6native12_GLOBAL__N_124unique_dim_cuda_templateIN3c108BFloat16EEESt5tupleIJNSA_6TensorESH_SH_EERKSH_lbbbEUlllE_EE10hipError_tT0_T1_T2_jT3_P12ihipStream_tbPNSt15iterator_traitsISN_E10value_typeEPNST_ISO_E10value_typeEPSP_NS1_7vsmem_tEENKUlT_SN_SO_SP_E_clIS8_S8_S9_S9_EESM_S12_SN_SO_SP_EUlS12_E0_NS1_11comp_targetILNS1_3genE2ELNS1_11target_archE906ELNS1_3gpuE6ELNS1_3repE0EEENS1_38merge_mergepath_config_static_selectorELNS0_4arch9wavefront6targetE1EEEvSO_, .Lfunc_end1138-_ZN7rocprim17ROCPRIM_400000_NS6detail17trampoline_kernelINS0_14default_configENS1_38merge_sort_block_merge_config_selectorIlNS0_10empty_typeEEEZZNS1_27merge_sort_block_merge_implIS3_PlPS5_mZN2at6native12_GLOBAL__N_124unique_dim_cuda_templateIN3c108BFloat16EEESt5tupleIJNSA_6TensorESH_SH_EERKSH_lbbbEUlllE_EE10hipError_tT0_T1_T2_jT3_P12ihipStream_tbPNSt15iterator_traitsISN_E10value_typeEPNST_ISO_E10value_typeEPSP_NS1_7vsmem_tEENKUlT_SN_SO_SP_E_clIS8_S8_S9_S9_EESM_S12_SN_SO_SP_EUlS12_E0_NS1_11comp_targetILNS1_3genE2ELNS1_11target_archE906ELNS1_3gpuE6ELNS1_3repE0EEENS1_38merge_mergepath_config_static_selectorELNS0_4arch9wavefront6targetE1EEEvSO_
                                        ; -- End function
	.set _ZN7rocprim17ROCPRIM_400000_NS6detail17trampoline_kernelINS0_14default_configENS1_38merge_sort_block_merge_config_selectorIlNS0_10empty_typeEEEZZNS1_27merge_sort_block_merge_implIS3_PlPS5_mZN2at6native12_GLOBAL__N_124unique_dim_cuda_templateIN3c108BFloat16EEESt5tupleIJNSA_6TensorESH_SH_EERKSH_lbbbEUlllE_EE10hipError_tT0_T1_T2_jT3_P12ihipStream_tbPNSt15iterator_traitsISN_E10value_typeEPNST_ISO_E10value_typeEPSP_NS1_7vsmem_tEENKUlT_SN_SO_SP_E_clIS8_S8_S9_S9_EESM_S12_SN_SO_SP_EUlS12_E0_NS1_11comp_targetILNS1_3genE2ELNS1_11target_archE906ELNS1_3gpuE6ELNS1_3repE0EEENS1_38merge_mergepath_config_static_selectorELNS0_4arch9wavefront6targetE1EEEvSO_.num_vgpr, 0
	.set _ZN7rocprim17ROCPRIM_400000_NS6detail17trampoline_kernelINS0_14default_configENS1_38merge_sort_block_merge_config_selectorIlNS0_10empty_typeEEEZZNS1_27merge_sort_block_merge_implIS3_PlPS5_mZN2at6native12_GLOBAL__N_124unique_dim_cuda_templateIN3c108BFloat16EEESt5tupleIJNSA_6TensorESH_SH_EERKSH_lbbbEUlllE_EE10hipError_tT0_T1_T2_jT3_P12ihipStream_tbPNSt15iterator_traitsISN_E10value_typeEPNST_ISO_E10value_typeEPSP_NS1_7vsmem_tEENKUlT_SN_SO_SP_E_clIS8_S8_S9_S9_EESM_S12_SN_SO_SP_EUlS12_E0_NS1_11comp_targetILNS1_3genE2ELNS1_11target_archE906ELNS1_3gpuE6ELNS1_3repE0EEENS1_38merge_mergepath_config_static_selectorELNS0_4arch9wavefront6targetE1EEEvSO_.num_agpr, 0
	.set _ZN7rocprim17ROCPRIM_400000_NS6detail17trampoline_kernelINS0_14default_configENS1_38merge_sort_block_merge_config_selectorIlNS0_10empty_typeEEEZZNS1_27merge_sort_block_merge_implIS3_PlPS5_mZN2at6native12_GLOBAL__N_124unique_dim_cuda_templateIN3c108BFloat16EEESt5tupleIJNSA_6TensorESH_SH_EERKSH_lbbbEUlllE_EE10hipError_tT0_T1_T2_jT3_P12ihipStream_tbPNSt15iterator_traitsISN_E10value_typeEPNST_ISO_E10value_typeEPSP_NS1_7vsmem_tEENKUlT_SN_SO_SP_E_clIS8_S8_S9_S9_EESM_S12_SN_SO_SP_EUlS12_E0_NS1_11comp_targetILNS1_3genE2ELNS1_11target_archE906ELNS1_3gpuE6ELNS1_3repE0EEENS1_38merge_mergepath_config_static_selectorELNS0_4arch9wavefront6targetE1EEEvSO_.numbered_sgpr, 0
	.set _ZN7rocprim17ROCPRIM_400000_NS6detail17trampoline_kernelINS0_14default_configENS1_38merge_sort_block_merge_config_selectorIlNS0_10empty_typeEEEZZNS1_27merge_sort_block_merge_implIS3_PlPS5_mZN2at6native12_GLOBAL__N_124unique_dim_cuda_templateIN3c108BFloat16EEESt5tupleIJNSA_6TensorESH_SH_EERKSH_lbbbEUlllE_EE10hipError_tT0_T1_T2_jT3_P12ihipStream_tbPNSt15iterator_traitsISN_E10value_typeEPNST_ISO_E10value_typeEPSP_NS1_7vsmem_tEENKUlT_SN_SO_SP_E_clIS8_S8_S9_S9_EESM_S12_SN_SO_SP_EUlS12_E0_NS1_11comp_targetILNS1_3genE2ELNS1_11target_archE906ELNS1_3gpuE6ELNS1_3repE0EEENS1_38merge_mergepath_config_static_selectorELNS0_4arch9wavefront6targetE1EEEvSO_.num_named_barrier, 0
	.set _ZN7rocprim17ROCPRIM_400000_NS6detail17trampoline_kernelINS0_14default_configENS1_38merge_sort_block_merge_config_selectorIlNS0_10empty_typeEEEZZNS1_27merge_sort_block_merge_implIS3_PlPS5_mZN2at6native12_GLOBAL__N_124unique_dim_cuda_templateIN3c108BFloat16EEESt5tupleIJNSA_6TensorESH_SH_EERKSH_lbbbEUlllE_EE10hipError_tT0_T1_T2_jT3_P12ihipStream_tbPNSt15iterator_traitsISN_E10value_typeEPNST_ISO_E10value_typeEPSP_NS1_7vsmem_tEENKUlT_SN_SO_SP_E_clIS8_S8_S9_S9_EESM_S12_SN_SO_SP_EUlS12_E0_NS1_11comp_targetILNS1_3genE2ELNS1_11target_archE906ELNS1_3gpuE6ELNS1_3repE0EEENS1_38merge_mergepath_config_static_selectorELNS0_4arch9wavefront6targetE1EEEvSO_.private_seg_size, 0
	.set _ZN7rocprim17ROCPRIM_400000_NS6detail17trampoline_kernelINS0_14default_configENS1_38merge_sort_block_merge_config_selectorIlNS0_10empty_typeEEEZZNS1_27merge_sort_block_merge_implIS3_PlPS5_mZN2at6native12_GLOBAL__N_124unique_dim_cuda_templateIN3c108BFloat16EEESt5tupleIJNSA_6TensorESH_SH_EERKSH_lbbbEUlllE_EE10hipError_tT0_T1_T2_jT3_P12ihipStream_tbPNSt15iterator_traitsISN_E10value_typeEPNST_ISO_E10value_typeEPSP_NS1_7vsmem_tEENKUlT_SN_SO_SP_E_clIS8_S8_S9_S9_EESM_S12_SN_SO_SP_EUlS12_E0_NS1_11comp_targetILNS1_3genE2ELNS1_11target_archE906ELNS1_3gpuE6ELNS1_3repE0EEENS1_38merge_mergepath_config_static_selectorELNS0_4arch9wavefront6targetE1EEEvSO_.uses_vcc, 0
	.set _ZN7rocprim17ROCPRIM_400000_NS6detail17trampoline_kernelINS0_14default_configENS1_38merge_sort_block_merge_config_selectorIlNS0_10empty_typeEEEZZNS1_27merge_sort_block_merge_implIS3_PlPS5_mZN2at6native12_GLOBAL__N_124unique_dim_cuda_templateIN3c108BFloat16EEESt5tupleIJNSA_6TensorESH_SH_EERKSH_lbbbEUlllE_EE10hipError_tT0_T1_T2_jT3_P12ihipStream_tbPNSt15iterator_traitsISN_E10value_typeEPNST_ISO_E10value_typeEPSP_NS1_7vsmem_tEENKUlT_SN_SO_SP_E_clIS8_S8_S9_S9_EESM_S12_SN_SO_SP_EUlS12_E0_NS1_11comp_targetILNS1_3genE2ELNS1_11target_archE906ELNS1_3gpuE6ELNS1_3repE0EEENS1_38merge_mergepath_config_static_selectorELNS0_4arch9wavefront6targetE1EEEvSO_.uses_flat_scratch, 0
	.set _ZN7rocprim17ROCPRIM_400000_NS6detail17trampoline_kernelINS0_14default_configENS1_38merge_sort_block_merge_config_selectorIlNS0_10empty_typeEEEZZNS1_27merge_sort_block_merge_implIS3_PlPS5_mZN2at6native12_GLOBAL__N_124unique_dim_cuda_templateIN3c108BFloat16EEESt5tupleIJNSA_6TensorESH_SH_EERKSH_lbbbEUlllE_EE10hipError_tT0_T1_T2_jT3_P12ihipStream_tbPNSt15iterator_traitsISN_E10value_typeEPNST_ISO_E10value_typeEPSP_NS1_7vsmem_tEENKUlT_SN_SO_SP_E_clIS8_S8_S9_S9_EESM_S12_SN_SO_SP_EUlS12_E0_NS1_11comp_targetILNS1_3genE2ELNS1_11target_archE906ELNS1_3gpuE6ELNS1_3repE0EEENS1_38merge_mergepath_config_static_selectorELNS0_4arch9wavefront6targetE1EEEvSO_.has_dyn_sized_stack, 0
	.set _ZN7rocprim17ROCPRIM_400000_NS6detail17trampoline_kernelINS0_14default_configENS1_38merge_sort_block_merge_config_selectorIlNS0_10empty_typeEEEZZNS1_27merge_sort_block_merge_implIS3_PlPS5_mZN2at6native12_GLOBAL__N_124unique_dim_cuda_templateIN3c108BFloat16EEESt5tupleIJNSA_6TensorESH_SH_EERKSH_lbbbEUlllE_EE10hipError_tT0_T1_T2_jT3_P12ihipStream_tbPNSt15iterator_traitsISN_E10value_typeEPNST_ISO_E10value_typeEPSP_NS1_7vsmem_tEENKUlT_SN_SO_SP_E_clIS8_S8_S9_S9_EESM_S12_SN_SO_SP_EUlS12_E0_NS1_11comp_targetILNS1_3genE2ELNS1_11target_archE906ELNS1_3gpuE6ELNS1_3repE0EEENS1_38merge_mergepath_config_static_selectorELNS0_4arch9wavefront6targetE1EEEvSO_.has_recursion, 0
	.set _ZN7rocprim17ROCPRIM_400000_NS6detail17trampoline_kernelINS0_14default_configENS1_38merge_sort_block_merge_config_selectorIlNS0_10empty_typeEEEZZNS1_27merge_sort_block_merge_implIS3_PlPS5_mZN2at6native12_GLOBAL__N_124unique_dim_cuda_templateIN3c108BFloat16EEESt5tupleIJNSA_6TensorESH_SH_EERKSH_lbbbEUlllE_EE10hipError_tT0_T1_T2_jT3_P12ihipStream_tbPNSt15iterator_traitsISN_E10value_typeEPNST_ISO_E10value_typeEPSP_NS1_7vsmem_tEENKUlT_SN_SO_SP_E_clIS8_S8_S9_S9_EESM_S12_SN_SO_SP_EUlS12_E0_NS1_11comp_targetILNS1_3genE2ELNS1_11target_archE906ELNS1_3gpuE6ELNS1_3repE0EEENS1_38merge_mergepath_config_static_selectorELNS0_4arch9wavefront6targetE1EEEvSO_.has_indirect_call, 0
	.section	.AMDGPU.csdata,"",@progbits
; Kernel info:
; codeLenInByte = 0
; TotalNumSgprs: 6
; NumVgprs: 0
; NumAgprs: 0
; TotalNumVgprs: 0
; ScratchSize: 0
; MemoryBound: 0
; FloatMode: 240
; IeeeMode: 1
; LDSByteSize: 0 bytes/workgroup (compile time only)
; SGPRBlocks: 0
; VGPRBlocks: 0
; NumSGPRsForWavesPerEU: 6
; NumVGPRsForWavesPerEU: 1
; AccumOffset: 4
; Occupancy: 8
; WaveLimiterHint : 0
; COMPUTE_PGM_RSRC2:SCRATCH_EN: 0
; COMPUTE_PGM_RSRC2:USER_SGPR: 2
; COMPUTE_PGM_RSRC2:TRAP_HANDLER: 0
; COMPUTE_PGM_RSRC2:TGID_X_EN: 1
; COMPUTE_PGM_RSRC2:TGID_Y_EN: 0
; COMPUTE_PGM_RSRC2:TGID_Z_EN: 0
; COMPUTE_PGM_RSRC2:TIDIG_COMP_CNT: 0
; COMPUTE_PGM_RSRC3_GFX90A:ACCUM_OFFSET: 0
; COMPUTE_PGM_RSRC3_GFX90A:TG_SPLIT: 0
	.section	.text._ZN7rocprim17ROCPRIM_400000_NS6detail17trampoline_kernelINS0_14default_configENS1_38merge_sort_block_merge_config_selectorIlNS0_10empty_typeEEEZZNS1_27merge_sort_block_merge_implIS3_PlPS5_mZN2at6native12_GLOBAL__N_124unique_dim_cuda_templateIN3c108BFloat16EEESt5tupleIJNSA_6TensorESH_SH_EERKSH_lbbbEUlllE_EE10hipError_tT0_T1_T2_jT3_P12ihipStream_tbPNSt15iterator_traitsISN_E10value_typeEPNST_ISO_E10value_typeEPSP_NS1_7vsmem_tEENKUlT_SN_SO_SP_E_clIS8_S8_S9_S9_EESM_S12_SN_SO_SP_EUlS12_E0_NS1_11comp_targetILNS1_3genE9ELNS1_11target_archE1100ELNS1_3gpuE3ELNS1_3repE0EEENS1_38merge_mergepath_config_static_selectorELNS0_4arch9wavefront6targetE1EEEvSO_,"axG",@progbits,_ZN7rocprim17ROCPRIM_400000_NS6detail17trampoline_kernelINS0_14default_configENS1_38merge_sort_block_merge_config_selectorIlNS0_10empty_typeEEEZZNS1_27merge_sort_block_merge_implIS3_PlPS5_mZN2at6native12_GLOBAL__N_124unique_dim_cuda_templateIN3c108BFloat16EEESt5tupleIJNSA_6TensorESH_SH_EERKSH_lbbbEUlllE_EE10hipError_tT0_T1_T2_jT3_P12ihipStream_tbPNSt15iterator_traitsISN_E10value_typeEPNST_ISO_E10value_typeEPSP_NS1_7vsmem_tEENKUlT_SN_SO_SP_E_clIS8_S8_S9_S9_EESM_S12_SN_SO_SP_EUlS12_E0_NS1_11comp_targetILNS1_3genE9ELNS1_11target_archE1100ELNS1_3gpuE3ELNS1_3repE0EEENS1_38merge_mergepath_config_static_selectorELNS0_4arch9wavefront6targetE1EEEvSO_,comdat
	.globl	_ZN7rocprim17ROCPRIM_400000_NS6detail17trampoline_kernelINS0_14default_configENS1_38merge_sort_block_merge_config_selectorIlNS0_10empty_typeEEEZZNS1_27merge_sort_block_merge_implIS3_PlPS5_mZN2at6native12_GLOBAL__N_124unique_dim_cuda_templateIN3c108BFloat16EEESt5tupleIJNSA_6TensorESH_SH_EERKSH_lbbbEUlllE_EE10hipError_tT0_T1_T2_jT3_P12ihipStream_tbPNSt15iterator_traitsISN_E10value_typeEPNST_ISO_E10value_typeEPSP_NS1_7vsmem_tEENKUlT_SN_SO_SP_E_clIS8_S8_S9_S9_EESM_S12_SN_SO_SP_EUlS12_E0_NS1_11comp_targetILNS1_3genE9ELNS1_11target_archE1100ELNS1_3gpuE3ELNS1_3repE0EEENS1_38merge_mergepath_config_static_selectorELNS0_4arch9wavefront6targetE1EEEvSO_ ; -- Begin function _ZN7rocprim17ROCPRIM_400000_NS6detail17trampoline_kernelINS0_14default_configENS1_38merge_sort_block_merge_config_selectorIlNS0_10empty_typeEEEZZNS1_27merge_sort_block_merge_implIS3_PlPS5_mZN2at6native12_GLOBAL__N_124unique_dim_cuda_templateIN3c108BFloat16EEESt5tupleIJNSA_6TensorESH_SH_EERKSH_lbbbEUlllE_EE10hipError_tT0_T1_T2_jT3_P12ihipStream_tbPNSt15iterator_traitsISN_E10value_typeEPNST_ISO_E10value_typeEPSP_NS1_7vsmem_tEENKUlT_SN_SO_SP_E_clIS8_S8_S9_S9_EESM_S12_SN_SO_SP_EUlS12_E0_NS1_11comp_targetILNS1_3genE9ELNS1_11target_archE1100ELNS1_3gpuE3ELNS1_3repE0EEENS1_38merge_mergepath_config_static_selectorELNS0_4arch9wavefront6targetE1EEEvSO_
	.p2align	8
	.type	_ZN7rocprim17ROCPRIM_400000_NS6detail17trampoline_kernelINS0_14default_configENS1_38merge_sort_block_merge_config_selectorIlNS0_10empty_typeEEEZZNS1_27merge_sort_block_merge_implIS3_PlPS5_mZN2at6native12_GLOBAL__N_124unique_dim_cuda_templateIN3c108BFloat16EEESt5tupleIJNSA_6TensorESH_SH_EERKSH_lbbbEUlllE_EE10hipError_tT0_T1_T2_jT3_P12ihipStream_tbPNSt15iterator_traitsISN_E10value_typeEPNST_ISO_E10value_typeEPSP_NS1_7vsmem_tEENKUlT_SN_SO_SP_E_clIS8_S8_S9_S9_EESM_S12_SN_SO_SP_EUlS12_E0_NS1_11comp_targetILNS1_3genE9ELNS1_11target_archE1100ELNS1_3gpuE3ELNS1_3repE0EEENS1_38merge_mergepath_config_static_selectorELNS0_4arch9wavefront6targetE1EEEvSO_,@function
_ZN7rocprim17ROCPRIM_400000_NS6detail17trampoline_kernelINS0_14default_configENS1_38merge_sort_block_merge_config_selectorIlNS0_10empty_typeEEEZZNS1_27merge_sort_block_merge_implIS3_PlPS5_mZN2at6native12_GLOBAL__N_124unique_dim_cuda_templateIN3c108BFloat16EEESt5tupleIJNSA_6TensorESH_SH_EERKSH_lbbbEUlllE_EE10hipError_tT0_T1_T2_jT3_P12ihipStream_tbPNSt15iterator_traitsISN_E10value_typeEPNST_ISO_E10value_typeEPSP_NS1_7vsmem_tEENKUlT_SN_SO_SP_E_clIS8_S8_S9_S9_EESM_S12_SN_SO_SP_EUlS12_E0_NS1_11comp_targetILNS1_3genE9ELNS1_11target_archE1100ELNS1_3gpuE3ELNS1_3repE0EEENS1_38merge_mergepath_config_static_selectorELNS0_4arch9wavefront6targetE1EEEvSO_: ; @_ZN7rocprim17ROCPRIM_400000_NS6detail17trampoline_kernelINS0_14default_configENS1_38merge_sort_block_merge_config_selectorIlNS0_10empty_typeEEEZZNS1_27merge_sort_block_merge_implIS3_PlPS5_mZN2at6native12_GLOBAL__N_124unique_dim_cuda_templateIN3c108BFloat16EEESt5tupleIJNSA_6TensorESH_SH_EERKSH_lbbbEUlllE_EE10hipError_tT0_T1_T2_jT3_P12ihipStream_tbPNSt15iterator_traitsISN_E10value_typeEPNST_ISO_E10value_typeEPSP_NS1_7vsmem_tEENKUlT_SN_SO_SP_E_clIS8_S8_S9_S9_EESM_S12_SN_SO_SP_EUlS12_E0_NS1_11comp_targetILNS1_3genE9ELNS1_11target_archE1100ELNS1_3gpuE3ELNS1_3repE0EEENS1_38merge_mergepath_config_static_selectorELNS0_4arch9wavefront6targetE1EEEvSO_
; %bb.0:
	.section	.rodata,"a",@progbits
	.p2align	6, 0x0
	.amdhsa_kernel _ZN7rocprim17ROCPRIM_400000_NS6detail17trampoline_kernelINS0_14default_configENS1_38merge_sort_block_merge_config_selectorIlNS0_10empty_typeEEEZZNS1_27merge_sort_block_merge_implIS3_PlPS5_mZN2at6native12_GLOBAL__N_124unique_dim_cuda_templateIN3c108BFloat16EEESt5tupleIJNSA_6TensorESH_SH_EERKSH_lbbbEUlllE_EE10hipError_tT0_T1_T2_jT3_P12ihipStream_tbPNSt15iterator_traitsISN_E10value_typeEPNST_ISO_E10value_typeEPSP_NS1_7vsmem_tEENKUlT_SN_SO_SP_E_clIS8_S8_S9_S9_EESM_S12_SN_SO_SP_EUlS12_E0_NS1_11comp_targetILNS1_3genE9ELNS1_11target_archE1100ELNS1_3gpuE3ELNS1_3repE0EEENS1_38merge_mergepath_config_static_selectorELNS0_4arch9wavefront6targetE1EEEvSO_
		.amdhsa_group_segment_fixed_size 0
		.amdhsa_private_segment_fixed_size 0
		.amdhsa_kernarg_size 88
		.amdhsa_user_sgpr_count 2
		.amdhsa_user_sgpr_dispatch_ptr 0
		.amdhsa_user_sgpr_queue_ptr 0
		.amdhsa_user_sgpr_kernarg_segment_ptr 1
		.amdhsa_user_sgpr_dispatch_id 0
		.amdhsa_user_sgpr_kernarg_preload_length 0
		.amdhsa_user_sgpr_kernarg_preload_offset 0
		.amdhsa_user_sgpr_private_segment_size 0
		.amdhsa_uses_dynamic_stack 0
		.amdhsa_enable_private_segment 0
		.amdhsa_system_sgpr_workgroup_id_x 1
		.amdhsa_system_sgpr_workgroup_id_y 0
		.amdhsa_system_sgpr_workgroup_id_z 0
		.amdhsa_system_sgpr_workgroup_info 0
		.amdhsa_system_vgpr_workitem_id 0
		.amdhsa_next_free_vgpr 1
		.amdhsa_next_free_sgpr 0
		.amdhsa_accum_offset 4
		.amdhsa_reserve_vcc 0
		.amdhsa_float_round_mode_32 0
		.amdhsa_float_round_mode_16_64 0
		.amdhsa_float_denorm_mode_32 3
		.amdhsa_float_denorm_mode_16_64 3
		.amdhsa_dx10_clamp 1
		.amdhsa_ieee_mode 1
		.amdhsa_fp16_overflow 0
		.amdhsa_tg_split 0
		.amdhsa_exception_fp_ieee_invalid_op 0
		.amdhsa_exception_fp_denorm_src 0
		.amdhsa_exception_fp_ieee_div_zero 0
		.amdhsa_exception_fp_ieee_overflow 0
		.amdhsa_exception_fp_ieee_underflow 0
		.amdhsa_exception_fp_ieee_inexact 0
		.amdhsa_exception_int_div_zero 0
	.end_amdhsa_kernel
	.section	.text._ZN7rocprim17ROCPRIM_400000_NS6detail17trampoline_kernelINS0_14default_configENS1_38merge_sort_block_merge_config_selectorIlNS0_10empty_typeEEEZZNS1_27merge_sort_block_merge_implIS3_PlPS5_mZN2at6native12_GLOBAL__N_124unique_dim_cuda_templateIN3c108BFloat16EEESt5tupleIJNSA_6TensorESH_SH_EERKSH_lbbbEUlllE_EE10hipError_tT0_T1_T2_jT3_P12ihipStream_tbPNSt15iterator_traitsISN_E10value_typeEPNST_ISO_E10value_typeEPSP_NS1_7vsmem_tEENKUlT_SN_SO_SP_E_clIS8_S8_S9_S9_EESM_S12_SN_SO_SP_EUlS12_E0_NS1_11comp_targetILNS1_3genE9ELNS1_11target_archE1100ELNS1_3gpuE3ELNS1_3repE0EEENS1_38merge_mergepath_config_static_selectorELNS0_4arch9wavefront6targetE1EEEvSO_,"axG",@progbits,_ZN7rocprim17ROCPRIM_400000_NS6detail17trampoline_kernelINS0_14default_configENS1_38merge_sort_block_merge_config_selectorIlNS0_10empty_typeEEEZZNS1_27merge_sort_block_merge_implIS3_PlPS5_mZN2at6native12_GLOBAL__N_124unique_dim_cuda_templateIN3c108BFloat16EEESt5tupleIJNSA_6TensorESH_SH_EERKSH_lbbbEUlllE_EE10hipError_tT0_T1_T2_jT3_P12ihipStream_tbPNSt15iterator_traitsISN_E10value_typeEPNST_ISO_E10value_typeEPSP_NS1_7vsmem_tEENKUlT_SN_SO_SP_E_clIS8_S8_S9_S9_EESM_S12_SN_SO_SP_EUlS12_E0_NS1_11comp_targetILNS1_3genE9ELNS1_11target_archE1100ELNS1_3gpuE3ELNS1_3repE0EEENS1_38merge_mergepath_config_static_selectorELNS0_4arch9wavefront6targetE1EEEvSO_,comdat
.Lfunc_end1139:
	.size	_ZN7rocprim17ROCPRIM_400000_NS6detail17trampoline_kernelINS0_14default_configENS1_38merge_sort_block_merge_config_selectorIlNS0_10empty_typeEEEZZNS1_27merge_sort_block_merge_implIS3_PlPS5_mZN2at6native12_GLOBAL__N_124unique_dim_cuda_templateIN3c108BFloat16EEESt5tupleIJNSA_6TensorESH_SH_EERKSH_lbbbEUlllE_EE10hipError_tT0_T1_T2_jT3_P12ihipStream_tbPNSt15iterator_traitsISN_E10value_typeEPNST_ISO_E10value_typeEPSP_NS1_7vsmem_tEENKUlT_SN_SO_SP_E_clIS8_S8_S9_S9_EESM_S12_SN_SO_SP_EUlS12_E0_NS1_11comp_targetILNS1_3genE9ELNS1_11target_archE1100ELNS1_3gpuE3ELNS1_3repE0EEENS1_38merge_mergepath_config_static_selectorELNS0_4arch9wavefront6targetE1EEEvSO_, .Lfunc_end1139-_ZN7rocprim17ROCPRIM_400000_NS6detail17trampoline_kernelINS0_14default_configENS1_38merge_sort_block_merge_config_selectorIlNS0_10empty_typeEEEZZNS1_27merge_sort_block_merge_implIS3_PlPS5_mZN2at6native12_GLOBAL__N_124unique_dim_cuda_templateIN3c108BFloat16EEESt5tupleIJNSA_6TensorESH_SH_EERKSH_lbbbEUlllE_EE10hipError_tT0_T1_T2_jT3_P12ihipStream_tbPNSt15iterator_traitsISN_E10value_typeEPNST_ISO_E10value_typeEPSP_NS1_7vsmem_tEENKUlT_SN_SO_SP_E_clIS8_S8_S9_S9_EESM_S12_SN_SO_SP_EUlS12_E0_NS1_11comp_targetILNS1_3genE9ELNS1_11target_archE1100ELNS1_3gpuE3ELNS1_3repE0EEENS1_38merge_mergepath_config_static_selectorELNS0_4arch9wavefront6targetE1EEEvSO_
                                        ; -- End function
	.set _ZN7rocprim17ROCPRIM_400000_NS6detail17trampoline_kernelINS0_14default_configENS1_38merge_sort_block_merge_config_selectorIlNS0_10empty_typeEEEZZNS1_27merge_sort_block_merge_implIS3_PlPS5_mZN2at6native12_GLOBAL__N_124unique_dim_cuda_templateIN3c108BFloat16EEESt5tupleIJNSA_6TensorESH_SH_EERKSH_lbbbEUlllE_EE10hipError_tT0_T1_T2_jT3_P12ihipStream_tbPNSt15iterator_traitsISN_E10value_typeEPNST_ISO_E10value_typeEPSP_NS1_7vsmem_tEENKUlT_SN_SO_SP_E_clIS8_S8_S9_S9_EESM_S12_SN_SO_SP_EUlS12_E0_NS1_11comp_targetILNS1_3genE9ELNS1_11target_archE1100ELNS1_3gpuE3ELNS1_3repE0EEENS1_38merge_mergepath_config_static_selectorELNS0_4arch9wavefront6targetE1EEEvSO_.num_vgpr, 0
	.set _ZN7rocprim17ROCPRIM_400000_NS6detail17trampoline_kernelINS0_14default_configENS1_38merge_sort_block_merge_config_selectorIlNS0_10empty_typeEEEZZNS1_27merge_sort_block_merge_implIS3_PlPS5_mZN2at6native12_GLOBAL__N_124unique_dim_cuda_templateIN3c108BFloat16EEESt5tupleIJNSA_6TensorESH_SH_EERKSH_lbbbEUlllE_EE10hipError_tT0_T1_T2_jT3_P12ihipStream_tbPNSt15iterator_traitsISN_E10value_typeEPNST_ISO_E10value_typeEPSP_NS1_7vsmem_tEENKUlT_SN_SO_SP_E_clIS8_S8_S9_S9_EESM_S12_SN_SO_SP_EUlS12_E0_NS1_11comp_targetILNS1_3genE9ELNS1_11target_archE1100ELNS1_3gpuE3ELNS1_3repE0EEENS1_38merge_mergepath_config_static_selectorELNS0_4arch9wavefront6targetE1EEEvSO_.num_agpr, 0
	.set _ZN7rocprim17ROCPRIM_400000_NS6detail17trampoline_kernelINS0_14default_configENS1_38merge_sort_block_merge_config_selectorIlNS0_10empty_typeEEEZZNS1_27merge_sort_block_merge_implIS3_PlPS5_mZN2at6native12_GLOBAL__N_124unique_dim_cuda_templateIN3c108BFloat16EEESt5tupleIJNSA_6TensorESH_SH_EERKSH_lbbbEUlllE_EE10hipError_tT0_T1_T2_jT3_P12ihipStream_tbPNSt15iterator_traitsISN_E10value_typeEPNST_ISO_E10value_typeEPSP_NS1_7vsmem_tEENKUlT_SN_SO_SP_E_clIS8_S8_S9_S9_EESM_S12_SN_SO_SP_EUlS12_E0_NS1_11comp_targetILNS1_3genE9ELNS1_11target_archE1100ELNS1_3gpuE3ELNS1_3repE0EEENS1_38merge_mergepath_config_static_selectorELNS0_4arch9wavefront6targetE1EEEvSO_.numbered_sgpr, 0
	.set _ZN7rocprim17ROCPRIM_400000_NS6detail17trampoline_kernelINS0_14default_configENS1_38merge_sort_block_merge_config_selectorIlNS0_10empty_typeEEEZZNS1_27merge_sort_block_merge_implIS3_PlPS5_mZN2at6native12_GLOBAL__N_124unique_dim_cuda_templateIN3c108BFloat16EEESt5tupleIJNSA_6TensorESH_SH_EERKSH_lbbbEUlllE_EE10hipError_tT0_T1_T2_jT3_P12ihipStream_tbPNSt15iterator_traitsISN_E10value_typeEPNST_ISO_E10value_typeEPSP_NS1_7vsmem_tEENKUlT_SN_SO_SP_E_clIS8_S8_S9_S9_EESM_S12_SN_SO_SP_EUlS12_E0_NS1_11comp_targetILNS1_3genE9ELNS1_11target_archE1100ELNS1_3gpuE3ELNS1_3repE0EEENS1_38merge_mergepath_config_static_selectorELNS0_4arch9wavefront6targetE1EEEvSO_.num_named_barrier, 0
	.set _ZN7rocprim17ROCPRIM_400000_NS6detail17trampoline_kernelINS0_14default_configENS1_38merge_sort_block_merge_config_selectorIlNS0_10empty_typeEEEZZNS1_27merge_sort_block_merge_implIS3_PlPS5_mZN2at6native12_GLOBAL__N_124unique_dim_cuda_templateIN3c108BFloat16EEESt5tupleIJNSA_6TensorESH_SH_EERKSH_lbbbEUlllE_EE10hipError_tT0_T1_T2_jT3_P12ihipStream_tbPNSt15iterator_traitsISN_E10value_typeEPNST_ISO_E10value_typeEPSP_NS1_7vsmem_tEENKUlT_SN_SO_SP_E_clIS8_S8_S9_S9_EESM_S12_SN_SO_SP_EUlS12_E0_NS1_11comp_targetILNS1_3genE9ELNS1_11target_archE1100ELNS1_3gpuE3ELNS1_3repE0EEENS1_38merge_mergepath_config_static_selectorELNS0_4arch9wavefront6targetE1EEEvSO_.private_seg_size, 0
	.set _ZN7rocprim17ROCPRIM_400000_NS6detail17trampoline_kernelINS0_14default_configENS1_38merge_sort_block_merge_config_selectorIlNS0_10empty_typeEEEZZNS1_27merge_sort_block_merge_implIS3_PlPS5_mZN2at6native12_GLOBAL__N_124unique_dim_cuda_templateIN3c108BFloat16EEESt5tupleIJNSA_6TensorESH_SH_EERKSH_lbbbEUlllE_EE10hipError_tT0_T1_T2_jT3_P12ihipStream_tbPNSt15iterator_traitsISN_E10value_typeEPNST_ISO_E10value_typeEPSP_NS1_7vsmem_tEENKUlT_SN_SO_SP_E_clIS8_S8_S9_S9_EESM_S12_SN_SO_SP_EUlS12_E0_NS1_11comp_targetILNS1_3genE9ELNS1_11target_archE1100ELNS1_3gpuE3ELNS1_3repE0EEENS1_38merge_mergepath_config_static_selectorELNS0_4arch9wavefront6targetE1EEEvSO_.uses_vcc, 0
	.set _ZN7rocprim17ROCPRIM_400000_NS6detail17trampoline_kernelINS0_14default_configENS1_38merge_sort_block_merge_config_selectorIlNS0_10empty_typeEEEZZNS1_27merge_sort_block_merge_implIS3_PlPS5_mZN2at6native12_GLOBAL__N_124unique_dim_cuda_templateIN3c108BFloat16EEESt5tupleIJNSA_6TensorESH_SH_EERKSH_lbbbEUlllE_EE10hipError_tT0_T1_T2_jT3_P12ihipStream_tbPNSt15iterator_traitsISN_E10value_typeEPNST_ISO_E10value_typeEPSP_NS1_7vsmem_tEENKUlT_SN_SO_SP_E_clIS8_S8_S9_S9_EESM_S12_SN_SO_SP_EUlS12_E0_NS1_11comp_targetILNS1_3genE9ELNS1_11target_archE1100ELNS1_3gpuE3ELNS1_3repE0EEENS1_38merge_mergepath_config_static_selectorELNS0_4arch9wavefront6targetE1EEEvSO_.uses_flat_scratch, 0
	.set _ZN7rocprim17ROCPRIM_400000_NS6detail17trampoline_kernelINS0_14default_configENS1_38merge_sort_block_merge_config_selectorIlNS0_10empty_typeEEEZZNS1_27merge_sort_block_merge_implIS3_PlPS5_mZN2at6native12_GLOBAL__N_124unique_dim_cuda_templateIN3c108BFloat16EEESt5tupleIJNSA_6TensorESH_SH_EERKSH_lbbbEUlllE_EE10hipError_tT0_T1_T2_jT3_P12ihipStream_tbPNSt15iterator_traitsISN_E10value_typeEPNST_ISO_E10value_typeEPSP_NS1_7vsmem_tEENKUlT_SN_SO_SP_E_clIS8_S8_S9_S9_EESM_S12_SN_SO_SP_EUlS12_E0_NS1_11comp_targetILNS1_3genE9ELNS1_11target_archE1100ELNS1_3gpuE3ELNS1_3repE0EEENS1_38merge_mergepath_config_static_selectorELNS0_4arch9wavefront6targetE1EEEvSO_.has_dyn_sized_stack, 0
	.set _ZN7rocprim17ROCPRIM_400000_NS6detail17trampoline_kernelINS0_14default_configENS1_38merge_sort_block_merge_config_selectorIlNS0_10empty_typeEEEZZNS1_27merge_sort_block_merge_implIS3_PlPS5_mZN2at6native12_GLOBAL__N_124unique_dim_cuda_templateIN3c108BFloat16EEESt5tupleIJNSA_6TensorESH_SH_EERKSH_lbbbEUlllE_EE10hipError_tT0_T1_T2_jT3_P12ihipStream_tbPNSt15iterator_traitsISN_E10value_typeEPNST_ISO_E10value_typeEPSP_NS1_7vsmem_tEENKUlT_SN_SO_SP_E_clIS8_S8_S9_S9_EESM_S12_SN_SO_SP_EUlS12_E0_NS1_11comp_targetILNS1_3genE9ELNS1_11target_archE1100ELNS1_3gpuE3ELNS1_3repE0EEENS1_38merge_mergepath_config_static_selectorELNS0_4arch9wavefront6targetE1EEEvSO_.has_recursion, 0
	.set _ZN7rocprim17ROCPRIM_400000_NS6detail17trampoline_kernelINS0_14default_configENS1_38merge_sort_block_merge_config_selectorIlNS0_10empty_typeEEEZZNS1_27merge_sort_block_merge_implIS3_PlPS5_mZN2at6native12_GLOBAL__N_124unique_dim_cuda_templateIN3c108BFloat16EEESt5tupleIJNSA_6TensorESH_SH_EERKSH_lbbbEUlllE_EE10hipError_tT0_T1_T2_jT3_P12ihipStream_tbPNSt15iterator_traitsISN_E10value_typeEPNST_ISO_E10value_typeEPSP_NS1_7vsmem_tEENKUlT_SN_SO_SP_E_clIS8_S8_S9_S9_EESM_S12_SN_SO_SP_EUlS12_E0_NS1_11comp_targetILNS1_3genE9ELNS1_11target_archE1100ELNS1_3gpuE3ELNS1_3repE0EEENS1_38merge_mergepath_config_static_selectorELNS0_4arch9wavefront6targetE1EEEvSO_.has_indirect_call, 0
	.section	.AMDGPU.csdata,"",@progbits
; Kernel info:
; codeLenInByte = 0
; TotalNumSgprs: 6
; NumVgprs: 0
; NumAgprs: 0
; TotalNumVgprs: 0
; ScratchSize: 0
; MemoryBound: 0
; FloatMode: 240
; IeeeMode: 1
; LDSByteSize: 0 bytes/workgroup (compile time only)
; SGPRBlocks: 0
; VGPRBlocks: 0
; NumSGPRsForWavesPerEU: 6
; NumVGPRsForWavesPerEU: 1
; AccumOffset: 4
; Occupancy: 8
; WaveLimiterHint : 0
; COMPUTE_PGM_RSRC2:SCRATCH_EN: 0
; COMPUTE_PGM_RSRC2:USER_SGPR: 2
; COMPUTE_PGM_RSRC2:TRAP_HANDLER: 0
; COMPUTE_PGM_RSRC2:TGID_X_EN: 1
; COMPUTE_PGM_RSRC2:TGID_Y_EN: 0
; COMPUTE_PGM_RSRC2:TGID_Z_EN: 0
; COMPUTE_PGM_RSRC2:TIDIG_COMP_CNT: 0
; COMPUTE_PGM_RSRC3_GFX90A:ACCUM_OFFSET: 0
; COMPUTE_PGM_RSRC3_GFX90A:TG_SPLIT: 0
	.section	.text._ZN7rocprim17ROCPRIM_400000_NS6detail17trampoline_kernelINS0_14default_configENS1_38merge_sort_block_merge_config_selectorIlNS0_10empty_typeEEEZZNS1_27merge_sort_block_merge_implIS3_PlPS5_mZN2at6native12_GLOBAL__N_124unique_dim_cuda_templateIN3c108BFloat16EEESt5tupleIJNSA_6TensorESH_SH_EERKSH_lbbbEUlllE_EE10hipError_tT0_T1_T2_jT3_P12ihipStream_tbPNSt15iterator_traitsISN_E10value_typeEPNST_ISO_E10value_typeEPSP_NS1_7vsmem_tEENKUlT_SN_SO_SP_E_clIS8_S8_S9_S9_EESM_S12_SN_SO_SP_EUlS12_E0_NS1_11comp_targetILNS1_3genE8ELNS1_11target_archE1030ELNS1_3gpuE2ELNS1_3repE0EEENS1_38merge_mergepath_config_static_selectorELNS0_4arch9wavefront6targetE1EEEvSO_,"axG",@progbits,_ZN7rocprim17ROCPRIM_400000_NS6detail17trampoline_kernelINS0_14default_configENS1_38merge_sort_block_merge_config_selectorIlNS0_10empty_typeEEEZZNS1_27merge_sort_block_merge_implIS3_PlPS5_mZN2at6native12_GLOBAL__N_124unique_dim_cuda_templateIN3c108BFloat16EEESt5tupleIJNSA_6TensorESH_SH_EERKSH_lbbbEUlllE_EE10hipError_tT0_T1_T2_jT3_P12ihipStream_tbPNSt15iterator_traitsISN_E10value_typeEPNST_ISO_E10value_typeEPSP_NS1_7vsmem_tEENKUlT_SN_SO_SP_E_clIS8_S8_S9_S9_EESM_S12_SN_SO_SP_EUlS12_E0_NS1_11comp_targetILNS1_3genE8ELNS1_11target_archE1030ELNS1_3gpuE2ELNS1_3repE0EEENS1_38merge_mergepath_config_static_selectorELNS0_4arch9wavefront6targetE1EEEvSO_,comdat
	.globl	_ZN7rocprim17ROCPRIM_400000_NS6detail17trampoline_kernelINS0_14default_configENS1_38merge_sort_block_merge_config_selectorIlNS0_10empty_typeEEEZZNS1_27merge_sort_block_merge_implIS3_PlPS5_mZN2at6native12_GLOBAL__N_124unique_dim_cuda_templateIN3c108BFloat16EEESt5tupleIJNSA_6TensorESH_SH_EERKSH_lbbbEUlllE_EE10hipError_tT0_T1_T2_jT3_P12ihipStream_tbPNSt15iterator_traitsISN_E10value_typeEPNST_ISO_E10value_typeEPSP_NS1_7vsmem_tEENKUlT_SN_SO_SP_E_clIS8_S8_S9_S9_EESM_S12_SN_SO_SP_EUlS12_E0_NS1_11comp_targetILNS1_3genE8ELNS1_11target_archE1030ELNS1_3gpuE2ELNS1_3repE0EEENS1_38merge_mergepath_config_static_selectorELNS0_4arch9wavefront6targetE1EEEvSO_ ; -- Begin function _ZN7rocprim17ROCPRIM_400000_NS6detail17trampoline_kernelINS0_14default_configENS1_38merge_sort_block_merge_config_selectorIlNS0_10empty_typeEEEZZNS1_27merge_sort_block_merge_implIS3_PlPS5_mZN2at6native12_GLOBAL__N_124unique_dim_cuda_templateIN3c108BFloat16EEESt5tupleIJNSA_6TensorESH_SH_EERKSH_lbbbEUlllE_EE10hipError_tT0_T1_T2_jT3_P12ihipStream_tbPNSt15iterator_traitsISN_E10value_typeEPNST_ISO_E10value_typeEPSP_NS1_7vsmem_tEENKUlT_SN_SO_SP_E_clIS8_S8_S9_S9_EESM_S12_SN_SO_SP_EUlS12_E0_NS1_11comp_targetILNS1_3genE8ELNS1_11target_archE1030ELNS1_3gpuE2ELNS1_3repE0EEENS1_38merge_mergepath_config_static_selectorELNS0_4arch9wavefront6targetE1EEEvSO_
	.p2align	8
	.type	_ZN7rocprim17ROCPRIM_400000_NS6detail17trampoline_kernelINS0_14default_configENS1_38merge_sort_block_merge_config_selectorIlNS0_10empty_typeEEEZZNS1_27merge_sort_block_merge_implIS3_PlPS5_mZN2at6native12_GLOBAL__N_124unique_dim_cuda_templateIN3c108BFloat16EEESt5tupleIJNSA_6TensorESH_SH_EERKSH_lbbbEUlllE_EE10hipError_tT0_T1_T2_jT3_P12ihipStream_tbPNSt15iterator_traitsISN_E10value_typeEPNST_ISO_E10value_typeEPSP_NS1_7vsmem_tEENKUlT_SN_SO_SP_E_clIS8_S8_S9_S9_EESM_S12_SN_SO_SP_EUlS12_E0_NS1_11comp_targetILNS1_3genE8ELNS1_11target_archE1030ELNS1_3gpuE2ELNS1_3repE0EEENS1_38merge_mergepath_config_static_selectorELNS0_4arch9wavefront6targetE1EEEvSO_,@function
_ZN7rocprim17ROCPRIM_400000_NS6detail17trampoline_kernelINS0_14default_configENS1_38merge_sort_block_merge_config_selectorIlNS0_10empty_typeEEEZZNS1_27merge_sort_block_merge_implIS3_PlPS5_mZN2at6native12_GLOBAL__N_124unique_dim_cuda_templateIN3c108BFloat16EEESt5tupleIJNSA_6TensorESH_SH_EERKSH_lbbbEUlllE_EE10hipError_tT0_T1_T2_jT3_P12ihipStream_tbPNSt15iterator_traitsISN_E10value_typeEPNST_ISO_E10value_typeEPSP_NS1_7vsmem_tEENKUlT_SN_SO_SP_E_clIS8_S8_S9_S9_EESM_S12_SN_SO_SP_EUlS12_E0_NS1_11comp_targetILNS1_3genE8ELNS1_11target_archE1030ELNS1_3gpuE2ELNS1_3repE0EEENS1_38merge_mergepath_config_static_selectorELNS0_4arch9wavefront6targetE1EEEvSO_: ; @_ZN7rocprim17ROCPRIM_400000_NS6detail17trampoline_kernelINS0_14default_configENS1_38merge_sort_block_merge_config_selectorIlNS0_10empty_typeEEEZZNS1_27merge_sort_block_merge_implIS3_PlPS5_mZN2at6native12_GLOBAL__N_124unique_dim_cuda_templateIN3c108BFloat16EEESt5tupleIJNSA_6TensorESH_SH_EERKSH_lbbbEUlllE_EE10hipError_tT0_T1_T2_jT3_P12ihipStream_tbPNSt15iterator_traitsISN_E10value_typeEPNST_ISO_E10value_typeEPSP_NS1_7vsmem_tEENKUlT_SN_SO_SP_E_clIS8_S8_S9_S9_EESM_S12_SN_SO_SP_EUlS12_E0_NS1_11comp_targetILNS1_3genE8ELNS1_11target_archE1030ELNS1_3gpuE2ELNS1_3repE0EEENS1_38merge_mergepath_config_static_selectorELNS0_4arch9wavefront6targetE1EEEvSO_
; %bb.0:
	.section	.rodata,"a",@progbits
	.p2align	6, 0x0
	.amdhsa_kernel _ZN7rocprim17ROCPRIM_400000_NS6detail17trampoline_kernelINS0_14default_configENS1_38merge_sort_block_merge_config_selectorIlNS0_10empty_typeEEEZZNS1_27merge_sort_block_merge_implIS3_PlPS5_mZN2at6native12_GLOBAL__N_124unique_dim_cuda_templateIN3c108BFloat16EEESt5tupleIJNSA_6TensorESH_SH_EERKSH_lbbbEUlllE_EE10hipError_tT0_T1_T2_jT3_P12ihipStream_tbPNSt15iterator_traitsISN_E10value_typeEPNST_ISO_E10value_typeEPSP_NS1_7vsmem_tEENKUlT_SN_SO_SP_E_clIS8_S8_S9_S9_EESM_S12_SN_SO_SP_EUlS12_E0_NS1_11comp_targetILNS1_3genE8ELNS1_11target_archE1030ELNS1_3gpuE2ELNS1_3repE0EEENS1_38merge_mergepath_config_static_selectorELNS0_4arch9wavefront6targetE1EEEvSO_
		.amdhsa_group_segment_fixed_size 0
		.amdhsa_private_segment_fixed_size 0
		.amdhsa_kernarg_size 88
		.amdhsa_user_sgpr_count 2
		.amdhsa_user_sgpr_dispatch_ptr 0
		.amdhsa_user_sgpr_queue_ptr 0
		.amdhsa_user_sgpr_kernarg_segment_ptr 1
		.amdhsa_user_sgpr_dispatch_id 0
		.amdhsa_user_sgpr_kernarg_preload_length 0
		.amdhsa_user_sgpr_kernarg_preload_offset 0
		.amdhsa_user_sgpr_private_segment_size 0
		.amdhsa_uses_dynamic_stack 0
		.amdhsa_enable_private_segment 0
		.amdhsa_system_sgpr_workgroup_id_x 1
		.amdhsa_system_sgpr_workgroup_id_y 0
		.amdhsa_system_sgpr_workgroup_id_z 0
		.amdhsa_system_sgpr_workgroup_info 0
		.amdhsa_system_vgpr_workitem_id 0
		.amdhsa_next_free_vgpr 1
		.amdhsa_next_free_sgpr 0
		.amdhsa_accum_offset 4
		.amdhsa_reserve_vcc 0
		.amdhsa_float_round_mode_32 0
		.amdhsa_float_round_mode_16_64 0
		.amdhsa_float_denorm_mode_32 3
		.amdhsa_float_denorm_mode_16_64 3
		.amdhsa_dx10_clamp 1
		.amdhsa_ieee_mode 1
		.amdhsa_fp16_overflow 0
		.amdhsa_tg_split 0
		.amdhsa_exception_fp_ieee_invalid_op 0
		.amdhsa_exception_fp_denorm_src 0
		.amdhsa_exception_fp_ieee_div_zero 0
		.amdhsa_exception_fp_ieee_overflow 0
		.amdhsa_exception_fp_ieee_underflow 0
		.amdhsa_exception_fp_ieee_inexact 0
		.amdhsa_exception_int_div_zero 0
	.end_amdhsa_kernel
	.section	.text._ZN7rocprim17ROCPRIM_400000_NS6detail17trampoline_kernelINS0_14default_configENS1_38merge_sort_block_merge_config_selectorIlNS0_10empty_typeEEEZZNS1_27merge_sort_block_merge_implIS3_PlPS5_mZN2at6native12_GLOBAL__N_124unique_dim_cuda_templateIN3c108BFloat16EEESt5tupleIJNSA_6TensorESH_SH_EERKSH_lbbbEUlllE_EE10hipError_tT0_T1_T2_jT3_P12ihipStream_tbPNSt15iterator_traitsISN_E10value_typeEPNST_ISO_E10value_typeEPSP_NS1_7vsmem_tEENKUlT_SN_SO_SP_E_clIS8_S8_S9_S9_EESM_S12_SN_SO_SP_EUlS12_E0_NS1_11comp_targetILNS1_3genE8ELNS1_11target_archE1030ELNS1_3gpuE2ELNS1_3repE0EEENS1_38merge_mergepath_config_static_selectorELNS0_4arch9wavefront6targetE1EEEvSO_,"axG",@progbits,_ZN7rocprim17ROCPRIM_400000_NS6detail17trampoline_kernelINS0_14default_configENS1_38merge_sort_block_merge_config_selectorIlNS0_10empty_typeEEEZZNS1_27merge_sort_block_merge_implIS3_PlPS5_mZN2at6native12_GLOBAL__N_124unique_dim_cuda_templateIN3c108BFloat16EEESt5tupleIJNSA_6TensorESH_SH_EERKSH_lbbbEUlllE_EE10hipError_tT0_T1_T2_jT3_P12ihipStream_tbPNSt15iterator_traitsISN_E10value_typeEPNST_ISO_E10value_typeEPSP_NS1_7vsmem_tEENKUlT_SN_SO_SP_E_clIS8_S8_S9_S9_EESM_S12_SN_SO_SP_EUlS12_E0_NS1_11comp_targetILNS1_3genE8ELNS1_11target_archE1030ELNS1_3gpuE2ELNS1_3repE0EEENS1_38merge_mergepath_config_static_selectorELNS0_4arch9wavefront6targetE1EEEvSO_,comdat
.Lfunc_end1140:
	.size	_ZN7rocprim17ROCPRIM_400000_NS6detail17trampoline_kernelINS0_14default_configENS1_38merge_sort_block_merge_config_selectorIlNS0_10empty_typeEEEZZNS1_27merge_sort_block_merge_implIS3_PlPS5_mZN2at6native12_GLOBAL__N_124unique_dim_cuda_templateIN3c108BFloat16EEESt5tupleIJNSA_6TensorESH_SH_EERKSH_lbbbEUlllE_EE10hipError_tT0_T1_T2_jT3_P12ihipStream_tbPNSt15iterator_traitsISN_E10value_typeEPNST_ISO_E10value_typeEPSP_NS1_7vsmem_tEENKUlT_SN_SO_SP_E_clIS8_S8_S9_S9_EESM_S12_SN_SO_SP_EUlS12_E0_NS1_11comp_targetILNS1_3genE8ELNS1_11target_archE1030ELNS1_3gpuE2ELNS1_3repE0EEENS1_38merge_mergepath_config_static_selectorELNS0_4arch9wavefront6targetE1EEEvSO_, .Lfunc_end1140-_ZN7rocprim17ROCPRIM_400000_NS6detail17trampoline_kernelINS0_14default_configENS1_38merge_sort_block_merge_config_selectorIlNS0_10empty_typeEEEZZNS1_27merge_sort_block_merge_implIS3_PlPS5_mZN2at6native12_GLOBAL__N_124unique_dim_cuda_templateIN3c108BFloat16EEESt5tupleIJNSA_6TensorESH_SH_EERKSH_lbbbEUlllE_EE10hipError_tT0_T1_T2_jT3_P12ihipStream_tbPNSt15iterator_traitsISN_E10value_typeEPNST_ISO_E10value_typeEPSP_NS1_7vsmem_tEENKUlT_SN_SO_SP_E_clIS8_S8_S9_S9_EESM_S12_SN_SO_SP_EUlS12_E0_NS1_11comp_targetILNS1_3genE8ELNS1_11target_archE1030ELNS1_3gpuE2ELNS1_3repE0EEENS1_38merge_mergepath_config_static_selectorELNS0_4arch9wavefront6targetE1EEEvSO_
                                        ; -- End function
	.set _ZN7rocprim17ROCPRIM_400000_NS6detail17trampoline_kernelINS0_14default_configENS1_38merge_sort_block_merge_config_selectorIlNS0_10empty_typeEEEZZNS1_27merge_sort_block_merge_implIS3_PlPS5_mZN2at6native12_GLOBAL__N_124unique_dim_cuda_templateIN3c108BFloat16EEESt5tupleIJNSA_6TensorESH_SH_EERKSH_lbbbEUlllE_EE10hipError_tT0_T1_T2_jT3_P12ihipStream_tbPNSt15iterator_traitsISN_E10value_typeEPNST_ISO_E10value_typeEPSP_NS1_7vsmem_tEENKUlT_SN_SO_SP_E_clIS8_S8_S9_S9_EESM_S12_SN_SO_SP_EUlS12_E0_NS1_11comp_targetILNS1_3genE8ELNS1_11target_archE1030ELNS1_3gpuE2ELNS1_3repE0EEENS1_38merge_mergepath_config_static_selectorELNS0_4arch9wavefront6targetE1EEEvSO_.num_vgpr, 0
	.set _ZN7rocprim17ROCPRIM_400000_NS6detail17trampoline_kernelINS0_14default_configENS1_38merge_sort_block_merge_config_selectorIlNS0_10empty_typeEEEZZNS1_27merge_sort_block_merge_implIS3_PlPS5_mZN2at6native12_GLOBAL__N_124unique_dim_cuda_templateIN3c108BFloat16EEESt5tupleIJNSA_6TensorESH_SH_EERKSH_lbbbEUlllE_EE10hipError_tT0_T1_T2_jT3_P12ihipStream_tbPNSt15iterator_traitsISN_E10value_typeEPNST_ISO_E10value_typeEPSP_NS1_7vsmem_tEENKUlT_SN_SO_SP_E_clIS8_S8_S9_S9_EESM_S12_SN_SO_SP_EUlS12_E0_NS1_11comp_targetILNS1_3genE8ELNS1_11target_archE1030ELNS1_3gpuE2ELNS1_3repE0EEENS1_38merge_mergepath_config_static_selectorELNS0_4arch9wavefront6targetE1EEEvSO_.num_agpr, 0
	.set _ZN7rocprim17ROCPRIM_400000_NS6detail17trampoline_kernelINS0_14default_configENS1_38merge_sort_block_merge_config_selectorIlNS0_10empty_typeEEEZZNS1_27merge_sort_block_merge_implIS3_PlPS5_mZN2at6native12_GLOBAL__N_124unique_dim_cuda_templateIN3c108BFloat16EEESt5tupleIJNSA_6TensorESH_SH_EERKSH_lbbbEUlllE_EE10hipError_tT0_T1_T2_jT3_P12ihipStream_tbPNSt15iterator_traitsISN_E10value_typeEPNST_ISO_E10value_typeEPSP_NS1_7vsmem_tEENKUlT_SN_SO_SP_E_clIS8_S8_S9_S9_EESM_S12_SN_SO_SP_EUlS12_E0_NS1_11comp_targetILNS1_3genE8ELNS1_11target_archE1030ELNS1_3gpuE2ELNS1_3repE0EEENS1_38merge_mergepath_config_static_selectorELNS0_4arch9wavefront6targetE1EEEvSO_.numbered_sgpr, 0
	.set _ZN7rocprim17ROCPRIM_400000_NS6detail17trampoline_kernelINS0_14default_configENS1_38merge_sort_block_merge_config_selectorIlNS0_10empty_typeEEEZZNS1_27merge_sort_block_merge_implIS3_PlPS5_mZN2at6native12_GLOBAL__N_124unique_dim_cuda_templateIN3c108BFloat16EEESt5tupleIJNSA_6TensorESH_SH_EERKSH_lbbbEUlllE_EE10hipError_tT0_T1_T2_jT3_P12ihipStream_tbPNSt15iterator_traitsISN_E10value_typeEPNST_ISO_E10value_typeEPSP_NS1_7vsmem_tEENKUlT_SN_SO_SP_E_clIS8_S8_S9_S9_EESM_S12_SN_SO_SP_EUlS12_E0_NS1_11comp_targetILNS1_3genE8ELNS1_11target_archE1030ELNS1_3gpuE2ELNS1_3repE0EEENS1_38merge_mergepath_config_static_selectorELNS0_4arch9wavefront6targetE1EEEvSO_.num_named_barrier, 0
	.set _ZN7rocprim17ROCPRIM_400000_NS6detail17trampoline_kernelINS0_14default_configENS1_38merge_sort_block_merge_config_selectorIlNS0_10empty_typeEEEZZNS1_27merge_sort_block_merge_implIS3_PlPS5_mZN2at6native12_GLOBAL__N_124unique_dim_cuda_templateIN3c108BFloat16EEESt5tupleIJNSA_6TensorESH_SH_EERKSH_lbbbEUlllE_EE10hipError_tT0_T1_T2_jT3_P12ihipStream_tbPNSt15iterator_traitsISN_E10value_typeEPNST_ISO_E10value_typeEPSP_NS1_7vsmem_tEENKUlT_SN_SO_SP_E_clIS8_S8_S9_S9_EESM_S12_SN_SO_SP_EUlS12_E0_NS1_11comp_targetILNS1_3genE8ELNS1_11target_archE1030ELNS1_3gpuE2ELNS1_3repE0EEENS1_38merge_mergepath_config_static_selectorELNS0_4arch9wavefront6targetE1EEEvSO_.private_seg_size, 0
	.set _ZN7rocprim17ROCPRIM_400000_NS6detail17trampoline_kernelINS0_14default_configENS1_38merge_sort_block_merge_config_selectorIlNS0_10empty_typeEEEZZNS1_27merge_sort_block_merge_implIS3_PlPS5_mZN2at6native12_GLOBAL__N_124unique_dim_cuda_templateIN3c108BFloat16EEESt5tupleIJNSA_6TensorESH_SH_EERKSH_lbbbEUlllE_EE10hipError_tT0_T1_T2_jT3_P12ihipStream_tbPNSt15iterator_traitsISN_E10value_typeEPNST_ISO_E10value_typeEPSP_NS1_7vsmem_tEENKUlT_SN_SO_SP_E_clIS8_S8_S9_S9_EESM_S12_SN_SO_SP_EUlS12_E0_NS1_11comp_targetILNS1_3genE8ELNS1_11target_archE1030ELNS1_3gpuE2ELNS1_3repE0EEENS1_38merge_mergepath_config_static_selectorELNS0_4arch9wavefront6targetE1EEEvSO_.uses_vcc, 0
	.set _ZN7rocprim17ROCPRIM_400000_NS6detail17trampoline_kernelINS0_14default_configENS1_38merge_sort_block_merge_config_selectorIlNS0_10empty_typeEEEZZNS1_27merge_sort_block_merge_implIS3_PlPS5_mZN2at6native12_GLOBAL__N_124unique_dim_cuda_templateIN3c108BFloat16EEESt5tupleIJNSA_6TensorESH_SH_EERKSH_lbbbEUlllE_EE10hipError_tT0_T1_T2_jT3_P12ihipStream_tbPNSt15iterator_traitsISN_E10value_typeEPNST_ISO_E10value_typeEPSP_NS1_7vsmem_tEENKUlT_SN_SO_SP_E_clIS8_S8_S9_S9_EESM_S12_SN_SO_SP_EUlS12_E0_NS1_11comp_targetILNS1_3genE8ELNS1_11target_archE1030ELNS1_3gpuE2ELNS1_3repE0EEENS1_38merge_mergepath_config_static_selectorELNS0_4arch9wavefront6targetE1EEEvSO_.uses_flat_scratch, 0
	.set _ZN7rocprim17ROCPRIM_400000_NS6detail17trampoline_kernelINS0_14default_configENS1_38merge_sort_block_merge_config_selectorIlNS0_10empty_typeEEEZZNS1_27merge_sort_block_merge_implIS3_PlPS5_mZN2at6native12_GLOBAL__N_124unique_dim_cuda_templateIN3c108BFloat16EEESt5tupleIJNSA_6TensorESH_SH_EERKSH_lbbbEUlllE_EE10hipError_tT0_T1_T2_jT3_P12ihipStream_tbPNSt15iterator_traitsISN_E10value_typeEPNST_ISO_E10value_typeEPSP_NS1_7vsmem_tEENKUlT_SN_SO_SP_E_clIS8_S8_S9_S9_EESM_S12_SN_SO_SP_EUlS12_E0_NS1_11comp_targetILNS1_3genE8ELNS1_11target_archE1030ELNS1_3gpuE2ELNS1_3repE0EEENS1_38merge_mergepath_config_static_selectorELNS0_4arch9wavefront6targetE1EEEvSO_.has_dyn_sized_stack, 0
	.set _ZN7rocprim17ROCPRIM_400000_NS6detail17trampoline_kernelINS0_14default_configENS1_38merge_sort_block_merge_config_selectorIlNS0_10empty_typeEEEZZNS1_27merge_sort_block_merge_implIS3_PlPS5_mZN2at6native12_GLOBAL__N_124unique_dim_cuda_templateIN3c108BFloat16EEESt5tupleIJNSA_6TensorESH_SH_EERKSH_lbbbEUlllE_EE10hipError_tT0_T1_T2_jT3_P12ihipStream_tbPNSt15iterator_traitsISN_E10value_typeEPNST_ISO_E10value_typeEPSP_NS1_7vsmem_tEENKUlT_SN_SO_SP_E_clIS8_S8_S9_S9_EESM_S12_SN_SO_SP_EUlS12_E0_NS1_11comp_targetILNS1_3genE8ELNS1_11target_archE1030ELNS1_3gpuE2ELNS1_3repE0EEENS1_38merge_mergepath_config_static_selectorELNS0_4arch9wavefront6targetE1EEEvSO_.has_recursion, 0
	.set _ZN7rocprim17ROCPRIM_400000_NS6detail17trampoline_kernelINS0_14default_configENS1_38merge_sort_block_merge_config_selectorIlNS0_10empty_typeEEEZZNS1_27merge_sort_block_merge_implIS3_PlPS5_mZN2at6native12_GLOBAL__N_124unique_dim_cuda_templateIN3c108BFloat16EEESt5tupleIJNSA_6TensorESH_SH_EERKSH_lbbbEUlllE_EE10hipError_tT0_T1_T2_jT3_P12ihipStream_tbPNSt15iterator_traitsISN_E10value_typeEPNST_ISO_E10value_typeEPSP_NS1_7vsmem_tEENKUlT_SN_SO_SP_E_clIS8_S8_S9_S9_EESM_S12_SN_SO_SP_EUlS12_E0_NS1_11comp_targetILNS1_3genE8ELNS1_11target_archE1030ELNS1_3gpuE2ELNS1_3repE0EEENS1_38merge_mergepath_config_static_selectorELNS0_4arch9wavefront6targetE1EEEvSO_.has_indirect_call, 0
	.section	.AMDGPU.csdata,"",@progbits
; Kernel info:
; codeLenInByte = 0
; TotalNumSgprs: 6
; NumVgprs: 0
; NumAgprs: 0
; TotalNumVgprs: 0
; ScratchSize: 0
; MemoryBound: 0
; FloatMode: 240
; IeeeMode: 1
; LDSByteSize: 0 bytes/workgroup (compile time only)
; SGPRBlocks: 0
; VGPRBlocks: 0
; NumSGPRsForWavesPerEU: 6
; NumVGPRsForWavesPerEU: 1
; AccumOffset: 4
; Occupancy: 8
; WaveLimiterHint : 0
; COMPUTE_PGM_RSRC2:SCRATCH_EN: 0
; COMPUTE_PGM_RSRC2:USER_SGPR: 2
; COMPUTE_PGM_RSRC2:TRAP_HANDLER: 0
; COMPUTE_PGM_RSRC2:TGID_X_EN: 1
; COMPUTE_PGM_RSRC2:TGID_Y_EN: 0
; COMPUTE_PGM_RSRC2:TGID_Z_EN: 0
; COMPUTE_PGM_RSRC2:TIDIG_COMP_CNT: 0
; COMPUTE_PGM_RSRC3_GFX90A:ACCUM_OFFSET: 0
; COMPUTE_PGM_RSRC3_GFX90A:TG_SPLIT: 0
	.section	.text._ZN7rocprim17ROCPRIM_400000_NS6detail17trampoline_kernelINS0_14default_configENS1_38merge_sort_block_merge_config_selectorIlNS0_10empty_typeEEEZZNS1_27merge_sort_block_merge_implIS3_PlPS5_mZN2at6native12_GLOBAL__N_124unique_dim_cuda_templateIN3c108BFloat16EEESt5tupleIJNSA_6TensorESH_SH_EERKSH_lbbbEUlllE_EE10hipError_tT0_T1_T2_jT3_P12ihipStream_tbPNSt15iterator_traitsISN_E10value_typeEPNST_ISO_E10value_typeEPSP_NS1_7vsmem_tEENKUlT_SN_SO_SP_E_clIS8_S8_S9_S9_EESM_S12_SN_SO_SP_EUlS12_E1_NS1_11comp_targetILNS1_3genE0ELNS1_11target_archE4294967295ELNS1_3gpuE0ELNS1_3repE0EEENS1_36merge_oddeven_config_static_selectorELNS0_4arch9wavefront6targetE1EEEvSO_,"axG",@progbits,_ZN7rocprim17ROCPRIM_400000_NS6detail17trampoline_kernelINS0_14default_configENS1_38merge_sort_block_merge_config_selectorIlNS0_10empty_typeEEEZZNS1_27merge_sort_block_merge_implIS3_PlPS5_mZN2at6native12_GLOBAL__N_124unique_dim_cuda_templateIN3c108BFloat16EEESt5tupleIJNSA_6TensorESH_SH_EERKSH_lbbbEUlllE_EE10hipError_tT0_T1_T2_jT3_P12ihipStream_tbPNSt15iterator_traitsISN_E10value_typeEPNST_ISO_E10value_typeEPSP_NS1_7vsmem_tEENKUlT_SN_SO_SP_E_clIS8_S8_S9_S9_EESM_S12_SN_SO_SP_EUlS12_E1_NS1_11comp_targetILNS1_3genE0ELNS1_11target_archE4294967295ELNS1_3gpuE0ELNS1_3repE0EEENS1_36merge_oddeven_config_static_selectorELNS0_4arch9wavefront6targetE1EEEvSO_,comdat
	.globl	_ZN7rocprim17ROCPRIM_400000_NS6detail17trampoline_kernelINS0_14default_configENS1_38merge_sort_block_merge_config_selectorIlNS0_10empty_typeEEEZZNS1_27merge_sort_block_merge_implIS3_PlPS5_mZN2at6native12_GLOBAL__N_124unique_dim_cuda_templateIN3c108BFloat16EEESt5tupleIJNSA_6TensorESH_SH_EERKSH_lbbbEUlllE_EE10hipError_tT0_T1_T2_jT3_P12ihipStream_tbPNSt15iterator_traitsISN_E10value_typeEPNST_ISO_E10value_typeEPSP_NS1_7vsmem_tEENKUlT_SN_SO_SP_E_clIS8_S8_S9_S9_EESM_S12_SN_SO_SP_EUlS12_E1_NS1_11comp_targetILNS1_3genE0ELNS1_11target_archE4294967295ELNS1_3gpuE0ELNS1_3repE0EEENS1_36merge_oddeven_config_static_selectorELNS0_4arch9wavefront6targetE1EEEvSO_ ; -- Begin function _ZN7rocprim17ROCPRIM_400000_NS6detail17trampoline_kernelINS0_14default_configENS1_38merge_sort_block_merge_config_selectorIlNS0_10empty_typeEEEZZNS1_27merge_sort_block_merge_implIS3_PlPS5_mZN2at6native12_GLOBAL__N_124unique_dim_cuda_templateIN3c108BFloat16EEESt5tupleIJNSA_6TensorESH_SH_EERKSH_lbbbEUlllE_EE10hipError_tT0_T1_T2_jT3_P12ihipStream_tbPNSt15iterator_traitsISN_E10value_typeEPNST_ISO_E10value_typeEPSP_NS1_7vsmem_tEENKUlT_SN_SO_SP_E_clIS8_S8_S9_S9_EESM_S12_SN_SO_SP_EUlS12_E1_NS1_11comp_targetILNS1_3genE0ELNS1_11target_archE4294967295ELNS1_3gpuE0ELNS1_3repE0EEENS1_36merge_oddeven_config_static_selectorELNS0_4arch9wavefront6targetE1EEEvSO_
	.p2align	8
	.type	_ZN7rocprim17ROCPRIM_400000_NS6detail17trampoline_kernelINS0_14default_configENS1_38merge_sort_block_merge_config_selectorIlNS0_10empty_typeEEEZZNS1_27merge_sort_block_merge_implIS3_PlPS5_mZN2at6native12_GLOBAL__N_124unique_dim_cuda_templateIN3c108BFloat16EEESt5tupleIJNSA_6TensorESH_SH_EERKSH_lbbbEUlllE_EE10hipError_tT0_T1_T2_jT3_P12ihipStream_tbPNSt15iterator_traitsISN_E10value_typeEPNST_ISO_E10value_typeEPSP_NS1_7vsmem_tEENKUlT_SN_SO_SP_E_clIS8_S8_S9_S9_EESM_S12_SN_SO_SP_EUlS12_E1_NS1_11comp_targetILNS1_3genE0ELNS1_11target_archE4294967295ELNS1_3gpuE0ELNS1_3repE0EEENS1_36merge_oddeven_config_static_selectorELNS0_4arch9wavefront6targetE1EEEvSO_,@function
_ZN7rocprim17ROCPRIM_400000_NS6detail17trampoline_kernelINS0_14default_configENS1_38merge_sort_block_merge_config_selectorIlNS0_10empty_typeEEEZZNS1_27merge_sort_block_merge_implIS3_PlPS5_mZN2at6native12_GLOBAL__N_124unique_dim_cuda_templateIN3c108BFloat16EEESt5tupleIJNSA_6TensorESH_SH_EERKSH_lbbbEUlllE_EE10hipError_tT0_T1_T2_jT3_P12ihipStream_tbPNSt15iterator_traitsISN_E10value_typeEPNST_ISO_E10value_typeEPSP_NS1_7vsmem_tEENKUlT_SN_SO_SP_E_clIS8_S8_S9_S9_EESM_S12_SN_SO_SP_EUlS12_E1_NS1_11comp_targetILNS1_3genE0ELNS1_11target_archE4294967295ELNS1_3gpuE0ELNS1_3repE0EEENS1_36merge_oddeven_config_static_selectorELNS0_4arch9wavefront6targetE1EEEvSO_: ; @_ZN7rocprim17ROCPRIM_400000_NS6detail17trampoline_kernelINS0_14default_configENS1_38merge_sort_block_merge_config_selectorIlNS0_10empty_typeEEEZZNS1_27merge_sort_block_merge_implIS3_PlPS5_mZN2at6native12_GLOBAL__N_124unique_dim_cuda_templateIN3c108BFloat16EEESt5tupleIJNSA_6TensorESH_SH_EERKSH_lbbbEUlllE_EE10hipError_tT0_T1_T2_jT3_P12ihipStream_tbPNSt15iterator_traitsISN_E10value_typeEPNST_ISO_E10value_typeEPSP_NS1_7vsmem_tEENKUlT_SN_SO_SP_E_clIS8_S8_S9_S9_EESM_S12_SN_SO_SP_EUlS12_E1_NS1_11comp_targetILNS1_3genE0ELNS1_11target_archE4294967295ELNS1_3gpuE0ELNS1_3repE0EEENS1_36merge_oddeven_config_static_selectorELNS0_4arch9wavefront6targetE1EEEvSO_
; %bb.0:
	s_load_dword s22, s[0:1], 0x20
	s_waitcnt lgkmcnt(0)
	s_lshr_b32 s3, s22, 8
	s_cmp_lg_u32 s2, s3
	s_cselect_b64 s[12:13], -1, 0
	s_cmp_eq_u32 s2, s3
	s_cselect_b64 s[20:21], -1, 0
	s_lshl_b32 s18, s2, 8
	s_sub_i32 s3, s22, s18
	v_cmp_gt_u32_e64 s[4:5], s3, v0
	s_or_b64 s[6:7], s[12:13], s[4:5]
	s_and_saveexec_b64 s[8:9], s[6:7]
	s_cbranch_execz .LBB1141_62
; %bb.1:
	s_load_dwordx4 s[8:11], s[0:1], 0x0
	s_load_dword s23, s[0:1], 0x28
	s_mov_b32 s19, 0
	s_lshl_b64 s[6:7], s[18:19], 3
	v_lshlrev_b32_e32 v1, 3, v0
	s_waitcnt lgkmcnt(0)
	s_add_u32 s6, s8, s6
	s_addc_u32 s7, s9, s7
	global_load_dwordx2 v[2:3], v1, s[6:7]
	s_lshr_b32 s3, s23, 8
	s_sub_i32 s6, 0, s3
	s_and_b32 s2, s2, s6
	s_and_b32 s3, s2, s3
	s_cmp_lg_u32 s3, 0
	s_cselect_b64 s[6:7], -1, 0
	s_lshl_b32 s19, s2, 8
	s_sub_i32 s2, 0, s23
	s_cmp_eq_u32 s3, 0
	s_cselect_b32 s33, s23, s2
	s_add_i32 s33, s33, s19
	s_cmp_lt_u32 s33, s22
	s_cbranch_scc1 .LBB1141_3
; %bb.2:
	v_add_u32_e32 v4, s18, v0
	v_cmp_gt_u32_e32 vcc, s22, v4
	s_or_b64 s[12:13], vcc, s[12:13]
	s_and_b64 s[16:17], s[12:13], exec
	s_cbranch_execz .LBB1141_4
	s_branch .LBB1141_60
.LBB1141_3:
	s_mov_b64 s[16:17], 0
                                        ; implicit-def: $vgpr4
.LBB1141_4:
	s_load_dwordx4 s[12:15], s[0:1], 0x30
	s_min_u32 s44, s33, s22
	s_add_i32 s0, s44, s23
	s_min_u32 s45, s0, s22
	s_min_u32 s0, s19, s44
	v_add_u32_e32 v0, s18, v0
	s_add_i32 s19, s19, s44
	v_subrev_u32_e32 v0, s19, v0
	v_add_u32_e32 v14, s0, v0
	s_waitcnt lgkmcnt(0)
	v_cmp_gt_i64_e64 s[18:19], s[12:13], 0
	s_and_b64 vcc, exec, s[20:21]
	s_cbranch_vccz .LBB1141_30
; %bb.5:
                                        ; implicit-def: $vgpr4
	s_and_saveexec_b64 s[20:21], s[4:5]
	s_cbranch_execz .LBB1141_33
; %bb.6:
	s_cmp_ge_u32 s33, s45
	v_mov_b32_e32 v15, s44
	s_cbranch_scc1 .LBB1141_32
; %bb.7:
	s_waitcnt vmcnt(0)
	v_mul_lo_u32 v0, v3, s12
	v_mul_lo_u32 v1, v2, s13
	v_mad_u64_u32 v[4:5], s[0:1], v2, s12, 0
	v_cndmask_b32_e64 v6, 0, 1, s[6:7]
	v_add3_u32 v5, v5, v1, v0
	v_cmp_ne_u32_e64 s[0:1], 1, v6
	v_cndmask_b32_e64 v6, 0, 1, s[18:19]
	v_mov_b64_e32 v[0:1], s[14:15]
	v_lshl_add_u64 v[4:5], v[4:5], 1, s[14:15]
	s_lshl_b64 s[22:23], s[12:13], 1
	s_mov_b64 s[4:5], 0
	v_mov_b32_e32 v16, s45
	v_mov_b32_e32 v15, s44
	;; [unrolled: 1-line block ×3, first 2 shown]
	v_cmp_ne_u32_e64 s[2:3], 1, v6
	s_branch .LBB1141_10
.LBB1141_8:                             ;   in Loop: Header=BB1141_10 Depth=1
	s_or_b64 exec, exec, s[26:27]
.LBB1141_9:                             ;   in Loop: Header=BB1141_10 Depth=1
	s_waitcnt vmcnt(0)
	v_add_u32_e32 v8, 1, v6
	v_cndmask_b32_e64 v16, v6, v16, s[24:25]
	v_cndmask_b32_e64 v15, v15, v8, s[24:25]
	v_cmp_ge_u32_e32 vcc, v15, v16
	s_or_b64 s[4:5], vcc, s[4:5]
	s_andn2_b64 exec, exec, s[4:5]
	s_cbranch_execz .LBB1141_31
.LBB1141_10:                            ; =>This Loop Header: Depth=1
                                        ;     Child Loop BB1141_14 Depth 2
                                        ;     Child Loop BB1141_25 Depth 2
	v_add_u32_e32 v6, v15, v16
	v_lshrrev_b32_e32 v6, 1, v6
	v_lshl_add_u64 v[8:9], v[6:7], 3, s[8:9]
	global_load_dwordx2 v[8:9], v[8:9], off
	s_and_b64 vcc, exec, s[0:1]
	s_mov_b64 s[26:27], -1
                                        ; implicit-def: $sgpr24_sgpr25
	s_cbranch_vccnz .LBB1141_21
; %bb.11:                               ;   in Loop: Header=BB1141_10 Depth=1
	s_and_b64 vcc, exec, s[2:3]
	s_cbranch_vccnz .LBB1141_19
; %bb.12:                               ;   in Loop: Header=BB1141_10 Depth=1
	s_waitcnt vmcnt(0)
	v_mad_u64_u32 v[10:11], s[24:25], s22, v8, v[0:1]
	v_mul_lo_u32 v12, s22, v9
	v_mul_lo_u32 v13, s23, v8
	v_add3_u32 v11, v13, v11, v12
	s_mov_b64 s[24:25], 0
	s_mov_b64 s[30:31], s[12:13]
	v_mov_b64_e32 v[12:13], v[4:5]
                                        ; implicit-def: $sgpr26_sgpr27
                                        ; implicit-def: $sgpr28_sgpr29
                                        ; implicit-def: $sgpr38_sgpr39
	s_branch .LBB1141_14
.LBB1141_13:                            ;   in Loop: Header=BB1141_14 Depth=2
	s_or_b64 exec, exec, s[38:39]
	s_and_b64 s[36:37], exec, s[36:37]
	s_or_b64 s[24:25], s[36:37], s[24:25]
	s_andn2_b64 s[26:27], s[26:27], exec
	s_and_b64 s[36:37], s[28:29], exec
	s_or_b64 s[26:27], s[26:27], s[36:37]
	s_mov_b64 s[38:39], s[34:35]
	s_andn2_b64 exec, exec, s[24:25]
	s_cbranch_execz .LBB1141_18
.LBB1141_14:                            ;   Parent Loop BB1141_10 Depth=1
                                        ; =>  This Inner Loop Header: Depth=2
	global_load_ushort v17, v[12:13], off
	global_load_ushort v18, v[10:11], off
	s_mov_b64 s[36:37], -1
	s_mov_b64 s[40:41], 0
	s_mov_b64 s[34:35], -1
	s_waitcnt vmcnt(1)
	v_lshlrev_b32_e32 v17, 16, v17
	s_waitcnt vmcnt(0)
	v_lshlrev_b32_e32 v18, 16, v18
	v_cmp_nlt_f32_e32 vcc, v17, v18
	s_and_saveexec_b64 s[42:43], vcc
; %bb.15:                               ;   in Loop: Header=BB1141_14 Depth=2
	v_cmp_ngt_f32_e32 vcc, v17, v18
	s_and_b64 s[34:35], vcc, s[38:39]
	s_orn2_b64 s[34:35], s[34:35], exec
	s_and_b64 s[40:41], vcc, exec
; %bb.16:                               ;   in Loop: Header=BB1141_14 Depth=2
	s_or_b64 exec, exec, s[42:43]
	s_andn2_b64 s[28:29], s[28:29], exec
	s_and_b64 s[38:39], s[34:35], exec
	s_or_b64 s[28:29], s[28:29], s[38:39]
	s_and_saveexec_b64 s[38:39], s[40:41]
	s_cbranch_execz .LBB1141_13
; %bb.17:                               ;   in Loop: Header=BB1141_14 Depth=2
	s_add_u32 s30, s30, -1
	s_addc_u32 s31, s31, -1
	s_cmp_eq_u64 s[30:31], 0
	s_cselect_b64 s[36:37], -1, 0
	v_lshl_add_u64 v[12:13], v[12:13], 0, 2
	v_lshl_add_u64 v[10:11], v[10:11], 0, 2
	s_andn2_b64 s[28:29], s[28:29], exec
	s_orn2_b64 s[36:37], s[36:37], exec
	s_branch .LBB1141_13
.LBB1141_18:                            ;   in Loop: Header=BB1141_10 Depth=1
	s_or_b64 exec, exec, s[24:25]
	s_xor_b64 s[24:25], s[26:27], -1
	s_branch .LBB1141_20
.LBB1141_19:                            ;   in Loop: Header=BB1141_10 Depth=1
	s_mov_b64 s[24:25], -1
.LBB1141_20:                            ;   in Loop: Header=BB1141_10 Depth=1
	s_mov_b64 s[26:27], 0
.LBB1141_21:                            ;   in Loop: Header=BB1141_10 Depth=1
	s_andn2_b64 vcc, exec, s[26:27]
	s_cbranch_vccnz .LBB1141_9
; %bb.22:                               ;   in Loop: Header=BB1141_10 Depth=1
	s_and_b64 vcc, exec, s[2:3]
	s_cbranch_vccnz .LBB1141_29
; %bb.23:                               ;   in Loop: Header=BB1141_10 Depth=1
	s_waitcnt vmcnt(0)
	v_mad_u64_u32 v[10:11], s[24:25], s22, v8, v[0:1]
	v_mul_lo_u32 v9, s22, v9
	v_mul_lo_u32 v8, s23, v8
	v_add3_u32 v11, v8, v11, v9
	s_mov_b64 s[26:27], 0
	s_mov_b64 s[30:31], s[12:13]
	v_mov_b64_e32 v[8:9], v[4:5]
                                        ; implicit-def: $sgpr24_sgpr25
                                        ; implicit-def: $sgpr28_sgpr29
                                        ; implicit-def: $sgpr38_sgpr39
	s_branch .LBB1141_25
.LBB1141_24:                            ;   in Loop: Header=BB1141_25 Depth=2
	s_or_b64 exec, exec, s[38:39]
	s_and_b64 s[36:37], exec, s[36:37]
	s_or_b64 s[26:27], s[36:37], s[26:27]
	s_andn2_b64 s[24:25], s[24:25], exec
	s_and_b64 s[36:37], s[28:29], exec
	s_or_b64 s[24:25], s[24:25], s[36:37]
	s_mov_b64 s[38:39], s[34:35]
	s_andn2_b64 exec, exec, s[26:27]
	s_cbranch_execz .LBB1141_8
.LBB1141_25:                            ;   Parent Loop BB1141_10 Depth=1
                                        ; =>  This Inner Loop Header: Depth=2
	global_load_ushort v12, v[10:11], off
	global_load_ushort v13, v[8:9], off
	s_mov_b64 s[36:37], -1
	s_mov_b64 s[40:41], 0
	s_mov_b64 s[34:35], -1
	s_waitcnt vmcnt(1)
	v_lshlrev_b32_e32 v12, 16, v12
	s_waitcnt vmcnt(0)
	v_lshlrev_b32_e32 v13, 16, v13
	v_cmp_nlt_f32_e32 vcc, v12, v13
	s_and_saveexec_b64 s[42:43], vcc
; %bb.26:                               ;   in Loop: Header=BB1141_25 Depth=2
	v_cmp_ngt_f32_e32 vcc, v12, v13
	s_and_b64 s[34:35], vcc, s[38:39]
	s_orn2_b64 s[34:35], s[34:35], exec
	s_and_b64 s[40:41], vcc, exec
; %bb.27:                               ;   in Loop: Header=BB1141_25 Depth=2
	s_or_b64 exec, exec, s[42:43]
	s_andn2_b64 s[28:29], s[28:29], exec
	s_and_b64 s[38:39], s[34:35], exec
	s_or_b64 s[28:29], s[28:29], s[38:39]
	s_and_saveexec_b64 s[38:39], s[40:41]
	s_cbranch_execz .LBB1141_24
; %bb.28:                               ;   in Loop: Header=BB1141_25 Depth=2
	s_add_u32 s30, s30, -1
	s_addc_u32 s31, s31, -1
	s_cmp_eq_u64 s[30:31], 0
	s_cselect_b64 s[36:37], -1, 0
	v_lshl_add_u64 v[10:11], v[10:11], 0, 2
	v_lshl_add_u64 v[8:9], v[8:9], 0, 2
	s_andn2_b64 s[28:29], s[28:29], exec
	s_orn2_b64 s[36:37], s[36:37], exec
	s_branch .LBB1141_24
.LBB1141_29:                            ;   in Loop: Header=BB1141_10 Depth=1
	s_mov_b64 s[24:25], 0
	s_branch .LBB1141_9
.LBB1141_30:
                                        ; implicit-def: $vgpr4
	s_cbranch_execnz .LBB1141_34
	s_branch .LBB1141_60
.LBB1141_31:
	s_or_b64 exec, exec, s[4:5]
.LBB1141_32:
	v_add_u32_e32 v4, v15, v14
	s_or_b64 s[16:17], s[16:17], exec
.LBB1141_33:
	s_or_b64 exec, exec, s[20:21]
	s_branch .LBB1141_60
.LBB1141_34:
	s_cmp_ge_u32 s33, s45
	v_mov_b32_e32 v15, s44
	s_cbranch_scc1 .LBB1141_59
; %bb.35:
	s_waitcnt vmcnt(0)
	v_mul_lo_u32 v0, v3, s12
	v_mul_lo_u32 v1, v2, s13
	v_mad_u64_u32 v[4:5], s[0:1], v2, s12, 0
	v_cndmask_b32_e64 v6, 0, 1, s[6:7]
	v_add3_u32 v5, v5, v1, v0
	v_cmp_ne_u32_e64 s[0:1], 1, v6
	v_cndmask_b32_e64 v6, 0, 1, s[18:19]
	v_mov_b64_e32 v[0:1], s[14:15]
	v_lshl_add_u64 v[4:5], v[4:5], 1, s[14:15]
	s_lshl_b64 s[14:15], s[12:13], 1
	s_mov_b64 s[4:5], 0
	v_mov_b32_e32 v16, s45
	v_mov_b32_e32 v15, s44
	;; [unrolled: 1-line block ×3, first 2 shown]
	v_cmp_ne_u32_e64 s[2:3], 1, v6
	s_branch .LBB1141_38
.LBB1141_36:                            ;   in Loop: Header=BB1141_38 Depth=1
	s_or_b64 exec, exec, s[16:17]
.LBB1141_37:                            ;   in Loop: Header=BB1141_38 Depth=1
	s_waitcnt vmcnt(0)
	v_add_u32_e32 v8, 1, v6
	v_cndmask_b32_e64 v16, v6, v16, s[6:7]
	v_cndmask_b32_e64 v15, v15, v8, s[6:7]
	v_cmp_ge_u32_e32 vcc, v15, v16
	s_or_b64 s[4:5], vcc, s[4:5]
	s_andn2_b64 exec, exec, s[4:5]
	s_cbranch_execz .LBB1141_58
.LBB1141_38:                            ; =>This Loop Header: Depth=1
                                        ;     Child Loop BB1141_42 Depth 2
                                        ;     Child Loop BB1141_53 Depth 2
	v_add_u32_e32 v6, v15, v16
	v_lshrrev_b32_e32 v6, 1, v6
	v_lshl_add_u64 v[8:9], v[6:7], 3, s[8:9]
	global_load_dwordx2 v[8:9], v[8:9], off
	s_and_b64 vcc, exec, s[0:1]
	s_mov_b64 s[16:17], -1
                                        ; implicit-def: $sgpr6_sgpr7
	s_cbranch_vccnz .LBB1141_49
; %bb.39:                               ;   in Loop: Header=BB1141_38 Depth=1
	s_and_b64 vcc, exec, s[2:3]
	s_cbranch_vccnz .LBB1141_47
; %bb.40:                               ;   in Loop: Header=BB1141_38 Depth=1
	s_waitcnt vmcnt(0)
	v_mad_u64_u32 v[10:11], s[6:7], s14, v8, v[0:1]
	v_mul_lo_u32 v12, s14, v9
	v_mul_lo_u32 v13, s15, v8
	v_add3_u32 v11, v13, v11, v12
	s_mov_b64 s[6:7], 0
	s_mov_b64 s[20:21], s[12:13]
	v_mov_b64_e32 v[12:13], v[4:5]
                                        ; implicit-def: $sgpr16_sgpr17
                                        ; implicit-def: $sgpr18_sgpr19
                                        ; implicit-def: $sgpr26_sgpr27
	s_branch .LBB1141_42
.LBB1141_41:                            ;   in Loop: Header=BB1141_42 Depth=2
	s_or_b64 exec, exec, s[26:27]
	s_and_b64 s[24:25], exec, s[24:25]
	s_or_b64 s[6:7], s[24:25], s[6:7]
	s_andn2_b64 s[16:17], s[16:17], exec
	s_and_b64 s[24:25], s[18:19], exec
	s_or_b64 s[16:17], s[16:17], s[24:25]
	s_mov_b64 s[26:27], s[22:23]
	s_andn2_b64 exec, exec, s[6:7]
	s_cbranch_execz .LBB1141_46
.LBB1141_42:                            ;   Parent Loop BB1141_38 Depth=1
                                        ; =>  This Inner Loop Header: Depth=2
	global_load_ushort v17, v[12:13], off
	global_load_ushort v18, v[10:11], off
	s_mov_b64 s[24:25], -1
	s_mov_b64 s[28:29], 0
	s_mov_b64 s[22:23], -1
	s_waitcnt vmcnt(1)
	v_lshlrev_b32_e32 v17, 16, v17
	s_waitcnt vmcnt(0)
	v_lshlrev_b32_e32 v18, 16, v18
	v_cmp_nlt_f32_e32 vcc, v17, v18
	s_and_saveexec_b64 s[30:31], vcc
; %bb.43:                               ;   in Loop: Header=BB1141_42 Depth=2
	v_cmp_ngt_f32_e32 vcc, v17, v18
	s_and_b64 s[22:23], vcc, s[26:27]
	s_orn2_b64 s[22:23], s[22:23], exec
	s_and_b64 s[28:29], vcc, exec
; %bb.44:                               ;   in Loop: Header=BB1141_42 Depth=2
	s_or_b64 exec, exec, s[30:31]
	s_andn2_b64 s[18:19], s[18:19], exec
	s_and_b64 s[26:27], s[22:23], exec
	s_or_b64 s[18:19], s[18:19], s[26:27]
	s_and_saveexec_b64 s[26:27], s[28:29]
	s_cbranch_execz .LBB1141_41
; %bb.45:                               ;   in Loop: Header=BB1141_42 Depth=2
	s_add_u32 s20, s20, -1
	s_addc_u32 s21, s21, -1
	s_cmp_eq_u64 s[20:21], 0
	s_cselect_b64 s[24:25], -1, 0
	v_lshl_add_u64 v[12:13], v[12:13], 0, 2
	v_lshl_add_u64 v[10:11], v[10:11], 0, 2
	s_andn2_b64 s[18:19], s[18:19], exec
	s_orn2_b64 s[24:25], s[24:25], exec
	s_branch .LBB1141_41
.LBB1141_46:                            ;   in Loop: Header=BB1141_38 Depth=1
	s_or_b64 exec, exec, s[6:7]
	s_xor_b64 s[6:7], s[16:17], -1
	s_branch .LBB1141_48
.LBB1141_47:                            ;   in Loop: Header=BB1141_38 Depth=1
	s_mov_b64 s[6:7], -1
.LBB1141_48:                            ;   in Loop: Header=BB1141_38 Depth=1
	s_mov_b64 s[16:17], 0
.LBB1141_49:                            ;   in Loop: Header=BB1141_38 Depth=1
	s_andn2_b64 vcc, exec, s[16:17]
	s_cbranch_vccnz .LBB1141_37
; %bb.50:                               ;   in Loop: Header=BB1141_38 Depth=1
	s_and_b64 vcc, exec, s[2:3]
	s_cbranch_vccnz .LBB1141_57
; %bb.51:                               ;   in Loop: Header=BB1141_38 Depth=1
	s_waitcnt vmcnt(0)
	v_mad_u64_u32 v[10:11], s[6:7], s14, v8, v[0:1]
	v_mul_lo_u32 v9, s14, v9
	v_mul_lo_u32 v8, s15, v8
	v_add3_u32 v11, v8, v11, v9
	s_mov_b64 s[16:17], 0
	s_mov_b64 s[20:21], s[12:13]
	v_mov_b64_e32 v[8:9], v[4:5]
                                        ; implicit-def: $sgpr6_sgpr7
                                        ; implicit-def: $sgpr18_sgpr19
                                        ; implicit-def: $sgpr26_sgpr27
	s_branch .LBB1141_53
.LBB1141_52:                            ;   in Loop: Header=BB1141_53 Depth=2
	s_or_b64 exec, exec, s[26:27]
	s_and_b64 s[24:25], exec, s[24:25]
	s_or_b64 s[16:17], s[24:25], s[16:17]
	s_andn2_b64 s[6:7], s[6:7], exec
	s_and_b64 s[24:25], s[18:19], exec
	s_or_b64 s[6:7], s[6:7], s[24:25]
	s_mov_b64 s[26:27], s[22:23]
	s_andn2_b64 exec, exec, s[16:17]
	s_cbranch_execz .LBB1141_36
.LBB1141_53:                            ;   Parent Loop BB1141_38 Depth=1
                                        ; =>  This Inner Loop Header: Depth=2
	global_load_ushort v12, v[10:11], off
	global_load_ushort v13, v[8:9], off
	s_mov_b64 s[24:25], -1
	s_mov_b64 s[28:29], 0
	s_mov_b64 s[22:23], -1
	s_waitcnt vmcnt(1)
	v_lshlrev_b32_e32 v12, 16, v12
	s_waitcnt vmcnt(0)
	v_lshlrev_b32_e32 v13, 16, v13
	v_cmp_nlt_f32_e32 vcc, v12, v13
	s_and_saveexec_b64 s[30:31], vcc
; %bb.54:                               ;   in Loop: Header=BB1141_53 Depth=2
	v_cmp_ngt_f32_e32 vcc, v12, v13
	s_and_b64 s[22:23], vcc, s[26:27]
	s_orn2_b64 s[22:23], s[22:23], exec
	s_and_b64 s[28:29], vcc, exec
; %bb.55:                               ;   in Loop: Header=BB1141_53 Depth=2
	s_or_b64 exec, exec, s[30:31]
	s_andn2_b64 s[18:19], s[18:19], exec
	s_and_b64 s[26:27], s[22:23], exec
	s_or_b64 s[18:19], s[18:19], s[26:27]
	s_and_saveexec_b64 s[26:27], s[28:29]
	s_cbranch_execz .LBB1141_52
; %bb.56:                               ;   in Loop: Header=BB1141_53 Depth=2
	s_add_u32 s20, s20, -1
	s_addc_u32 s21, s21, -1
	s_cmp_eq_u64 s[20:21], 0
	s_cselect_b64 s[24:25], -1, 0
	v_lshl_add_u64 v[10:11], v[10:11], 0, 2
	v_lshl_add_u64 v[8:9], v[8:9], 0, 2
	s_andn2_b64 s[18:19], s[18:19], exec
	s_orn2_b64 s[24:25], s[24:25], exec
	s_branch .LBB1141_52
.LBB1141_57:                            ;   in Loop: Header=BB1141_38 Depth=1
	s_mov_b64 s[6:7], 0
	s_branch .LBB1141_37
.LBB1141_58:
	s_or_b64 exec, exec, s[4:5]
.LBB1141_59:
	v_add_u32_e32 v4, v15, v14
	s_mov_b64 s[16:17], -1
.LBB1141_60:
	s_and_b64 exec, exec, s[16:17]
	s_cbranch_execz .LBB1141_62
; %bb.61:
	v_mov_b32_e32 v0, s10
	v_mov_b32_e32 v1, s11
	;; [unrolled: 1-line block ×3, first 2 shown]
	v_lshl_add_u64 v[0:1], v[4:5], 3, v[0:1]
	s_waitcnt vmcnt(0)
	global_store_dwordx2 v[0:1], v[2:3], off
.LBB1141_62:
	s_endpgm
	.section	.rodata,"a",@progbits
	.p2align	6, 0x0
	.amdhsa_kernel _ZN7rocprim17ROCPRIM_400000_NS6detail17trampoline_kernelINS0_14default_configENS1_38merge_sort_block_merge_config_selectorIlNS0_10empty_typeEEEZZNS1_27merge_sort_block_merge_implIS3_PlPS5_mZN2at6native12_GLOBAL__N_124unique_dim_cuda_templateIN3c108BFloat16EEESt5tupleIJNSA_6TensorESH_SH_EERKSH_lbbbEUlllE_EE10hipError_tT0_T1_T2_jT3_P12ihipStream_tbPNSt15iterator_traitsISN_E10value_typeEPNST_ISO_E10value_typeEPSP_NS1_7vsmem_tEENKUlT_SN_SO_SP_E_clIS8_S8_S9_S9_EESM_S12_SN_SO_SP_EUlS12_E1_NS1_11comp_targetILNS1_3genE0ELNS1_11target_archE4294967295ELNS1_3gpuE0ELNS1_3repE0EEENS1_36merge_oddeven_config_static_selectorELNS0_4arch9wavefront6targetE1EEEvSO_
		.amdhsa_group_segment_fixed_size 0
		.amdhsa_private_segment_fixed_size 0
		.amdhsa_kernarg_size 64
		.amdhsa_user_sgpr_count 2
		.amdhsa_user_sgpr_dispatch_ptr 0
		.amdhsa_user_sgpr_queue_ptr 0
		.amdhsa_user_sgpr_kernarg_segment_ptr 1
		.amdhsa_user_sgpr_dispatch_id 0
		.amdhsa_user_sgpr_kernarg_preload_length 0
		.amdhsa_user_sgpr_kernarg_preload_offset 0
		.amdhsa_user_sgpr_private_segment_size 0
		.amdhsa_uses_dynamic_stack 0
		.amdhsa_enable_private_segment 0
		.amdhsa_system_sgpr_workgroup_id_x 1
		.amdhsa_system_sgpr_workgroup_id_y 0
		.amdhsa_system_sgpr_workgroup_id_z 0
		.amdhsa_system_sgpr_workgroup_info 0
		.amdhsa_system_vgpr_workitem_id 0
		.amdhsa_next_free_vgpr 19
		.amdhsa_next_free_sgpr 46
		.amdhsa_accum_offset 20
		.amdhsa_reserve_vcc 1
		.amdhsa_float_round_mode_32 0
		.amdhsa_float_round_mode_16_64 0
		.amdhsa_float_denorm_mode_32 3
		.amdhsa_float_denorm_mode_16_64 3
		.amdhsa_dx10_clamp 1
		.amdhsa_ieee_mode 1
		.amdhsa_fp16_overflow 0
		.amdhsa_tg_split 0
		.amdhsa_exception_fp_ieee_invalid_op 0
		.amdhsa_exception_fp_denorm_src 0
		.amdhsa_exception_fp_ieee_div_zero 0
		.amdhsa_exception_fp_ieee_overflow 0
		.amdhsa_exception_fp_ieee_underflow 0
		.amdhsa_exception_fp_ieee_inexact 0
		.amdhsa_exception_int_div_zero 0
	.end_amdhsa_kernel
	.section	.text._ZN7rocprim17ROCPRIM_400000_NS6detail17trampoline_kernelINS0_14default_configENS1_38merge_sort_block_merge_config_selectorIlNS0_10empty_typeEEEZZNS1_27merge_sort_block_merge_implIS3_PlPS5_mZN2at6native12_GLOBAL__N_124unique_dim_cuda_templateIN3c108BFloat16EEESt5tupleIJNSA_6TensorESH_SH_EERKSH_lbbbEUlllE_EE10hipError_tT0_T1_T2_jT3_P12ihipStream_tbPNSt15iterator_traitsISN_E10value_typeEPNST_ISO_E10value_typeEPSP_NS1_7vsmem_tEENKUlT_SN_SO_SP_E_clIS8_S8_S9_S9_EESM_S12_SN_SO_SP_EUlS12_E1_NS1_11comp_targetILNS1_3genE0ELNS1_11target_archE4294967295ELNS1_3gpuE0ELNS1_3repE0EEENS1_36merge_oddeven_config_static_selectorELNS0_4arch9wavefront6targetE1EEEvSO_,"axG",@progbits,_ZN7rocprim17ROCPRIM_400000_NS6detail17trampoline_kernelINS0_14default_configENS1_38merge_sort_block_merge_config_selectorIlNS0_10empty_typeEEEZZNS1_27merge_sort_block_merge_implIS3_PlPS5_mZN2at6native12_GLOBAL__N_124unique_dim_cuda_templateIN3c108BFloat16EEESt5tupleIJNSA_6TensorESH_SH_EERKSH_lbbbEUlllE_EE10hipError_tT0_T1_T2_jT3_P12ihipStream_tbPNSt15iterator_traitsISN_E10value_typeEPNST_ISO_E10value_typeEPSP_NS1_7vsmem_tEENKUlT_SN_SO_SP_E_clIS8_S8_S9_S9_EESM_S12_SN_SO_SP_EUlS12_E1_NS1_11comp_targetILNS1_3genE0ELNS1_11target_archE4294967295ELNS1_3gpuE0ELNS1_3repE0EEENS1_36merge_oddeven_config_static_selectorELNS0_4arch9wavefront6targetE1EEEvSO_,comdat
.Lfunc_end1141:
	.size	_ZN7rocprim17ROCPRIM_400000_NS6detail17trampoline_kernelINS0_14default_configENS1_38merge_sort_block_merge_config_selectorIlNS0_10empty_typeEEEZZNS1_27merge_sort_block_merge_implIS3_PlPS5_mZN2at6native12_GLOBAL__N_124unique_dim_cuda_templateIN3c108BFloat16EEESt5tupleIJNSA_6TensorESH_SH_EERKSH_lbbbEUlllE_EE10hipError_tT0_T1_T2_jT3_P12ihipStream_tbPNSt15iterator_traitsISN_E10value_typeEPNST_ISO_E10value_typeEPSP_NS1_7vsmem_tEENKUlT_SN_SO_SP_E_clIS8_S8_S9_S9_EESM_S12_SN_SO_SP_EUlS12_E1_NS1_11comp_targetILNS1_3genE0ELNS1_11target_archE4294967295ELNS1_3gpuE0ELNS1_3repE0EEENS1_36merge_oddeven_config_static_selectorELNS0_4arch9wavefront6targetE1EEEvSO_, .Lfunc_end1141-_ZN7rocprim17ROCPRIM_400000_NS6detail17trampoline_kernelINS0_14default_configENS1_38merge_sort_block_merge_config_selectorIlNS0_10empty_typeEEEZZNS1_27merge_sort_block_merge_implIS3_PlPS5_mZN2at6native12_GLOBAL__N_124unique_dim_cuda_templateIN3c108BFloat16EEESt5tupleIJNSA_6TensorESH_SH_EERKSH_lbbbEUlllE_EE10hipError_tT0_T1_T2_jT3_P12ihipStream_tbPNSt15iterator_traitsISN_E10value_typeEPNST_ISO_E10value_typeEPSP_NS1_7vsmem_tEENKUlT_SN_SO_SP_E_clIS8_S8_S9_S9_EESM_S12_SN_SO_SP_EUlS12_E1_NS1_11comp_targetILNS1_3genE0ELNS1_11target_archE4294967295ELNS1_3gpuE0ELNS1_3repE0EEENS1_36merge_oddeven_config_static_selectorELNS0_4arch9wavefront6targetE1EEEvSO_
                                        ; -- End function
	.set _ZN7rocprim17ROCPRIM_400000_NS6detail17trampoline_kernelINS0_14default_configENS1_38merge_sort_block_merge_config_selectorIlNS0_10empty_typeEEEZZNS1_27merge_sort_block_merge_implIS3_PlPS5_mZN2at6native12_GLOBAL__N_124unique_dim_cuda_templateIN3c108BFloat16EEESt5tupleIJNSA_6TensorESH_SH_EERKSH_lbbbEUlllE_EE10hipError_tT0_T1_T2_jT3_P12ihipStream_tbPNSt15iterator_traitsISN_E10value_typeEPNST_ISO_E10value_typeEPSP_NS1_7vsmem_tEENKUlT_SN_SO_SP_E_clIS8_S8_S9_S9_EESM_S12_SN_SO_SP_EUlS12_E1_NS1_11comp_targetILNS1_3genE0ELNS1_11target_archE4294967295ELNS1_3gpuE0ELNS1_3repE0EEENS1_36merge_oddeven_config_static_selectorELNS0_4arch9wavefront6targetE1EEEvSO_.num_vgpr, 19
	.set _ZN7rocprim17ROCPRIM_400000_NS6detail17trampoline_kernelINS0_14default_configENS1_38merge_sort_block_merge_config_selectorIlNS0_10empty_typeEEEZZNS1_27merge_sort_block_merge_implIS3_PlPS5_mZN2at6native12_GLOBAL__N_124unique_dim_cuda_templateIN3c108BFloat16EEESt5tupleIJNSA_6TensorESH_SH_EERKSH_lbbbEUlllE_EE10hipError_tT0_T1_T2_jT3_P12ihipStream_tbPNSt15iterator_traitsISN_E10value_typeEPNST_ISO_E10value_typeEPSP_NS1_7vsmem_tEENKUlT_SN_SO_SP_E_clIS8_S8_S9_S9_EESM_S12_SN_SO_SP_EUlS12_E1_NS1_11comp_targetILNS1_3genE0ELNS1_11target_archE4294967295ELNS1_3gpuE0ELNS1_3repE0EEENS1_36merge_oddeven_config_static_selectorELNS0_4arch9wavefront6targetE1EEEvSO_.num_agpr, 0
	.set _ZN7rocprim17ROCPRIM_400000_NS6detail17trampoline_kernelINS0_14default_configENS1_38merge_sort_block_merge_config_selectorIlNS0_10empty_typeEEEZZNS1_27merge_sort_block_merge_implIS3_PlPS5_mZN2at6native12_GLOBAL__N_124unique_dim_cuda_templateIN3c108BFloat16EEESt5tupleIJNSA_6TensorESH_SH_EERKSH_lbbbEUlllE_EE10hipError_tT0_T1_T2_jT3_P12ihipStream_tbPNSt15iterator_traitsISN_E10value_typeEPNST_ISO_E10value_typeEPSP_NS1_7vsmem_tEENKUlT_SN_SO_SP_E_clIS8_S8_S9_S9_EESM_S12_SN_SO_SP_EUlS12_E1_NS1_11comp_targetILNS1_3genE0ELNS1_11target_archE4294967295ELNS1_3gpuE0ELNS1_3repE0EEENS1_36merge_oddeven_config_static_selectorELNS0_4arch9wavefront6targetE1EEEvSO_.numbered_sgpr, 46
	.set _ZN7rocprim17ROCPRIM_400000_NS6detail17trampoline_kernelINS0_14default_configENS1_38merge_sort_block_merge_config_selectorIlNS0_10empty_typeEEEZZNS1_27merge_sort_block_merge_implIS3_PlPS5_mZN2at6native12_GLOBAL__N_124unique_dim_cuda_templateIN3c108BFloat16EEESt5tupleIJNSA_6TensorESH_SH_EERKSH_lbbbEUlllE_EE10hipError_tT0_T1_T2_jT3_P12ihipStream_tbPNSt15iterator_traitsISN_E10value_typeEPNST_ISO_E10value_typeEPSP_NS1_7vsmem_tEENKUlT_SN_SO_SP_E_clIS8_S8_S9_S9_EESM_S12_SN_SO_SP_EUlS12_E1_NS1_11comp_targetILNS1_3genE0ELNS1_11target_archE4294967295ELNS1_3gpuE0ELNS1_3repE0EEENS1_36merge_oddeven_config_static_selectorELNS0_4arch9wavefront6targetE1EEEvSO_.num_named_barrier, 0
	.set _ZN7rocprim17ROCPRIM_400000_NS6detail17trampoline_kernelINS0_14default_configENS1_38merge_sort_block_merge_config_selectorIlNS0_10empty_typeEEEZZNS1_27merge_sort_block_merge_implIS3_PlPS5_mZN2at6native12_GLOBAL__N_124unique_dim_cuda_templateIN3c108BFloat16EEESt5tupleIJNSA_6TensorESH_SH_EERKSH_lbbbEUlllE_EE10hipError_tT0_T1_T2_jT3_P12ihipStream_tbPNSt15iterator_traitsISN_E10value_typeEPNST_ISO_E10value_typeEPSP_NS1_7vsmem_tEENKUlT_SN_SO_SP_E_clIS8_S8_S9_S9_EESM_S12_SN_SO_SP_EUlS12_E1_NS1_11comp_targetILNS1_3genE0ELNS1_11target_archE4294967295ELNS1_3gpuE0ELNS1_3repE0EEENS1_36merge_oddeven_config_static_selectorELNS0_4arch9wavefront6targetE1EEEvSO_.private_seg_size, 0
	.set _ZN7rocprim17ROCPRIM_400000_NS6detail17trampoline_kernelINS0_14default_configENS1_38merge_sort_block_merge_config_selectorIlNS0_10empty_typeEEEZZNS1_27merge_sort_block_merge_implIS3_PlPS5_mZN2at6native12_GLOBAL__N_124unique_dim_cuda_templateIN3c108BFloat16EEESt5tupleIJNSA_6TensorESH_SH_EERKSH_lbbbEUlllE_EE10hipError_tT0_T1_T2_jT3_P12ihipStream_tbPNSt15iterator_traitsISN_E10value_typeEPNST_ISO_E10value_typeEPSP_NS1_7vsmem_tEENKUlT_SN_SO_SP_E_clIS8_S8_S9_S9_EESM_S12_SN_SO_SP_EUlS12_E1_NS1_11comp_targetILNS1_3genE0ELNS1_11target_archE4294967295ELNS1_3gpuE0ELNS1_3repE0EEENS1_36merge_oddeven_config_static_selectorELNS0_4arch9wavefront6targetE1EEEvSO_.uses_vcc, 1
	.set _ZN7rocprim17ROCPRIM_400000_NS6detail17trampoline_kernelINS0_14default_configENS1_38merge_sort_block_merge_config_selectorIlNS0_10empty_typeEEEZZNS1_27merge_sort_block_merge_implIS3_PlPS5_mZN2at6native12_GLOBAL__N_124unique_dim_cuda_templateIN3c108BFloat16EEESt5tupleIJNSA_6TensorESH_SH_EERKSH_lbbbEUlllE_EE10hipError_tT0_T1_T2_jT3_P12ihipStream_tbPNSt15iterator_traitsISN_E10value_typeEPNST_ISO_E10value_typeEPSP_NS1_7vsmem_tEENKUlT_SN_SO_SP_E_clIS8_S8_S9_S9_EESM_S12_SN_SO_SP_EUlS12_E1_NS1_11comp_targetILNS1_3genE0ELNS1_11target_archE4294967295ELNS1_3gpuE0ELNS1_3repE0EEENS1_36merge_oddeven_config_static_selectorELNS0_4arch9wavefront6targetE1EEEvSO_.uses_flat_scratch, 0
	.set _ZN7rocprim17ROCPRIM_400000_NS6detail17trampoline_kernelINS0_14default_configENS1_38merge_sort_block_merge_config_selectorIlNS0_10empty_typeEEEZZNS1_27merge_sort_block_merge_implIS3_PlPS5_mZN2at6native12_GLOBAL__N_124unique_dim_cuda_templateIN3c108BFloat16EEESt5tupleIJNSA_6TensorESH_SH_EERKSH_lbbbEUlllE_EE10hipError_tT0_T1_T2_jT3_P12ihipStream_tbPNSt15iterator_traitsISN_E10value_typeEPNST_ISO_E10value_typeEPSP_NS1_7vsmem_tEENKUlT_SN_SO_SP_E_clIS8_S8_S9_S9_EESM_S12_SN_SO_SP_EUlS12_E1_NS1_11comp_targetILNS1_3genE0ELNS1_11target_archE4294967295ELNS1_3gpuE0ELNS1_3repE0EEENS1_36merge_oddeven_config_static_selectorELNS0_4arch9wavefront6targetE1EEEvSO_.has_dyn_sized_stack, 0
	.set _ZN7rocprim17ROCPRIM_400000_NS6detail17trampoline_kernelINS0_14default_configENS1_38merge_sort_block_merge_config_selectorIlNS0_10empty_typeEEEZZNS1_27merge_sort_block_merge_implIS3_PlPS5_mZN2at6native12_GLOBAL__N_124unique_dim_cuda_templateIN3c108BFloat16EEESt5tupleIJNSA_6TensorESH_SH_EERKSH_lbbbEUlllE_EE10hipError_tT0_T1_T2_jT3_P12ihipStream_tbPNSt15iterator_traitsISN_E10value_typeEPNST_ISO_E10value_typeEPSP_NS1_7vsmem_tEENKUlT_SN_SO_SP_E_clIS8_S8_S9_S9_EESM_S12_SN_SO_SP_EUlS12_E1_NS1_11comp_targetILNS1_3genE0ELNS1_11target_archE4294967295ELNS1_3gpuE0ELNS1_3repE0EEENS1_36merge_oddeven_config_static_selectorELNS0_4arch9wavefront6targetE1EEEvSO_.has_recursion, 0
	.set _ZN7rocprim17ROCPRIM_400000_NS6detail17trampoline_kernelINS0_14default_configENS1_38merge_sort_block_merge_config_selectorIlNS0_10empty_typeEEEZZNS1_27merge_sort_block_merge_implIS3_PlPS5_mZN2at6native12_GLOBAL__N_124unique_dim_cuda_templateIN3c108BFloat16EEESt5tupleIJNSA_6TensorESH_SH_EERKSH_lbbbEUlllE_EE10hipError_tT0_T1_T2_jT3_P12ihipStream_tbPNSt15iterator_traitsISN_E10value_typeEPNST_ISO_E10value_typeEPSP_NS1_7vsmem_tEENKUlT_SN_SO_SP_E_clIS8_S8_S9_S9_EESM_S12_SN_SO_SP_EUlS12_E1_NS1_11comp_targetILNS1_3genE0ELNS1_11target_archE4294967295ELNS1_3gpuE0ELNS1_3repE0EEENS1_36merge_oddeven_config_static_selectorELNS0_4arch9wavefront6targetE1EEEvSO_.has_indirect_call, 0
	.section	.AMDGPU.csdata,"",@progbits
; Kernel info:
; codeLenInByte = 1732
; TotalNumSgprs: 52
; NumVgprs: 19
; NumAgprs: 0
; TotalNumVgprs: 19
; ScratchSize: 0
; MemoryBound: 0
; FloatMode: 240
; IeeeMode: 1
; LDSByteSize: 0 bytes/workgroup (compile time only)
; SGPRBlocks: 6
; VGPRBlocks: 2
; NumSGPRsForWavesPerEU: 52
; NumVGPRsForWavesPerEU: 19
; AccumOffset: 20
; Occupancy: 8
; WaveLimiterHint : 0
; COMPUTE_PGM_RSRC2:SCRATCH_EN: 0
; COMPUTE_PGM_RSRC2:USER_SGPR: 2
; COMPUTE_PGM_RSRC2:TRAP_HANDLER: 0
; COMPUTE_PGM_RSRC2:TGID_X_EN: 1
; COMPUTE_PGM_RSRC2:TGID_Y_EN: 0
; COMPUTE_PGM_RSRC2:TGID_Z_EN: 0
; COMPUTE_PGM_RSRC2:TIDIG_COMP_CNT: 0
; COMPUTE_PGM_RSRC3_GFX90A:ACCUM_OFFSET: 4
; COMPUTE_PGM_RSRC3_GFX90A:TG_SPLIT: 0
	.section	.text._ZN7rocprim17ROCPRIM_400000_NS6detail17trampoline_kernelINS0_14default_configENS1_38merge_sort_block_merge_config_selectorIlNS0_10empty_typeEEEZZNS1_27merge_sort_block_merge_implIS3_PlPS5_mZN2at6native12_GLOBAL__N_124unique_dim_cuda_templateIN3c108BFloat16EEESt5tupleIJNSA_6TensorESH_SH_EERKSH_lbbbEUlllE_EE10hipError_tT0_T1_T2_jT3_P12ihipStream_tbPNSt15iterator_traitsISN_E10value_typeEPNST_ISO_E10value_typeEPSP_NS1_7vsmem_tEENKUlT_SN_SO_SP_E_clIS8_S8_S9_S9_EESM_S12_SN_SO_SP_EUlS12_E1_NS1_11comp_targetILNS1_3genE10ELNS1_11target_archE1201ELNS1_3gpuE5ELNS1_3repE0EEENS1_36merge_oddeven_config_static_selectorELNS0_4arch9wavefront6targetE1EEEvSO_,"axG",@progbits,_ZN7rocprim17ROCPRIM_400000_NS6detail17trampoline_kernelINS0_14default_configENS1_38merge_sort_block_merge_config_selectorIlNS0_10empty_typeEEEZZNS1_27merge_sort_block_merge_implIS3_PlPS5_mZN2at6native12_GLOBAL__N_124unique_dim_cuda_templateIN3c108BFloat16EEESt5tupleIJNSA_6TensorESH_SH_EERKSH_lbbbEUlllE_EE10hipError_tT0_T1_T2_jT3_P12ihipStream_tbPNSt15iterator_traitsISN_E10value_typeEPNST_ISO_E10value_typeEPSP_NS1_7vsmem_tEENKUlT_SN_SO_SP_E_clIS8_S8_S9_S9_EESM_S12_SN_SO_SP_EUlS12_E1_NS1_11comp_targetILNS1_3genE10ELNS1_11target_archE1201ELNS1_3gpuE5ELNS1_3repE0EEENS1_36merge_oddeven_config_static_selectorELNS0_4arch9wavefront6targetE1EEEvSO_,comdat
	.globl	_ZN7rocprim17ROCPRIM_400000_NS6detail17trampoline_kernelINS0_14default_configENS1_38merge_sort_block_merge_config_selectorIlNS0_10empty_typeEEEZZNS1_27merge_sort_block_merge_implIS3_PlPS5_mZN2at6native12_GLOBAL__N_124unique_dim_cuda_templateIN3c108BFloat16EEESt5tupleIJNSA_6TensorESH_SH_EERKSH_lbbbEUlllE_EE10hipError_tT0_T1_T2_jT3_P12ihipStream_tbPNSt15iterator_traitsISN_E10value_typeEPNST_ISO_E10value_typeEPSP_NS1_7vsmem_tEENKUlT_SN_SO_SP_E_clIS8_S8_S9_S9_EESM_S12_SN_SO_SP_EUlS12_E1_NS1_11comp_targetILNS1_3genE10ELNS1_11target_archE1201ELNS1_3gpuE5ELNS1_3repE0EEENS1_36merge_oddeven_config_static_selectorELNS0_4arch9wavefront6targetE1EEEvSO_ ; -- Begin function _ZN7rocprim17ROCPRIM_400000_NS6detail17trampoline_kernelINS0_14default_configENS1_38merge_sort_block_merge_config_selectorIlNS0_10empty_typeEEEZZNS1_27merge_sort_block_merge_implIS3_PlPS5_mZN2at6native12_GLOBAL__N_124unique_dim_cuda_templateIN3c108BFloat16EEESt5tupleIJNSA_6TensorESH_SH_EERKSH_lbbbEUlllE_EE10hipError_tT0_T1_T2_jT3_P12ihipStream_tbPNSt15iterator_traitsISN_E10value_typeEPNST_ISO_E10value_typeEPSP_NS1_7vsmem_tEENKUlT_SN_SO_SP_E_clIS8_S8_S9_S9_EESM_S12_SN_SO_SP_EUlS12_E1_NS1_11comp_targetILNS1_3genE10ELNS1_11target_archE1201ELNS1_3gpuE5ELNS1_3repE0EEENS1_36merge_oddeven_config_static_selectorELNS0_4arch9wavefront6targetE1EEEvSO_
	.p2align	8
	.type	_ZN7rocprim17ROCPRIM_400000_NS6detail17trampoline_kernelINS0_14default_configENS1_38merge_sort_block_merge_config_selectorIlNS0_10empty_typeEEEZZNS1_27merge_sort_block_merge_implIS3_PlPS5_mZN2at6native12_GLOBAL__N_124unique_dim_cuda_templateIN3c108BFloat16EEESt5tupleIJNSA_6TensorESH_SH_EERKSH_lbbbEUlllE_EE10hipError_tT0_T1_T2_jT3_P12ihipStream_tbPNSt15iterator_traitsISN_E10value_typeEPNST_ISO_E10value_typeEPSP_NS1_7vsmem_tEENKUlT_SN_SO_SP_E_clIS8_S8_S9_S9_EESM_S12_SN_SO_SP_EUlS12_E1_NS1_11comp_targetILNS1_3genE10ELNS1_11target_archE1201ELNS1_3gpuE5ELNS1_3repE0EEENS1_36merge_oddeven_config_static_selectorELNS0_4arch9wavefront6targetE1EEEvSO_,@function
_ZN7rocprim17ROCPRIM_400000_NS6detail17trampoline_kernelINS0_14default_configENS1_38merge_sort_block_merge_config_selectorIlNS0_10empty_typeEEEZZNS1_27merge_sort_block_merge_implIS3_PlPS5_mZN2at6native12_GLOBAL__N_124unique_dim_cuda_templateIN3c108BFloat16EEESt5tupleIJNSA_6TensorESH_SH_EERKSH_lbbbEUlllE_EE10hipError_tT0_T1_T2_jT3_P12ihipStream_tbPNSt15iterator_traitsISN_E10value_typeEPNST_ISO_E10value_typeEPSP_NS1_7vsmem_tEENKUlT_SN_SO_SP_E_clIS8_S8_S9_S9_EESM_S12_SN_SO_SP_EUlS12_E1_NS1_11comp_targetILNS1_3genE10ELNS1_11target_archE1201ELNS1_3gpuE5ELNS1_3repE0EEENS1_36merge_oddeven_config_static_selectorELNS0_4arch9wavefront6targetE1EEEvSO_: ; @_ZN7rocprim17ROCPRIM_400000_NS6detail17trampoline_kernelINS0_14default_configENS1_38merge_sort_block_merge_config_selectorIlNS0_10empty_typeEEEZZNS1_27merge_sort_block_merge_implIS3_PlPS5_mZN2at6native12_GLOBAL__N_124unique_dim_cuda_templateIN3c108BFloat16EEESt5tupleIJNSA_6TensorESH_SH_EERKSH_lbbbEUlllE_EE10hipError_tT0_T1_T2_jT3_P12ihipStream_tbPNSt15iterator_traitsISN_E10value_typeEPNST_ISO_E10value_typeEPSP_NS1_7vsmem_tEENKUlT_SN_SO_SP_E_clIS8_S8_S9_S9_EESM_S12_SN_SO_SP_EUlS12_E1_NS1_11comp_targetILNS1_3genE10ELNS1_11target_archE1201ELNS1_3gpuE5ELNS1_3repE0EEENS1_36merge_oddeven_config_static_selectorELNS0_4arch9wavefront6targetE1EEEvSO_
; %bb.0:
	.section	.rodata,"a",@progbits
	.p2align	6, 0x0
	.amdhsa_kernel _ZN7rocprim17ROCPRIM_400000_NS6detail17trampoline_kernelINS0_14default_configENS1_38merge_sort_block_merge_config_selectorIlNS0_10empty_typeEEEZZNS1_27merge_sort_block_merge_implIS3_PlPS5_mZN2at6native12_GLOBAL__N_124unique_dim_cuda_templateIN3c108BFloat16EEESt5tupleIJNSA_6TensorESH_SH_EERKSH_lbbbEUlllE_EE10hipError_tT0_T1_T2_jT3_P12ihipStream_tbPNSt15iterator_traitsISN_E10value_typeEPNST_ISO_E10value_typeEPSP_NS1_7vsmem_tEENKUlT_SN_SO_SP_E_clIS8_S8_S9_S9_EESM_S12_SN_SO_SP_EUlS12_E1_NS1_11comp_targetILNS1_3genE10ELNS1_11target_archE1201ELNS1_3gpuE5ELNS1_3repE0EEENS1_36merge_oddeven_config_static_selectorELNS0_4arch9wavefront6targetE1EEEvSO_
		.amdhsa_group_segment_fixed_size 0
		.amdhsa_private_segment_fixed_size 0
		.amdhsa_kernarg_size 64
		.amdhsa_user_sgpr_count 2
		.amdhsa_user_sgpr_dispatch_ptr 0
		.amdhsa_user_sgpr_queue_ptr 0
		.amdhsa_user_sgpr_kernarg_segment_ptr 1
		.amdhsa_user_sgpr_dispatch_id 0
		.amdhsa_user_sgpr_kernarg_preload_length 0
		.amdhsa_user_sgpr_kernarg_preload_offset 0
		.amdhsa_user_sgpr_private_segment_size 0
		.amdhsa_uses_dynamic_stack 0
		.amdhsa_enable_private_segment 0
		.amdhsa_system_sgpr_workgroup_id_x 1
		.amdhsa_system_sgpr_workgroup_id_y 0
		.amdhsa_system_sgpr_workgroup_id_z 0
		.amdhsa_system_sgpr_workgroup_info 0
		.amdhsa_system_vgpr_workitem_id 0
		.amdhsa_next_free_vgpr 1
		.amdhsa_next_free_sgpr 0
		.amdhsa_accum_offset 4
		.amdhsa_reserve_vcc 0
		.amdhsa_float_round_mode_32 0
		.amdhsa_float_round_mode_16_64 0
		.amdhsa_float_denorm_mode_32 3
		.amdhsa_float_denorm_mode_16_64 3
		.amdhsa_dx10_clamp 1
		.amdhsa_ieee_mode 1
		.amdhsa_fp16_overflow 0
		.amdhsa_tg_split 0
		.amdhsa_exception_fp_ieee_invalid_op 0
		.amdhsa_exception_fp_denorm_src 0
		.amdhsa_exception_fp_ieee_div_zero 0
		.amdhsa_exception_fp_ieee_overflow 0
		.amdhsa_exception_fp_ieee_underflow 0
		.amdhsa_exception_fp_ieee_inexact 0
		.amdhsa_exception_int_div_zero 0
	.end_amdhsa_kernel
	.section	.text._ZN7rocprim17ROCPRIM_400000_NS6detail17trampoline_kernelINS0_14default_configENS1_38merge_sort_block_merge_config_selectorIlNS0_10empty_typeEEEZZNS1_27merge_sort_block_merge_implIS3_PlPS5_mZN2at6native12_GLOBAL__N_124unique_dim_cuda_templateIN3c108BFloat16EEESt5tupleIJNSA_6TensorESH_SH_EERKSH_lbbbEUlllE_EE10hipError_tT0_T1_T2_jT3_P12ihipStream_tbPNSt15iterator_traitsISN_E10value_typeEPNST_ISO_E10value_typeEPSP_NS1_7vsmem_tEENKUlT_SN_SO_SP_E_clIS8_S8_S9_S9_EESM_S12_SN_SO_SP_EUlS12_E1_NS1_11comp_targetILNS1_3genE10ELNS1_11target_archE1201ELNS1_3gpuE5ELNS1_3repE0EEENS1_36merge_oddeven_config_static_selectorELNS0_4arch9wavefront6targetE1EEEvSO_,"axG",@progbits,_ZN7rocprim17ROCPRIM_400000_NS6detail17trampoline_kernelINS0_14default_configENS1_38merge_sort_block_merge_config_selectorIlNS0_10empty_typeEEEZZNS1_27merge_sort_block_merge_implIS3_PlPS5_mZN2at6native12_GLOBAL__N_124unique_dim_cuda_templateIN3c108BFloat16EEESt5tupleIJNSA_6TensorESH_SH_EERKSH_lbbbEUlllE_EE10hipError_tT0_T1_T2_jT3_P12ihipStream_tbPNSt15iterator_traitsISN_E10value_typeEPNST_ISO_E10value_typeEPSP_NS1_7vsmem_tEENKUlT_SN_SO_SP_E_clIS8_S8_S9_S9_EESM_S12_SN_SO_SP_EUlS12_E1_NS1_11comp_targetILNS1_3genE10ELNS1_11target_archE1201ELNS1_3gpuE5ELNS1_3repE0EEENS1_36merge_oddeven_config_static_selectorELNS0_4arch9wavefront6targetE1EEEvSO_,comdat
.Lfunc_end1142:
	.size	_ZN7rocprim17ROCPRIM_400000_NS6detail17trampoline_kernelINS0_14default_configENS1_38merge_sort_block_merge_config_selectorIlNS0_10empty_typeEEEZZNS1_27merge_sort_block_merge_implIS3_PlPS5_mZN2at6native12_GLOBAL__N_124unique_dim_cuda_templateIN3c108BFloat16EEESt5tupleIJNSA_6TensorESH_SH_EERKSH_lbbbEUlllE_EE10hipError_tT0_T1_T2_jT3_P12ihipStream_tbPNSt15iterator_traitsISN_E10value_typeEPNST_ISO_E10value_typeEPSP_NS1_7vsmem_tEENKUlT_SN_SO_SP_E_clIS8_S8_S9_S9_EESM_S12_SN_SO_SP_EUlS12_E1_NS1_11comp_targetILNS1_3genE10ELNS1_11target_archE1201ELNS1_3gpuE5ELNS1_3repE0EEENS1_36merge_oddeven_config_static_selectorELNS0_4arch9wavefront6targetE1EEEvSO_, .Lfunc_end1142-_ZN7rocprim17ROCPRIM_400000_NS6detail17trampoline_kernelINS0_14default_configENS1_38merge_sort_block_merge_config_selectorIlNS0_10empty_typeEEEZZNS1_27merge_sort_block_merge_implIS3_PlPS5_mZN2at6native12_GLOBAL__N_124unique_dim_cuda_templateIN3c108BFloat16EEESt5tupleIJNSA_6TensorESH_SH_EERKSH_lbbbEUlllE_EE10hipError_tT0_T1_T2_jT3_P12ihipStream_tbPNSt15iterator_traitsISN_E10value_typeEPNST_ISO_E10value_typeEPSP_NS1_7vsmem_tEENKUlT_SN_SO_SP_E_clIS8_S8_S9_S9_EESM_S12_SN_SO_SP_EUlS12_E1_NS1_11comp_targetILNS1_3genE10ELNS1_11target_archE1201ELNS1_3gpuE5ELNS1_3repE0EEENS1_36merge_oddeven_config_static_selectorELNS0_4arch9wavefront6targetE1EEEvSO_
                                        ; -- End function
	.set _ZN7rocprim17ROCPRIM_400000_NS6detail17trampoline_kernelINS0_14default_configENS1_38merge_sort_block_merge_config_selectorIlNS0_10empty_typeEEEZZNS1_27merge_sort_block_merge_implIS3_PlPS5_mZN2at6native12_GLOBAL__N_124unique_dim_cuda_templateIN3c108BFloat16EEESt5tupleIJNSA_6TensorESH_SH_EERKSH_lbbbEUlllE_EE10hipError_tT0_T1_T2_jT3_P12ihipStream_tbPNSt15iterator_traitsISN_E10value_typeEPNST_ISO_E10value_typeEPSP_NS1_7vsmem_tEENKUlT_SN_SO_SP_E_clIS8_S8_S9_S9_EESM_S12_SN_SO_SP_EUlS12_E1_NS1_11comp_targetILNS1_3genE10ELNS1_11target_archE1201ELNS1_3gpuE5ELNS1_3repE0EEENS1_36merge_oddeven_config_static_selectorELNS0_4arch9wavefront6targetE1EEEvSO_.num_vgpr, 0
	.set _ZN7rocprim17ROCPRIM_400000_NS6detail17trampoline_kernelINS0_14default_configENS1_38merge_sort_block_merge_config_selectorIlNS0_10empty_typeEEEZZNS1_27merge_sort_block_merge_implIS3_PlPS5_mZN2at6native12_GLOBAL__N_124unique_dim_cuda_templateIN3c108BFloat16EEESt5tupleIJNSA_6TensorESH_SH_EERKSH_lbbbEUlllE_EE10hipError_tT0_T1_T2_jT3_P12ihipStream_tbPNSt15iterator_traitsISN_E10value_typeEPNST_ISO_E10value_typeEPSP_NS1_7vsmem_tEENKUlT_SN_SO_SP_E_clIS8_S8_S9_S9_EESM_S12_SN_SO_SP_EUlS12_E1_NS1_11comp_targetILNS1_3genE10ELNS1_11target_archE1201ELNS1_3gpuE5ELNS1_3repE0EEENS1_36merge_oddeven_config_static_selectorELNS0_4arch9wavefront6targetE1EEEvSO_.num_agpr, 0
	.set _ZN7rocprim17ROCPRIM_400000_NS6detail17trampoline_kernelINS0_14default_configENS1_38merge_sort_block_merge_config_selectorIlNS0_10empty_typeEEEZZNS1_27merge_sort_block_merge_implIS3_PlPS5_mZN2at6native12_GLOBAL__N_124unique_dim_cuda_templateIN3c108BFloat16EEESt5tupleIJNSA_6TensorESH_SH_EERKSH_lbbbEUlllE_EE10hipError_tT0_T1_T2_jT3_P12ihipStream_tbPNSt15iterator_traitsISN_E10value_typeEPNST_ISO_E10value_typeEPSP_NS1_7vsmem_tEENKUlT_SN_SO_SP_E_clIS8_S8_S9_S9_EESM_S12_SN_SO_SP_EUlS12_E1_NS1_11comp_targetILNS1_3genE10ELNS1_11target_archE1201ELNS1_3gpuE5ELNS1_3repE0EEENS1_36merge_oddeven_config_static_selectorELNS0_4arch9wavefront6targetE1EEEvSO_.numbered_sgpr, 0
	.set _ZN7rocprim17ROCPRIM_400000_NS6detail17trampoline_kernelINS0_14default_configENS1_38merge_sort_block_merge_config_selectorIlNS0_10empty_typeEEEZZNS1_27merge_sort_block_merge_implIS3_PlPS5_mZN2at6native12_GLOBAL__N_124unique_dim_cuda_templateIN3c108BFloat16EEESt5tupleIJNSA_6TensorESH_SH_EERKSH_lbbbEUlllE_EE10hipError_tT0_T1_T2_jT3_P12ihipStream_tbPNSt15iterator_traitsISN_E10value_typeEPNST_ISO_E10value_typeEPSP_NS1_7vsmem_tEENKUlT_SN_SO_SP_E_clIS8_S8_S9_S9_EESM_S12_SN_SO_SP_EUlS12_E1_NS1_11comp_targetILNS1_3genE10ELNS1_11target_archE1201ELNS1_3gpuE5ELNS1_3repE0EEENS1_36merge_oddeven_config_static_selectorELNS0_4arch9wavefront6targetE1EEEvSO_.num_named_barrier, 0
	.set _ZN7rocprim17ROCPRIM_400000_NS6detail17trampoline_kernelINS0_14default_configENS1_38merge_sort_block_merge_config_selectorIlNS0_10empty_typeEEEZZNS1_27merge_sort_block_merge_implIS3_PlPS5_mZN2at6native12_GLOBAL__N_124unique_dim_cuda_templateIN3c108BFloat16EEESt5tupleIJNSA_6TensorESH_SH_EERKSH_lbbbEUlllE_EE10hipError_tT0_T1_T2_jT3_P12ihipStream_tbPNSt15iterator_traitsISN_E10value_typeEPNST_ISO_E10value_typeEPSP_NS1_7vsmem_tEENKUlT_SN_SO_SP_E_clIS8_S8_S9_S9_EESM_S12_SN_SO_SP_EUlS12_E1_NS1_11comp_targetILNS1_3genE10ELNS1_11target_archE1201ELNS1_3gpuE5ELNS1_3repE0EEENS1_36merge_oddeven_config_static_selectorELNS0_4arch9wavefront6targetE1EEEvSO_.private_seg_size, 0
	.set _ZN7rocprim17ROCPRIM_400000_NS6detail17trampoline_kernelINS0_14default_configENS1_38merge_sort_block_merge_config_selectorIlNS0_10empty_typeEEEZZNS1_27merge_sort_block_merge_implIS3_PlPS5_mZN2at6native12_GLOBAL__N_124unique_dim_cuda_templateIN3c108BFloat16EEESt5tupleIJNSA_6TensorESH_SH_EERKSH_lbbbEUlllE_EE10hipError_tT0_T1_T2_jT3_P12ihipStream_tbPNSt15iterator_traitsISN_E10value_typeEPNST_ISO_E10value_typeEPSP_NS1_7vsmem_tEENKUlT_SN_SO_SP_E_clIS8_S8_S9_S9_EESM_S12_SN_SO_SP_EUlS12_E1_NS1_11comp_targetILNS1_3genE10ELNS1_11target_archE1201ELNS1_3gpuE5ELNS1_3repE0EEENS1_36merge_oddeven_config_static_selectorELNS0_4arch9wavefront6targetE1EEEvSO_.uses_vcc, 0
	.set _ZN7rocprim17ROCPRIM_400000_NS6detail17trampoline_kernelINS0_14default_configENS1_38merge_sort_block_merge_config_selectorIlNS0_10empty_typeEEEZZNS1_27merge_sort_block_merge_implIS3_PlPS5_mZN2at6native12_GLOBAL__N_124unique_dim_cuda_templateIN3c108BFloat16EEESt5tupleIJNSA_6TensorESH_SH_EERKSH_lbbbEUlllE_EE10hipError_tT0_T1_T2_jT3_P12ihipStream_tbPNSt15iterator_traitsISN_E10value_typeEPNST_ISO_E10value_typeEPSP_NS1_7vsmem_tEENKUlT_SN_SO_SP_E_clIS8_S8_S9_S9_EESM_S12_SN_SO_SP_EUlS12_E1_NS1_11comp_targetILNS1_3genE10ELNS1_11target_archE1201ELNS1_3gpuE5ELNS1_3repE0EEENS1_36merge_oddeven_config_static_selectorELNS0_4arch9wavefront6targetE1EEEvSO_.uses_flat_scratch, 0
	.set _ZN7rocprim17ROCPRIM_400000_NS6detail17trampoline_kernelINS0_14default_configENS1_38merge_sort_block_merge_config_selectorIlNS0_10empty_typeEEEZZNS1_27merge_sort_block_merge_implIS3_PlPS5_mZN2at6native12_GLOBAL__N_124unique_dim_cuda_templateIN3c108BFloat16EEESt5tupleIJNSA_6TensorESH_SH_EERKSH_lbbbEUlllE_EE10hipError_tT0_T1_T2_jT3_P12ihipStream_tbPNSt15iterator_traitsISN_E10value_typeEPNST_ISO_E10value_typeEPSP_NS1_7vsmem_tEENKUlT_SN_SO_SP_E_clIS8_S8_S9_S9_EESM_S12_SN_SO_SP_EUlS12_E1_NS1_11comp_targetILNS1_3genE10ELNS1_11target_archE1201ELNS1_3gpuE5ELNS1_3repE0EEENS1_36merge_oddeven_config_static_selectorELNS0_4arch9wavefront6targetE1EEEvSO_.has_dyn_sized_stack, 0
	.set _ZN7rocprim17ROCPRIM_400000_NS6detail17trampoline_kernelINS0_14default_configENS1_38merge_sort_block_merge_config_selectorIlNS0_10empty_typeEEEZZNS1_27merge_sort_block_merge_implIS3_PlPS5_mZN2at6native12_GLOBAL__N_124unique_dim_cuda_templateIN3c108BFloat16EEESt5tupleIJNSA_6TensorESH_SH_EERKSH_lbbbEUlllE_EE10hipError_tT0_T1_T2_jT3_P12ihipStream_tbPNSt15iterator_traitsISN_E10value_typeEPNST_ISO_E10value_typeEPSP_NS1_7vsmem_tEENKUlT_SN_SO_SP_E_clIS8_S8_S9_S9_EESM_S12_SN_SO_SP_EUlS12_E1_NS1_11comp_targetILNS1_3genE10ELNS1_11target_archE1201ELNS1_3gpuE5ELNS1_3repE0EEENS1_36merge_oddeven_config_static_selectorELNS0_4arch9wavefront6targetE1EEEvSO_.has_recursion, 0
	.set _ZN7rocprim17ROCPRIM_400000_NS6detail17trampoline_kernelINS0_14default_configENS1_38merge_sort_block_merge_config_selectorIlNS0_10empty_typeEEEZZNS1_27merge_sort_block_merge_implIS3_PlPS5_mZN2at6native12_GLOBAL__N_124unique_dim_cuda_templateIN3c108BFloat16EEESt5tupleIJNSA_6TensorESH_SH_EERKSH_lbbbEUlllE_EE10hipError_tT0_T1_T2_jT3_P12ihipStream_tbPNSt15iterator_traitsISN_E10value_typeEPNST_ISO_E10value_typeEPSP_NS1_7vsmem_tEENKUlT_SN_SO_SP_E_clIS8_S8_S9_S9_EESM_S12_SN_SO_SP_EUlS12_E1_NS1_11comp_targetILNS1_3genE10ELNS1_11target_archE1201ELNS1_3gpuE5ELNS1_3repE0EEENS1_36merge_oddeven_config_static_selectorELNS0_4arch9wavefront6targetE1EEEvSO_.has_indirect_call, 0
	.section	.AMDGPU.csdata,"",@progbits
; Kernel info:
; codeLenInByte = 0
; TotalNumSgprs: 6
; NumVgprs: 0
; NumAgprs: 0
; TotalNumVgprs: 0
; ScratchSize: 0
; MemoryBound: 0
; FloatMode: 240
; IeeeMode: 1
; LDSByteSize: 0 bytes/workgroup (compile time only)
; SGPRBlocks: 0
; VGPRBlocks: 0
; NumSGPRsForWavesPerEU: 6
; NumVGPRsForWavesPerEU: 1
; AccumOffset: 4
; Occupancy: 8
; WaveLimiterHint : 0
; COMPUTE_PGM_RSRC2:SCRATCH_EN: 0
; COMPUTE_PGM_RSRC2:USER_SGPR: 2
; COMPUTE_PGM_RSRC2:TRAP_HANDLER: 0
; COMPUTE_PGM_RSRC2:TGID_X_EN: 1
; COMPUTE_PGM_RSRC2:TGID_Y_EN: 0
; COMPUTE_PGM_RSRC2:TGID_Z_EN: 0
; COMPUTE_PGM_RSRC2:TIDIG_COMP_CNT: 0
; COMPUTE_PGM_RSRC3_GFX90A:ACCUM_OFFSET: 0
; COMPUTE_PGM_RSRC3_GFX90A:TG_SPLIT: 0
	.section	.text._ZN7rocprim17ROCPRIM_400000_NS6detail17trampoline_kernelINS0_14default_configENS1_38merge_sort_block_merge_config_selectorIlNS0_10empty_typeEEEZZNS1_27merge_sort_block_merge_implIS3_PlPS5_mZN2at6native12_GLOBAL__N_124unique_dim_cuda_templateIN3c108BFloat16EEESt5tupleIJNSA_6TensorESH_SH_EERKSH_lbbbEUlllE_EE10hipError_tT0_T1_T2_jT3_P12ihipStream_tbPNSt15iterator_traitsISN_E10value_typeEPNST_ISO_E10value_typeEPSP_NS1_7vsmem_tEENKUlT_SN_SO_SP_E_clIS8_S8_S9_S9_EESM_S12_SN_SO_SP_EUlS12_E1_NS1_11comp_targetILNS1_3genE5ELNS1_11target_archE942ELNS1_3gpuE9ELNS1_3repE0EEENS1_36merge_oddeven_config_static_selectorELNS0_4arch9wavefront6targetE1EEEvSO_,"axG",@progbits,_ZN7rocprim17ROCPRIM_400000_NS6detail17trampoline_kernelINS0_14default_configENS1_38merge_sort_block_merge_config_selectorIlNS0_10empty_typeEEEZZNS1_27merge_sort_block_merge_implIS3_PlPS5_mZN2at6native12_GLOBAL__N_124unique_dim_cuda_templateIN3c108BFloat16EEESt5tupleIJNSA_6TensorESH_SH_EERKSH_lbbbEUlllE_EE10hipError_tT0_T1_T2_jT3_P12ihipStream_tbPNSt15iterator_traitsISN_E10value_typeEPNST_ISO_E10value_typeEPSP_NS1_7vsmem_tEENKUlT_SN_SO_SP_E_clIS8_S8_S9_S9_EESM_S12_SN_SO_SP_EUlS12_E1_NS1_11comp_targetILNS1_3genE5ELNS1_11target_archE942ELNS1_3gpuE9ELNS1_3repE0EEENS1_36merge_oddeven_config_static_selectorELNS0_4arch9wavefront6targetE1EEEvSO_,comdat
	.globl	_ZN7rocprim17ROCPRIM_400000_NS6detail17trampoline_kernelINS0_14default_configENS1_38merge_sort_block_merge_config_selectorIlNS0_10empty_typeEEEZZNS1_27merge_sort_block_merge_implIS3_PlPS5_mZN2at6native12_GLOBAL__N_124unique_dim_cuda_templateIN3c108BFloat16EEESt5tupleIJNSA_6TensorESH_SH_EERKSH_lbbbEUlllE_EE10hipError_tT0_T1_T2_jT3_P12ihipStream_tbPNSt15iterator_traitsISN_E10value_typeEPNST_ISO_E10value_typeEPSP_NS1_7vsmem_tEENKUlT_SN_SO_SP_E_clIS8_S8_S9_S9_EESM_S12_SN_SO_SP_EUlS12_E1_NS1_11comp_targetILNS1_3genE5ELNS1_11target_archE942ELNS1_3gpuE9ELNS1_3repE0EEENS1_36merge_oddeven_config_static_selectorELNS0_4arch9wavefront6targetE1EEEvSO_ ; -- Begin function _ZN7rocprim17ROCPRIM_400000_NS6detail17trampoline_kernelINS0_14default_configENS1_38merge_sort_block_merge_config_selectorIlNS0_10empty_typeEEEZZNS1_27merge_sort_block_merge_implIS3_PlPS5_mZN2at6native12_GLOBAL__N_124unique_dim_cuda_templateIN3c108BFloat16EEESt5tupleIJNSA_6TensorESH_SH_EERKSH_lbbbEUlllE_EE10hipError_tT0_T1_T2_jT3_P12ihipStream_tbPNSt15iterator_traitsISN_E10value_typeEPNST_ISO_E10value_typeEPSP_NS1_7vsmem_tEENKUlT_SN_SO_SP_E_clIS8_S8_S9_S9_EESM_S12_SN_SO_SP_EUlS12_E1_NS1_11comp_targetILNS1_3genE5ELNS1_11target_archE942ELNS1_3gpuE9ELNS1_3repE0EEENS1_36merge_oddeven_config_static_selectorELNS0_4arch9wavefront6targetE1EEEvSO_
	.p2align	8
	.type	_ZN7rocprim17ROCPRIM_400000_NS6detail17trampoline_kernelINS0_14default_configENS1_38merge_sort_block_merge_config_selectorIlNS0_10empty_typeEEEZZNS1_27merge_sort_block_merge_implIS3_PlPS5_mZN2at6native12_GLOBAL__N_124unique_dim_cuda_templateIN3c108BFloat16EEESt5tupleIJNSA_6TensorESH_SH_EERKSH_lbbbEUlllE_EE10hipError_tT0_T1_T2_jT3_P12ihipStream_tbPNSt15iterator_traitsISN_E10value_typeEPNST_ISO_E10value_typeEPSP_NS1_7vsmem_tEENKUlT_SN_SO_SP_E_clIS8_S8_S9_S9_EESM_S12_SN_SO_SP_EUlS12_E1_NS1_11comp_targetILNS1_3genE5ELNS1_11target_archE942ELNS1_3gpuE9ELNS1_3repE0EEENS1_36merge_oddeven_config_static_selectorELNS0_4arch9wavefront6targetE1EEEvSO_,@function
_ZN7rocprim17ROCPRIM_400000_NS6detail17trampoline_kernelINS0_14default_configENS1_38merge_sort_block_merge_config_selectorIlNS0_10empty_typeEEEZZNS1_27merge_sort_block_merge_implIS3_PlPS5_mZN2at6native12_GLOBAL__N_124unique_dim_cuda_templateIN3c108BFloat16EEESt5tupleIJNSA_6TensorESH_SH_EERKSH_lbbbEUlllE_EE10hipError_tT0_T1_T2_jT3_P12ihipStream_tbPNSt15iterator_traitsISN_E10value_typeEPNST_ISO_E10value_typeEPSP_NS1_7vsmem_tEENKUlT_SN_SO_SP_E_clIS8_S8_S9_S9_EESM_S12_SN_SO_SP_EUlS12_E1_NS1_11comp_targetILNS1_3genE5ELNS1_11target_archE942ELNS1_3gpuE9ELNS1_3repE0EEENS1_36merge_oddeven_config_static_selectorELNS0_4arch9wavefront6targetE1EEEvSO_: ; @_ZN7rocprim17ROCPRIM_400000_NS6detail17trampoline_kernelINS0_14default_configENS1_38merge_sort_block_merge_config_selectorIlNS0_10empty_typeEEEZZNS1_27merge_sort_block_merge_implIS3_PlPS5_mZN2at6native12_GLOBAL__N_124unique_dim_cuda_templateIN3c108BFloat16EEESt5tupleIJNSA_6TensorESH_SH_EERKSH_lbbbEUlllE_EE10hipError_tT0_T1_T2_jT3_P12ihipStream_tbPNSt15iterator_traitsISN_E10value_typeEPNST_ISO_E10value_typeEPSP_NS1_7vsmem_tEENKUlT_SN_SO_SP_E_clIS8_S8_S9_S9_EESM_S12_SN_SO_SP_EUlS12_E1_NS1_11comp_targetILNS1_3genE5ELNS1_11target_archE942ELNS1_3gpuE9ELNS1_3repE0EEENS1_36merge_oddeven_config_static_selectorELNS0_4arch9wavefront6targetE1EEEvSO_
; %bb.0:
	.section	.rodata,"a",@progbits
	.p2align	6, 0x0
	.amdhsa_kernel _ZN7rocprim17ROCPRIM_400000_NS6detail17trampoline_kernelINS0_14default_configENS1_38merge_sort_block_merge_config_selectorIlNS0_10empty_typeEEEZZNS1_27merge_sort_block_merge_implIS3_PlPS5_mZN2at6native12_GLOBAL__N_124unique_dim_cuda_templateIN3c108BFloat16EEESt5tupleIJNSA_6TensorESH_SH_EERKSH_lbbbEUlllE_EE10hipError_tT0_T1_T2_jT3_P12ihipStream_tbPNSt15iterator_traitsISN_E10value_typeEPNST_ISO_E10value_typeEPSP_NS1_7vsmem_tEENKUlT_SN_SO_SP_E_clIS8_S8_S9_S9_EESM_S12_SN_SO_SP_EUlS12_E1_NS1_11comp_targetILNS1_3genE5ELNS1_11target_archE942ELNS1_3gpuE9ELNS1_3repE0EEENS1_36merge_oddeven_config_static_selectorELNS0_4arch9wavefront6targetE1EEEvSO_
		.amdhsa_group_segment_fixed_size 0
		.amdhsa_private_segment_fixed_size 0
		.amdhsa_kernarg_size 64
		.amdhsa_user_sgpr_count 2
		.amdhsa_user_sgpr_dispatch_ptr 0
		.amdhsa_user_sgpr_queue_ptr 0
		.amdhsa_user_sgpr_kernarg_segment_ptr 1
		.amdhsa_user_sgpr_dispatch_id 0
		.amdhsa_user_sgpr_kernarg_preload_length 0
		.amdhsa_user_sgpr_kernarg_preload_offset 0
		.amdhsa_user_sgpr_private_segment_size 0
		.amdhsa_uses_dynamic_stack 0
		.amdhsa_enable_private_segment 0
		.amdhsa_system_sgpr_workgroup_id_x 1
		.amdhsa_system_sgpr_workgroup_id_y 0
		.amdhsa_system_sgpr_workgroup_id_z 0
		.amdhsa_system_sgpr_workgroup_info 0
		.amdhsa_system_vgpr_workitem_id 0
		.amdhsa_next_free_vgpr 1
		.amdhsa_next_free_sgpr 0
		.amdhsa_accum_offset 4
		.amdhsa_reserve_vcc 0
		.amdhsa_float_round_mode_32 0
		.amdhsa_float_round_mode_16_64 0
		.amdhsa_float_denorm_mode_32 3
		.amdhsa_float_denorm_mode_16_64 3
		.amdhsa_dx10_clamp 1
		.amdhsa_ieee_mode 1
		.amdhsa_fp16_overflow 0
		.amdhsa_tg_split 0
		.amdhsa_exception_fp_ieee_invalid_op 0
		.amdhsa_exception_fp_denorm_src 0
		.amdhsa_exception_fp_ieee_div_zero 0
		.amdhsa_exception_fp_ieee_overflow 0
		.amdhsa_exception_fp_ieee_underflow 0
		.amdhsa_exception_fp_ieee_inexact 0
		.amdhsa_exception_int_div_zero 0
	.end_amdhsa_kernel
	.section	.text._ZN7rocprim17ROCPRIM_400000_NS6detail17trampoline_kernelINS0_14default_configENS1_38merge_sort_block_merge_config_selectorIlNS0_10empty_typeEEEZZNS1_27merge_sort_block_merge_implIS3_PlPS5_mZN2at6native12_GLOBAL__N_124unique_dim_cuda_templateIN3c108BFloat16EEESt5tupleIJNSA_6TensorESH_SH_EERKSH_lbbbEUlllE_EE10hipError_tT0_T1_T2_jT3_P12ihipStream_tbPNSt15iterator_traitsISN_E10value_typeEPNST_ISO_E10value_typeEPSP_NS1_7vsmem_tEENKUlT_SN_SO_SP_E_clIS8_S8_S9_S9_EESM_S12_SN_SO_SP_EUlS12_E1_NS1_11comp_targetILNS1_3genE5ELNS1_11target_archE942ELNS1_3gpuE9ELNS1_3repE0EEENS1_36merge_oddeven_config_static_selectorELNS0_4arch9wavefront6targetE1EEEvSO_,"axG",@progbits,_ZN7rocprim17ROCPRIM_400000_NS6detail17trampoline_kernelINS0_14default_configENS1_38merge_sort_block_merge_config_selectorIlNS0_10empty_typeEEEZZNS1_27merge_sort_block_merge_implIS3_PlPS5_mZN2at6native12_GLOBAL__N_124unique_dim_cuda_templateIN3c108BFloat16EEESt5tupleIJNSA_6TensorESH_SH_EERKSH_lbbbEUlllE_EE10hipError_tT0_T1_T2_jT3_P12ihipStream_tbPNSt15iterator_traitsISN_E10value_typeEPNST_ISO_E10value_typeEPSP_NS1_7vsmem_tEENKUlT_SN_SO_SP_E_clIS8_S8_S9_S9_EESM_S12_SN_SO_SP_EUlS12_E1_NS1_11comp_targetILNS1_3genE5ELNS1_11target_archE942ELNS1_3gpuE9ELNS1_3repE0EEENS1_36merge_oddeven_config_static_selectorELNS0_4arch9wavefront6targetE1EEEvSO_,comdat
.Lfunc_end1143:
	.size	_ZN7rocprim17ROCPRIM_400000_NS6detail17trampoline_kernelINS0_14default_configENS1_38merge_sort_block_merge_config_selectorIlNS0_10empty_typeEEEZZNS1_27merge_sort_block_merge_implIS3_PlPS5_mZN2at6native12_GLOBAL__N_124unique_dim_cuda_templateIN3c108BFloat16EEESt5tupleIJNSA_6TensorESH_SH_EERKSH_lbbbEUlllE_EE10hipError_tT0_T1_T2_jT3_P12ihipStream_tbPNSt15iterator_traitsISN_E10value_typeEPNST_ISO_E10value_typeEPSP_NS1_7vsmem_tEENKUlT_SN_SO_SP_E_clIS8_S8_S9_S9_EESM_S12_SN_SO_SP_EUlS12_E1_NS1_11comp_targetILNS1_3genE5ELNS1_11target_archE942ELNS1_3gpuE9ELNS1_3repE0EEENS1_36merge_oddeven_config_static_selectorELNS0_4arch9wavefront6targetE1EEEvSO_, .Lfunc_end1143-_ZN7rocprim17ROCPRIM_400000_NS6detail17trampoline_kernelINS0_14default_configENS1_38merge_sort_block_merge_config_selectorIlNS0_10empty_typeEEEZZNS1_27merge_sort_block_merge_implIS3_PlPS5_mZN2at6native12_GLOBAL__N_124unique_dim_cuda_templateIN3c108BFloat16EEESt5tupleIJNSA_6TensorESH_SH_EERKSH_lbbbEUlllE_EE10hipError_tT0_T1_T2_jT3_P12ihipStream_tbPNSt15iterator_traitsISN_E10value_typeEPNST_ISO_E10value_typeEPSP_NS1_7vsmem_tEENKUlT_SN_SO_SP_E_clIS8_S8_S9_S9_EESM_S12_SN_SO_SP_EUlS12_E1_NS1_11comp_targetILNS1_3genE5ELNS1_11target_archE942ELNS1_3gpuE9ELNS1_3repE0EEENS1_36merge_oddeven_config_static_selectorELNS0_4arch9wavefront6targetE1EEEvSO_
                                        ; -- End function
	.set _ZN7rocprim17ROCPRIM_400000_NS6detail17trampoline_kernelINS0_14default_configENS1_38merge_sort_block_merge_config_selectorIlNS0_10empty_typeEEEZZNS1_27merge_sort_block_merge_implIS3_PlPS5_mZN2at6native12_GLOBAL__N_124unique_dim_cuda_templateIN3c108BFloat16EEESt5tupleIJNSA_6TensorESH_SH_EERKSH_lbbbEUlllE_EE10hipError_tT0_T1_T2_jT3_P12ihipStream_tbPNSt15iterator_traitsISN_E10value_typeEPNST_ISO_E10value_typeEPSP_NS1_7vsmem_tEENKUlT_SN_SO_SP_E_clIS8_S8_S9_S9_EESM_S12_SN_SO_SP_EUlS12_E1_NS1_11comp_targetILNS1_3genE5ELNS1_11target_archE942ELNS1_3gpuE9ELNS1_3repE0EEENS1_36merge_oddeven_config_static_selectorELNS0_4arch9wavefront6targetE1EEEvSO_.num_vgpr, 0
	.set _ZN7rocprim17ROCPRIM_400000_NS6detail17trampoline_kernelINS0_14default_configENS1_38merge_sort_block_merge_config_selectorIlNS0_10empty_typeEEEZZNS1_27merge_sort_block_merge_implIS3_PlPS5_mZN2at6native12_GLOBAL__N_124unique_dim_cuda_templateIN3c108BFloat16EEESt5tupleIJNSA_6TensorESH_SH_EERKSH_lbbbEUlllE_EE10hipError_tT0_T1_T2_jT3_P12ihipStream_tbPNSt15iterator_traitsISN_E10value_typeEPNST_ISO_E10value_typeEPSP_NS1_7vsmem_tEENKUlT_SN_SO_SP_E_clIS8_S8_S9_S9_EESM_S12_SN_SO_SP_EUlS12_E1_NS1_11comp_targetILNS1_3genE5ELNS1_11target_archE942ELNS1_3gpuE9ELNS1_3repE0EEENS1_36merge_oddeven_config_static_selectorELNS0_4arch9wavefront6targetE1EEEvSO_.num_agpr, 0
	.set _ZN7rocprim17ROCPRIM_400000_NS6detail17trampoline_kernelINS0_14default_configENS1_38merge_sort_block_merge_config_selectorIlNS0_10empty_typeEEEZZNS1_27merge_sort_block_merge_implIS3_PlPS5_mZN2at6native12_GLOBAL__N_124unique_dim_cuda_templateIN3c108BFloat16EEESt5tupleIJNSA_6TensorESH_SH_EERKSH_lbbbEUlllE_EE10hipError_tT0_T1_T2_jT3_P12ihipStream_tbPNSt15iterator_traitsISN_E10value_typeEPNST_ISO_E10value_typeEPSP_NS1_7vsmem_tEENKUlT_SN_SO_SP_E_clIS8_S8_S9_S9_EESM_S12_SN_SO_SP_EUlS12_E1_NS1_11comp_targetILNS1_3genE5ELNS1_11target_archE942ELNS1_3gpuE9ELNS1_3repE0EEENS1_36merge_oddeven_config_static_selectorELNS0_4arch9wavefront6targetE1EEEvSO_.numbered_sgpr, 0
	.set _ZN7rocprim17ROCPRIM_400000_NS6detail17trampoline_kernelINS0_14default_configENS1_38merge_sort_block_merge_config_selectorIlNS0_10empty_typeEEEZZNS1_27merge_sort_block_merge_implIS3_PlPS5_mZN2at6native12_GLOBAL__N_124unique_dim_cuda_templateIN3c108BFloat16EEESt5tupleIJNSA_6TensorESH_SH_EERKSH_lbbbEUlllE_EE10hipError_tT0_T1_T2_jT3_P12ihipStream_tbPNSt15iterator_traitsISN_E10value_typeEPNST_ISO_E10value_typeEPSP_NS1_7vsmem_tEENKUlT_SN_SO_SP_E_clIS8_S8_S9_S9_EESM_S12_SN_SO_SP_EUlS12_E1_NS1_11comp_targetILNS1_3genE5ELNS1_11target_archE942ELNS1_3gpuE9ELNS1_3repE0EEENS1_36merge_oddeven_config_static_selectorELNS0_4arch9wavefront6targetE1EEEvSO_.num_named_barrier, 0
	.set _ZN7rocprim17ROCPRIM_400000_NS6detail17trampoline_kernelINS0_14default_configENS1_38merge_sort_block_merge_config_selectorIlNS0_10empty_typeEEEZZNS1_27merge_sort_block_merge_implIS3_PlPS5_mZN2at6native12_GLOBAL__N_124unique_dim_cuda_templateIN3c108BFloat16EEESt5tupleIJNSA_6TensorESH_SH_EERKSH_lbbbEUlllE_EE10hipError_tT0_T1_T2_jT3_P12ihipStream_tbPNSt15iterator_traitsISN_E10value_typeEPNST_ISO_E10value_typeEPSP_NS1_7vsmem_tEENKUlT_SN_SO_SP_E_clIS8_S8_S9_S9_EESM_S12_SN_SO_SP_EUlS12_E1_NS1_11comp_targetILNS1_3genE5ELNS1_11target_archE942ELNS1_3gpuE9ELNS1_3repE0EEENS1_36merge_oddeven_config_static_selectorELNS0_4arch9wavefront6targetE1EEEvSO_.private_seg_size, 0
	.set _ZN7rocprim17ROCPRIM_400000_NS6detail17trampoline_kernelINS0_14default_configENS1_38merge_sort_block_merge_config_selectorIlNS0_10empty_typeEEEZZNS1_27merge_sort_block_merge_implIS3_PlPS5_mZN2at6native12_GLOBAL__N_124unique_dim_cuda_templateIN3c108BFloat16EEESt5tupleIJNSA_6TensorESH_SH_EERKSH_lbbbEUlllE_EE10hipError_tT0_T1_T2_jT3_P12ihipStream_tbPNSt15iterator_traitsISN_E10value_typeEPNST_ISO_E10value_typeEPSP_NS1_7vsmem_tEENKUlT_SN_SO_SP_E_clIS8_S8_S9_S9_EESM_S12_SN_SO_SP_EUlS12_E1_NS1_11comp_targetILNS1_3genE5ELNS1_11target_archE942ELNS1_3gpuE9ELNS1_3repE0EEENS1_36merge_oddeven_config_static_selectorELNS0_4arch9wavefront6targetE1EEEvSO_.uses_vcc, 0
	.set _ZN7rocprim17ROCPRIM_400000_NS6detail17trampoline_kernelINS0_14default_configENS1_38merge_sort_block_merge_config_selectorIlNS0_10empty_typeEEEZZNS1_27merge_sort_block_merge_implIS3_PlPS5_mZN2at6native12_GLOBAL__N_124unique_dim_cuda_templateIN3c108BFloat16EEESt5tupleIJNSA_6TensorESH_SH_EERKSH_lbbbEUlllE_EE10hipError_tT0_T1_T2_jT3_P12ihipStream_tbPNSt15iterator_traitsISN_E10value_typeEPNST_ISO_E10value_typeEPSP_NS1_7vsmem_tEENKUlT_SN_SO_SP_E_clIS8_S8_S9_S9_EESM_S12_SN_SO_SP_EUlS12_E1_NS1_11comp_targetILNS1_3genE5ELNS1_11target_archE942ELNS1_3gpuE9ELNS1_3repE0EEENS1_36merge_oddeven_config_static_selectorELNS0_4arch9wavefront6targetE1EEEvSO_.uses_flat_scratch, 0
	.set _ZN7rocprim17ROCPRIM_400000_NS6detail17trampoline_kernelINS0_14default_configENS1_38merge_sort_block_merge_config_selectorIlNS0_10empty_typeEEEZZNS1_27merge_sort_block_merge_implIS3_PlPS5_mZN2at6native12_GLOBAL__N_124unique_dim_cuda_templateIN3c108BFloat16EEESt5tupleIJNSA_6TensorESH_SH_EERKSH_lbbbEUlllE_EE10hipError_tT0_T1_T2_jT3_P12ihipStream_tbPNSt15iterator_traitsISN_E10value_typeEPNST_ISO_E10value_typeEPSP_NS1_7vsmem_tEENKUlT_SN_SO_SP_E_clIS8_S8_S9_S9_EESM_S12_SN_SO_SP_EUlS12_E1_NS1_11comp_targetILNS1_3genE5ELNS1_11target_archE942ELNS1_3gpuE9ELNS1_3repE0EEENS1_36merge_oddeven_config_static_selectorELNS0_4arch9wavefront6targetE1EEEvSO_.has_dyn_sized_stack, 0
	.set _ZN7rocprim17ROCPRIM_400000_NS6detail17trampoline_kernelINS0_14default_configENS1_38merge_sort_block_merge_config_selectorIlNS0_10empty_typeEEEZZNS1_27merge_sort_block_merge_implIS3_PlPS5_mZN2at6native12_GLOBAL__N_124unique_dim_cuda_templateIN3c108BFloat16EEESt5tupleIJNSA_6TensorESH_SH_EERKSH_lbbbEUlllE_EE10hipError_tT0_T1_T2_jT3_P12ihipStream_tbPNSt15iterator_traitsISN_E10value_typeEPNST_ISO_E10value_typeEPSP_NS1_7vsmem_tEENKUlT_SN_SO_SP_E_clIS8_S8_S9_S9_EESM_S12_SN_SO_SP_EUlS12_E1_NS1_11comp_targetILNS1_3genE5ELNS1_11target_archE942ELNS1_3gpuE9ELNS1_3repE0EEENS1_36merge_oddeven_config_static_selectorELNS0_4arch9wavefront6targetE1EEEvSO_.has_recursion, 0
	.set _ZN7rocprim17ROCPRIM_400000_NS6detail17trampoline_kernelINS0_14default_configENS1_38merge_sort_block_merge_config_selectorIlNS0_10empty_typeEEEZZNS1_27merge_sort_block_merge_implIS3_PlPS5_mZN2at6native12_GLOBAL__N_124unique_dim_cuda_templateIN3c108BFloat16EEESt5tupleIJNSA_6TensorESH_SH_EERKSH_lbbbEUlllE_EE10hipError_tT0_T1_T2_jT3_P12ihipStream_tbPNSt15iterator_traitsISN_E10value_typeEPNST_ISO_E10value_typeEPSP_NS1_7vsmem_tEENKUlT_SN_SO_SP_E_clIS8_S8_S9_S9_EESM_S12_SN_SO_SP_EUlS12_E1_NS1_11comp_targetILNS1_3genE5ELNS1_11target_archE942ELNS1_3gpuE9ELNS1_3repE0EEENS1_36merge_oddeven_config_static_selectorELNS0_4arch9wavefront6targetE1EEEvSO_.has_indirect_call, 0
	.section	.AMDGPU.csdata,"",@progbits
; Kernel info:
; codeLenInByte = 0
; TotalNumSgprs: 6
; NumVgprs: 0
; NumAgprs: 0
; TotalNumVgprs: 0
; ScratchSize: 0
; MemoryBound: 0
; FloatMode: 240
; IeeeMode: 1
; LDSByteSize: 0 bytes/workgroup (compile time only)
; SGPRBlocks: 0
; VGPRBlocks: 0
; NumSGPRsForWavesPerEU: 6
; NumVGPRsForWavesPerEU: 1
; AccumOffset: 4
; Occupancy: 8
; WaveLimiterHint : 0
; COMPUTE_PGM_RSRC2:SCRATCH_EN: 0
; COMPUTE_PGM_RSRC2:USER_SGPR: 2
; COMPUTE_PGM_RSRC2:TRAP_HANDLER: 0
; COMPUTE_PGM_RSRC2:TGID_X_EN: 1
; COMPUTE_PGM_RSRC2:TGID_Y_EN: 0
; COMPUTE_PGM_RSRC2:TGID_Z_EN: 0
; COMPUTE_PGM_RSRC2:TIDIG_COMP_CNT: 0
; COMPUTE_PGM_RSRC3_GFX90A:ACCUM_OFFSET: 0
; COMPUTE_PGM_RSRC3_GFX90A:TG_SPLIT: 0
	.section	.text._ZN7rocprim17ROCPRIM_400000_NS6detail17trampoline_kernelINS0_14default_configENS1_38merge_sort_block_merge_config_selectorIlNS0_10empty_typeEEEZZNS1_27merge_sort_block_merge_implIS3_PlPS5_mZN2at6native12_GLOBAL__N_124unique_dim_cuda_templateIN3c108BFloat16EEESt5tupleIJNSA_6TensorESH_SH_EERKSH_lbbbEUlllE_EE10hipError_tT0_T1_T2_jT3_P12ihipStream_tbPNSt15iterator_traitsISN_E10value_typeEPNST_ISO_E10value_typeEPSP_NS1_7vsmem_tEENKUlT_SN_SO_SP_E_clIS8_S8_S9_S9_EESM_S12_SN_SO_SP_EUlS12_E1_NS1_11comp_targetILNS1_3genE4ELNS1_11target_archE910ELNS1_3gpuE8ELNS1_3repE0EEENS1_36merge_oddeven_config_static_selectorELNS0_4arch9wavefront6targetE1EEEvSO_,"axG",@progbits,_ZN7rocprim17ROCPRIM_400000_NS6detail17trampoline_kernelINS0_14default_configENS1_38merge_sort_block_merge_config_selectorIlNS0_10empty_typeEEEZZNS1_27merge_sort_block_merge_implIS3_PlPS5_mZN2at6native12_GLOBAL__N_124unique_dim_cuda_templateIN3c108BFloat16EEESt5tupleIJNSA_6TensorESH_SH_EERKSH_lbbbEUlllE_EE10hipError_tT0_T1_T2_jT3_P12ihipStream_tbPNSt15iterator_traitsISN_E10value_typeEPNST_ISO_E10value_typeEPSP_NS1_7vsmem_tEENKUlT_SN_SO_SP_E_clIS8_S8_S9_S9_EESM_S12_SN_SO_SP_EUlS12_E1_NS1_11comp_targetILNS1_3genE4ELNS1_11target_archE910ELNS1_3gpuE8ELNS1_3repE0EEENS1_36merge_oddeven_config_static_selectorELNS0_4arch9wavefront6targetE1EEEvSO_,comdat
	.globl	_ZN7rocprim17ROCPRIM_400000_NS6detail17trampoline_kernelINS0_14default_configENS1_38merge_sort_block_merge_config_selectorIlNS0_10empty_typeEEEZZNS1_27merge_sort_block_merge_implIS3_PlPS5_mZN2at6native12_GLOBAL__N_124unique_dim_cuda_templateIN3c108BFloat16EEESt5tupleIJNSA_6TensorESH_SH_EERKSH_lbbbEUlllE_EE10hipError_tT0_T1_T2_jT3_P12ihipStream_tbPNSt15iterator_traitsISN_E10value_typeEPNST_ISO_E10value_typeEPSP_NS1_7vsmem_tEENKUlT_SN_SO_SP_E_clIS8_S8_S9_S9_EESM_S12_SN_SO_SP_EUlS12_E1_NS1_11comp_targetILNS1_3genE4ELNS1_11target_archE910ELNS1_3gpuE8ELNS1_3repE0EEENS1_36merge_oddeven_config_static_selectorELNS0_4arch9wavefront6targetE1EEEvSO_ ; -- Begin function _ZN7rocprim17ROCPRIM_400000_NS6detail17trampoline_kernelINS0_14default_configENS1_38merge_sort_block_merge_config_selectorIlNS0_10empty_typeEEEZZNS1_27merge_sort_block_merge_implIS3_PlPS5_mZN2at6native12_GLOBAL__N_124unique_dim_cuda_templateIN3c108BFloat16EEESt5tupleIJNSA_6TensorESH_SH_EERKSH_lbbbEUlllE_EE10hipError_tT0_T1_T2_jT3_P12ihipStream_tbPNSt15iterator_traitsISN_E10value_typeEPNST_ISO_E10value_typeEPSP_NS1_7vsmem_tEENKUlT_SN_SO_SP_E_clIS8_S8_S9_S9_EESM_S12_SN_SO_SP_EUlS12_E1_NS1_11comp_targetILNS1_3genE4ELNS1_11target_archE910ELNS1_3gpuE8ELNS1_3repE0EEENS1_36merge_oddeven_config_static_selectorELNS0_4arch9wavefront6targetE1EEEvSO_
	.p2align	8
	.type	_ZN7rocprim17ROCPRIM_400000_NS6detail17trampoline_kernelINS0_14default_configENS1_38merge_sort_block_merge_config_selectorIlNS0_10empty_typeEEEZZNS1_27merge_sort_block_merge_implIS3_PlPS5_mZN2at6native12_GLOBAL__N_124unique_dim_cuda_templateIN3c108BFloat16EEESt5tupleIJNSA_6TensorESH_SH_EERKSH_lbbbEUlllE_EE10hipError_tT0_T1_T2_jT3_P12ihipStream_tbPNSt15iterator_traitsISN_E10value_typeEPNST_ISO_E10value_typeEPSP_NS1_7vsmem_tEENKUlT_SN_SO_SP_E_clIS8_S8_S9_S9_EESM_S12_SN_SO_SP_EUlS12_E1_NS1_11comp_targetILNS1_3genE4ELNS1_11target_archE910ELNS1_3gpuE8ELNS1_3repE0EEENS1_36merge_oddeven_config_static_selectorELNS0_4arch9wavefront6targetE1EEEvSO_,@function
_ZN7rocprim17ROCPRIM_400000_NS6detail17trampoline_kernelINS0_14default_configENS1_38merge_sort_block_merge_config_selectorIlNS0_10empty_typeEEEZZNS1_27merge_sort_block_merge_implIS3_PlPS5_mZN2at6native12_GLOBAL__N_124unique_dim_cuda_templateIN3c108BFloat16EEESt5tupleIJNSA_6TensorESH_SH_EERKSH_lbbbEUlllE_EE10hipError_tT0_T1_T2_jT3_P12ihipStream_tbPNSt15iterator_traitsISN_E10value_typeEPNST_ISO_E10value_typeEPSP_NS1_7vsmem_tEENKUlT_SN_SO_SP_E_clIS8_S8_S9_S9_EESM_S12_SN_SO_SP_EUlS12_E1_NS1_11comp_targetILNS1_3genE4ELNS1_11target_archE910ELNS1_3gpuE8ELNS1_3repE0EEENS1_36merge_oddeven_config_static_selectorELNS0_4arch9wavefront6targetE1EEEvSO_: ; @_ZN7rocprim17ROCPRIM_400000_NS6detail17trampoline_kernelINS0_14default_configENS1_38merge_sort_block_merge_config_selectorIlNS0_10empty_typeEEEZZNS1_27merge_sort_block_merge_implIS3_PlPS5_mZN2at6native12_GLOBAL__N_124unique_dim_cuda_templateIN3c108BFloat16EEESt5tupleIJNSA_6TensorESH_SH_EERKSH_lbbbEUlllE_EE10hipError_tT0_T1_T2_jT3_P12ihipStream_tbPNSt15iterator_traitsISN_E10value_typeEPNST_ISO_E10value_typeEPSP_NS1_7vsmem_tEENKUlT_SN_SO_SP_E_clIS8_S8_S9_S9_EESM_S12_SN_SO_SP_EUlS12_E1_NS1_11comp_targetILNS1_3genE4ELNS1_11target_archE910ELNS1_3gpuE8ELNS1_3repE0EEENS1_36merge_oddeven_config_static_selectorELNS0_4arch9wavefront6targetE1EEEvSO_
; %bb.0:
	.section	.rodata,"a",@progbits
	.p2align	6, 0x0
	.amdhsa_kernel _ZN7rocprim17ROCPRIM_400000_NS6detail17trampoline_kernelINS0_14default_configENS1_38merge_sort_block_merge_config_selectorIlNS0_10empty_typeEEEZZNS1_27merge_sort_block_merge_implIS3_PlPS5_mZN2at6native12_GLOBAL__N_124unique_dim_cuda_templateIN3c108BFloat16EEESt5tupleIJNSA_6TensorESH_SH_EERKSH_lbbbEUlllE_EE10hipError_tT0_T1_T2_jT3_P12ihipStream_tbPNSt15iterator_traitsISN_E10value_typeEPNST_ISO_E10value_typeEPSP_NS1_7vsmem_tEENKUlT_SN_SO_SP_E_clIS8_S8_S9_S9_EESM_S12_SN_SO_SP_EUlS12_E1_NS1_11comp_targetILNS1_3genE4ELNS1_11target_archE910ELNS1_3gpuE8ELNS1_3repE0EEENS1_36merge_oddeven_config_static_selectorELNS0_4arch9wavefront6targetE1EEEvSO_
		.amdhsa_group_segment_fixed_size 0
		.amdhsa_private_segment_fixed_size 0
		.amdhsa_kernarg_size 64
		.amdhsa_user_sgpr_count 2
		.amdhsa_user_sgpr_dispatch_ptr 0
		.amdhsa_user_sgpr_queue_ptr 0
		.amdhsa_user_sgpr_kernarg_segment_ptr 1
		.amdhsa_user_sgpr_dispatch_id 0
		.amdhsa_user_sgpr_kernarg_preload_length 0
		.amdhsa_user_sgpr_kernarg_preload_offset 0
		.amdhsa_user_sgpr_private_segment_size 0
		.amdhsa_uses_dynamic_stack 0
		.amdhsa_enable_private_segment 0
		.amdhsa_system_sgpr_workgroup_id_x 1
		.amdhsa_system_sgpr_workgroup_id_y 0
		.amdhsa_system_sgpr_workgroup_id_z 0
		.amdhsa_system_sgpr_workgroup_info 0
		.amdhsa_system_vgpr_workitem_id 0
		.amdhsa_next_free_vgpr 1
		.amdhsa_next_free_sgpr 0
		.amdhsa_accum_offset 4
		.amdhsa_reserve_vcc 0
		.amdhsa_float_round_mode_32 0
		.amdhsa_float_round_mode_16_64 0
		.amdhsa_float_denorm_mode_32 3
		.amdhsa_float_denorm_mode_16_64 3
		.amdhsa_dx10_clamp 1
		.amdhsa_ieee_mode 1
		.amdhsa_fp16_overflow 0
		.amdhsa_tg_split 0
		.amdhsa_exception_fp_ieee_invalid_op 0
		.amdhsa_exception_fp_denorm_src 0
		.amdhsa_exception_fp_ieee_div_zero 0
		.amdhsa_exception_fp_ieee_overflow 0
		.amdhsa_exception_fp_ieee_underflow 0
		.amdhsa_exception_fp_ieee_inexact 0
		.amdhsa_exception_int_div_zero 0
	.end_amdhsa_kernel
	.section	.text._ZN7rocprim17ROCPRIM_400000_NS6detail17trampoline_kernelINS0_14default_configENS1_38merge_sort_block_merge_config_selectorIlNS0_10empty_typeEEEZZNS1_27merge_sort_block_merge_implIS3_PlPS5_mZN2at6native12_GLOBAL__N_124unique_dim_cuda_templateIN3c108BFloat16EEESt5tupleIJNSA_6TensorESH_SH_EERKSH_lbbbEUlllE_EE10hipError_tT0_T1_T2_jT3_P12ihipStream_tbPNSt15iterator_traitsISN_E10value_typeEPNST_ISO_E10value_typeEPSP_NS1_7vsmem_tEENKUlT_SN_SO_SP_E_clIS8_S8_S9_S9_EESM_S12_SN_SO_SP_EUlS12_E1_NS1_11comp_targetILNS1_3genE4ELNS1_11target_archE910ELNS1_3gpuE8ELNS1_3repE0EEENS1_36merge_oddeven_config_static_selectorELNS0_4arch9wavefront6targetE1EEEvSO_,"axG",@progbits,_ZN7rocprim17ROCPRIM_400000_NS6detail17trampoline_kernelINS0_14default_configENS1_38merge_sort_block_merge_config_selectorIlNS0_10empty_typeEEEZZNS1_27merge_sort_block_merge_implIS3_PlPS5_mZN2at6native12_GLOBAL__N_124unique_dim_cuda_templateIN3c108BFloat16EEESt5tupleIJNSA_6TensorESH_SH_EERKSH_lbbbEUlllE_EE10hipError_tT0_T1_T2_jT3_P12ihipStream_tbPNSt15iterator_traitsISN_E10value_typeEPNST_ISO_E10value_typeEPSP_NS1_7vsmem_tEENKUlT_SN_SO_SP_E_clIS8_S8_S9_S9_EESM_S12_SN_SO_SP_EUlS12_E1_NS1_11comp_targetILNS1_3genE4ELNS1_11target_archE910ELNS1_3gpuE8ELNS1_3repE0EEENS1_36merge_oddeven_config_static_selectorELNS0_4arch9wavefront6targetE1EEEvSO_,comdat
.Lfunc_end1144:
	.size	_ZN7rocprim17ROCPRIM_400000_NS6detail17trampoline_kernelINS0_14default_configENS1_38merge_sort_block_merge_config_selectorIlNS0_10empty_typeEEEZZNS1_27merge_sort_block_merge_implIS3_PlPS5_mZN2at6native12_GLOBAL__N_124unique_dim_cuda_templateIN3c108BFloat16EEESt5tupleIJNSA_6TensorESH_SH_EERKSH_lbbbEUlllE_EE10hipError_tT0_T1_T2_jT3_P12ihipStream_tbPNSt15iterator_traitsISN_E10value_typeEPNST_ISO_E10value_typeEPSP_NS1_7vsmem_tEENKUlT_SN_SO_SP_E_clIS8_S8_S9_S9_EESM_S12_SN_SO_SP_EUlS12_E1_NS1_11comp_targetILNS1_3genE4ELNS1_11target_archE910ELNS1_3gpuE8ELNS1_3repE0EEENS1_36merge_oddeven_config_static_selectorELNS0_4arch9wavefront6targetE1EEEvSO_, .Lfunc_end1144-_ZN7rocprim17ROCPRIM_400000_NS6detail17trampoline_kernelINS0_14default_configENS1_38merge_sort_block_merge_config_selectorIlNS0_10empty_typeEEEZZNS1_27merge_sort_block_merge_implIS3_PlPS5_mZN2at6native12_GLOBAL__N_124unique_dim_cuda_templateIN3c108BFloat16EEESt5tupleIJNSA_6TensorESH_SH_EERKSH_lbbbEUlllE_EE10hipError_tT0_T1_T2_jT3_P12ihipStream_tbPNSt15iterator_traitsISN_E10value_typeEPNST_ISO_E10value_typeEPSP_NS1_7vsmem_tEENKUlT_SN_SO_SP_E_clIS8_S8_S9_S9_EESM_S12_SN_SO_SP_EUlS12_E1_NS1_11comp_targetILNS1_3genE4ELNS1_11target_archE910ELNS1_3gpuE8ELNS1_3repE0EEENS1_36merge_oddeven_config_static_selectorELNS0_4arch9wavefront6targetE1EEEvSO_
                                        ; -- End function
	.set _ZN7rocprim17ROCPRIM_400000_NS6detail17trampoline_kernelINS0_14default_configENS1_38merge_sort_block_merge_config_selectorIlNS0_10empty_typeEEEZZNS1_27merge_sort_block_merge_implIS3_PlPS5_mZN2at6native12_GLOBAL__N_124unique_dim_cuda_templateIN3c108BFloat16EEESt5tupleIJNSA_6TensorESH_SH_EERKSH_lbbbEUlllE_EE10hipError_tT0_T1_T2_jT3_P12ihipStream_tbPNSt15iterator_traitsISN_E10value_typeEPNST_ISO_E10value_typeEPSP_NS1_7vsmem_tEENKUlT_SN_SO_SP_E_clIS8_S8_S9_S9_EESM_S12_SN_SO_SP_EUlS12_E1_NS1_11comp_targetILNS1_3genE4ELNS1_11target_archE910ELNS1_3gpuE8ELNS1_3repE0EEENS1_36merge_oddeven_config_static_selectorELNS0_4arch9wavefront6targetE1EEEvSO_.num_vgpr, 0
	.set _ZN7rocprim17ROCPRIM_400000_NS6detail17trampoline_kernelINS0_14default_configENS1_38merge_sort_block_merge_config_selectorIlNS0_10empty_typeEEEZZNS1_27merge_sort_block_merge_implIS3_PlPS5_mZN2at6native12_GLOBAL__N_124unique_dim_cuda_templateIN3c108BFloat16EEESt5tupleIJNSA_6TensorESH_SH_EERKSH_lbbbEUlllE_EE10hipError_tT0_T1_T2_jT3_P12ihipStream_tbPNSt15iterator_traitsISN_E10value_typeEPNST_ISO_E10value_typeEPSP_NS1_7vsmem_tEENKUlT_SN_SO_SP_E_clIS8_S8_S9_S9_EESM_S12_SN_SO_SP_EUlS12_E1_NS1_11comp_targetILNS1_3genE4ELNS1_11target_archE910ELNS1_3gpuE8ELNS1_3repE0EEENS1_36merge_oddeven_config_static_selectorELNS0_4arch9wavefront6targetE1EEEvSO_.num_agpr, 0
	.set _ZN7rocprim17ROCPRIM_400000_NS6detail17trampoline_kernelINS0_14default_configENS1_38merge_sort_block_merge_config_selectorIlNS0_10empty_typeEEEZZNS1_27merge_sort_block_merge_implIS3_PlPS5_mZN2at6native12_GLOBAL__N_124unique_dim_cuda_templateIN3c108BFloat16EEESt5tupleIJNSA_6TensorESH_SH_EERKSH_lbbbEUlllE_EE10hipError_tT0_T1_T2_jT3_P12ihipStream_tbPNSt15iterator_traitsISN_E10value_typeEPNST_ISO_E10value_typeEPSP_NS1_7vsmem_tEENKUlT_SN_SO_SP_E_clIS8_S8_S9_S9_EESM_S12_SN_SO_SP_EUlS12_E1_NS1_11comp_targetILNS1_3genE4ELNS1_11target_archE910ELNS1_3gpuE8ELNS1_3repE0EEENS1_36merge_oddeven_config_static_selectorELNS0_4arch9wavefront6targetE1EEEvSO_.numbered_sgpr, 0
	.set _ZN7rocprim17ROCPRIM_400000_NS6detail17trampoline_kernelINS0_14default_configENS1_38merge_sort_block_merge_config_selectorIlNS0_10empty_typeEEEZZNS1_27merge_sort_block_merge_implIS3_PlPS5_mZN2at6native12_GLOBAL__N_124unique_dim_cuda_templateIN3c108BFloat16EEESt5tupleIJNSA_6TensorESH_SH_EERKSH_lbbbEUlllE_EE10hipError_tT0_T1_T2_jT3_P12ihipStream_tbPNSt15iterator_traitsISN_E10value_typeEPNST_ISO_E10value_typeEPSP_NS1_7vsmem_tEENKUlT_SN_SO_SP_E_clIS8_S8_S9_S9_EESM_S12_SN_SO_SP_EUlS12_E1_NS1_11comp_targetILNS1_3genE4ELNS1_11target_archE910ELNS1_3gpuE8ELNS1_3repE0EEENS1_36merge_oddeven_config_static_selectorELNS0_4arch9wavefront6targetE1EEEvSO_.num_named_barrier, 0
	.set _ZN7rocprim17ROCPRIM_400000_NS6detail17trampoline_kernelINS0_14default_configENS1_38merge_sort_block_merge_config_selectorIlNS0_10empty_typeEEEZZNS1_27merge_sort_block_merge_implIS3_PlPS5_mZN2at6native12_GLOBAL__N_124unique_dim_cuda_templateIN3c108BFloat16EEESt5tupleIJNSA_6TensorESH_SH_EERKSH_lbbbEUlllE_EE10hipError_tT0_T1_T2_jT3_P12ihipStream_tbPNSt15iterator_traitsISN_E10value_typeEPNST_ISO_E10value_typeEPSP_NS1_7vsmem_tEENKUlT_SN_SO_SP_E_clIS8_S8_S9_S9_EESM_S12_SN_SO_SP_EUlS12_E1_NS1_11comp_targetILNS1_3genE4ELNS1_11target_archE910ELNS1_3gpuE8ELNS1_3repE0EEENS1_36merge_oddeven_config_static_selectorELNS0_4arch9wavefront6targetE1EEEvSO_.private_seg_size, 0
	.set _ZN7rocprim17ROCPRIM_400000_NS6detail17trampoline_kernelINS0_14default_configENS1_38merge_sort_block_merge_config_selectorIlNS0_10empty_typeEEEZZNS1_27merge_sort_block_merge_implIS3_PlPS5_mZN2at6native12_GLOBAL__N_124unique_dim_cuda_templateIN3c108BFloat16EEESt5tupleIJNSA_6TensorESH_SH_EERKSH_lbbbEUlllE_EE10hipError_tT0_T1_T2_jT3_P12ihipStream_tbPNSt15iterator_traitsISN_E10value_typeEPNST_ISO_E10value_typeEPSP_NS1_7vsmem_tEENKUlT_SN_SO_SP_E_clIS8_S8_S9_S9_EESM_S12_SN_SO_SP_EUlS12_E1_NS1_11comp_targetILNS1_3genE4ELNS1_11target_archE910ELNS1_3gpuE8ELNS1_3repE0EEENS1_36merge_oddeven_config_static_selectorELNS0_4arch9wavefront6targetE1EEEvSO_.uses_vcc, 0
	.set _ZN7rocprim17ROCPRIM_400000_NS6detail17trampoline_kernelINS0_14default_configENS1_38merge_sort_block_merge_config_selectorIlNS0_10empty_typeEEEZZNS1_27merge_sort_block_merge_implIS3_PlPS5_mZN2at6native12_GLOBAL__N_124unique_dim_cuda_templateIN3c108BFloat16EEESt5tupleIJNSA_6TensorESH_SH_EERKSH_lbbbEUlllE_EE10hipError_tT0_T1_T2_jT3_P12ihipStream_tbPNSt15iterator_traitsISN_E10value_typeEPNST_ISO_E10value_typeEPSP_NS1_7vsmem_tEENKUlT_SN_SO_SP_E_clIS8_S8_S9_S9_EESM_S12_SN_SO_SP_EUlS12_E1_NS1_11comp_targetILNS1_3genE4ELNS1_11target_archE910ELNS1_3gpuE8ELNS1_3repE0EEENS1_36merge_oddeven_config_static_selectorELNS0_4arch9wavefront6targetE1EEEvSO_.uses_flat_scratch, 0
	.set _ZN7rocprim17ROCPRIM_400000_NS6detail17trampoline_kernelINS0_14default_configENS1_38merge_sort_block_merge_config_selectorIlNS0_10empty_typeEEEZZNS1_27merge_sort_block_merge_implIS3_PlPS5_mZN2at6native12_GLOBAL__N_124unique_dim_cuda_templateIN3c108BFloat16EEESt5tupleIJNSA_6TensorESH_SH_EERKSH_lbbbEUlllE_EE10hipError_tT0_T1_T2_jT3_P12ihipStream_tbPNSt15iterator_traitsISN_E10value_typeEPNST_ISO_E10value_typeEPSP_NS1_7vsmem_tEENKUlT_SN_SO_SP_E_clIS8_S8_S9_S9_EESM_S12_SN_SO_SP_EUlS12_E1_NS1_11comp_targetILNS1_3genE4ELNS1_11target_archE910ELNS1_3gpuE8ELNS1_3repE0EEENS1_36merge_oddeven_config_static_selectorELNS0_4arch9wavefront6targetE1EEEvSO_.has_dyn_sized_stack, 0
	.set _ZN7rocprim17ROCPRIM_400000_NS6detail17trampoline_kernelINS0_14default_configENS1_38merge_sort_block_merge_config_selectorIlNS0_10empty_typeEEEZZNS1_27merge_sort_block_merge_implIS3_PlPS5_mZN2at6native12_GLOBAL__N_124unique_dim_cuda_templateIN3c108BFloat16EEESt5tupleIJNSA_6TensorESH_SH_EERKSH_lbbbEUlllE_EE10hipError_tT0_T1_T2_jT3_P12ihipStream_tbPNSt15iterator_traitsISN_E10value_typeEPNST_ISO_E10value_typeEPSP_NS1_7vsmem_tEENKUlT_SN_SO_SP_E_clIS8_S8_S9_S9_EESM_S12_SN_SO_SP_EUlS12_E1_NS1_11comp_targetILNS1_3genE4ELNS1_11target_archE910ELNS1_3gpuE8ELNS1_3repE0EEENS1_36merge_oddeven_config_static_selectorELNS0_4arch9wavefront6targetE1EEEvSO_.has_recursion, 0
	.set _ZN7rocprim17ROCPRIM_400000_NS6detail17trampoline_kernelINS0_14default_configENS1_38merge_sort_block_merge_config_selectorIlNS0_10empty_typeEEEZZNS1_27merge_sort_block_merge_implIS3_PlPS5_mZN2at6native12_GLOBAL__N_124unique_dim_cuda_templateIN3c108BFloat16EEESt5tupleIJNSA_6TensorESH_SH_EERKSH_lbbbEUlllE_EE10hipError_tT0_T1_T2_jT3_P12ihipStream_tbPNSt15iterator_traitsISN_E10value_typeEPNST_ISO_E10value_typeEPSP_NS1_7vsmem_tEENKUlT_SN_SO_SP_E_clIS8_S8_S9_S9_EESM_S12_SN_SO_SP_EUlS12_E1_NS1_11comp_targetILNS1_3genE4ELNS1_11target_archE910ELNS1_3gpuE8ELNS1_3repE0EEENS1_36merge_oddeven_config_static_selectorELNS0_4arch9wavefront6targetE1EEEvSO_.has_indirect_call, 0
	.section	.AMDGPU.csdata,"",@progbits
; Kernel info:
; codeLenInByte = 0
; TotalNumSgprs: 6
; NumVgprs: 0
; NumAgprs: 0
; TotalNumVgprs: 0
; ScratchSize: 0
; MemoryBound: 0
; FloatMode: 240
; IeeeMode: 1
; LDSByteSize: 0 bytes/workgroup (compile time only)
; SGPRBlocks: 0
; VGPRBlocks: 0
; NumSGPRsForWavesPerEU: 6
; NumVGPRsForWavesPerEU: 1
; AccumOffset: 4
; Occupancy: 8
; WaveLimiterHint : 0
; COMPUTE_PGM_RSRC2:SCRATCH_EN: 0
; COMPUTE_PGM_RSRC2:USER_SGPR: 2
; COMPUTE_PGM_RSRC2:TRAP_HANDLER: 0
; COMPUTE_PGM_RSRC2:TGID_X_EN: 1
; COMPUTE_PGM_RSRC2:TGID_Y_EN: 0
; COMPUTE_PGM_RSRC2:TGID_Z_EN: 0
; COMPUTE_PGM_RSRC2:TIDIG_COMP_CNT: 0
; COMPUTE_PGM_RSRC3_GFX90A:ACCUM_OFFSET: 0
; COMPUTE_PGM_RSRC3_GFX90A:TG_SPLIT: 0
	.section	.text._ZN7rocprim17ROCPRIM_400000_NS6detail17trampoline_kernelINS0_14default_configENS1_38merge_sort_block_merge_config_selectorIlNS0_10empty_typeEEEZZNS1_27merge_sort_block_merge_implIS3_PlPS5_mZN2at6native12_GLOBAL__N_124unique_dim_cuda_templateIN3c108BFloat16EEESt5tupleIJNSA_6TensorESH_SH_EERKSH_lbbbEUlllE_EE10hipError_tT0_T1_T2_jT3_P12ihipStream_tbPNSt15iterator_traitsISN_E10value_typeEPNST_ISO_E10value_typeEPSP_NS1_7vsmem_tEENKUlT_SN_SO_SP_E_clIS8_S8_S9_S9_EESM_S12_SN_SO_SP_EUlS12_E1_NS1_11comp_targetILNS1_3genE3ELNS1_11target_archE908ELNS1_3gpuE7ELNS1_3repE0EEENS1_36merge_oddeven_config_static_selectorELNS0_4arch9wavefront6targetE1EEEvSO_,"axG",@progbits,_ZN7rocprim17ROCPRIM_400000_NS6detail17trampoline_kernelINS0_14default_configENS1_38merge_sort_block_merge_config_selectorIlNS0_10empty_typeEEEZZNS1_27merge_sort_block_merge_implIS3_PlPS5_mZN2at6native12_GLOBAL__N_124unique_dim_cuda_templateIN3c108BFloat16EEESt5tupleIJNSA_6TensorESH_SH_EERKSH_lbbbEUlllE_EE10hipError_tT0_T1_T2_jT3_P12ihipStream_tbPNSt15iterator_traitsISN_E10value_typeEPNST_ISO_E10value_typeEPSP_NS1_7vsmem_tEENKUlT_SN_SO_SP_E_clIS8_S8_S9_S9_EESM_S12_SN_SO_SP_EUlS12_E1_NS1_11comp_targetILNS1_3genE3ELNS1_11target_archE908ELNS1_3gpuE7ELNS1_3repE0EEENS1_36merge_oddeven_config_static_selectorELNS0_4arch9wavefront6targetE1EEEvSO_,comdat
	.globl	_ZN7rocprim17ROCPRIM_400000_NS6detail17trampoline_kernelINS0_14default_configENS1_38merge_sort_block_merge_config_selectorIlNS0_10empty_typeEEEZZNS1_27merge_sort_block_merge_implIS3_PlPS5_mZN2at6native12_GLOBAL__N_124unique_dim_cuda_templateIN3c108BFloat16EEESt5tupleIJNSA_6TensorESH_SH_EERKSH_lbbbEUlllE_EE10hipError_tT0_T1_T2_jT3_P12ihipStream_tbPNSt15iterator_traitsISN_E10value_typeEPNST_ISO_E10value_typeEPSP_NS1_7vsmem_tEENKUlT_SN_SO_SP_E_clIS8_S8_S9_S9_EESM_S12_SN_SO_SP_EUlS12_E1_NS1_11comp_targetILNS1_3genE3ELNS1_11target_archE908ELNS1_3gpuE7ELNS1_3repE0EEENS1_36merge_oddeven_config_static_selectorELNS0_4arch9wavefront6targetE1EEEvSO_ ; -- Begin function _ZN7rocprim17ROCPRIM_400000_NS6detail17trampoline_kernelINS0_14default_configENS1_38merge_sort_block_merge_config_selectorIlNS0_10empty_typeEEEZZNS1_27merge_sort_block_merge_implIS3_PlPS5_mZN2at6native12_GLOBAL__N_124unique_dim_cuda_templateIN3c108BFloat16EEESt5tupleIJNSA_6TensorESH_SH_EERKSH_lbbbEUlllE_EE10hipError_tT0_T1_T2_jT3_P12ihipStream_tbPNSt15iterator_traitsISN_E10value_typeEPNST_ISO_E10value_typeEPSP_NS1_7vsmem_tEENKUlT_SN_SO_SP_E_clIS8_S8_S9_S9_EESM_S12_SN_SO_SP_EUlS12_E1_NS1_11comp_targetILNS1_3genE3ELNS1_11target_archE908ELNS1_3gpuE7ELNS1_3repE0EEENS1_36merge_oddeven_config_static_selectorELNS0_4arch9wavefront6targetE1EEEvSO_
	.p2align	8
	.type	_ZN7rocprim17ROCPRIM_400000_NS6detail17trampoline_kernelINS0_14default_configENS1_38merge_sort_block_merge_config_selectorIlNS0_10empty_typeEEEZZNS1_27merge_sort_block_merge_implIS3_PlPS5_mZN2at6native12_GLOBAL__N_124unique_dim_cuda_templateIN3c108BFloat16EEESt5tupleIJNSA_6TensorESH_SH_EERKSH_lbbbEUlllE_EE10hipError_tT0_T1_T2_jT3_P12ihipStream_tbPNSt15iterator_traitsISN_E10value_typeEPNST_ISO_E10value_typeEPSP_NS1_7vsmem_tEENKUlT_SN_SO_SP_E_clIS8_S8_S9_S9_EESM_S12_SN_SO_SP_EUlS12_E1_NS1_11comp_targetILNS1_3genE3ELNS1_11target_archE908ELNS1_3gpuE7ELNS1_3repE0EEENS1_36merge_oddeven_config_static_selectorELNS0_4arch9wavefront6targetE1EEEvSO_,@function
_ZN7rocprim17ROCPRIM_400000_NS6detail17trampoline_kernelINS0_14default_configENS1_38merge_sort_block_merge_config_selectorIlNS0_10empty_typeEEEZZNS1_27merge_sort_block_merge_implIS3_PlPS5_mZN2at6native12_GLOBAL__N_124unique_dim_cuda_templateIN3c108BFloat16EEESt5tupleIJNSA_6TensorESH_SH_EERKSH_lbbbEUlllE_EE10hipError_tT0_T1_T2_jT3_P12ihipStream_tbPNSt15iterator_traitsISN_E10value_typeEPNST_ISO_E10value_typeEPSP_NS1_7vsmem_tEENKUlT_SN_SO_SP_E_clIS8_S8_S9_S9_EESM_S12_SN_SO_SP_EUlS12_E1_NS1_11comp_targetILNS1_3genE3ELNS1_11target_archE908ELNS1_3gpuE7ELNS1_3repE0EEENS1_36merge_oddeven_config_static_selectorELNS0_4arch9wavefront6targetE1EEEvSO_: ; @_ZN7rocprim17ROCPRIM_400000_NS6detail17trampoline_kernelINS0_14default_configENS1_38merge_sort_block_merge_config_selectorIlNS0_10empty_typeEEEZZNS1_27merge_sort_block_merge_implIS3_PlPS5_mZN2at6native12_GLOBAL__N_124unique_dim_cuda_templateIN3c108BFloat16EEESt5tupleIJNSA_6TensorESH_SH_EERKSH_lbbbEUlllE_EE10hipError_tT0_T1_T2_jT3_P12ihipStream_tbPNSt15iterator_traitsISN_E10value_typeEPNST_ISO_E10value_typeEPSP_NS1_7vsmem_tEENKUlT_SN_SO_SP_E_clIS8_S8_S9_S9_EESM_S12_SN_SO_SP_EUlS12_E1_NS1_11comp_targetILNS1_3genE3ELNS1_11target_archE908ELNS1_3gpuE7ELNS1_3repE0EEENS1_36merge_oddeven_config_static_selectorELNS0_4arch9wavefront6targetE1EEEvSO_
; %bb.0:
	.section	.rodata,"a",@progbits
	.p2align	6, 0x0
	.amdhsa_kernel _ZN7rocprim17ROCPRIM_400000_NS6detail17trampoline_kernelINS0_14default_configENS1_38merge_sort_block_merge_config_selectorIlNS0_10empty_typeEEEZZNS1_27merge_sort_block_merge_implIS3_PlPS5_mZN2at6native12_GLOBAL__N_124unique_dim_cuda_templateIN3c108BFloat16EEESt5tupleIJNSA_6TensorESH_SH_EERKSH_lbbbEUlllE_EE10hipError_tT0_T1_T2_jT3_P12ihipStream_tbPNSt15iterator_traitsISN_E10value_typeEPNST_ISO_E10value_typeEPSP_NS1_7vsmem_tEENKUlT_SN_SO_SP_E_clIS8_S8_S9_S9_EESM_S12_SN_SO_SP_EUlS12_E1_NS1_11comp_targetILNS1_3genE3ELNS1_11target_archE908ELNS1_3gpuE7ELNS1_3repE0EEENS1_36merge_oddeven_config_static_selectorELNS0_4arch9wavefront6targetE1EEEvSO_
		.amdhsa_group_segment_fixed_size 0
		.amdhsa_private_segment_fixed_size 0
		.amdhsa_kernarg_size 64
		.amdhsa_user_sgpr_count 2
		.amdhsa_user_sgpr_dispatch_ptr 0
		.amdhsa_user_sgpr_queue_ptr 0
		.amdhsa_user_sgpr_kernarg_segment_ptr 1
		.amdhsa_user_sgpr_dispatch_id 0
		.amdhsa_user_sgpr_kernarg_preload_length 0
		.amdhsa_user_sgpr_kernarg_preload_offset 0
		.amdhsa_user_sgpr_private_segment_size 0
		.amdhsa_uses_dynamic_stack 0
		.amdhsa_enable_private_segment 0
		.amdhsa_system_sgpr_workgroup_id_x 1
		.amdhsa_system_sgpr_workgroup_id_y 0
		.amdhsa_system_sgpr_workgroup_id_z 0
		.amdhsa_system_sgpr_workgroup_info 0
		.amdhsa_system_vgpr_workitem_id 0
		.amdhsa_next_free_vgpr 1
		.amdhsa_next_free_sgpr 0
		.amdhsa_accum_offset 4
		.amdhsa_reserve_vcc 0
		.amdhsa_float_round_mode_32 0
		.amdhsa_float_round_mode_16_64 0
		.amdhsa_float_denorm_mode_32 3
		.amdhsa_float_denorm_mode_16_64 3
		.amdhsa_dx10_clamp 1
		.amdhsa_ieee_mode 1
		.amdhsa_fp16_overflow 0
		.amdhsa_tg_split 0
		.amdhsa_exception_fp_ieee_invalid_op 0
		.amdhsa_exception_fp_denorm_src 0
		.amdhsa_exception_fp_ieee_div_zero 0
		.amdhsa_exception_fp_ieee_overflow 0
		.amdhsa_exception_fp_ieee_underflow 0
		.amdhsa_exception_fp_ieee_inexact 0
		.amdhsa_exception_int_div_zero 0
	.end_amdhsa_kernel
	.section	.text._ZN7rocprim17ROCPRIM_400000_NS6detail17trampoline_kernelINS0_14default_configENS1_38merge_sort_block_merge_config_selectorIlNS0_10empty_typeEEEZZNS1_27merge_sort_block_merge_implIS3_PlPS5_mZN2at6native12_GLOBAL__N_124unique_dim_cuda_templateIN3c108BFloat16EEESt5tupleIJNSA_6TensorESH_SH_EERKSH_lbbbEUlllE_EE10hipError_tT0_T1_T2_jT3_P12ihipStream_tbPNSt15iterator_traitsISN_E10value_typeEPNST_ISO_E10value_typeEPSP_NS1_7vsmem_tEENKUlT_SN_SO_SP_E_clIS8_S8_S9_S9_EESM_S12_SN_SO_SP_EUlS12_E1_NS1_11comp_targetILNS1_3genE3ELNS1_11target_archE908ELNS1_3gpuE7ELNS1_3repE0EEENS1_36merge_oddeven_config_static_selectorELNS0_4arch9wavefront6targetE1EEEvSO_,"axG",@progbits,_ZN7rocprim17ROCPRIM_400000_NS6detail17trampoline_kernelINS0_14default_configENS1_38merge_sort_block_merge_config_selectorIlNS0_10empty_typeEEEZZNS1_27merge_sort_block_merge_implIS3_PlPS5_mZN2at6native12_GLOBAL__N_124unique_dim_cuda_templateIN3c108BFloat16EEESt5tupleIJNSA_6TensorESH_SH_EERKSH_lbbbEUlllE_EE10hipError_tT0_T1_T2_jT3_P12ihipStream_tbPNSt15iterator_traitsISN_E10value_typeEPNST_ISO_E10value_typeEPSP_NS1_7vsmem_tEENKUlT_SN_SO_SP_E_clIS8_S8_S9_S9_EESM_S12_SN_SO_SP_EUlS12_E1_NS1_11comp_targetILNS1_3genE3ELNS1_11target_archE908ELNS1_3gpuE7ELNS1_3repE0EEENS1_36merge_oddeven_config_static_selectorELNS0_4arch9wavefront6targetE1EEEvSO_,comdat
.Lfunc_end1145:
	.size	_ZN7rocprim17ROCPRIM_400000_NS6detail17trampoline_kernelINS0_14default_configENS1_38merge_sort_block_merge_config_selectorIlNS0_10empty_typeEEEZZNS1_27merge_sort_block_merge_implIS3_PlPS5_mZN2at6native12_GLOBAL__N_124unique_dim_cuda_templateIN3c108BFloat16EEESt5tupleIJNSA_6TensorESH_SH_EERKSH_lbbbEUlllE_EE10hipError_tT0_T1_T2_jT3_P12ihipStream_tbPNSt15iterator_traitsISN_E10value_typeEPNST_ISO_E10value_typeEPSP_NS1_7vsmem_tEENKUlT_SN_SO_SP_E_clIS8_S8_S9_S9_EESM_S12_SN_SO_SP_EUlS12_E1_NS1_11comp_targetILNS1_3genE3ELNS1_11target_archE908ELNS1_3gpuE7ELNS1_3repE0EEENS1_36merge_oddeven_config_static_selectorELNS0_4arch9wavefront6targetE1EEEvSO_, .Lfunc_end1145-_ZN7rocprim17ROCPRIM_400000_NS6detail17trampoline_kernelINS0_14default_configENS1_38merge_sort_block_merge_config_selectorIlNS0_10empty_typeEEEZZNS1_27merge_sort_block_merge_implIS3_PlPS5_mZN2at6native12_GLOBAL__N_124unique_dim_cuda_templateIN3c108BFloat16EEESt5tupleIJNSA_6TensorESH_SH_EERKSH_lbbbEUlllE_EE10hipError_tT0_T1_T2_jT3_P12ihipStream_tbPNSt15iterator_traitsISN_E10value_typeEPNST_ISO_E10value_typeEPSP_NS1_7vsmem_tEENKUlT_SN_SO_SP_E_clIS8_S8_S9_S9_EESM_S12_SN_SO_SP_EUlS12_E1_NS1_11comp_targetILNS1_3genE3ELNS1_11target_archE908ELNS1_3gpuE7ELNS1_3repE0EEENS1_36merge_oddeven_config_static_selectorELNS0_4arch9wavefront6targetE1EEEvSO_
                                        ; -- End function
	.set _ZN7rocprim17ROCPRIM_400000_NS6detail17trampoline_kernelINS0_14default_configENS1_38merge_sort_block_merge_config_selectorIlNS0_10empty_typeEEEZZNS1_27merge_sort_block_merge_implIS3_PlPS5_mZN2at6native12_GLOBAL__N_124unique_dim_cuda_templateIN3c108BFloat16EEESt5tupleIJNSA_6TensorESH_SH_EERKSH_lbbbEUlllE_EE10hipError_tT0_T1_T2_jT3_P12ihipStream_tbPNSt15iterator_traitsISN_E10value_typeEPNST_ISO_E10value_typeEPSP_NS1_7vsmem_tEENKUlT_SN_SO_SP_E_clIS8_S8_S9_S9_EESM_S12_SN_SO_SP_EUlS12_E1_NS1_11comp_targetILNS1_3genE3ELNS1_11target_archE908ELNS1_3gpuE7ELNS1_3repE0EEENS1_36merge_oddeven_config_static_selectorELNS0_4arch9wavefront6targetE1EEEvSO_.num_vgpr, 0
	.set _ZN7rocprim17ROCPRIM_400000_NS6detail17trampoline_kernelINS0_14default_configENS1_38merge_sort_block_merge_config_selectorIlNS0_10empty_typeEEEZZNS1_27merge_sort_block_merge_implIS3_PlPS5_mZN2at6native12_GLOBAL__N_124unique_dim_cuda_templateIN3c108BFloat16EEESt5tupleIJNSA_6TensorESH_SH_EERKSH_lbbbEUlllE_EE10hipError_tT0_T1_T2_jT3_P12ihipStream_tbPNSt15iterator_traitsISN_E10value_typeEPNST_ISO_E10value_typeEPSP_NS1_7vsmem_tEENKUlT_SN_SO_SP_E_clIS8_S8_S9_S9_EESM_S12_SN_SO_SP_EUlS12_E1_NS1_11comp_targetILNS1_3genE3ELNS1_11target_archE908ELNS1_3gpuE7ELNS1_3repE0EEENS1_36merge_oddeven_config_static_selectorELNS0_4arch9wavefront6targetE1EEEvSO_.num_agpr, 0
	.set _ZN7rocprim17ROCPRIM_400000_NS6detail17trampoline_kernelINS0_14default_configENS1_38merge_sort_block_merge_config_selectorIlNS0_10empty_typeEEEZZNS1_27merge_sort_block_merge_implIS3_PlPS5_mZN2at6native12_GLOBAL__N_124unique_dim_cuda_templateIN3c108BFloat16EEESt5tupleIJNSA_6TensorESH_SH_EERKSH_lbbbEUlllE_EE10hipError_tT0_T1_T2_jT3_P12ihipStream_tbPNSt15iterator_traitsISN_E10value_typeEPNST_ISO_E10value_typeEPSP_NS1_7vsmem_tEENKUlT_SN_SO_SP_E_clIS8_S8_S9_S9_EESM_S12_SN_SO_SP_EUlS12_E1_NS1_11comp_targetILNS1_3genE3ELNS1_11target_archE908ELNS1_3gpuE7ELNS1_3repE0EEENS1_36merge_oddeven_config_static_selectorELNS0_4arch9wavefront6targetE1EEEvSO_.numbered_sgpr, 0
	.set _ZN7rocprim17ROCPRIM_400000_NS6detail17trampoline_kernelINS0_14default_configENS1_38merge_sort_block_merge_config_selectorIlNS0_10empty_typeEEEZZNS1_27merge_sort_block_merge_implIS3_PlPS5_mZN2at6native12_GLOBAL__N_124unique_dim_cuda_templateIN3c108BFloat16EEESt5tupleIJNSA_6TensorESH_SH_EERKSH_lbbbEUlllE_EE10hipError_tT0_T1_T2_jT3_P12ihipStream_tbPNSt15iterator_traitsISN_E10value_typeEPNST_ISO_E10value_typeEPSP_NS1_7vsmem_tEENKUlT_SN_SO_SP_E_clIS8_S8_S9_S9_EESM_S12_SN_SO_SP_EUlS12_E1_NS1_11comp_targetILNS1_3genE3ELNS1_11target_archE908ELNS1_3gpuE7ELNS1_3repE0EEENS1_36merge_oddeven_config_static_selectorELNS0_4arch9wavefront6targetE1EEEvSO_.num_named_barrier, 0
	.set _ZN7rocprim17ROCPRIM_400000_NS6detail17trampoline_kernelINS0_14default_configENS1_38merge_sort_block_merge_config_selectorIlNS0_10empty_typeEEEZZNS1_27merge_sort_block_merge_implIS3_PlPS5_mZN2at6native12_GLOBAL__N_124unique_dim_cuda_templateIN3c108BFloat16EEESt5tupleIJNSA_6TensorESH_SH_EERKSH_lbbbEUlllE_EE10hipError_tT0_T1_T2_jT3_P12ihipStream_tbPNSt15iterator_traitsISN_E10value_typeEPNST_ISO_E10value_typeEPSP_NS1_7vsmem_tEENKUlT_SN_SO_SP_E_clIS8_S8_S9_S9_EESM_S12_SN_SO_SP_EUlS12_E1_NS1_11comp_targetILNS1_3genE3ELNS1_11target_archE908ELNS1_3gpuE7ELNS1_3repE0EEENS1_36merge_oddeven_config_static_selectorELNS0_4arch9wavefront6targetE1EEEvSO_.private_seg_size, 0
	.set _ZN7rocprim17ROCPRIM_400000_NS6detail17trampoline_kernelINS0_14default_configENS1_38merge_sort_block_merge_config_selectorIlNS0_10empty_typeEEEZZNS1_27merge_sort_block_merge_implIS3_PlPS5_mZN2at6native12_GLOBAL__N_124unique_dim_cuda_templateIN3c108BFloat16EEESt5tupleIJNSA_6TensorESH_SH_EERKSH_lbbbEUlllE_EE10hipError_tT0_T1_T2_jT3_P12ihipStream_tbPNSt15iterator_traitsISN_E10value_typeEPNST_ISO_E10value_typeEPSP_NS1_7vsmem_tEENKUlT_SN_SO_SP_E_clIS8_S8_S9_S9_EESM_S12_SN_SO_SP_EUlS12_E1_NS1_11comp_targetILNS1_3genE3ELNS1_11target_archE908ELNS1_3gpuE7ELNS1_3repE0EEENS1_36merge_oddeven_config_static_selectorELNS0_4arch9wavefront6targetE1EEEvSO_.uses_vcc, 0
	.set _ZN7rocprim17ROCPRIM_400000_NS6detail17trampoline_kernelINS0_14default_configENS1_38merge_sort_block_merge_config_selectorIlNS0_10empty_typeEEEZZNS1_27merge_sort_block_merge_implIS3_PlPS5_mZN2at6native12_GLOBAL__N_124unique_dim_cuda_templateIN3c108BFloat16EEESt5tupleIJNSA_6TensorESH_SH_EERKSH_lbbbEUlllE_EE10hipError_tT0_T1_T2_jT3_P12ihipStream_tbPNSt15iterator_traitsISN_E10value_typeEPNST_ISO_E10value_typeEPSP_NS1_7vsmem_tEENKUlT_SN_SO_SP_E_clIS8_S8_S9_S9_EESM_S12_SN_SO_SP_EUlS12_E1_NS1_11comp_targetILNS1_3genE3ELNS1_11target_archE908ELNS1_3gpuE7ELNS1_3repE0EEENS1_36merge_oddeven_config_static_selectorELNS0_4arch9wavefront6targetE1EEEvSO_.uses_flat_scratch, 0
	.set _ZN7rocprim17ROCPRIM_400000_NS6detail17trampoline_kernelINS0_14default_configENS1_38merge_sort_block_merge_config_selectorIlNS0_10empty_typeEEEZZNS1_27merge_sort_block_merge_implIS3_PlPS5_mZN2at6native12_GLOBAL__N_124unique_dim_cuda_templateIN3c108BFloat16EEESt5tupleIJNSA_6TensorESH_SH_EERKSH_lbbbEUlllE_EE10hipError_tT0_T1_T2_jT3_P12ihipStream_tbPNSt15iterator_traitsISN_E10value_typeEPNST_ISO_E10value_typeEPSP_NS1_7vsmem_tEENKUlT_SN_SO_SP_E_clIS8_S8_S9_S9_EESM_S12_SN_SO_SP_EUlS12_E1_NS1_11comp_targetILNS1_3genE3ELNS1_11target_archE908ELNS1_3gpuE7ELNS1_3repE0EEENS1_36merge_oddeven_config_static_selectorELNS0_4arch9wavefront6targetE1EEEvSO_.has_dyn_sized_stack, 0
	.set _ZN7rocprim17ROCPRIM_400000_NS6detail17trampoline_kernelINS0_14default_configENS1_38merge_sort_block_merge_config_selectorIlNS0_10empty_typeEEEZZNS1_27merge_sort_block_merge_implIS3_PlPS5_mZN2at6native12_GLOBAL__N_124unique_dim_cuda_templateIN3c108BFloat16EEESt5tupleIJNSA_6TensorESH_SH_EERKSH_lbbbEUlllE_EE10hipError_tT0_T1_T2_jT3_P12ihipStream_tbPNSt15iterator_traitsISN_E10value_typeEPNST_ISO_E10value_typeEPSP_NS1_7vsmem_tEENKUlT_SN_SO_SP_E_clIS8_S8_S9_S9_EESM_S12_SN_SO_SP_EUlS12_E1_NS1_11comp_targetILNS1_3genE3ELNS1_11target_archE908ELNS1_3gpuE7ELNS1_3repE0EEENS1_36merge_oddeven_config_static_selectorELNS0_4arch9wavefront6targetE1EEEvSO_.has_recursion, 0
	.set _ZN7rocprim17ROCPRIM_400000_NS6detail17trampoline_kernelINS0_14default_configENS1_38merge_sort_block_merge_config_selectorIlNS0_10empty_typeEEEZZNS1_27merge_sort_block_merge_implIS3_PlPS5_mZN2at6native12_GLOBAL__N_124unique_dim_cuda_templateIN3c108BFloat16EEESt5tupleIJNSA_6TensorESH_SH_EERKSH_lbbbEUlllE_EE10hipError_tT0_T1_T2_jT3_P12ihipStream_tbPNSt15iterator_traitsISN_E10value_typeEPNST_ISO_E10value_typeEPSP_NS1_7vsmem_tEENKUlT_SN_SO_SP_E_clIS8_S8_S9_S9_EESM_S12_SN_SO_SP_EUlS12_E1_NS1_11comp_targetILNS1_3genE3ELNS1_11target_archE908ELNS1_3gpuE7ELNS1_3repE0EEENS1_36merge_oddeven_config_static_selectorELNS0_4arch9wavefront6targetE1EEEvSO_.has_indirect_call, 0
	.section	.AMDGPU.csdata,"",@progbits
; Kernel info:
; codeLenInByte = 0
; TotalNumSgprs: 6
; NumVgprs: 0
; NumAgprs: 0
; TotalNumVgprs: 0
; ScratchSize: 0
; MemoryBound: 0
; FloatMode: 240
; IeeeMode: 1
; LDSByteSize: 0 bytes/workgroup (compile time only)
; SGPRBlocks: 0
; VGPRBlocks: 0
; NumSGPRsForWavesPerEU: 6
; NumVGPRsForWavesPerEU: 1
; AccumOffset: 4
; Occupancy: 8
; WaveLimiterHint : 0
; COMPUTE_PGM_RSRC2:SCRATCH_EN: 0
; COMPUTE_PGM_RSRC2:USER_SGPR: 2
; COMPUTE_PGM_RSRC2:TRAP_HANDLER: 0
; COMPUTE_PGM_RSRC2:TGID_X_EN: 1
; COMPUTE_PGM_RSRC2:TGID_Y_EN: 0
; COMPUTE_PGM_RSRC2:TGID_Z_EN: 0
; COMPUTE_PGM_RSRC2:TIDIG_COMP_CNT: 0
; COMPUTE_PGM_RSRC3_GFX90A:ACCUM_OFFSET: 0
; COMPUTE_PGM_RSRC3_GFX90A:TG_SPLIT: 0
	.section	.text._ZN7rocprim17ROCPRIM_400000_NS6detail17trampoline_kernelINS0_14default_configENS1_38merge_sort_block_merge_config_selectorIlNS0_10empty_typeEEEZZNS1_27merge_sort_block_merge_implIS3_PlPS5_mZN2at6native12_GLOBAL__N_124unique_dim_cuda_templateIN3c108BFloat16EEESt5tupleIJNSA_6TensorESH_SH_EERKSH_lbbbEUlllE_EE10hipError_tT0_T1_T2_jT3_P12ihipStream_tbPNSt15iterator_traitsISN_E10value_typeEPNST_ISO_E10value_typeEPSP_NS1_7vsmem_tEENKUlT_SN_SO_SP_E_clIS8_S8_S9_S9_EESM_S12_SN_SO_SP_EUlS12_E1_NS1_11comp_targetILNS1_3genE2ELNS1_11target_archE906ELNS1_3gpuE6ELNS1_3repE0EEENS1_36merge_oddeven_config_static_selectorELNS0_4arch9wavefront6targetE1EEEvSO_,"axG",@progbits,_ZN7rocprim17ROCPRIM_400000_NS6detail17trampoline_kernelINS0_14default_configENS1_38merge_sort_block_merge_config_selectorIlNS0_10empty_typeEEEZZNS1_27merge_sort_block_merge_implIS3_PlPS5_mZN2at6native12_GLOBAL__N_124unique_dim_cuda_templateIN3c108BFloat16EEESt5tupleIJNSA_6TensorESH_SH_EERKSH_lbbbEUlllE_EE10hipError_tT0_T1_T2_jT3_P12ihipStream_tbPNSt15iterator_traitsISN_E10value_typeEPNST_ISO_E10value_typeEPSP_NS1_7vsmem_tEENKUlT_SN_SO_SP_E_clIS8_S8_S9_S9_EESM_S12_SN_SO_SP_EUlS12_E1_NS1_11comp_targetILNS1_3genE2ELNS1_11target_archE906ELNS1_3gpuE6ELNS1_3repE0EEENS1_36merge_oddeven_config_static_selectorELNS0_4arch9wavefront6targetE1EEEvSO_,comdat
	.globl	_ZN7rocprim17ROCPRIM_400000_NS6detail17trampoline_kernelINS0_14default_configENS1_38merge_sort_block_merge_config_selectorIlNS0_10empty_typeEEEZZNS1_27merge_sort_block_merge_implIS3_PlPS5_mZN2at6native12_GLOBAL__N_124unique_dim_cuda_templateIN3c108BFloat16EEESt5tupleIJNSA_6TensorESH_SH_EERKSH_lbbbEUlllE_EE10hipError_tT0_T1_T2_jT3_P12ihipStream_tbPNSt15iterator_traitsISN_E10value_typeEPNST_ISO_E10value_typeEPSP_NS1_7vsmem_tEENKUlT_SN_SO_SP_E_clIS8_S8_S9_S9_EESM_S12_SN_SO_SP_EUlS12_E1_NS1_11comp_targetILNS1_3genE2ELNS1_11target_archE906ELNS1_3gpuE6ELNS1_3repE0EEENS1_36merge_oddeven_config_static_selectorELNS0_4arch9wavefront6targetE1EEEvSO_ ; -- Begin function _ZN7rocprim17ROCPRIM_400000_NS6detail17trampoline_kernelINS0_14default_configENS1_38merge_sort_block_merge_config_selectorIlNS0_10empty_typeEEEZZNS1_27merge_sort_block_merge_implIS3_PlPS5_mZN2at6native12_GLOBAL__N_124unique_dim_cuda_templateIN3c108BFloat16EEESt5tupleIJNSA_6TensorESH_SH_EERKSH_lbbbEUlllE_EE10hipError_tT0_T1_T2_jT3_P12ihipStream_tbPNSt15iterator_traitsISN_E10value_typeEPNST_ISO_E10value_typeEPSP_NS1_7vsmem_tEENKUlT_SN_SO_SP_E_clIS8_S8_S9_S9_EESM_S12_SN_SO_SP_EUlS12_E1_NS1_11comp_targetILNS1_3genE2ELNS1_11target_archE906ELNS1_3gpuE6ELNS1_3repE0EEENS1_36merge_oddeven_config_static_selectorELNS0_4arch9wavefront6targetE1EEEvSO_
	.p2align	8
	.type	_ZN7rocprim17ROCPRIM_400000_NS6detail17trampoline_kernelINS0_14default_configENS1_38merge_sort_block_merge_config_selectorIlNS0_10empty_typeEEEZZNS1_27merge_sort_block_merge_implIS3_PlPS5_mZN2at6native12_GLOBAL__N_124unique_dim_cuda_templateIN3c108BFloat16EEESt5tupleIJNSA_6TensorESH_SH_EERKSH_lbbbEUlllE_EE10hipError_tT0_T1_T2_jT3_P12ihipStream_tbPNSt15iterator_traitsISN_E10value_typeEPNST_ISO_E10value_typeEPSP_NS1_7vsmem_tEENKUlT_SN_SO_SP_E_clIS8_S8_S9_S9_EESM_S12_SN_SO_SP_EUlS12_E1_NS1_11comp_targetILNS1_3genE2ELNS1_11target_archE906ELNS1_3gpuE6ELNS1_3repE0EEENS1_36merge_oddeven_config_static_selectorELNS0_4arch9wavefront6targetE1EEEvSO_,@function
_ZN7rocprim17ROCPRIM_400000_NS6detail17trampoline_kernelINS0_14default_configENS1_38merge_sort_block_merge_config_selectorIlNS0_10empty_typeEEEZZNS1_27merge_sort_block_merge_implIS3_PlPS5_mZN2at6native12_GLOBAL__N_124unique_dim_cuda_templateIN3c108BFloat16EEESt5tupleIJNSA_6TensorESH_SH_EERKSH_lbbbEUlllE_EE10hipError_tT0_T1_T2_jT3_P12ihipStream_tbPNSt15iterator_traitsISN_E10value_typeEPNST_ISO_E10value_typeEPSP_NS1_7vsmem_tEENKUlT_SN_SO_SP_E_clIS8_S8_S9_S9_EESM_S12_SN_SO_SP_EUlS12_E1_NS1_11comp_targetILNS1_3genE2ELNS1_11target_archE906ELNS1_3gpuE6ELNS1_3repE0EEENS1_36merge_oddeven_config_static_selectorELNS0_4arch9wavefront6targetE1EEEvSO_: ; @_ZN7rocprim17ROCPRIM_400000_NS6detail17trampoline_kernelINS0_14default_configENS1_38merge_sort_block_merge_config_selectorIlNS0_10empty_typeEEEZZNS1_27merge_sort_block_merge_implIS3_PlPS5_mZN2at6native12_GLOBAL__N_124unique_dim_cuda_templateIN3c108BFloat16EEESt5tupleIJNSA_6TensorESH_SH_EERKSH_lbbbEUlllE_EE10hipError_tT0_T1_T2_jT3_P12ihipStream_tbPNSt15iterator_traitsISN_E10value_typeEPNST_ISO_E10value_typeEPSP_NS1_7vsmem_tEENKUlT_SN_SO_SP_E_clIS8_S8_S9_S9_EESM_S12_SN_SO_SP_EUlS12_E1_NS1_11comp_targetILNS1_3genE2ELNS1_11target_archE906ELNS1_3gpuE6ELNS1_3repE0EEENS1_36merge_oddeven_config_static_selectorELNS0_4arch9wavefront6targetE1EEEvSO_
; %bb.0:
	.section	.rodata,"a",@progbits
	.p2align	6, 0x0
	.amdhsa_kernel _ZN7rocprim17ROCPRIM_400000_NS6detail17trampoline_kernelINS0_14default_configENS1_38merge_sort_block_merge_config_selectorIlNS0_10empty_typeEEEZZNS1_27merge_sort_block_merge_implIS3_PlPS5_mZN2at6native12_GLOBAL__N_124unique_dim_cuda_templateIN3c108BFloat16EEESt5tupleIJNSA_6TensorESH_SH_EERKSH_lbbbEUlllE_EE10hipError_tT0_T1_T2_jT3_P12ihipStream_tbPNSt15iterator_traitsISN_E10value_typeEPNST_ISO_E10value_typeEPSP_NS1_7vsmem_tEENKUlT_SN_SO_SP_E_clIS8_S8_S9_S9_EESM_S12_SN_SO_SP_EUlS12_E1_NS1_11comp_targetILNS1_3genE2ELNS1_11target_archE906ELNS1_3gpuE6ELNS1_3repE0EEENS1_36merge_oddeven_config_static_selectorELNS0_4arch9wavefront6targetE1EEEvSO_
		.amdhsa_group_segment_fixed_size 0
		.amdhsa_private_segment_fixed_size 0
		.amdhsa_kernarg_size 64
		.amdhsa_user_sgpr_count 2
		.amdhsa_user_sgpr_dispatch_ptr 0
		.amdhsa_user_sgpr_queue_ptr 0
		.amdhsa_user_sgpr_kernarg_segment_ptr 1
		.amdhsa_user_sgpr_dispatch_id 0
		.amdhsa_user_sgpr_kernarg_preload_length 0
		.amdhsa_user_sgpr_kernarg_preload_offset 0
		.amdhsa_user_sgpr_private_segment_size 0
		.amdhsa_uses_dynamic_stack 0
		.amdhsa_enable_private_segment 0
		.amdhsa_system_sgpr_workgroup_id_x 1
		.amdhsa_system_sgpr_workgroup_id_y 0
		.amdhsa_system_sgpr_workgroup_id_z 0
		.amdhsa_system_sgpr_workgroup_info 0
		.amdhsa_system_vgpr_workitem_id 0
		.amdhsa_next_free_vgpr 1
		.amdhsa_next_free_sgpr 0
		.amdhsa_accum_offset 4
		.amdhsa_reserve_vcc 0
		.amdhsa_float_round_mode_32 0
		.amdhsa_float_round_mode_16_64 0
		.amdhsa_float_denorm_mode_32 3
		.amdhsa_float_denorm_mode_16_64 3
		.amdhsa_dx10_clamp 1
		.amdhsa_ieee_mode 1
		.amdhsa_fp16_overflow 0
		.amdhsa_tg_split 0
		.amdhsa_exception_fp_ieee_invalid_op 0
		.amdhsa_exception_fp_denorm_src 0
		.amdhsa_exception_fp_ieee_div_zero 0
		.amdhsa_exception_fp_ieee_overflow 0
		.amdhsa_exception_fp_ieee_underflow 0
		.amdhsa_exception_fp_ieee_inexact 0
		.amdhsa_exception_int_div_zero 0
	.end_amdhsa_kernel
	.section	.text._ZN7rocprim17ROCPRIM_400000_NS6detail17trampoline_kernelINS0_14default_configENS1_38merge_sort_block_merge_config_selectorIlNS0_10empty_typeEEEZZNS1_27merge_sort_block_merge_implIS3_PlPS5_mZN2at6native12_GLOBAL__N_124unique_dim_cuda_templateIN3c108BFloat16EEESt5tupleIJNSA_6TensorESH_SH_EERKSH_lbbbEUlllE_EE10hipError_tT0_T1_T2_jT3_P12ihipStream_tbPNSt15iterator_traitsISN_E10value_typeEPNST_ISO_E10value_typeEPSP_NS1_7vsmem_tEENKUlT_SN_SO_SP_E_clIS8_S8_S9_S9_EESM_S12_SN_SO_SP_EUlS12_E1_NS1_11comp_targetILNS1_3genE2ELNS1_11target_archE906ELNS1_3gpuE6ELNS1_3repE0EEENS1_36merge_oddeven_config_static_selectorELNS0_4arch9wavefront6targetE1EEEvSO_,"axG",@progbits,_ZN7rocprim17ROCPRIM_400000_NS6detail17trampoline_kernelINS0_14default_configENS1_38merge_sort_block_merge_config_selectorIlNS0_10empty_typeEEEZZNS1_27merge_sort_block_merge_implIS3_PlPS5_mZN2at6native12_GLOBAL__N_124unique_dim_cuda_templateIN3c108BFloat16EEESt5tupleIJNSA_6TensorESH_SH_EERKSH_lbbbEUlllE_EE10hipError_tT0_T1_T2_jT3_P12ihipStream_tbPNSt15iterator_traitsISN_E10value_typeEPNST_ISO_E10value_typeEPSP_NS1_7vsmem_tEENKUlT_SN_SO_SP_E_clIS8_S8_S9_S9_EESM_S12_SN_SO_SP_EUlS12_E1_NS1_11comp_targetILNS1_3genE2ELNS1_11target_archE906ELNS1_3gpuE6ELNS1_3repE0EEENS1_36merge_oddeven_config_static_selectorELNS0_4arch9wavefront6targetE1EEEvSO_,comdat
.Lfunc_end1146:
	.size	_ZN7rocprim17ROCPRIM_400000_NS6detail17trampoline_kernelINS0_14default_configENS1_38merge_sort_block_merge_config_selectorIlNS0_10empty_typeEEEZZNS1_27merge_sort_block_merge_implIS3_PlPS5_mZN2at6native12_GLOBAL__N_124unique_dim_cuda_templateIN3c108BFloat16EEESt5tupleIJNSA_6TensorESH_SH_EERKSH_lbbbEUlllE_EE10hipError_tT0_T1_T2_jT3_P12ihipStream_tbPNSt15iterator_traitsISN_E10value_typeEPNST_ISO_E10value_typeEPSP_NS1_7vsmem_tEENKUlT_SN_SO_SP_E_clIS8_S8_S9_S9_EESM_S12_SN_SO_SP_EUlS12_E1_NS1_11comp_targetILNS1_3genE2ELNS1_11target_archE906ELNS1_3gpuE6ELNS1_3repE0EEENS1_36merge_oddeven_config_static_selectorELNS0_4arch9wavefront6targetE1EEEvSO_, .Lfunc_end1146-_ZN7rocprim17ROCPRIM_400000_NS6detail17trampoline_kernelINS0_14default_configENS1_38merge_sort_block_merge_config_selectorIlNS0_10empty_typeEEEZZNS1_27merge_sort_block_merge_implIS3_PlPS5_mZN2at6native12_GLOBAL__N_124unique_dim_cuda_templateIN3c108BFloat16EEESt5tupleIJNSA_6TensorESH_SH_EERKSH_lbbbEUlllE_EE10hipError_tT0_T1_T2_jT3_P12ihipStream_tbPNSt15iterator_traitsISN_E10value_typeEPNST_ISO_E10value_typeEPSP_NS1_7vsmem_tEENKUlT_SN_SO_SP_E_clIS8_S8_S9_S9_EESM_S12_SN_SO_SP_EUlS12_E1_NS1_11comp_targetILNS1_3genE2ELNS1_11target_archE906ELNS1_3gpuE6ELNS1_3repE0EEENS1_36merge_oddeven_config_static_selectorELNS0_4arch9wavefront6targetE1EEEvSO_
                                        ; -- End function
	.set _ZN7rocprim17ROCPRIM_400000_NS6detail17trampoline_kernelINS0_14default_configENS1_38merge_sort_block_merge_config_selectorIlNS0_10empty_typeEEEZZNS1_27merge_sort_block_merge_implIS3_PlPS5_mZN2at6native12_GLOBAL__N_124unique_dim_cuda_templateIN3c108BFloat16EEESt5tupleIJNSA_6TensorESH_SH_EERKSH_lbbbEUlllE_EE10hipError_tT0_T1_T2_jT3_P12ihipStream_tbPNSt15iterator_traitsISN_E10value_typeEPNST_ISO_E10value_typeEPSP_NS1_7vsmem_tEENKUlT_SN_SO_SP_E_clIS8_S8_S9_S9_EESM_S12_SN_SO_SP_EUlS12_E1_NS1_11comp_targetILNS1_3genE2ELNS1_11target_archE906ELNS1_3gpuE6ELNS1_3repE0EEENS1_36merge_oddeven_config_static_selectorELNS0_4arch9wavefront6targetE1EEEvSO_.num_vgpr, 0
	.set _ZN7rocprim17ROCPRIM_400000_NS6detail17trampoline_kernelINS0_14default_configENS1_38merge_sort_block_merge_config_selectorIlNS0_10empty_typeEEEZZNS1_27merge_sort_block_merge_implIS3_PlPS5_mZN2at6native12_GLOBAL__N_124unique_dim_cuda_templateIN3c108BFloat16EEESt5tupleIJNSA_6TensorESH_SH_EERKSH_lbbbEUlllE_EE10hipError_tT0_T1_T2_jT3_P12ihipStream_tbPNSt15iterator_traitsISN_E10value_typeEPNST_ISO_E10value_typeEPSP_NS1_7vsmem_tEENKUlT_SN_SO_SP_E_clIS8_S8_S9_S9_EESM_S12_SN_SO_SP_EUlS12_E1_NS1_11comp_targetILNS1_3genE2ELNS1_11target_archE906ELNS1_3gpuE6ELNS1_3repE0EEENS1_36merge_oddeven_config_static_selectorELNS0_4arch9wavefront6targetE1EEEvSO_.num_agpr, 0
	.set _ZN7rocprim17ROCPRIM_400000_NS6detail17trampoline_kernelINS0_14default_configENS1_38merge_sort_block_merge_config_selectorIlNS0_10empty_typeEEEZZNS1_27merge_sort_block_merge_implIS3_PlPS5_mZN2at6native12_GLOBAL__N_124unique_dim_cuda_templateIN3c108BFloat16EEESt5tupleIJNSA_6TensorESH_SH_EERKSH_lbbbEUlllE_EE10hipError_tT0_T1_T2_jT3_P12ihipStream_tbPNSt15iterator_traitsISN_E10value_typeEPNST_ISO_E10value_typeEPSP_NS1_7vsmem_tEENKUlT_SN_SO_SP_E_clIS8_S8_S9_S9_EESM_S12_SN_SO_SP_EUlS12_E1_NS1_11comp_targetILNS1_3genE2ELNS1_11target_archE906ELNS1_3gpuE6ELNS1_3repE0EEENS1_36merge_oddeven_config_static_selectorELNS0_4arch9wavefront6targetE1EEEvSO_.numbered_sgpr, 0
	.set _ZN7rocprim17ROCPRIM_400000_NS6detail17trampoline_kernelINS0_14default_configENS1_38merge_sort_block_merge_config_selectorIlNS0_10empty_typeEEEZZNS1_27merge_sort_block_merge_implIS3_PlPS5_mZN2at6native12_GLOBAL__N_124unique_dim_cuda_templateIN3c108BFloat16EEESt5tupleIJNSA_6TensorESH_SH_EERKSH_lbbbEUlllE_EE10hipError_tT0_T1_T2_jT3_P12ihipStream_tbPNSt15iterator_traitsISN_E10value_typeEPNST_ISO_E10value_typeEPSP_NS1_7vsmem_tEENKUlT_SN_SO_SP_E_clIS8_S8_S9_S9_EESM_S12_SN_SO_SP_EUlS12_E1_NS1_11comp_targetILNS1_3genE2ELNS1_11target_archE906ELNS1_3gpuE6ELNS1_3repE0EEENS1_36merge_oddeven_config_static_selectorELNS0_4arch9wavefront6targetE1EEEvSO_.num_named_barrier, 0
	.set _ZN7rocprim17ROCPRIM_400000_NS6detail17trampoline_kernelINS0_14default_configENS1_38merge_sort_block_merge_config_selectorIlNS0_10empty_typeEEEZZNS1_27merge_sort_block_merge_implIS3_PlPS5_mZN2at6native12_GLOBAL__N_124unique_dim_cuda_templateIN3c108BFloat16EEESt5tupleIJNSA_6TensorESH_SH_EERKSH_lbbbEUlllE_EE10hipError_tT0_T1_T2_jT3_P12ihipStream_tbPNSt15iterator_traitsISN_E10value_typeEPNST_ISO_E10value_typeEPSP_NS1_7vsmem_tEENKUlT_SN_SO_SP_E_clIS8_S8_S9_S9_EESM_S12_SN_SO_SP_EUlS12_E1_NS1_11comp_targetILNS1_3genE2ELNS1_11target_archE906ELNS1_3gpuE6ELNS1_3repE0EEENS1_36merge_oddeven_config_static_selectorELNS0_4arch9wavefront6targetE1EEEvSO_.private_seg_size, 0
	.set _ZN7rocprim17ROCPRIM_400000_NS6detail17trampoline_kernelINS0_14default_configENS1_38merge_sort_block_merge_config_selectorIlNS0_10empty_typeEEEZZNS1_27merge_sort_block_merge_implIS3_PlPS5_mZN2at6native12_GLOBAL__N_124unique_dim_cuda_templateIN3c108BFloat16EEESt5tupleIJNSA_6TensorESH_SH_EERKSH_lbbbEUlllE_EE10hipError_tT0_T1_T2_jT3_P12ihipStream_tbPNSt15iterator_traitsISN_E10value_typeEPNST_ISO_E10value_typeEPSP_NS1_7vsmem_tEENKUlT_SN_SO_SP_E_clIS8_S8_S9_S9_EESM_S12_SN_SO_SP_EUlS12_E1_NS1_11comp_targetILNS1_3genE2ELNS1_11target_archE906ELNS1_3gpuE6ELNS1_3repE0EEENS1_36merge_oddeven_config_static_selectorELNS0_4arch9wavefront6targetE1EEEvSO_.uses_vcc, 0
	.set _ZN7rocprim17ROCPRIM_400000_NS6detail17trampoline_kernelINS0_14default_configENS1_38merge_sort_block_merge_config_selectorIlNS0_10empty_typeEEEZZNS1_27merge_sort_block_merge_implIS3_PlPS5_mZN2at6native12_GLOBAL__N_124unique_dim_cuda_templateIN3c108BFloat16EEESt5tupleIJNSA_6TensorESH_SH_EERKSH_lbbbEUlllE_EE10hipError_tT0_T1_T2_jT3_P12ihipStream_tbPNSt15iterator_traitsISN_E10value_typeEPNST_ISO_E10value_typeEPSP_NS1_7vsmem_tEENKUlT_SN_SO_SP_E_clIS8_S8_S9_S9_EESM_S12_SN_SO_SP_EUlS12_E1_NS1_11comp_targetILNS1_3genE2ELNS1_11target_archE906ELNS1_3gpuE6ELNS1_3repE0EEENS1_36merge_oddeven_config_static_selectorELNS0_4arch9wavefront6targetE1EEEvSO_.uses_flat_scratch, 0
	.set _ZN7rocprim17ROCPRIM_400000_NS6detail17trampoline_kernelINS0_14default_configENS1_38merge_sort_block_merge_config_selectorIlNS0_10empty_typeEEEZZNS1_27merge_sort_block_merge_implIS3_PlPS5_mZN2at6native12_GLOBAL__N_124unique_dim_cuda_templateIN3c108BFloat16EEESt5tupleIJNSA_6TensorESH_SH_EERKSH_lbbbEUlllE_EE10hipError_tT0_T1_T2_jT3_P12ihipStream_tbPNSt15iterator_traitsISN_E10value_typeEPNST_ISO_E10value_typeEPSP_NS1_7vsmem_tEENKUlT_SN_SO_SP_E_clIS8_S8_S9_S9_EESM_S12_SN_SO_SP_EUlS12_E1_NS1_11comp_targetILNS1_3genE2ELNS1_11target_archE906ELNS1_3gpuE6ELNS1_3repE0EEENS1_36merge_oddeven_config_static_selectorELNS0_4arch9wavefront6targetE1EEEvSO_.has_dyn_sized_stack, 0
	.set _ZN7rocprim17ROCPRIM_400000_NS6detail17trampoline_kernelINS0_14default_configENS1_38merge_sort_block_merge_config_selectorIlNS0_10empty_typeEEEZZNS1_27merge_sort_block_merge_implIS3_PlPS5_mZN2at6native12_GLOBAL__N_124unique_dim_cuda_templateIN3c108BFloat16EEESt5tupleIJNSA_6TensorESH_SH_EERKSH_lbbbEUlllE_EE10hipError_tT0_T1_T2_jT3_P12ihipStream_tbPNSt15iterator_traitsISN_E10value_typeEPNST_ISO_E10value_typeEPSP_NS1_7vsmem_tEENKUlT_SN_SO_SP_E_clIS8_S8_S9_S9_EESM_S12_SN_SO_SP_EUlS12_E1_NS1_11comp_targetILNS1_3genE2ELNS1_11target_archE906ELNS1_3gpuE6ELNS1_3repE0EEENS1_36merge_oddeven_config_static_selectorELNS0_4arch9wavefront6targetE1EEEvSO_.has_recursion, 0
	.set _ZN7rocprim17ROCPRIM_400000_NS6detail17trampoline_kernelINS0_14default_configENS1_38merge_sort_block_merge_config_selectorIlNS0_10empty_typeEEEZZNS1_27merge_sort_block_merge_implIS3_PlPS5_mZN2at6native12_GLOBAL__N_124unique_dim_cuda_templateIN3c108BFloat16EEESt5tupleIJNSA_6TensorESH_SH_EERKSH_lbbbEUlllE_EE10hipError_tT0_T1_T2_jT3_P12ihipStream_tbPNSt15iterator_traitsISN_E10value_typeEPNST_ISO_E10value_typeEPSP_NS1_7vsmem_tEENKUlT_SN_SO_SP_E_clIS8_S8_S9_S9_EESM_S12_SN_SO_SP_EUlS12_E1_NS1_11comp_targetILNS1_3genE2ELNS1_11target_archE906ELNS1_3gpuE6ELNS1_3repE0EEENS1_36merge_oddeven_config_static_selectorELNS0_4arch9wavefront6targetE1EEEvSO_.has_indirect_call, 0
	.section	.AMDGPU.csdata,"",@progbits
; Kernel info:
; codeLenInByte = 0
; TotalNumSgprs: 6
; NumVgprs: 0
; NumAgprs: 0
; TotalNumVgprs: 0
; ScratchSize: 0
; MemoryBound: 0
; FloatMode: 240
; IeeeMode: 1
; LDSByteSize: 0 bytes/workgroup (compile time only)
; SGPRBlocks: 0
; VGPRBlocks: 0
; NumSGPRsForWavesPerEU: 6
; NumVGPRsForWavesPerEU: 1
; AccumOffset: 4
; Occupancy: 8
; WaveLimiterHint : 0
; COMPUTE_PGM_RSRC2:SCRATCH_EN: 0
; COMPUTE_PGM_RSRC2:USER_SGPR: 2
; COMPUTE_PGM_RSRC2:TRAP_HANDLER: 0
; COMPUTE_PGM_RSRC2:TGID_X_EN: 1
; COMPUTE_PGM_RSRC2:TGID_Y_EN: 0
; COMPUTE_PGM_RSRC2:TGID_Z_EN: 0
; COMPUTE_PGM_RSRC2:TIDIG_COMP_CNT: 0
; COMPUTE_PGM_RSRC3_GFX90A:ACCUM_OFFSET: 0
; COMPUTE_PGM_RSRC3_GFX90A:TG_SPLIT: 0
	.section	.text._ZN7rocprim17ROCPRIM_400000_NS6detail17trampoline_kernelINS0_14default_configENS1_38merge_sort_block_merge_config_selectorIlNS0_10empty_typeEEEZZNS1_27merge_sort_block_merge_implIS3_PlPS5_mZN2at6native12_GLOBAL__N_124unique_dim_cuda_templateIN3c108BFloat16EEESt5tupleIJNSA_6TensorESH_SH_EERKSH_lbbbEUlllE_EE10hipError_tT0_T1_T2_jT3_P12ihipStream_tbPNSt15iterator_traitsISN_E10value_typeEPNST_ISO_E10value_typeEPSP_NS1_7vsmem_tEENKUlT_SN_SO_SP_E_clIS8_S8_S9_S9_EESM_S12_SN_SO_SP_EUlS12_E1_NS1_11comp_targetILNS1_3genE9ELNS1_11target_archE1100ELNS1_3gpuE3ELNS1_3repE0EEENS1_36merge_oddeven_config_static_selectorELNS0_4arch9wavefront6targetE1EEEvSO_,"axG",@progbits,_ZN7rocprim17ROCPRIM_400000_NS6detail17trampoline_kernelINS0_14default_configENS1_38merge_sort_block_merge_config_selectorIlNS0_10empty_typeEEEZZNS1_27merge_sort_block_merge_implIS3_PlPS5_mZN2at6native12_GLOBAL__N_124unique_dim_cuda_templateIN3c108BFloat16EEESt5tupleIJNSA_6TensorESH_SH_EERKSH_lbbbEUlllE_EE10hipError_tT0_T1_T2_jT3_P12ihipStream_tbPNSt15iterator_traitsISN_E10value_typeEPNST_ISO_E10value_typeEPSP_NS1_7vsmem_tEENKUlT_SN_SO_SP_E_clIS8_S8_S9_S9_EESM_S12_SN_SO_SP_EUlS12_E1_NS1_11comp_targetILNS1_3genE9ELNS1_11target_archE1100ELNS1_3gpuE3ELNS1_3repE0EEENS1_36merge_oddeven_config_static_selectorELNS0_4arch9wavefront6targetE1EEEvSO_,comdat
	.globl	_ZN7rocprim17ROCPRIM_400000_NS6detail17trampoline_kernelINS0_14default_configENS1_38merge_sort_block_merge_config_selectorIlNS0_10empty_typeEEEZZNS1_27merge_sort_block_merge_implIS3_PlPS5_mZN2at6native12_GLOBAL__N_124unique_dim_cuda_templateIN3c108BFloat16EEESt5tupleIJNSA_6TensorESH_SH_EERKSH_lbbbEUlllE_EE10hipError_tT0_T1_T2_jT3_P12ihipStream_tbPNSt15iterator_traitsISN_E10value_typeEPNST_ISO_E10value_typeEPSP_NS1_7vsmem_tEENKUlT_SN_SO_SP_E_clIS8_S8_S9_S9_EESM_S12_SN_SO_SP_EUlS12_E1_NS1_11comp_targetILNS1_3genE9ELNS1_11target_archE1100ELNS1_3gpuE3ELNS1_3repE0EEENS1_36merge_oddeven_config_static_selectorELNS0_4arch9wavefront6targetE1EEEvSO_ ; -- Begin function _ZN7rocprim17ROCPRIM_400000_NS6detail17trampoline_kernelINS0_14default_configENS1_38merge_sort_block_merge_config_selectorIlNS0_10empty_typeEEEZZNS1_27merge_sort_block_merge_implIS3_PlPS5_mZN2at6native12_GLOBAL__N_124unique_dim_cuda_templateIN3c108BFloat16EEESt5tupleIJNSA_6TensorESH_SH_EERKSH_lbbbEUlllE_EE10hipError_tT0_T1_T2_jT3_P12ihipStream_tbPNSt15iterator_traitsISN_E10value_typeEPNST_ISO_E10value_typeEPSP_NS1_7vsmem_tEENKUlT_SN_SO_SP_E_clIS8_S8_S9_S9_EESM_S12_SN_SO_SP_EUlS12_E1_NS1_11comp_targetILNS1_3genE9ELNS1_11target_archE1100ELNS1_3gpuE3ELNS1_3repE0EEENS1_36merge_oddeven_config_static_selectorELNS0_4arch9wavefront6targetE1EEEvSO_
	.p2align	8
	.type	_ZN7rocprim17ROCPRIM_400000_NS6detail17trampoline_kernelINS0_14default_configENS1_38merge_sort_block_merge_config_selectorIlNS0_10empty_typeEEEZZNS1_27merge_sort_block_merge_implIS3_PlPS5_mZN2at6native12_GLOBAL__N_124unique_dim_cuda_templateIN3c108BFloat16EEESt5tupleIJNSA_6TensorESH_SH_EERKSH_lbbbEUlllE_EE10hipError_tT0_T1_T2_jT3_P12ihipStream_tbPNSt15iterator_traitsISN_E10value_typeEPNST_ISO_E10value_typeEPSP_NS1_7vsmem_tEENKUlT_SN_SO_SP_E_clIS8_S8_S9_S9_EESM_S12_SN_SO_SP_EUlS12_E1_NS1_11comp_targetILNS1_3genE9ELNS1_11target_archE1100ELNS1_3gpuE3ELNS1_3repE0EEENS1_36merge_oddeven_config_static_selectorELNS0_4arch9wavefront6targetE1EEEvSO_,@function
_ZN7rocprim17ROCPRIM_400000_NS6detail17trampoline_kernelINS0_14default_configENS1_38merge_sort_block_merge_config_selectorIlNS0_10empty_typeEEEZZNS1_27merge_sort_block_merge_implIS3_PlPS5_mZN2at6native12_GLOBAL__N_124unique_dim_cuda_templateIN3c108BFloat16EEESt5tupleIJNSA_6TensorESH_SH_EERKSH_lbbbEUlllE_EE10hipError_tT0_T1_T2_jT3_P12ihipStream_tbPNSt15iterator_traitsISN_E10value_typeEPNST_ISO_E10value_typeEPSP_NS1_7vsmem_tEENKUlT_SN_SO_SP_E_clIS8_S8_S9_S9_EESM_S12_SN_SO_SP_EUlS12_E1_NS1_11comp_targetILNS1_3genE9ELNS1_11target_archE1100ELNS1_3gpuE3ELNS1_3repE0EEENS1_36merge_oddeven_config_static_selectorELNS0_4arch9wavefront6targetE1EEEvSO_: ; @_ZN7rocprim17ROCPRIM_400000_NS6detail17trampoline_kernelINS0_14default_configENS1_38merge_sort_block_merge_config_selectorIlNS0_10empty_typeEEEZZNS1_27merge_sort_block_merge_implIS3_PlPS5_mZN2at6native12_GLOBAL__N_124unique_dim_cuda_templateIN3c108BFloat16EEESt5tupleIJNSA_6TensorESH_SH_EERKSH_lbbbEUlllE_EE10hipError_tT0_T1_T2_jT3_P12ihipStream_tbPNSt15iterator_traitsISN_E10value_typeEPNST_ISO_E10value_typeEPSP_NS1_7vsmem_tEENKUlT_SN_SO_SP_E_clIS8_S8_S9_S9_EESM_S12_SN_SO_SP_EUlS12_E1_NS1_11comp_targetILNS1_3genE9ELNS1_11target_archE1100ELNS1_3gpuE3ELNS1_3repE0EEENS1_36merge_oddeven_config_static_selectorELNS0_4arch9wavefront6targetE1EEEvSO_
; %bb.0:
	.section	.rodata,"a",@progbits
	.p2align	6, 0x0
	.amdhsa_kernel _ZN7rocprim17ROCPRIM_400000_NS6detail17trampoline_kernelINS0_14default_configENS1_38merge_sort_block_merge_config_selectorIlNS0_10empty_typeEEEZZNS1_27merge_sort_block_merge_implIS3_PlPS5_mZN2at6native12_GLOBAL__N_124unique_dim_cuda_templateIN3c108BFloat16EEESt5tupleIJNSA_6TensorESH_SH_EERKSH_lbbbEUlllE_EE10hipError_tT0_T1_T2_jT3_P12ihipStream_tbPNSt15iterator_traitsISN_E10value_typeEPNST_ISO_E10value_typeEPSP_NS1_7vsmem_tEENKUlT_SN_SO_SP_E_clIS8_S8_S9_S9_EESM_S12_SN_SO_SP_EUlS12_E1_NS1_11comp_targetILNS1_3genE9ELNS1_11target_archE1100ELNS1_3gpuE3ELNS1_3repE0EEENS1_36merge_oddeven_config_static_selectorELNS0_4arch9wavefront6targetE1EEEvSO_
		.amdhsa_group_segment_fixed_size 0
		.amdhsa_private_segment_fixed_size 0
		.amdhsa_kernarg_size 64
		.amdhsa_user_sgpr_count 2
		.amdhsa_user_sgpr_dispatch_ptr 0
		.amdhsa_user_sgpr_queue_ptr 0
		.amdhsa_user_sgpr_kernarg_segment_ptr 1
		.amdhsa_user_sgpr_dispatch_id 0
		.amdhsa_user_sgpr_kernarg_preload_length 0
		.amdhsa_user_sgpr_kernarg_preload_offset 0
		.amdhsa_user_sgpr_private_segment_size 0
		.amdhsa_uses_dynamic_stack 0
		.amdhsa_enable_private_segment 0
		.amdhsa_system_sgpr_workgroup_id_x 1
		.amdhsa_system_sgpr_workgroup_id_y 0
		.amdhsa_system_sgpr_workgroup_id_z 0
		.amdhsa_system_sgpr_workgroup_info 0
		.amdhsa_system_vgpr_workitem_id 0
		.amdhsa_next_free_vgpr 1
		.amdhsa_next_free_sgpr 0
		.amdhsa_accum_offset 4
		.amdhsa_reserve_vcc 0
		.amdhsa_float_round_mode_32 0
		.amdhsa_float_round_mode_16_64 0
		.amdhsa_float_denorm_mode_32 3
		.amdhsa_float_denorm_mode_16_64 3
		.amdhsa_dx10_clamp 1
		.amdhsa_ieee_mode 1
		.amdhsa_fp16_overflow 0
		.amdhsa_tg_split 0
		.amdhsa_exception_fp_ieee_invalid_op 0
		.amdhsa_exception_fp_denorm_src 0
		.amdhsa_exception_fp_ieee_div_zero 0
		.amdhsa_exception_fp_ieee_overflow 0
		.amdhsa_exception_fp_ieee_underflow 0
		.amdhsa_exception_fp_ieee_inexact 0
		.amdhsa_exception_int_div_zero 0
	.end_amdhsa_kernel
	.section	.text._ZN7rocprim17ROCPRIM_400000_NS6detail17trampoline_kernelINS0_14default_configENS1_38merge_sort_block_merge_config_selectorIlNS0_10empty_typeEEEZZNS1_27merge_sort_block_merge_implIS3_PlPS5_mZN2at6native12_GLOBAL__N_124unique_dim_cuda_templateIN3c108BFloat16EEESt5tupleIJNSA_6TensorESH_SH_EERKSH_lbbbEUlllE_EE10hipError_tT0_T1_T2_jT3_P12ihipStream_tbPNSt15iterator_traitsISN_E10value_typeEPNST_ISO_E10value_typeEPSP_NS1_7vsmem_tEENKUlT_SN_SO_SP_E_clIS8_S8_S9_S9_EESM_S12_SN_SO_SP_EUlS12_E1_NS1_11comp_targetILNS1_3genE9ELNS1_11target_archE1100ELNS1_3gpuE3ELNS1_3repE0EEENS1_36merge_oddeven_config_static_selectorELNS0_4arch9wavefront6targetE1EEEvSO_,"axG",@progbits,_ZN7rocprim17ROCPRIM_400000_NS6detail17trampoline_kernelINS0_14default_configENS1_38merge_sort_block_merge_config_selectorIlNS0_10empty_typeEEEZZNS1_27merge_sort_block_merge_implIS3_PlPS5_mZN2at6native12_GLOBAL__N_124unique_dim_cuda_templateIN3c108BFloat16EEESt5tupleIJNSA_6TensorESH_SH_EERKSH_lbbbEUlllE_EE10hipError_tT0_T1_T2_jT3_P12ihipStream_tbPNSt15iterator_traitsISN_E10value_typeEPNST_ISO_E10value_typeEPSP_NS1_7vsmem_tEENKUlT_SN_SO_SP_E_clIS8_S8_S9_S9_EESM_S12_SN_SO_SP_EUlS12_E1_NS1_11comp_targetILNS1_3genE9ELNS1_11target_archE1100ELNS1_3gpuE3ELNS1_3repE0EEENS1_36merge_oddeven_config_static_selectorELNS0_4arch9wavefront6targetE1EEEvSO_,comdat
.Lfunc_end1147:
	.size	_ZN7rocprim17ROCPRIM_400000_NS6detail17trampoline_kernelINS0_14default_configENS1_38merge_sort_block_merge_config_selectorIlNS0_10empty_typeEEEZZNS1_27merge_sort_block_merge_implIS3_PlPS5_mZN2at6native12_GLOBAL__N_124unique_dim_cuda_templateIN3c108BFloat16EEESt5tupleIJNSA_6TensorESH_SH_EERKSH_lbbbEUlllE_EE10hipError_tT0_T1_T2_jT3_P12ihipStream_tbPNSt15iterator_traitsISN_E10value_typeEPNST_ISO_E10value_typeEPSP_NS1_7vsmem_tEENKUlT_SN_SO_SP_E_clIS8_S8_S9_S9_EESM_S12_SN_SO_SP_EUlS12_E1_NS1_11comp_targetILNS1_3genE9ELNS1_11target_archE1100ELNS1_3gpuE3ELNS1_3repE0EEENS1_36merge_oddeven_config_static_selectorELNS0_4arch9wavefront6targetE1EEEvSO_, .Lfunc_end1147-_ZN7rocprim17ROCPRIM_400000_NS6detail17trampoline_kernelINS0_14default_configENS1_38merge_sort_block_merge_config_selectorIlNS0_10empty_typeEEEZZNS1_27merge_sort_block_merge_implIS3_PlPS5_mZN2at6native12_GLOBAL__N_124unique_dim_cuda_templateIN3c108BFloat16EEESt5tupleIJNSA_6TensorESH_SH_EERKSH_lbbbEUlllE_EE10hipError_tT0_T1_T2_jT3_P12ihipStream_tbPNSt15iterator_traitsISN_E10value_typeEPNST_ISO_E10value_typeEPSP_NS1_7vsmem_tEENKUlT_SN_SO_SP_E_clIS8_S8_S9_S9_EESM_S12_SN_SO_SP_EUlS12_E1_NS1_11comp_targetILNS1_3genE9ELNS1_11target_archE1100ELNS1_3gpuE3ELNS1_3repE0EEENS1_36merge_oddeven_config_static_selectorELNS0_4arch9wavefront6targetE1EEEvSO_
                                        ; -- End function
	.set _ZN7rocprim17ROCPRIM_400000_NS6detail17trampoline_kernelINS0_14default_configENS1_38merge_sort_block_merge_config_selectorIlNS0_10empty_typeEEEZZNS1_27merge_sort_block_merge_implIS3_PlPS5_mZN2at6native12_GLOBAL__N_124unique_dim_cuda_templateIN3c108BFloat16EEESt5tupleIJNSA_6TensorESH_SH_EERKSH_lbbbEUlllE_EE10hipError_tT0_T1_T2_jT3_P12ihipStream_tbPNSt15iterator_traitsISN_E10value_typeEPNST_ISO_E10value_typeEPSP_NS1_7vsmem_tEENKUlT_SN_SO_SP_E_clIS8_S8_S9_S9_EESM_S12_SN_SO_SP_EUlS12_E1_NS1_11comp_targetILNS1_3genE9ELNS1_11target_archE1100ELNS1_3gpuE3ELNS1_3repE0EEENS1_36merge_oddeven_config_static_selectorELNS0_4arch9wavefront6targetE1EEEvSO_.num_vgpr, 0
	.set _ZN7rocprim17ROCPRIM_400000_NS6detail17trampoline_kernelINS0_14default_configENS1_38merge_sort_block_merge_config_selectorIlNS0_10empty_typeEEEZZNS1_27merge_sort_block_merge_implIS3_PlPS5_mZN2at6native12_GLOBAL__N_124unique_dim_cuda_templateIN3c108BFloat16EEESt5tupleIJNSA_6TensorESH_SH_EERKSH_lbbbEUlllE_EE10hipError_tT0_T1_T2_jT3_P12ihipStream_tbPNSt15iterator_traitsISN_E10value_typeEPNST_ISO_E10value_typeEPSP_NS1_7vsmem_tEENKUlT_SN_SO_SP_E_clIS8_S8_S9_S9_EESM_S12_SN_SO_SP_EUlS12_E1_NS1_11comp_targetILNS1_3genE9ELNS1_11target_archE1100ELNS1_3gpuE3ELNS1_3repE0EEENS1_36merge_oddeven_config_static_selectorELNS0_4arch9wavefront6targetE1EEEvSO_.num_agpr, 0
	.set _ZN7rocprim17ROCPRIM_400000_NS6detail17trampoline_kernelINS0_14default_configENS1_38merge_sort_block_merge_config_selectorIlNS0_10empty_typeEEEZZNS1_27merge_sort_block_merge_implIS3_PlPS5_mZN2at6native12_GLOBAL__N_124unique_dim_cuda_templateIN3c108BFloat16EEESt5tupleIJNSA_6TensorESH_SH_EERKSH_lbbbEUlllE_EE10hipError_tT0_T1_T2_jT3_P12ihipStream_tbPNSt15iterator_traitsISN_E10value_typeEPNST_ISO_E10value_typeEPSP_NS1_7vsmem_tEENKUlT_SN_SO_SP_E_clIS8_S8_S9_S9_EESM_S12_SN_SO_SP_EUlS12_E1_NS1_11comp_targetILNS1_3genE9ELNS1_11target_archE1100ELNS1_3gpuE3ELNS1_3repE0EEENS1_36merge_oddeven_config_static_selectorELNS0_4arch9wavefront6targetE1EEEvSO_.numbered_sgpr, 0
	.set _ZN7rocprim17ROCPRIM_400000_NS6detail17trampoline_kernelINS0_14default_configENS1_38merge_sort_block_merge_config_selectorIlNS0_10empty_typeEEEZZNS1_27merge_sort_block_merge_implIS3_PlPS5_mZN2at6native12_GLOBAL__N_124unique_dim_cuda_templateIN3c108BFloat16EEESt5tupleIJNSA_6TensorESH_SH_EERKSH_lbbbEUlllE_EE10hipError_tT0_T1_T2_jT3_P12ihipStream_tbPNSt15iterator_traitsISN_E10value_typeEPNST_ISO_E10value_typeEPSP_NS1_7vsmem_tEENKUlT_SN_SO_SP_E_clIS8_S8_S9_S9_EESM_S12_SN_SO_SP_EUlS12_E1_NS1_11comp_targetILNS1_3genE9ELNS1_11target_archE1100ELNS1_3gpuE3ELNS1_3repE0EEENS1_36merge_oddeven_config_static_selectorELNS0_4arch9wavefront6targetE1EEEvSO_.num_named_barrier, 0
	.set _ZN7rocprim17ROCPRIM_400000_NS6detail17trampoline_kernelINS0_14default_configENS1_38merge_sort_block_merge_config_selectorIlNS0_10empty_typeEEEZZNS1_27merge_sort_block_merge_implIS3_PlPS5_mZN2at6native12_GLOBAL__N_124unique_dim_cuda_templateIN3c108BFloat16EEESt5tupleIJNSA_6TensorESH_SH_EERKSH_lbbbEUlllE_EE10hipError_tT0_T1_T2_jT3_P12ihipStream_tbPNSt15iterator_traitsISN_E10value_typeEPNST_ISO_E10value_typeEPSP_NS1_7vsmem_tEENKUlT_SN_SO_SP_E_clIS8_S8_S9_S9_EESM_S12_SN_SO_SP_EUlS12_E1_NS1_11comp_targetILNS1_3genE9ELNS1_11target_archE1100ELNS1_3gpuE3ELNS1_3repE0EEENS1_36merge_oddeven_config_static_selectorELNS0_4arch9wavefront6targetE1EEEvSO_.private_seg_size, 0
	.set _ZN7rocprim17ROCPRIM_400000_NS6detail17trampoline_kernelINS0_14default_configENS1_38merge_sort_block_merge_config_selectorIlNS0_10empty_typeEEEZZNS1_27merge_sort_block_merge_implIS3_PlPS5_mZN2at6native12_GLOBAL__N_124unique_dim_cuda_templateIN3c108BFloat16EEESt5tupleIJNSA_6TensorESH_SH_EERKSH_lbbbEUlllE_EE10hipError_tT0_T1_T2_jT3_P12ihipStream_tbPNSt15iterator_traitsISN_E10value_typeEPNST_ISO_E10value_typeEPSP_NS1_7vsmem_tEENKUlT_SN_SO_SP_E_clIS8_S8_S9_S9_EESM_S12_SN_SO_SP_EUlS12_E1_NS1_11comp_targetILNS1_3genE9ELNS1_11target_archE1100ELNS1_3gpuE3ELNS1_3repE0EEENS1_36merge_oddeven_config_static_selectorELNS0_4arch9wavefront6targetE1EEEvSO_.uses_vcc, 0
	.set _ZN7rocprim17ROCPRIM_400000_NS6detail17trampoline_kernelINS0_14default_configENS1_38merge_sort_block_merge_config_selectorIlNS0_10empty_typeEEEZZNS1_27merge_sort_block_merge_implIS3_PlPS5_mZN2at6native12_GLOBAL__N_124unique_dim_cuda_templateIN3c108BFloat16EEESt5tupleIJNSA_6TensorESH_SH_EERKSH_lbbbEUlllE_EE10hipError_tT0_T1_T2_jT3_P12ihipStream_tbPNSt15iterator_traitsISN_E10value_typeEPNST_ISO_E10value_typeEPSP_NS1_7vsmem_tEENKUlT_SN_SO_SP_E_clIS8_S8_S9_S9_EESM_S12_SN_SO_SP_EUlS12_E1_NS1_11comp_targetILNS1_3genE9ELNS1_11target_archE1100ELNS1_3gpuE3ELNS1_3repE0EEENS1_36merge_oddeven_config_static_selectorELNS0_4arch9wavefront6targetE1EEEvSO_.uses_flat_scratch, 0
	.set _ZN7rocprim17ROCPRIM_400000_NS6detail17trampoline_kernelINS0_14default_configENS1_38merge_sort_block_merge_config_selectorIlNS0_10empty_typeEEEZZNS1_27merge_sort_block_merge_implIS3_PlPS5_mZN2at6native12_GLOBAL__N_124unique_dim_cuda_templateIN3c108BFloat16EEESt5tupleIJNSA_6TensorESH_SH_EERKSH_lbbbEUlllE_EE10hipError_tT0_T1_T2_jT3_P12ihipStream_tbPNSt15iterator_traitsISN_E10value_typeEPNST_ISO_E10value_typeEPSP_NS1_7vsmem_tEENKUlT_SN_SO_SP_E_clIS8_S8_S9_S9_EESM_S12_SN_SO_SP_EUlS12_E1_NS1_11comp_targetILNS1_3genE9ELNS1_11target_archE1100ELNS1_3gpuE3ELNS1_3repE0EEENS1_36merge_oddeven_config_static_selectorELNS0_4arch9wavefront6targetE1EEEvSO_.has_dyn_sized_stack, 0
	.set _ZN7rocprim17ROCPRIM_400000_NS6detail17trampoline_kernelINS0_14default_configENS1_38merge_sort_block_merge_config_selectorIlNS0_10empty_typeEEEZZNS1_27merge_sort_block_merge_implIS3_PlPS5_mZN2at6native12_GLOBAL__N_124unique_dim_cuda_templateIN3c108BFloat16EEESt5tupleIJNSA_6TensorESH_SH_EERKSH_lbbbEUlllE_EE10hipError_tT0_T1_T2_jT3_P12ihipStream_tbPNSt15iterator_traitsISN_E10value_typeEPNST_ISO_E10value_typeEPSP_NS1_7vsmem_tEENKUlT_SN_SO_SP_E_clIS8_S8_S9_S9_EESM_S12_SN_SO_SP_EUlS12_E1_NS1_11comp_targetILNS1_3genE9ELNS1_11target_archE1100ELNS1_3gpuE3ELNS1_3repE0EEENS1_36merge_oddeven_config_static_selectorELNS0_4arch9wavefront6targetE1EEEvSO_.has_recursion, 0
	.set _ZN7rocprim17ROCPRIM_400000_NS6detail17trampoline_kernelINS0_14default_configENS1_38merge_sort_block_merge_config_selectorIlNS0_10empty_typeEEEZZNS1_27merge_sort_block_merge_implIS3_PlPS5_mZN2at6native12_GLOBAL__N_124unique_dim_cuda_templateIN3c108BFloat16EEESt5tupleIJNSA_6TensorESH_SH_EERKSH_lbbbEUlllE_EE10hipError_tT0_T1_T2_jT3_P12ihipStream_tbPNSt15iterator_traitsISN_E10value_typeEPNST_ISO_E10value_typeEPSP_NS1_7vsmem_tEENKUlT_SN_SO_SP_E_clIS8_S8_S9_S9_EESM_S12_SN_SO_SP_EUlS12_E1_NS1_11comp_targetILNS1_3genE9ELNS1_11target_archE1100ELNS1_3gpuE3ELNS1_3repE0EEENS1_36merge_oddeven_config_static_selectorELNS0_4arch9wavefront6targetE1EEEvSO_.has_indirect_call, 0
	.section	.AMDGPU.csdata,"",@progbits
; Kernel info:
; codeLenInByte = 0
; TotalNumSgprs: 6
; NumVgprs: 0
; NumAgprs: 0
; TotalNumVgprs: 0
; ScratchSize: 0
; MemoryBound: 0
; FloatMode: 240
; IeeeMode: 1
; LDSByteSize: 0 bytes/workgroup (compile time only)
; SGPRBlocks: 0
; VGPRBlocks: 0
; NumSGPRsForWavesPerEU: 6
; NumVGPRsForWavesPerEU: 1
; AccumOffset: 4
; Occupancy: 8
; WaveLimiterHint : 0
; COMPUTE_PGM_RSRC2:SCRATCH_EN: 0
; COMPUTE_PGM_RSRC2:USER_SGPR: 2
; COMPUTE_PGM_RSRC2:TRAP_HANDLER: 0
; COMPUTE_PGM_RSRC2:TGID_X_EN: 1
; COMPUTE_PGM_RSRC2:TGID_Y_EN: 0
; COMPUTE_PGM_RSRC2:TGID_Z_EN: 0
; COMPUTE_PGM_RSRC2:TIDIG_COMP_CNT: 0
; COMPUTE_PGM_RSRC3_GFX90A:ACCUM_OFFSET: 0
; COMPUTE_PGM_RSRC3_GFX90A:TG_SPLIT: 0
	.section	.text._ZN7rocprim17ROCPRIM_400000_NS6detail17trampoline_kernelINS0_14default_configENS1_38merge_sort_block_merge_config_selectorIlNS0_10empty_typeEEEZZNS1_27merge_sort_block_merge_implIS3_PlPS5_mZN2at6native12_GLOBAL__N_124unique_dim_cuda_templateIN3c108BFloat16EEESt5tupleIJNSA_6TensorESH_SH_EERKSH_lbbbEUlllE_EE10hipError_tT0_T1_T2_jT3_P12ihipStream_tbPNSt15iterator_traitsISN_E10value_typeEPNST_ISO_E10value_typeEPSP_NS1_7vsmem_tEENKUlT_SN_SO_SP_E_clIS8_S8_S9_S9_EESM_S12_SN_SO_SP_EUlS12_E1_NS1_11comp_targetILNS1_3genE8ELNS1_11target_archE1030ELNS1_3gpuE2ELNS1_3repE0EEENS1_36merge_oddeven_config_static_selectorELNS0_4arch9wavefront6targetE1EEEvSO_,"axG",@progbits,_ZN7rocprim17ROCPRIM_400000_NS6detail17trampoline_kernelINS0_14default_configENS1_38merge_sort_block_merge_config_selectorIlNS0_10empty_typeEEEZZNS1_27merge_sort_block_merge_implIS3_PlPS5_mZN2at6native12_GLOBAL__N_124unique_dim_cuda_templateIN3c108BFloat16EEESt5tupleIJNSA_6TensorESH_SH_EERKSH_lbbbEUlllE_EE10hipError_tT0_T1_T2_jT3_P12ihipStream_tbPNSt15iterator_traitsISN_E10value_typeEPNST_ISO_E10value_typeEPSP_NS1_7vsmem_tEENKUlT_SN_SO_SP_E_clIS8_S8_S9_S9_EESM_S12_SN_SO_SP_EUlS12_E1_NS1_11comp_targetILNS1_3genE8ELNS1_11target_archE1030ELNS1_3gpuE2ELNS1_3repE0EEENS1_36merge_oddeven_config_static_selectorELNS0_4arch9wavefront6targetE1EEEvSO_,comdat
	.globl	_ZN7rocprim17ROCPRIM_400000_NS6detail17trampoline_kernelINS0_14default_configENS1_38merge_sort_block_merge_config_selectorIlNS0_10empty_typeEEEZZNS1_27merge_sort_block_merge_implIS3_PlPS5_mZN2at6native12_GLOBAL__N_124unique_dim_cuda_templateIN3c108BFloat16EEESt5tupleIJNSA_6TensorESH_SH_EERKSH_lbbbEUlllE_EE10hipError_tT0_T1_T2_jT3_P12ihipStream_tbPNSt15iterator_traitsISN_E10value_typeEPNST_ISO_E10value_typeEPSP_NS1_7vsmem_tEENKUlT_SN_SO_SP_E_clIS8_S8_S9_S9_EESM_S12_SN_SO_SP_EUlS12_E1_NS1_11comp_targetILNS1_3genE8ELNS1_11target_archE1030ELNS1_3gpuE2ELNS1_3repE0EEENS1_36merge_oddeven_config_static_selectorELNS0_4arch9wavefront6targetE1EEEvSO_ ; -- Begin function _ZN7rocprim17ROCPRIM_400000_NS6detail17trampoline_kernelINS0_14default_configENS1_38merge_sort_block_merge_config_selectorIlNS0_10empty_typeEEEZZNS1_27merge_sort_block_merge_implIS3_PlPS5_mZN2at6native12_GLOBAL__N_124unique_dim_cuda_templateIN3c108BFloat16EEESt5tupleIJNSA_6TensorESH_SH_EERKSH_lbbbEUlllE_EE10hipError_tT0_T1_T2_jT3_P12ihipStream_tbPNSt15iterator_traitsISN_E10value_typeEPNST_ISO_E10value_typeEPSP_NS1_7vsmem_tEENKUlT_SN_SO_SP_E_clIS8_S8_S9_S9_EESM_S12_SN_SO_SP_EUlS12_E1_NS1_11comp_targetILNS1_3genE8ELNS1_11target_archE1030ELNS1_3gpuE2ELNS1_3repE0EEENS1_36merge_oddeven_config_static_selectorELNS0_4arch9wavefront6targetE1EEEvSO_
	.p2align	8
	.type	_ZN7rocprim17ROCPRIM_400000_NS6detail17trampoline_kernelINS0_14default_configENS1_38merge_sort_block_merge_config_selectorIlNS0_10empty_typeEEEZZNS1_27merge_sort_block_merge_implIS3_PlPS5_mZN2at6native12_GLOBAL__N_124unique_dim_cuda_templateIN3c108BFloat16EEESt5tupleIJNSA_6TensorESH_SH_EERKSH_lbbbEUlllE_EE10hipError_tT0_T1_T2_jT3_P12ihipStream_tbPNSt15iterator_traitsISN_E10value_typeEPNST_ISO_E10value_typeEPSP_NS1_7vsmem_tEENKUlT_SN_SO_SP_E_clIS8_S8_S9_S9_EESM_S12_SN_SO_SP_EUlS12_E1_NS1_11comp_targetILNS1_3genE8ELNS1_11target_archE1030ELNS1_3gpuE2ELNS1_3repE0EEENS1_36merge_oddeven_config_static_selectorELNS0_4arch9wavefront6targetE1EEEvSO_,@function
_ZN7rocprim17ROCPRIM_400000_NS6detail17trampoline_kernelINS0_14default_configENS1_38merge_sort_block_merge_config_selectorIlNS0_10empty_typeEEEZZNS1_27merge_sort_block_merge_implIS3_PlPS5_mZN2at6native12_GLOBAL__N_124unique_dim_cuda_templateIN3c108BFloat16EEESt5tupleIJNSA_6TensorESH_SH_EERKSH_lbbbEUlllE_EE10hipError_tT0_T1_T2_jT3_P12ihipStream_tbPNSt15iterator_traitsISN_E10value_typeEPNST_ISO_E10value_typeEPSP_NS1_7vsmem_tEENKUlT_SN_SO_SP_E_clIS8_S8_S9_S9_EESM_S12_SN_SO_SP_EUlS12_E1_NS1_11comp_targetILNS1_3genE8ELNS1_11target_archE1030ELNS1_3gpuE2ELNS1_3repE0EEENS1_36merge_oddeven_config_static_selectorELNS0_4arch9wavefront6targetE1EEEvSO_: ; @_ZN7rocprim17ROCPRIM_400000_NS6detail17trampoline_kernelINS0_14default_configENS1_38merge_sort_block_merge_config_selectorIlNS0_10empty_typeEEEZZNS1_27merge_sort_block_merge_implIS3_PlPS5_mZN2at6native12_GLOBAL__N_124unique_dim_cuda_templateIN3c108BFloat16EEESt5tupleIJNSA_6TensorESH_SH_EERKSH_lbbbEUlllE_EE10hipError_tT0_T1_T2_jT3_P12ihipStream_tbPNSt15iterator_traitsISN_E10value_typeEPNST_ISO_E10value_typeEPSP_NS1_7vsmem_tEENKUlT_SN_SO_SP_E_clIS8_S8_S9_S9_EESM_S12_SN_SO_SP_EUlS12_E1_NS1_11comp_targetILNS1_3genE8ELNS1_11target_archE1030ELNS1_3gpuE2ELNS1_3repE0EEENS1_36merge_oddeven_config_static_selectorELNS0_4arch9wavefront6targetE1EEEvSO_
; %bb.0:
	.section	.rodata,"a",@progbits
	.p2align	6, 0x0
	.amdhsa_kernel _ZN7rocprim17ROCPRIM_400000_NS6detail17trampoline_kernelINS0_14default_configENS1_38merge_sort_block_merge_config_selectorIlNS0_10empty_typeEEEZZNS1_27merge_sort_block_merge_implIS3_PlPS5_mZN2at6native12_GLOBAL__N_124unique_dim_cuda_templateIN3c108BFloat16EEESt5tupleIJNSA_6TensorESH_SH_EERKSH_lbbbEUlllE_EE10hipError_tT0_T1_T2_jT3_P12ihipStream_tbPNSt15iterator_traitsISN_E10value_typeEPNST_ISO_E10value_typeEPSP_NS1_7vsmem_tEENKUlT_SN_SO_SP_E_clIS8_S8_S9_S9_EESM_S12_SN_SO_SP_EUlS12_E1_NS1_11comp_targetILNS1_3genE8ELNS1_11target_archE1030ELNS1_3gpuE2ELNS1_3repE0EEENS1_36merge_oddeven_config_static_selectorELNS0_4arch9wavefront6targetE1EEEvSO_
		.amdhsa_group_segment_fixed_size 0
		.amdhsa_private_segment_fixed_size 0
		.amdhsa_kernarg_size 64
		.amdhsa_user_sgpr_count 2
		.amdhsa_user_sgpr_dispatch_ptr 0
		.amdhsa_user_sgpr_queue_ptr 0
		.amdhsa_user_sgpr_kernarg_segment_ptr 1
		.amdhsa_user_sgpr_dispatch_id 0
		.amdhsa_user_sgpr_kernarg_preload_length 0
		.amdhsa_user_sgpr_kernarg_preload_offset 0
		.amdhsa_user_sgpr_private_segment_size 0
		.amdhsa_uses_dynamic_stack 0
		.amdhsa_enable_private_segment 0
		.amdhsa_system_sgpr_workgroup_id_x 1
		.amdhsa_system_sgpr_workgroup_id_y 0
		.amdhsa_system_sgpr_workgroup_id_z 0
		.amdhsa_system_sgpr_workgroup_info 0
		.amdhsa_system_vgpr_workitem_id 0
		.amdhsa_next_free_vgpr 1
		.amdhsa_next_free_sgpr 0
		.amdhsa_accum_offset 4
		.amdhsa_reserve_vcc 0
		.amdhsa_float_round_mode_32 0
		.amdhsa_float_round_mode_16_64 0
		.amdhsa_float_denorm_mode_32 3
		.amdhsa_float_denorm_mode_16_64 3
		.amdhsa_dx10_clamp 1
		.amdhsa_ieee_mode 1
		.amdhsa_fp16_overflow 0
		.amdhsa_tg_split 0
		.amdhsa_exception_fp_ieee_invalid_op 0
		.amdhsa_exception_fp_denorm_src 0
		.amdhsa_exception_fp_ieee_div_zero 0
		.amdhsa_exception_fp_ieee_overflow 0
		.amdhsa_exception_fp_ieee_underflow 0
		.amdhsa_exception_fp_ieee_inexact 0
		.amdhsa_exception_int_div_zero 0
	.end_amdhsa_kernel
	.section	.text._ZN7rocprim17ROCPRIM_400000_NS6detail17trampoline_kernelINS0_14default_configENS1_38merge_sort_block_merge_config_selectorIlNS0_10empty_typeEEEZZNS1_27merge_sort_block_merge_implIS3_PlPS5_mZN2at6native12_GLOBAL__N_124unique_dim_cuda_templateIN3c108BFloat16EEESt5tupleIJNSA_6TensorESH_SH_EERKSH_lbbbEUlllE_EE10hipError_tT0_T1_T2_jT3_P12ihipStream_tbPNSt15iterator_traitsISN_E10value_typeEPNST_ISO_E10value_typeEPSP_NS1_7vsmem_tEENKUlT_SN_SO_SP_E_clIS8_S8_S9_S9_EESM_S12_SN_SO_SP_EUlS12_E1_NS1_11comp_targetILNS1_3genE8ELNS1_11target_archE1030ELNS1_3gpuE2ELNS1_3repE0EEENS1_36merge_oddeven_config_static_selectorELNS0_4arch9wavefront6targetE1EEEvSO_,"axG",@progbits,_ZN7rocprim17ROCPRIM_400000_NS6detail17trampoline_kernelINS0_14default_configENS1_38merge_sort_block_merge_config_selectorIlNS0_10empty_typeEEEZZNS1_27merge_sort_block_merge_implIS3_PlPS5_mZN2at6native12_GLOBAL__N_124unique_dim_cuda_templateIN3c108BFloat16EEESt5tupleIJNSA_6TensorESH_SH_EERKSH_lbbbEUlllE_EE10hipError_tT0_T1_T2_jT3_P12ihipStream_tbPNSt15iterator_traitsISN_E10value_typeEPNST_ISO_E10value_typeEPSP_NS1_7vsmem_tEENKUlT_SN_SO_SP_E_clIS8_S8_S9_S9_EESM_S12_SN_SO_SP_EUlS12_E1_NS1_11comp_targetILNS1_3genE8ELNS1_11target_archE1030ELNS1_3gpuE2ELNS1_3repE0EEENS1_36merge_oddeven_config_static_selectorELNS0_4arch9wavefront6targetE1EEEvSO_,comdat
.Lfunc_end1148:
	.size	_ZN7rocprim17ROCPRIM_400000_NS6detail17trampoline_kernelINS0_14default_configENS1_38merge_sort_block_merge_config_selectorIlNS0_10empty_typeEEEZZNS1_27merge_sort_block_merge_implIS3_PlPS5_mZN2at6native12_GLOBAL__N_124unique_dim_cuda_templateIN3c108BFloat16EEESt5tupleIJNSA_6TensorESH_SH_EERKSH_lbbbEUlllE_EE10hipError_tT0_T1_T2_jT3_P12ihipStream_tbPNSt15iterator_traitsISN_E10value_typeEPNST_ISO_E10value_typeEPSP_NS1_7vsmem_tEENKUlT_SN_SO_SP_E_clIS8_S8_S9_S9_EESM_S12_SN_SO_SP_EUlS12_E1_NS1_11comp_targetILNS1_3genE8ELNS1_11target_archE1030ELNS1_3gpuE2ELNS1_3repE0EEENS1_36merge_oddeven_config_static_selectorELNS0_4arch9wavefront6targetE1EEEvSO_, .Lfunc_end1148-_ZN7rocprim17ROCPRIM_400000_NS6detail17trampoline_kernelINS0_14default_configENS1_38merge_sort_block_merge_config_selectorIlNS0_10empty_typeEEEZZNS1_27merge_sort_block_merge_implIS3_PlPS5_mZN2at6native12_GLOBAL__N_124unique_dim_cuda_templateIN3c108BFloat16EEESt5tupleIJNSA_6TensorESH_SH_EERKSH_lbbbEUlllE_EE10hipError_tT0_T1_T2_jT3_P12ihipStream_tbPNSt15iterator_traitsISN_E10value_typeEPNST_ISO_E10value_typeEPSP_NS1_7vsmem_tEENKUlT_SN_SO_SP_E_clIS8_S8_S9_S9_EESM_S12_SN_SO_SP_EUlS12_E1_NS1_11comp_targetILNS1_3genE8ELNS1_11target_archE1030ELNS1_3gpuE2ELNS1_3repE0EEENS1_36merge_oddeven_config_static_selectorELNS0_4arch9wavefront6targetE1EEEvSO_
                                        ; -- End function
	.set _ZN7rocprim17ROCPRIM_400000_NS6detail17trampoline_kernelINS0_14default_configENS1_38merge_sort_block_merge_config_selectorIlNS0_10empty_typeEEEZZNS1_27merge_sort_block_merge_implIS3_PlPS5_mZN2at6native12_GLOBAL__N_124unique_dim_cuda_templateIN3c108BFloat16EEESt5tupleIJNSA_6TensorESH_SH_EERKSH_lbbbEUlllE_EE10hipError_tT0_T1_T2_jT3_P12ihipStream_tbPNSt15iterator_traitsISN_E10value_typeEPNST_ISO_E10value_typeEPSP_NS1_7vsmem_tEENKUlT_SN_SO_SP_E_clIS8_S8_S9_S9_EESM_S12_SN_SO_SP_EUlS12_E1_NS1_11comp_targetILNS1_3genE8ELNS1_11target_archE1030ELNS1_3gpuE2ELNS1_3repE0EEENS1_36merge_oddeven_config_static_selectorELNS0_4arch9wavefront6targetE1EEEvSO_.num_vgpr, 0
	.set _ZN7rocprim17ROCPRIM_400000_NS6detail17trampoline_kernelINS0_14default_configENS1_38merge_sort_block_merge_config_selectorIlNS0_10empty_typeEEEZZNS1_27merge_sort_block_merge_implIS3_PlPS5_mZN2at6native12_GLOBAL__N_124unique_dim_cuda_templateIN3c108BFloat16EEESt5tupleIJNSA_6TensorESH_SH_EERKSH_lbbbEUlllE_EE10hipError_tT0_T1_T2_jT3_P12ihipStream_tbPNSt15iterator_traitsISN_E10value_typeEPNST_ISO_E10value_typeEPSP_NS1_7vsmem_tEENKUlT_SN_SO_SP_E_clIS8_S8_S9_S9_EESM_S12_SN_SO_SP_EUlS12_E1_NS1_11comp_targetILNS1_3genE8ELNS1_11target_archE1030ELNS1_3gpuE2ELNS1_3repE0EEENS1_36merge_oddeven_config_static_selectorELNS0_4arch9wavefront6targetE1EEEvSO_.num_agpr, 0
	.set _ZN7rocprim17ROCPRIM_400000_NS6detail17trampoline_kernelINS0_14default_configENS1_38merge_sort_block_merge_config_selectorIlNS0_10empty_typeEEEZZNS1_27merge_sort_block_merge_implIS3_PlPS5_mZN2at6native12_GLOBAL__N_124unique_dim_cuda_templateIN3c108BFloat16EEESt5tupleIJNSA_6TensorESH_SH_EERKSH_lbbbEUlllE_EE10hipError_tT0_T1_T2_jT3_P12ihipStream_tbPNSt15iterator_traitsISN_E10value_typeEPNST_ISO_E10value_typeEPSP_NS1_7vsmem_tEENKUlT_SN_SO_SP_E_clIS8_S8_S9_S9_EESM_S12_SN_SO_SP_EUlS12_E1_NS1_11comp_targetILNS1_3genE8ELNS1_11target_archE1030ELNS1_3gpuE2ELNS1_3repE0EEENS1_36merge_oddeven_config_static_selectorELNS0_4arch9wavefront6targetE1EEEvSO_.numbered_sgpr, 0
	.set _ZN7rocprim17ROCPRIM_400000_NS6detail17trampoline_kernelINS0_14default_configENS1_38merge_sort_block_merge_config_selectorIlNS0_10empty_typeEEEZZNS1_27merge_sort_block_merge_implIS3_PlPS5_mZN2at6native12_GLOBAL__N_124unique_dim_cuda_templateIN3c108BFloat16EEESt5tupleIJNSA_6TensorESH_SH_EERKSH_lbbbEUlllE_EE10hipError_tT0_T1_T2_jT3_P12ihipStream_tbPNSt15iterator_traitsISN_E10value_typeEPNST_ISO_E10value_typeEPSP_NS1_7vsmem_tEENKUlT_SN_SO_SP_E_clIS8_S8_S9_S9_EESM_S12_SN_SO_SP_EUlS12_E1_NS1_11comp_targetILNS1_3genE8ELNS1_11target_archE1030ELNS1_3gpuE2ELNS1_3repE0EEENS1_36merge_oddeven_config_static_selectorELNS0_4arch9wavefront6targetE1EEEvSO_.num_named_barrier, 0
	.set _ZN7rocprim17ROCPRIM_400000_NS6detail17trampoline_kernelINS0_14default_configENS1_38merge_sort_block_merge_config_selectorIlNS0_10empty_typeEEEZZNS1_27merge_sort_block_merge_implIS3_PlPS5_mZN2at6native12_GLOBAL__N_124unique_dim_cuda_templateIN3c108BFloat16EEESt5tupleIJNSA_6TensorESH_SH_EERKSH_lbbbEUlllE_EE10hipError_tT0_T1_T2_jT3_P12ihipStream_tbPNSt15iterator_traitsISN_E10value_typeEPNST_ISO_E10value_typeEPSP_NS1_7vsmem_tEENKUlT_SN_SO_SP_E_clIS8_S8_S9_S9_EESM_S12_SN_SO_SP_EUlS12_E1_NS1_11comp_targetILNS1_3genE8ELNS1_11target_archE1030ELNS1_3gpuE2ELNS1_3repE0EEENS1_36merge_oddeven_config_static_selectorELNS0_4arch9wavefront6targetE1EEEvSO_.private_seg_size, 0
	.set _ZN7rocprim17ROCPRIM_400000_NS6detail17trampoline_kernelINS0_14default_configENS1_38merge_sort_block_merge_config_selectorIlNS0_10empty_typeEEEZZNS1_27merge_sort_block_merge_implIS3_PlPS5_mZN2at6native12_GLOBAL__N_124unique_dim_cuda_templateIN3c108BFloat16EEESt5tupleIJNSA_6TensorESH_SH_EERKSH_lbbbEUlllE_EE10hipError_tT0_T1_T2_jT3_P12ihipStream_tbPNSt15iterator_traitsISN_E10value_typeEPNST_ISO_E10value_typeEPSP_NS1_7vsmem_tEENKUlT_SN_SO_SP_E_clIS8_S8_S9_S9_EESM_S12_SN_SO_SP_EUlS12_E1_NS1_11comp_targetILNS1_3genE8ELNS1_11target_archE1030ELNS1_3gpuE2ELNS1_3repE0EEENS1_36merge_oddeven_config_static_selectorELNS0_4arch9wavefront6targetE1EEEvSO_.uses_vcc, 0
	.set _ZN7rocprim17ROCPRIM_400000_NS6detail17trampoline_kernelINS0_14default_configENS1_38merge_sort_block_merge_config_selectorIlNS0_10empty_typeEEEZZNS1_27merge_sort_block_merge_implIS3_PlPS5_mZN2at6native12_GLOBAL__N_124unique_dim_cuda_templateIN3c108BFloat16EEESt5tupleIJNSA_6TensorESH_SH_EERKSH_lbbbEUlllE_EE10hipError_tT0_T1_T2_jT3_P12ihipStream_tbPNSt15iterator_traitsISN_E10value_typeEPNST_ISO_E10value_typeEPSP_NS1_7vsmem_tEENKUlT_SN_SO_SP_E_clIS8_S8_S9_S9_EESM_S12_SN_SO_SP_EUlS12_E1_NS1_11comp_targetILNS1_3genE8ELNS1_11target_archE1030ELNS1_3gpuE2ELNS1_3repE0EEENS1_36merge_oddeven_config_static_selectorELNS0_4arch9wavefront6targetE1EEEvSO_.uses_flat_scratch, 0
	.set _ZN7rocprim17ROCPRIM_400000_NS6detail17trampoline_kernelINS0_14default_configENS1_38merge_sort_block_merge_config_selectorIlNS0_10empty_typeEEEZZNS1_27merge_sort_block_merge_implIS3_PlPS5_mZN2at6native12_GLOBAL__N_124unique_dim_cuda_templateIN3c108BFloat16EEESt5tupleIJNSA_6TensorESH_SH_EERKSH_lbbbEUlllE_EE10hipError_tT0_T1_T2_jT3_P12ihipStream_tbPNSt15iterator_traitsISN_E10value_typeEPNST_ISO_E10value_typeEPSP_NS1_7vsmem_tEENKUlT_SN_SO_SP_E_clIS8_S8_S9_S9_EESM_S12_SN_SO_SP_EUlS12_E1_NS1_11comp_targetILNS1_3genE8ELNS1_11target_archE1030ELNS1_3gpuE2ELNS1_3repE0EEENS1_36merge_oddeven_config_static_selectorELNS0_4arch9wavefront6targetE1EEEvSO_.has_dyn_sized_stack, 0
	.set _ZN7rocprim17ROCPRIM_400000_NS6detail17trampoline_kernelINS0_14default_configENS1_38merge_sort_block_merge_config_selectorIlNS0_10empty_typeEEEZZNS1_27merge_sort_block_merge_implIS3_PlPS5_mZN2at6native12_GLOBAL__N_124unique_dim_cuda_templateIN3c108BFloat16EEESt5tupleIJNSA_6TensorESH_SH_EERKSH_lbbbEUlllE_EE10hipError_tT0_T1_T2_jT3_P12ihipStream_tbPNSt15iterator_traitsISN_E10value_typeEPNST_ISO_E10value_typeEPSP_NS1_7vsmem_tEENKUlT_SN_SO_SP_E_clIS8_S8_S9_S9_EESM_S12_SN_SO_SP_EUlS12_E1_NS1_11comp_targetILNS1_3genE8ELNS1_11target_archE1030ELNS1_3gpuE2ELNS1_3repE0EEENS1_36merge_oddeven_config_static_selectorELNS0_4arch9wavefront6targetE1EEEvSO_.has_recursion, 0
	.set _ZN7rocprim17ROCPRIM_400000_NS6detail17trampoline_kernelINS0_14default_configENS1_38merge_sort_block_merge_config_selectorIlNS0_10empty_typeEEEZZNS1_27merge_sort_block_merge_implIS3_PlPS5_mZN2at6native12_GLOBAL__N_124unique_dim_cuda_templateIN3c108BFloat16EEESt5tupleIJNSA_6TensorESH_SH_EERKSH_lbbbEUlllE_EE10hipError_tT0_T1_T2_jT3_P12ihipStream_tbPNSt15iterator_traitsISN_E10value_typeEPNST_ISO_E10value_typeEPSP_NS1_7vsmem_tEENKUlT_SN_SO_SP_E_clIS8_S8_S9_S9_EESM_S12_SN_SO_SP_EUlS12_E1_NS1_11comp_targetILNS1_3genE8ELNS1_11target_archE1030ELNS1_3gpuE2ELNS1_3repE0EEENS1_36merge_oddeven_config_static_selectorELNS0_4arch9wavefront6targetE1EEEvSO_.has_indirect_call, 0
	.section	.AMDGPU.csdata,"",@progbits
; Kernel info:
; codeLenInByte = 0
; TotalNumSgprs: 6
; NumVgprs: 0
; NumAgprs: 0
; TotalNumVgprs: 0
; ScratchSize: 0
; MemoryBound: 0
; FloatMode: 240
; IeeeMode: 1
; LDSByteSize: 0 bytes/workgroup (compile time only)
; SGPRBlocks: 0
; VGPRBlocks: 0
; NumSGPRsForWavesPerEU: 6
; NumVGPRsForWavesPerEU: 1
; AccumOffset: 4
; Occupancy: 8
; WaveLimiterHint : 0
; COMPUTE_PGM_RSRC2:SCRATCH_EN: 0
; COMPUTE_PGM_RSRC2:USER_SGPR: 2
; COMPUTE_PGM_RSRC2:TRAP_HANDLER: 0
; COMPUTE_PGM_RSRC2:TGID_X_EN: 1
; COMPUTE_PGM_RSRC2:TGID_Y_EN: 0
; COMPUTE_PGM_RSRC2:TGID_Z_EN: 0
; COMPUTE_PGM_RSRC2:TIDIG_COMP_CNT: 0
; COMPUTE_PGM_RSRC3_GFX90A:ACCUM_OFFSET: 0
; COMPUTE_PGM_RSRC3_GFX90A:TG_SPLIT: 0
	.section	.text._ZN7rocprim17ROCPRIM_400000_NS6detail17trampoline_kernelINS0_14default_configENS1_35adjacent_difference_config_selectorILb0ElEEZNS1_24adjacent_difference_implIS3_Lb0ELb0EPlS7_ZN2at6native12_GLOBAL__N_124unique_dim_cuda_templateIN3c108BFloat16EEESt5tupleIJNS8_6TensorESF_SF_EERKSF_lbbbEUlllE1_EE10hipError_tPvRmT2_T3_mT4_P12ihipStream_tbEUlT_E_NS1_11comp_targetILNS1_3genE0ELNS1_11target_archE4294967295ELNS1_3gpuE0ELNS1_3repE0EEENS1_30default_config_static_selectorELNS0_4arch9wavefront6targetE1EEEvT1_,"axG",@progbits,_ZN7rocprim17ROCPRIM_400000_NS6detail17trampoline_kernelINS0_14default_configENS1_35adjacent_difference_config_selectorILb0ElEEZNS1_24adjacent_difference_implIS3_Lb0ELb0EPlS7_ZN2at6native12_GLOBAL__N_124unique_dim_cuda_templateIN3c108BFloat16EEESt5tupleIJNS8_6TensorESF_SF_EERKSF_lbbbEUlllE1_EE10hipError_tPvRmT2_T3_mT4_P12ihipStream_tbEUlT_E_NS1_11comp_targetILNS1_3genE0ELNS1_11target_archE4294967295ELNS1_3gpuE0ELNS1_3repE0EEENS1_30default_config_static_selectorELNS0_4arch9wavefront6targetE1EEEvT1_,comdat
	.globl	_ZN7rocprim17ROCPRIM_400000_NS6detail17trampoline_kernelINS0_14default_configENS1_35adjacent_difference_config_selectorILb0ElEEZNS1_24adjacent_difference_implIS3_Lb0ELb0EPlS7_ZN2at6native12_GLOBAL__N_124unique_dim_cuda_templateIN3c108BFloat16EEESt5tupleIJNS8_6TensorESF_SF_EERKSF_lbbbEUlllE1_EE10hipError_tPvRmT2_T3_mT4_P12ihipStream_tbEUlT_E_NS1_11comp_targetILNS1_3genE0ELNS1_11target_archE4294967295ELNS1_3gpuE0ELNS1_3repE0EEENS1_30default_config_static_selectorELNS0_4arch9wavefront6targetE1EEEvT1_ ; -- Begin function _ZN7rocprim17ROCPRIM_400000_NS6detail17trampoline_kernelINS0_14default_configENS1_35adjacent_difference_config_selectorILb0ElEEZNS1_24adjacent_difference_implIS3_Lb0ELb0EPlS7_ZN2at6native12_GLOBAL__N_124unique_dim_cuda_templateIN3c108BFloat16EEESt5tupleIJNS8_6TensorESF_SF_EERKSF_lbbbEUlllE1_EE10hipError_tPvRmT2_T3_mT4_P12ihipStream_tbEUlT_E_NS1_11comp_targetILNS1_3genE0ELNS1_11target_archE4294967295ELNS1_3gpuE0ELNS1_3repE0EEENS1_30default_config_static_selectorELNS0_4arch9wavefront6targetE1EEEvT1_
	.p2align	8
	.type	_ZN7rocprim17ROCPRIM_400000_NS6detail17trampoline_kernelINS0_14default_configENS1_35adjacent_difference_config_selectorILb0ElEEZNS1_24adjacent_difference_implIS3_Lb0ELb0EPlS7_ZN2at6native12_GLOBAL__N_124unique_dim_cuda_templateIN3c108BFloat16EEESt5tupleIJNS8_6TensorESF_SF_EERKSF_lbbbEUlllE1_EE10hipError_tPvRmT2_T3_mT4_P12ihipStream_tbEUlT_E_NS1_11comp_targetILNS1_3genE0ELNS1_11target_archE4294967295ELNS1_3gpuE0ELNS1_3repE0EEENS1_30default_config_static_selectorELNS0_4arch9wavefront6targetE1EEEvT1_,@function
_ZN7rocprim17ROCPRIM_400000_NS6detail17trampoline_kernelINS0_14default_configENS1_35adjacent_difference_config_selectorILb0ElEEZNS1_24adjacent_difference_implIS3_Lb0ELb0EPlS7_ZN2at6native12_GLOBAL__N_124unique_dim_cuda_templateIN3c108BFloat16EEESt5tupleIJNS8_6TensorESF_SF_EERKSF_lbbbEUlllE1_EE10hipError_tPvRmT2_T3_mT4_P12ihipStream_tbEUlT_E_NS1_11comp_targetILNS1_3genE0ELNS1_11target_archE4294967295ELNS1_3gpuE0ELNS1_3repE0EEENS1_30default_config_static_selectorELNS0_4arch9wavefront6targetE1EEEvT1_: ; @_ZN7rocprim17ROCPRIM_400000_NS6detail17trampoline_kernelINS0_14default_configENS1_35adjacent_difference_config_selectorILb0ElEEZNS1_24adjacent_difference_implIS3_Lb0ELb0EPlS7_ZN2at6native12_GLOBAL__N_124unique_dim_cuda_templateIN3c108BFloat16EEESt5tupleIJNS8_6TensorESF_SF_EERKSF_lbbbEUlllE1_EE10hipError_tPvRmT2_T3_mT4_P12ihipStream_tbEUlT_E_NS1_11comp_targetILNS1_3genE0ELNS1_11target_archE4294967295ELNS1_3gpuE0ELNS1_3repE0EEENS1_30default_config_static_selectorELNS0_4arch9wavefront6targetE1EEEvT1_
; %bb.0:
	s_load_dwordx8 s[4:11], s[0:1], 0x0
	s_load_dwordx4 s[12:15], s[0:1], 0x20
	s_load_dwordx2 s[16:17], s[0:1], 0x38
	s_mov_b32 s19, 0
	s_mov_b64 s[20:21], -1
	s_waitcnt lgkmcnt(0)
	s_lshl_b64 s[6:7], s[6:7], 3
	s_add_u32 s22, s4, s6
	s_addc_u32 s23, s5, s7
	s_lshl_b32 s4, s2, 7
	s_lshr_b64 s[0:1], s[10:11], 7
	s_and_b32 s18, s10, 0x7f
	s_cmp_lg_u64 s[18:19], 0
	s_cselect_b64 s[18:19], -1, 0
	v_cndmask_b32_e64 v1, 0, 1, s[18:19]
	s_nop 0
	v_readfirstlane_b32 s3, v1
	s_add_u32 s18, s0, s3
	s_addc_u32 s19, s1, 0
	s_add_u32 s2, s16, s2
	s_addc_u32 s3, s17, 0
	s_add_u32 s16, s18, -1
	s_addc_u32 s17, s19, -1
	v_mov_b64_e32 v[2:3], s[16:17]
	v_cmp_ge_u64_e64 s[0:1], s[2:3], v[2:3]
	s_and_b64 vcc, exec, s[0:1]
                                        ; implicit-def: $vgpr1
	s_cbranch_vccz .LBB1149_4
; %bb.1:
	s_lshl_b32 s5, s16, 7
	s_sub_i32 s5, s10, s5
	v_cmp_gt_u32_e32 vcc, s5, v0
                                        ; implicit-def: $vgpr2_vgpr3
	s_and_saveexec_b64 s[20:21], vcc
	s_cbranch_execz .LBB1149_3
; %bb.2:
	s_mov_b32 s5, 0
	s_lshl_b64 s[24:25], s[4:5], 3
	s_add_u32 s24, s22, s24
	s_addc_u32 s25, s23, s25
	v_lshlrev_b32_e32 v1, 3, v0
	global_load_dwordx2 v[2:3], v1, s[24:25]
.LBB1149_3:
	s_or_b64 exec, exec, s[20:21]
	v_lshlrev_b32_e32 v1, 3, v0
	s_mov_b64 s[20:21], 0
	s_waitcnt vmcnt(0)
	ds_write_b64 v1, v[2:3]
	s_waitcnt lgkmcnt(0)
	s_barrier
.LBB1149_4:
	s_and_b64 vcc, exec, s[20:21]
	s_cbranch_vccz .LBB1149_6
; %bb.5:
	s_mov_b32 s5, 0
	s_lshl_b64 s[20:21], s[4:5], 3
	s_add_u32 s20, s22, s20
	s_addc_u32 s21, s23, s21
	v_lshlrev_b32_e32 v1, 3, v0
	global_load_dwordx2 v[2:3], v1, s[20:21]
	s_waitcnt vmcnt(0)
	ds_write_b64 v1, v[2:3]
	s_waitcnt lgkmcnt(0)
	s_barrier
.LBB1149_6:
	ds_read_b64 v[2:3], v1
	s_cmp_eq_u64 s[2:3], 0
	s_waitcnt lgkmcnt(0)
	s_barrier
	s_cbranch_scc1 .LBB1149_15
; %bb.7:
	s_mov_b32 s5, 0
	s_lshl_b64 s[20:21], s[4:5], 3
	s_add_u32 s5, s22, s20
	s_addc_u32 s11, s23, s21
	s_add_u32 s20, s5, -8
	s_addc_u32 s21, s11, -1
	s_load_dwordx2 s[20:21], s[20:21], 0x0
	s_cmp_eq_u64 s[2:3], s[16:17]
	s_cbranch_scc1 .LBB1149_16
; %bb.8:
	v_lshlrev_b32_e32 v1, 3, v0
	v_cmp_ne_u32_e32 vcc, 0, v0
	s_waitcnt lgkmcnt(0)
	v_mov_b64_e32 v[6:7], s[20:21]
	ds_write_b64 v1, v[2:3]
	s_waitcnt lgkmcnt(0)
	s_barrier
	s_and_saveexec_b64 s[22:23], vcc
; %bb.9:
	v_add_u32_e32 v1, -8, v1
	ds_read_b64 v[6:7], v1
; %bb.10:
	s_or_b64 exec, exec, s[22:23]
	v_cmp_lt_i64_e64 s[22:23], s[12:13], 1
	s_and_b64 vcc, exec, s[22:23]
	s_cbranch_vccnz .LBB1149_18
; %bb.11:
	v_mul_lo_u32 v1, v3, s12
	v_mul_lo_u32 v8, v2, s13
	v_mad_u64_u32 v[4:5], s[22:23], v2, s12, 0
	v_add3_u32 v5, v5, v8, v1
	s_waitcnt lgkmcnt(0)
	v_mul_lo_u32 v1, v7, s12
	v_mul_lo_u32 v8, v6, s13
	v_mad_u64_u32 v[6:7], s[22:23], v6, s12, 0
	v_add3_u32 v7, v7, v8, v1
	v_lshl_add_u64 v[4:5], v[4:5], 1, s[14:15]
	v_lshl_add_u64 v[6:7], v[6:7], 1, s[14:15]
	s_mov_b64 s[22:23], 0
	s_mov_b64 s[24:25], s[12:13]
                                        ; implicit-def: $sgpr26_sgpr27
	s_branch .LBB1149_13
.LBB1149_12:                            ;   in Loop: Header=BB1149_13 Depth=1
	s_or_b64 exec, exec, s[28:29]
	s_and_b64 s[28:29], exec, s[26:27]
	s_or_b64 s[22:23], s[28:29], s[22:23]
	s_andn2_b64 exec, exec, s[22:23]
	s_cbranch_execz .LBB1149_17
.LBB1149_13:                            ; =>This Inner Loop Header: Depth=1
	global_load_ushort v1, v[6:7], off
	global_load_ushort v10, v[4:5], off
	v_mov_b64_e32 v[8:9], 1
	s_or_b64 s[26:27], s[26:27], exec
	s_waitcnt vmcnt(1)
	v_lshlrev_b32_e32 v1, 16, v1
	s_waitcnt vmcnt(0)
	v_lshlrev_b32_e32 v10, 16, v10
	v_cmp_eq_f32_e32 vcc, v10, v1
	s_and_saveexec_b64 s[28:29], vcc
	s_cbranch_execz .LBB1149_12
; %bb.14:                               ;   in Loop: Header=BB1149_13 Depth=1
	s_add_u32 s24, s24, -1
	s_addc_u32 s25, s25, -1
	s_cmp_eq_u64 s[24:25], 0
	s_cselect_b64 s[30:31], -1, 0
	s_andn2_b64 s[26:27], s[26:27], exec
	s_and_b64 s[30:31], s[30:31], exec
	v_lshl_add_u64 v[4:5], v[4:5], 0, 2
	v_lshl_add_u64 v[6:7], v[6:7], 0, 2
	v_mov_b64_e32 v[8:9], 0
	s_or_b64 s[26:27], s[26:27], s[30:31]
	s_branch .LBB1149_12
.LBB1149_15:
                                        ; implicit-def: $vgpr8_vgpr9
	s_branch .LBB1149_31
.LBB1149_16:
                                        ; implicit-def: $vgpr8_vgpr9
	s_cbranch_execnz .LBB1149_19
	s_branch .LBB1149_30
.LBB1149_17:
	s_or_b64 exec, exec, s[22:23]
	s_branch .LBB1149_30
.LBB1149_18:
	v_mov_b64_e32 v[8:9], 0
	s_branch .LBB1149_30
.LBB1149_19:
	v_lshlrev_b32_e32 v1, 3, v0
	v_cmp_ne_u32_e32 vcc, 0, v0
	s_waitcnt lgkmcnt(0)
	v_mov_b64_e32 v[6:7], s[20:21]
	ds_write_b64 v1, v[2:3]
	s_waitcnt lgkmcnt(0)
	s_barrier
	s_and_saveexec_b64 s[20:21], vcc
; %bb.20:
	v_add_u32_e32 v1, -8, v1
	ds_read_b64 v[6:7], v1
; %bb.21:
	s_or_b64 exec, exec, s[20:21]
	s_lshl_b32 s2, s2, 7
	s_sub_i32 s2, s10, s2
	v_cmp_gt_u32_e32 vcc, s2, v0
	v_mov_b64_e32 v[8:9], v[2:3]
	s_and_saveexec_b64 s[2:3], vcc
	s_cbranch_execz .LBB1149_29
; %bb.22:
	v_cmp_lt_i64_e64 s[20:21], s[12:13], 1
	s_and_b64 vcc, exec, s[20:21]
	s_cbranch_vccnz .LBB1149_28
; %bb.23:
	v_mul_lo_u32 v1, v3, s12
	v_mul_lo_u32 v8, v2, s13
	v_mad_u64_u32 v[4:5], s[20:21], v2, s12, 0
	v_add3_u32 v5, v5, v8, v1
	s_waitcnt lgkmcnt(0)
	v_mul_lo_u32 v1, v7, s12
	v_mul_lo_u32 v8, v6, s13
	v_mad_u64_u32 v[6:7], s[20:21], v6, s12, 0
	v_add3_u32 v7, v7, v8, v1
	v_lshl_add_u64 v[4:5], v[4:5], 1, s[14:15]
	v_lshl_add_u64 v[6:7], v[6:7], 1, s[14:15]
	s_mov_b64 s[20:21], 0
	s_mov_b64 s[22:23], s[12:13]
                                        ; implicit-def: $sgpr24_sgpr25
	s_branch .LBB1149_25
.LBB1149_24:                            ;   in Loop: Header=BB1149_25 Depth=1
	s_or_b64 exec, exec, s[26:27]
	s_and_b64 s[26:27], exec, s[24:25]
	s_or_b64 s[20:21], s[26:27], s[20:21]
	s_andn2_b64 exec, exec, s[20:21]
	s_cbranch_execz .LBB1149_27
.LBB1149_25:                            ; =>This Inner Loop Header: Depth=1
	global_load_ushort v1, v[6:7], off
	global_load_ushort v10, v[4:5], off
	v_mov_b64_e32 v[8:9], 1
	s_or_b64 s[24:25], s[24:25], exec
	s_waitcnt vmcnt(1)
	v_lshlrev_b32_e32 v1, 16, v1
	s_waitcnt vmcnt(0)
	v_lshlrev_b32_e32 v10, 16, v10
	v_cmp_eq_f32_e32 vcc, v10, v1
	s_and_saveexec_b64 s[26:27], vcc
	s_cbranch_execz .LBB1149_24
; %bb.26:                               ;   in Loop: Header=BB1149_25 Depth=1
	s_add_u32 s22, s22, -1
	s_addc_u32 s23, s23, -1
	s_cmp_eq_u64 s[22:23], 0
	s_cselect_b64 s[28:29], -1, 0
	s_andn2_b64 s[24:25], s[24:25], exec
	s_and_b64 s[28:29], s[28:29], exec
	v_lshl_add_u64 v[4:5], v[4:5], 0, 2
	v_lshl_add_u64 v[6:7], v[6:7], 0, 2
	v_mov_b64_e32 v[8:9], 0
	s_or_b64 s[24:25], s[24:25], s[28:29]
	s_branch .LBB1149_24
.LBB1149_27:
	s_or_b64 exec, exec, s[20:21]
	s_branch .LBB1149_29
.LBB1149_28:
	v_mov_b64_e32 v[8:9], 0
.LBB1149_29:
	s_or_b64 exec, exec, s[2:3]
.LBB1149_30:
	s_cbranch_execnz .LBB1149_51
.LBB1149_31:
	s_cmp_eq_u64 s[18:19], 1
	v_cmp_ne_u32_e32 vcc, 0, v0
	s_cbranch_scc1 .LBB1149_38
; %bb.32:
	v_lshlrev_b32_e32 v1, 3, v0
	v_mov_b64_e32 v[8:9], v[2:3]
	ds_write_b64 v1, v[2:3]
	s_waitcnt lgkmcnt(0)
	s_barrier
	s_and_saveexec_b64 s[2:3], vcc
	s_cbranch_execz .LBB1149_41
; %bb.33:
	v_cmp_lt_i64_e64 s[18:19], s[12:13], 1
	s_and_b64 vcc, exec, s[18:19]
	s_cbranch_vccnz .LBB1149_40
; %bb.34:
	v_add_u32_e32 v1, -8, v1
	ds_read_b64 v[6:7], v1
	v_mul_lo_u32 v1, v3, s12
	v_mul_lo_u32 v8, v2, s13
	v_mad_u64_u32 v[4:5], s[18:19], v2, s12, 0
	v_add3_u32 v5, v5, v8, v1
	s_waitcnt lgkmcnt(0)
	v_mul_lo_u32 v1, s13, v6
	v_mul_lo_u32 v8, s12, v7
	v_mad_u64_u32 v[6:7], s[18:19], s12, v6, 0
	v_add3_u32 v7, v7, v8, v1
	v_lshl_add_u64 v[4:5], v[4:5], 1, s[14:15]
	v_lshl_add_u64 v[6:7], v[6:7], 1, s[14:15]
	s_mov_b64 s[18:19], 0
	s_mov_b64 s[20:21], s[12:13]
                                        ; implicit-def: $sgpr22_sgpr23
	s_branch .LBB1149_36
.LBB1149_35:                            ;   in Loop: Header=BB1149_36 Depth=1
	s_or_b64 exec, exec, s[24:25]
	s_and_b64 s[24:25], exec, s[22:23]
	s_or_b64 s[18:19], s[24:25], s[18:19]
	s_andn2_b64 exec, exec, s[18:19]
	s_cbranch_execz .LBB1149_39
.LBB1149_36:                            ; =>This Inner Loop Header: Depth=1
	global_load_ushort v1, v[6:7], off
	global_load_ushort v10, v[4:5], off
	v_mov_b64_e32 v[8:9], 1
	s_or_b64 s[22:23], s[22:23], exec
	s_waitcnt vmcnt(1)
	v_lshlrev_b32_e32 v1, 16, v1
	s_waitcnt vmcnt(0)
	v_lshlrev_b32_e32 v10, 16, v10
	v_cmp_eq_f32_e32 vcc, v10, v1
	s_and_saveexec_b64 s[24:25], vcc
	s_cbranch_execz .LBB1149_35
; %bb.37:                               ;   in Loop: Header=BB1149_36 Depth=1
	s_add_u32 s20, s20, -1
	s_addc_u32 s21, s21, -1
	s_cmp_eq_u64 s[20:21], 0
	s_cselect_b64 s[26:27], -1, 0
	s_andn2_b64 s[22:23], s[22:23], exec
	s_and_b64 s[26:27], s[26:27], exec
	v_lshl_add_u64 v[4:5], v[4:5], 0, 2
	v_lshl_add_u64 v[6:7], v[6:7], 0, 2
	v_mov_b64_e32 v[8:9], 0
	s_or_b64 s[22:23], s[22:23], s[26:27]
	s_branch .LBB1149_35
.LBB1149_38:
                                        ; implicit-def: $vgpr8_vgpr9
	s_branch .LBB1149_42
.LBB1149_39:
	s_or_b64 exec, exec, s[18:19]
	s_branch .LBB1149_41
.LBB1149_40:
	v_mov_b64_e32 v[8:9], 0
.LBB1149_41:
	s_or_b64 exec, exec, s[2:3]
	s_cbranch_execnz .LBB1149_51
.LBB1149_42:
	v_cmp_ne_u32_e32 vcc, 0, v0
	v_cmp_gt_u32_e64 s[2:3], s10, v0
	v_lshlrev_b32_e32 v1, 3, v0
	s_and_b64 s[18:19], vcc, s[2:3]
	ds_write_b64 v1, v[2:3]
	s_waitcnt lgkmcnt(0)
	s_barrier
	s_and_saveexec_b64 s[2:3], s[18:19]
	s_cbranch_execz .LBB1149_50
; %bb.43:
	v_cmp_lt_i64_e64 s[18:19], s[12:13], 1
	s_and_b64 vcc, exec, s[18:19]
	s_cbranch_vccnz .LBB1149_49
; %bb.44:
	v_add_u32_e32 v1, -8, v1
	ds_read_b64 v[6:7], v1
	v_mul_lo_u32 v1, v3, s12
	v_mul_lo_u32 v4, v2, s13
	v_mad_u64_u32 v[2:3], s[18:19], v2, s12, 0
	v_add3_u32 v3, v3, v4, v1
	v_lshl_add_u64 v[4:5], v[2:3], 1, s[14:15]
	s_waitcnt lgkmcnt(0)
	v_mul_lo_u32 v1, s13, v6
	v_mul_lo_u32 v7, s12, v7
	v_mad_u64_u32 v[2:3], s[18:19], s12, v6, 0
	v_add3_u32 v3, v3, v7, v1
	v_lshl_add_u64 v[6:7], v[2:3], 1, s[14:15]
	s_mov_b64 s[14:15], 0
                                        ; implicit-def: $sgpr18_sgpr19
	s_branch .LBB1149_46
.LBB1149_45:                            ;   in Loop: Header=BB1149_46 Depth=1
	s_or_b64 exec, exec, s[20:21]
	s_and_b64 s[20:21], exec, s[18:19]
	s_or_b64 s[14:15], s[20:21], s[14:15]
	s_andn2_b64 exec, exec, s[14:15]
	s_cbranch_execz .LBB1149_48
.LBB1149_46:                            ; =>This Inner Loop Header: Depth=1
	global_load_ushort v1, v[6:7], off
	global_load_ushort v8, v[4:5], off
	v_mov_b64_e32 v[2:3], 1
	s_or_b64 s[18:19], s[18:19], exec
	s_waitcnt vmcnt(1)
	v_lshlrev_b32_e32 v1, 16, v1
	s_waitcnt vmcnt(0)
	v_lshlrev_b32_e32 v8, 16, v8
	v_cmp_eq_f32_e32 vcc, v8, v1
	s_and_saveexec_b64 s[20:21], vcc
	s_cbranch_execz .LBB1149_45
; %bb.47:                               ;   in Loop: Header=BB1149_46 Depth=1
	s_add_u32 s12, s12, -1
	s_addc_u32 s13, s13, -1
	s_cmp_eq_u64 s[12:13], 0
	s_cselect_b64 s[22:23], -1, 0
	s_andn2_b64 s[18:19], s[18:19], exec
	s_and_b64 s[22:23], s[22:23], exec
	v_lshl_add_u64 v[4:5], v[4:5], 0, 2
	v_lshl_add_u64 v[6:7], v[6:7], 0, 2
	v_mov_b64_e32 v[2:3], 0
	s_or_b64 s[18:19], s[18:19], s[22:23]
	s_branch .LBB1149_45
.LBB1149_48:
	s_or_b64 exec, exec, s[14:15]
	s_branch .LBB1149_50
.LBB1149_49:
	v_mov_b64_e32 v[2:3], 0
.LBB1149_50:
	s_or_b64 exec, exec, s[2:3]
	v_mov_b64_e32 v[8:9], v[2:3]
.LBB1149_51:
	s_add_u32 s6, s8, s6
	s_addc_u32 s7, s9, s7
	s_mov_b64 s[2:3], -1
	s_and_b64 vcc, exec, s[0:1]
	s_waitcnt lgkmcnt(0)
	s_barrier
	s_cbranch_vccnz .LBB1149_54
; %bb.52:
	s_andn2_b64 vcc, exec, s[2:3]
	s_cbranch_vccz .LBB1149_57
.LBB1149_53:
	s_endpgm
.LBB1149_54:
	s_lshl_b32 s0, s16, 7
	s_sub_i32 s0, s10, s0
	v_lshlrev_b32_e32 v1, 3, v0
	v_cmp_gt_u32_e32 vcc, s0, v0
	ds_write_b64 v1, v[8:9]
	s_waitcnt lgkmcnt(0)
	s_barrier
	s_and_saveexec_b64 s[0:1], vcc
	s_cbranch_execz .LBB1149_56
; %bb.55:
	ds_read_b64 v[2:3], v1
	s_mov_b32 s5, 0
	s_lshl_b64 s[2:3], s[4:5], 3
	s_add_u32 s2, s6, s2
	s_addc_u32 s3, s7, s3
	s_waitcnt lgkmcnt(0)
	global_store_dwordx2 v1, v[2:3], s[2:3]
.LBB1149_56:
	s_or_b64 exec, exec, s[0:1]
	s_cbranch_execnz .LBB1149_53
.LBB1149_57:
	v_lshlrev_b32_e32 v2, 3, v0
	ds_write_b64 v2, v[8:9]
	s_waitcnt lgkmcnt(0)
	s_barrier
	ds_read_b64 v[0:1], v2
	s_mov_b32 s5, 0
	s_lshl_b64 s[0:1], s[4:5], 3
	s_add_u32 s0, s6, s0
	s_addc_u32 s1, s7, s1
	s_waitcnt lgkmcnt(0)
	global_store_dwordx2 v2, v[0:1], s[0:1]
	s_endpgm
	.section	.rodata,"a",@progbits
	.p2align	6, 0x0
	.amdhsa_kernel _ZN7rocprim17ROCPRIM_400000_NS6detail17trampoline_kernelINS0_14default_configENS1_35adjacent_difference_config_selectorILb0ElEEZNS1_24adjacent_difference_implIS3_Lb0ELb0EPlS7_ZN2at6native12_GLOBAL__N_124unique_dim_cuda_templateIN3c108BFloat16EEESt5tupleIJNS8_6TensorESF_SF_EERKSF_lbbbEUlllE1_EE10hipError_tPvRmT2_T3_mT4_P12ihipStream_tbEUlT_E_NS1_11comp_targetILNS1_3genE0ELNS1_11target_archE4294967295ELNS1_3gpuE0ELNS1_3repE0EEENS1_30default_config_static_selectorELNS0_4arch9wavefront6targetE1EEEvT1_
		.amdhsa_group_segment_fixed_size 2048
		.amdhsa_private_segment_fixed_size 0
		.amdhsa_kernarg_size 64
		.amdhsa_user_sgpr_count 2
		.amdhsa_user_sgpr_dispatch_ptr 0
		.amdhsa_user_sgpr_queue_ptr 0
		.amdhsa_user_sgpr_kernarg_segment_ptr 1
		.amdhsa_user_sgpr_dispatch_id 0
		.amdhsa_user_sgpr_kernarg_preload_length 0
		.amdhsa_user_sgpr_kernarg_preload_offset 0
		.amdhsa_user_sgpr_private_segment_size 0
		.amdhsa_uses_dynamic_stack 0
		.amdhsa_enable_private_segment 0
		.amdhsa_system_sgpr_workgroup_id_x 1
		.amdhsa_system_sgpr_workgroup_id_y 0
		.amdhsa_system_sgpr_workgroup_id_z 0
		.amdhsa_system_sgpr_workgroup_info 0
		.amdhsa_system_vgpr_workitem_id 0
		.amdhsa_next_free_vgpr 11
		.amdhsa_next_free_sgpr 32
		.amdhsa_accum_offset 12
		.amdhsa_reserve_vcc 1
		.amdhsa_float_round_mode_32 0
		.amdhsa_float_round_mode_16_64 0
		.amdhsa_float_denorm_mode_32 3
		.amdhsa_float_denorm_mode_16_64 3
		.amdhsa_dx10_clamp 1
		.amdhsa_ieee_mode 1
		.amdhsa_fp16_overflow 0
		.amdhsa_tg_split 0
		.amdhsa_exception_fp_ieee_invalid_op 0
		.amdhsa_exception_fp_denorm_src 0
		.amdhsa_exception_fp_ieee_div_zero 0
		.amdhsa_exception_fp_ieee_overflow 0
		.amdhsa_exception_fp_ieee_underflow 0
		.amdhsa_exception_fp_ieee_inexact 0
		.amdhsa_exception_int_div_zero 0
	.end_amdhsa_kernel
	.section	.text._ZN7rocprim17ROCPRIM_400000_NS6detail17trampoline_kernelINS0_14default_configENS1_35adjacent_difference_config_selectorILb0ElEEZNS1_24adjacent_difference_implIS3_Lb0ELb0EPlS7_ZN2at6native12_GLOBAL__N_124unique_dim_cuda_templateIN3c108BFloat16EEESt5tupleIJNS8_6TensorESF_SF_EERKSF_lbbbEUlllE1_EE10hipError_tPvRmT2_T3_mT4_P12ihipStream_tbEUlT_E_NS1_11comp_targetILNS1_3genE0ELNS1_11target_archE4294967295ELNS1_3gpuE0ELNS1_3repE0EEENS1_30default_config_static_selectorELNS0_4arch9wavefront6targetE1EEEvT1_,"axG",@progbits,_ZN7rocprim17ROCPRIM_400000_NS6detail17trampoline_kernelINS0_14default_configENS1_35adjacent_difference_config_selectorILb0ElEEZNS1_24adjacent_difference_implIS3_Lb0ELb0EPlS7_ZN2at6native12_GLOBAL__N_124unique_dim_cuda_templateIN3c108BFloat16EEESt5tupleIJNS8_6TensorESF_SF_EERKSF_lbbbEUlllE1_EE10hipError_tPvRmT2_T3_mT4_P12ihipStream_tbEUlT_E_NS1_11comp_targetILNS1_3genE0ELNS1_11target_archE4294967295ELNS1_3gpuE0ELNS1_3repE0EEENS1_30default_config_static_selectorELNS0_4arch9wavefront6targetE1EEEvT1_,comdat
.Lfunc_end1149:
	.size	_ZN7rocprim17ROCPRIM_400000_NS6detail17trampoline_kernelINS0_14default_configENS1_35adjacent_difference_config_selectorILb0ElEEZNS1_24adjacent_difference_implIS3_Lb0ELb0EPlS7_ZN2at6native12_GLOBAL__N_124unique_dim_cuda_templateIN3c108BFloat16EEESt5tupleIJNS8_6TensorESF_SF_EERKSF_lbbbEUlllE1_EE10hipError_tPvRmT2_T3_mT4_P12ihipStream_tbEUlT_E_NS1_11comp_targetILNS1_3genE0ELNS1_11target_archE4294967295ELNS1_3gpuE0ELNS1_3repE0EEENS1_30default_config_static_selectorELNS0_4arch9wavefront6targetE1EEEvT1_, .Lfunc_end1149-_ZN7rocprim17ROCPRIM_400000_NS6detail17trampoline_kernelINS0_14default_configENS1_35adjacent_difference_config_selectorILb0ElEEZNS1_24adjacent_difference_implIS3_Lb0ELb0EPlS7_ZN2at6native12_GLOBAL__N_124unique_dim_cuda_templateIN3c108BFloat16EEESt5tupleIJNS8_6TensorESF_SF_EERKSF_lbbbEUlllE1_EE10hipError_tPvRmT2_T3_mT4_P12ihipStream_tbEUlT_E_NS1_11comp_targetILNS1_3genE0ELNS1_11target_archE4294967295ELNS1_3gpuE0ELNS1_3repE0EEENS1_30default_config_static_selectorELNS0_4arch9wavefront6targetE1EEEvT1_
                                        ; -- End function
	.set _ZN7rocprim17ROCPRIM_400000_NS6detail17trampoline_kernelINS0_14default_configENS1_35adjacent_difference_config_selectorILb0ElEEZNS1_24adjacent_difference_implIS3_Lb0ELb0EPlS7_ZN2at6native12_GLOBAL__N_124unique_dim_cuda_templateIN3c108BFloat16EEESt5tupleIJNS8_6TensorESF_SF_EERKSF_lbbbEUlllE1_EE10hipError_tPvRmT2_T3_mT4_P12ihipStream_tbEUlT_E_NS1_11comp_targetILNS1_3genE0ELNS1_11target_archE4294967295ELNS1_3gpuE0ELNS1_3repE0EEENS1_30default_config_static_selectorELNS0_4arch9wavefront6targetE1EEEvT1_.num_vgpr, 11
	.set _ZN7rocprim17ROCPRIM_400000_NS6detail17trampoline_kernelINS0_14default_configENS1_35adjacent_difference_config_selectorILb0ElEEZNS1_24adjacent_difference_implIS3_Lb0ELb0EPlS7_ZN2at6native12_GLOBAL__N_124unique_dim_cuda_templateIN3c108BFloat16EEESt5tupleIJNS8_6TensorESF_SF_EERKSF_lbbbEUlllE1_EE10hipError_tPvRmT2_T3_mT4_P12ihipStream_tbEUlT_E_NS1_11comp_targetILNS1_3genE0ELNS1_11target_archE4294967295ELNS1_3gpuE0ELNS1_3repE0EEENS1_30default_config_static_selectorELNS0_4arch9wavefront6targetE1EEEvT1_.num_agpr, 0
	.set _ZN7rocprim17ROCPRIM_400000_NS6detail17trampoline_kernelINS0_14default_configENS1_35adjacent_difference_config_selectorILb0ElEEZNS1_24adjacent_difference_implIS3_Lb0ELb0EPlS7_ZN2at6native12_GLOBAL__N_124unique_dim_cuda_templateIN3c108BFloat16EEESt5tupleIJNS8_6TensorESF_SF_EERKSF_lbbbEUlllE1_EE10hipError_tPvRmT2_T3_mT4_P12ihipStream_tbEUlT_E_NS1_11comp_targetILNS1_3genE0ELNS1_11target_archE4294967295ELNS1_3gpuE0ELNS1_3repE0EEENS1_30default_config_static_selectorELNS0_4arch9wavefront6targetE1EEEvT1_.numbered_sgpr, 32
	.set _ZN7rocprim17ROCPRIM_400000_NS6detail17trampoline_kernelINS0_14default_configENS1_35adjacent_difference_config_selectorILb0ElEEZNS1_24adjacent_difference_implIS3_Lb0ELb0EPlS7_ZN2at6native12_GLOBAL__N_124unique_dim_cuda_templateIN3c108BFloat16EEESt5tupleIJNS8_6TensorESF_SF_EERKSF_lbbbEUlllE1_EE10hipError_tPvRmT2_T3_mT4_P12ihipStream_tbEUlT_E_NS1_11comp_targetILNS1_3genE0ELNS1_11target_archE4294967295ELNS1_3gpuE0ELNS1_3repE0EEENS1_30default_config_static_selectorELNS0_4arch9wavefront6targetE1EEEvT1_.num_named_barrier, 0
	.set _ZN7rocprim17ROCPRIM_400000_NS6detail17trampoline_kernelINS0_14default_configENS1_35adjacent_difference_config_selectorILb0ElEEZNS1_24adjacent_difference_implIS3_Lb0ELb0EPlS7_ZN2at6native12_GLOBAL__N_124unique_dim_cuda_templateIN3c108BFloat16EEESt5tupleIJNS8_6TensorESF_SF_EERKSF_lbbbEUlllE1_EE10hipError_tPvRmT2_T3_mT4_P12ihipStream_tbEUlT_E_NS1_11comp_targetILNS1_3genE0ELNS1_11target_archE4294967295ELNS1_3gpuE0ELNS1_3repE0EEENS1_30default_config_static_selectorELNS0_4arch9wavefront6targetE1EEEvT1_.private_seg_size, 0
	.set _ZN7rocprim17ROCPRIM_400000_NS6detail17trampoline_kernelINS0_14default_configENS1_35adjacent_difference_config_selectorILb0ElEEZNS1_24adjacent_difference_implIS3_Lb0ELb0EPlS7_ZN2at6native12_GLOBAL__N_124unique_dim_cuda_templateIN3c108BFloat16EEESt5tupleIJNS8_6TensorESF_SF_EERKSF_lbbbEUlllE1_EE10hipError_tPvRmT2_T3_mT4_P12ihipStream_tbEUlT_E_NS1_11comp_targetILNS1_3genE0ELNS1_11target_archE4294967295ELNS1_3gpuE0ELNS1_3repE0EEENS1_30default_config_static_selectorELNS0_4arch9wavefront6targetE1EEEvT1_.uses_vcc, 1
	.set _ZN7rocprim17ROCPRIM_400000_NS6detail17trampoline_kernelINS0_14default_configENS1_35adjacent_difference_config_selectorILb0ElEEZNS1_24adjacent_difference_implIS3_Lb0ELb0EPlS7_ZN2at6native12_GLOBAL__N_124unique_dim_cuda_templateIN3c108BFloat16EEESt5tupleIJNS8_6TensorESF_SF_EERKSF_lbbbEUlllE1_EE10hipError_tPvRmT2_T3_mT4_P12ihipStream_tbEUlT_E_NS1_11comp_targetILNS1_3genE0ELNS1_11target_archE4294967295ELNS1_3gpuE0ELNS1_3repE0EEENS1_30default_config_static_selectorELNS0_4arch9wavefront6targetE1EEEvT1_.uses_flat_scratch, 0
	.set _ZN7rocprim17ROCPRIM_400000_NS6detail17trampoline_kernelINS0_14default_configENS1_35adjacent_difference_config_selectorILb0ElEEZNS1_24adjacent_difference_implIS3_Lb0ELb0EPlS7_ZN2at6native12_GLOBAL__N_124unique_dim_cuda_templateIN3c108BFloat16EEESt5tupleIJNS8_6TensorESF_SF_EERKSF_lbbbEUlllE1_EE10hipError_tPvRmT2_T3_mT4_P12ihipStream_tbEUlT_E_NS1_11comp_targetILNS1_3genE0ELNS1_11target_archE4294967295ELNS1_3gpuE0ELNS1_3repE0EEENS1_30default_config_static_selectorELNS0_4arch9wavefront6targetE1EEEvT1_.has_dyn_sized_stack, 0
	.set _ZN7rocprim17ROCPRIM_400000_NS6detail17trampoline_kernelINS0_14default_configENS1_35adjacent_difference_config_selectorILb0ElEEZNS1_24adjacent_difference_implIS3_Lb0ELb0EPlS7_ZN2at6native12_GLOBAL__N_124unique_dim_cuda_templateIN3c108BFloat16EEESt5tupleIJNS8_6TensorESF_SF_EERKSF_lbbbEUlllE1_EE10hipError_tPvRmT2_T3_mT4_P12ihipStream_tbEUlT_E_NS1_11comp_targetILNS1_3genE0ELNS1_11target_archE4294967295ELNS1_3gpuE0ELNS1_3repE0EEENS1_30default_config_static_selectorELNS0_4arch9wavefront6targetE1EEEvT1_.has_recursion, 0
	.set _ZN7rocprim17ROCPRIM_400000_NS6detail17trampoline_kernelINS0_14default_configENS1_35adjacent_difference_config_selectorILb0ElEEZNS1_24adjacent_difference_implIS3_Lb0ELb0EPlS7_ZN2at6native12_GLOBAL__N_124unique_dim_cuda_templateIN3c108BFloat16EEESt5tupleIJNS8_6TensorESF_SF_EERKSF_lbbbEUlllE1_EE10hipError_tPvRmT2_T3_mT4_P12ihipStream_tbEUlT_E_NS1_11comp_targetILNS1_3genE0ELNS1_11target_archE4294967295ELNS1_3gpuE0ELNS1_3repE0EEENS1_30default_config_static_selectorELNS0_4arch9wavefront6targetE1EEEvT1_.has_indirect_call, 0
	.section	.AMDGPU.csdata,"",@progbits
; Kernel info:
; codeLenInByte = 1788
; TotalNumSgprs: 38
; NumVgprs: 11
; NumAgprs: 0
; TotalNumVgprs: 11
; ScratchSize: 0
; MemoryBound: 0
; FloatMode: 240
; IeeeMode: 1
; LDSByteSize: 2048 bytes/workgroup (compile time only)
; SGPRBlocks: 4
; VGPRBlocks: 1
; NumSGPRsForWavesPerEU: 38
; NumVGPRsForWavesPerEU: 11
; AccumOffset: 12
; Occupancy: 8
; WaveLimiterHint : 0
; COMPUTE_PGM_RSRC2:SCRATCH_EN: 0
; COMPUTE_PGM_RSRC2:USER_SGPR: 2
; COMPUTE_PGM_RSRC2:TRAP_HANDLER: 0
; COMPUTE_PGM_RSRC2:TGID_X_EN: 1
; COMPUTE_PGM_RSRC2:TGID_Y_EN: 0
; COMPUTE_PGM_RSRC2:TGID_Z_EN: 0
; COMPUTE_PGM_RSRC2:TIDIG_COMP_CNT: 0
; COMPUTE_PGM_RSRC3_GFX90A:ACCUM_OFFSET: 2
; COMPUTE_PGM_RSRC3_GFX90A:TG_SPLIT: 0
	.section	.text._ZN7rocprim17ROCPRIM_400000_NS6detail17trampoline_kernelINS0_14default_configENS1_35adjacent_difference_config_selectorILb0ElEEZNS1_24adjacent_difference_implIS3_Lb0ELb0EPlS7_ZN2at6native12_GLOBAL__N_124unique_dim_cuda_templateIN3c108BFloat16EEESt5tupleIJNS8_6TensorESF_SF_EERKSF_lbbbEUlllE1_EE10hipError_tPvRmT2_T3_mT4_P12ihipStream_tbEUlT_E_NS1_11comp_targetILNS1_3genE10ELNS1_11target_archE1201ELNS1_3gpuE5ELNS1_3repE0EEENS1_30default_config_static_selectorELNS0_4arch9wavefront6targetE1EEEvT1_,"axG",@progbits,_ZN7rocprim17ROCPRIM_400000_NS6detail17trampoline_kernelINS0_14default_configENS1_35adjacent_difference_config_selectorILb0ElEEZNS1_24adjacent_difference_implIS3_Lb0ELb0EPlS7_ZN2at6native12_GLOBAL__N_124unique_dim_cuda_templateIN3c108BFloat16EEESt5tupleIJNS8_6TensorESF_SF_EERKSF_lbbbEUlllE1_EE10hipError_tPvRmT2_T3_mT4_P12ihipStream_tbEUlT_E_NS1_11comp_targetILNS1_3genE10ELNS1_11target_archE1201ELNS1_3gpuE5ELNS1_3repE0EEENS1_30default_config_static_selectorELNS0_4arch9wavefront6targetE1EEEvT1_,comdat
	.globl	_ZN7rocprim17ROCPRIM_400000_NS6detail17trampoline_kernelINS0_14default_configENS1_35adjacent_difference_config_selectorILb0ElEEZNS1_24adjacent_difference_implIS3_Lb0ELb0EPlS7_ZN2at6native12_GLOBAL__N_124unique_dim_cuda_templateIN3c108BFloat16EEESt5tupleIJNS8_6TensorESF_SF_EERKSF_lbbbEUlllE1_EE10hipError_tPvRmT2_T3_mT4_P12ihipStream_tbEUlT_E_NS1_11comp_targetILNS1_3genE10ELNS1_11target_archE1201ELNS1_3gpuE5ELNS1_3repE0EEENS1_30default_config_static_selectorELNS0_4arch9wavefront6targetE1EEEvT1_ ; -- Begin function _ZN7rocprim17ROCPRIM_400000_NS6detail17trampoline_kernelINS0_14default_configENS1_35adjacent_difference_config_selectorILb0ElEEZNS1_24adjacent_difference_implIS3_Lb0ELb0EPlS7_ZN2at6native12_GLOBAL__N_124unique_dim_cuda_templateIN3c108BFloat16EEESt5tupleIJNS8_6TensorESF_SF_EERKSF_lbbbEUlllE1_EE10hipError_tPvRmT2_T3_mT4_P12ihipStream_tbEUlT_E_NS1_11comp_targetILNS1_3genE10ELNS1_11target_archE1201ELNS1_3gpuE5ELNS1_3repE0EEENS1_30default_config_static_selectorELNS0_4arch9wavefront6targetE1EEEvT1_
	.p2align	8
	.type	_ZN7rocprim17ROCPRIM_400000_NS6detail17trampoline_kernelINS0_14default_configENS1_35adjacent_difference_config_selectorILb0ElEEZNS1_24adjacent_difference_implIS3_Lb0ELb0EPlS7_ZN2at6native12_GLOBAL__N_124unique_dim_cuda_templateIN3c108BFloat16EEESt5tupleIJNS8_6TensorESF_SF_EERKSF_lbbbEUlllE1_EE10hipError_tPvRmT2_T3_mT4_P12ihipStream_tbEUlT_E_NS1_11comp_targetILNS1_3genE10ELNS1_11target_archE1201ELNS1_3gpuE5ELNS1_3repE0EEENS1_30default_config_static_selectorELNS0_4arch9wavefront6targetE1EEEvT1_,@function
_ZN7rocprim17ROCPRIM_400000_NS6detail17trampoline_kernelINS0_14default_configENS1_35adjacent_difference_config_selectorILb0ElEEZNS1_24adjacent_difference_implIS3_Lb0ELb0EPlS7_ZN2at6native12_GLOBAL__N_124unique_dim_cuda_templateIN3c108BFloat16EEESt5tupleIJNS8_6TensorESF_SF_EERKSF_lbbbEUlllE1_EE10hipError_tPvRmT2_T3_mT4_P12ihipStream_tbEUlT_E_NS1_11comp_targetILNS1_3genE10ELNS1_11target_archE1201ELNS1_3gpuE5ELNS1_3repE0EEENS1_30default_config_static_selectorELNS0_4arch9wavefront6targetE1EEEvT1_: ; @_ZN7rocprim17ROCPRIM_400000_NS6detail17trampoline_kernelINS0_14default_configENS1_35adjacent_difference_config_selectorILb0ElEEZNS1_24adjacent_difference_implIS3_Lb0ELb0EPlS7_ZN2at6native12_GLOBAL__N_124unique_dim_cuda_templateIN3c108BFloat16EEESt5tupleIJNS8_6TensorESF_SF_EERKSF_lbbbEUlllE1_EE10hipError_tPvRmT2_T3_mT4_P12ihipStream_tbEUlT_E_NS1_11comp_targetILNS1_3genE10ELNS1_11target_archE1201ELNS1_3gpuE5ELNS1_3repE0EEENS1_30default_config_static_selectorELNS0_4arch9wavefront6targetE1EEEvT1_
; %bb.0:
	.section	.rodata,"a",@progbits
	.p2align	6, 0x0
	.amdhsa_kernel _ZN7rocprim17ROCPRIM_400000_NS6detail17trampoline_kernelINS0_14default_configENS1_35adjacent_difference_config_selectorILb0ElEEZNS1_24adjacent_difference_implIS3_Lb0ELb0EPlS7_ZN2at6native12_GLOBAL__N_124unique_dim_cuda_templateIN3c108BFloat16EEESt5tupleIJNS8_6TensorESF_SF_EERKSF_lbbbEUlllE1_EE10hipError_tPvRmT2_T3_mT4_P12ihipStream_tbEUlT_E_NS1_11comp_targetILNS1_3genE10ELNS1_11target_archE1201ELNS1_3gpuE5ELNS1_3repE0EEENS1_30default_config_static_selectorELNS0_4arch9wavefront6targetE1EEEvT1_
		.amdhsa_group_segment_fixed_size 0
		.amdhsa_private_segment_fixed_size 0
		.amdhsa_kernarg_size 64
		.amdhsa_user_sgpr_count 2
		.amdhsa_user_sgpr_dispatch_ptr 0
		.amdhsa_user_sgpr_queue_ptr 0
		.amdhsa_user_sgpr_kernarg_segment_ptr 1
		.amdhsa_user_sgpr_dispatch_id 0
		.amdhsa_user_sgpr_kernarg_preload_length 0
		.amdhsa_user_sgpr_kernarg_preload_offset 0
		.amdhsa_user_sgpr_private_segment_size 0
		.amdhsa_uses_dynamic_stack 0
		.amdhsa_enable_private_segment 0
		.amdhsa_system_sgpr_workgroup_id_x 1
		.amdhsa_system_sgpr_workgroup_id_y 0
		.amdhsa_system_sgpr_workgroup_id_z 0
		.amdhsa_system_sgpr_workgroup_info 0
		.amdhsa_system_vgpr_workitem_id 0
		.amdhsa_next_free_vgpr 1
		.amdhsa_next_free_sgpr 0
		.amdhsa_accum_offset 4
		.amdhsa_reserve_vcc 0
		.amdhsa_float_round_mode_32 0
		.amdhsa_float_round_mode_16_64 0
		.amdhsa_float_denorm_mode_32 3
		.amdhsa_float_denorm_mode_16_64 3
		.amdhsa_dx10_clamp 1
		.amdhsa_ieee_mode 1
		.amdhsa_fp16_overflow 0
		.amdhsa_tg_split 0
		.amdhsa_exception_fp_ieee_invalid_op 0
		.amdhsa_exception_fp_denorm_src 0
		.amdhsa_exception_fp_ieee_div_zero 0
		.amdhsa_exception_fp_ieee_overflow 0
		.amdhsa_exception_fp_ieee_underflow 0
		.amdhsa_exception_fp_ieee_inexact 0
		.amdhsa_exception_int_div_zero 0
	.end_amdhsa_kernel
	.section	.text._ZN7rocprim17ROCPRIM_400000_NS6detail17trampoline_kernelINS0_14default_configENS1_35adjacent_difference_config_selectorILb0ElEEZNS1_24adjacent_difference_implIS3_Lb0ELb0EPlS7_ZN2at6native12_GLOBAL__N_124unique_dim_cuda_templateIN3c108BFloat16EEESt5tupleIJNS8_6TensorESF_SF_EERKSF_lbbbEUlllE1_EE10hipError_tPvRmT2_T3_mT4_P12ihipStream_tbEUlT_E_NS1_11comp_targetILNS1_3genE10ELNS1_11target_archE1201ELNS1_3gpuE5ELNS1_3repE0EEENS1_30default_config_static_selectorELNS0_4arch9wavefront6targetE1EEEvT1_,"axG",@progbits,_ZN7rocprim17ROCPRIM_400000_NS6detail17trampoline_kernelINS0_14default_configENS1_35adjacent_difference_config_selectorILb0ElEEZNS1_24adjacent_difference_implIS3_Lb0ELb0EPlS7_ZN2at6native12_GLOBAL__N_124unique_dim_cuda_templateIN3c108BFloat16EEESt5tupleIJNS8_6TensorESF_SF_EERKSF_lbbbEUlllE1_EE10hipError_tPvRmT2_T3_mT4_P12ihipStream_tbEUlT_E_NS1_11comp_targetILNS1_3genE10ELNS1_11target_archE1201ELNS1_3gpuE5ELNS1_3repE0EEENS1_30default_config_static_selectorELNS0_4arch9wavefront6targetE1EEEvT1_,comdat
.Lfunc_end1150:
	.size	_ZN7rocprim17ROCPRIM_400000_NS6detail17trampoline_kernelINS0_14default_configENS1_35adjacent_difference_config_selectorILb0ElEEZNS1_24adjacent_difference_implIS3_Lb0ELb0EPlS7_ZN2at6native12_GLOBAL__N_124unique_dim_cuda_templateIN3c108BFloat16EEESt5tupleIJNS8_6TensorESF_SF_EERKSF_lbbbEUlllE1_EE10hipError_tPvRmT2_T3_mT4_P12ihipStream_tbEUlT_E_NS1_11comp_targetILNS1_3genE10ELNS1_11target_archE1201ELNS1_3gpuE5ELNS1_3repE0EEENS1_30default_config_static_selectorELNS0_4arch9wavefront6targetE1EEEvT1_, .Lfunc_end1150-_ZN7rocprim17ROCPRIM_400000_NS6detail17trampoline_kernelINS0_14default_configENS1_35adjacent_difference_config_selectorILb0ElEEZNS1_24adjacent_difference_implIS3_Lb0ELb0EPlS7_ZN2at6native12_GLOBAL__N_124unique_dim_cuda_templateIN3c108BFloat16EEESt5tupleIJNS8_6TensorESF_SF_EERKSF_lbbbEUlllE1_EE10hipError_tPvRmT2_T3_mT4_P12ihipStream_tbEUlT_E_NS1_11comp_targetILNS1_3genE10ELNS1_11target_archE1201ELNS1_3gpuE5ELNS1_3repE0EEENS1_30default_config_static_selectorELNS0_4arch9wavefront6targetE1EEEvT1_
                                        ; -- End function
	.set _ZN7rocprim17ROCPRIM_400000_NS6detail17trampoline_kernelINS0_14default_configENS1_35adjacent_difference_config_selectorILb0ElEEZNS1_24adjacent_difference_implIS3_Lb0ELb0EPlS7_ZN2at6native12_GLOBAL__N_124unique_dim_cuda_templateIN3c108BFloat16EEESt5tupleIJNS8_6TensorESF_SF_EERKSF_lbbbEUlllE1_EE10hipError_tPvRmT2_T3_mT4_P12ihipStream_tbEUlT_E_NS1_11comp_targetILNS1_3genE10ELNS1_11target_archE1201ELNS1_3gpuE5ELNS1_3repE0EEENS1_30default_config_static_selectorELNS0_4arch9wavefront6targetE1EEEvT1_.num_vgpr, 0
	.set _ZN7rocprim17ROCPRIM_400000_NS6detail17trampoline_kernelINS0_14default_configENS1_35adjacent_difference_config_selectorILb0ElEEZNS1_24adjacent_difference_implIS3_Lb0ELb0EPlS7_ZN2at6native12_GLOBAL__N_124unique_dim_cuda_templateIN3c108BFloat16EEESt5tupleIJNS8_6TensorESF_SF_EERKSF_lbbbEUlllE1_EE10hipError_tPvRmT2_T3_mT4_P12ihipStream_tbEUlT_E_NS1_11comp_targetILNS1_3genE10ELNS1_11target_archE1201ELNS1_3gpuE5ELNS1_3repE0EEENS1_30default_config_static_selectorELNS0_4arch9wavefront6targetE1EEEvT1_.num_agpr, 0
	.set _ZN7rocprim17ROCPRIM_400000_NS6detail17trampoline_kernelINS0_14default_configENS1_35adjacent_difference_config_selectorILb0ElEEZNS1_24adjacent_difference_implIS3_Lb0ELb0EPlS7_ZN2at6native12_GLOBAL__N_124unique_dim_cuda_templateIN3c108BFloat16EEESt5tupleIJNS8_6TensorESF_SF_EERKSF_lbbbEUlllE1_EE10hipError_tPvRmT2_T3_mT4_P12ihipStream_tbEUlT_E_NS1_11comp_targetILNS1_3genE10ELNS1_11target_archE1201ELNS1_3gpuE5ELNS1_3repE0EEENS1_30default_config_static_selectorELNS0_4arch9wavefront6targetE1EEEvT1_.numbered_sgpr, 0
	.set _ZN7rocprim17ROCPRIM_400000_NS6detail17trampoline_kernelINS0_14default_configENS1_35adjacent_difference_config_selectorILb0ElEEZNS1_24adjacent_difference_implIS3_Lb0ELb0EPlS7_ZN2at6native12_GLOBAL__N_124unique_dim_cuda_templateIN3c108BFloat16EEESt5tupleIJNS8_6TensorESF_SF_EERKSF_lbbbEUlllE1_EE10hipError_tPvRmT2_T3_mT4_P12ihipStream_tbEUlT_E_NS1_11comp_targetILNS1_3genE10ELNS1_11target_archE1201ELNS1_3gpuE5ELNS1_3repE0EEENS1_30default_config_static_selectorELNS0_4arch9wavefront6targetE1EEEvT1_.num_named_barrier, 0
	.set _ZN7rocprim17ROCPRIM_400000_NS6detail17trampoline_kernelINS0_14default_configENS1_35adjacent_difference_config_selectorILb0ElEEZNS1_24adjacent_difference_implIS3_Lb0ELb0EPlS7_ZN2at6native12_GLOBAL__N_124unique_dim_cuda_templateIN3c108BFloat16EEESt5tupleIJNS8_6TensorESF_SF_EERKSF_lbbbEUlllE1_EE10hipError_tPvRmT2_T3_mT4_P12ihipStream_tbEUlT_E_NS1_11comp_targetILNS1_3genE10ELNS1_11target_archE1201ELNS1_3gpuE5ELNS1_3repE0EEENS1_30default_config_static_selectorELNS0_4arch9wavefront6targetE1EEEvT1_.private_seg_size, 0
	.set _ZN7rocprim17ROCPRIM_400000_NS6detail17trampoline_kernelINS0_14default_configENS1_35adjacent_difference_config_selectorILb0ElEEZNS1_24adjacent_difference_implIS3_Lb0ELb0EPlS7_ZN2at6native12_GLOBAL__N_124unique_dim_cuda_templateIN3c108BFloat16EEESt5tupleIJNS8_6TensorESF_SF_EERKSF_lbbbEUlllE1_EE10hipError_tPvRmT2_T3_mT4_P12ihipStream_tbEUlT_E_NS1_11comp_targetILNS1_3genE10ELNS1_11target_archE1201ELNS1_3gpuE5ELNS1_3repE0EEENS1_30default_config_static_selectorELNS0_4arch9wavefront6targetE1EEEvT1_.uses_vcc, 0
	.set _ZN7rocprim17ROCPRIM_400000_NS6detail17trampoline_kernelINS0_14default_configENS1_35adjacent_difference_config_selectorILb0ElEEZNS1_24adjacent_difference_implIS3_Lb0ELb0EPlS7_ZN2at6native12_GLOBAL__N_124unique_dim_cuda_templateIN3c108BFloat16EEESt5tupleIJNS8_6TensorESF_SF_EERKSF_lbbbEUlllE1_EE10hipError_tPvRmT2_T3_mT4_P12ihipStream_tbEUlT_E_NS1_11comp_targetILNS1_3genE10ELNS1_11target_archE1201ELNS1_3gpuE5ELNS1_3repE0EEENS1_30default_config_static_selectorELNS0_4arch9wavefront6targetE1EEEvT1_.uses_flat_scratch, 0
	.set _ZN7rocprim17ROCPRIM_400000_NS6detail17trampoline_kernelINS0_14default_configENS1_35adjacent_difference_config_selectorILb0ElEEZNS1_24adjacent_difference_implIS3_Lb0ELb0EPlS7_ZN2at6native12_GLOBAL__N_124unique_dim_cuda_templateIN3c108BFloat16EEESt5tupleIJNS8_6TensorESF_SF_EERKSF_lbbbEUlllE1_EE10hipError_tPvRmT2_T3_mT4_P12ihipStream_tbEUlT_E_NS1_11comp_targetILNS1_3genE10ELNS1_11target_archE1201ELNS1_3gpuE5ELNS1_3repE0EEENS1_30default_config_static_selectorELNS0_4arch9wavefront6targetE1EEEvT1_.has_dyn_sized_stack, 0
	.set _ZN7rocprim17ROCPRIM_400000_NS6detail17trampoline_kernelINS0_14default_configENS1_35adjacent_difference_config_selectorILb0ElEEZNS1_24adjacent_difference_implIS3_Lb0ELb0EPlS7_ZN2at6native12_GLOBAL__N_124unique_dim_cuda_templateIN3c108BFloat16EEESt5tupleIJNS8_6TensorESF_SF_EERKSF_lbbbEUlllE1_EE10hipError_tPvRmT2_T3_mT4_P12ihipStream_tbEUlT_E_NS1_11comp_targetILNS1_3genE10ELNS1_11target_archE1201ELNS1_3gpuE5ELNS1_3repE0EEENS1_30default_config_static_selectorELNS0_4arch9wavefront6targetE1EEEvT1_.has_recursion, 0
	.set _ZN7rocprim17ROCPRIM_400000_NS6detail17trampoline_kernelINS0_14default_configENS1_35adjacent_difference_config_selectorILb0ElEEZNS1_24adjacent_difference_implIS3_Lb0ELb0EPlS7_ZN2at6native12_GLOBAL__N_124unique_dim_cuda_templateIN3c108BFloat16EEESt5tupleIJNS8_6TensorESF_SF_EERKSF_lbbbEUlllE1_EE10hipError_tPvRmT2_T3_mT4_P12ihipStream_tbEUlT_E_NS1_11comp_targetILNS1_3genE10ELNS1_11target_archE1201ELNS1_3gpuE5ELNS1_3repE0EEENS1_30default_config_static_selectorELNS0_4arch9wavefront6targetE1EEEvT1_.has_indirect_call, 0
	.section	.AMDGPU.csdata,"",@progbits
; Kernel info:
; codeLenInByte = 0
; TotalNumSgprs: 6
; NumVgprs: 0
; NumAgprs: 0
; TotalNumVgprs: 0
; ScratchSize: 0
; MemoryBound: 0
; FloatMode: 240
; IeeeMode: 1
; LDSByteSize: 0 bytes/workgroup (compile time only)
; SGPRBlocks: 0
; VGPRBlocks: 0
; NumSGPRsForWavesPerEU: 6
; NumVGPRsForWavesPerEU: 1
; AccumOffset: 4
; Occupancy: 8
; WaveLimiterHint : 0
; COMPUTE_PGM_RSRC2:SCRATCH_EN: 0
; COMPUTE_PGM_RSRC2:USER_SGPR: 2
; COMPUTE_PGM_RSRC2:TRAP_HANDLER: 0
; COMPUTE_PGM_RSRC2:TGID_X_EN: 1
; COMPUTE_PGM_RSRC2:TGID_Y_EN: 0
; COMPUTE_PGM_RSRC2:TGID_Z_EN: 0
; COMPUTE_PGM_RSRC2:TIDIG_COMP_CNT: 0
; COMPUTE_PGM_RSRC3_GFX90A:ACCUM_OFFSET: 0
; COMPUTE_PGM_RSRC3_GFX90A:TG_SPLIT: 0
	.section	.text._ZN7rocprim17ROCPRIM_400000_NS6detail17trampoline_kernelINS0_14default_configENS1_35adjacent_difference_config_selectorILb0ElEEZNS1_24adjacent_difference_implIS3_Lb0ELb0EPlS7_ZN2at6native12_GLOBAL__N_124unique_dim_cuda_templateIN3c108BFloat16EEESt5tupleIJNS8_6TensorESF_SF_EERKSF_lbbbEUlllE1_EE10hipError_tPvRmT2_T3_mT4_P12ihipStream_tbEUlT_E_NS1_11comp_targetILNS1_3genE5ELNS1_11target_archE942ELNS1_3gpuE9ELNS1_3repE0EEENS1_30default_config_static_selectorELNS0_4arch9wavefront6targetE1EEEvT1_,"axG",@progbits,_ZN7rocprim17ROCPRIM_400000_NS6detail17trampoline_kernelINS0_14default_configENS1_35adjacent_difference_config_selectorILb0ElEEZNS1_24adjacent_difference_implIS3_Lb0ELb0EPlS7_ZN2at6native12_GLOBAL__N_124unique_dim_cuda_templateIN3c108BFloat16EEESt5tupleIJNS8_6TensorESF_SF_EERKSF_lbbbEUlllE1_EE10hipError_tPvRmT2_T3_mT4_P12ihipStream_tbEUlT_E_NS1_11comp_targetILNS1_3genE5ELNS1_11target_archE942ELNS1_3gpuE9ELNS1_3repE0EEENS1_30default_config_static_selectorELNS0_4arch9wavefront6targetE1EEEvT1_,comdat
	.globl	_ZN7rocprim17ROCPRIM_400000_NS6detail17trampoline_kernelINS0_14default_configENS1_35adjacent_difference_config_selectorILb0ElEEZNS1_24adjacent_difference_implIS3_Lb0ELb0EPlS7_ZN2at6native12_GLOBAL__N_124unique_dim_cuda_templateIN3c108BFloat16EEESt5tupleIJNS8_6TensorESF_SF_EERKSF_lbbbEUlllE1_EE10hipError_tPvRmT2_T3_mT4_P12ihipStream_tbEUlT_E_NS1_11comp_targetILNS1_3genE5ELNS1_11target_archE942ELNS1_3gpuE9ELNS1_3repE0EEENS1_30default_config_static_selectorELNS0_4arch9wavefront6targetE1EEEvT1_ ; -- Begin function _ZN7rocprim17ROCPRIM_400000_NS6detail17trampoline_kernelINS0_14default_configENS1_35adjacent_difference_config_selectorILb0ElEEZNS1_24adjacent_difference_implIS3_Lb0ELb0EPlS7_ZN2at6native12_GLOBAL__N_124unique_dim_cuda_templateIN3c108BFloat16EEESt5tupleIJNS8_6TensorESF_SF_EERKSF_lbbbEUlllE1_EE10hipError_tPvRmT2_T3_mT4_P12ihipStream_tbEUlT_E_NS1_11comp_targetILNS1_3genE5ELNS1_11target_archE942ELNS1_3gpuE9ELNS1_3repE0EEENS1_30default_config_static_selectorELNS0_4arch9wavefront6targetE1EEEvT1_
	.p2align	8
	.type	_ZN7rocprim17ROCPRIM_400000_NS6detail17trampoline_kernelINS0_14default_configENS1_35adjacent_difference_config_selectorILb0ElEEZNS1_24adjacent_difference_implIS3_Lb0ELb0EPlS7_ZN2at6native12_GLOBAL__N_124unique_dim_cuda_templateIN3c108BFloat16EEESt5tupleIJNS8_6TensorESF_SF_EERKSF_lbbbEUlllE1_EE10hipError_tPvRmT2_T3_mT4_P12ihipStream_tbEUlT_E_NS1_11comp_targetILNS1_3genE5ELNS1_11target_archE942ELNS1_3gpuE9ELNS1_3repE0EEENS1_30default_config_static_selectorELNS0_4arch9wavefront6targetE1EEEvT1_,@function
_ZN7rocprim17ROCPRIM_400000_NS6detail17trampoline_kernelINS0_14default_configENS1_35adjacent_difference_config_selectorILb0ElEEZNS1_24adjacent_difference_implIS3_Lb0ELb0EPlS7_ZN2at6native12_GLOBAL__N_124unique_dim_cuda_templateIN3c108BFloat16EEESt5tupleIJNS8_6TensorESF_SF_EERKSF_lbbbEUlllE1_EE10hipError_tPvRmT2_T3_mT4_P12ihipStream_tbEUlT_E_NS1_11comp_targetILNS1_3genE5ELNS1_11target_archE942ELNS1_3gpuE9ELNS1_3repE0EEENS1_30default_config_static_selectorELNS0_4arch9wavefront6targetE1EEEvT1_: ; @_ZN7rocprim17ROCPRIM_400000_NS6detail17trampoline_kernelINS0_14default_configENS1_35adjacent_difference_config_selectorILb0ElEEZNS1_24adjacent_difference_implIS3_Lb0ELb0EPlS7_ZN2at6native12_GLOBAL__N_124unique_dim_cuda_templateIN3c108BFloat16EEESt5tupleIJNS8_6TensorESF_SF_EERKSF_lbbbEUlllE1_EE10hipError_tPvRmT2_T3_mT4_P12ihipStream_tbEUlT_E_NS1_11comp_targetILNS1_3genE5ELNS1_11target_archE942ELNS1_3gpuE9ELNS1_3repE0EEENS1_30default_config_static_selectorELNS0_4arch9wavefront6targetE1EEEvT1_
; %bb.0:
	.section	.rodata,"a",@progbits
	.p2align	6, 0x0
	.amdhsa_kernel _ZN7rocprim17ROCPRIM_400000_NS6detail17trampoline_kernelINS0_14default_configENS1_35adjacent_difference_config_selectorILb0ElEEZNS1_24adjacent_difference_implIS3_Lb0ELb0EPlS7_ZN2at6native12_GLOBAL__N_124unique_dim_cuda_templateIN3c108BFloat16EEESt5tupleIJNS8_6TensorESF_SF_EERKSF_lbbbEUlllE1_EE10hipError_tPvRmT2_T3_mT4_P12ihipStream_tbEUlT_E_NS1_11comp_targetILNS1_3genE5ELNS1_11target_archE942ELNS1_3gpuE9ELNS1_3repE0EEENS1_30default_config_static_selectorELNS0_4arch9wavefront6targetE1EEEvT1_
		.amdhsa_group_segment_fixed_size 0
		.amdhsa_private_segment_fixed_size 0
		.amdhsa_kernarg_size 64
		.amdhsa_user_sgpr_count 2
		.amdhsa_user_sgpr_dispatch_ptr 0
		.amdhsa_user_sgpr_queue_ptr 0
		.amdhsa_user_sgpr_kernarg_segment_ptr 1
		.amdhsa_user_sgpr_dispatch_id 0
		.amdhsa_user_sgpr_kernarg_preload_length 0
		.amdhsa_user_sgpr_kernarg_preload_offset 0
		.amdhsa_user_sgpr_private_segment_size 0
		.amdhsa_uses_dynamic_stack 0
		.amdhsa_enable_private_segment 0
		.amdhsa_system_sgpr_workgroup_id_x 1
		.amdhsa_system_sgpr_workgroup_id_y 0
		.amdhsa_system_sgpr_workgroup_id_z 0
		.amdhsa_system_sgpr_workgroup_info 0
		.amdhsa_system_vgpr_workitem_id 0
		.amdhsa_next_free_vgpr 1
		.amdhsa_next_free_sgpr 0
		.amdhsa_accum_offset 4
		.amdhsa_reserve_vcc 0
		.amdhsa_float_round_mode_32 0
		.amdhsa_float_round_mode_16_64 0
		.amdhsa_float_denorm_mode_32 3
		.amdhsa_float_denorm_mode_16_64 3
		.amdhsa_dx10_clamp 1
		.amdhsa_ieee_mode 1
		.amdhsa_fp16_overflow 0
		.amdhsa_tg_split 0
		.amdhsa_exception_fp_ieee_invalid_op 0
		.amdhsa_exception_fp_denorm_src 0
		.amdhsa_exception_fp_ieee_div_zero 0
		.amdhsa_exception_fp_ieee_overflow 0
		.amdhsa_exception_fp_ieee_underflow 0
		.amdhsa_exception_fp_ieee_inexact 0
		.amdhsa_exception_int_div_zero 0
	.end_amdhsa_kernel
	.section	.text._ZN7rocprim17ROCPRIM_400000_NS6detail17trampoline_kernelINS0_14default_configENS1_35adjacent_difference_config_selectorILb0ElEEZNS1_24adjacent_difference_implIS3_Lb0ELb0EPlS7_ZN2at6native12_GLOBAL__N_124unique_dim_cuda_templateIN3c108BFloat16EEESt5tupleIJNS8_6TensorESF_SF_EERKSF_lbbbEUlllE1_EE10hipError_tPvRmT2_T3_mT4_P12ihipStream_tbEUlT_E_NS1_11comp_targetILNS1_3genE5ELNS1_11target_archE942ELNS1_3gpuE9ELNS1_3repE0EEENS1_30default_config_static_selectorELNS0_4arch9wavefront6targetE1EEEvT1_,"axG",@progbits,_ZN7rocprim17ROCPRIM_400000_NS6detail17trampoline_kernelINS0_14default_configENS1_35adjacent_difference_config_selectorILb0ElEEZNS1_24adjacent_difference_implIS3_Lb0ELb0EPlS7_ZN2at6native12_GLOBAL__N_124unique_dim_cuda_templateIN3c108BFloat16EEESt5tupleIJNS8_6TensorESF_SF_EERKSF_lbbbEUlllE1_EE10hipError_tPvRmT2_T3_mT4_P12ihipStream_tbEUlT_E_NS1_11comp_targetILNS1_3genE5ELNS1_11target_archE942ELNS1_3gpuE9ELNS1_3repE0EEENS1_30default_config_static_selectorELNS0_4arch9wavefront6targetE1EEEvT1_,comdat
.Lfunc_end1151:
	.size	_ZN7rocprim17ROCPRIM_400000_NS6detail17trampoline_kernelINS0_14default_configENS1_35adjacent_difference_config_selectorILb0ElEEZNS1_24adjacent_difference_implIS3_Lb0ELb0EPlS7_ZN2at6native12_GLOBAL__N_124unique_dim_cuda_templateIN3c108BFloat16EEESt5tupleIJNS8_6TensorESF_SF_EERKSF_lbbbEUlllE1_EE10hipError_tPvRmT2_T3_mT4_P12ihipStream_tbEUlT_E_NS1_11comp_targetILNS1_3genE5ELNS1_11target_archE942ELNS1_3gpuE9ELNS1_3repE0EEENS1_30default_config_static_selectorELNS0_4arch9wavefront6targetE1EEEvT1_, .Lfunc_end1151-_ZN7rocprim17ROCPRIM_400000_NS6detail17trampoline_kernelINS0_14default_configENS1_35adjacent_difference_config_selectorILb0ElEEZNS1_24adjacent_difference_implIS3_Lb0ELb0EPlS7_ZN2at6native12_GLOBAL__N_124unique_dim_cuda_templateIN3c108BFloat16EEESt5tupleIJNS8_6TensorESF_SF_EERKSF_lbbbEUlllE1_EE10hipError_tPvRmT2_T3_mT4_P12ihipStream_tbEUlT_E_NS1_11comp_targetILNS1_3genE5ELNS1_11target_archE942ELNS1_3gpuE9ELNS1_3repE0EEENS1_30default_config_static_selectorELNS0_4arch9wavefront6targetE1EEEvT1_
                                        ; -- End function
	.set _ZN7rocprim17ROCPRIM_400000_NS6detail17trampoline_kernelINS0_14default_configENS1_35adjacent_difference_config_selectorILb0ElEEZNS1_24adjacent_difference_implIS3_Lb0ELb0EPlS7_ZN2at6native12_GLOBAL__N_124unique_dim_cuda_templateIN3c108BFloat16EEESt5tupleIJNS8_6TensorESF_SF_EERKSF_lbbbEUlllE1_EE10hipError_tPvRmT2_T3_mT4_P12ihipStream_tbEUlT_E_NS1_11comp_targetILNS1_3genE5ELNS1_11target_archE942ELNS1_3gpuE9ELNS1_3repE0EEENS1_30default_config_static_selectorELNS0_4arch9wavefront6targetE1EEEvT1_.num_vgpr, 0
	.set _ZN7rocprim17ROCPRIM_400000_NS6detail17trampoline_kernelINS0_14default_configENS1_35adjacent_difference_config_selectorILb0ElEEZNS1_24adjacent_difference_implIS3_Lb0ELb0EPlS7_ZN2at6native12_GLOBAL__N_124unique_dim_cuda_templateIN3c108BFloat16EEESt5tupleIJNS8_6TensorESF_SF_EERKSF_lbbbEUlllE1_EE10hipError_tPvRmT2_T3_mT4_P12ihipStream_tbEUlT_E_NS1_11comp_targetILNS1_3genE5ELNS1_11target_archE942ELNS1_3gpuE9ELNS1_3repE0EEENS1_30default_config_static_selectorELNS0_4arch9wavefront6targetE1EEEvT1_.num_agpr, 0
	.set _ZN7rocprim17ROCPRIM_400000_NS6detail17trampoline_kernelINS0_14default_configENS1_35adjacent_difference_config_selectorILb0ElEEZNS1_24adjacent_difference_implIS3_Lb0ELb0EPlS7_ZN2at6native12_GLOBAL__N_124unique_dim_cuda_templateIN3c108BFloat16EEESt5tupleIJNS8_6TensorESF_SF_EERKSF_lbbbEUlllE1_EE10hipError_tPvRmT2_T3_mT4_P12ihipStream_tbEUlT_E_NS1_11comp_targetILNS1_3genE5ELNS1_11target_archE942ELNS1_3gpuE9ELNS1_3repE0EEENS1_30default_config_static_selectorELNS0_4arch9wavefront6targetE1EEEvT1_.numbered_sgpr, 0
	.set _ZN7rocprim17ROCPRIM_400000_NS6detail17trampoline_kernelINS0_14default_configENS1_35adjacent_difference_config_selectorILb0ElEEZNS1_24adjacent_difference_implIS3_Lb0ELb0EPlS7_ZN2at6native12_GLOBAL__N_124unique_dim_cuda_templateIN3c108BFloat16EEESt5tupleIJNS8_6TensorESF_SF_EERKSF_lbbbEUlllE1_EE10hipError_tPvRmT2_T3_mT4_P12ihipStream_tbEUlT_E_NS1_11comp_targetILNS1_3genE5ELNS1_11target_archE942ELNS1_3gpuE9ELNS1_3repE0EEENS1_30default_config_static_selectorELNS0_4arch9wavefront6targetE1EEEvT1_.num_named_barrier, 0
	.set _ZN7rocprim17ROCPRIM_400000_NS6detail17trampoline_kernelINS0_14default_configENS1_35adjacent_difference_config_selectorILb0ElEEZNS1_24adjacent_difference_implIS3_Lb0ELb0EPlS7_ZN2at6native12_GLOBAL__N_124unique_dim_cuda_templateIN3c108BFloat16EEESt5tupleIJNS8_6TensorESF_SF_EERKSF_lbbbEUlllE1_EE10hipError_tPvRmT2_T3_mT4_P12ihipStream_tbEUlT_E_NS1_11comp_targetILNS1_3genE5ELNS1_11target_archE942ELNS1_3gpuE9ELNS1_3repE0EEENS1_30default_config_static_selectorELNS0_4arch9wavefront6targetE1EEEvT1_.private_seg_size, 0
	.set _ZN7rocprim17ROCPRIM_400000_NS6detail17trampoline_kernelINS0_14default_configENS1_35adjacent_difference_config_selectorILb0ElEEZNS1_24adjacent_difference_implIS3_Lb0ELb0EPlS7_ZN2at6native12_GLOBAL__N_124unique_dim_cuda_templateIN3c108BFloat16EEESt5tupleIJNS8_6TensorESF_SF_EERKSF_lbbbEUlllE1_EE10hipError_tPvRmT2_T3_mT4_P12ihipStream_tbEUlT_E_NS1_11comp_targetILNS1_3genE5ELNS1_11target_archE942ELNS1_3gpuE9ELNS1_3repE0EEENS1_30default_config_static_selectorELNS0_4arch9wavefront6targetE1EEEvT1_.uses_vcc, 0
	.set _ZN7rocprim17ROCPRIM_400000_NS6detail17trampoline_kernelINS0_14default_configENS1_35adjacent_difference_config_selectorILb0ElEEZNS1_24adjacent_difference_implIS3_Lb0ELb0EPlS7_ZN2at6native12_GLOBAL__N_124unique_dim_cuda_templateIN3c108BFloat16EEESt5tupleIJNS8_6TensorESF_SF_EERKSF_lbbbEUlllE1_EE10hipError_tPvRmT2_T3_mT4_P12ihipStream_tbEUlT_E_NS1_11comp_targetILNS1_3genE5ELNS1_11target_archE942ELNS1_3gpuE9ELNS1_3repE0EEENS1_30default_config_static_selectorELNS0_4arch9wavefront6targetE1EEEvT1_.uses_flat_scratch, 0
	.set _ZN7rocprim17ROCPRIM_400000_NS6detail17trampoline_kernelINS0_14default_configENS1_35adjacent_difference_config_selectorILb0ElEEZNS1_24adjacent_difference_implIS3_Lb0ELb0EPlS7_ZN2at6native12_GLOBAL__N_124unique_dim_cuda_templateIN3c108BFloat16EEESt5tupleIJNS8_6TensorESF_SF_EERKSF_lbbbEUlllE1_EE10hipError_tPvRmT2_T3_mT4_P12ihipStream_tbEUlT_E_NS1_11comp_targetILNS1_3genE5ELNS1_11target_archE942ELNS1_3gpuE9ELNS1_3repE0EEENS1_30default_config_static_selectorELNS0_4arch9wavefront6targetE1EEEvT1_.has_dyn_sized_stack, 0
	.set _ZN7rocprim17ROCPRIM_400000_NS6detail17trampoline_kernelINS0_14default_configENS1_35adjacent_difference_config_selectorILb0ElEEZNS1_24adjacent_difference_implIS3_Lb0ELb0EPlS7_ZN2at6native12_GLOBAL__N_124unique_dim_cuda_templateIN3c108BFloat16EEESt5tupleIJNS8_6TensorESF_SF_EERKSF_lbbbEUlllE1_EE10hipError_tPvRmT2_T3_mT4_P12ihipStream_tbEUlT_E_NS1_11comp_targetILNS1_3genE5ELNS1_11target_archE942ELNS1_3gpuE9ELNS1_3repE0EEENS1_30default_config_static_selectorELNS0_4arch9wavefront6targetE1EEEvT1_.has_recursion, 0
	.set _ZN7rocprim17ROCPRIM_400000_NS6detail17trampoline_kernelINS0_14default_configENS1_35adjacent_difference_config_selectorILb0ElEEZNS1_24adjacent_difference_implIS3_Lb0ELb0EPlS7_ZN2at6native12_GLOBAL__N_124unique_dim_cuda_templateIN3c108BFloat16EEESt5tupleIJNS8_6TensorESF_SF_EERKSF_lbbbEUlllE1_EE10hipError_tPvRmT2_T3_mT4_P12ihipStream_tbEUlT_E_NS1_11comp_targetILNS1_3genE5ELNS1_11target_archE942ELNS1_3gpuE9ELNS1_3repE0EEENS1_30default_config_static_selectorELNS0_4arch9wavefront6targetE1EEEvT1_.has_indirect_call, 0
	.section	.AMDGPU.csdata,"",@progbits
; Kernel info:
; codeLenInByte = 0
; TotalNumSgprs: 6
; NumVgprs: 0
; NumAgprs: 0
; TotalNumVgprs: 0
; ScratchSize: 0
; MemoryBound: 0
; FloatMode: 240
; IeeeMode: 1
; LDSByteSize: 0 bytes/workgroup (compile time only)
; SGPRBlocks: 0
; VGPRBlocks: 0
; NumSGPRsForWavesPerEU: 6
; NumVGPRsForWavesPerEU: 1
; AccumOffset: 4
; Occupancy: 8
; WaveLimiterHint : 0
; COMPUTE_PGM_RSRC2:SCRATCH_EN: 0
; COMPUTE_PGM_RSRC2:USER_SGPR: 2
; COMPUTE_PGM_RSRC2:TRAP_HANDLER: 0
; COMPUTE_PGM_RSRC2:TGID_X_EN: 1
; COMPUTE_PGM_RSRC2:TGID_Y_EN: 0
; COMPUTE_PGM_RSRC2:TGID_Z_EN: 0
; COMPUTE_PGM_RSRC2:TIDIG_COMP_CNT: 0
; COMPUTE_PGM_RSRC3_GFX90A:ACCUM_OFFSET: 0
; COMPUTE_PGM_RSRC3_GFX90A:TG_SPLIT: 0
	.section	.text._ZN7rocprim17ROCPRIM_400000_NS6detail17trampoline_kernelINS0_14default_configENS1_35adjacent_difference_config_selectorILb0ElEEZNS1_24adjacent_difference_implIS3_Lb0ELb0EPlS7_ZN2at6native12_GLOBAL__N_124unique_dim_cuda_templateIN3c108BFloat16EEESt5tupleIJNS8_6TensorESF_SF_EERKSF_lbbbEUlllE1_EE10hipError_tPvRmT2_T3_mT4_P12ihipStream_tbEUlT_E_NS1_11comp_targetILNS1_3genE4ELNS1_11target_archE910ELNS1_3gpuE8ELNS1_3repE0EEENS1_30default_config_static_selectorELNS0_4arch9wavefront6targetE1EEEvT1_,"axG",@progbits,_ZN7rocprim17ROCPRIM_400000_NS6detail17trampoline_kernelINS0_14default_configENS1_35adjacent_difference_config_selectorILb0ElEEZNS1_24adjacent_difference_implIS3_Lb0ELb0EPlS7_ZN2at6native12_GLOBAL__N_124unique_dim_cuda_templateIN3c108BFloat16EEESt5tupleIJNS8_6TensorESF_SF_EERKSF_lbbbEUlllE1_EE10hipError_tPvRmT2_T3_mT4_P12ihipStream_tbEUlT_E_NS1_11comp_targetILNS1_3genE4ELNS1_11target_archE910ELNS1_3gpuE8ELNS1_3repE0EEENS1_30default_config_static_selectorELNS0_4arch9wavefront6targetE1EEEvT1_,comdat
	.globl	_ZN7rocprim17ROCPRIM_400000_NS6detail17trampoline_kernelINS0_14default_configENS1_35adjacent_difference_config_selectorILb0ElEEZNS1_24adjacent_difference_implIS3_Lb0ELb0EPlS7_ZN2at6native12_GLOBAL__N_124unique_dim_cuda_templateIN3c108BFloat16EEESt5tupleIJNS8_6TensorESF_SF_EERKSF_lbbbEUlllE1_EE10hipError_tPvRmT2_T3_mT4_P12ihipStream_tbEUlT_E_NS1_11comp_targetILNS1_3genE4ELNS1_11target_archE910ELNS1_3gpuE8ELNS1_3repE0EEENS1_30default_config_static_selectorELNS0_4arch9wavefront6targetE1EEEvT1_ ; -- Begin function _ZN7rocprim17ROCPRIM_400000_NS6detail17trampoline_kernelINS0_14default_configENS1_35adjacent_difference_config_selectorILb0ElEEZNS1_24adjacent_difference_implIS3_Lb0ELb0EPlS7_ZN2at6native12_GLOBAL__N_124unique_dim_cuda_templateIN3c108BFloat16EEESt5tupleIJNS8_6TensorESF_SF_EERKSF_lbbbEUlllE1_EE10hipError_tPvRmT2_T3_mT4_P12ihipStream_tbEUlT_E_NS1_11comp_targetILNS1_3genE4ELNS1_11target_archE910ELNS1_3gpuE8ELNS1_3repE0EEENS1_30default_config_static_selectorELNS0_4arch9wavefront6targetE1EEEvT1_
	.p2align	8
	.type	_ZN7rocprim17ROCPRIM_400000_NS6detail17trampoline_kernelINS0_14default_configENS1_35adjacent_difference_config_selectorILb0ElEEZNS1_24adjacent_difference_implIS3_Lb0ELb0EPlS7_ZN2at6native12_GLOBAL__N_124unique_dim_cuda_templateIN3c108BFloat16EEESt5tupleIJNS8_6TensorESF_SF_EERKSF_lbbbEUlllE1_EE10hipError_tPvRmT2_T3_mT4_P12ihipStream_tbEUlT_E_NS1_11comp_targetILNS1_3genE4ELNS1_11target_archE910ELNS1_3gpuE8ELNS1_3repE0EEENS1_30default_config_static_selectorELNS0_4arch9wavefront6targetE1EEEvT1_,@function
_ZN7rocprim17ROCPRIM_400000_NS6detail17trampoline_kernelINS0_14default_configENS1_35adjacent_difference_config_selectorILb0ElEEZNS1_24adjacent_difference_implIS3_Lb0ELb0EPlS7_ZN2at6native12_GLOBAL__N_124unique_dim_cuda_templateIN3c108BFloat16EEESt5tupleIJNS8_6TensorESF_SF_EERKSF_lbbbEUlllE1_EE10hipError_tPvRmT2_T3_mT4_P12ihipStream_tbEUlT_E_NS1_11comp_targetILNS1_3genE4ELNS1_11target_archE910ELNS1_3gpuE8ELNS1_3repE0EEENS1_30default_config_static_selectorELNS0_4arch9wavefront6targetE1EEEvT1_: ; @_ZN7rocprim17ROCPRIM_400000_NS6detail17trampoline_kernelINS0_14default_configENS1_35adjacent_difference_config_selectorILb0ElEEZNS1_24adjacent_difference_implIS3_Lb0ELb0EPlS7_ZN2at6native12_GLOBAL__N_124unique_dim_cuda_templateIN3c108BFloat16EEESt5tupleIJNS8_6TensorESF_SF_EERKSF_lbbbEUlllE1_EE10hipError_tPvRmT2_T3_mT4_P12ihipStream_tbEUlT_E_NS1_11comp_targetILNS1_3genE4ELNS1_11target_archE910ELNS1_3gpuE8ELNS1_3repE0EEENS1_30default_config_static_selectorELNS0_4arch9wavefront6targetE1EEEvT1_
; %bb.0:
	.section	.rodata,"a",@progbits
	.p2align	6, 0x0
	.amdhsa_kernel _ZN7rocprim17ROCPRIM_400000_NS6detail17trampoline_kernelINS0_14default_configENS1_35adjacent_difference_config_selectorILb0ElEEZNS1_24adjacent_difference_implIS3_Lb0ELb0EPlS7_ZN2at6native12_GLOBAL__N_124unique_dim_cuda_templateIN3c108BFloat16EEESt5tupleIJNS8_6TensorESF_SF_EERKSF_lbbbEUlllE1_EE10hipError_tPvRmT2_T3_mT4_P12ihipStream_tbEUlT_E_NS1_11comp_targetILNS1_3genE4ELNS1_11target_archE910ELNS1_3gpuE8ELNS1_3repE0EEENS1_30default_config_static_selectorELNS0_4arch9wavefront6targetE1EEEvT1_
		.amdhsa_group_segment_fixed_size 0
		.amdhsa_private_segment_fixed_size 0
		.amdhsa_kernarg_size 64
		.amdhsa_user_sgpr_count 2
		.amdhsa_user_sgpr_dispatch_ptr 0
		.amdhsa_user_sgpr_queue_ptr 0
		.amdhsa_user_sgpr_kernarg_segment_ptr 1
		.amdhsa_user_sgpr_dispatch_id 0
		.amdhsa_user_sgpr_kernarg_preload_length 0
		.amdhsa_user_sgpr_kernarg_preload_offset 0
		.amdhsa_user_sgpr_private_segment_size 0
		.amdhsa_uses_dynamic_stack 0
		.amdhsa_enable_private_segment 0
		.amdhsa_system_sgpr_workgroup_id_x 1
		.amdhsa_system_sgpr_workgroup_id_y 0
		.amdhsa_system_sgpr_workgroup_id_z 0
		.amdhsa_system_sgpr_workgroup_info 0
		.amdhsa_system_vgpr_workitem_id 0
		.amdhsa_next_free_vgpr 1
		.amdhsa_next_free_sgpr 0
		.amdhsa_accum_offset 4
		.amdhsa_reserve_vcc 0
		.amdhsa_float_round_mode_32 0
		.amdhsa_float_round_mode_16_64 0
		.amdhsa_float_denorm_mode_32 3
		.amdhsa_float_denorm_mode_16_64 3
		.amdhsa_dx10_clamp 1
		.amdhsa_ieee_mode 1
		.amdhsa_fp16_overflow 0
		.amdhsa_tg_split 0
		.amdhsa_exception_fp_ieee_invalid_op 0
		.amdhsa_exception_fp_denorm_src 0
		.amdhsa_exception_fp_ieee_div_zero 0
		.amdhsa_exception_fp_ieee_overflow 0
		.amdhsa_exception_fp_ieee_underflow 0
		.amdhsa_exception_fp_ieee_inexact 0
		.amdhsa_exception_int_div_zero 0
	.end_amdhsa_kernel
	.section	.text._ZN7rocprim17ROCPRIM_400000_NS6detail17trampoline_kernelINS0_14default_configENS1_35adjacent_difference_config_selectorILb0ElEEZNS1_24adjacent_difference_implIS3_Lb0ELb0EPlS7_ZN2at6native12_GLOBAL__N_124unique_dim_cuda_templateIN3c108BFloat16EEESt5tupleIJNS8_6TensorESF_SF_EERKSF_lbbbEUlllE1_EE10hipError_tPvRmT2_T3_mT4_P12ihipStream_tbEUlT_E_NS1_11comp_targetILNS1_3genE4ELNS1_11target_archE910ELNS1_3gpuE8ELNS1_3repE0EEENS1_30default_config_static_selectorELNS0_4arch9wavefront6targetE1EEEvT1_,"axG",@progbits,_ZN7rocprim17ROCPRIM_400000_NS6detail17trampoline_kernelINS0_14default_configENS1_35adjacent_difference_config_selectorILb0ElEEZNS1_24adjacent_difference_implIS3_Lb0ELb0EPlS7_ZN2at6native12_GLOBAL__N_124unique_dim_cuda_templateIN3c108BFloat16EEESt5tupleIJNS8_6TensorESF_SF_EERKSF_lbbbEUlllE1_EE10hipError_tPvRmT2_T3_mT4_P12ihipStream_tbEUlT_E_NS1_11comp_targetILNS1_3genE4ELNS1_11target_archE910ELNS1_3gpuE8ELNS1_3repE0EEENS1_30default_config_static_selectorELNS0_4arch9wavefront6targetE1EEEvT1_,comdat
.Lfunc_end1152:
	.size	_ZN7rocprim17ROCPRIM_400000_NS6detail17trampoline_kernelINS0_14default_configENS1_35adjacent_difference_config_selectorILb0ElEEZNS1_24adjacent_difference_implIS3_Lb0ELb0EPlS7_ZN2at6native12_GLOBAL__N_124unique_dim_cuda_templateIN3c108BFloat16EEESt5tupleIJNS8_6TensorESF_SF_EERKSF_lbbbEUlllE1_EE10hipError_tPvRmT2_T3_mT4_P12ihipStream_tbEUlT_E_NS1_11comp_targetILNS1_3genE4ELNS1_11target_archE910ELNS1_3gpuE8ELNS1_3repE0EEENS1_30default_config_static_selectorELNS0_4arch9wavefront6targetE1EEEvT1_, .Lfunc_end1152-_ZN7rocprim17ROCPRIM_400000_NS6detail17trampoline_kernelINS0_14default_configENS1_35adjacent_difference_config_selectorILb0ElEEZNS1_24adjacent_difference_implIS3_Lb0ELb0EPlS7_ZN2at6native12_GLOBAL__N_124unique_dim_cuda_templateIN3c108BFloat16EEESt5tupleIJNS8_6TensorESF_SF_EERKSF_lbbbEUlllE1_EE10hipError_tPvRmT2_T3_mT4_P12ihipStream_tbEUlT_E_NS1_11comp_targetILNS1_3genE4ELNS1_11target_archE910ELNS1_3gpuE8ELNS1_3repE0EEENS1_30default_config_static_selectorELNS0_4arch9wavefront6targetE1EEEvT1_
                                        ; -- End function
	.set _ZN7rocprim17ROCPRIM_400000_NS6detail17trampoline_kernelINS0_14default_configENS1_35adjacent_difference_config_selectorILb0ElEEZNS1_24adjacent_difference_implIS3_Lb0ELb0EPlS7_ZN2at6native12_GLOBAL__N_124unique_dim_cuda_templateIN3c108BFloat16EEESt5tupleIJNS8_6TensorESF_SF_EERKSF_lbbbEUlllE1_EE10hipError_tPvRmT2_T3_mT4_P12ihipStream_tbEUlT_E_NS1_11comp_targetILNS1_3genE4ELNS1_11target_archE910ELNS1_3gpuE8ELNS1_3repE0EEENS1_30default_config_static_selectorELNS0_4arch9wavefront6targetE1EEEvT1_.num_vgpr, 0
	.set _ZN7rocprim17ROCPRIM_400000_NS6detail17trampoline_kernelINS0_14default_configENS1_35adjacent_difference_config_selectorILb0ElEEZNS1_24adjacent_difference_implIS3_Lb0ELb0EPlS7_ZN2at6native12_GLOBAL__N_124unique_dim_cuda_templateIN3c108BFloat16EEESt5tupleIJNS8_6TensorESF_SF_EERKSF_lbbbEUlllE1_EE10hipError_tPvRmT2_T3_mT4_P12ihipStream_tbEUlT_E_NS1_11comp_targetILNS1_3genE4ELNS1_11target_archE910ELNS1_3gpuE8ELNS1_3repE0EEENS1_30default_config_static_selectorELNS0_4arch9wavefront6targetE1EEEvT1_.num_agpr, 0
	.set _ZN7rocprim17ROCPRIM_400000_NS6detail17trampoline_kernelINS0_14default_configENS1_35adjacent_difference_config_selectorILb0ElEEZNS1_24adjacent_difference_implIS3_Lb0ELb0EPlS7_ZN2at6native12_GLOBAL__N_124unique_dim_cuda_templateIN3c108BFloat16EEESt5tupleIJNS8_6TensorESF_SF_EERKSF_lbbbEUlllE1_EE10hipError_tPvRmT2_T3_mT4_P12ihipStream_tbEUlT_E_NS1_11comp_targetILNS1_3genE4ELNS1_11target_archE910ELNS1_3gpuE8ELNS1_3repE0EEENS1_30default_config_static_selectorELNS0_4arch9wavefront6targetE1EEEvT1_.numbered_sgpr, 0
	.set _ZN7rocprim17ROCPRIM_400000_NS6detail17trampoline_kernelINS0_14default_configENS1_35adjacent_difference_config_selectorILb0ElEEZNS1_24adjacent_difference_implIS3_Lb0ELb0EPlS7_ZN2at6native12_GLOBAL__N_124unique_dim_cuda_templateIN3c108BFloat16EEESt5tupleIJNS8_6TensorESF_SF_EERKSF_lbbbEUlllE1_EE10hipError_tPvRmT2_T3_mT4_P12ihipStream_tbEUlT_E_NS1_11comp_targetILNS1_3genE4ELNS1_11target_archE910ELNS1_3gpuE8ELNS1_3repE0EEENS1_30default_config_static_selectorELNS0_4arch9wavefront6targetE1EEEvT1_.num_named_barrier, 0
	.set _ZN7rocprim17ROCPRIM_400000_NS6detail17trampoline_kernelINS0_14default_configENS1_35adjacent_difference_config_selectorILb0ElEEZNS1_24adjacent_difference_implIS3_Lb0ELb0EPlS7_ZN2at6native12_GLOBAL__N_124unique_dim_cuda_templateIN3c108BFloat16EEESt5tupleIJNS8_6TensorESF_SF_EERKSF_lbbbEUlllE1_EE10hipError_tPvRmT2_T3_mT4_P12ihipStream_tbEUlT_E_NS1_11comp_targetILNS1_3genE4ELNS1_11target_archE910ELNS1_3gpuE8ELNS1_3repE0EEENS1_30default_config_static_selectorELNS0_4arch9wavefront6targetE1EEEvT1_.private_seg_size, 0
	.set _ZN7rocprim17ROCPRIM_400000_NS6detail17trampoline_kernelINS0_14default_configENS1_35adjacent_difference_config_selectorILb0ElEEZNS1_24adjacent_difference_implIS3_Lb0ELb0EPlS7_ZN2at6native12_GLOBAL__N_124unique_dim_cuda_templateIN3c108BFloat16EEESt5tupleIJNS8_6TensorESF_SF_EERKSF_lbbbEUlllE1_EE10hipError_tPvRmT2_T3_mT4_P12ihipStream_tbEUlT_E_NS1_11comp_targetILNS1_3genE4ELNS1_11target_archE910ELNS1_3gpuE8ELNS1_3repE0EEENS1_30default_config_static_selectorELNS0_4arch9wavefront6targetE1EEEvT1_.uses_vcc, 0
	.set _ZN7rocprim17ROCPRIM_400000_NS6detail17trampoline_kernelINS0_14default_configENS1_35adjacent_difference_config_selectorILb0ElEEZNS1_24adjacent_difference_implIS3_Lb0ELb0EPlS7_ZN2at6native12_GLOBAL__N_124unique_dim_cuda_templateIN3c108BFloat16EEESt5tupleIJNS8_6TensorESF_SF_EERKSF_lbbbEUlllE1_EE10hipError_tPvRmT2_T3_mT4_P12ihipStream_tbEUlT_E_NS1_11comp_targetILNS1_3genE4ELNS1_11target_archE910ELNS1_3gpuE8ELNS1_3repE0EEENS1_30default_config_static_selectorELNS0_4arch9wavefront6targetE1EEEvT1_.uses_flat_scratch, 0
	.set _ZN7rocprim17ROCPRIM_400000_NS6detail17trampoline_kernelINS0_14default_configENS1_35adjacent_difference_config_selectorILb0ElEEZNS1_24adjacent_difference_implIS3_Lb0ELb0EPlS7_ZN2at6native12_GLOBAL__N_124unique_dim_cuda_templateIN3c108BFloat16EEESt5tupleIJNS8_6TensorESF_SF_EERKSF_lbbbEUlllE1_EE10hipError_tPvRmT2_T3_mT4_P12ihipStream_tbEUlT_E_NS1_11comp_targetILNS1_3genE4ELNS1_11target_archE910ELNS1_3gpuE8ELNS1_3repE0EEENS1_30default_config_static_selectorELNS0_4arch9wavefront6targetE1EEEvT1_.has_dyn_sized_stack, 0
	.set _ZN7rocprim17ROCPRIM_400000_NS6detail17trampoline_kernelINS0_14default_configENS1_35adjacent_difference_config_selectorILb0ElEEZNS1_24adjacent_difference_implIS3_Lb0ELb0EPlS7_ZN2at6native12_GLOBAL__N_124unique_dim_cuda_templateIN3c108BFloat16EEESt5tupleIJNS8_6TensorESF_SF_EERKSF_lbbbEUlllE1_EE10hipError_tPvRmT2_T3_mT4_P12ihipStream_tbEUlT_E_NS1_11comp_targetILNS1_3genE4ELNS1_11target_archE910ELNS1_3gpuE8ELNS1_3repE0EEENS1_30default_config_static_selectorELNS0_4arch9wavefront6targetE1EEEvT1_.has_recursion, 0
	.set _ZN7rocprim17ROCPRIM_400000_NS6detail17trampoline_kernelINS0_14default_configENS1_35adjacent_difference_config_selectorILb0ElEEZNS1_24adjacent_difference_implIS3_Lb0ELb0EPlS7_ZN2at6native12_GLOBAL__N_124unique_dim_cuda_templateIN3c108BFloat16EEESt5tupleIJNS8_6TensorESF_SF_EERKSF_lbbbEUlllE1_EE10hipError_tPvRmT2_T3_mT4_P12ihipStream_tbEUlT_E_NS1_11comp_targetILNS1_3genE4ELNS1_11target_archE910ELNS1_3gpuE8ELNS1_3repE0EEENS1_30default_config_static_selectorELNS0_4arch9wavefront6targetE1EEEvT1_.has_indirect_call, 0
	.section	.AMDGPU.csdata,"",@progbits
; Kernel info:
; codeLenInByte = 0
; TotalNumSgprs: 6
; NumVgprs: 0
; NumAgprs: 0
; TotalNumVgprs: 0
; ScratchSize: 0
; MemoryBound: 0
; FloatMode: 240
; IeeeMode: 1
; LDSByteSize: 0 bytes/workgroup (compile time only)
; SGPRBlocks: 0
; VGPRBlocks: 0
; NumSGPRsForWavesPerEU: 6
; NumVGPRsForWavesPerEU: 1
; AccumOffset: 4
; Occupancy: 8
; WaveLimiterHint : 0
; COMPUTE_PGM_RSRC2:SCRATCH_EN: 0
; COMPUTE_PGM_RSRC2:USER_SGPR: 2
; COMPUTE_PGM_RSRC2:TRAP_HANDLER: 0
; COMPUTE_PGM_RSRC2:TGID_X_EN: 1
; COMPUTE_PGM_RSRC2:TGID_Y_EN: 0
; COMPUTE_PGM_RSRC2:TGID_Z_EN: 0
; COMPUTE_PGM_RSRC2:TIDIG_COMP_CNT: 0
; COMPUTE_PGM_RSRC3_GFX90A:ACCUM_OFFSET: 0
; COMPUTE_PGM_RSRC3_GFX90A:TG_SPLIT: 0
	.section	.text._ZN7rocprim17ROCPRIM_400000_NS6detail17trampoline_kernelINS0_14default_configENS1_35adjacent_difference_config_selectorILb0ElEEZNS1_24adjacent_difference_implIS3_Lb0ELb0EPlS7_ZN2at6native12_GLOBAL__N_124unique_dim_cuda_templateIN3c108BFloat16EEESt5tupleIJNS8_6TensorESF_SF_EERKSF_lbbbEUlllE1_EE10hipError_tPvRmT2_T3_mT4_P12ihipStream_tbEUlT_E_NS1_11comp_targetILNS1_3genE3ELNS1_11target_archE908ELNS1_3gpuE7ELNS1_3repE0EEENS1_30default_config_static_selectorELNS0_4arch9wavefront6targetE1EEEvT1_,"axG",@progbits,_ZN7rocprim17ROCPRIM_400000_NS6detail17trampoline_kernelINS0_14default_configENS1_35adjacent_difference_config_selectorILb0ElEEZNS1_24adjacent_difference_implIS3_Lb0ELb0EPlS7_ZN2at6native12_GLOBAL__N_124unique_dim_cuda_templateIN3c108BFloat16EEESt5tupleIJNS8_6TensorESF_SF_EERKSF_lbbbEUlllE1_EE10hipError_tPvRmT2_T3_mT4_P12ihipStream_tbEUlT_E_NS1_11comp_targetILNS1_3genE3ELNS1_11target_archE908ELNS1_3gpuE7ELNS1_3repE0EEENS1_30default_config_static_selectorELNS0_4arch9wavefront6targetE1EEEvT1_,comdat
	.globl	_ZN7rocprim17ROCPRIM_400000_NS6detail17trampoline_kernelINS0_14default_configENS1_35adjacent_difference_config_selectorILb0ElEEZNS1_24adjacent_difference_implIS3_Lb0ELb0EPlS7_ZN2at6native12_GLOBAL__N_124unique_dim_cuda_templateIN3c108BFloat16EEESt5tupleIJNS8_6TensorESF_SF_EERKSF_lbbbEUlllE1_EE10hipError_tPvRmT2_T3_mT4_P12ihipStream_tbEUlT_E_NS1_11comp_targetILNS1_3genE3ELNS1_11target_archE908ELNS1_3gpuE7ELNS1_3repE0EEENS1_30default_config_static_selectorELNS0_4arch9wavefront6targetE1EEEvT1_ ; -- Begin function _ZN7rocprim17ROCPRIM_400000_NS6detail17trampoline_kernelINS0_14default_configENS1_35adjacent_difference_config_selectorILb0ElEEZNS1_24adjacent_difference_implIS3_Lb0ELb0EPlS7_ZN2at6native12_GLOBAL__N_124unique_dim_cuda_templateIN3c108BFloat16EEESt5tupleIJNS8_6TensorESF_SF_EERKSF_lbbbEUlllE1_EE10hipError_tPvRmT2_T3_mT4_P12ihipStream_tbEUlT_E_NS1_11comp_targetILNS1_3genE3ELNS1_11target_archE908ELNS1_3gpuE7ELNS1_3repE0EEENS1_30default_config_static_selectorELNS0_4arch9wavefront6targetE1EEEvT1_
	.p2align	8
	.type	_ZN7rocprim17ROCPRIM_400000_NS6detail17trampoline_kernelINS0_14default_configENS1_35adjacent_difference_config_selectorILb0ElEEZNS1_24adjacent_difference_implIS3_Lb0ELb0EPlS7_ZN2at6native12_GLOBAL__N_124unique_dim_cuda_templateIN3c108BFloat16EEESt5tupleIJNS8_6TensorESF_SF_EERKSF_lbbbEUlllE1_EE10hipError_tPvRmT2_T3_mT4_P12ihipStream_tbEUlT_E_NS1_11comp_targetILNS1_3genE3ELNS1_11target_archE908ELNS1_3gpuE7ELNS1_3repE0EEENS1_30default_config_static_selectorELNS0_4arch9wavefront6targetE1EEEvT1_,@function
_ZN7rocprim17ROCPRIM_400000_NS6detail17trampoline_kernelINS0_14default_configENS1_35adjacent_difference_config_selectorILb0ElEEZNS1_24adjacent_difference_implIS3_Lb0ELb0EPlS7_ZN2at6native12_GLOBAL__N_124unique_dim_cuda_templateIN3c108BFloat16EEESt5tupleIJNS8_6TensorESF_SF_EERKSF_lbbbEUlllE1_EE10hipError_tPvRmT2_T3_mT4_P12ihipStream_tbEUlT_E_NS1_11comp_targetILNS1_3genE3ELNS1_11target_archE908ELNS1_3gpuE7ELNS1_3repE0EEENS1_30default_config_static_selectorELNS0_4arch9wavefront6targetE1EEEvT1_: ; @_ZN7rocprim17ROCPRIM_400000_NS6detail17trampoline_kernelINS0_14default_configENS1_35adjacent_difference_config_selectorILb0ElEEZNS1_24adjacent_difference_implIS3_Lb0ELb0EPlS7_ZN2at6native12_GLOBAL__N_124unique_dim_cuda_templateIN3c108BFloat16EEESt5tupleIJNS8_6TensorESF_SF_EERKSF_lbbbEUlllE1_EE10hipError_tPvRmT2_T3_mT4_P12ihipStream_tbEUlT_E_NS1_11comp_targetILNS1_3genE3ELNS1_11target_archE908ELNS1_3gpuE7ELNS1_3repE0EEENS1_30default_config_static_selectorELNS0_4arch9wavefront6targetE1EEEvT1_
; %bb.0:
	.section	.rodata,"a",@progbits
	.p2align	6, 0x0
	.amdhsa_kernel _ZN7rocprim17ROCPRIM_400000_NS6detail17trampoline_kernelINS0_14default_configENS1_35adjacent_difference_config_selectorILb0ElEEZNS1_24adjacent_difference_implIS3_Lb0ELb0EPlS7_ZN2at6native12_GLOBAL__N_124unique_dim_cuda_templateIN3c108BFloat16EEESt5tupleIJNS8_6TensorESF_SF_EERKSF_lbbbEUlllE1_EE10hipError_tPvRmT2_T3_mT4_P12ihipStream_tbEUlT_E_NS1_11comp_targetILNS1_3genE3ELNS1_11target_archE908ELNS1_3gpuE7ELNS1_3repE0EEENS1_30default_config_static_selectorELNS0_4arch9wavefront6targetE1EEEvT1_
		.amdhsa_group_segment_fixed_size 0
		.amdhsa_private_segment_fixed_size 0
		.amdhsa_kernarg_size 64
		.amdhsa_user_sgpr_count 2
		.amdhsa_user_sgpr_dispatch_ptr 0
		.amdhsa_user_sgpr_queue_ptr 0
		.amdhsa_user_sgpr_kernarg_segment_ptr 1
		.amdhsa_user_sgpr_dispatch_id 0
		.amdhsa_user_sgpr_kernarg_preload_length 0
		.amdhsa_user_sgpr_kernarg_preload_offset 0
		.amdhsa_user_sgpr_private_segment_size 0
		.amdhsa_uses_dynamic_stack 0
		.amdhsa_enable_private_segment 0
		.amdhsa_system_sgpr_workgroup_id_x 1
		.amdhsa_system_sgpr_workgroup_id_y 0
		.amdhsa_system_sgpr_workgroup_id_z 0
		.amdhsa_system_sgpr_workgroup_info 0
		.amdhsa_system_vgpr_workitem_id 0
		.amdhsa_next_free_vgpr 1
		.amdhsa_next_free_sgpr 0
		.amdhsa_accum_offset 4
		.amdhsa_reserve_vcc 0
		.amdhsa_float_round_mode_32 0
		.amdhsa_float_round_mode_16_64 0
		.amdhsa_float_denorm_mode_32 3
		.amdhsa_float_denorm_mode_16_64 3
		.amdhsa_dx10_clamp 1
		.amdhsa_ieee_mode 1
		.amdhsa_fp16_overflow 0
		.amdhsa_tg_split 0
		.amdhsa_exception_fp_ieee_invalid_op 0
		.amdhsa_exception_fp_denorm_src 0
		.amdhsa_exception_fp_ieee_div_zero 0
		.amdhsa_exception_fp_ieee_overflow 0
		.amdhsa_exception_fp_ieee_underflow 0
		.amdhsa_exception_fp_ieee_inexact 0
		.amdhsa_exception_int_div_zero 0
	.end_amdhsa_kernel
	.section	.text._ZN7rocprim17ROCPRIM_400000_NS6detail17trampoline_kernelINS0_14default_configENS1_35adjacent_difference_config_selectorILb0ElEEZNS1_24adjacent_difference_implIS3_Lb0ELb0EPlS7_ZN2at6native12_GLOBAL__N_124unique_dim_cuda_templateIN3c108BFloat16EEESt5tupleIJNS8_6TensorESF_SF_EERKSF_lbbbEUlllE1_EE10hipError_tPvRmT2_T3_mT4_P12ihipStream_tbEUlT_E_NS1_11comp_targetILNS1_3genE3ELNS1_11target_archE908ELNS1_3gpuE7ELNS1_3repE0EEENS1_30default_config_static_selectorELNS0_4arch9wavefront6targetE1EEEvT1_,"axG",@progbits,_ZN7rocprim17ROCPRIM_400000_NS6detail17trampoline_kernelINS0_14default_configENS1_35adjacent_difference_config_selectorILb0ElEEZNS1_24adjacent_difference_implIS3_Lb0ELb0EPlS7_ZN2at6native12_GLOBAL__N_124unique_dim_cuda_templateIN3c108BFloat16EEESt5tupleIJNS8_6TensorESF_SF_EERKSF_lbbbEUlllE1_EE10hipError_tPvRmT2_T3_mT4_P12ihipStream_tbEUlT_E_NS1_11comp_targetILNS1_3genE3ELNS1_11target_archE908ELNS1_3gpuE7ELNS1_3repE0EEENS1_30default_config_static_selectorELNS0_4arch9wavefront6targetE1EEEvT1_,comdat
.Lfunc_end1153:
	.size	_ZN7rocprim17ROCPRIM_400000_NS6detail17trampoline_kernelINS0_14default_configENS1_35adjacent_difference_config_selectorILb0ElEEZNS1_24adjacent_difference_implIS3_Lb0ELb0EPlS7_ZN2at6native12_GLOBAL__N_124unique_dim_cuda_templateIN3c108BFloat16EEESt5tupleIJNS8_6TensorESF_SF_EERKSF_lbbbEUlllE1_EE10hipError_tPvRmT2_T3_mT4_P12ihipStream_tbEUlT_E_NS1_11comp_targetILNS1_3genE3ELNS1_11target_archE908ELNS1_3gpuE7ELNS1_3repE0EEENS1_30default_config_static_selectorELNS0_4arch9wavefront6targetE1EEEvT1_, .Lfunc_end1153-_ZN7rocprim17ROCPRIM_400000_NS6detail17trampoline_kernelINS0_14default_configENS1_35adjacent_difference_config_selectorILb0ElEEZNS1_24adjacent_difference_implIS3_Lb0ELb0EPlS7_ZN2at6native12_GLOBAL__N_124unique_dim_cuda_templateIN3c108BFloat16EEESt5tupleIJNS8_6TensorESF_SF_EERKSF_lbbbEUlllE1_EE10hipError_tPvRmT2_T3_mT4_P12ihipStream_tbEUlT_E_NS1_11comp_targetILNS1_3genE3ELNS1_11target_archE908ELNS1_3gpuE7ELNS1_3repE0EEENS1_30default_config_static_selectorELNS0_4arch9wavefront6targetE1EEEvT1_
                                        ; -- End function
	.set _ZN7rocprim17ROCPRIM_400000_NS6detail17trampoline_kernelINS0_14default_configENS1_35adjacent_difference_config_selectorILb0ElEEZNS1_24adjacent_difference_implIS3_Lb0ELb0EPlS7_ZN2at6native12_GLOBAL__N_124unique_dim_cuda_templateIN3c108BFloat16EEESt5tupleIJNS8_6TensorESF_SF_EERKSF_lbbbEUlllE1_EE10hipError_tPvRmT2_T3_mT4_P12ihipStream_tbEUlT_E_NS1_11comp_targetILNS1_3genE3ELNS1_11target_archE908ELNS1_3gpuE7ELNS1_3repE0EEENS1_30default_config_static_selectorELNS0_4arch9wavefront6targetE1EEEvT1_.num_vgpr, 0
	.set _ZN7rocprim17ROCPRIM_400000_NS6detail17trampoline_kernelINS0_14default_configENS1_35adjacent_difference_config_selectorILb0ElEEZNS1_24adjacent_difference_implIS3_Lb0ELb0EPlS7_ZN2at6native12_GLOBAL__N_124unique_dim_cuda_templateIN3c108BFloat16EEESt5tupleIJNS8_6TensorESF_SF_EERKSF_lbbbEUlllE1_EE10hipError_tPvRmT2_T3_mT4_P12ihipStream_tbEUlT_E_NS1_11comp_targetILNS1_3genE3ELNS1_11target_archE908ELNS1_3gpuE7ELNS1_3repE0EEENS1_30default_config_static_selectorELNS0_4arch9wavefront6targetE1EEEvT1_.num_agpr, 0
	.set _ZN7rocprim17ROCPRIM_400000_NS6detail17trampoline_kernelINS0_14default_configENS1_35adjacent_difference_config_selectorILb0ElEEZNS1_24adjacent_difference_implIS3_Lb0ELb0EPlS7_ZN2at6native12_GLOBAL__N_124unique_dim_cuda_templateIN3c108BFloat16EEESt5tupleIJNS8_6TensorESF_SF_EERKSF_lbbbEUlllE1_EE10hipError_tPvRmT2_T3_mT4_P12ihipStream_tbEUlT_E_NS1_11comp_targetILNS1_3genE3ELNS1_11target_archE908ELNS1_3gpuE7ELNS1_3repE0EEENS1_30default_config_static_selectorELNS0_4arch9wavefront6targetE1EEEvT1_.numbered_sgpr, 0
	.set _ZN7rocprim17ROCPRIM_400000_NS6detail17trampoline_kernelINS0_14default_configENS1_35adjacent_difference_config_selectorILb0ElEEZNS1_24adjacent_difference_implIS3_Lb0ELb0EPlS7_ZN2at6native12_GLOBAL__N_124unique_dim_cuda_templateIN3c108BFloat16EEESt5tupleIJNS8_6TensorESF_SF_EERKSF_lbbbEUlllE1_EE10hipError_tPvRmT2_T3_mT4_P12ihipStream_tbEUlT_E_NS1_11comp_targetILNS1_3genE3ELNS1_11target_archE908ELNS1_3gpuE7ELNS1_3repE0EEENS1_30default_config_static_selectorELNS0_4arch9wavefront6targetE1EEEvT1_.num_named_barrier, 0
	.set _ZN7rocprim17ROCPRIM_400000_NS6detail17trampoline_kernelINS0_14default_configENS1_35adjacent_difference_config_selectorILb0ElEEZNS1_24adjacent_difference_implIS3_Lb0ELb0EPlS7_ZN2at6native12_GLOBAL__N_124unique_dim_cuda_templateIN3c108BFloat16EEESt5tupleIJNS8_6TensorESF_SF_EERKSF_lbbbEUlllE1_EE10hipError_tPvRmT2_T3_mT4_P12ihipStream_tbEUlT_E_NS1_11comp_targetILNS1_3genE3ELNS1_11target_archE908ELNS1_3gpuE7ELNS1_3repE0EEENS1_30default_config_static_selectorELNS0_4arch9wavefront6targetE1EEEvT1_.private_seg_size, 0
	.set _ZN7rocprim17ROCPRIM_400000_NS6detail17trampoline_kernelINS0_14default_configENS1_35adjacent_difference_config_selectorILb0ElEEZNS1_24adjacent_difference_implIS3_Lb0ELb0EPlS7_ZN2at6native12_GLOBAL__N_124unique_dim_cuda_templateIN3c108BFloat16EEESt5tupleIJNS8_6TensorESF_SF_EERKSF_lbbbEUlllE1_EE10hipError_tPvRmT2_T3_mT4_P12ihipStream_tbEUlT_E_NS1_11comp_targetILNS1_3genE3ELNS1_11target_archE908ELNS1_3gpuE7ELNS1_3repE0EEENS1_30default_config_static_selectorELNS0_4arch9wavefront6targetE1EEEvT1_.uses_vcc, 0
	.set _ZN7rocprim17ROCPRIM_400000_NS6detail17trampoline_kernelINS0_14default_configENS1_35adjacent_difference_config_selectorILb0ElEEZNS1_24adjacent_difference_implIS3_Lb0ELb0EPlS7_ZN2at6native12_GLOBAL__N_124unique_dim_cuda_templateIN3c108BFloat16EEESt5tupleIJNS8_6TensorESF_SF_EERKSF_lbbbEUlllE1_EE10hipError_tPvRmT2_T3_mT4_P12ihipStream_tbEUlT_E_NS1_11comp_targetILNS1_3genE3ELNS1_11target_archE908ELNS1_3gpuE7ELNS1_3repE0EEENS1_30default_config_static_selectorELNS0_4arch9wavefront6targetE1EEEvT1_.uses_flat_scratch, 0
	.set _ZN7rocprim17ROCPRIM_400000_NS6detail17trampoline_kernelINS0_14default_configENS1_35adjacent_difference_config_selectorILb0ElEEZNS1_24adjacent_difference_implIS3_Lb0ELb0EPlS7_ZN2at6native12_GLOBAL__N_124unique_dim_cuda_templateIN3c108BFloat16EEESt5tupleIJNS8_6TensorESF_SF_EERKSF_lbbbEUlllE1_EE10hipError_tPvRmT2_T3_mT4_P12ihipStream_tbEUlT_E_NS1_11comp_targetILNS1_3genE3ELNS1_11target_archE908ELNS1_3gpuE7ELNS1_3repE0EEENS1_30default_config_static_selectorELNS0_4arch9wavefront6targetE1EEEvT1_.has_dyn_sized_stack, 0
	.set _ZN7rocprim17ROCPRIM_400000_NS6detail17trampoline_kernelINS0_14default_configENS1_35adjacent_difference_config_selectorILb0ElEEZNS1_24adjacent_difference_implIS3_Lb0ELb0EPlS7_ZN2at6native12_GLOBAL__N_124unique_dim_cuda_templateIN3c108BFloat16EEESt5tupleIJNS8_6TensorESF_SF_EERKSF_lbbbEUlllE1_EE10hipError_tPvRmT2_T3_mT4_P12ihipStream_tbEUlT_E_NS1_11comp_targetILNS1_3genE3ELNS1_11target_archE908ELNS1_3gpuE7ELNS1_3repE0EEENS1_30default_config_static_selectorELNS0_4arch9wavefront6targetE1EEEvT1_.has_recursion, 0
	.set _ZN7rocprim17ROCPRIM_400000_NS6detail17trampoline_kernelINS0_14default_configENS1_35adjacent_difference_config_selectorILb0ElEEZNS1_24adjacent_difference_implIS3_Lb0ELb0EPlS7_ZN2at6native12_GLOBAL__N_124unique_dim_cuda_templateIN3c108BFloat16EEESt5tupleIJNS8_6TensorESF_SF_EERKSF_lbbbEUlllE1_EE10hipError_tPvRmT2_T3_mT4_P12ihipStream_tbEUlT_E_NS1_11comp_targetILNS1_3genE3ELNS1_11target_archE908ELNS1_3gpuE7ELNS1_3repE0EEENS1_30default_config_static_selectorELNS0_4arch9wavefront6targetE1EEEvT1_.has_indirect_call, 0
	.section	.AMDGPU.csdata,"",@progbits
; Kernel info:
; codeLenInByte = 0
; TotalNumSgprs: 6
; NumVgprs: 0
; NumAgprs: 0
; TotalNumVgprs: 0
; ScratchSize: 0
; MemoryBound: 0
; FloatMode: 240
; IeeeMode: 1
; LDSByteSize: 0 bytes/workgroup (compile time only)
; SGPRBlocks: 0
; VGPRBlocks: 0
; NumSGPRsForWavesPerEU: 6
; NumVGPRsForWavesPerEU: 1
; AccumOffset: 4
; Occupancy: 8
; WaveLimiterHint : 0
; COMPUTE_PGM_RSRC2:SCRATCH_EN: 0
; COMPUTE_PGM_RSRC2:USER_SGPR: 2
; COMPUTE_PGM_RSRC2:TRAP_HANDLER: 0
; COMPUTE_PGM_RSRC2:TGID_X_EN: 1
; COMPUTE_PGM_RSRC2:TGID_Y_EN: 0
; COMPUTE_PGM_RSRC2:TGID_Z_EN: 0
; COMPUTE_PGM_RSRC2:TIDIG_COMP_CNT: 0
; COMPUTE_PGM_RSRC3_GFX90A:ACCUM_OFFSET: 0
; COMPUTE_PGM_RSRC3_GFX90A:TG_SPLIT: 0
	.section	.text._ZN7rocprim17ROCPRIM_400000_NS6detail17trampoline_kernelINS0_14default_configENS1_35adjacent_difference_config_selectorILb0ElEEZNS1_24adjacent_difference_implIS3_Lb0ELb0EPlS7_ZN2at6native12_GLOBAL__N_124unique_dim_cuda_templateIN3c108BFloat16EEESt5tupleIJNS8_6TensorESF_SF_EERKSF_lbbbEUlllE1_EE10hipError_tPvRmT2_T3_mT4_P12ihipStream_tbEUlT_E_NS1_11comp_targetILNS1_3genE2ELNS1_11target_archE906ELNS1_3gpuE6ELNS1_3repE0EEENS1_30default_config_static_selectorELNS0_4arch9wavefront6targetE1EEEvT1_,"axG",@progbits,_ZN7rocprim17ROCPRIM_400000_NS6detail17trampoline_kernelINS0_14default_configENS1_35adjacent_difference_config_selectorILb0ElEEZNS1_24adjacent_difference_implIS3_Lb0ELb0EPlS7_ZN2at6native12_GLOBAL__N_124unique_dim_cuda_templateIN3c108BFloat16EEESt5tupleIJNS8_6TensorESF_SF_EERKSF_lbbbEUlllE1_EE10hipError_tPvRmT2_T3_mT4_P12ihipStream_tbEUlT_E_NS1_11comp_targetILNS1_3genE2ELNS1_11target_archE906ELNS1_3gpuE6ELNS1_3repE0EEENS1_30default_config_static_selectorELNS0_4arch9wavefront6targetE1EEEvT1_,comdat
	.globl	_ZN7rocprim17ROCPRIM_400000_NS6detail17trampoline_kernelINS0_14default_configENS1_35adjacent_difference_config_selectorILb0ElEEZNS1_24adjacent_difference_implIS3_Lb0ELb0EPlS7_ZN2at6native12_GLOBAL__N_124unique_dim_cuda_templateIN3c108BFloat16EEESt5tupleIJNS8_6TensorESF_SF_EERKSF_lbbbEUlllE1_EE10hipError_tPvRmT2_T3_mT4_P12ihipStream_tbEUlT_E_NS1_11comp_targetILNS1_3genE2ELNS1_11target_archE906ELNS1_3gpuE6ELNS1_3repE0EEENS1_30default_config_static_selectorELNS0_4arch9wavefront6targetE1EEEvT1_ ; -- Begin function _ZN7rocprim17ROCPRIM_400000_NS6detail17trampoline_kernelINS0_14default_configENS1_35adjacent_difference_config_selectorILb0ElEEZNS1_24adjacent_difference_implIS3_Lb0ELb0EPlS7_ZN2at6native12_GLOBAL__N_124unique_dim_cuda_templateIN3c108BFloat16EEESt5tupleIJNS8_6TensorESF_SF_EERKSF_lbbbEUlllE1_EE10hipError_tPvRmT2_T3_mT4_P12ihipStream_tbEUlT_E_NS1_11comp_targetILNS1_3genE2ELNS1_11target_archE906ELNS1_3gpuE6ELNS1_3repE0EEENS1_30default_config_static_selectorELNS0_4arch9wavefront6targetE1EEEvT1_
	.p2align	8
	.type	_ZN7rocprim17ROCPRIM_400000_NS6detail17trampoline_kernelINS0_14default_configENS1_35adjacent_difference_config_selectorILb0ElEEZNS1_24adjacent_difference_implIS3_Lb0ELb0EPlS7_ZN2at6native12_GLOBAL__N_124unique_dim_cuda_templateIN3c108BFloat16EEESt5tupleIJNS8_6TensorESF_SF_EERKSF_lbbbEUlllE1_EE10hipError_tPvRmT2_T3_mT4_P12ihipStream_tbEUlT_E_NS1_11comp_targetILNS1_3genE2ELNS1_11target_archE906ELNS1_3gpuE6ELNS1_3repE0EEENS1_30default_config_static_selectorELNS0_4arch9wavefront6targetE1EEEvT1_,@function
_ZN7rocprim17ROCPRIM_400000_NS6detail17trampoline_kernelINS0_14default_configENS1_35adjacent_difference_config_selectorILb0ElEEZNS1_24adjacent_difference_implIS3_Lb0ELb0EPlS7_ZN2at6native12_GLOBAL__N_124unique_dim_cuda_templateIN3c108BFloat16EEESt5tupleIJNS8_6TensorESF_SF_EERKSF_lbbbEUlllE1_EE10hipError_tPvRmT2_T3_mT4_P12ihipStream_tbEUlT_E_NS1_11comp_targetILNS1_3genE2ELNS1_11target_archE906ELNS1_3gpuE6ELNS1_3repE0EEENS1_30default_config_static_selectorELNS0_4arch9wavefront6targetE1EEEvT1_: ; @_ZN7rocprim17ROCPRIM_400000_NS6detail17trampoline_kernelINS0_14default_configENS1_35adjacent_difference_config_selectorILb0ElEEZNS1_24adjacent_difference_implIS3_Lb0ELb0EPlS7_ZN2at6native12_GLOBAL__N_124unique_dim_cuda_templateIN3c108BFloat16EEESt5tupleIJNS8_6TensorESF_SF_EERKSF_lbbbEUlllE1_EE10hipError_tPvRmT2_T3_mT4_P12ihipStream_tbEUlT_E_NS1_11comp_targetILNS1_3genE2ELNS1_11target_archE906ELNS1_3gpuE6ELNS1_3repE0EEENS1_30default_config_static_selectorELNS0_4arch9wavefront6targetE1EEEvT1_
; %bb.0:
	.section	.rodata,"a",@progbits
	.p2align	6, 0x0
	.amdhsa_kernel _ZN7rocprim17ROCPRIM_400000_NS6detail17trampoline_kernelINS0_14default_configENS1_35adjacent_difference_config_selectorILb0ElEEZNS1_24adjacent_difference_implIS3_Lb0ELb0EPlS7_ZN2at6native12_GLOBAL__N_124unique_dim_cuda_templateIN3c108BFloat16EEESt5tupleIJNS8_6TensorESF_SF_EERKSF_lbbbEUlllE1_EE10hipError_tPvRmT2_T3_mT4_P12ihipStream_tbEUlT_E_NS1_11comp_targetILNS1_3genE2ELNS1_11target_archE906ELNS1_3gpuE6ELNS1_3repE0EEENS1_30default_config_static_selectorELNS0_4arch9wavefront6targetE1EEEvT1_
		.amdhsa_group_segment_fixed_size 0
		.amdhsa_private_segment_fixed_size 0
		.amdhsa_kernarg_size 64
		.amdhsa_user_sgpr_count 2
		.amdhsa_user_sgpr_dispatch_ptr 0
		.amdhsa_user_sgpr_queue_ptr 0
		.amdhsa_user_sgpr_kernarg_segment_ptr 1
		.amdhsa_user_sgpr_dispatch_id 0
		.amdhsa_user_sgpr_kernarg_preload_length 0
		.amdhsa_user_sgpr_kernarg_preload_offset 0
		.amdhsa_user_sgpr_private_segment_size 0
		.amdhsa_uses_dynamic_stack 0
		.amdhsa_enable_private_segment 0
		.amdhsa_system_sgpr_workgroup_id_x 1
		.amdhsa_system_sgpr_workgroup_id_y 0
		.amdhsa_system_sgpr_workgroup_id_z 0
		.amdhsa_system_sgpr_workgroup_info 0
		.amdhsa_system_vgpr_workitem_id 0
		.amdhsa_next_free_vgpr 1
		.amdhsa_next_free_sgpr 0
		.amdhsa_accum_offset 4
		.amdhsa_reserve_vcc 0
		.amdhsa_float_round_mode_32 0
		.amdhsa_float_round_mode_16_64 0
		.amdhsa_float_denorm_mode_32 3
		.amdhsa_float_denorm_mode_16_64 3
		.amdhsa_dx10_clamp 1
		.amdhsa_ieee_mode 1
		.amdhsa_fp16_overflow 0
		.amdhsa_tg_split 0
		.amdhsa_exception_fp_ieee_invalid_op 0
		.amdhsa_exception_fp_denorm_src 0
		.amdhsa_exception_fp_ieee_div_zero 0
		.amdhsa_exception_fp_ieee_overflow 0
		.amdhsa_exception_fp_ieee_underflow 0
		.amdhsa_exception_fp_ieee_inexact 0
		.amdhsa_exception_int_div_zero 0
	.end_amdhsa_kernel
	.section	.text._ZN7rocprim17ROCPRIM_400000_NS6detail17trampoline_kernelINS0_14default_configENS1_35adjacent_difference_config_selectorILb0ElEEZNS1_24adjacent_difference_implIS3_Lb0ELb0EPlS7_ZN2at6native12_GLOBAL__N_124unique_dim_cuda_templateIN3c108BFloat16EEESt5tupleIJNS8_6TensorESF_SF_EERKSF_lbbbEUlllE1_EE10hipError_tPvRmT2_T3_mT4_P12ihipStream_tbEUlT_E_NS1_11comp_targetILNS1_3genE2ELNS1_11target_archE906ELNS1_3gpuE6ELNS1_3repE0EEENS1_30default_config_static_selectorELNS0_4arch9wavefront6targetE1EEEvT1_,"axG",@progbits,_ZN7rocprim17ROCPRIM_400000_NS6detail17trampoline_kernelINS0_14default_configENS1_35adjacent_difference_config_selectorILb0ElEEZNS1_24adjacent_difference_implIS3_Lb0ELb0EPlS7_ZN2at6native12_GLOBAL__N_124unique_dim_cuda_templateIN3c108BFloat16EEESt5tupleIJNS8_6TensorESF_SF_EERKSF_lbbbEUlllE1_EE10hipError_tPvRmT2_T3_mT4_P12ihipStream_tbEUlT_E_NS1_11comp_targetILNS1_3genE2ELNS1_11target_archE906ELNS1_3gpuE6ELNS1_3repE0EEENS1_30default_config_static_selectorELNS0_4arch9wavefront6targetE1EEEvT1_,comdat
.Lfunc_end1154:
	.size	_ZN7rocprim17ROCPRIM_400000_NS6detail17trampoline_kernelINS0_14default_configENS1_35adjacent_difference_config_selectorILb0ElEEZNS1_24adjacent_difference_implIS3_Lb0ELb0EPlS7_ZN2at6native12_GLOBAL__N_124unique_dim_cuda_templateIN3c108BFloat16EEESt5tupleIJNS8_6TensorESF_SF_EERKSF_lbbbEUlllE1_EE10hipError_tPvRmT2_T3_mT4_P12ihipStream_tbEUlT_E_NS1_11comp_targetILNS1_3genE2ELNS1_11target_archE906ELNS1_3gpuE6ELNS1_3repE0EEENS1_30default_config_static_selectorELNS0_4arch9wavefront6targetE1EEEvT1_, .Lfunc_end1154-_ZN7rocprim17ROCPRIM_400000_NS6detail17trampoline_kernelINS0_14default_configENS1_35adjacent_difference_config_selectorILb0ElEEZNS1_24adjacent_difference_implIS3_Lb0ELb0EPlS7_ZN2at6native12_GLOBAL__N_124unique_dim_cuda_templateIN3c108BFloat16EEESt5tupleIJNS8_6TensorESF_SF_EERKSF_lbbbEUlllE1_EE10hipError_tPvRmT2_T3_mT4_P12ihipStream_tbEUlT_E_NS1_11comp_targetILNS1_3genE2ELNS1_11target_archE906ELNS1_3gpuE6ELNS1_3repE0EEENS1_30default_config_static_selectorELNS0_4arch9wavefront6targetE1EEEvT1_
                                        ; -- End function
	.set _ZN7rocprim17ROCPRIM_400000_NS6detail17trampoline_kernelINS0_14default_configENS1_35adjacent_difference_config_selectorILb0ElEEZNS1_24adjacent_difference_implIS3_Lb0ELb0EPlS7_ZN2at6native12_GLOBAL__N_124unique_dim_cuda_templateIN3c108BFloat16EEESt5tupleIJNS8_6TensorESF_SF_EERKSF_lbbbEUlllE1_EE10hipError_tPvRmT2_T3_mT4_P12ihipStream_tbEUlT_E_NS1_11comp_targetILNS1_3genE2ELNS1_11target_archE906ELNS1_3gpuE6ELNS1_3repE0EEENS1_30default_config_static_selectorELNS0_4arch9wavefront6targetE1EEEvT1_.num_vgpr, 0
	.set _ZN7rocprim17ROCPRIM_400000_NS6detail17trampoline_kernelINS0_14default_configENS1_35adjacent_difference_config_selectorILb0ElEEZNS1_24adjacent_difference_implIS3_Lb0ELb0EPlS7_ZN2at6native12_GLOBAL__N_124unique_dim_cuda_templateIN3c108BFloat16EEESt5tupleIJNS8_6TensorESF_SF_EERKSF_lbbbEUlllE1_EE10hipError_tPvRmT2_T3_mT4_P12ihipStream_tbEUlT_E_NS1_11comp_targetILNS1_3genE2ELNS1_11target_archE906ELNS1_3gpuE6ELNS1_3repE0EEENS1_30default_config_static_selectorELNS0_4arch9wavefront6targetE1EEEvT1_.num_agpr, 0
	.set _ZN7rocprim17ROCPRIM_400000_NS6detail17trampoline_kernelINS0_14default_configENS1_35adjacent_difference_config_selectorILb0ElEEZNS1_24adjacent_difference_implIS3_Lb0ELb0EPlS7_ZN2at6native12_GLOBAL__N_124unique_dim_cuda_templateIN3c108BFloat16EEESt5tupleIJNS8_6TensorESF_SF_EERKSF_lbbbEUlllE1_EE10hipError_tPvRmT2_T3_mT4_P12ihipStream_tbEUlT_E_NS1_11comp_targetILNS1_3genE2ELNS1_11target_archE906ELNS1_3gpuE6ELNS1_3repE0EEENS1_30default_config_static_selectorELNS0_4arch9wavefront6targetE1EEEvT1_.numbered_sgpr, 0
	.set _ZN7rocprim17ROCPRIM_400000_NS6detail17trampoline_kernelINS0_14default_configENS1_35adjacent_difference_config_selectorILb0ElEEZNS1_24adjacent_difference_implIS3_Lb0ELb0EPlS7_ZN2at6native12_GLOBAL__N_124unique_dim_cuda_templateIN3c108BFloat16EEESt5tupleIJNS8_6TensorESF_SF_EERKSF_lbbbEUlllE1_EE10hipError_tPvRmT2_T3_mT4_P12ihipStream_tbEUlT_E_NS1_11comp_targetILNS1_3genE2ELNS1_11target_archE906ELNS1_3gpuE6ELNS1_3repE0EEENS1_30default_config_static_selectorELNS0_4arch9wavefront6targetE1EEEvT1_.num_named_barrier, 0
	.set _ZN7rocprim17ROCPRIM_400000_NS6detail17trampoline_kernelINS0_14default_configENS1_35adjacent_difference_config_selectorILb0ElEEZNS1_24adjacent_difference_implIS3_Lb0ELb0EPlS7_ZN2at6native12_GLOBAL__N_124unique_dim_cuda_templateIN3c108BFloat16EEESt5tupleIJNS8_6TensorESF_SF_EERKSF_lbbbEUlllE1_EE10hipError_tPvRmT2_T3_mT4_P12ihipStream_tbEUlT_E_NS1_11comp_targetILNS1_3genE2ELNS1_11target_archE906ELNS1_3gpuE6ELNS1_3repE0EEENS1_30default_config_static_selectorELNS0_4arch9wavefront6targetE1EEEvT1_.private_seg_size, 0
	.set _ZN7rocprim17ROCPRIM_400000_NS6detail17trampoline_kernelINS0_14default_configENS1_35adjacent_difference_config_selectorILb0ElEEZNS1_24adjacent_difference_implIS3_Lb0ELb0EPlS7_ZN2at6native12_GLOBAL__N_124unique_dim_cuda_templateIN3c108BFloat16EEESt5tupleIJNS8_6TensorESF_SF_EERKSF_lbbbEUlllE1_EE10hipError_tPvRmT2_T3_mT4_P12ihipStream_tbEUlT_E_NS1_11comp_targetILNS1_3genE2ELNS1_11target_archE906ELNS1_3gpuE6ELNS1_3repE0EEENS1_30default_config_static_selectorELNS0_4arch9wavefront6targetE1EEEvT1_.uses_vcc, 0
	.set _ZN7rocprim17ROCPRIM_400000_NS6detail17trampoline_kernelINS0_14default_configENS1_35adjacent_difference_config_selectorILb0ElEEZNS1_24adjacent_difference_implIS3_Lb0ELb0EPlS7_ZN2at6native12_GLOBAL__N_124unique_dim_cuda_templateIN3c108BFloat16EEESt5tupleIJNS8_6TensorESF_SF_EERKSF_lbbbEUlllE1_EE10hipError_tPvRmT2_T3_mT4_P12ihipStream_tbEUlT_E_NS1_11comp_targetILNS1_3genE2ELNS1_11target_archE906ELNS1_3gpuE6ELNS1_3repE0EEENS1_30default_config_static_selectorELNS0_4arch9wavefront6targetE1EEEvT1_.uses_flat_scratch, 0
	.set _ZN7rocprim17ROCPRIM_400000_NS6detail17trampoline_kernelINS0_14default_configENS1_35adjacent_difference_config_selectorILb0ElEEZNS1_24adjacent_difference_implIS3_Lb0ELb0EPlS7_ZN2at6native12_GLOBAL__N_124unique_dim_cuda_templateIN3c108BFloat16EEESt5tupleIJNS8_6TensorESF_SF_EERKSF_lbbbEUlllE1_EE10hipError_tPvRmT2_T3_mT4_P12ihipStream_tbEUlT_E_NS1_11comp_targetILNS1_3genE2ELNS1_11target_archE906ELNS1_3gpuE6ELNS1_3repE0EEENS1_30default_config_static_selectorELNS0_4arch9wavefront6targetE1EEEvT1_.has_dyn_sized_stack, 0
	.set _ZN7rocprim17ROCPRIM_400000_NS6detail17trampoline_kernelINS0_14default_configENS1_35adjacent_difference_config_selectorILb0ElEEZNS1_24adjacent_difference_implIS3_Lb0ELb0EPlS7_ZN2at6native12_GLOBAL__N_124unique_dim_cuda_templateIN3c108BFloat16EEESt5tupleIJNS8_6TensorESF_SF_EERKSF_lbbbEUlllE1_EE10hipError_tPvRmT2_T3_mT4_P12ihipStream_tbEUlT_E_NS1_11comp_targetILNS1_3genE2ELNS1_11target_archE906ELNS1_3gpuE6ELNS1_3repE0EEENS1_30default_config_static_selectorELNS0_4arch9wavefront6targetE1EEEvT1_.has_recursion, 0
	.set _ZN7rocprim17ROCPRIM_400000_NS6detail17trampoline_kernelINS0_14default_configENS1_35adjacent_difference_config_selectorILb0ElEEZNS1_24adjacent_difference_implIS3_Lb0ELb0EPlS7_ZN2at6native12_GLOBAL__N_124unique_dim_cuda_templateIN3c108BFloat16EEESt5tupleIJNS8_6TensorESF_SF_EERKSF_lbbbEUlllE1_EE10hipError_tPvRmT2_T3_mT4_P12ihipStream_tbEUlT_E_NS1_11comp_targetILNS1_3genE2ELNS1_11target_archE906ELNS1_3gpuE6ELNS1_3repE0EEENS1_30default_config_static_selectorELNS0_4arch9wavefront6targetE1EEEvT1_.has_indirect_call, 0
	.section	.AMDGPU.csdata,"",@progbits
; Kernel info:
; codeLenInByte = 0
; TotalNumSgprs: 6
; NumVgprs: 0
; NumAgprs: 0
; TotalNumVgprs: 0
; ScratchSize: 0
; MemoryBound: 0
; FloatMode: 240
; IeeeMode: 1
; LDSByteSize: 0 bytes/workgroup (compile time only)
; SGPRBlocks: 0
; VGPRBlocks: 0
; NumSGPRsForWavesPerEU: 6
; NumVGPRsForWavesPerEU: 1
; AccumOffset: 4
; Occupancy: 8
; WaveLimiterHint : 0
; COMPUTE_PGM_RSRC2:SCRATCH_EN: 0
; COMPUTE_PGM_RSRC2:USER_SGPR: 2
; COMPUTE_PGM_RSRC2:TRAP_HANDLER: 0
; COMPUTE_PGM_RSRC2:TGID_X_EN: 1
; COMPUTE_PGM_RSRC2:TGID_Y_EN: 0
; COMPUTE_PGM_RSRC2:TGID_Z_EN: 0
; COMPUTE_PGM_RSRC2:TIDIG_COMP_CNT: 0
; COMPUTE_PGM_RSRC3_GFX90A:ACCUM_OFFSET: 0
; COMPUTE_PGM_RSRC3_GFX90A:TG_SPLIT: 0
	.section	.text._ZN7rocprim17ROCPRIM_400000_NS6detail17trampoline_kernelINS0_14default_configENS1_35adjacent_difference_config_selectorILb0ElEEZNS1_24adjacent_difference_implIS3_Lb0ELb0EPlS7_ZN2at6native12_GLOBAL__N_124unique_dim_cuda_templateIN3c108BFloat16EEESt5tupleIJNS8_6TensorESF_SF_EERKSF_lbbbEUlllE1_EE10hipError_tPvRmT2_T3_mT4_P12ihipStream_tbEUlT_E_NS1_11comp_targetILNS1_3genE9ELNS1_11target_archE1100ELNS1_3gpuE3ELNS1_3repE0EEENS1_30default_config_static_selectorELNS0_4arch9wavefront6targetE1EEEvT1_,"axG",@progbits,_ZN7rocprim17ROCPRIM_400000_NS6detail17trampoline_kernelINS0_14default_configENS1_35adjacent_difference_config_selectorILb0ElEEZNS1_24adjacent_difference_implIS3_Lb0ELb0EPlS7_ZN2at6native12_GLOBAL__N_124unique_dim_cuda_templateIN3c108BFloat16EEESt5tupleIJNS8_6TensorESF_SF_EERKSF_lbbbEUlllE1_EE10hipError_tPvRmT2_T3_mT4_P12ihipStream_tbEUlT_E_NS1_11comp_targetILNS1_3genE9ELNS1_11target_archE1100ELNS1_3gpuE3ELNS1_3repE0EEENS1_30default_config_static_selectorELNS0_4arch9wavefront6targetE1EEEvT1_,comdat
	.globl	_ZN7rocprim17ROCPRIM_400000_NS6detail17trampoline_kernelINS0_14default_configENS1_35adjacent_difference_config_selectorILb0ElEEZNS1_24adjacent_difference_implIS3_Lb0ELb0EPlS7_ZN2at6native12_GLOBAL__N_124unique_dim_cuda_templateIN3c108BFloat16EEESt5tupleIJNS8_6TensorESF_SF_EERKSF_lbbbEUlllE1_EE10hipError_tPvRmT2_T3_mT4_P12ihipStream_tbEUlT_E_NS1_11comp_targetILNS1_3genE9ELNS1_11target_archE1100ELNS1_3gpuE3ELNS1_3repE0EEENS1_30default_config_static_selectorELNS0_4arch9wavefront6targetE1EEEvT1_ ; -- Begin function _ZN7rocprim17ROCPRIM_400000_NS6detail17trampoline_kernelINS0_14default_configENS1_35adjacent_difference_config_selectorILb0ElEEZNS1_24adjacent_difference_implIS3_Lb0ELb0EPlS7_ZN2at6native12_GLOBAL__N_124unique_dim_cuda_templateIN3c108BFloat16EEESt5tupleIJNS8_6TensorESF_SF_EERKSF_lbbbEUlllE1_EE10hipError_tPvRmT2_T3_mT4_P12ihipStream_tbEUlT_E_NS1_11comp_targetILNS1_3genE9ELNS1_11target_archE1100ELNS1_3gpuE3ELNS1_3repE0EEENS1_30default_config_static_selectorELNS0_4arch9wavefront6targetE1EEEvT1_
	.p2align	8
	.type	_ZN7rocprim17ROCPRIM_400000_NS6detail17trampoline_kernelINS0_14default_configENS1_35adjacent_difference_config_selectorILb0ElEEZNS1_24adjacent_difference_implIS3_Lb0ELb0EPlS7_ZN2at6native12_GLOBAL__N_124unique_dim_cuda_templateIN3c108BFloat16EEESt5tupleIJNS8_6TensorESF_SF_EERKSF_lbbbEUlllE1_EE10hipError_tPvRmT2_T3_mT4_P12ihipStream_tbEUlT_E_NS1_11comp_targetILNS1_3genE9ELNS1_11target_archE1100ELNS1_3gpuE3ELNS1_3repE0EEENS1_30default_config_static_selectorELNS0_4arch9wavefront6targetE1EEEvT1_,@function
_ZN7rocprim17ROCPRIM_400000_NS6detail17trampoline_kernelINS0_14default_configENS1_35adjacent_difference_config_selectorILb0ElEEZNS1_24adjacent_difference_implIS3_Lb0ELb0EPlS7_ZN2at6native12_GLOBAL__N_124unique_dim_cuda_templateIN3c108BFloat16EEESt5tupleIJNS8_6TensorESF_SF_EERKSF_lbbbEUlllE1_EE10hipError_tPvRmT2_T3_mT4_P12ihipStream_tbEUlT_E_NS1_11comp_targetILNS1_3genE9ELNS1_11target_archE1100ELNS1_3gpuE3ELNS1_3repE0EEENS1_30default_config_static_selectorELNS0_4arch9wavefront6targetE1EEEvT1_: ; @_ZN7rocprim17ROCPRIM_400000_NS6detail17trampoline_kernelINS0_14default_configENS1_35adjacent_difference_config_selectorILb0ElEEZNS1_24adjacent_difference_implIS3_Lb0ELb0EPlS7_ZN2at6native12_GLOBAL__N_124unique_dim_cuda_templateIN3c108BFloat16EEESt5tupleIJNS8_6TensorESF_SF_EERKSF_lbbbEUlllE1_EE10hipError_tPvRmT2_T3_mT4_P12ihipStream_tbEUlT_E_NS1_11comp_targetILNS1_3genE9ELNS1_11target_archE1100ELNS1_3gpuE3ELNS1_3repE0EEENS1_30default_config_static_selectorELNS0_4arch9wavefront6targetE1EEEvT1_
; %bb.0:
	.section	.rodata,"a",@progbits
	.p2align	6, 0x0
	.amdhsa_kernel _ZN7rocprim17ROCPRIM_400000_NS6detail17trampoline_kernelINS0_14default_configENS1_35adjacent_difference_config_selectorILb0ElEEZNS1_24adjacent_difference_implIS3_Lb0ELb0EPlS7_ZN2at6native12_GLOBAL__N_124unique_dim_cuda_templateIN3c108BFloat16EEESt5tupleIJNS8_6TensorESF_SF_EERKSF_lbbbEUlllE1_EE10hipError_tPvRmT2_T3_mT4_P12ihipStream_tbEUlT_E_NS1_11comp_targetILNS1_3genE9ELNS1_11target_archE1100ELNS1_3gpuE3ELNS1_3repE0EEENS1_30default_config_static_selectorELNS0_4arch9wavefront6targetE1EEEvT1_
		.amdhsa_group_segment_fixed_size 0
		.amdhsa_private_segment_fixed_size 0
		.amdhsa_kernarg_size 64
		.amdhsa_user_sgpr_count 2
		.amdhsa_user_sgpr_dispatch_ptr 0
		.amdhsa_user_sgpr_queue_ptr 0
		.amdhsa_user_sgpr_kernarg_segment_ptr 1
		.amdhsa_user_sgpr_dispatch_id 0
		.amdhsa_user_sgpr_kernarg_preload_length 0
		.amdhsa_user_sgpr_kernarg_preload_offset 0
		.amdhsa_user_sgpr_private_segment_size 0
		.amdhsa_uses_dynamic_stack 0
		.amdhsa_enable_private_segment 0
		.amdhsa_system_sgpr_workgroup_id_x 1
		.amdhsa_system_sgpr_workgroup_id_y 0
		.amdhsa_system_sgpr_workgroup_id_z 0
		.amdhsa_system_sgpr_workgroup_info 0
		.amdhsa_system_vgpr_workitem_id 0
		.amdhsa_next_free_vgpr 1
		.amdhsa_next_free_sgpr 0
		.amdhsa_accum_offset 4
		.amdhsa_reserve_vcc 0
		.amdhsa_float_round_mode_32 0
		.amdhsa_float_round_mode_16_64 0
		.amdhsa_float_denorm_mode_32 3
		.amdhsa_float_denorm_mode_16_64 3
		.amdhsa_dx10_clamp 1
		.amdhsa_ieee_mode 1
		.amdhsa_fp16_overflow 0
		.amdhsa_tg_split 0
		.amdhsa_exception_fp_ieee_invalid_op 0
		.amdhsa_exception_fp_denorm_src 0
		.amdhsa_exception_fp_ieee_div_zero 0
		.amdhsa_exception_fp_ieee_overflow 0
		.amdhsa_exception_fp_ieee_underflow 0
		.amdhsa_exception_fp_ieee_inexact 0
		.amdhsa_exception_int_div_zero 0
	.end_amdhsa_kernel
	.section	.text._ZN7rocprim17ROCPRIM_400000_NS6detail17trampoline_kernelINS0_14default_configENS1_35adjacent_difference_config_selectorILb0ElEEZNS1_24adjacent_difference_implIS3_Lb0ELb0EPlS7_ZN2at6native12_GLOBAL__N_124unique_dim_cuda_templateIN3c108BFloat16EEESt5tupleIJNS8_6TensorESF_SF_EERKSF_lbbbEUlllE1_EE10hipError_tPvRmT2_T3_mT4_P12ihipStream_tbEUlT_E_NS1_11comp_targetILNS1_3genE9ELNS1_11target_archE1100ELNS1_3gpuE3ELNS1_3repE0EEENS1_30default_config_static_selectorELNS0_4arch9wavefront6targetE1EEEvT1_,"axG",@progbits,_ZN7rocprim17ROCPRIM_400000_NS6detail17trampoline_kernelINS0_14default_configENS1_35adjacent_difference_config_selectorILb0ElEEZNS1_24adjacent_difference_implIS3_Lb0ELb0EPlS7_ZN2at6native12_GLOBAL__N_124unique_dim_cuda_templateIN3c108BFloat16EEESt5tupleIJNS8_6TensorESF_SF_EERKSF_lbbbEUlllE1_EE10hipError_tPvRmT2_T3_mT4_P12ihipStream_tbEUlT_E_NS1_11comp_targetILNS1_3genE9ELNS1_11target_archE1100ELNS1_3gpuE3ELNS1_3repE0EEENS1_30default_config_static_selectorELNS0_4arch9wavefront6targetE1EEEvT1_,comdat
.Lfunc_end1155:
	.size	_ZN7rocprim17ROCPRIM_400000_NS6detail17trampoline_kernelINS0_14default_configENS1_35adjacent_difference_config_selectorILb0ElEEZNS1_24adjacent_difference_implIS3_Lb0ELb0EPlS7_ZN2at6native12_GLOBAL__N_124unique_dim_cuda_templateIN3c108BFloat16EEESt5tupleIJNS8_6TensorESF_SF_EERKSF_lbbbEUlllE1_EE10hipError_tPvRmT2_T3_mT4_P12ihipStream_tbEUlT_E_NS1_11comp_targetILNS1_3genE9ELNS1_11target_archE1100ELNS1_3gpuE3ELNS1_3repE0EEENS1_30default_config_static_selectorELNS0_4arch9wavefront6targetE1EEEvT1_, .Lfunc_end1155-_ZN7rocprim17ROCPRIM_400000_NS6detail17trampoline_kernelINS0_14default_configENS1_35adjacent_difference_config_selectorILb0ElEEZNS1_24adjacent_difference_implIS3_Lb0ELb0EPlS7_ZN2at6native12_GLOBAL__N_124unique_dim_cuda_templateIN3c108BFloat16EEESt5tupleIJNS8_6TensorESF_SF_EERKSF_lbbbEUlllE1_EE10hipError_tPvRmT2_T3_mT4_P12ihipStream_tbEUlT_E_NS1_11comp_targetILNS1_3genE9ELNS1_11target_archE1100ELNS1_3gpuE3ELNS1_3repE0EEENS1_30default_config_static_selectorELNS0_4arch9wavefront6targetE1EEEvT1_
                                        ; -- End function
	.set _ZN7rocprim17ROCPRIM_400000_NS6detail17trampoline_kernelINS0_14default_configENS1_35adjacent_difference_config_selectorILb0ElEEZNS1_24adjacent_difference_implIS3_Lb0ELb0EPlS7_ZN2at6native12_GLOBAL__N_124unique_dim_cuda_templateIN3c108BFloat16EEESt5tupleIJNS8_6TensorESF_SF_EERKSF_lbbbEUlllE1_EE10hipError_tPvRmT2_T3_mT4_P12ihipStream_tbEUlT_E_NS1_11comp_targetILNS1_3genE9ELNS1_11target_archE1100ELNS1_3gpuE3ELNS1_3repE0EEENS1_30default_config_static_selectorELNS0_4arch9wavefront6targetE1EEEvT1_.num_vgpr, 0
	.set _ZN7rocprim17ROCPRIM_400000_NS6detail17trampoline_kernelINS0_14default_configENS1_35adjacent_difference_config_selectorILb0ElEEZNS1_24adjacent_difference_implIS3_Lb0ELb0EPlS7_ZN2at6native12_GLOBAL__N_124unique_dim_cuda_templateIN3c108BFloat16EEESt5tupleIJNS8_6TensorESF_SF_EERKSF_lbbbEUlllE1_EE10hipError_tPvRmT2_T3_mT4_P12ihipStream_tbEUlT_E_NS1_11comp_targetILNS1_3genE9ELNS1_11target_archE1100ELNS1_3gpuE3ELNS1_3repE0EEENS1_30default_config_static_selectorELNS0_4arch9wavefront6targetE1EEEvT1_.num_agpr, 0
	.set _ZN7rocprim17ROCPRIM_400000_NS6detail17trampoline_kernelINS0_14default_configENS1_35adjacent_difference_config_selectorILb0ElEEZNS1_24adjacent_difference_implIS3_Lb0ELb0EPlS7_ZN2at6native12_GLOBAL__N_124unique_dim_cuda_templateIN3c108BFloat16EEESt5tupleIJNS8_6TensorESF_SF_EERKSF_lbbbEUlllE1_EE10hipError_tPvRmT2_T3_mT4_P12ihipStream_tbEUlT_E_NS1_11comp_targetILNS1_3genE9ELNS1_11target_archE1100ELNS1_3gpuE3ELNS1_3repE0EEENS1_30default_config_static_selectorELNS0_4arch9wavefront6targetE1EEEvT1_.numbered_sgpr, 0
	.set _ZN7rocprim17ROCPRIM_400000_NS6detail17trampoline_kernelINS0_14default_configENS1_35adjacent_difference_config_selectorILb0ElEEZNS1_24adjacent_difference_implIS3_Lb0ELb0EPlS7_ZN2at6native12_GLOBAL__N_124unique_dim_cuda_templateIN3c108BFloat16EEESt5tupleIJNS8_6TensorESF_SF_EERKSF_lbbbEUlllE1_EE10hipError_tPvRmT2_T3_mT4_P12ihipStream_tbEUlT_E_NS1_11comp_targetILNS1_3genE9ELNS1_11target_archE1100ELNS1_3gpuE3ELNS1_3repE0EEENS1_30default_config_static_selectorELNS0_4arch9wavefront6targetE1EEEvT1_.num_named_barrier, 0
	.set _ZN7rocprim17ROCPRIM_400000_NS6detail17trampoline_kernelINS0_14default_configENS1_35adjacent_difference_config_selectorILb0ElEEZNS1_24adjacent_difference_implIS3_Lb0ELb0EPlS7_ZN2at6native12_GLOBAL__N_124unique_dim_cuda_templateIN3c108BFloat16EEESt5tupleIJNS8_6TensorESF_SF_EERKSF_lbbbEUlllE1_EE10hipError_tPvRmT2_T3_mT4_P12ihipStream_tbEUlT_E_NS1_11comp_targetILNS1_3genE9ELNS1_11target_archE1100ELNS1_3gpuE3ELNS1_3repE0EEENS1_30default_config_static_selectorELNS0_4arch9wavefront6targetE1EEEvT1_.private_seg_size, 0
	.set _ZN7rocprim17ROCPRIM_400000_NS6detail17trampoline_kernelINS0_14default_configENS1_35adjacent_difference_config_selectorILb0ElEEZNS1_24adjacent_difference_implIS3_Lb0ELb0EPlS7_ZN2at6native12_GLOBAL__N_124unique_dim_cuda_templateIN3c108BFloat16EEESt5tupleIJNS8_6TensorESF_SF_EERKSF_lbbbEUlllE1_EE10hipError_tPvRmT2_T3_mT4_P12ihipStream_tbEUlT_E_NS1_11comp_targetILNS1_3genE9ELNS1_11target_archE1100ELNS1_3gpuE3ELNS1_3repE0EEENS1_30default_config_static_selectorELNS0_4arch9wavefront6targetE1EEEvT1_.uses_vcc, 0
	.set _ZN7rocprim17ROCPRIM_400000_NS6detail17trampoline_kernelINS0_14default_configENS1_35adjacent_difference_config_selectorILb0ElEEZNS1_24adjacent_difference_implIS3_Lb0ELb0EPlS7_ZN2at6native12_GLOBAL__N_124unique_dim_cuda_templateIN3c108BFloat16EEESt5tupleIJNS8_6TensorESF_SF_EERKSF_lbbbEUlllE1_EE10hipError_tPvRmT2_T3_mT4_P12ihipStream_tbEUlT_E_NS1_11comp_targetILNS1_3genE9ELNS1_11target_archE1100ELNS1_3gpuE3ELNS1_3repE0EEENS1_30default_config_static_selectorELNS0_4arch9wavefront6targetE1EEEvT1_.uses_flat_scratch, 0
	.set _ZN7rocprim17ROCPRIM_400000_NS6detail17trampoline_kernelINS0_14default_configENS1_35adjacent_difference_config_selectorILb0ElEEZNS1_24adjacent_difference_implIS3_Lb0ELb0EPlS7_ZN2at6native12_GLOBAL__N_124unique_dim_cuda_templateIN3c108BFloat16EEESt5tupleIJNS8_6TensorESF_SF_EERKSF_lbbbEUlllE1_EE10hipError_tPvRmT2_T3_mT4_P12ihipStream_tbEUlT_E_NS1_11comp_targetILNS1_3genE9ELNS1_11target_archE1100ELNS1_3gpuE3ELNS1_3repE0EEENS1_30default_config_static_selectorELNS0_4arch9wavefront6targetE1EEEvT1_.has_dyn_sized_stack, 0
	.set _ZN7rocprim17ROCPRIM_400000_NS6detail17trampoline_kernelINS0_14default_configENS1_35adjacent_difference_config_selectorILb0ElEEZNS1_24adjacent_difference_implIS3_Lb0ELb0EPlS7_ZN2at6native12_GLOBAL__N_124unique_dim_cuda_templateIN3c108BFloat16EEESt5tupleIJNS8_6TensorESF_SF_EERKSF_lbbbEUlllE1_EE10hipError_tPvRmT2_T3_mT4_P12ihipStream_tbEUlT_E_NS1_11comp_targetILNS1_3genE9ELNS1_11target_archE1100ELNS1_3gpuE3ELNS1_3repE0EEENS1_30default_config_static_selectorELNS0_4arch9wavefront6targetE1EEEvT1_.has_recursion, 0
	.set _ZN7rocprim17ROCPRIM_400000_NS6detail17trampoline_kernelINS0_14default_configENS1_35adjacent_difference_config_selectorILb0ElEEZNS1_24adjacent_difference_implIS3_Lb0ELb0EPlS7_ZN2at6native12_GLOBAL__N_124unique_dim_cuda_templateIN3c108BFloat16EEESt5tupleIJNS8_6TensorESF_SF_EERKSF_lbbbEUlllE1_EE10hipError_tPvRmT2_T3_mT4_P12ihipStream_tbEUlT_E_NS1_11comp_targetILNS1_3genE9ELNS1_11target_archE1100ELNS1_3gpuE3ELNS1_3repE0EEENS1_30default_config_static_selectorELNS0_4arch9wavefront6targetE1EEEvT1_.has_indirect_call, 0
	.section	.AMDGPU.csdata,"",@progbits
; Kernel info:
; codeLenInByte = 0
; TotalNumSgprs: 6
; NumVgprs: 0
; NumAgprs: 0
; TotalNumVgprs: 0
; ScratchSize: 0
; MemoryBound: 0
; FloatMode: 240
; IeeeMode: 1
; LDSByteSize: 0 bytes/workgroup (compile time only)
; SGPRBlocks: 0
; VGPRBlocks: 0
; NumSGPRsForWavesPerEU: 6
; NumVGPRsForWavesPerEU: 1
; AccumOffset: 4
; Occupancy: 8
; WaveLimiterHint : 0
; COMPUTE_PGM_RSRC2:SCRATCH_EN: 0
; COMPUTE_PGM_RSRC2:USER_SGPR: 2
; COMPUTE_PGM_RSRC2:TRAP_HANDLER: 0
; COMPUTE_PGM_RSRC2:TGID_X_EN: 1
; COMPUTE_PGM_RSRC2:TGID_Y_EN: 0
; COMPUTE_PGM_RSRC2:TGID_Z_EN: 0
; COMPUTE_PGM_RSRC2:TIDIG_COMP_CNT: 0
; COMPUTE_PGM_RSRC3_GFX90A:ACCUM_OFFSET: 0
; COMPUTE_PGM_RSRC3_GFX90A:TG_SPLIT: 0
	.section	.text._ZN7rocprim17ROCPRIM_400000_NS6detail17trampoline_kernelINS0_14default_configENS1_35adjacent_difference_config_selectorILb0ElEEZNS1_24adjacent_difference_implIS3_Lb0ELb0EPlS7_ZN2at6native12_GLOBAL__N_124unique_dim_cuda_templateIN3c108BFloat16EEESt5tupleIJNS8_6TensorESF_SF_EERKSF_lbbbEUlllE1_EE10hipError_tPvRmT2_T3_mT4_P12ihipStream_tbEUlT_E_NS1_11comp_targetILNS1_3genE8ELNS1_11target_archE1030ELNS1_3gpuE2ELNS1_3repE0EEENS1_30default_config_static_selectorELNS0_4arch9wavefront6targetE1EEEvT1_,"axG",@progbits,_ZN7rocprim17ROCPRIM_400000_NS6detail17trampoline_kernelINS0_14default_configENS1_35adjacent_difference_config_selectorILb0ElEEZNS1_24adjacent_difference_implIS3_Lb0ELb0EPlS7_ZN2at6native12_GLOBAL__N_124unique_dim_cuda_templateIN3c108BFloat16EEESt5tupleIJNS8_6TensorESF_SF_EERKSF_lbbbEUlllE1_EE10hipError_tPvRmT2_T3_mT4_P12ihipStream_tbEUlT_E_NS1_11comp_targetILNS1_3genE8ELNS1_11target_archE1030ELNS1_3gpuE2ELNS1_3repE0EEENS1_30default_config_static_selectorELNS0_4arch9wavefront6targetE1EEEvT1_,comdat
	.globl	_ZN7rocprim17ROCPRIM_400000_NS6detail17trampoline_kernelINS0_14default_configENS1_35adjacent_difference_config_selectorILb0ElEEZNS1_24adjacent_difference_implIS3_Lb0ELb0EPlS7_ZN2at6native12_GLOBAL__N_124unique_dim_cuda_templateIN3c108BFloat16EEESt5tupleIJNS8_6TensorESF_SF_EERKSF_lbbbEUlllE1_EE10hipError_tPvRmT2_T3_mT4_P12ihipStream_tbEUlT_E_NS1_11comp_targetILNS1_3genE8ELNS1_11target_archE1030ELNS1_3gpuE2ELNS1_3repE0EEENS1_30default_config_static_selectorELNS0_4arch9wavefront6targetE1EEEvT1_ ; -- Begin function _ZN7rocprim17ROCPRIM_400000_NS6detail17trampoline_kernelINS0_14default_configENS1_35adjacent_difference_config_selectorILb0ElEEZNS1_24adjacent_difference_implIS3_Lb0ELb0EPlS7_ZN2at6native12_GLOBAL__N_124unique_dim_cuda_templateIN3c108BFloat16EEESt5tupleIJNS8_6TensorESF_SF_EERKSF_lbbbEUlllE1_EE10hipError_tPvRmT2_T3_mT4_P12ihipStream_tbEUlT_E_NS1_11comp_targetILNS1_3genE8ELNS1_11target_archE1030ELNS1_3gpuE2ELNS1_3repE0EEENS1_30default_config_static_selectorELNS0_4arch9wavefront6targetE1EEEvT1_
	.p2align	8
	.type	_ZN7rocprim17ROCPRIM_400000_NS6detail17trampoline_kernelINS0_14default_configENS1_35adjacent_difference_config_selectorILb0ElEEZNS1_24adjacent_difference_implIS3_Lb0ELb0EPlS7_ZN2at6native12_GLOBAL__N_124unique_dim_cuda_templateIN3c108BFloat16EEESt5tupleIJNS8_6TensorESF_SF_EERKSF_lbbbEUlllE1_EE10hipError_tPvRmT2_T3_mT4_P12ihipStream_tbEUlT_E_NS1_11comp_targetILNS1_3genE8ELNS1_11target_archE1030ELNS1_3gpuE2ELNS1_3repE0EEENS1_30default_config_static_selectorELNS0_4arch9wavefront6targetE1EEEvT1_,@function
_ZN7rocprim17ROCPRIM_400000_NS6detail17trampoline_kernelINS0_14default_configENS1_35adjacent_difference_config_selectorILb0ElEEZNS1_24adjacent_difference_implIS3_Lb0ELb0EPlS7_ZN2at6native12_GLOBAL__N_124unique_dim_cuda_templateIN3c108BFloat16EEESt5tupleIJNS8_6TensorESF_SF_EERKSF_lbbbEUlllE1_EE10hipError_tPvRmT2_T3_mT4_P12ihipStream_tbEUlT_E_NS1_11comp_targetILNS1_3genE8ELNS1_11target_archE1030ELNS1_3gpuE2ELNS1_3repE0EEENS1_30default_config_static_selectorELNS0_4arch9wavefront6targetE1EEEvT1_: ; @_ZN7rocprim17ROCPRIM_400000_NS6detail17trampoline_kernelINS0_14default_configENS1_35adjacent_difference_config_selectorILb0ElEEZNS1_24adjacent_difference_implIS3_Lb0ELb0EPlS7_ZN2at6native12_GLOBAL__N_124unique_dim_cuda_templateIN3c108BFloat16EEESt5tupleIJNS8_6TensorESF_SF_EERKSF_lbbbEUlllE1_EE10hipError_tPvRmT2_T3_mT4_P12ihipStream_tbEUlT_E_NS1_11comp_targetILNS1_3genE8ELNS1_11target_archE1030ELNS1_3gpuE2ELNS1_3repE0EEENS1_30default_config_static_selectorELNS0_4arch9wavefront6targetE1EEEvT1_
; %bb.0:
	.section	.rodata,"a",@progbits
	.p2align	6, 0x0
	.amdhsa_kernel _ZN7rocprim17ROCPRIM_400000_NS6detail17trampoline_kernelINS0_14default_configENS1_35adjacent_difference_config_selectorILb0ElEEZNS1_24adjacent_difference_implIS3_Lb0ELb0EPlS7_ZN2at6native12_GLOBAL__N_124unique_dim_cuda_templateIN3c108BFloat16EEESt5tupleIJNS8_6TensorESF_SF_EERKSF_lbbbEUlllE1_EE10hipError_tPvRmT2_T3_mT4_P12ihipStream_tbEUlT_E_NS1_11comp_targetILNS1_3genE8ELNS1_11target_archE1030ELNS1_3gpuE2ELNS1_3repE0EEENS1_30default_config_static_selectorELNS0_4arch9wavefront6targetE1EEEvT1_
		.amdhsa_group_segment_fixed_size 0
		.amdhsa_private_segment_fixed_size 0
		.amdhsa_kernarg_size 64
		.amdhsa_user_sgpr_count 2
		.amdhsa_user_sgpr_dispatch_ptr 0
		.amdhsa_user_sgpr_queue_ptr 0
		.amdhsa_user_sgpr_kernarg_segment_ptr 1
		.amdhsa_user_sgpr_dispatch_id 0
		.amdhsa_user_sgpr_kernarg_preload_length 0
		.amdhsa_user_sgpr_kernarg_preload_offset 0
		.amdhsa_user_sgpr_private_segment_size 0
		.amdhsa_uses_dynamic_stack 0
		.amdhsa_enable_private_segment 0
		.amdhsa_system_sgpr_workgroup_id_x 1
		.amdhsa_system_sgpr_workgroup_id_y 0
		.amdhsa_system_sgpr_workgroup_id_z 0
		.amdhsa_system_sgpr_workgroup_info 0
		.amdhsa_system_vgpr_workitem_id 0
		.amdhsa_next_free_vgpr 1
		.amdhsa_next_free_sgpr 0
		.amdhsa_accum_offset 4
		.amdhsa_reserve_vcc 0
		.amdhsa_float_round_mode_32 0
		.amdhsa_float_round_mode_16_64 0
		.amdhsa_float_denorm_mode_32 3
		.amdhsa_float_denorm_mode_16_64 3
		.amdhsa_dx10_clamp 1
		.amdhsa_ieee_mode 1
		.amdhsa_fp16_overflow 0
		.amdhsa_tg_split 0
		.amdhsa_exception_fp_ieee_invalid_op 0
		.amdhsa_exception_fp_denorm_src 0
		.amdhsa_exception_fp_ieee_div_zero 0
		.amdhsa_exception_fp_ieee_overflow 0
		.amdhsa_exception_fp_ieee_underflow 0
		.amdhsa_exception_fp_ieee_inexact 0
		.amdhsa_exception_int_div_zero 0
	.end_amdhsa_kernel
	.section	.text._ZN7rocprim17ROCPRIM_400000_NS6detail17trampoline_kernelINS0_14default_configENS1_35adjacent_difference_config_selectorILb0ElEEZNS1_24adjacent_difference_implIS3_Lb0ELb0EPlS7_ZN2at6native12_GLOBAL__N_124unique_dim_cuda_templateIN3c108BFloat16EEESt5tupleIJNS8_6TensorESF_SF_EERKSF_lbbbEUlllE1_EE10hipError_tPvRmT2_T3_mT4_P12ihipStream_tbEUlT_E_NS1_11comp_targetILNS1_3genE8ELNS1_11target_archE1030ELNS1_3gpuE2ELNS1_3repE0EEENS1_30default_config_static_selectorELNS0_4arch9wavefront6targetE1EEEvT1_,"axG",@progbits,_ZN7rocprim17ROCPRIM_400000_NS6detail17trampoline_kernelINS0_14default_configENS1_35adjacent_difference_config_selectorILb0ElEEZNS1_24adjacent_difference_implIS3_Lb0ELb0EPlS7_ZN2at6native12_GLOBAL__N_124unique_dim_cuda_templateIN3c108BFloat16EEESt5tupleIJNS8_6TensorESF_SF_EERKSF_lbbbEUlllE1_EE10hipError_tPvRmT2_T3_mT4_P12ihipStream_tbEUlT_E_NS1_11comp_targetILNS1_3genE8ELNS1_11target_archE1030ELNS1_3gpuE2ELNS1_3repE0EEENS1_30default_config_static_selectorELNS0_4arch9wavefront6targetE1EEEvT1_,comdat
.Lfunc_end1156:
	.size	_ZN7rocprim17ROCPRIM_400000_NS6detail17trampoline_kernelINS0_14default_configENS1_35adjacent_difference_config_selectorILb0ElEEZNS1_24adjacent_difference_implIS3_Lb0ELb0EPlS7_ZN2at6native12_GLOBAL__N_124unique_dim_cuda_templateIN3c108BFloat16EEESt5tupleIJNS8_6TensorESF_SF_EERKSF_lbbbEUlllE1_EE10hipError_tPvRmT2_T3_mT4_P12ihipStream_tbEUlT_E_NS1_11comp_targetILNS1_3genE8ELNS1_11target_archE1030ELNS1_3gpuE2ELNS1_3repE0EEENS1_30default_config_static_selectorELNS0_4arch9wavefront6targetE1EEEvT1_, .Lfunc_end1156-_ZN7rocprim17ROCPRIM_400000_NS6detail17trampoline_kernelINS0_14default_configENS1_35adjacent_difference_config_selectorILb0ElEEZNS1_24adjacent_difference_implIS3_Lb0ELb0EPlS7_ZN2at6native12_GLOBAL__N_124unique_dim_cuda_templateIN3c108BFloat16EEESt5tupleIJNS8_6TensorESF_SF_EERKSF_lbbbEUlllE1_EE10hipError_tPvRmT2_T3_mT4_P12ihipStream_tbEUlT_E_NS1_11comp_targetILNS1_3genE8ELNS1_11target_archE1030ELNS1_3gpuE2ELNS1_3repE0EEENS1_30default_config_static_selectorELNS0_4arch9wavefront6targetE1EEEvT1_
                                        ; -- End function
	.set _ZN7rocprim17ROCPRIM_400000_NS6detail17trampoline_kernelINS0_14default_configENS1_35adjacent_difference_config_selectorILb0ElEEZNS1_24adjacent_difference_implIS3_Lb0ELb0EPlS7_ZN2at6native12_GLOBAL__N_124unique_dim_cuda_templateIN3c108BFloat16EEESt5tupleIJNS8_6TensorESF_SF_EERKSF_lbbbEUlllE1_EE10hipError_tPvRmT2_T3_mT4_P12ihipStream_tbEUlT_E_NS1_11comp_targetILNS1_3genE8ELNS1_11target_archE1030ELNS1_3gpuE2ELNS1_3repE0EEENS1_30default_config_static_selectorELNS0_4arch9wavefront6targetE1EEEvT1_.num_vgpr, 0
	.set _ZN7rocprim17ROCPRIM_400000_NS6detail17trampoline_kernelINS0_14default_configENS1_35adjacent_difference_config_selectorILb0ElEEZNS1_24adjacent_difference_implIS3_Lb0ELb0EPlS7_ZN2at6native12_GLOBAL__N_124unique_dim_cuda_templateIN3c108BFloat16EEESt5tupleIJNS8_6TensorESF_SF_EERKSF_lbbbEUlllE1_EE10hipError_tPvRmT2_T3_mT4_P12ihipStream_tbEUlT_E_NS1_11comp_targetILNS1_3genE8ELNS1_11target_archE1030ELNS1_3gpuE2ELNS1_3repE0EEENS1_30default_config_static_selectorELNS0_4arch9wavefront6targetE1EEEvT1_.num_agpr, 0
	.set _ZN7rocprim17ROCPRIM_400000_NS6detail17trampoline_kernelINS0_14default_configENS1_35adjacent_difference_config_selectorILb0ElEEZNS1_24adjacent_difference_implIS3_Lb0ELb0EPlS7_ZN2at6native12_GLOBAL__N_124unique_dim_cuda_templateIN3c108BFloat16EEESt5tupleIJNS8_6TensorESF_SF_EERKSF_lbbbEUlllE1_EE10hipError_tPvRmT2_T3_mT4_P12ihipStream_tbEUlT_E_NS1_11comp_targetILNS1_3genE8ELNS1_11target_archE1030ELNS1_3gpuE2ELNS1_3repE0EEENS1_30default_config_static_selectorELNS0_4arch9wavefront6targetE1EEEvT1_.numbered_sgpr, 0
	.set _ZN7rocprim17ROCPRIM_400000_NS6detail17trampoline_kernelINS0_14default_configENS1_35adjacent_difference_config_selectorILb0ElEEZNS1_24adjacent_difference_implIS3_Lb0ELb0EPlS7_ZN2at6native12_GLOBAL__N_124unique_dim_cuda_templateIN3c108BFloat16EEESt5tupleIJNS8_6TensorESF_SF_EERKSF_lbbbEUlllE1_EE10hipError_tPvRmT2_T3_mT4_P12ihipStream_tbEUlT_E_NS1_11comp_targetILNS1_3genE8ELNS1_11target_archE1030ELNS1_3gpuE2ELNS1_3repE0EEENS1_30default_config_static_selectorELNS0_4arch9wavefront6targetE1EEEvT1_.num_named_barrier, 0
	.set _ZN7rocprim17ROCPRIM_400000_NS6detail17trampoline_kernelINS0_14default_configENS1_35adjacent_difference_config_selectorILb0ElEEZNS1_24adjacent_difference_implIS3_Lb0ELb0EPlS7_ZN2at6native12_GLOBAL__N_124unique_dim_cuda_templateIN3c108BFloat16EEESt5tupleIJNS8_6TensorESF_SF_EERKSF_lbbbEUlllE1_EE10hipError_tPvRmT2_T3_mT4_P12ihipStream_tbEUlT_E_NS1_11comp_targetILNS1_3genE8ELNS1_11target_archE1030ELNS1_3gpuE2ELNS1_3repE0EEENS1_30default_config_static_selectorELNS0_4arch9wavefront6targetE1EEEvT1_.private_seg_size, 0
	.set _ZN7rocprim17ROCPRIM_400000_NS6detail17trampoline_kernelINS0_14default_configENS1_35adjacent_difference_config_selectorILb0ElEEZNS1_24adjacent_difference_implIS3_Lb0ELb0EPlS7_ZN2at6native12_GLOBAL__N_124unique_dim_cuda_templateIN3c108BFloat16EEESt5tupleIJNS8_6TensorESF_SF_EERKSF_lbbbEUlllE1_EE10hipError_tPvRmT2_T3_mT4_P12ihipStream_tbEUlT_E_NS1_11comp_targetILNS1_3genE8ELNS1_11target_archE1030ELNS1_3gpuE2ELNS1_3repE0EEENS1_30default_config_static_selectorELNS0_4arch9wavefront6targetE1EEEvT1_.uses_vcc, 0
	.set _ZN7rocprim17ROCPRIM_400000_NS6detail17trampoline_kernelINS0_14default_configENS1_35adjacent_difference_config_selectorILb0ElEEZNS1_24adjacent_difference_implIS3_Lb0ELb0EPlS7_ZN2at6native12_GLOBAL__N_124unique_dim_cuda_templateIN3c108BFloat16EEESt5tupleIJNS8_6TensorESF_SF_EERKSF_lbbbEUlllE1_EE10hipError_tPvRmT2_T3_mT4_P12ihipStream_tbEUlT_E_NS1_11comp_targetILNS1_3genE8ELNS1_11target_archE1030ELNS1_3gpuE2ELNS1_3repE0EEENS1_30default_config_static_selectorELNS0_4arch9wavefront6targetE1EEEvT1_.uses_flat_scratch, 0
	.set _ZN7rocprim17ROCPRIM_400000_NS6detail17trampoline_kernelINS0_14default_configENS1_35adjacent_difference_config_selectorILb0ElEEZNS1_24adjacent_difference_implIS3_Lb0ELb0EPlS7_ZN2at6native12_GLOBAL__N_124unique_dim_cuda_templateIN3c108BFloat16EEESt5tupleIJNS8_6TensorESF_SF_EERKSF_lbbbEUlllE1_EE10hipError_tPvRmT2_T3_mT4_P12ihipStream_tbEUlT_E_NS1_11comp_targetILNS1_3genE8ELNS1_11target_archE1030ELNS1_3gpuE2ELNS1_3repE0EEENS1_30default_config_static_selectorELNS0_4arch9wavefront6targetE1EEEvT1_.has_dyn_sized_stack, 0
	.set _ZN7rocprim17ROCPRIM_400000_NS6detail17trampoline_kernelINS0_14default_configENS1_35adjacent_difference_config_selectorILb0ElEEZNS1_24adjacent_difference_implIS3_Lb0ELb0EPlS7_ZN2at6native12_GLOBAL__N_124unique_dim_cuda_templateIN3c108BFloat16EEESt5tupleIJNS8_6TensorESF_SF_EERKSF_lbbbEUlllE1_EE10hipError_tPvRmT2_T3_mT4_P12ihipStream_tbEUlT_E_NS1_11comp_targetILNS1_3genE8ELNS1_11target_archE1030ELNS1_3gpuE2ELNS1_3repE0EEENS1_30default_config_static_selectorELNS0_4arch9wavefront6targetE1EEEvT1_.has_recursion, 0
	.set _ZN7rocprim17ROCPRIM_400000_NS6detail17trampoline_kernelINS0_14default_configENS1_35adjacent_difference_config_selectorILb0ElEEZNS1_24adjacent_difference_implIS3_Lb0ELb0EPlS7_ZN2at6native12_GLOBAL__N_124unique_dim_cuda_templateIN3c108BFloat16EEESt5tupleIJNS8_6TensorESF_SF_EERKSF_lbbbEUlllE1_EE10hipError_tPvRmT2_T3_mT4_P12ihipStream_tbEUlT_E_NS1_11comp_targetILNS1_3genE8ELNS1_11target_archE1030ELNS1_3gpuE2ELNS1_3repE0EEENS1_30default_config_static_selectorELNS0_4arch9wavefront6targetE1EEEvT1_.has_indirect_call, 0
	.section	.AMDGPU.csdata,"",@progbits
; Kernel info:
; codeLenInByte = 0
; TotalNumSgprs: 6
; NumVgprs: 0
; NumAgprs: 0
; TotalNumVgprs: 0
; ScratchSize: 0
; MemoryBound: 0
; FloatMode: 240
; IeeeMode: 1
; LDSByteSize: 0 bytes/workgroup (compile time only)
; SGPRBlocks: 0
; VGPRBlocks: 0
; NumSGPRsForWavesPerEU: 6
; NumVGPRsForWavesPerEU: 1
; AccumOffset: 4
; Occupancy: 8
; WaveLimiterHint : 0
; COMPUTE_PGM_RSRC2:SCRATCH_EN: 0
; COMPUTE_PGM_RSRC2:USER_SGPR: 2
; COMPUTE_PGM_RSRC2:TRAP_HANDLER: 0
; COMPUTE_PGM_RSRC2:TGID_X_EN: 1
; COMPUTE_PGM_RSRC2:TGID_Y_EN: 0
; COMPUTE_PGM_RSRC2:TGID_Z_EN: 0
; COMPUTE_PGM_RSRC2:TIDIG_COMP_CNT: 0
; COMPUTE_PGM_RSRC3_GFX90A:ACCUM_OFFSET: 0
; COMPUTE_PGM_RSRC3_GFX90A:TG_SPLIT: 0
	.section	.text._ZN7rocprim17ROCPRIM_400000_NS6detail17trampoline_kernelINS0_14default_configENS1_25transform_config_selectorIlLb0EEEZNS1_14transform_implILb0ES3_S5_NS0_18transform_iteratorINS0_17counting_iteratorImlEEZNS1_24adjacent_difference_implIS3_Lb1ELb0EPlSB_ZN2at6native12_GLOBAL__N_124unique_dim_cuda_templateIN3c108BFloat16EEESt5tupleIJNSC_6TensorESJ_SJ_EERKSJ_lbbbEUlllE1_EE10hipError_tPvRmT2_T3_mT4_P12ihipStream_tbEUlmE_lEESB_NS0_8identityIvEEEESO_SR_SS_mST_SV_bEUlT_E_NS1_11comp_targetILNS1_3genE0ELNS1_11target_archE4294967295ELNS1_3gpuE0ELNS1_3repE0EEENS1_30default_config_static_selectorELNS0_4arch9wavefront6targetE1EEEvT1_,"axG",@progbits,_ZN7rocprim17ROCPRIM_400000_NS6detail17trampoline_kernelINS0_14default_configENS1_25transform_config_selectorIlLb0EEEZNS1_14transform_implILb0ES3_S5_NS0_18transform_iteratorINS0_17counting_iteratorImlEEZNS1_24adjacent_difference_implIS3_Lb1ELb0EPlSB_ZN2at6native12_GLOBAL__N_124unique_dim_cuda_templateIN3c108BFloat16EEESt5tupleIJNSC_6TensorESJ_SJ_EERKSJ_lbbbEUlllE1_EE10hipError_tPvRmT2_T3_mT4_P12ihipStream_tbEUlmE_lEESB_NS0_8identityIvEEEESO_SR_SS_mST_SV_bEUlT_E_NS1_11comp_targetILNS1_3genE0ELNS1_11target_archE4294967295ELNS1_3gpuE0ELNS1_3repE0EEENS1_30default_config_static_selectorELNS0_4arch9wavefront6targetE1EEEvT1_,comdat
	.globl	_ZN7rocprim17ROCPRIM_400000_NS6detail17trampoline_kernelINS0_14default_configENS1_25transform_config_selectorIlLb0EEEZNS1_14transform_implILb0ES3_S5_NS0_18transform_iteratorINS0_17counting_iteratorImlEEZNS1_24adjacent_difference_implIS3_Lb1ELb0EPlSB_ZN2at6native12_GLOBAL__N_124unique_dim_cuda_templateIN3c108BFloat16EEESt5tupleIJNSC_6TensorESJ_SJ_EERKSJ_lbbbEUlllE1_EE10hipError_tPvRmT2_T3_mT4_P12ihipStream_tbEUlmE_lEESB_NS0_8identityIvEEEESO_SR_SS_mST_SV_bEUlT_E_NS1_11comp_targetILNS1_3genE0ELNS1_11target_archE4294967295ELNS1_3gpuE0ELNS1_3repE0EEENS1_30default_config_static_selectorELNS0_4arch9wavefront6targetE1EEEvT1_ ; -- Begin function _ZN7rocprim17ROCPRIM_400000_NS6detail17trampoline_kernelINS0_14default_configENS1_25transform_config_selectorIlLb0EEEZNS1_14transform_implILb0ES3_S5_NS0_18transform_iteratorINS0_17counting_iteratorImlEEZNS1_24adjacent_difference_implIS3_Lb1ELb0EPlSB_ZN2at6native12_GLOBAL__N_124unique_dim_cuda_templateIN3c108BFloat16EEESt5tupleIJNSC_6TensorESJ_SJ_EERKSJ_lbbbEUlllE1_EE10hipError_tPvRmT2_T3_mT4_P12ihipStream_tbEUlmE_lEESB_NS0_8identityIvEEEESO_SR_SS_mST_SV_bEUlT_E_NS1_11comp_targetILNS1_3genE0ELNS1_11target_archE4294967295ELNS1_3gpuE0ELNS1_3repE0EEENS1_30default_config_static_selectorELNS0_4arch9wavefront6targetE1EEEvT1_
	.p2align	8
	.type	_ZN7rocprim17ROCPRIM_400000_NS6detail17trampoline_kernelINS0_14default_configENS1_25transform_config_selectorIlLb0EEEZNS1_14transform_implILb0ES3_S5_NS0_18transform_iteratorINS0_17counting_iteratorImlEEZNS1_24adjacent_difference_implIS3_Lb1ELb0EPlSB_ZN2at6native12_GLOBAL__N_124unique_dim_cuda_templateIN3c108BFloat16EEESt5tupleIJNSC_6TensorESJ_SJ_EERKSJ_lbbbEUlllE1_EE10hipError_tPvRmT2_T3_mT4_P12ihipStream_tbEUlmE_lEESB_NS0_8identityIvEEEESO_SR_SS_mST_SV_bEUlT_E_NS1_11comp_targetILNS1_3genE0ELNS1_11target_archE4294967295ELNS1_3gpuE0ELNS1_3repE0EEENS1_30default_config_static_selectorELNS0_4arch9wavefront6targetE1EEEvT1_,@function
_ZN7rocprim17ROCPRIM_400000_NS6detail17trampoline_kernelINS0_14default_configENS1_25transform_config_selectorIlLb0EEEZNS1_14transform_implILb0ES3_S5_NS0_18transform_iteratorINS0_17counting_iteratorImlEEZNS1_24adjacent_difference_implIS3_Lb1ELb0EPlSB_ZN2at6native12_GLOBAL__N_124unique_dim_cuda_templateIN3c108BFloat16EEESt5tupleIJNSC_6TensorESJ_SJ_EERKSJ_lbbbEUlllE1_EE10hipError_tPvRmT2_T3_mT4_P12ihipStream_tbEUlmE_lEESB_NS0_8identityIvEEEESO_SR_SS_mST_SV_bEUlT_E_NS1_11comp_targetILNS1_3genE0ELNS1_11target_archE4294967295ELNS1_3gpuE0ELNS1_3repE0EEENS1_30default_config_static_selectorELNS0_4arch9wavefront6targetE1EEEvT1_: ; @_ZN7rocprim17ROCPRIM_400000_NS6detail17trampoline_kernelINS0_14default_configENS1_25transform_config_selectorIlLb0EEEZNS1_14transform_implILb0ES3_S5_NS0_18transform_iteratorINS0_17counting_iteratorImlEEZNS1_24adjacent_difference_implIS3_Lb1ELb0EPlSB_ZN2at6native12_GLOBAL__N_124unique_dim_cuda_templateIN3c108BFloat16EEESt5tupleIJNSC_6TensorESJ_SJ_EERKSJ_lbbbEUlllE1_EE10hipError_tPvRmT2_T3_mT4_P12ihipStream_tbEUlmE_lEESB_NS0_8identityIvEEEESO_SR_SS_mST_SV_bEUlT_E_NS1_11comp_targetILNS1_3genE0ELNS1_11target_archE4294967295ELNS1_3gpuE0ELNS1_3repE0EEENS1_30default_config_static_selectorELNS0_4arch9wavefront6targetE1EEEvT1_
; %bb.0:
	s_load_dword s3, s[0:1], 0x38
	s_load_dword s5, s[0:1], 0x20
	s_lshl_b32 s4, s2, 7
	s_waitcnt lgkmcnt(0)
	s_add_i32 s3, s3, -1
	s_cmp_lg_u32 s2, s3
	s_cselect_b64 s[2:3], -1, 0
	s_sub_i32 s5, s5, s4
	v_cmp_gt_u32_e32 vcc, s5, v0
	s_or_b64 s[2:3], s[2:3], vcc
	s_and_saveexec_b64 s[6:7], s[2:3]
	s_cbranch_execz .LBB1157_2
; %bb.1:
	s_load_dwordx2 s[2:3], s[0:1], 0x18
	s_load_dwordx4 s[8:11], s[0:1], 0x0
	s_load_dwordx2 s[6:7], s[0:1], 0x28
	s_load_dword s5, s[0:1], 0x10
	v_mov_b32_e32 v1, 0
	s_waitcnt lgkmcnt(0)
	s_lshl_b64 s[0:1], s[2:3], 3
	v_mov_b32_e32 v2, s10
	s_add_u32 s6, s6, s0
	s_addc_u32 s7, s7, s1
	s_add_u32 s0, s8, s2
	s_addc_u32 s1, s9, s3
	;; [unrolled: 2-line block ×3, first 2 shown]
	v_lshl_add_u64 v[4:5], s[0:1], 0, v[0:1]
	v_mad_u64_u32 v[6:7], s[0:1], v4, s5, 0
	v_mov_b32_e32 v4, v7
	v_mad_u64_u32 v[4:5], s[0:1], v5, s5, v[4:5]
	v_mov_b32_e32 v3, s11
	v_mov_b32_e32 v7, v4
	v_lshl_add_u64 v[2:3], v[6:7], 3, v[2:3]
	global_load_dwordx2 v[2:3], v[2:3], off
	s_mov_b32 s5, 0
	s_lshl_b64 s[0:1], s[4:5], 3
	s_add_u32 s0, s6, s0
	s_addc_u32 s1, s7, s1
	v_lshl_add_u64 v[0:1], v[0:1], 3, s[0:1]
	s_waitcnt vmcnt(0)
	global_store_dwordx2 v[0:1], v[2:3], off
.LBB1157_2:
	s_endpgm
	.section	.rodata,"a",@progbits
	.p2align	6, 0x0
	.amdhsa_kernel _ZN7rocprim17ROCPRIM_400000_NS6detail17trampoline_kernelINS0_14default_configENS1_25transform_config_selectorIlLb0EEEZNS1_14transform_implILb0ES3_S5_NS0_18transform_iteratorINS0_17counting_iteratorImlEEZNS1_24adjacent_difference_implIS3_Lb1ELb0EPlSB_ZN2at6native12_GLOBAL__N_124unique_dim_cuda_templateIN3c108BFloat16EEESt5tupleIJNSC_6TensorESJ_SJ_EERKSJ_lbbbEUlllE1_EE10hipError_tPvRmT2_T3_mT4_P12ihipStream_tbEUlmE_lEESB_NS0_8identityIvEEEESO_SR_SS_mST_SV_bEUlT_E_NS1_11comp_targetILNS1_3genE0ELNS1_11target_archE4294967295ELNS1_3gpuE0ELNS1_3repE0EEENS1_30default_config_static_selectorELNS0_4arch9wavefront6targetE1EEEvT1_
		.amdhsa_group_segment_fixed_size 0
		.amdhsa_private_segment_fixed_size 0
		.amdhsa_kernarg_size 312
		.amdhsa_user_sgpr_count 2
		.amdhsa_user_sgpr_dispatch_ptr 0
		.amdhsa_user_sgpr_queue_ptr 0
		.amdhsa_user_sgpr_kernarg_segment_ptr 1
		.amdhsa_user_sgpr_dispatch_id 0
		.amdhsa_user_sgpr_kernarg_preload_length 0
		.amdhsa_user_sgpr_kernarg_preload_offset 0
		.amdhsa_user_sgpr_private_segment_size 0
		.amdhsa_uses_dynamic_stack 0
		.amdhsa_enable_private_segment 0
		.amdhsa_system_sgpr_workgroup_id_x 1
		.amdhsa_system_sgpr_workgroup_id_y 0
		.amdhsa_system_sgpr_workgroup_id_z 0
		.amdhsa_system_sgpr_workgroup_info 0
		.amdhsa_system_vgpr_workitem_id 0
		.amdhsa_next_free_vgpr 8
		.amdhsa_next_free_sgpr 12
		.amdhsa_accum_offset 8
		.amdhsa_reserve_vcc 1
		.amdhsa_float_round_mode_32 0
		.amdhsa_float_round_mode_16_64 0
		.amdhsa_float_denorm_mode_32 3
		.amdhsa_float_denorm_mode_16_64 3
		.amdhsa_dx10_clamp 1
		.amdhsa_ieee_mode 1
		.amdhsa_fp16_overflow 0
		.amdhsa_tg_split 0
		.amdhsa_exception_fp_ieee_invalid_op 0
		.amdhsa_exception_fp_denorm_src 0
		.amdhsa_exception_fp_ieee_div_zero 0
		.amdhsa_exception_fp_ieee_overflow 0
		.amdhsa_exception_fp_ieee_underflow 0
		.amdhsa_exception_fp_ieee_inexact 0
		.amdhsa_exception_int_div_zero 0
	.end_amdhsa_kernel
	.section	.text._ZN7rocprim17ROCPRIM_400000_NS6detail17trampoline_kernelINS0_14default_configENS1_25transform_config_selectorIlLb0EEEZNS1_14transform_implILb0ES3_S5_NS0_18transform_iteratorINS0_17counting_iteratorImlEEZNS1_24adjacent_difference_implIS3_Lb1ELb0EPlSB_ZN2at6native12_GLOBAL__N_124unique_dim_cuda_templateIN3c108BFloat16EEESt5tupleIJNSC_6TensorESJ_SJ_EERKSJ_lbbbEUlllE1_EE10hipError_tPvRmT2_T3_mT4_P12ihipStream_tbEUlmE_lEESB_NS0_8identityIvEEEESO_SR_SS_mST_SV_bEUlT_E_NS1_11comp_targetILNS1_3genE0ELNS1_11target_archE4294967295ELNS1_3gpuE0ELNS1_3repE0EEENS1_30default_config_static_selectorELNS0_4arch9wavefront6targetE1EEEvT1_,"axG",@progbits,_ZN7rocprim17ROCPRIM_400000_NS6detail17trampoline_kernelINS0_14default_configENS1_25transform_config_selectorIlLb0EEEZNS1_14transform_implILb0ES3_S5_NS0_18transform_iteratorINS0_17counting_iteratorImlEEZNS1_24adjacent_difference_implIS3_Lb1ELb0EPlSB_ZN2at6native12_GLOBAL__N_124unique_dim_cuda_templateIN3c108BFloat16EEESt5tupleIJNSC_6TensorESJ_SJ_EERKSJ_lbbbEUlllE1_EE10hipError_tPvRmT2_T3_mT4_P12ihipStream_tbEUlmE_lEESB_NS0_8identityIvEEEESO_SR_SS_mST_SV_bEUlT_E_NS1_11comp_targetILNS1_3genE0ELNS1_11target_archE4294967295ELNS1_3gpuE0ELNS1_3repE0EEENS1_30default_config_static_selectorELNS0_4arch9wavefront6targetE1EEEvT1_,comdat
.Lfunc_end1157:
	.size	_ZN7rocprim17ROCPRIM_400000_NS6detail17trampoline_kernelINS0_14default_configENS1_25transform_config_selectorIlLb0EEEZNS1_14transform_implILb0ES3_S5_NS0_18transform_iteratorINS0_17counting_iteratorImlEEZNS1_24adjacent_difference_implIS3_Lb1ELb0EPlSB_ZN2at6native12_GLOBAL__N_124unique_dim_cuda_templateIN3c108BFloat16EEESt5tupleIJNSC_6TensorESJ_SJ_EERKSJ_lbbbEUlllE1_EE10hipError_tPvRmT2_T3_mT4_P12ihipStream_tbEUlmE_lEESB_NS0_8identityIvEEEESO_SR_SS_mST_SV_bEUlT_E_NS1_11comp_targetILNS1_3genE0ELNS1_11target_archE4294967295ELNS1_3gpuE0ELNS1_3repE0EEENS1_30default_config_static_selectorELNS0_4arch9wavefront6targetE1EEEvT1_, .Lfunc_end1157-_ZN7rocprim17ROCPRIM_400000_NS6detail17trampoline_kernelINS0_14default_configENS1_25transform_config_selectorIlLb0EEEZNS1_14transform_implILb0ES3_S5_NS0_18transform_iteratorINS0_17counting_iteratorImlEEZNS1_24adjacent_difference_implIS3_Lb1ELb0EPlSB_ZN2at6native12_GLOBAL__N_124unique_dim_cuda_templateIN3c108BFloat16EEESt5tupleIJNSC_6TensorESJ_SJ_EERKSJ_lbbbEUlllE1_EE10hipError_tPvRmT2_T3_mT4_P12ihipStream_tbEUlmE_lEESB_NS0_8identityIvEEEESO_SR_SS_mST_SV_bEUlT_E_NS1_11comp_targetILNS1_3genE0ELNS1_11target_archE4294967295ELNS1_3gpuE0ELNS1_3repE0EEENS1_30default_config_static_selectorELNS0_4arch9wavefront6targetE1EEEvT1_
                                        ; -- End function
	.set _ZN7rocprim17ROCPRIM_400000_NS6detail17trampoline_kernelINS0_14default_configENS1_25transform_config_selectorIlLb0EEEZNS1_14transform_implILb0ES3_S5_NS0_18transform_iteratorINS0_17counting_iteratorImlEEZNS1_24adjacent_difference_implIS3_Lb1ELb0EPlSB_ZN2at6native12_GLOBAL__N_124unique_dim_cuda_templateIN3c108BFloat16EEESt5tupleIJNSC_6TensorESJ_SJ_EERKSJ_lbbbEUlllE1_EE10hipError_tPvRmT2_T3_mT4_P12ihipStream_tbEUlmE_lEESB_NS0_8identityIvEEEESO_SR_SS_mST_SV_bEUlT_E_NS1_11comp_targetILNS1_3genE0ELNS1_11target_archE4294967295ELNS1_3gpuE0ELNS1_3repE0EEENS1_30default_config_static_selectorELNS0_4arch9wavefront6targetE1EEEvT1_.num_vgpr, 8
	.set _ZN7rocprim17ROCPRIM_400000_NS6detail17trampoline_kernelINS0_14default_configENS1_25transform_config_selectorIlLb0EEEZNS1_14transform_implILb0ES3_S5_NS0_18transform_iteratorINS0_17counting_iteratorImlEEZNS1_24adjacent_difference_implIS3_Lb1ELb0EPlSB_ZN2at6native12_GLOBAL__N_124unique_dim_cuda_templateIN3c108BFloat16EEESt5tupleIJNSC_6TensorESJ_SJ_EERKSJ_lbbbEUlllE1_EE10hipError_tPvRmT2_T3_mT4_P12ihipStream_tbEUlmE_lEESB_NS0_8identityIvEEEESO_SR_SS_mST_SV_bEUlT_E_NS1_11comp_targetILNS1_3genE0ELNS1_11target_archE4294967295ELNS1_3gpuE0ELNS1_3repE0EEENS1_30default_config_static_selectorELNS0_4arch9wavefront6targetE1EEEvT1_.num_agpr, 0
	.set _ZN7rocprim17ROCPRIM_400000_NS6detail17trampoline_kernelINS0_14default_configENS1_25transform_config_selectorIlLb0EEEZNS1_14transform_implILb0ES3_S5_NS0_18transform_iteratorINS0_17counting_iteratorImlEEZNS1_24adjacent_difference_implIS3_Lb1ELb0EPlSB_ZN2at6native12_GLOBAL__N_124unique_dim_cuda_templateIN3c108BFloat16EEESt5tupleIJNSC_6TensorESJ_SJ_EERKSJ_lbbbEUlllE1_EE10hipError_tPvRmT2_T3_mT4_P12ihipStream_tbEUlmE_lEESB_NS0_8identityIvEEEESO_SR_SS_mST_SV_bEUlT_E_NS1_11comp_targetILNS1_3genE0ELNS1_11target_archE4294967295ELNS1_3gpuE0ELNS1_3repE0EEENS1_30default_config_static_selectorELNS0_4arch9wavefront6targetE1EEEvT1_.numbered_sgpr, 12
	.set _ZN7rocprim17ROCPRIM_400000_NS6detail17trampoline_kernelINS0_14default_configENS1_25transform_config_selectorIlLb0EEEZNS1_14transform_implILb0ES3_S5_NS0_18transform_iteratorINS0_17counting_iteratorImlEEZNS1_24adjacent_difference_implIS3_Lb1ELb0EPlSB_ZN2at6native12_GLOBAL__N_124unique_dim_cuda_templateIN3c108BFloat16EEESt5tupleIJNSC_6TensorESJ_SJ_EERKSJ_lbbbEUlllE1_EE10hipError_tPvRmT2_T3_mT4_P12ihipStream_tbEUlmE_lEESB_NS0_8identityIvEEEESO_SR_SS_mST_SV_bEUlT_E_NS1_11comp_targetILNS1_3genE0ELNS1_11target_archE4294967295ELNS1_3gpuE0ELNS1_3repE0EEENS1_30default_config_static_selectorELNS0_4arch9wavefront6targetE1EEEvT1_.num_named_barrier, 0
	.set _ZN7rocprim17ROCPRIM_400000_NS6detail17trampoline_kernelINS0_14default_configENS1_25transform_config_selectorIlLb0EEEZNS1_14transform_implILb0ES3_S5_NS0_18transform_iteratorINS0_17counting_iteratorImlEEZNS1_24adjacent_difference_implIS3_Lb1ELb0EPlSB_ZN2at6native12_GLOBAL__N_124unique_dim_cuda_templateIN3c108BFloat16EEESt5tupleIJNSC_6TensorESJ_SJ_EERKSJ_lbbbEUlllE1_EE10hipError_tPvRmT2_T3_mT4_P12ihipStream_tbEUlmE_lEESB_NS0_8identityIvEEEESO_SR_SS_mST_SV_bEUlT_E_NS1_11comp_targetILNS1_3genE0ELNS1_11target_archE4294967295ELNS1_3gpuE0ELNS1_3repE0EEENS1_30default_config_static_selectorELNS0_4arch9wavefront6targetE1EEEvT1_.private_seg_size, 0
	.set _ZN7rocprim17ROCPRIM_400000_NS6detail17trampoline_kernelINS0_14default_configENS1_25transform_config_selectorIlLb0EEEZNS1_14transform_implILb0ES3_S5_NS0_18transform_iteratorINS0_17counting_iteratorImlEEZNS1_24adjacent_difference_implIS3_Lb1ELb0EPlSB_ZN2at6native12_GLOBAL__N_124unique_dim_cuda_templateIN3c108BFloat16EEESt5tupleIJNSC_6TensorESJ_SJ_EERKSJ_lbbbEUlllE1_EE10hipError_tPvRmT2_T3_mT4_P12ihipStream_tbEUlmE_lEESB_NS0_8identityIvEEEESO_SR_SS_mST_SV_bEUlT_E_NS1_11comp_targetILNS1_3genE0ELNS1_11target_archE4294967295ELNS1_3gpuE0ELNS1_3repE0EEENS1_30default_config_static_selectorELNS0_4arch9wavefront6targetE1EEEvT1_.uses_vcc, 1
	.set _ZN7rocprim17ROCPRIM_400000_NS6detail17trampoline_kernelINS0_14default_configENS1_25transform_config_selectorIlLb0EEEZNS1_14transform_implILb0ES3_S5_NS0_18transform_iteratorINS0_17counting_iteratorImlEEZNS1_24adjacent_difference_implIS3_Lb1ELb0EPlSB_ZN2at6native12_GLOBAL__N_124unique_dim_cuda_templateIN3c108BFloat16EEESt5tupleIJNSC_6TensorESJ_SJ_EERKSJ_lbbbEUlllE1_EE10hipError_tPvRmT2_T3_mT4_P12ihipStream_tbEUlmE_lEESB_NS0_8identityIvEEEESO_SR_SS_mST_SV_bEUlT_E_NS1_11comp_targetILNS1_3genE0ELNS1_11target_archE4294967295ELNS1_3gpuE0ELNS1_3repE0EEENS1_30default_config_static_selectorELNS0_4arch9wavefront6targetE1EEEvT1_.uses_flat_scratch, 0
	.set _ZN7rocprim17ROCPRIM_400000_NS6detail17trampoline_kernelINS0_14default_configENS1_25transform_config_selectorIlLb0EEEZNS1_14transform_implILb0ES3_S5_NS0_18transform_iteratorINS0_17counting_iteratorImlEEZNS1_24adjacent_difference_implIS3_Lb1ELb0EPlSB_ZN2at6native12_GLOBAL__N_124unique_dim_cuda_templateIN3c108BFloat16EEESt5tupleIJNSC_6TensorESJ_SJ_EERKSJ_lbbbEUlllE1_EE10hipError_tPvRmT2_T3_mT4_P12ihipStream_tbEUlmE_lEESB_NS0_8identityIvEEEESO_SR_SS_mST_SV_bEUlT_E_NS1_11comp_targetILNS1_3genE0ELNS1_11target_archE4294967295ELNS1_3gpuE0ELNS1_3repE0EEENS1_30default_config_static_selectorELNS0_4arch9wavefront6targetE1EEEvT1_.has_dyn_sized_stack, 0
	.set _ZN7rocprim17ROCPRIM_400000_NS6detail17trampoline_kernelINS0_14default_configENS1_25transform_config_selectorIlLb0EEEZNS1_14transform_implILb0ES3_S5_NS0_18transform_iteratorINS0_17counting_iteratorImlEEZNS1_24adjacent_difference_implIS3_Lb1ELb0EPlSB_ZN2at6native12_GLOBAL__N_124unique_dim_cuda_templateIN3c108BFloat16EEESt5tupleIJNSC_6TensorESJ_SJ_EERKSJ_lbbbEUlllE1_EE10hipError_tPvRmT2_T3_mT4_P12ihipStream_tbEUlmE_lEESB_NS0_8identityIvEEEESO_SR_SS_mST_SV_bEUlT_E_NS1_11comp_targetILNS1_3genE0ELNS1_11target_archE4294967295ELNS1_3gpuE0ELNS1_3repE0EEENS1_30default_config_static_selectorELNS0_4arch9wavefront6targetE1EEEvT1_.has_recursion, 0
	.set _ZN7rocprim17ROCPRIM_400000_NS6detail17trampoline_kernelINS0_14default_configENS1_25transform_config_selectorIlLb0EEEZNS1_14transform_implILb0ES3_S5_NS0_18transform_iteratorINS0_17counting_iteratorImlEEZNS1_24adjacent_difference_implIS3_Lb1ELb0EPlSB_ZN2at6native12_GLOBAL__N_124unique_dim_cuda_templateIN3c108BFloat16EEESt5tupleIJNSC_6TensorESJ_SJ_EERKSJ_lbbbEUlllE1_EE10hipError_tPvRmT2_T3_mT4_P12ihipStream_tbEUlmE_lEESB_NS0_8identityIvEEEESO_SR_SS_mST_SV_bEUlT_E_NS1_11comp_targetILNS1_3genE0ELNS1_11target_archE4294967295ELNS1_3gpuE0ELNS1_3repE0EEENS1_30default_config_static_selectorELNS0_4arch9wavefront6targetE1EEEvT1_.has_indirect_call, 0
	.section	.AMDGPU.csdata,"",@progbits
; Kernel info:
; codeLenInByte = 220
; TotalNumSgprs: 18
; NumVgprs: 8
; NumAgprs: 0
; TotalNumVgprs: 8
; ScratchSize: 0
; MemoryBound: 0
; FloatMode: 240
; IeeeMode: 1
; LDSByteSize: 0 bytes/workgroup (compile time only)
; SGPRBlocks: 2
; VGPRBlocks: 0
; NumSGPRsForWavesPerEU: 18
; NumVGPRsForWavesPerEU: 8
; AccumOffset: 8
; Occupancy: 8
; WaveLimiterHint : 0
; COMPUTE_PGM_RSRC2:SCRATCH_EN: 0
; COMPUTE_PGM_RSRC2:USER_SGPR: 2
; COMPUTE_PGM_RSRC2:TRAP_HANDLER: 0
; COMPUTE_PGM_RSRC2:TGID_X_EN: 1
; COMPUTE_PGM_RSRC2:TGID_Y_EN: 0
; COMPUTE_PGM_RSRC2:TGID_Z_EN: 0
; COMPUTE_PGM_RSRC2:TIDIG_COMP_CNT: 0
; COMPUTE_PGM_RSRC3_GFX90A:ACCUM_OFFSET: 1
; COMPUTE_PGM_RSRC3_GFX90A:TG_SPLIT: 0
	.section	.text._ZN7rocprim17ROCPRIM_400000_NS6detail17trampoline_kernelINS0_14default_configENS1_25transform_config_selectorIlLb0EEEZNS1_14transform_implILb0ES3_S5_NS0_18transform_iteratorINS0_17counting_iteratorImlEEZNS1_24adjacent_difference_implIS3_Lb1ELb0EPlSB_ZN2at6native12_GLOBAL__N_124unique_dim_cuda_templateIN3c108BFloat16EEESt5tupleIJNSC_6TensorESJ_SJ_EERKSJ_lbbbEUlllE1_EE10hipError_tPvRmT2_T3_mT4_P12ihipStream_tbEUlmE_lEESB_NS0_8identityIvEEEESO_SR_SS_mST_SV_bEUlT_E_NS1_11comp_targetILNS1_3genE5ELNS1_11target_archE942ELNS1_3gpuE9ELNS1_3repE0EEENS1_30default_config_static_selectorELNS0_4arch9wavefront6targetE1EEEvT1_,"axG",@progbits,_ZN7rocprim17ROCPRIM_400000_NS6detail17trampoline_kernelINS0_14default_configENS1_25transform_config_selectorIlLb0EEEZNS1_14transform_implILb0ES3_S5_NS0_18transform_iteratorINS0_17counting_iteratorImlEEZNS1_24adjacent_difference_implIS3_Lb1ELb0EPlSB_ZN2at6native12_GLOBAL__N_124unique_dim_cuda_templateIN3c108BFloat16EEESt5tupleIJNSC_6TensorESJ_SJ_EERKSJ_lbbbEUlllE1_EE10hipError_tPvRmT2_T3_mT4_P12ihipStream_tbEUlmE_lEESB_NS0_8identityIvEEEESO_SR_SS_mST_SV_bEUlT_E_NS1_11comp_targetILNS1_3genE5ELNS1_11target_archE942ELNS1_3gpuE9ELNS1_3repE0EEENS1_30default_config_static_selectorELNS0_4arch9wavefront6targetE1EEEvT1_,comdat
	.globl	_ZN7rocprim17ROCPRIM_400000_NS6detail17trampoline_kernelINS0_14default_configENS1_25transform_config_selectorIlLb0EEEZNS1_14transform_implILb0ES3_S5_NS0_18transform_iteratorINS0_17counting_iteratorImlEEZNS1_24adjacent_difference_implIS3_Lb1ELb0EPlSB_ZN2at6native12_GLOBAL__N_124unique_dim_cuda_templateIN3c108BFloat16EEESt5tupleIJNSC_6TensorESJ_SJ_EERKSJ_lbbbEUlllE1_EE10hipError_tPvRmT2_T3_mT4_P12ihipStream_tbEUlmE_lEESB_NS0_8identityIvEEEESO_SR_SS_mST_SV_bEUlT_E_NS1_11comp_targetILNS1_3genE5ELNS1_11target_archE942ELNS1_3gpuE9ELNS1_3repE0EEENS1_30default_config_static_selectorELNS0_4arch9wavefront6targetE1EEEvT1_ ; -- Begin function _ZN7rocprim17ROCPRIM_400000_NS6detail17trampoline_kernelINS0_14default_configENS1_25transform_config_selectorIlLb0EEEZNS1_14transform_implILb0ES3_S5_NS0_18transform_iteratorINS0_17counting_iteratorImlEEZNS1_24adjacent_difference_implIS3_Lb1ELb0EPlSB_ZN2at6native12_GLOBAL__N_124unique_dim_cuda_templateIN3c108BFloat16EEESt5tupleIJNSC_6TensorESJ_SJ_EERKSJ_lbbbEUlllE1_EE10hipError_tPvRmT2_T3_mT4_P12ihipStream_tbEUlmE_lEESB_NS0_8identityIvEEEESO_SR_SS_mST_SV_bEUlT_E_NS1_11comp_targetILNS1_3genE5ELNS1_11target_archE942ELNS1_3gpuE9ELNS1_3repE0EEENS1_30default_config_static_selectorELNS0_4arch9wavefront6targetE1EEEvT1_
	.p2align	8
	.type	_ZN7rocprim17ROCPRIM_400000_NS6detail17trampoline_kernelINS0_14default_configENS1_25transform_config_selectorIlLb0EEEZNS1_14transform_implILb0ES3_S5_NS0_18transform_iteratorINS0_17counting_iteratorImlEEZNS1_24adjacent_difference_implIS3_Lb1ELb0EPlSB_ZN2at6native12_GLOBAL__N_124unique_dim_cuda_templateIN3c108BFloat16EEESt5tupleIJNSC_6TensorESJ_SJ_EERKSJ_lbbbEUlllE1_EE10hipError_tPvRmT2_T3_mT4_P12ihipStream_tbEUlmE_lEESB_NS0_8identityIvEEEESO_SR_SS_mST_SV_bEUlT_E_NS1_11comp_targetILNS1_3genE5ELNS1_11target_archE942ELNS1_3gpuE9ELNS1_3repE0EEENS1_30default_config_static_selectorELNS0_4arch9wavefront6targetE1EEEvT1_,@function
_ZN7rocprim17ROCPRIM_400000_NS6detail17trampoline_kernelINS0_14default_configENS1_25transform_config_selectorIlLb0EEEZNS1_14transform_implILb0ES3_S5_NS0_18transform_iteratorINS0_17counting_iteratorImlEEZNS1_24adjacent_difference_implIS3_Lb1ELb0EPlSB_ZN2at6native12_GLOBAL__N_124unique_dim_cuda_templateIN3c108BFloat16EEESt5tupleIJNSC_6TensorESJ_SJ_EERKSJ_lbbbEUlllE1_EE10hipError_tPvRmT2_T3_mT4_P12ihipStream_tbEUlmE_lEESB_NS0_8identityIvEEEESO_SR_SS_mST_SV_bEUlT_E_NS1_11comp_targetILNS1_3genE5ELNS1_11target_archE942ELNS1_3gpuE9ELNS1_3repE0EEENS1_30default_config_static_selectorELNS0_4arch9wavefront6targetE1EEEvT1_: ; @_ZN7rocprim17ROCPRIM_400000_NS6detail17trampoline_kernelINS0_14default_configENS1_25transform_config_selectorIlLb0EEEZNS1_14transform_implILb0ES3_S5_NS0_18transform_iteratorINS0_17counting_iteratorImlEEZNS1_24adjacent_difference_implIS3_Lb1ELb0EPlSB_ZN2at6native12_GLOBAL__N_124unique_dim_cuda_templateIN3c108BFloat16EEESt5tupleIJNSC_6TensorESJ_SJ_EERKSJ_lbbbEUlllE1_EE10hipError_tPvRmT2_T3_mT4_P12ihipStream_tbEUlmE_lEESB_NS0_8identityIvEEEESO_SR_SS_mST_SV_bEUlT_E_NS1_11comp_targetILNS1_3genE5ELNS1_11target_archE942ELNS1_3gpuE9ELNS1_3repE0EEENS1_30default_config_static_selectorELNS0_4arch9wavefront6targetE1EEEvT1_
; %bb.0:
	.section	.rodata,"a",@progbits
	.p2align	6, 0x0
	.amdhsa_kernel _ZN7rocprim17ROCPRIM_400000_NS6detail17trampoline_kernelINS0_14default_configENS1_25transform_config_selectorIlLb0EEEZNS1_14transform_implILb0ES3_S5_NS0_18transform_iteratorINS0_17counting_iteratorImlEEZNS1_24adjacent_difference_implIS3_Lb1ELb0EPlSB_ZN2at6native12_GLOBAL__N_124unique_dim_cuda_templateIN3c108BFloat16EEESt5tupleIJNSC_6TensorESJ_SJ_EERKSJ_lbbbEUlllE1_EE10hipError_tPvRmT2_T3_mT4_P12ihipStream_tbEUlmE_lEESB_NS0_8identityIvEEEESO_SR_SS_mST_SV_bEUlT_E_NS1_11comp_targetILNS1_3genE5ELNS1_11target_archE942ELNS1_3gpuE9ELNS1_3repE0EEENS1_30default_config_static_selectorELNS0_4arch9wavefront6targetE1EEEvT1_
		.amdhsa_group_segment_fixed_size 0
		.amdhsa_private_segment_fixed_size 0
		.amdhsa_kernarg_size 56
		.amdhsa_user_sgpr_count 2
		.amdhsa_user_sgpr_dispatch_ptr 0
		.amdhsa_user_sgpr_queue_ptr 0
		.amdhsa_user_sgpr_kernarg_segment_ptr 1
		.amdhsa_user_sgpr_dispatch_id 0
		.amdhsa_user_sgpr_kernarg_preload_length 0
		.amdhsa_user_sgpr_kernarg_preload_offset 0
		.amdhsa_user_sgpr_private_segment_size 0
		.amdhsa_uses_dynamic_stack 0
		.amdhsa_enable_private_segment 0
		.amdhsa_system_sgpr_workgroup_id_x 1
		.amdhsa_system_sgpr_workgroup_id_y 0
		.amdhsa_system_sgpr_workgroup_id_z 0
		.amdhsa_system_sgpr_workgroup_info 0
		.amdhsa_system_vgpr_workitem_id 0
		.amdhsa_next_free_vgpr 1
		.amdhsa_next_free_sgpr 0
		.amdhsa_accum_offset 4
		.amdhsa_reserve_vcc 0
		.amdhsa_float_round_mode_32 0
		.amdhsa_float_round_mode_16_64 0
		.amdhsa_float_denorm_mode_32 3
		.amdhsa_float_denorm_mode_16_64 3
		.amdhsa_dx10_clamp 1
		.amdhsa_ieee_mode 1
		.amdhsa_fp16_overflow 0
		.amdhsa_tg_split 0
		.amdhsa_exception_fp_ieee_invalid_op 0
		.amdhsa_exception_fp_denorm_src 0
		.amdhsa_exception_fp_ieee_div_zero 0
		.amdhsa_exception_fp_ieee_overflow 0
		.amdhsa_exception_fp_ieee_underflow 0
		.amdhsa_exception_fp_ieee_inexact 0
		.amdhsa_exception_int_div_zero 0
	.end_amdhsa_kernel
	.section	.text._ZN7rocprim17ROCPRIM_400000_NS6detail17trampoline_kernelINS0_14default_configENS1_25transform_config_selectorIlLb0EEEZNS1_14transform_implILb0ES3_S5_NS0_18transform_iteratorINS0_17counting_iteratorImlEEZNS1_24adjacent_difference_implIS3_Lb1ELb0EPlSB_ZN2at6native12_GLOBAL__N_124unique_dim_cuda_templateIN3c108BFloat16EEESt5tupleIJNSC_6TensorESJ_SJ_EERKSJ_lbbbEUlllE1_EE10hipError_tPvRmT2_T3_mT4_P12ihipStream_tbEUlmE_lEESB_NS0_8identityIvEEEESO_SR_SS_mST_SV_bEUlT_E_NS1_11comp_targetILNS1_3genE5ELNS1_11target_archE942ELNS1_3gpuE9ELNS1_3repE0EEENS1_30default_config_static_selectorELNS0_4arch9wavefront6targetE1EEEvT1_,"axG",@progbits,_ZN7rocprim17ROCPRIM_400000_NS6detail17trampoline_kernelINS0_14default_configENS1_25transform_config_selectorIlLb0EEEZNS1_14transform_implILb0ES3_S5_NS0_18transform_iteratorINS0_17counting_iteratorImlEEZNS1_24adjacent_difference_implIS3_Lb1ELb0EPlSB_ZN2at6native12_GLOBAL__N_124unique_dim_cuda_templateIN3c108BFloat16EEESt5tupleIJNSC_6TensorESJ_SJ_EERKSJ_lbbbEUlllE1_EE10hipError_tPvRmT2_T3_mT4_P12ihipStream_tbEUlmE_lEESB_NS0_8identityIvEEEESO_SR_SS_mST_SV_bEUlT_E_NS1_11comp_targetILNS1_3genE5ELNS1_11target_archE942ELNS1_3gpuE9ELNS1_3repE0EEENS1_30default_config_static_selectorELNS0_4arch9wavefront6targetE1EEEvT1_,comdat
.Lfunc_end1158:
	.size	_ZN7rocprim17ROCPRIM_400000_NS6detail17trampoline_kernelINS0_14default_configENS1_25transform_config_selectorIlLb0EEEZNS1_14transform_implILb0ES3_S5_NS0_18transform_iteratorINS0_17counting_iteratorImlEEZNS1_24adjacent_difference_implIS3_Lb1ELb0EPlSB_ZN2at6native12_GLOBAL__N_124unique_dim_cuda_templateIN3c108BFloat16EEESt5tupleIJNSC_6TensorESJ_SJ_EERKSJ_lbbbEUlllE1_EE10hipError_tPvRmT2_T3_mT4_P12ihipStream_tbEUlmE_lEESB_NS0_8identityIvEEEESO_SR_SS_mST_SV_bEUlT_E_NS1_11comp_targetILNS1_3genE5ELNS1_11target_archE942ELNS1_3gpuE9ELNS1_3repE0EEENS1_30default_config_static_selectorELNS0_4arch9wavefront6targetE1EEEvT1_, .Lfunc_end1158-_ZN7rocprim17ROCPRIM_400000_NS6detail17trampoline_kernelINS0_14default_configENS1_25transform_config_selectorIlLb0EEEZNS1_14transform_implILb0ES3_S5_NS0_18transform_iteratorINS0_17counting_iteratorImlEEZNS1_24adjacent_difference_implIS3_Lb1ELb0EPlSB_ZN2at6native12_GLOBAL__N_124unique_dim_cuda_templateIN3c108BFloat16EEESt5tupleIJNSC_6TensorESJ_SJ_EERKSJ_lbbbEUlllE1_EE10hipError_tPvRmT2_T3_mT4_P12ihipStream_tbEUlmE_lEESB_NS0_8identityIvEEEESO_SR_SS_mST_SV_bEUlT_E_NS1_11comp_targetILNS1_3genE5ELNS1_11target_archE942ELNS1_3gpuE9ELNS1_3repE0EEENS1_30default_config_static_selectorELNS0_4arch9wavefront6targetE1EEEvT1_
                                        ; -- End function
	.set _ZN7rocprim17ROCPRIM_400000_NS6detail17trampoline_kernelINS0_14default_configENS1_25transform_config_selectorIlLb0EEEZNS1_14transform_implILb0ES3_S5_NS0_18transform_iteratorINS0_17counting_iteratorImlEEZNS1_24adjacent_difference_implIS3_Lb1ELb0EPlSB_ZN2at6native12_GLOBAL__N_124unique_dim_cuda_templateIN3c108BFloat16EEESt5tupleIJNSC_6TensorESJ_SJ_EERKSJ_lbbbEUlllE1_EE10hipError_tPvRmT2_T3_mT4_P12ihipStream_tbEUlmE_lEESB_NS0_8identityIvEEEESO_SR_SS_mST_SV_bEUlT_E_NS1_11comp_targetILNS1_3genE5ELNS1_11target_archE942ELNS1_3gpuE9ELNS1_3repE0EEENS1_30default_config_static_selectorELNS0_4arch9wavefront6targetE1EEEvT1_.num_vgpr, 0
	.set _ZN7rocprim17ROCPRIM_400000_NS6detail17trampoline_kernelINS0_14default_configENS1_25transform_config_selectorIlLb0EEEZNS1_14transform_implILb0ES3_S5_NS0_18transform_iteratorINS0_17counting_iteratorImlEEZNS1_24adjacent_difference_implIS3_Lb1ELb0EPlSB_ZN2at6native12_GLOBAL__N_124unique_dim_cuda_templateIN3c108BFloat16EEESt5tupleIJNSC_6TensorESJ_SJ_EERKSJ_lbbbEUlllE1_EE10hipError_tPvRmT2_T3_mT4_P12ihipStream_tbEUlmE_lEESB_NS0_8identityIvEEEESO_SR_SS_mST_SV_bEUlT_E_NS1_11comp_targetILNS1_3genE5ELNS1_11target_archE942ELNS1_3gpuE9ELNS1_3repE0EEENS1_30default_config_static_selectorELNS0_4arch9wavefront6targetE1EEEvT1_.num_agpr, 0
	.set _ZN7rocprim17ROCPRIM_400000_NS6detail17trampoline_kernelINS0_14default_configENS1_25transform_config_selectorIlLb0EEEZNS1_14transform_implILb0ES3_S5_NS0_18transform_iteratorINS0_17counting_iteratorImlEEZNS1_24adjacent_difference_implIS3_Lb1ELb0EPlSB_ZN2at6native12_GLOBAL__N_124unique_dim_cuda_templateIN3c108BFloat16EEESt5tupleIJNSC_6TensorESJ_SJ_EERKSJ_lbbbEUlllE1_EE10hipError_tPvRmT2_T3_mT4_P12ihipStream_tbEUlmE_lEESB_NS0_8identityIvEEEESO_SR_SS_mST_SV_bEUlT_E_NS1_11comp_targetILNS1_3genE5ELNS1_11target_archE942ELNS1_3gpuE9ELNS1_3repE0EEENS1_30default_config_static_selectorELNS0_4arch9wavefront6targetE1EEEvT1_.numbered_sgpr, 0
	.set _ZN7rocprim17ROCPRIM_400000_NS6detail17trampoline_kernelINS0_14default_configENS1_25transform_config_selectorIlLb0EEEZNS1_14transform_implILb0ES3_S5_NS0_18transform_iteratorINS0_17counting_iteratorImlEEZNS1_24adjacent_difference_implIS3_Lb1ELb0EPlSB_ZN2at6native12_GLOBAL__N_124unique_dim_cuda_templateIN3c108BFloat16EEESt5tupleIJNSC_6TensorESJ_SJ_EERKSJ_lbbbEUlllE1_EE10hipError_tPvRmT2_T3_mT4_P12ihipStream_tbEUlmE_lEESB_NS0_8identityIvEEEESO_SR_SS_mST_SV_bEUlT_E_NS1_11comp_targetILNS1_3genE5ELNS1_11target_archE942ELNS1_3gpuE9ELNS1_3repE0EEENS1_30default_config_static_selectorELNS0_4arch9wavefront6targetE1EEEvT1_.num_named_barrier, 0
	.set _ZN7rocprim17ROCPRIM_400000_NS6detail17trampoline_kernelINS0_14default_configENS1_25transform_config_selectorIlLb0EEEZNS1_14transform_implILb0ES3_S5_NS0_18transform_iteratorINS0_17counting_iteratorImlEEZNS1_24adjacent_difference_implIS3_Lb1ELb0EPlSB_ZN2at6native12_GLOBAL__N_124unique_dim_cuda_templateIN3c108BFloat16EEESt5tupleIJNSC_6TensorESJ_SJ_EERKSJ_lbbbEUlllE1_EE10hipError_tPvRmT2_T3_mT4_P12ihipStream_tbEUlmE_lEESB_NS0_8identityIvEEEESO_SR_SS_mST_SV_bEUlT_E_NS1_11comp_targetILNS1_3genE5ELNS1_11target_archE942ELNS1_3gpuE9ELNS1_3repE0EEENS1_30default_config_static_selectorELNS0_4arch9wavefront6targetE1EEEvT1_.private_seg_size, 0
	.set _ZN7rocprim17ROCPRIM_400000_NS6detail17trampoline_kernelINS0_14default_configENS1_25transform_config_selectorIlLb0EEEZNS1_14transform_implILb0ES3_S5_NS0_18transform_iteratorINS0_17counting_iteratorImlEEZNS1_24adjacent_difference_implIS3_Lb1ELb0EPlSB_ZN2at6native12_GLOBAL__N_124unique_dim_cuda_templateIN3c108BFloat16EEESt5tupleIJNSC_6TensorESJ_SJ_EERKSJ_lbbbEUlllE1_EE10hipError_tPvRmT2_T3_mT4_P12ihipStream_tbEUlmE_lEESB_NS0_8identityIvEEEESO_SR_SS_mST_SV_bEUlT_E_NS1_11comp_targetILNS1_3genE5ELNS1_11target_archE942ELNS1_3gpuE9ELNS1_3repE0EEENS1_30default_config_static_selectorELNS0_4arch9wavefront6targetE1EEEvT1_.uses_vcc, 0
	.set _ZN7rocprim17ROCPRIM_400000_NS6detail17trampoline_kernelINS0_14default_configENS1_25transform_config_selectorIlLb0EEEZNS1_14transform_implILb0ES3_S5_NS0_18transform_iteratorINS0_17counting_iteratorImlEEZNS1_24adjacent_difference_implIS3_Lb1ELb0EPlSB_ZN2at6native12_GLOBAL__N_124unique_dim_cuda_templateIN3c108BFloat16EEESt5tupleIJNSC_6TensorESJ_SJ_EERKSJ_lbbbEUlllE1_EE10hipError_tPvRmT2_T3_mT4_P12ihipStream_tbEUlmE_lEESB_NS0_8identityIvEEEESO_SR_SS_mST_SV_bEUlT_E_NS1_11comp_targetILNS1_3genE5ELNS1_11target_archE942ELNS1_3gpuE9ELNS1_3repE0EEENS1_30default_config_static_selectorELNS0_4arch9wavefront6targetE1EEEvT1_.uses_flat_scratch, 0
	.set _ZN7rocprim17ROCPRIM_400000_NS6detail17trampoline_kernelINS0_14default_configENS1_25transform_config_selectorIlLb0EEEZNS1_14transform_implILb0ES3_S5_NS0_18transform_iteratorINS0_17counting_iteratorImlEEZNS1_24adjacent_difference_implIS3_Lb1ELb0EPlSB_ZN2at6native12_GLOBAL__N_124unique_dim_cuda_templateIN3c108BFloat16EEESt5tupleIJNSC_6TensorESJ_SJ_EERKSJ_lbbbEUlllE1_EE10hipError_tPvRmT2_T3_mT4_P12ihipStream_tbEUlmE_lEESB_NS0_8identityIvEEEESO_SR_SS_mST_SV_bEUlT_E_NS1_11comp_targetILNS1_3genE5ELNS1_11target_archE942ELNS1_3gpuE9ELNS1_3repE0EEENS1_30default_config_static_selectorELNS0_4arch9wavefront6targetE1EEEvT1_.has_dyn_sized_stack, 0
	.set _ZN7rocprim17ROCPRIM_400000_NS6detail17trampoline_kernelINS0_14default_configENS1_25transform_config_selectorIlLb0EEEZNS1_14transform_implILb0ES3_S5_NS0_18transform_iteratorINS0_17counting_iteratorImlEEZNS1_24adjacent_difference_implIS3_Lb1ELb0EPlSB_ZN2at6native12_GLOBAL__N_124unique_dim_cuda_templateIN3c108BFloat16EEESt5tupleIJNSC_6TensorESJ_SJ_EERKSJ_lbbbEUlllE1_EE10hipError_tPvRmT2_T3_mT4_P12ihipStream_tbEUlmE_lEESB_NS0_8identityIvEEEESO_SR_SS_mST_SV_bEUlT_E_NS1_11comp_targetILNS1_3genE5ELNS1_11target_archE942ELNS1_3gpuE9ELNS1_3repE0EEENS1_30default_config_static_selectorELNS0_4arch9wavefront6targetE1EEEvT1_.has_recursion, 0
	.set _ZN7rocprim17ROCPRIM_400000_NS6detail17trampoline_kernelINS0_14default_configENS1_25transform_config_selectorIlLb0EEEZNS1_14transform_implILb0ES3_S5_NS0_18transform_iteratorINS0_17counting_iteratorImlEEZNS1_24adjacent_difference_implIS3_Lb1ELb0EPlSB_ZN2at6native12_GLOBAL__N_124unique_dim_cuda_templateIN3c108BFloat16EEESt5tupleIJNSC_6TensorESJ_SJ_EERKSJ_lbbbEUlllE1_EE10hipError_tPvRmT2_T3_mT4_P12ihipStream_tbEUlmE_lEESB_NS0_8identityIvEEEESO_SR_SS_mST_SV_bEUlT_E_NS1_11comp_targetILNS1_3genE5ELNS1_11target_archE942ELNS1_3gpuE9ELNS1_3repE0EEENS1_30default_config_static_selectorELNS0_4arch9wavefront6targetE1EEEvT1_.has_indirect_call, 0
	.section	.AMDGPU.csdata,"",@progbits
; Kernel info:
; codeLenInByte = 0
; TotalNumSgprs: 6
; NumVgprs: 0
; NumAgprs: 0
; TotalNumVgprs: 0
; ScratchSize: 0
; MemoryBound: 0
; FloatMode: 240
; IeeeMode: 1
; LDSByteSize: 0 bytes/workgroup (compile time only)
; SGPRBlocks: 0
; VGPRBlocks: 0
; NumSGPRsForWavesPerEU: 6
; NumVGPRsForWavesPerEU: 1
; AccumOffset: 4
; Occupancy: 8
; WaveLimiterHint : 0
; COMPUTE_PGM_RSRC2:SCRATCH_EN: 0
; COMPUTE_PGM_RSRC2:USER_SGPR: 2
; COMPUTE_PGM_RSRC2:TRAP_HANDLER: 0
; COMPUTE_PGM_RSRC2:TGID_X_EN: 1
; COMPUTE_PGM_RSRC2:TGID_Y_EN: 0
; COMPUTE_PGM_RSRC2:TGID_Z_EN: 0
; COMPUTE_PGM_RSRC2:TIDIG_COMP_CNT: 0
; COMPUTE_PGM_RSRC3_GFX90A:ACCUM_OFFSET: 0
; COMPUTE_PGM_RSRC3_GFX90A:TG_SPLIT: 0
	.section	.text._ZN7rocprim17ROCPRIM_400000_NS6detail17trampoline_kernelINS0_14default_configENS1_25transform_config_selectorIlLb0EEEZNS1_14transform_implILb0ES3_S5_NS0_18transform_iteratorINS0_17counting_iteratorImlEEZNS1_24adjacent_difference_implIS3_Lb1ELb0EPlSB_ZN2at6native12_GLOBAL__N_124unique_dim_cuda_templateIN3c108BFloat16EEESt5tupleIJNSC_6TensorESJ_SJ_EERKSJ_lbbbEUlllE1_EE10hipError_tPvRmT2_T3_mT4_P12ihipStream_tbEUlmE_lEESB_NS0_8identityIvEEEESO_SR_SS_mST_SV_bEUlT_E_NS1_11comp_targetILNS1_3genE4ELNS1_11target_archE910ELNS1_3gpuE8ELNS1_3repE0EEENS1_30default_config_static_selectorELNS0_4arch9wavefront6targetE1EEEvT1_,"axG",@progbits,_ZN7rocprim17ROCPRIM_400000_NS6detail17trampoline_kernelINS0_14default_configENS1_25transform_config_selectorIlLb0EEEZNS1_14transform_implILb0ES3_S5_NS0_18transform_iteratorINS0_17counting_iteratorImlEEZNS1_24adjacent_difference_implIS3_Lb1ELb0EPlSB_ZN2at6native12_GLOBAL__N_124unique_dim_cuda_templateIN3c108BFloat16EEESt5tupleIJNSC_6TensorESJ_SJ_EERKSJ_lbbbEUlllE1_EE10hipError_tPvRmT2_T3_mT4_P12ihipStream_tbEUlmE_lEESB_NS0_8identityIvEEEESO_SR_SS_mST_SV_bEUlT_E_NS1_11comp_targetILNS1_3genE4ELNS1_11target_archE910ELNS1_3gpuE8ELNS1_3repE0EEENS1_30default_config_static_selectorELNS0_4arch9wavefront6targetE1EEEvT1_,comdat
	.globl	_ZN7rocprim17ROCPRIM_400000_NS6detail17trampoline_kernelINS0_14default_configENS1_25transform_config_selectorIlLb0EEEZNS1_14transform_implILb0ES3_S5_NS0_18transform_iteratorINS0_17counting_iteratorImlEEZNS1_24adjacent_difference_implIS3_Lb1ELb0EPlSB_ZN2at6native12_GLOBAL__N_124unique_dim_cuda_templateIN3c108BFloat16EEESt5tupleIJNSC_6TensorESJ_SJ_EERKSJ_lbbbEUlllE1_EE10hipError_tPvRmT2_T3_mT4_P12ihipStream_tbEUlmE_lEESB_NS0_8identityIvEEEESO_SR_SS_mST_SV_bEUlT_E_NS1_11comp_targetILNS1_3genE4ELNS1_11target_archE910ELNS1_3gpuE8ELNS1_3repE0EEENS1_30default_config_static_selectorELNS0_4arch9wavefront6targetE1EEEvT1_ ; -- Begin function _ZN7rocprim17ROCPRIM_400000_NS6detail17trampoline_kernelINS0_14default_configENS1_25transform_config_selectorIlLb0EEEZNS1_14transform_implILb0ES3_S5_NS0_18transform_iteratorINS0_17counting_iteratorImlEEZNS1_24adjacent_difference_implIS3_Lb1ELb0EPlSB_ZN2at6native12_GLOBAL__N_124unique_dim_cuda_templateIN3c108BFloat16EEESt5tupleIJNSC_6TensorESJ_SJ_EERKSJ_lbbbEUlllE1_EE10hipError_tPvRmT2_T3_mT4_P12ihipStream_tbEUlmE_lEESB_NS0_8identityIvEEEESO_SR_SS_mST_SV_bEUlT_E_NS1_11comp_targetILNS1_3genE4ELNS1_11target_archE910ELNS1_3gpuE8ELNS1_3repE0EEENS1_30default_config_static_selectorELNS0_4arch9wavefront6targetE1EEEvT1_
	.p2align	8
	.type	_ZN7rocprim17ROCPRIM_400000_NS6detail17trampoline_kernelINS0_14default_configENS1_25transform_config_selectorIlLb0EEEZNS1_14transform_implILb0ES3_S5_NS0_18transform_iteratorINS0_17counting_iteratorImlEEZNS1_24adjacent_difference_implIS3_Lb1ELb0EPlSB_ZN2at6native12_GLOBAL__N_124unique_dim_cuda_templateIN3c108BFloat16EEESt5tupleIJNSC_6TensorESJ_SJ_EERKSJ_lbbbEUlllE1_EE10hipError_tPvRmT2_T3_mT4_P12ihipStream_tbEUlmE_lEESB_NS0_8identityIvEEEESO_SR_SS_mST_SV_bEUlT_E_NS1_11comp_targetILNS1_3genE4ELNS1_11target_archE910ELNS1_3gpuE8ELNS1_3repE0EEENS1_30default_config_static_selectorELNS0_4arch9wavefront6targetE1EEEvT1_,@function
_ZN7rocprim17ROCPRIM_400000_NS6detail17trampoline_kernelINS0_14default_configENS1_25transform_config_selectorIlLb0EEEZNS1_14transform_implILb0ES3_S5_NS0_18transform_iteratorINS0_17counting_iteratorImlEEZNS1_24adjacent_difference_implIS3_Lb1ELb0EPlSB_ZN2at6native12_GLOBAL__N_124unique_dim_cuda_templateIN3c108BFloat16EEESt5tupleIJNSC_6TensorESJ_SJ_EERKSJ_lbbbEUlllE1_EE10hipError_tPvRmT2_T3_mT4_P12ihipStream_tbEUlmE_lEESB_NS0_8identityIvEEEESO_SR_SS_mST_SV_bEUlT_E_NS1_11comp_targetILNS1_3genE4ELNS1_11target_archE910ELNS1_3gpuE8ELNS1_3repE0EEENS1_30default_config_static_selectorELNS0_4arch9wavefront6targetE1EEEvT1_: ; @_ZN7rocprim17ROCPRIM_400000_NS6detail17trampoline_kernelINS0_14default_configENS1_25transform_config_selectorIlLb0EEEZNS1_14transform_implILb0ES3_S5_NS0_18transform_iteratorINS0_17counting_iteratorImlEEZNS1_24adjacent_difference_implIS3_Lb1ELb0EPlSB_ZN2at6native12_GLOBAL__N_124unique_dim_cuda_templateIN3c108BFloat16EEESt5tupleIJNSC_6TensorESJ_SJ_EERKSJ_lbbbEUlllE1_EE10hipError_tPvRmT2_T3_mT4_P12ihipStream_tbEUlmE_lEESB_NS0_8identityIvEEEESO_SR_SS_mST_SV_bEUlT_E_NS1_11comp_targetILNS1_3genE4ELNS1_11target_archE910ELNS1_3gpuE8ELNS1_3repE0EEENS1_30default_config_static_selectorELNS0_4arch9wavefront6targetE1EEEvT1_
; %bb.0:
	.section	.rodata,"a",@progbits
	.p2align	6, 0x0
	.amdhsa_kernel _ZN7rocprim17ROCPRIM_400000_NS6detail17trampoline_kernelINS0_14default_configENS1_25transform_config_selectorIlLb0EEEZNS1_14transform_implILb0ES3_S5_NS0_18transform_iteratorINS0_17counting_iteratorImlEEZNS1_24adjacent_difference_implIS3_Lb1ELb0EPlSB_ZN2at6native12_GLOBAL__N_124unique_dim_cuda_templateIN3c108BFloat16EEESt5tupleIJNSC_6TensorESJ_SJ_EERKSJ_lbbbEUlllE1_EE10hipError_tPvRmT2_T3_mT4_P12ihipStream_tbEUlmE_lEESB_NS0_8identityIvEEEESO_SR_SS_mST_SV_bEUlT_E_NS1_11comp_targetILNS1_3genE4ELNS1_11target_archE910ELNS1_3gpuE8ELNS1_3repE0EEENS1_30default_config_static_selectorELNS0_4arch9wavefront6targetE1EEEvT1_
		.amdhsa_group_segment_fixed_size 0
		.amdhsa_private_segment_fixed_size 0
		.amdhsa_kernarg_size 56
		.amdhsa_user_sgpr_count 2
		.amdhsa_user_sgpr_dispatch_ptr 0
		.amdhsa_user_sgpr_queue_ptr 0
		.amdhsa_user_sgpr_kernarg_segment_ptr 1
		.amdhsa_user_sgpr_dispatch_id 0
		.amdhsa_user_sgpr_kernarg_preload_length 0
		.amdhsa_user_sgpr_kernarg_preload_offset 0
		.amdhsa_user_sgpr_private_segment_size 0
		.amdhsa_uses_dynamic_stack 0
		.amdhsa_enable_private_segment 0
		.amdhsa_system_sgpr_workgroup_id_x 1
		.amdhsa_system_sgpr_workgroup_id_y 0
		.amdhsa_system_sgpr_workgroup_id_z 0
		.amdhsa_system_sgpr_workgroup_info 0
		.amdhsa_system_vgpr_workitem_id 0
		.amdhsa_next_free_vgpr 1
		.amdhsa_next_free_sgpr 0
		.amdhsa_accum_offset 4
		.amdhsa_reserve_vcc 0
		.amdhsa_float_round_mode_32 0
		.amdhsa_float_round_mode_16_64 0
		.amdhsa_float_denorm_mode_32 3
		.amdhsa_float_denorm_mode_16_64 3
		.amdhsa_dx10_clamp 1
		.amdhsa_ieee_mode 1
		.amdhsa_fp16_overflow 0
		.amdhsa_tg_split 0
		.amdhsa_exception_fp_ieee_invalid_op 0
		.amdhsa_exception_fp_denorm_src 0
		.amdhsa_exception_fp_ieee_div_zero 0
		.amdhsa_exception_fp_ieee_overflow 0
		.amdhsa_exception_fp_ieee_underflow 0
		.amdhsa_exception_fp_ieee_inexact 0
		.amdhsa_exception_int_div_zero 0
	.end_amdhsa_kernel
	.section	.text._ZN7rocprim17ROCPRIM_400000_NS6detail17trampoline_kernelINS0_14default_configENS1_25transform_config_selectorIlLb0EEEZNS1_14transform_implILb0ES3_S5_NS0_18transform_iteratorINS0_17counting_iteratorImlEEZNS1_24adjacent_difference_implIS3_Lb1ELb0EPlSB_ZN2at6native12_GLOBAL__N_124unique_dim_cuda_templateIN3c108BFloat16EEESt5tupleIJNSC_6TensorESJ_SJ_EERKSJ_lbbbEUlllE1_EE10hipError_tPvRmT2_T3_mT4_P12ihipStream_tbEUlmE_lEESB_NS0_8identityIvEEEESO_SR_SS_mST_SV_bEUlT_E_NS1_11comp_targetILNS1_3genE4ELNS1_11target_archE910ELNS1_3gpuE8ELNS1_3repE0EEENS1_30default_config_static_selectorELNS0_4arch9wavefront6targetE1EEEvT1_,"axG",@progbits,_ZN7rocprim17ROCPRIM_400000_NS6detail17trampoline_kernelINS0_14default_configENS1_25transform_config_selectorIlLb0EEEZNS1_14transform_implILb0ES3_S5_NS0_18transform_iteratorINS0_17counting_iteratorImlEEZNS1_24adjacent_difference_implIS3_Lb1ELb0EPlSB_ZN2at6native12_GLOBAL__N_124unique_dim_cuda_templateIN3c108BFloat16EEESt5tupleIJNSC_6TensorESJ_SJ_EERKSJ_lbbbEUlllE1_EE10hipError_tPvRmT2_T3_mT4_P12ihipStream_tbEUlmE_lEESB_NS0_8identityIvEEEESO_SR_SS_mST_SV_bEUlT_E_NS1_11comp_targetILNS1_3genE4ELNS1_11target_archE910ELNS1_3gpuE8ELNS1_3repE0EEENS1_30default_config_static_selectorELNS0_4arch9wavefront6targetE1EEEvT1_,comdat
.Lfunc_end1159:
	.size	_ZN7rocprim17ROCPRIM_400000_NS6detail17trampoline_kernelINS0_14default_configENS1_25transform_config_selectorIlLb0EEEZNS1_14transform_implILb0ES3_S5_NS0_18transform_iteratorINS0_17counting_iteratorImlEEZNS1_24adjacent_difference_implIS3_Lb1ELb0EPlSB_ZN2at6native12_GLOBAL__N_124unique_dim_cuda_templateIN3c108BFloat16EEESt5tupleIJNSC_6TensorESJ_SJ_EERKSJ_lbbbEUlllE1_EE10hipError_tPvRmT2_T3_mT4_P12ihipStream_tbEUlmE_lEESB_NS0_8identityIvEEEESO_SR_SS_mST_SV_bEUlT_E_NS1_11comp_targetILNS1_3genE4ELNS1_11target_archE910ELNS1_3gpuE8ELNS1_3repE0EEENS1_30default_config_static_selectorELNS0_4arch9wavefront6targetE1EEEvT1_, .Lfunc_end1159-_ZN7rocprim17ROCPRIM_400000_NS6detail17trampoline_kernelINS0_14default_configENS1_25transform_config_selectorIlLb0EEEZNS1_14transform_implILb0ES3_S5_NS0_18transform_iteratorINS0_17counting_iteratorImlEEZNS1_24adjacent_difference_implIS3_Lb1ELb0EPlSB_ZN2at6native12_GLOBAL__N_124unique_dim_cuda_templateIN3c108BFloat16EEESt5tupleIJNSC_6TensorESJ_SJ_EERKSJ_lbbbEUlllE1_EE10hipError_tPvRmT2_T3_mT4_P12ihipStream_tbEUlmE_lEESB_NS0_8identityIvEEEESO_SR_SS_mST_SV_bEUlT_E_NS1_11comp_targetILNS1_3genE4ELNS1_11target_archE910ELNS1_3gpuE8ELNS1_3repE0EEENS1_30default_config_static_selectorELNS0_4arch9wavefront6targetE1EEEvT1_
                                        ; -- End function
	.set _ZN7rocprim17ROCPRIM_400000_NS6detail17trampoline_kernelINS0_14default_configENS1_25transform_config_selectorIlLb0EEEZNS1_14transform_implILb0ES3_S5_NS0_18transform_iteratorINS0_17counting_iteratorImlEEZNS1_24adjacent_difference_implIS3_Lb1ELb0EPlSB_ZN2at6native12_GLOBAL__N_124unique_dim_cuda_templateIN3c108BFloat16EEESt5tupleIJNSC_6TensorESJ_SJ_EERKSJ_lbbbEUlllE1_EE10hipError_tPvRmT2_T3_mT4_P12ihipStream_tbEUlmE_lEESB_NS0_8identityIvEEEESO_SR_SS_mST_SV_bEUlT_E_NS1_11comp_targetILNS1_3genE4ELNS1_11target_archE910ELNS1_3gpuE8ELNS1_3repE0EEENS1_30default_config_static_selectorELNS0_4arch9wavefront6targetE1EEEvT1_.num_vgpr, 0
	.set _ZN7rocprim17ROCPRIM_400000_NS6detail17trampoline_kernelINS0_14default_configENS1_25transform_config_selectorIlLb0EEEZNS1_14transform_implILb0ES3_S5_NS0_18transform_iteratorINS0_17counting_iteratorImlEEZNS1_24adjacent_difference_implIS3_Lb1ELb0EPlSB_ZN2at6native12_GLOBAL__N_124unique_dim_cuda_templateIN3c108BFloat16EEESt5tupleIJNSC_6TensorESJ_SJ_EERKSJ_lbbbEUlllE1_EE10hipError_tPvRmT2_T3_mT4_P12ihipStream_tbEUlmE_lEESB_NS0_8identityIvEEEESO_SR_SS_mST_SV_bEUlT_E_NS1_11comp_targetILNS1_3genE4ELNS1_11target_archE910ELNS1_3gpuE8ELNS1_3repE0EEENS1_30default_config_static_selectorELNS0_4arch9wavefront6targetE1EEEvT1_.num_agpr, 0
	.set _ZN7rocprim17ROCPRIM_400000_NS6detail17trampoline_kernelINS0_14default_configENS1_25transform_config_selectorIlLb0EEEZNS1_14transform_implILb0ES3_S5_NS0_18transform_iteratorINS0_17counting_iteratorImlEEZNS1_24adjacent_difference_implIS3_Lb1ELb0EPlSB_ZN2at6native12_GLOBAL__N_124unique_dim_cuda_templateIN3c108BFloat16EEESt5tupleIJNSC_6TensorESJ_SJ_EERKSJ_lbbbEUlllE1_EE10hipError_tPvRmT2_T3_mT4_P12ihipStream_tbEUlmE_lEESB_NS0_8identityIvEEEESO_SR_SS_mST_SV_bEUlT_E_NS1_11comp_targetILNS1_3genE4ELNS1_11target_archE910ELNS1_3gpuE8ELNS1_3repE0EEENS1_30default_config_static_selectorELNS0_4arch9wavefront6targetE1EEEvT1_.numbered_sgpr, 0
	.set _ZN7rocprim17ROCPRIM_400000_NS6detail17trampoline_kernelINS0_14default_configENS1_25transform_config_selectorIlLb0EEEZNS1_14transform_implILb0ES3_S5_NS0_18transform_iteratorINS0_17counting_iteratorImlEEZNS1_24adjacent_difference_implIS3_Lb1ELb0EPlSB_ZN2at6native12_GLOBAL__N_124unique_dim_cuda_templateIN3c108BFloat16EEESt5tupleIJNSC_6TensorESJ_SJ_EERKSJ_lbbbEUlllE1_EE10hipError_tPvRmT2_T3_mT4_P12ihipStream_tbEUlmE_lEESB_NS0_8identityIvEEEESO_SR_SS_mST_SV_bEUlT_E_NS1_11comp_targetILNS1_3genE4ELNS1_11target_archE910ELNS1_3gpuE8ELNS1_3repE0EEENS1_30default_config_static_selectorELNS0_4arch9wavefront6targetE1EEEvT1_.num_named_barrier, 0
	.set _ZN7rocprim17ROCPRIM_400000_NS6detail17trampoline_kernelINS0_14default_configENS1_25transform_config_selectorIlLb0EEEZNS1_14transform_implILb0ES3_S5_NS0_18transform_iteratorINS0_17counting_iteratorImlEEZNS1_24adjacent_difference_implIS3_Lb1ELb0EPlSB_ZN2at6native12_GLOBAL__N_124unique_dim_cuda_templateIN3c108BFloat16EEESt5tupleIJNSC_6TensorESJ_SJ_EERKSJ_lbbbEUlllE1_EE10hipError_tPvRmT2_T3_mT4_P12ihipStream_tbEUlmE_lEESB_NS0_8identityIvEEEESO_SR_SS_mST_SV_bEUlT_E_NS1_11comp_targetILNS1_3genE4ELNS1_11target_archE910ELNS1_3gpuE8ELNS1_3repE0EEENS1_30default_config_static_selectorELNS0_4arch9wavefront6targetE1EEEvT1_.private_seg_size, 0
	.set _ZN7rocprim17ROCPRIM_400000_NS6detail17trampoline_kernelINS0_14default_configENS1_25transform_config_selectorIlLb0EEEZNS1_14transform_implILb0ES3_S5_NS0_18transform_iteratorINS0_17counting_iteratorImlEEZNS1_24adjacent_difference_implIS3_Lb1ELb0EPlSB_ZN2at6native12_GLOBAL__N_124unique_dim_cuda_templateIN3c108BFloat16EEESt5tupleIJNSC_6TensorESJ_SJ_EERKSJ_lbbbEUlllE1_EE10hipError_tPvRmT2_T3_mT4_P12ihipStream_tbEUlmE_lEESB_NS0_8identityIvEEEESO_SR_SS_mST_SV_bEUlT_E_NS1_11comp_targetILNS1_3genE4ELNS1_11target_archE910ELNS1_3gpuE8ELNS1_3repE0EEENS1_30default_config_static_selectorELNS0_4arch9wavefront6targetE1EEEvT1_.uses_vcc, 0
	.set _ZN7rocprim17ROCPRIM_400000_NS6detail17trampoline_kernelINS0_14default_configENS1_25transform_config_selectorIlLb0EEEZNS1_14transform_implILb0ES3_S5_NS0_18transform_iteratorINS0_17counting_iteratorImlEEZNS1_24adjacent_difference_implIS3_Lb1ELb0EPlSB_ZN2at6native12_GLOBAL__N_124unique_dim_cuda_templateIN3c108BFloat16EEESt5tupleIJNSC_6TensorESJ_SJ_EERKSJ_lbbbEUlllE1_EE10hipError_tPvRmT2_T3_mT4_P12ihipStream_tbEUlmE_lEESB_NS0_8identityIvEEEESO_SR_SS_mST_SV_bEUlT_E_NS1_11comp_targetILNS1_3genE4ELNS1_11target_archE910ELNS1_3gpuE8ELNS1_3repE0EEENS1_30default_config_static_selectorELNS0_4arch9wavefront6targetE1EEEvT1_.uses_flat_scratch, 0
	.set _ZN7rocprim17ROCPRIM_400000_NS6detail17trampoline_kernelINS0_14default_configENS1_25transform_config_selectorIlLb0EEEZNS1_14transform_implILb0ES3_S5_NS0_18transform_iteratorINS0_17counting_iteratorImlEEZNS1_24adjacent_difference_implIS3_Lb1ELb0EPlSB_ZN2at6native12_GLOBAL__N_124unique_dim_cuda_templateIN3c108BFloat16EEESt5tupleIJNSC_6TensorESJ_SJ_EERKSJ_lbbbEUlllE1_EE10hipError_tPvRmT2_T3_mT4_P12ihipStream_tbEUlmE_lEESB_NS0_8identityIvEEEESO_SR_SS_mST_SV_bEUlT_E_NS1_11comp_targetILNS1_3genE4ELNS1_11target_archE910ELNS1_3gpuE8ELNS1_3repE0EEENS1_30default_config_static_selectorELNS0_4arch9wavefront6targetE1EEEvT1_.has_dyn_sized_stack, 0
	.set _ZN7rocprim17ROCPRIM_400000_NS6detail17trampoline_kernelINS0_14default_configENS1_25transform_config_selectorIlLb0EEEZNS1_14transform_implILb0ES3_S5_NS0_18transform_iteratorINS0_17counting_iteratorImlEEZNS1_24adjacent_difference_implIS3_Lb1ELb0EPlSB_ZN2at6native12_GLOBAL__N_124unique_dim_cuda_templateIN3c108BFloat16EEESt5tupleIJNSC_6TensorESJ_SJ_EERKSJ_lbbbEUlllE1_EE10hipError_tPvRmT2_T3_mT4_P12ihipStream_tbEUlmE_lEESB_NS0_8identityIvEEEESO_SR_SS_mST_SV_bEUlT_E_NS1_11comp_targetILNS1_3genE4ELNS1_11target_archE910ELNS1_3gpuE8ELNS1_3repE0EEENS1_30default_config_static_selectorELNS0_4arch9wavefront6targetE1EEEvT1_.has_recursion, 0
	.set _ZN7rocprim17ROCPRIM_400000_NS6detail17trampoline_kernelINS0_14default_configENS1_25transform_config_selectorIlLb0EEEZNS1_14transform_implILb0ES3_S5_NS0_18transform_iteratorINS0_17counting_iteratorImlEEZNS1_24adjacent_difference_implIS3_Lb1ELb0EPlSB_ZN2at6native12_GLOBAL__N_124unique_dim_cuda_templateIN3c108BFloat16EEESt5tupleIJNSC_6TensorESJ_SJ_EERKSJ_lbbbEUlllE1_EE10hipError_tPvRmT2_T3_mT4_P12ihipStream_tbEUlmE_lEESB_NS0_8identityIvEEEESO_SR_SS_mST_SV_bEUlT_E_NS1_11comp_targetILNS1_3genE4ELNS1_11target_archE910ELNS1_3gpuE8ELNS1_3repE0EEENS1_30default_config_static_selectorELNS0_4arch9wavefront6targetE1EEEvT1_.has_indirect_call, 0
	.section	.AMDGPU.csdata,"",@progbits
; Kernel info:
; codeLenInByte = 0
; TotalNumSgprs: 6
; NumVgprs: 0
; NumAgprs: 0
; TotalNumVgprs: 0
; ScratchSize: 0
; MemoryBound: 0
; FloatMode: 240
; IeeeMode: 1
; LDSByteSize: 0 bytes/workgroup (compile time only)
; SGPRBlocks: 0
; VGPRBlocks: 0
; NumSGPRsForWavesPerEU: 6
; NumVGPRsForWavesPerEU: 1
; AccumOffset: 4
; Occupancy: 8
; WaveLimiterHint : 0
; COMPUTE_PGM_RSRC2:SCRATCH_EN: 0
; COMPUTE_PGM_RSRC2:USER_SGPR: 2
; COMPUTE_PGM_RSRC2:TRAP_HANDLER: 0
; COMPUTE_PGM_RSRC2:TGID_X_EN: 1
; COMPUTE_PGM_RSRC2:TGID_Y_EN: 0
; COMPUTE_PGM_RSRC2:TGID_Z_EN: 0
; COMPUTE_PGM_RSRC2:TIDIG_COMP_CNT: 0
; COMPUTE_PGM_RSRC3_GFX90A:ACCUM_OFFSET: 0
; COMPUTE_PGM_RSRC3_GFX90A:TG_SPLIT: 0
	.section	.text._ZN7rocprim17ROCPRIM_400000_NS6detail17trampoline_kernelINS0_14default_configENS1_25transform_config_selectorIlLb0EEEZNS1_14transform_implILb0ES3_S5_NS0_18transform_iteratorINS0_17counting_iteratorImlEEZNS1_24adjacent_difference_implIS3_Lb1ELb0EPlSB_ZN2at6native12_GLOBAL__N_124unique_dim_cuda_templateIN3c108BFloat16EEESt5tupleIJNSC_6TensorESJ_SJ_EERKSJ_lbbbEUlllE1_EE10hipError_tPvRmT2_T3_mT4_P12ihipStream_tbEUlmE_lEESB_NS0_8identityIvEEEESO_SR_SS_mST_SV_bEUlT_E_NS1_11comp_targetILNS1_3genE3ELNS1_11target_archE908ELNS1_3gpuE7ELNS1_3repE0EEENS1_30default_config_static_selectorELNS0_4arch9wavefront6targetE1EEEvT1_,"axG",@progbits,_ZN7rocprim17ROCPRIM_400000_NS6detail17trampoline_kernelINS0_14default_configENS1_25transform_config_selectorIlLb0EEEZNS1_14transform_implILb0ES3_S5_NS0_18transform_iteratorINS0_17counting_iteratorImlEEZNS1_24adjacent_difference_implIS3_Lb1ELb0EPlSB_ZN2at6native12_GLOBAL__N_124unique_dim_cuda_templateIN3c108BFloat16EEESt5tupleIJNSC_6TensorESJ_SJ_EERKSJ_lbbbEUlllE1_EE10hipError_tPvRmT2_T3_mT4_P12ihipStream_tbEUlmE_lEESB_NS0_8identityIvEEEESO_SR_SS_mST_SV_bEUlT_E_NS1_11comp_targetILNS1_3genE3ELNS1_11target_archE908ELNS1_3gpuE7ELNS1_3repE0EEENS1_30default_config_static_selectorELNS0_4arch9wavefront6targetE1EEEvT1_,comdat
	.globl	_ZN7rocprim17ROCPRIM_400000_NS6detail17trampoline_kernelINS0_14default_configENS1_25transform_config_selectorIlLb0EEEZNS1_14transform_implILb0ES3_S5_NS0_18transform_iteratorINS0_17counting_iteratorImlEEZNS1_24adjacent_difference_implIS3_Lb1ELb0EPlSB_ZN2at6native12_GLOBAL__N_124unique_dim_cuda_templateIN3c108BFloat16EEESt5tupleIJNSC_6TensorESJ_SJ_EERKSJ_lbbbEUlllE1_EE10hipError_tPvRmT2_T3_mT4_P12ihipStream_tbEUlmE_lEESB_NS0_8identityIvEEEESO_SR_SS_mST_SV_bEUlT_E_NS1_11comp_targetILNS1_3genE3ELNS1_11target_archE908ELNS1_3gpuE7ELNS1_3repE0EEENS1_30default_config_static_selectorELNS0_4arch9wavefront6targetE1EEEvT1_ ; -- Begin function _ZN7rocprim17ROCPRIM_400000_NS6detail17trampoline_kernelINS0_14default_configENS1_25transform_config_selectorIlLb0EEEZNS1_14transform_implILb0ES3_S5_NS0_18transform_iteratorINS0_17counting_iteratorImlEEZNS1_24adjacent_difference_implIS3_Lb1ELb0EPlSB_ZN2at6native12_GLOBAL__N_124unique_dim_cuda_templateIN3c108BFloat16EEESt5tupleIJNSC_6TensorESJ_SJ_EERKSJ_lbbbEUlllE1_EE10hipError_tPvRmT2_T3_mT4_P12ihipStream_tbEUlmE_lEESB_NS0_8identityIvEEEESO_SR_SS_mST_SV_bEUlT_E_NS1_11comp_targetILNS1_3genE3ELNS1_11target_archE908ELNS1_3gpuE7ELNS1_3repE0EEENS1_30default_config_static_selectorELNS0_4arch9wavefront6targetE1EEEvT1_
	.p2align	8
	.type	_ZN7rocprim17ROCPRIM_400000_NS6detail17trampoline_kernelINS0_14default_configENS1_25transform_config_selectorIlLb0EEEZNS1_14transform_implILb0ES3_S5_NS0_18transform_iteratorINS0_17counting_iteratorImlEEZNS1_24adjacent_difference_implIS3_Lb1ELb0EPlSB_ZN2at6native12_GLOBAL__N_124unique_dim_cuda_templateIN3c108BFloat16EEESt5tupleIJNSC_6TensorESJ_SJ_EERKSJ_lbbbEUlllE1_EE10hipError_tPvRmT2_T3_mT4_P12ihipStream_tbEUlmE_lEESB_NS0_8identityIvEEEESO_SR_SS_mST_SV_bEUlT_E_NS1_11comp_targetILNS1_3genE3ELNS1_11target_archE908ELNS1_3gpuE7ELNS1_3repE0EEENS1_30default_config_static_selectorELNS0_4arch9wavefront6targetE1EEEvT1_,@function
_ZN7rocprim17ROCPRIM_400000_NS6detail17trampoline_kernelINS0_14default_configENS1_25transform_config_selectorIlLb0EEEZNS1_14transform_implILb0ES3_S5_NS0_18transform_iteratorINS0_17counting_iteratorImlEEZNS1_24adjacent_difference_implIS3_Lb1ELb0EPlSB_ZN2at6native12_GLOBAL__N_124unique_dim_cuda_templateIN3c108BFloat16EEESt5tupleIJNSC_6TensorESJ_SJ_EERKSJ_lbbbEUlllE1_EE10hipError_tPvRmT2_T3_mT4_P12ihipStream_tbEUlmE_lEESB_NS0_8identityIvEEEESO_SR_SS_mST_SV_bEUlT_E_NS1_11comp_targetILNS1_3genE3ELNS1_11target_archE908ELNS1_3gpuE7ELNS1_3repE0EEENS1_30default_config_static_selectorELNS0_4arch9wavefront6targetE1EEEvT1_: ; @_ZN7rocprim17ROCPRIM_400000_NS6detail17trampoline_kernelINS0_14default_configENS1_25transform_config_selectorIlLb0EEEZNS1_14transform_implILb0ES3_S5_NS0_18transform_iteratorINS0_17counting_iteratorImlEEZNS1_24adjacent_difference_implIS3_Lb1ELb0EPlSB_ZN2at6native12_GLOBAL__N_124unique_dim_cuda_templateIN3c108BFloat16EEESt5tupleIJNSC_6TensorESJ_SJ_EERKSJ_lbbbEUlllE1_EE10hipError_tPvRmT2_T3_mT4_P12ihipStream_tbEUlmE_lEESB_NS0_8identityIvEEEESO_SR_SS_mST_SV_bEUlT_E_NS1_11comp_targetILNS1_3genE3ELNS1_11target_archE908ELNS1_3gpuE7ELNS1_3repE0EEENS1_30default_config_static_selectorELNS0_4arch9wavefront6targetE1EEEvT1_
; %bb.0:
	.section	.rodata,"a",@progbits
	.p2align	6, 0x0
	.amdhsa_kernel _ZN7rocprim17ROCPRIM_400000_NS6detail17trampoline_kernelINS0_14default_configENS1_25transform_config_selectorIlLb0EEEZNS1_14transform_implILb0ES3_S5_NS0_18transform_iteratorINS0_17counting_iteratorImlEEZNS1_24adjacent_difference_implIS3_Lb1ELb0EPlSB_ZN2at6native12_GLOBAL__N_124unique_dim_cuda_templateIN3c108BFloat16EEESt5tupleIJNSC_6TensorESJ_SJ_EERKSJ_lbbbEUlllE1_EE10hipError_tPvRmT2_T3_mT4_P12ihipStream_tbEUlmE_lEESB_NS0_8identityIvEEEESO_SR_SS_mST_SV_bEUlT_E_NS1_11comp_targetILNS1_3genE3ELNS1_11target_archE908ELNS1_3gpuE7ELNS1_3repE0EEENS1_30default_config_static_selectorELNS0_4arch9wavefront6targetE1EEEvT1_
		.amdhsa_group_segment_fixed_size 0
		.amdhsa_private_segment_fixed_size 0
		.amdhsa_kernarg_size 56
		.amdhsa_user_sgpr_count 2
		.amdhsa_user_sgpr_dispatch_ptr 0
		.amdhsa_user_sgpr_queue_ptr 0
		.amdhsa_user_sgpr_kernarg_segment_ptr 1
		.amdhsa_user_sgpr_dispatch_id 0
		.amdhsa_user_sgpr_kernarg_preload_length 0
		.amdhsa_user_sgpr_kernarg_preload_offset 0
		.amdhsa_user_sgpr_private_segment_size 0
		.amdhsa_uses_dynamic_stack 0
		.amdhsa_enable_private_segment 0
		.amdhsa_system_sgpr_workgroup_id_x 1
		.amdhsa_system_sgpr_workgroup_id_y 0
		.amdhsa_system_sgpr_workgroup_id_z 0
		.amdhsa_system_sgpr_workgroup_info 0
		.amdhsa_system_vgpr_workitem_id 0
		.amdhsa_next_free_vgpr 1
		.amdhsa_next_free_sgpr 0
		.amdhsa_accum_offset 4
		.amdhsa_reserve_vcc 0
		.amdhsa_float_round_mode_32 0
		.amdhsa_float_round_mode_16_64 0
		.amdhsa_float_denorm_mode_32 3
		.amdhsa_float_denorm_mode_16_64 3
		.amdhsa_dx10_clamp 1
		.amdhsa_ieee_mode 1
		.amdhsa_fp16_overflow 0
		.amdhsa_tg_split 0
		.amdhsa_exception_fp_ieee_invalid_op 0
		.amdhsa_exception_fp_denorm_src 0
		.amdhsa_exception_fp_ieee_div_zero 0
		.amdhsa_exception_fp_ieee_overflow 0
		.amdhsa_exception_fp_ieee_underflow 0
		.amdhsa_exception_fp_ieee_inexact 0
		.amdhsa_exception_int_div_zero 0
	.end_amdhsa_kernel
	.section	.text._ZN7rocprim17ROCPRIM_400000_NS6detail17trampoline_kernelINS0_14default_configENS1_25transform_config_selectorIlLb0EEEZNS1_14transform_implILb0ES3_S5_NS0_18transform_iteratorINS0_17counting_iteratorImlEEZNS1_24adjacent_difference_implIS3_Lb1ELb0EPlSB_ZN2at6native12_GLOBAL__N_124unique_dim_cuda_templateIN3c108BFloat16EEESt5tupleIJNSC_6TensorESJ_SJ_EERKSJ_lbbbEUlllE1_EE10hipError_tPvRmT2_T3_mT4_P12ihipStream_tbEUlmE_lEESB_NS0_8identityIvEEEESO_SR_SS_mST_SV_bEUlT_E_NS1_11comp_targetILNS1_3genE3ELNS1_11target_archE908ELNS1_3gpuE7ELNS1_3repE0EEENS1_30default_config_static_selectorELNS0_4arch9wavefront6targetE1EEEvT1_,"axG",@progbits,_ZN7rocprim17ROCPRIM_400000_NS6detail17trampoline_kernelINS0_14default_configENS1_25transform_config_selectorIlLb0EEEZNS1_14transform_implILb0ES3_S5_NS0_18transform_iteratorINS0_17counting_iteratorImlEEZNS1_24adjacent_difference_implIS3_Lb1ELb0EPlSB_ZN2at6native12_GLOBAL__N_124unique_dim_cuda_templateIN3c108BFloat16EEESt5tupleIJNSC_6TensorESJ_SJ_EERKSJ_lbbbEUlllE1_EE10hipError_tPvRmT2_T3_mT4_P12ihipStream_tbEUlmE_lEESB_NS0_8identityIvEEEESO_SR_SS_mST_SV_bEUlT_E_NS1_11comp_targetILNS1_3genE3ELNS1_11target_archE908ELNS1_3gpuE7ELNS1_3repE0EEENS1_30default_config_static_selectorELNS0_4arch9wavefront6targetE1EEEvT1_,comdat
.Lfunc_end1160:
	.size	_ZN7rocprim17ROCPRIM_400000_NS6detail17trampoline_kernelINS0_14default_configENS1_25transform_config_selectorIlLb0EEEZNS1_14transform_implILb0ES3_S5_NS0_18transform_iteratorINS0_17counting_iteratorImlEEZNS1_24adjacent_difference_implIS3_Lb1ELb0EPlSB_ZN2at6native12_GLOBAL__N_124unique_dim_cuda_templateIN3c108BFloat16EEESt5tupleIJNSC_6TensorESJ_SJ_EERKSJ_lbbbEUlllE1_EE10hipError_tPvRmT2_T3_mT4_P12ihipStream_tbEUlmE_lEESB_NS0_8identityIvEEEESO_SR_SS_mST_SV_bEUlT_E_NS1_11comp_targetILNS1_3genE3ELNS1_11target_archE908ELNS1_3gpuE7ELNS1_3repE0EEENS1_30default_config_static_selectorELNS0_4arch9wavefront6targetE1EEEvT1_, .Lfunc_end1160-_ZN7rocprim17ROCPRIM_400000_NS6detail17trampoline_kernelINS0_14default_configENS1_25transform_config_selectorIlLb0EEEZNS1_14transform_implILb0ES3_S5_NS0_18transform_iteratorINS0_17counting_iteratorImlEEZNS1_24adjacent_difference_implIS3_Lb1ELb0EPlSB_ZN2at6native12_GLOBAL__N_124unique_dim_cuda_templateIN3c108BFloat16EEESt5tupleIJNSC_6TensorESJ_SJ_EERKSJ_lbbbEUlllE1_EE10hipError_tPvRmT2_T3_mT4_P12ihipStream_tbEUlmE_lEESB_NS0_8identityIvEEEESO_SR_SS_mST_SV_bEUlT_E_NS1_11comp_targetILNS1_3genE3ELNS1_11target_archE908ELNS1_3gpuE7ELNS1_3repE0EEENS1_30default_config_static_selectorELNS0_4arch9wavefront6targetE1EEEvT1_
                                        ; -- End function
	.set _ZN7rocprim17ROCPRIM_400000_NS6detail17trampoline_kernelINS0_14default_configENS1_25transform_config_selectorIlLb0EEEZNS1_14transform_implILb0ES3_S5_NS0_18transform_iteratorINS0_17counting_iteratorImlEEZNS1_24adjacent_difference_implIS3_Lb1ELb0EPlSB_ZN2at6native12_GLOBAL__N_124unique_dim_cuda_templateIN3c108BFloat16EEESt5tupleIJNSC_6TensorESJ_SJ_EERKSJ_lbbbEUlllE1_EE10hipError_tPvRmT2_T3_mT4_P12ihipStream_tbEUlmE_lEESB_NS0_8identityIvEEEESO_SR_SS_mST_SV_bEUlT_E_NS1_11comp_targetILNS1_3genE3ELNS1_11target_archE908ELNS1_3gpuE7ELNS1_3repE0EEENS1_30default_config_static_selectorELNS0_4arch9wavefront6targetE1EEEvT1_.num_vgpr, 0
	.set _ZN7rocprim17ROCPRIM_400000_NS6detail17trampoline_kernelINS0_14default_configENS1_25transform_config_selectorIlLb0EEEZNS1_14transform_implILb0ES3_S5_NS0_18transform_iteratorINS0_17counting_iteratorImlEEZNS1_24adjacent_difference_implIS3_Lb1ELb0EPlSB_ZN2at6native12_GLOBAL__N_124unique_dim_cuda_templateIN3c108BFloat16EEESt5tupleIJNSC_6TensorESJ_SJ_EERKSJ_lbbbEUlllE1_EE10hipError_tPvRmT2_T3_mT4_P12ihipStream_tbEUlmE_lEESB_NS0_8identityIvEEEESO_SR_SS_mST_SV_bEUlT_E_NS1_11comp_targetILNS1_3genE3ELNS1_11target_archE908ELNS1_3gpuE7ELNS1_3repE0EEENS1_30default_config_static_selectorELNS0_4arch9wavefront6targetE1EEEvT1_.num_agpr, 0
	.set _ZN7rocprim17ROCPRIM_400000_NS6detail17trampoline_kernelINS0_14default_configENS1_25transform_config_selectorIlLb0EEEZNS1_14transform_implILb0ES3_S5_NS0_18transform_iteratorINS0_17counting_iteratorImlEEZNS1_24adjacent_difference_implIS3_Lb1ELb0EPlSB_ZN2at6native12_GLOBAL__N_124unique_dim_cuda_templateIN3c108BFloat16EEESt5tupleIJNSC_6TensorESJ_SJ_EERKSJ_lbbbEUlllE1_EE10hipError_tPvRmT2_T3_mT4_P12ihipStream_tbEUlmE_lEESB_NS0_8identityIvEEEESO_SR_SS_mST_SV_bEUlT_E_NS1_11comp_targetILNS1_3genE3ELNS1_11target_archE908ELNS1_3gpuE7ELNS1_3repE0EEENS1_30default_config_static_selectorELNS0_4arch9wavefront6targetE1EEEvT1_.numbered_sgpr, 0
	.set _ZN7rocprim17ROCPRIM_400000_NS6detail17trampoline_kernelINS0_14default_configENS1_25transform_config_selectorIlLb0EEEZNS1_14transform_implILb0ES3_S5_NS0_18transform_iteratorINS0_17counting_iteratorImlEEZNS1_24adjacent_difference_implIS3_Lb1ELb0EPlSB_ZN2at6native12_GLOBAL__N_124unique_dim_cuda_templateIN3c108BFloat16EEESt5tupleIJNSC_6TensorESJ_SJ_EERKSJ_lbbbEUlllE1_EE10hipError_tPvRmT2_T3_mT4_P12ihipStream_tbEUlmE_lEESB_NS0_8identityIvEEEESO_SR_SS_mST_SV_bEUlT_E_NS1_11comp_targetILNS1_3genE3ELNS1_11target_archE908ELNS1_3gpuE7ELNS1_3repE0EEENS1_30default_config_static_selectorELNS0_4arch9wavefront6targetE1EEEvT1_.num_named_barrier, 0
	.set _ZN7rocprim17ROCPRIM_400000_NS6detail17trampoline_kernelINS0_14default_configENS1_25transform_config_selectorIlLb0EEEZNS1_14transform_implILb0ES3_S5_NS0_18transform_iteratorINS0_17counting_iteratorImlEEZNS1_24adjacent_difference_implIS3_Lb1ELb0EPlSB_ZN2at6native12_GLOBAL__N_124unique_dim_cuda_templateIN3c108BFloat16EEESt5tupleIJNSC_6TensorESJ_SJ_EERKSJ_lbbbEUlllE1_EE10hipError_tPvRmT2_T3_mT4_P12ihipStream_tbEUlmE_lEESB_NS0_8identityIvEEEESO_SR_SS_mST_SV_bEUlT_E_NS1_11comp_targetILNS1_3genE3ELNS1_11target_archE908ELNS1_3gpuE7ELNS1_3repE0EEENS1_30default_config_static_selectorELNS0_4arch9wavefront6targetE1EEEvT1_.private_seg_size, 0
	.set _ZN7rocprim17ROCPRIM_400000_NS6detail17trampoline_kernelINS0_14default_configENS1_25transform_config_selectorIlLb0EEEZNS1_14transform_implILb0ES3_S5_NS0_18transform_iteratorINS0_17counting_iteratorImlEEZNS1_24adjacent_difference_implIS3_Lb1ELb0EPlSB_ZN2at6native12_GLOBAL__N_124unique_dim_cuda_templateIN3c108BFloat16EEESt5tupleIJNSC_6TensorESJ_SJ_EERKSJ_lbbbEUlllE1_EE10hipError_tPvRmT2_T3_mT4_P12ihipStream_tbEUlmE_lEESB_NS0_8identityIvEEEESO_SR_SS_mST_SV_bEUlT_E_NS1_11comp_targetILNS1_3genE3ELNS1_11target_archE908ELNS1_3gpuE7ELNS1_3repE0EEENS1_30default_config_static_selectorELNS0_4arch9wavefront6targetE1EEEvT1_.uses_vcc, 0
	.set _ZN7rocprim17ROCPRIM_400000_NS6detail17trampoline_kernelINS0_14default_configENS1_25transform_config_selectorIlLb0EEEZNS1_14transform_implILb0ES3_S5_NS0_18transform_iteratorINS0_17counting_iteratorImlEEZNS1_24adjacent_difference_implIS3_Lb1ELb0EPlSB_ZN2at6native12_GLOBAL__N_124unique_dim_cuda_templateIN3c108BFloat16EEESt5tupleIJNSC_6TensorESJ_SJ_EERKSJ_lbbbEUlllE1_EE10hipError_tPvRmT2_T3_mT4_P12ihipStream_tbEUlmE_lEESB_NS0_8identityIvEEEESO_SR_SS_mST_SV_bEUlT_E_NS1_11comp_targetILNS1_3genE3ELNS1_11target_archE908ELNS1_3gpuE7ELNS1_3repE0EEENS1_30default_config_static_selectorELNS0_4arch9wavefront6targetE1EEEvT1_.uses_flat_scratch, 0
	.set _ZN7rocprim17ROCPRIM_400000_NS6detail17trampoline_kernelINS0_14default_configENS1_25transform_config_selectorIlLb0EEEZNS1_14transform_implILb0ES3_S5_NS0_18transform_iteratorINS0_17counting_iteratorImlEEZNS1_24adjacent_difference_implIS3_Lb1ELb0EPlSB_ZN2at6native12_GLOBAL__N_124unique_dim_cuda_templateIN3c108BFloat16EEESt5tupleIJNSC_6TensorESJ_SJ_EERKSJ_lbbbEUlllE1_EE10hipError_tPvRmT2_T3_mT4_P12ihipStream_tbEUlmE_lEESB_NS0_8identityIvEEEESO_SR_SS_mST_SV_bEUlT_E_NS1_11comp_targetILNS1_3genE3ELNS1_11target_archE908ELNS1_3gpuE7ELNS1_3repE0EEENS1_30default_config_static_selectorELNS0_4arch9wavefront6targetE1EEEvT1_.has_dyn_sized_stack, 0
	.set _ZN7rocprim17ROCPRIM_400000_NS6detail17trampoline_kernelINS0_14default_configENS1_25transform_config_selectorIlLb0EEEZNS1_14transform_implILb0ES3_S5_NS0_18transform_iteratorINS0_17counting_iteratorImlEEZNS1_24adjacent_difference_implIS3_Lb1ELb0EPlSB_ZN2at6native12_GLOBAL__N_124unique_dim_cuda_templateIN3c108BFloat16EEESt5tupleIJNSC_6TensorESJ_SJ_EERKSJ_lbbbEUlllE1_EE10hipError_tPvRmT2_T3_mT4_P12ihipStream_tbEUlmE_lEESB_NS0_8identityIvEEEESO_SR_SS_mST_SV_bEUlT_E_NS1_11comp_targetILNS1_3genE3ELNS1_11target_archE908ELNS1_3gpuE7ELNS1_3repE0EEENS1_30default_config_static_selectorELNS0_4arch9wavefront6targetE1EEEvT1_.has_recursion, 0
	.set _ZN7rocprim17ROCPRIM_400000_NS6detail17trampoline_kernelINS0_14default_configENS1_25transform_config_selectorIlLb0EEEZNS1_14transform_implILb0ES3_S5_NS0_18transform_iteratorINS0_17counting_iteratorImlEEZNS1_24adjacent_difference_implIS3_Lb1ELb0EPlSB_ZN2at6native12_GLOBAL__N_124unique_dim_cuda_templateIN3c108BFloat16EEESt5tupleIJNSC_6TensorESJ_SJ_EERKSJ_lbbbEUlllE1_EE10hipError_tPvRmT2_T3_mT4_P12ihipStream_tbEUlmE_lEESB_NS0_8identityIvEEEESO_SR_SS_mST_SV_bEUlT_E_NS1_11comp_targetILNS1_3genE3ELNS1_11target_archE908ELNS1_3gpuE7ELNS1_3repE0EEENS1_30default_config_static_selectorELNS0_4arch9wavefront6targetE1EEEvT1_.has_indirect_call, 0
	.section	.AMDGPU.csdata,"",@progbits
; Kernel info:
; codeLenInByte = 0
; TotalNumSgprs: 6
; NumVgprs: 0
; NumAgprs: 0
; TotalNumVgprs: 0
; ScratchSize: 0
; MemoryBound: 0
; FloatMode: 240
; IeeeMode: 1
; LDSByteSize: 0 bytes/workgroup (compile time only)
; SGPRBlocks: 0
; VGPRBlocks: 0
; NumSGPRsForWavesPerEU: 6
; NumVGPRsForWavesPerEU: 1
; AccumOffset: 4
; Occupancy: 8
; WaveLimiterHint : 0
; COMPUTE_PGM_RSRC2:SCRATCH_EN: 0
; COMPUTE_PGM_RSRC2:USER_SGPR: 2
; COMPUTE_PGM_RSRC2:TRAP_HANDLER: 0
; COMPUTE_PGM_RSRC2:TGID_X_EN: 1
; COMPUTE_PGM_RSRC2:TGID_Y_EN: 0
; COMPUTE_PGM_RSRC2:TGID_Z_EN: 0
; COMPUTE_PGM_RSRC2:TIDIG_COMP_CNT: 0
; COMPUTE_PGM_RSRC3_GFX90A:ACCUM_OFFSET: 0
; COMPUTE_PGM_RSRC3_GFX90A:TG_SPLIT: 0
	.section	.text._ZN7rocprim17ROCPRIM_400000_NS6detail17trampoline_kernelINS0_14default_configENS1_25transform_config_selectorIlLb0EEEZNS1_14transform_implILb0ES3_S5_NS0_18transform_iteratorINS0_17counting_iteratorImlEEZNS1_24adjacent_difference_implIS3_Lb1ELb0EPlSB_ZN2at6native12_GLOBAL__N_124unique_dim_cuda_templateIN3c108BFloat16EEESt5tupleIJNSC_6TensorESJ_SJ_EERKSJ_lbbbEUlllE1_EE10hipError_tPvRmT2_T3_mT4_P12ihipStream_tbEUlmE_lEESB_NS0_8identityIvEEEESO_SR_SS_mST_SV_bEUlT_E_NS1_11comp_targetILNS1_3genE2ELNS1_11target_archE906ELNS1_3gpuE6ELNS1_3repE0EEENS1_30default_config_static_selectorELNS0_4arch9wavefront6targetE1EEEvT1_,"axG",@progbits,_ZN7rocprim17ROCPRIM_400000_NS6detail17trampoline_kernelINS0_14default_configENS1_25transform_config_selectorIlLb0EEEZNS1_14transform_implILb0ES3_S5_NS0_18transform_iteratorINS0_17counting_iteratorImlEEZNS1_24adjacent_difference_implIS3_Lb1ELb0EPlSB_ZN2at6native12_GLOBAL__N_124unique_dim_cuda_templateIN3c108BFloat16EEESt5tupleIJNSC_6TensorESJ_SJ_EERKSJ_lbbbEUlllE1_EE10hipError_tPvRmT2_T3_mT4_P12ihipStream_tbEUlmE_lEESB_NS0_8identityIvEEEESO_SR_SS_mST_SV_bEUlT_E_NS1_11comp_targetILNS1_3genE2ELNS1_11target_archE906ELNS1_3gpuE6ELNS1_3repE0EEENS1_30default_config_static_selectorELNS0_4arch9wavefront6targetE1EEEvT1_,comdat
	.globl	_ZN7rocprim17ROCPRIM_400000_NS6detail17trampoline_kernelINS0_14default_configENS1_25transform_config_selectorIlLb0EEEZNS1_14transform_implILb0ES3_S5_NS0_18transform_iteratorINS0_17counting_iteratorImlEEZNS1_24adjacent_difference_implIS3_Lb1ELb0EPlSB_ZN2at6native12_GLOBAL__N_124unique_dim_cuda_templateIN3c108BFloat16EEESt5tupleIJNSC_6TensorESJ_SJ_EERKSJ_lbbbEUlllE1_EE10hipError_tPvRmT2_T3_mT4_P12ihipStream_tbEUlmE_lEESB_NS0_8identityIvEEEESO_SR_SS_mST_SV_bEUlT_E_NS1_11comp_targetILNS1_3genE2ELNS1_11target_archE906ELNS1_3gpuE6ELNS1_3repE0EEENS1_30default_config_static_selectorELNS0_4arch9wavefront6targetE1EEEvT1_ ; -- Begin function _ZN7rocprim17ROCPRIM_400000_NS6detail17trampoline_kernelINS0_14default_configENS1_25transform_config_selectorIlLb0EEEZNS1_14transform_implILb0ES3_S5_NS0_18transform_iteratorINS0_17counting_iteratorImlEEZNS1_24adjacent_difference_implIS3_Lb1ELb0EPlSB_ZN2at6native12_GLOBAL__N_124unique_dim_cuda_templateIN3c108BFloat16EEESt5tupleIJNSC_6TensorESJ_SJ_EERKSJ_lbbbEUlllE1_EE10hipError_tPvRmT2_T3_mT4_P12ihipStream_tbEUlmE_lEESB_NS0_8identityIvEEEESO_SR_SS_mST_SV_bEUlT_E_NS1_11comp_targetILNS1_3genE2ELNS1_11target_archE906ELNS1_3gpuE6ELNS1_3repE0EEENS1_30default_config_static_selectorELNS0_4arch9wavefront6targetE1EEEvT1_
	.p2align	8
	.type	_ZN7rocprim17ROCPRIM_400000_NS6detail17trampoline_kernelINS0_14default_configENS1_25transform_config_selectorIlLb0EEEZNS1_14transform_implILb0ES3_S5_NS0_18transform_iteratorINS0_17counting_iteratorImlEEZNS1_24adjacent_difference_implIS3_Lb1ELb0EPlSB_ZN2at6native12_GLOBAL__N_124unique_dim_cuda_templateIN3c108BFloat16EEESt5tupleIJNSC_6TensorESJ_SJ_EERKSJ_lbbbEUlllE1_EE10hipError_tPvRmT2_T3_mT4_P12ihipStream_tbEUlmE_lEESB_NS0_8identityIvEEEESO_SR_SS_mST_SV_bEUlT_E_NS1_11comp_targetILNS1_3genE2ELNS1_11target_archE906ELNS1_3gpuE6ELNS1_3repE0EEENS1_30default_config_static_selectorELNS0_4arch9wavefront6targetE1EEEvT1_,@function
_ZN7rocprim17ROCPRIM_400000_NS6detail17trampoline_kernelINS0_14default_configENS1_25transform_config_selectorIlLb0EEEZNS1_14transform_implILb0ES3_S5_NS0_18transform_iteratorINS0_17counting_iteratorImlEEZNS1_24adjacent_difference_implIS3_Lb1ELb0EPlSB_ZN2at6native12_GLOBAL__N_124unique_dim_cuda_templateIN3c108BFloat16EEESt5tupleIJNSC_6TensorESJ_SJ_EERKSJ_lbbbEUlllE1_EE10hipError_tPvRmT2_T3_mT4_P12ihipStream_tbEUlmE_lEESB_NS0_8identityIvEEEESO_SR_SS_mST_SV_bEUlT_E_NS1_11comp_targetILNS1_3genE2ELNS1_11target_archE906ELNS1_3gpuE6ELNS1_3repE0EEENS1_30default_config_static_selectorELNS0_4arch9wavefront6targetE1EEEvT1_: ; @_ZN7rocprim17ROCPRIM_400000_NS6detail17trampoline_kernelINS0_14default_configENS1_25transform_config_selectorIlLb0EEEZNS1_14transform_implILb0ES3_S5_NS0_18transform_iteratorINS0_17counting_iteratorImlEEZNS1_24adjacent_difference_implIS3_Lb1ELb0EPlSB_ZN2at6native12_GLOBAL__N_124unique_dim_cuda_templateIN3c108BFloat16EEESt5tupleIJNSC_6TensorESJ_SJ_EERKSJ_lbbbEUlllE1_EE10hipError_tPvRmT2_T3_mT4_P12ihipStream_tbEUlmE_lEESB_NS0_8identityIvEEEESO_SR_SS_mST_SV_bEUlT_E_NS1_11comp_targetILNS1_3genE2ELNS1_11target_archE906ELNS1_3gpuE6ELNS1_3repE0EEENS1_30default_config_static_selectorELNS0_4arch9wavefront6targetE1EEEvT1_
; %bb.0:
	.section	.rodata,"a",@progbits
	.p2align	6, 0x0
	.amdhsa_kernel _ZN7rocprim17ROCPRIM_400000_NS6detail17trampoline_kernelINS0_14default_configENS1_25transform_config_selectorIlLb0EEEZNS1_14transform_implILb0ES3_S5_NS0_18transform_iteratorINS0_17counting_iteratorImlEEZNS1_24adjacent_difference_implIS3_Lb1ELb0EPlSB_ZN2at6native12_GLOBAL__N_124unique_dim_cuda_templateIN3c108BFloat16EEESt5tupleIJNSC_6TensorESJ_SJ_EERKSJ_lbbbEUlllE1_EE10hipError_tPvRmT2_T3_mT4_P12ihipStream_tbEUlmE_lEESB_NS0_8identityIvEEEESO_SR_SS_mST_SV_bEUlT_E_NS1_11comp_targetILNS1_3genE2ELNS1_11target_archE906ELNS1_3gpuE6ELNS1_3repE0EEENS1_30default_config_static_selectorELNS0_4arch9wavefront6targetE1EEEvT1_
		.amdhsa_group_segment_fixed_size 0
		.amdhsa_private_segment_fixed_size 0
		.amdhsa_kernarg_size 56
		.amdhsa_user_sgpr_count 2
		.amdhsa_user_sgpr_dispatch_ptr 0
		.amdhsa_user_sgpr_queue_ptr 0
		.amdhsa_user_sgpr_kernarg_segment_ptr 1
		.amdhsa_user_sgpr_dispatch_id 0
		.amdhsa_user_sgpr_kernarg_preload_length 0
		.amdhsa_user_sgpr_kernarg_preload_offset 0
		.amdhsa_user_sgpr_private_segment_size 0
		.amdhsa_uses_dynamic_stack 0
		.amdhsa_enable_private_segment 0
		.amdhsa_system_sgpr_workgroup_id_x 1
		.amdhsa_system_sgpr_workgroup_id_y 0
		.amdhsa_system_sgpr_workgroup_id_z 0
		.amdhsa_system_sgpr_workgroup_info 0
		.amdhsa_system_vgpr_workitem_id 0
		.amdhsa_next_free_vgpr 1
		.amdhsa_next_free_sgpr 0
		.amdhsa_accum_offset 4
		.amdhsa_reserve_vcc 0
		.amdhsa_float_round_mode_32 0
		.amdhsa_float_round_mode_16_64 0
		.amdhsa_float_denorm_mode_32 3
		.amdhsa_float_denorm_mode_16_64 3
		.amdhsa_dx10_clamp 1
		.amdhsa_ieee_mode 1
		.amdhsa_fp16_overflow 0
		.amdhsa_tg_split 0
		.amdhsa_exception_fp_ieee_invalid_op 0
		.amdhsa_exception_fp_denorm_src 0
		.amdhsa_exception_fp_ieee_div_zero 0
		.amdhsa_exception_fp_ieee_overflow 0
		.amdhsa_exception_fp_ieee_underflow 0
		.amdhsa_exception_fp_ieee_inexact 0
		.amdhsa_exception_int_div_zero 0
	.end_amdhsa_kernel
	.section	.text._ZN7rocprim17ROCPRIM_400000_NS6detail17trampoline_kernelINS0_14default_configENS1_25transform_config_selectorIlLb0EEEZNS1_14transform_implILb0ES3_S5_NS0_18transform_iteratorINS0_17counting_iteratorImlEEZNS1_24adjacent_difference_implIS3_Lb1ELb0EPlSB_ZN2at6native12_GLOBAL__N_124unique_dim_cuda_templateIN3c108BFloat16EEESt5tupleIJNSC_6TensorESJ_SJ_EERKSJ_lbbbEUlllE1_EE10hipError_tPvRmT2_T3_mT4_P12ihipStream_tbEUlmE_lEESB_NS0_8identityIvEEEESO_SR_SS_mST_SV_bEUlT_E_NS1_11comp_targetILNS1_3genE2ELNS1_11target_archE906ELNS1_3gpuE6ELNS1_3repE0EEENS1_30default_config_static_selectorELNS0_4arch9wavefront6targetE1EEEvT1_,"axG",@progbits,_ZN7rocprim17ROCPRIM_400000_NS6detail17trampoline_kernelINS0_14default_configENS1_25transform_config_selectorIlLb0EEEZNS1_14transform_implILb0ES3_S5_NS0_18transform_iteratorINS0_17counting_iteratorImlEEZNS1_24adjacent_difference_implIS3_Lb1ELb0EPlSB_ZN2at6native12_GLOBAL__N_124unique_dim_cuda_templateIN3c108BFloat16EEESt5tupleIJNSC_6TensorESJ_SJ_EERKSJ_lbbbEUlllE1_EE10hipError_tPvRmT2_T3_mT4_P12ihipStream_tbEUlmE_lEESB_NS0_8identityIvEEEESO_SR_SS_mST_SV_bEUlT_E_NS1_11comp_targetILNS1_3genE2ELNS1_11target_archE906ELNS1_3gpuE6ELNS1_3repE0EEENS1_30default_config_static_selectorELNS0_4arch9wavefront6targetE1EEEvT1_,comdat
.Lfunc_end1161:
	.size	_ZN7rocprim17ROCPRIM_400000_NS6detail17trampoline_kernelINS0_14default_configENS1_25transform_config_selectorIlLb0EEEZNS1_14transform_implILb0ES3_S5_NS0_18transform_iteratorINS0_17counting_iteratorImlEEZNS1_24adjacent_difference_implIS3_Lb1ELb0EPlSB_ZN2at6native12_GLOBAL__N_124unique_dim_cuda_templateIN3c108BFloat16EEESt5tupleIJNSC_6TensorESJ_SJ_EERKSJ_lbbbEUlllE1_EE10hipError_tPvRmT2_T3_mT4_P12ihipStream_tbEUlmE_lEESB_NS0_8identityIvEEEESO_SR_SS_mST_SV_bEUlT_E_NS1_11comp_targetILNS1_3genE2ELNS1_11target_archE906ELNS1_3gpuE6ELNS1_3repE0EEENS1_30default_config_static_selectorELNS0_4arch9wavefront6targetE1EEEvT1_, .Lfunc_end1161-_ZN7rocprim17ROCPRIM_400000_NS6detail17trampoline_kernelINS0_14default_configENS1_25transform_config_selectorIlLb0EEEZNS1_14transform_implILb0ES3_S5_NS0_18transform_iteratorINS0_17counting_iteratorImlEEZNS1_24adjacent_difference_implIS3_Lb1ELb0EPlSB_ZN2at6native12_GLOBAL__N_124unique_dim_cuda_templateIN3c108BFloat16EEESt5tupleIJNSC_6TensorESJ_SJ_EERKSJ_lbbbEUlllE1_EE10hipError_tPvRmT2_T3_mT4_P12ihipStream_tbEUlmE_lEESB_NS0_8identityIvEEEESO_SR_SS_mST_SV_bEUlT_E_NS1_11comp_targetILNS1_3genE2ELNS1_11target_archE906ELNS1_3gpuE6ELNS1_3repE0EEENS1_30default_config_static_selectorELNS0_4arch9wavefront6targetE1EEEvT1_
                                        ; -- End function
	.set _ZN7rocprim17ROCPRIM_400000_NS6detail17trampoline_kernelINS0_14default_configENS1_25transform_config_selectorIlLb0EEEZNS1_14transform_implILb0ES3_S5_NS0_18transform_iteratorINS0_17counting_iteratorImlEEZNS1_24adjacent_difference_implIS3_Lb1ELb0EPlSB_ZN2at6native12_GLOBAL__N_124unique_dim_cuda_templateIN3c108BFloat16EEESt5tupleIJNSC_6TensorESJ_SJ_EERKSJ_lbbbEUlllE1_EE10hipError_tPvRmT2_T3_mT4_P12ihipStream_tbEUlmE_lEESB_NS0_8identityIvEEEESO_SR_SS_mST_SV_bEUlT_E_NS1_11comp_targetILNS1_3genE2ELNS1_11target_archE906ELNS1_3gpuE6ELNS1_3repE0EEENS1_30default_config_static_selectorELNS0_4arch9wavefront6targetE1EEEvT1_.num_vgpr, 0
	.set _ZN7rocprim17ROCPRIM_400000_NS6detail17trampoline_kernelINS0_14default_configENS1_25transform_config_selectorIlLb0EEEZNS1_14transform_implILb0ES3_S5_NS0_18transform_iteratorINS0_17counting_iteratorImlEEZNS1_24adjacent_difference_implIS3_Lb1ELb0EPlSB_ZN2at6native12_GLOBAL__N_124unique_dim_cuda_templateIN3c108BFloat16EEESt5tupleIJNSC_6TensorESJ_SJ_EERKSJ_lbbbEUlllE1_EE10hipError_tPvRmT2_T3_mT4_P12ihipStream_tbEUlmE_lEESB_NS0_8identityIvEEEESO_SR_SS_mST_SV_bEUlT_E_NS1_11comp_targetILNS1_3genE2ELNS1_11target_archE906ELNS1_3gpuE6ELNS1_3repE0EEENS1_30default_config_static_selectorELNS0_4arch9wavefront6targetE1EEEvT1_.num_agpr, 0
	.set _ZN7rocprim17ROCPRIM_400000_NS6detail17trampoline_kernelINS0_14default_configENS1_25transform_config_selectorIlLb0EEEZNS1_14transform_implILb0ES3_S5_NS0_18transform_iteratorINS0_17counting_iteratorImlEEZNS1_24adjacent_difference_implIS3_Lb1ELb0EPlSB_ZN2at6native12_GLOBAL__N_124unique_dim_cuda_templateIN3c108BFloat16EEESt5tupleIJNSC_6TensorESJ_SJ_EERKSJ_lbbbEUlllE1_EE10hipError_tPvRmT2_T3_mT4_P12ihipStream_tbEUlmE_lEESB_NS0_8identityIvEEEESO_SR_SS_mST_SV_bEUlT_E_NS1_11comp_targetILNS1_3genE2ELNS1_11target_archE906ELNS1_3gpuE6ELNS1_3repE0EEENS1_30default_config_static_selectorELNS0_4arch9wavefront6targetE1EEEvT1_.numbered_sgpr, 0
	.set _ZN7rocprim17ROCPRIM_400000_NS6detail17trampoline_kernelINS0_14default_configENS1_25transform_config_selectorIlLb0EEEZNS1_14transform_implILb0ES3_S5_NS0_18transform_iteratorINS0_17counting_iteratorImlEEZNS1_24adjacent_difference_implIS3_Lb1ELb0EPlSB_ZN2at6native12_GLOBAL__N_124unique_dim_cuda_templateIN3c108BFloat16EEESt5tupleIJNSC_6TensorESJ_SJ_EERKSJ_lbbbEUlllE1_EE10hipError_tPvRmT2_T3_mT4_P12ihipStream_tbEUlmE_lEESB_NS0_8identityIvEEEESO_SR_SS_mST_SV_bEUlT_E_NS1_11comp_targetILNS1_3genE2ELNS1_11target_archE906ELNS1_3gpuE6ELNS1_3repE0EEENS1_30default_config_static_selectorELNS0_4arch9wavefront6targetE1EEEvT1_.num_named_barrier, 0
	.set _ZN7rocprim17ROCPRIM_400000_NS6detail17trampoline_kernelINS0_14default_configENS1_25transform_config_selectorIlLb0EEEZNS1_14transform_implILb0ES3_S5_NS0_18transform_iteratorINS0_17counting_iteratorImlEEZNS1_24adjacent_difference_implIS3_Lb1ELb0EPlSB_ZN2at6native12_GLOBAL__N_124unique_dim_cuda_templateIN3c108BFloat16EEESt5tupleIJNSC_6TensorESJ_SJ_EERKSJ_lbbbEUlllE1_EE10hipError_tPvRmT2_T3_mT4_P12ihipStream_tbEUlmE_lEESB_NS0_8identityIvEEEESO_SR_SS_mST_SV_bEUlT_E_NS1_11comp_targetILNS1_3genE2ELNS1_11target_archE906ELNS1_3gpuE6ELNS1_3repE0EEENS1_30default_config_static_selectorELNS0_4arch9wavefront6targetE1EEEvT1_.private_seg_size, 0
	.set _ZN7rocprim17ROCPRIM_400000_NS6detail17trampoline_kernelINS0_14default_configENS1_25transform_config_selectorIlLb0EEEZNS1_14transform_implILb0ES3_S5_NS0_18transform_iteratorINS0_17counting_iteratorImlEEZNS1_24adjacent_difference_implIS3_Lb1ELb0EPlSB_ZN2at6native12_GLOBAL__N_124unique_dim_cuda_templateIN3c108BFloat16EEESt5tupleIJNSC_6TensorESJ_SJ_EERKSJ_lbbbEUlllE1_EE10hipError_tPvRmT2_T3_mT4_P12ihipStream_tbEUlmE_lEESB_NS0_8identityIvEEEESO_SR_SS_mST_SV_bEUlT_E_NS1_11comp_targetILNS1_3genE2ELNS1_11target_archE906ELNS1_3gpuE6ELNS1_3repE0EEENS1_30default_config_static_selectorELNS0_4arch9wavefront6targetE1EEEvT1_.uses_vcc, 0
	.set _ZN7rocprim17ROCPRIM_400000_NS6detail17trampoline_kernelINS0_14default_configENS1_25transform_config_selectorIlLb0EEEZNS1_14transform_implILb0ES3_S5_NS0_18transform_iteratorINS0_17counting_iteratorImlEEZNS1_24adjacent_difference_implIS3_Lb1ELb0EPlSB_ZN2at6native12_GLOBAL__N_124unique_dim_cuda_templateIN3c108BFloat16EEESt5tupleIJNSC_6TensorESJ_SJ_EERKSJ_lbbbEUlllE1_EE10hipError_tPvRmT2_T3_mT4_P12ihipStream_tbEUlmE_lEESB_NS0_8identityIvEEEESO_SR_SS_mST_SV_bEUlT_E_NS1_11comp_targetILNS1_3genE2ELNS1_11target_archE906ELNS1_3gpuE6ELNS1_3repE0EEENS1_30default_config_static_selectorELNS0_4arch9wavefront6targetE1EEEvT1_.uses_flat_scratch, 0
	.set _ZN7rocprim17ROCPRIM_400000_NS6detail17trampoline_kernelINS0_14default_configENS1_25transform_config_selectorIlLb0EEEZNS1_14transform_implILb0ES3_S5_NS0_18transform_iteratorINS0_17counting_iteratorImlEEZNS1_24adjacent_difference_implIS3_Lb1ELb0EPlSB_ZN2at6native12_GLOBAL__N_124unique_dim_cuda_templateIN3c108BFloat16EEESt5tupleIJNSC_6TensorESJ_SJ_EERKSJ_lbbbEUlllE1_EE10hipError_tPvRmT2_T3_mT4_P12ihipStream_tbEUlmE_lEESB_NS0_8identityIvEEEESO_SR_SS_mST_SV_bEUlT_E_NS1_11comp_targetILNS1_3genE2ELNS1_11target_archE906ELNS1_3gpuE6ELNS1_3repE0EEENS1_30default_config_static_selectorELNS0_4arch9wavefront6targetE1EEEvT1_.has_dyn_sized_stack, 0
	.set _ZN7rocprim17ROCPRIM_400000_NS6detail17trampoline_kernelINS0_14default_configENS1_25transform_config_selectorIlLb0EEEZNS1_14transform_implILb0ES3_S5_NS0_18transform_iteratorINS0_17counting_iteratorImlEEZNS1_24adjacent_difference_implIS3_Lb1ELb0EPlSB_ZN2at6native12_GLOBAL__N_124unique_dim_cuda_templateIN3c108BFloat16EEESt5tupleIJNSC_6TensorESJ_SJ_EERKSJ_lbbbEUlllE1_EE10hipError_tPvRmT2_T3_mT4_P12ihipStream_tbEUlmE_lEESB_NS0_8identityIvEEEESO_SR_SS_mST_SV_bEUlT_E_NS1_11comp_targetILNS1_3genE2ELNS1_11target_archE906ELNS1_3gpuE6ELNS1_3repE0EEENS1_30default_config_static_selectorELNS0_4arch9wavefront6targetE1EEEvT1_.has_recursion, 0
	.set _ZN7rocprim17ROCPRIM_400000_NS6detail17trampoline_kernelINS0_14default_configENS1_25transform_config_selectorIlLb0EEEZNS1_14transform_implILb0ES3_S5_NS0_18transform_iteratorINS0_17counting_iteratorImlEEZNS1_24adjacent_difference_implIS3_Lb1ELb0EPlSB_ZN2at6native12_GLOBAL__N_124unique_dim_cuda_templateIN3c108BFloat16EEESt5tupleIJNSC_6TensorESJ_SJ_EERKSJ_lbbbEUlllE1_EE10hipError_tPvRmT2_T3_mT4_P12ihipStream_tbEUlmE_lEESB_NS0_8identityIvEEEESO_SR_SS_mST_SV_bEUlT_E_NS1_11comp_targetILNS1_3genE2ELNS1_11target_archE906ELNS1_3gpuE6ELNS1_3repE0EEENS1_30default_config_static_selectorELNS0_4arch9wavefront6targetE1EEEvT1_.has_indirect_call, 0
	.section	.AMDGPU.csdata,"",@progbits
; Kernel info:
; codeLenInByte = 0
; TotalNumSgprs: 6
; NumVgprs: 0
; NumAgprs: 0
; TotalNumVgprs: 0
; ScratchSize: 0
; MemoryBound: 0
; FloatMode: 240
; IeeeMode: 1
; LDSByteSize: 0 bytes/workgroup (compile time only)
; SGPRBlocks: 0
; VGPRBlocks: 0
; NumSGPRsForWavesPerEU: 6
; NumVGPRsForWavesPerEU: 1
; AccumOffset: 4
; Occupancy: 8
; WaveLimiterHint : 0
; COMPUTE_PGM_RSRC2:SCRATCH_EN: 0
; COMPUTE_PGM_RSRC2:USER_SGPR: 2
; COMPUTE_PGM_RSRC2:TRAP_HANDLER: 0
; COMPUTE_PGM_RSRC2:TGID_X_EN: 1
; COMPUTE_PGM_RSRC2:TGID_Y_EN: 0
; COMPUTE_PGM_RSRC2:TGID_Z_EN: 0
; COMPUTE_PGM_RSRC2:TIDIG_COMP_CNT: 0
; COMPUTE_PGM_RSRC3_GFX90A:ACCUM_OFFSET: 0
; COMPUTE_PGM_RSRC3_GFX90A:TG_SPLIT: 0
	.section	.text._ZN7rocprim17ROCPRIM_400000_NS6detail17trampoline_kernelINS0_14default_configENS1_25transform_config_selectorIlLb0EEEZNS1_14transform_implILb0ES3_S5_NS0_18transform_iteratorINS0_17counting_iteratorImlEEZNS1_24adjacent_difference_implIS3_Lb1ELb0EPlSB_ZN2at6native12_GLOBAL__N_124unique_dim_cuda_templateIN3c108BFloat16EEESt5tupleIJNSC_6TensorESJ_SJ_EERKSJ_lbbbEUlllE1_EE10hipError_tPvRmT2_T3_mT4_P12ihipStream_tbEUlmE_lEESB_NS0_8identityIvEEEESO_SR_SS_mST_SV_bEUlT_E_NS1_11comp_targetILNS1_3genE10ELNS1_11target_archE1201ELNS1_3gpuE5ELNS1_3repE0EEENS1_30default_config_static_selectorELNS0_4arch9wavefront6targetE1EEEvT1_,"axG",@progbits,_ZN7rocprim17ROCPRIM_400000_NS6detail17trampoline_kernelINS0_14default_configENS1_25transform_config_selectorIlLb0EEEZNS1_14transform_implILb0ES3_S5_NS0_18transform_iteratorINS0_17counting_iteratorImlEEZNS1_24adjacent_difference_implIS3_Lb1ELb0EPlSB_ZN2at6native12_GLOBAL__N_124unique_dim_cuda_templateIN3c108BFloat16EEESt5tupleIJNSC_6TensorESJ_SJ_EERKSJ_lbbbEUlllE1_EE10hipError_tPvRmT2_T3_mT4_P12ihipStream_tbEUlmE_lEESB_NS0_8identityIvEEEESO_SR_SS_mST_SV_bEUlT_E_NS1_11comp_targetILNS1_3genE10ELNS1_11target_archE1201ELNS1_3gpuE5ELNS1_3repE0EEENS1_30default_config_static_selectorELNS0_4arch9wavefront6targetE1EEEvT1_,comdat
	.globl	_ZN7rocprim17ROCPRIM_400000_NS6detail17trampoline_kernelINS0_14default_configENS1_25transform_config_selectorIlLb0EEEZNS1_14transform_implILb0ES3_S5_NS0_18transform_iteratorINS0_17counting_iteratorImlEEZNS1_24adjacent_difference_implIS3_Lb1ELb0EPlSB_ZN2at6native12_GLOBAL__N_124unique_dim_cuda_templateIN3c108BFloat16EEESt5tupleIJNSC_6TensorESJ_SJ_EERKSJ_lbbbEUlllE1_EE10hipError_tPvRmT2_T3_mT4_P12ihipStream_tbEUlmE_lEESB_NS0_8identityIvEEEESO_SR_SS_mST_SV_bEUlT_E_NS1_11comp_targetILNS1_3genE10ELNS1_11target_archE1201ELNS1_3gpuE5ELNS1_3repE0EEENS1_30default_config_static_selectorELNS0_4arch9wavefront6targetE1EEEvT1_ ; -- Begin function _ZN7rocprim17ROCPRIM_400000_NS6detail17trampoline_kernelINS0_14default_configENS1_25transform_config_selectorIlLb0EEEZNS1_14transform_implILb0ES3_S5_NS0_18transform_iteratorINS0_17counting_iteratorImlEEZNS1_24adjacent_difference_implIS3_Lb1ELb0EPlSB_ZN2at6native12_GLOBAL__N_124unique_dim_cuda_templateIN3c108BFloat16EEESt5tupleIJNSC_6TensorESJ_SJ_EERKSJ_lbbbEUlllE1_EE10hipError_tPvRmT2_T3_mT4_P12ihipStream_tbEUlmE_lEESB_NS0_8identityIvEEEESO_SR_SS_mST_SV_bEUlT_E_NS1_11comp_targetILNS1_3genE10ELNS1_11target_archE1201ELNS1_3gpuE5ELNS1_3repE0EEENS1_30default_config_static_selectorELNS0_4arch9wavefront6targetE1EEEvT1_
	.p2align	8
	.type	_ZN7rocprim17ROCPRIM_400000_NS6detail17trampoline_kernelINS0_14default_configENS1_25transform_config_selectorIlLb0EEEZNS1_14transform_implILb0ES3_S5_NS0_18transform_iteratorINS0_17counting_iteratorImlEEZNS1_24adjacent_difference_implIS3_Lb1ELb0EPlSB_ZN2at6native12_GLOBAL__N_124unique_dim_cuda_templateIN3c108BFloat16EEESt5tupleIJNSC_6TensorESJ_SJ_EERKSJ_lbbbEUlllE1_EE10hipError_tPvRmT2_T3_mT4_P12ihipStream_tbEUlmE_lEESB_NS0_8identityIvEEEESO_SR_SS_mST_SV_bEUlT_E_NS1_11comp_targetILNS1_3genE10ELNS1_11target_archE1201ELNS1_3gpuE5ELNS1_3repE0EEENS1_30default_config_static_selectorELNS0_4arch9wavefront6targetE1EEEvT1_,@function
_ZN7rocprim17ROCPRIM_400000_NS6detail17trampoline_kernelINS0_14default_configENS1_25transform_config_selectorIlLb0EEEZNS1_14transform_implILb0ES3_S5_NS0_18transform_iteratorINS0_17counting_iteratorImlEEZNS1_24adjacent_difference_implIS3_Lb1ELb0EPlSB_ZN2at6native12_GLOBAL__N_124unique_dim_cuda_templateIN3c108BFloat16EEESt5tupleIJNSC_6TensorESJ_SJ_EERKSJ_lbbbEUlllE1_EE10hipError_tPvRmT2_T3_mT4_P12ihipStream_tbEUlmE_lEESB_NS0_8identityIvEEEESO_SR_SS_mST_SV_bEUlT_E_NS1_11comp_targetILNS1_3genE10ELNS1_11target_archE1201ELNS1_3gpuE5ELNS1_3repE0EEENS1_30default_config_static_selectorELNS0_4arch9wavefront6targetE1EEEvT1_: ; @_ZN7rocprim17ROCPRIM_400000_NS6detail17trampoline_kernelINS0_14default_configENS1_25transform_config_selectorIlLb0EEEZNS1_14transform_implILb0ES3_S5_NS0_18transform_iteratorINS0_17counting_iteratorImlEEZNS1_24adjacent_difference_implIS3_Lb1ELb0EPlSB_ZN2at6native12_GLOBAL__N_124unique_dim_cuda_templateIN3c108BFloat16EEESt5tupleIJNSC_6TensorESJ_SJ_EERKSJ_lbbbEUlllE1_EE10hipError_tPvRmT2_T3_mT4_P12ihipStream_tbEUlmE_lEESB_NS0_8identityIvEEEESO_SR_SS_mST_SV_bEUlT_E_NS1_11comp_targetILNS1_3genE10ELNS1_11target_archE1201ELNS1_3gpuE5ELNS1_3repE0EEENS1_30default_config_static_selectorELNS0_4arch9wavefront6targetE1EEEvT1_
; %bb.0:
	.section	.rodata,"a",@progbits
	.p2align	6, 0x0
	.amdhsa_kernel _ZN7rocprim17ROCPRIM_400000_NS6detail17trampoline_kernelINS0_14default_configENS1_25transform_config_selectorIlLb0EEEZNS1_14transform_implILb0ES3_S5_NS0_18transform_iteratorINS0_17counting_iteratorImlEEZNS1_24adjacent_difference_implIS3_Lb1ELb0EPlSB_ZN2at6native12_GLOBAL__N_124unique_dim_cuda_templateIN3c108BFloat16EEESt5tupleIJNSC_6TensorESJ_SJ_EERKSJ_lbbbEUlllE1_EE10hipError_tPvRmT2_T3_mT4_P12ihipStream_tbEUlmE_lEESB_NS0_8identityIvEEEESO_SR_SS_mST_SV_bEUlT_E_NS1_11comp_targetILNS1_3genE10ELNS1_11target_archE1201ELNS1_3gpuE5ELNS1_3repE0EEENS1_30default_config_static_selectorELNS0_4arch9wavefront6targetE1EEEvT1_
		.amdhsa_group_segment_fixed_size 0
		.amdhsa_private_segment_fixed_size 0
		.amdhsa_kernarg_size 56
		.amdhsa_user_sgpr_count 2
		.amdhsa_user_sgpr_dispatch_ptr 0
		.amdhsa_user_sgpr_queue_ptr 0
		.amdhsa_user_sgpr_kernarg_segment_ptr 1
		.amdhsa_user_sgpr_dispatch_id 0
		.amdhsa_user_sgpr_kernarg_preload_length 0
		.amdhsa_user_sgpr_kernarg_preload_offset 0
		.amdhsa_user_sgpr_private_segment_size 0
		.amdhsa_uses_dynamic_stack 0
		.amdhsa_enable_private_segment 0
		.amdhsa_system_sgpr_workgroup_id_x 1
		.amdhsa_system_sgpr_workgroup_id_y 0
		.amdhsa_system_sgpr_workgroup_id_z 0
		.amdhsa_system_sgpr_workgroup_info 0
		.amdhsa_system_vgpr_workitem_id 0
		.amdhsa_next_free_vgpr 1
		.amdhsa_next_free_sgpr 0
		.amdhsa_accum_offset 4
		.amdhsa_reserve_vcc 0
		.amdhsa_float_round_mode_32 0
		.amdhsa_float_round_mode_16_64 0
		.amdhsa_float_denorm_mode_32 3
		.amdhsa_float_denorm_mode_16_64 3
		.amdhsa_dx10_clamp 1
		.amdhsa_ieee_mode 1
		.amdhsa_fp16_overflow 0
		.amdhsa_tg_split 0
		.amdhsa_exception_fp_ieee_invalid_op 0
		.amdhsa_exception_fp_denorm_src 0
		.amdhsa_exception_fp_ieee_div_zero 0
		.amdhsa_exception_fp_ieee_overflow 0
		.amdhsa_exception_fp_ieee_underflow 0
		.amdhsa_exception_fp_ieee_inexact 0
		.amdhsa_exception_int_div_zero 0
	.end_amdhsa_kernel
	.section	.text._ZN7rocprim17ROCPRIM_400000_NS6detail17trampoline_kernelINS0_14default_configENS1_25transform_config_selectorIlLb0EEEZNS1_14transform_implILb0ES3_S5_NS0_18transform_iteratorINS0_17counting_iteratorImlEEZNS1_24adjacent_difference_implIS3_Lb1ELb0EPlSB_ZN2at6native12_GLOBAL__N_124unique_dim_cuda_templateIN3c108BFloat16EEESt5tupleIJNSC_6TensorESJ_SJ_EERKSJ_lbbbEUlllE1_EE10hipError_tPvRmT2_T3_mT4_P12ihipStream_tbEUlmE_lEESB_NS0_8identityIvEEEESO_SR_SS_mST_SV_bEUlT_E_NS1_11comp_targetILNS1_3genE10ELNS1_11target_archE1201ELNS1_3gpuE5ELNS1_3repE0EEENS1_30default_config_static_selectorELNS0_4arch9wavefront6targetE1EEEvT1_,"axG",@progbits,_ZN7rocprim17ROCPRIM_400000_NS6detail17trampoline_kernelINS0_14default_configENS1_25transform_config_selectorIlLb0EEEZNS1_14transform_implILb0ES3_S5_NS0_18transform_iteratorINS0_17counting_iteratorImlEEZNS1_24adjacent_difference_implIS3_Lb1ELb0EPlSB_ZN2at6native12_GLOBAL__N_124unique_dim_cuda_templateIN3c108BFloat16EEESt5tupleIJNSC_6TensorESJ_SJ_EERKSJ_lbbbEUlllE1_EE10hipError_tPvRmT2_T3_mT4_P12ihipStream_tbEUlmE_lEESB_NS0_8identityIvEEEESO_SR_SS_mST_SV_bEUlT_E_NS1_11comp_targetILNS1_3genE10ELNS1_11target_archE1201ELNS1_3gpuE5ELNS1_3repE0EEENS1_30default_config_static_selectorELNS0_4arch9wavefront6targetE1EEEvT1_,comdat
.Lfunc_end1162:
	.size	_ZN7rocprim17ROCPRIM_400000_NS6detail17trampoline_kernelINS0_14default_configENS1_25transform_config_selectorIlLb0EEEZNS1_14transform_implILb0ES3_S5_NS0_18transform_iteratorINS0_17counting_iteratorImlEEZNS1_24adjacent_difference_implIS3_Lb1ELb0EPlSB_ZN2at6native12_GLOBAL__N_124unique_dim_cuda_templateIN3c108BFloat16EEESt5tupleIJNSC_6TensorESJ_SJ_EERKSJ_lbbbEUlllE1_EE10hipError_tPvRmT2_T3_mT4_P12ihipStream_tbEUlmE_lEESB_NS0_8identityIvEEEESO_SR_SS_mST_SV_bEUlT_E_NS1_11comp_targetILNS1_3genE10ELNS1_11target_archE1201ELNS1_3gpuE5ELNS1_3repE0EEENS1_30default_config_static_selectorELNS0_4arch9wavefront6targetE1EEEvT1_, .Lfunc_end1162-_ZN7rocprim17ROCPRIM_400000_NS6detail17trampoline_kernelINS0_14default_configENS1_25transform_config_selectorIlLb0EEEZNS1_14transform_implILb0ES3_S5_NS0_18transform_iteratorINS0_17counting_iteratorImlEEZNS1_24adjacent_difference_implIS3_Lb1ELb0EPlSB_ZN2at6native12_GLOBAL__N_124unique_dim_cuda_templateIN3c108BFloat16EEESt5tupleIJNSC_6TensorESJ_SJ_EERKSJ_lbbbEUlllE1_EE10hipError_tPvRmT2_T3_mT4_P12ihipStream_tbEUlmE_lEESB_NS0_8identityIvEEEESO_SR_SS_mST_SV_bEUlT_E_NS1_11comp_targetILNS1_3genE10ELNS1_11target_archE1201ELNS1_3gpuE5ELNS1_3repE0EEENS1_30default_config_static_selectorELNS0_4arch9wavefront6targetE1EEEvT1_
                                        ; -- End function
	.set _ZN7rocprim17ROCPRIM_400000_NS6detail17trampoline_kernelINS0_14default_configENS1_25transform_config_selectorIlLb0EEEZNS1_14transform_implILb0ES3_S5_NS0_18transform_iteratorINS0_17counting_iteratorImlEEZNS1_24adjacent_difference_implIS3_Lb1ELb0EPlSB_ZN2at6native12_GLOBAL__N_124unique_dim_cuda_templateIN3c108BFloat16EEESt5tupleIJNSC_6TensorESJ_SJ_EERKSJ_lbbbEUlllE1_EE10hipError_tPvRmT2_T3_mT4_P12ihipStream_tbEUlmE_lEESB_NS0_8identityIvEEEESO_SR_SS_mST_SV_bEUlT_E_NS1_11comp_targetILNS1_3genE10ELNS1_11target_archE1201ELNS1_3gpuE5ELNS1_3repE0EEENS1_30default_config_static_selectorELNS0_4arch9wavefront6targetE1EEEvT1_.num_vgpr, 0
	.set _ZN7rocprim17ROCPRIM_400000_NS6detail17trampoline_kernelINS0_14default_configENS1_25transform_config_selectorIlLb0EEEZNS1_14transform_implILb0ES3_S5_NS0_18transform_iteratorINS0_17counting_iteratorImlEEZNS1_24adjacent_difference_implIS3_Lb1ELb0EPlSB_ZN2at6native12_GLOBAL__N_124unique_dim_cuda_templateIN3c108BFloat16EEESt5tupleIJNSC_6TensorESJ_SJ_EERKSJ_lbbbEUlllE1_EE10hipError_tPvRmT2_T3_mT4_P12ihipStream_tbEUlmE_lEESB_NS0_8identityIvEEEESO_SR_SS_mST_SV_bEUlT_E_NS1_11comp_targetILNS1_3genE10ELNS1_11target_archE1201ELNS1_3gpuE5ELNS1_3repE0EEENS1_30default_config_static_selectorELNS0_4arch9wavefront6targetE1EEEvT1_.num_agpr, 0
	.set _ZN7rocprim17ROCPRIM_400000_NS6detail17trampoline_kernelINS0_14default_configENS1_25transform_config_selectorIlLb0EEEZNS1_14transform_implILb0ES3_S5_NS0_18transform_iteratorINS0_17counting_iteratorImlEEZNS1_24adjacent_difference_implIS3_Lb1ELb0EPlSB_ZN2at6native12_GLOBAL__N_124unique_dim_cuda_templateIN3c108BFloat16EEESt5tupleIJNSC_6TensorESJ_SJ_EERKSJ_lbbbEUlllE1_EE10hipError_tPvRmT2_T3_mT4_P12ihipStream_tbEUlmE_lEESB_NS0_8identityIvEEEESO_SR_SS_mST_SV_bEUlT_E_NS1_11comp_targetILNS1_3genE10ELNS1_11target_archE1201ELNS1_3gpuE5ELNS1_3repE0EEENS1_30default_config_static_selectorELNS0_4arch9wavefront6targetE1EEEvT1_.numbered_sgpr, 0
	.set _ZN7rocprim17ROCPRIM_400000_NS6detail17trampoline_kernelINS0_14default_configENS1_25transform_config_selectorIlLb0EEEZNS1_14transform_implILb0ES3_S5_NS0_18transform_iteratorINS0_17counting_iteratorImlEEZNS1_24adjacent_difference_implIS3_Lb1ELb0EPlSB_ZN2at6native12_GLOBAL__N_124unique_dim_cuda_templateIN3c108BFloat16EEESt5tupleIJNSC_6TensorESJ_SJ_EERKSJ_lbbbEUlllE1_EE10hipError_tPvRmT2_T3_mT4_P12ihipStream_tbEUlmE_lEESB_NS0_8identityIvEEEESO_SR_SS_mST_SV_bEUlT_E_NS1_11comp_targetILNS1_3genE10ELNS1_11target_archE1201ELNS1_3gpuE5ELNS1_3repE0EEENS1_30default_config_static_selectorELNS0_4arch9wavefront6targetE1EEEvT1_.num_named_barrier, 0
	.set _ZN7rocprim17ROCPRIM_400000_NS6detail17trampoline_kernelINS0_14default_configENS1_25transform_config_selectorIlLb0EEEZNS1_14transform_implILb0ES3_S5_NS0_18transform_iteratorINS0_17counting_iteratorImlEEZNS1_24adjacent_difference_implIS3_Lb1ELb0EPlSB_ZN2at6native12_GLOBAL__N_124unique_dim_cuda_templateIN3c108BFloat16EEESt5tupleIJNSC_6TensorESJ_SJ_EERKSJ_lbbbEUlllE1_EE10hipError_tPvRmT2_T3_mT4_P12ihipStream_tbEUlmE_lEESB_NS0_8identityIvEEEESO_SR_SS_mST_SV_bEUlT_E_NS1_11comp_targetILNS1_3genE10ELNS1_11target_archE1201ELNS1_3gpuE5ELNS1_3repE0EEENS1_30default_config_static_selectorELNS0_4arch9wavefront6targetE1EEEvT1_.private_seg_size, 0
	.set _ZN7rocprim17ROCPRIM_400000_NS6detail17trampoline_kernelINS0_14default_configENS1_25transform_config_selectorIlLb0EEEZNS1_14transform_implILb0ES3_S5_NS0_18transform_iteratorINS0_17counting_iteratorImlEEZNS1_24adjacent_difference_implIS3_Lb1ELb0EPlSB_ZN2at6native12_GLOBAL__N_124unique_dim_cuda_templateIN3c108BFloat16EEESt5tupleIJNSC_6TensorESJ_SJ_EERKSJ_lbbbEUlllE1_EE10hipError_tPvRmT2_T3_mT4_P12ihipStream_tbEUlmE_lEESB_NS0_8identityIvEEEESO_SR_SS_mST_SV_bEUlT_E_NS1_11comp_targetILNS1_3genE10ELNS1_11target_archE1201ELNS1_3gpuE5ELNS1_3repE0EEENS1_30default_config_static_selectorELNS0_4arch9wavefront6targetE1EEEvT1_.uses_vcc, 0
	.set _ZN7rocprim17ROCPRIM_400000_NS6detail17trampoline_kernelINS0_14default_configENS1_25transform_config_selectorIlLb0EEEZNS1_14transform_implILb0ES3_S5_NS0_18transform_iteratorINS0_17counting_iteratorImlEEZNS1_24adjacent_difference_implIS3_Lb1ELb0EPlSB_ZN2at6native12_GLOBAL__N_124unique_dim_cuda_templateIN3c108BFloat16EEESt5tupleIJNSC_6TensorESJ_SJ_EERKSJ_lbbbEUlllE1_EE10hipError_tPvRmT2_T3_mT4_P12ihipStream_tbEUlmE_lEESB_NS0_8identityIvEEEESO_SR_SS_mST_SV_bEUlT_E_NS1_11comp_targetILNS1_3genE10ELNS1_11target_archE1201ELNS1_3gpuE5ELNS1_3repE0EEENS1_30default_config_static_selectorELNS0_4arch9wavefront6targetE1EEEvT1_.uses_flat_scratch, 0
	.set _ZN7rocprim17ROCPRIM_400000_NS6detail17trampoline_kernelINS0_14default_configENS1_25transform_config_selectorIlLb0EEEZNS1_14transform_implILb0ES3_S5_NS0_18transform_iteratorINS0_17counting_iteratorImlEEZNS1_24adjacent_difference_implIS3_Lb1ELb0EPlSB_ZN2at6native12_GLOBAL__N_124unique_dim_cuda_templateIN3c108BFloat16EEESt5tupleIJNSC_6TensorESJ_SJ_EERKSJ_lbbbEUlllE1_EE10hipError_tPvRmT2_T3_mT4_P12ihipStream_tbEUlmE_lEESB_NS0_8identityIvEEEESO_SR_SS_mST_SV_bEUlT_E_NS1_11comp_targetILNS1_3genE10ELNS1_11target_archE1201ELNS1_3gpuE5ELNS1_3repE0EEENS1_30default_config_static_selectorELNS0_4arch9wavefront6targetE1EEEvT1_.has_dyn_sized_stack, 0
	.set _ZN7rocprim17ROCPRIM_400000_NS6detail17trampoline_kernelINS0_14default_configENS1_25transform_config_selectorIlLb0EEEZNS1_14transform_implILb0ES3_S5_NS0_18transform_iteratorINS0_17counting_iteratorImlEEZNS1_24adjacent_difference_implIS3_Lb1ELb0EPlSB_ZN2at6native12_GLOBAL__N_124unique_dim_cuda_templateIN3c108BFloat16EEESt5tupleIJNSC_6TensorESJ_SJ_EERKSJ_lbbbEUlllE1_EE10hipError_tPvRmT2_T3_mT4_P12ihipStream_tbEUlmE_lEESB_NS0_8identityIvEEEESO_SR_SS_mST_SV_bEUlT_E_NS1_11comp_targetILNS1_3genE10ELNS1_11target_archE1201ELNS1_3gpuE5ELNS1_3repE0EEENS1_30default_config_static_selectorELNS0_4arch9wavefront6targetE1EEEvT1_.has_recursion, 0
	.set _ZN7rocprim17ROCPRIM_400000_NS6detail17trampoline_kernelINS0_14default_configENS1_25transform_config_selectorIlLb0EEEZNS1_14transform_implILb0ES3_S5_NS0_18transform_iteratorINS0_17counting_iteratorImlEEZNS1_24adjacent_difference_implIS3_Lb1ELb0EPlSB_ZN2at6native12_GLOBAL__N_124unique_dim_cuda_templateIN3c108BFloat16EEESt5tupleIJNSC_6TensorESJ_SJ_EERKSJ_lbbbEUlllE1_EE10hipError_tPvRmT2_T3_mT4_P12ihipStream_tbEUlmE_lEESB_NS0_8identityIvEEEESO_SR_SS_mST_SV_bEUlT_E_NS1_11comp_targetILNS1_3genE10ELNS1_11target_archE1201ELNS1_3gpuE5ELNS1_3repE0EEENS1_30default_config_static_selectorELNS0_4arch9wavefront6targetE1EEEvT1_.has_indirect_call, 0
	.section	.AMDGPU.csdata,"",@progbits
; Kernel info:
; codeLenInByte = 0
; TotalNumSgprs: 6
; NumVgprs: 0
; NumAgprs: 0
; TotalNumVgprs: 0
; ScratchSize: 0
; MemoryBound: 0
; FloatMode: 240
; IeeeMode: 1
; LDSByteSize: 0 bytes/workgroup (compile time only)
; SGPRBlocks: 0
; VGPRBlocks: 0
; NumSGPRsForWavesPerEU: 6
; NumVGPRsForWavesPerEU: 1
; AccumOffset: 4
; Occupancy: 8
; WaveLimiterHint : 0
; COMPUTE_PGM_RSRC2:SCRATCH_EN: 0
; COMPUTE_PGM_RSRC2:USER_SGPR: 2
; COMPUTE_PGM_RSRC2:TRAP_HANDLER: 0
; COMPUTE_PGM_RSRC2:TGID_X_EN: 1
; COMPUTE_PGM_RSRC2:TGID_Y_EN: 0
; COMPUTE_PGM_RSRC2:TGID_Z_EN: 0
; COMPUTE_PGM_RSRC2:TIDIG_COMP_CNT: 0
; COMPUTE_PGM_RSRC3_GFX90A:ACCUM_OFFSET: 0
; COMPUTE_PGM_RSRC3_GFX90A:TG_SPLIT: 0
	.section	.text._ZN7rocprim17ROCPRIM_400000_NS6detail17trampoline_kernelINS0_14default_configENS1_25transform_config_selectorIlLb0EEEZNS1_14transform_implILb0ES3_S5_NS0_18transform_iteratorINS0_17counting_iteratorImlEEZNS1_24adjacent_difference_implIS3_Lb1ELb0EPlSB_ZN2at6native12_GLOBAL__N_124unique_dim_cuda_templateIN3c108BFloat16EEESt5tupleIJNSC_6TensorESJ_SJ_EERKSJ_lbbbEUlllE1_EE10hipError_tPvRmT2_T3_mT4_P12ihipStream_tbEUlmE_lEESB_NS0_8identityIvEEEESO_SR_SS_mST_SV_bEUlT_E_NS1_11comp_targetILNS1_3genE10ELNS1_11target_archE1200ELNS1_3gpuE4ELNS1_3repE0EEENS1_30default_config_static_selectorELNS0_4arch9wavefront6targetE1EEEvT1_,"axG",@progbits,_ZN7rocprim17ROCPRIM_400000_NS6detail17trampoline_kernelINS0_14default_configENS1_25transform_config_selectorIlLb0EEEZNS1_14transform_implILb0ES3_S5_NS0_18transform_iteratorINS0_17counting_iteratorImlEEZNS1_24adjacent_difference_implIS3_Lb1ELb0EPlSB_ZN2at6native12_GLOBAL__N_124unique_dim_cuda_templateIN3c108BFloat16EEESt5tupleIJNSC_6TensorESJ_SJ_EERKSJ_lbbbEUlllE1_EE10hipError_tPvRmT2_T3_mT4_P12ihipStream_tbEUlmE_lEESB_NS0_8identityIvEEEESO_SR_SS_mST_SV_bEUlT_E_NS1_11comp_targetILNS1_3genE10ELNS1_11target_archE1200ELNS1_3gpuE4ELNS1_3repE0EEENS1_30default_config_static_selectorELNS0_4arch9wavefront6targetE1EEEvT1_,comdat
	.globl	_ZN7rocprim17ROCPRIM_400000_NS6detail17trampoline_kernelINS0_14default_configENS1_25transform_config_selectorIlLb0EEEZNS1_14transform_implILb0ES3_S5_NS0_18transform_iteratorINS0_17counting_iteratorImlEEZNS1_24adjacent_difference_implIS3_Lb1ELb0EPlSB_ZN2at6native12_GLOBAL__N_124unique_dim_cuda_templateIN3c108BFloat16EEESt5tupleIJNSC_6TensorESJ_SJ_EERKSJ_lbbbEUlllE1_EE10hipError_tPvRmT2_T3_mT4_P12ihipStream_tbEUlmE_lEESB_NS0_8identityIvEEEESO_SR_SS_mST_SV_bEUlT_E_NS1_11comp_targetILNS1_3genE10ELNS1_11target_archE1200ELNS1_3gpuE4ELNS1_3repE0EEENS1_30default_config_static_selectorELNS0_4arch9wavefront6targetE1EEEvT1_ ; -- Begin function _ZN7rocprim17ROCPRIM_400000_NS6detail17trampoline_kernelINS0_14default_configENS1_25transform_config_selectorIlLb0EEEZNS1_14transform_implILb0ES3_S5_NS0_18transform_iteratorINS0_17counting_iteratorImlEEZNS1_24adjacent_difference_implIS3_Lb1ELb0EPlSB_ZN2at6native12_GLOBAL__N_124unique_dim_cuda_templateIN3c108BFloat16EEESt5tupleIJNSC_6TensorESJ_SJ_EERKSJ_lbbbEUlllE1_EE10hipError_tPvRmT2_T3_mT4_P12ihipStream_tbEUlmE_lEESB_NS0_8identityIvEEEESO_SR_SS_mST_SV_bEUlT_E_NS1_11comp_targetILNS1_3genE10ELNS1_11target_archE1200ELNS1_3gpuE4ELNS1_3repE0EEENS1_30default_config_static_selectorELNS0_4arch9wavefront6targetE1EEEvT1_
	.p2align	8
	.type	_ZN7rocprim17ROCPRIM_400000_NS6detail17trampoline_kernelINS0_14default_configENS1_25transform_config_selectorIlLb0EEEZNS1_14transform_implILb0ES3_S5_NS0_18transform_iteratorINS0_17counting_iteratorImlEEZNS1_24adjacent_difference_implIS3_Lb1ELb0EPlSB_ZN2at6native12_GLOBAL__N_124unique_dim_cuda_templateIN3c108BFloat16EEESt5tupleIJNSC_6TensorESJ_SJ_EERKSJ_lbbbEUlllE1_EE10hipError_tPvRmT2_T3_mT4_P12ihipStream_tbEUlmE_lEESB_NS0_8identityIvEEEESO_SR_SS_mST_SV_bEUlT_E_NS1_11comp_targetILNS1_3genE10ELNS1_11target_archE1200ELNS1_3gpuE4ELNS1_3repE0EEENS1_30default_config_static_selectorELNS0_4arch9wavefront6targetE1EEEvT1_,@function
_ZN7rocprim17ROCPRIM_400000_NS6detail17trampoline_kernelINS0_14default_configENS1_25transform_config_selectorIlLb0EEEZNS1_14transform_implILb0ES3_S5_NS0_18transform_iteratorINS0_17counting_iteratorImlEEZNS1_24adjacent_difference_implIS3_Lb1ELb0EPlSB_ZN2at6native12_GLOBAL__N_124unique_dim_cuda_templateIN3c108BFloat16EEESt5tupleIJNSC_6TensorESJ_SJ_EERKSJ_lbbbEUlllE1_EE10hipError_tPvRmT2_T3_mT4_P12ihipStream_tbEUlmE_lEESB_NS0_8identityIvEEEESO_SR_SS_mST_SV_bEUlT_E_NS1_11comp_targetILNS1_3genE10ELNS1_11target_archE1200ELNS1_3gpuE4ELNS1_3repE0EEENS1_30default_config_static_selectorELNS0_4arch9wavefront6targetE1EEEvT1_: ; @_ZN7rocprim17ROCPRIM_400000_NS6detail17trampoline_kernelINS0_14default_configENS1_25transform_config_selectorIlLb0EEEZNS1_14transform_implILb0ES3_S5_NS0_18transform_iteratorINS0_17counting_iteratorImlEEZNS1_24adjacent_difference_implIS3_Lb1ELb0EPlSB_ZN2at6native12_GLOBAL__N_124unique_dim_cuda_templateIN3c108BFloat16EEESt5tupleIJNSC_6TensorESJ_SJ_EERKSJ_lbbbEUlllE1_EE10hipError_tPvRmT2_T3_mT4_P12ihipStream_tbEUlmE_lEESB_NS0_8identityIvEEEESO_SR_SS_mST_SV_bEUlT_E_NS1_11comp_targetILNS1_3genE10ELNS1_11target_archE1200ELNS1_3gpuE4ELNS1_3repE0EEENS1_30default_config_static_selectorELNS0_4arch9wavefront6targetE1EEEvT1_
; %bb.0:
	.section	.rodata,"a",@progbits
	.p2align	6, 0x0
	.amdhsa_kernel _ZN7rocprim17ROCPRIM_400000_NS6detail17trampoline_kernelINS0_14default_configENS1_25transform_config_selectorIlLb0EEEZNS1_14transform_implILb0ES3_S5_NS0_18transform_iteratorINS0_17counting_iteratorImlEEZNS1_24adjacent_difference_implIS3_Lb1ELb0EPlSB_ZN2at6native12_GLOBAL__N_124unique_dim_cuda_templateIN3c108BFloat16EEESt5tupleIJNSC_6TensorESJ_SJ_EERKSJ_lbbbEUlllE1_EE10hipError_tPvRmT2_T3_mT4_P12ihipStream_tbEUlmE_lEESB_NS0_8identityIvEEEESO_SR_SS_mST_SV_bEUlT_E_NS1_11comp_targetILNS1_3genE10ELNS1_11target_archE1200ELNS1_3gpuE4ELNS1_3repE0EEENS1_30default_config_static_selectorELNS0_4arch9wavefront6targetE1EEEvT1_
		.amdhsa_group_segment_fixed_size 0
		.amdhsa_private_segment_fixed_size 0
		.amdhsa_kernarg_size 56
		.amdhsa_user_sgpr_count 2
		.amdhsa_user_sgpr_dispatch_ptr 0
		.amdhsa_user_sgpr_queue_ptr 0
		.amdhsa_user_sgpr_kernarg_segment_ptr 1
		.amdhsa_user_sgpr_dispatch_id 0
		.amdhsa_user_sgpr_kernarg_preload_length 0
		.amdhsa_user_sgpr_kernarg_preload_offset 0
		.amdhsa_user_sgpr_private_segment_size 0
		.amdhsa_uses_dynamic_stack 0
		.amdhsa_enable_private_segment 0
		.amdhsa_system_sgpr_workgroup_id_x 1
		.amdhsa_system_sgpr_workgroup_id_y 0
		.amdhsa_system_sgpr_workgroup_id_z 0
		.amdhsa_system_sgpr_workgroup_info 0
		.amdhsa_system_vgpr_workitem_id 0
		.amdhsa_next_free_vgpr 1
		.amdhsa_next_free_sgpr 0
		.amdhsa_accum_offset 4
		.amdhsa_reserve_vcc 0
		.amdhsa_float_round_mode_32 0
		.amdhsa_float_round_mode_16_64 0
		.amdhsa_float_denorm_mode_32 3
		.amdhsa_float_denorm_mode_16_64 3
		.amdhsa_dx10_clamp 1
		.amdhsa_ieee_mode 1
		.amdhsa_fp16_overflow 0
		.amdhsa_tg_split 0
		.amdhsa_exception_fp_ieee_invalid_op 0
		.amdhsa_exception_fp_denorm_src 0
		.amdhsa_exception_fp_ieee_div_zero 0
		.amdhsa_exception_fp_ieee_overflow 0
		.amdhsa_exception_fp_ieee_underflow 0
		.amdhsa_exception_fp_ieee_inexact 0
		.amdhsa_exception_int_div_zero 0
	.end_amdhsa_kernel
	.section	.text._ZN7rocprim17ROCPRIM_400000_NS6detail17trampoline_kernelINS0_14default_configENS1_25transform_config_selectorIlLb0EEEZNS1_14transform_implILb0ES3_S5_NS0_18transform_iteratorINS0_17counting_iteratorImlEEZNS1_24adjacent_difference_implIS3_Lb1ELb0EPlSB_ZN2at6native12_GLOBAL__N_124unique_dim_cuda_templateIN3c108BFloat16EEESt5tupleIJNSC_6TensorESJ_SJ_EERKSJ_lbbbEUlllE1_EE10hipError_tPvRmT2_T3_mT4_P12ihipStream_tbEUlmE_lEESB_NS0_8identityIvEEEESO_SR_SS_mST_SV_bEUlT_E_NS1_11comp_targetILNS1_3genE10ELNS1_11target_archE1200ELNS1_3gpuE4ELNS1_3repE0EEENS1_30default_config_static_selectorELNS0_4arch9wavefront6targetE1EEEvT1_,"axG",@progbits,_ZN7rocprim17ROCPRIM_400000_NS6detail17trampoline_kernelINS0_14default_configENS1_25transform_config_selectorIlLb0EEEZNS1_14transform_implILb0ES3_S5_NS0_18transform_iteratorINS0_17counting_iteratorImlEEZNS1_24adjacent_difference_implIS3_Lb1ELb0EPlSB_ZN2at6native12_GLOBAL__N_124unique_dim_cuda_templateIN3c108BFloat16EEESt5tupleIJNSC_6TensorESJ_SJ_EERKSJ_lbbbEUlllE1_EE10hipError_tPvRmT2_T3_mT4_P12ihipStream_tbEUlmE_lEESB_NS0_8identityIvEEEESO_SR_SS_mST_SV_bEUlT_E_NS1_11comp_targetILNS1_3genE10ELNS1_11target_archE1200ELNS1_3gpuE4ELNS1_3repE0EEENS1_30default_config_static_selectorELNS0_4arch9wavefront6targetE1EEEvT1_,comdat
.Lfunc_end1163:
	.size	_ZN7rocprim17ROCPRIM_400000_NS6detail17trampoline_kernelINS0_14default_configENS1_25transform_config_selectorIlLb0EEEZNS1_14transform_implILb0ES3_S5_NS0_18transform_iteratorINS0_17counting_iteratorImlEEZNS1_24adjacent_difference_implIS3_Lb1ELb0EPlSB_ZN2at6native12_GLOBAL__N_124unique_dim_cuda_templateIN3c108BFloat16EEESt5tupleIJNSC_6TensorESJ_SJ_EERKSJ_lbbbEUlllE1_EE10hipError_tPvRmT2_T3_mT4_P12ihipStream_tbEUlmE_lEESB_NS0_8identityIvEEEESO_SR_SS_mST_SV_bEUlT_E_NS1_11comp_targetILNS1_3genE10ELNS1_11target_archE1200ELNS1_3gpuE4ELNS1_3repE0EEENS1_30default_config_static_selectorELNS0_4arch9wavefront6targetE1EEEvT1_, .Lfunc_end1163-_ZN7rocprim17ROCPRIM_400000_NS6detail17trampoline_kernelINS0_14default_configENS1_25transform_config_selectorIlLb0EEEZNS1_14transform_implILb0ES3_S5_NS0_18transform_iteratorINS0_17counting_iteratorImlEEZNS1_24adjacent_difference_implIS3_Lb1ELb0EPlSB_ZN2at6native12_GLOBAL__N_124unique_dim_cuda_templateIN3c108BFloat16EEESt5tupleIJNSC_6TensorESJ_SJ_EERKSJ_lbbbEUlllE1_EE10hipError_tPvRmT2_T3_mT4_P12ihipStream_tbEUlmE_lEESB_NS0_8identityIvEEEESO_SR_SS_mST_SV_bEUlT_E_NS1_11comp_targetILNS1_3genE10ELNS1_11target_archE1200ELNS1_3gpuE4ELNS1_3repE0EEENS1_30default_config_static_selectorELNS0_4arch9wavefront6targetE1EEEvT1_
                                        ; -- End function
	.set _ZN7rocprim17ROCPRIM_400000_NS6detail17trampoline_kernelINS0_14default_configENS1_25transform_config_selectorIlLb0EEEZNS1_14transform_implILb0ES3_S5_NS0_18transform_iteratorINS0_17counting_iteratorImlEEZNS1_24adjacent_difference_implIS3_Lb1ELb0EPlSB_ZN2at6native12_GLOBAL__N_124unique_dim_cuda_templateIN3c108BFloat16EEESt5tupleIJNSC_6TensorESJ_SJ_EERKSJ_lbbbEUlllE1_EE10hipError_tPvRmT2_T3_mT4_P12ihipStream_tbEUlmE_lEESB_NS0_8identityIvEEEESO_SR_SS_mST_SV_bEUlT_E_NS1_11comp_targetILNS1_3genE10ELNS1_11target_archE1200ELNS1_3gpuE4ELNS1_3repE0EEENS1_30default_config_static_selectorELNS0_4arch9wavefront6targetE1EEEvT1_.num_vgpr, 0
	.set _ZN7rocprim17ROCPRIM_400000_NS6detail17trampoline_kernelINS0_14default_configENS1_25transform_config_selectorIlLb0EEEZNS1_14transform_implILb0ES3_S5_NS0_18transform_iteratorINS0_17counting_iteratorImlEEZNS1_24adjacent_difference_implIS3_Lb1ELb0EPlSB_ZN2at6native12_GLOBAL__N_124unique_dim_cuda_templateIN3c108BFloat16EEESt5tupleIJNSC_6TensorESJ_SJ_EERKSJ_lbbbEUlllE1_EE10hipError_tPvRmT2_T3_mT4_P12ihipStream_tbEUlmE_lEESB_NS0_8identityIvEEEESO_SR_SS_mST_SV_bEUlT_E_NS1_11comp_targetILNS1_3genE10ELNS1_11target_archE1200ELNS1_3gpuE4ELNS1_3repE0EEENS1_30default_config_static_selectorELNS0_4arch9wavefront6targetE1EEEvT1_.num_agpr, 0
	.set _ZN7rocprim17ROCPRIM_400000_NS6detail17trampoline_kernelINS0_14default_configENS1_25transform_config_selectorIlLb0EEEZNS1_14transform_implILb0ES3_S5_NS0_18transform_iteratorINS0_17counting_iteratorImlEEZNS1_24adjacent_difference_implIS3_Lb1ELb0EPlSB_ZN2at6native12_GLOBAL__N_124unique_dim_cuda_templateIN3c108BFloat16EEESt5tupleIJNSC_6TensorESJ_SJ_EERKSJ_lbbbEUlllE1_EE10hipError_tPvRmT2_T3_mT4_P12ihipStream_tbEUlmE_lEESB_NS0_8identityIvEEEESO_SR_SS_mST_SV_bEUlT_E_NS1_11comp_targetILNS1_3genE10ELNS1_11target_archE1200ELNS1_3gpuE4ELNS1_3repE0EEENS1_30default_config_static_selectorELNS0_4arch9wavefront6targetE1EEEvT1_.numbered_sgpr, 0
	.set _ZN7rocprim17ROCPRIM_400000_NS6detail17trampoline_kernelINS0_14default_configENS1_25transform_config_selectorIlLb0EEEZNS1_14transform_implILb0ES3_S5_NS0_18transform_iteratorINS0_17counting_iteratorImlEEZNS1_24adjacent_difference_implIS3_Lb1ELb0EPlSB_ZN2at6native12_GLOBAL__N_124unique_dim_cuda_templateIN3c108BFloat16EEESt5tupleIJNSC_6TensorESJ_SJ_EERKSJ_lbbbEUlllE1_EE10hipError_tPvRmT2_T3_mT4_P12ihipStream_tbEUlmE_lEESB_NS0_8identityIvEEEESO_SR_SS_mST_SV_bEUlT_E_NS1_11comp_targetILNS1_3genE10ELNS1_11target_archE1200ELNS1_3gpuE4ELNS1_3repE0EEENS1_30default_config_static_selectorELNS0_4arch9wavefront6targetE1EEEvT1_.num_named_barrier, 0
	.set _ZN7rocprim17ROCPRIM_400000_NS6detail17trampoline_kernelINS0_14default_configENS1_25transform_config_selectorIlLb0EEEZNS1_14transform_implILb0ES3_S5_NS0_18transform_iteratorINS0_17counting_iteratorImlEEZNS1_24adjacent_difference_implIS3_Lb1ELb0EPlSB_ZN2at6native12_GLOBAL__N_124unique_dim_cuda_templateIN3c108BFloat16EEESt5tupleIJNSC_6TensorESJ_SJ_EERKSJ_lbbbEUlllE1_EE10hipError_tPvRmT2_T3_mT4_P12ihipStream_tbEUlmE_lEESB_NS0_8identityIvEEEESO_SR_SS_mST_SV_bEUlT_E_NS1_11comp_targetILNS1_3genE10ELNS1_11target_archE1200ELNS1_3gpuE4ELNS1_3repE0EEENS1_30default_config_static_selectorELNS0_4arch9wavefront6targetE1EEEvT1_.private_seg_size, 0
	.set _ZN7rocprim17ROCPRIM_400000_NS6detail17trampoline_kernelINS0_14default_configENS1_25transform_config_selectorIlLb0EEEZNS1_14transform_implILb0ES3_S5_NS0_18transform_iteratorINS0_17counting_iteratorImlEEZNS1_24adjacent_difference_implIS3_Lb1ELb0EPlSB_ZN2at6native12_GLOBAL__N_124unique_dim_cuda_templateIN3c108BFloat16EEESt5tupleIJNSC_6TensorESJ_SJ_EERKSJ_lbbbEUlllE1_EE10hipError_tPvRmT2_T3_mT4_P12ihipStream_tbEUlmE_lEESB_NS0_8identityIvEEEESO_SR_SS_mST_SV_bEUlT_E_NS1_11comp_targetILNS1_3genE10ELNS1_11target_archE1200ELNS1_3gpuE4ELNS1_3repE0EEENS1_30default_config_static_selectorELNS0_4arch9wavefront6targetE1EEEvT1_.uses_vcc, 0
	.set _ZN7rocprim17ROCPRIM_400000_NS6detail17trampoline_kernelINS0_14default_configENS1_25transform_config_selectorIlLb0EEEZNS1_14transform_implILb0ES3_S5_NS0_18transform_iteratorINS0_17counting_iteratorImlEEZNS1_24adjacent_difference_implIS3_Lb1ELb0EPlSB_ZN2at6native12_GLOBAL__N_124unique_dim_cuda_templateIN3c108BFloat16EEESt5tupleIJNSC_6TensorESJ_SJ_EERKSJ_lbbbEUlllE1_EE10hipError_tPvRmT2_T3_mT4_P12ihipStream_tbEUlmE_lEESB_NS0_8identityIvEEEESO_SR_SS_mST_SV_bEUlT_E_NS1_11comp_targetILNS1_3genE10ELNS1_11target_archE1200ELNS1_3gpuE4ELNS1_3repE0EEENS1_30default_config_static_selectorELNS0_4arch9wavefront6targetE1EEEvT1_.uses_flat_scratch, 0
	.set _ZN7rocprim17ROCPRIM_400000_NS6detail17trampoline_kernelINS0_14default_configENS1_25transform_config_selectorIlLb0EEEZNS1_14transform_implILb0ES3_S5_NS0_18transform_iteratorINS0_17counting_iteratorImlEEZNS1_24adjacent_difference_implIS3_Lb1ELb0EPlSB_ZN2at6native12_GLOBAL__N_124unique_dim_cuda_templateIN3c108BFloat16EEESt5tupleIJNSC_6TensorESJ_SJ_EERKSJ_lbbbEUlllE1_EE10hipError_tPvRmT2_T3_mT4_P12ihipStream_tbEUlmE_lEESB_NS0_8identityIvEEEESO_SR_SS_mST_SV_bEUlT_E_NS1_11comp_targetILNS1_3genE10ELNS1_11target_archE1200ELNS1_3gpuE4ELNS1_3repE0EEENS1_30default_config_static_selectorELNS0_4arch9wavefront6targetE1EEEvT1_.has_dyn_sized_stack, 0
	.set _ZN7rocprim17ROCPRIM_400000_NS6detail17trampoline_kernelINS0_14default_configENS1_25transform_config_selectorIlLb0EEEZNS1_14transform_implILb0ES3_S5_NS0_18transform_iteratorINS0_17counting_iteratorImlEEZNS1_24adjacent_difference_implIS3_Lb1ELb0EPlSB_ZN2at6native12_GLOBAL__N_124unique_dim_cuda_templateIN3c108BFloat16EEESt5tupleIJNSC_6TensorESJ_SJ_EERKSJ_lbbbEUlllE1_EE10hipError_tPvRmT2_T3_mT4_P12ihipStream_tbEUlmE_lEESB_NS0_8identityIvEEEESO_SR_SS_mST_SV_bEUlT_E_NS1_11comp_targetILNS1_3genE10ELNS1_11target_archE1200ELNS1_3gpuE4ELNS1_3repE0EEENS1_30default_config_static_selectorELNS0_4arch9wavefront6targetE1EEEvT1_.has_recursion, 0
	.set _ZN7rocprim17ROCPRIM_400000_NS6detail17trampoline_kernelINS0_14default_configENS1_25transform_config_selectorIlLb0EEEZNS1_14transform_implILb0ES3_S5_NS0_18transform_iteratorINS0_17counting_iteratorImlEEZNS1_24adjacent_difference_implIS3_Lb1ELb0EPlSB_ZN2at6native12_GLOBAL__N_124unique_dim_cuda_templateIN3c108BFloat16EEESt5tupleIJNSC_6TensorESJ_SJ_EERKSJ_lbbbEUlllE1_EE10hipError_tPvRmT2_T3_mT4_P12ihipStream_tbEUlmE_lEESB_NS0_8identityIvEEEESO_SR_SS_mST_SV_bEUlT_E_NS1_11comp_targetILNS1_3genE10ELNS1_11target_archE1200ELNS1_3gpuE4ELNS1_3repE0EEENS1_30default_config_static_selectorELNS0_4arch9wavefront6targetE1EEEvT1_.has_indirect_call, 0
	.section	.AMDGPU.csdata,"",@progbits
; Kernel info:
; codeLenInByte = 0
; TotalNumSgprs: 6
; NumVgprs: 0
; NumAgprs: 0
; TotalNumVgprs: 0
; ScratchSize: 0
; MemoryBound: 0
; FloatMode: 240
; IeeeMode: 1
; LDSByteSize: 0 bytes/workgroup (compile time only)
; SGPRBlocks: 0
; VGPRBlocks: 0
; NumSGPRsForWavesPerEU: 6
; NumVGPRsForWavesPerEU: 1
; AccumOffset: 4
; Occupancy: 8
; WaveLimiterHint : 0
; COMPUTE_PGM_RSRC2:SCRATCH_EN: 0
; COMPUTE_PGM_RSRC2:USER_SGPR: 2
; COMPUTE_PGM_RSRC2:TRAP_HANDLER: 0
; COMPUTE_PGM_RSRC2:TGID_X_EN: 1
; COMPUTE_PGM_RSRC2:TGID_Y_EN: 0
; COMPUTE_PGM_RSRC2:TGID_Z_EN: 0
; COMPUTE_PGM_RSRC2:TIDIG_COMP_CNT: 0
; COMPUTE_PGM_RSRC3_GFX90A:ACCUM_OFFSET: 0
; COMPUTE_PGM_RSRC3_GFX90A:TG_SPLIT: 0
	.section	.text._ZN7rocprim17ROCPRIM_400000_NS6detail17trampoline_kernelINS0_14default_configENS1_25transform_config_selectorIlLb0EEEZNS1_14transform_implILb0ES3_S5_NS0_18transform_iteratorINS0_17counting_iteratorImlEEZNS1_24adjacent_difference_implIS3_Lb1ELb0EPlSB_ZN2at6native12_GLOBAL__N_124unique_dim_cuda_templateIN3c108BFloat16EEESt5tupleIJNSC_6TensorESJ_SJ_EERKSJ_lbbbEUlllE1_EE10hipError_tPvRmT2_T3_mT4_P12ihipStream_tbEUlmE_lEESB_NS0_8identityIvEEEESO_SR_SS_mST_SV_bEUlT_E_NS1_11comp_targetILNS1_3genE9ELNS1_11target_archE1100ELNS1_3gpuE3ELNS1_3repE0EEENS1_30default_config_static_selectorELNS0_4arch9wavefront6targetE1EEEvT1_,"axG",@progbits,_ZN7rocprim17ROCPRIM_400000_NS6detail17trampoline_kernelINS0_14default_configENS1_25transform_config_selectorIlLb0EEEZNS1_14transform_implILb0ES3_S5_NS0_18transform_iteratorINS0_17counting_iteratorImlEEZNS1_24adjacent_difference_implIS3_Lb1ELb0EPlSB_ZN2at6native12_GLOBAL__N_124unique_dim_cuda_templateIN3c108BFloat16EEESt5tupleIJNSC_6TensorESJ_SJ_EERKSJ_lbbbEUlllE1_EE10hipError_tPvRmT2_T3_mT4_P12ihipStream_tbEUlmE_lEESB_NS0_8identityIvEEEESO_SR_SS_mST_SV_bEUlT_E_NS1_11comp_targetILNS1_3genE9ELNS1_11target_archE1100ELNS1_3gpuE3ELNS1_3repE0EEENS1_30default_config_static_selectorELNS0_4arch9wavefront6targetE1EEEvT1_,comdat
	.globl	_ZN7rocprim17ROCPRIM_400000_NS6detail17trampoline_kernelINS0_14default_configENS1_25transform_config_selectorIlLb0EEEZNS1_14transform_implILb0ES3_S5_NS0_18transform_iteratorINS0_17counting_iteratorImlEEZNS1_24adjacent_difference_implIS3_Lb1ELb0EPlSB_ZN2at6native12_GLOBAL__N_124unique_dim_cuda_templateIN3c108BFloat16EEESt5tupleIJNSC_6TensorESJ_SJ_EERKSJ_lbbbEUlllE1_EE10hipError_tPvRmT2_T3_mT4_P12ihipStream_tbEUlmE_lEESB_NS0_8identityIvEEEESO_SR_SS_mST_SV_bEUlT_E_NS1_11comp_targetILNS1_3genE9ELNS1_11target_archE1100ELNS1_3gpuE3ELNS1_3repE0EEENS1_30default_config_static_selectorELNS0_4arch9wavefront6targetE1EEEvT1_ ; -- Begin function _ZN7rocprim17ROCPRIM_400000_NS6detail17trampoline_kernelINS0_14default_configENS1_25transform_config_selectorIlLb0EEEZNS1_14transform_implILb0ES3_S5_NS0_18transform_iteratorINS0_17counting_iteratorImlEEZNS1_24adjacent_difference_implIS3_Lb1ELb0EPlSB_ZN2at6native12_GLOBAL__N_124unique_dim_cuda_templateIN3c108BFloat16EEESt5tupleIJNSC_6TensorESJ_SJ_EERKSJ_lbbbEUlllE1_EE10hipError_tPvRmT2_T3_mT4_P12ihipStream_tbEUlmE_lEESB_NS0_8identityIvEEEESO_SR_SS_mST_SV_bEUlT_E_NS1_11comp_targetILNS1_3genE9ELNS1_11target_archE1100ELNS1_3gpuE3ELNS1_3repE0EEENS1_30default_config_static_selectorELNS0_4arch9wavefront6targetE1EEEvT1_
	.p2align	8
	.type	_ZN7rocprim17ROCPRIM_400000_NS6detail17trampoline_kernelINS0_14default_configENS1_25transform_config_selectorIlLb0EEEZNS1_14transform_implILb0ES3_S5_NS0_18transform_iteratorINS0_17counting_iteratorImlEEZNS1_24adjacent_difference_implIS3_Lb1ELb0EPlSB_ZN2at6native12_GLOBAL__N_124unique_dim_cuda_templateIN3c108BFloat16EEESt5tupleIJNSC_6TensorESJ_SJ_EERKSJ_lbbbEUlllE1_EE10hipError_tPvRmT2_T3_mT4_P12ihipStream_tbEUlmE_lEESB_NS0_8identityIvEEEESO_SR_SS_mST_SV_bEUlT_E_NS1_11comp_targetILNS1_3genE9ELNS1_11target_archE1100ELNS1_3gpuE3ELNS1_3repE0EEENS1_30default_config_static_selectorELNS0_4arch9wavefront6targetE1EEEvT1_,@function
_ZN7rocprim17ROCPRIM_400000_NS6detail17trampoline_kernelINS0_14default_configENS1_25transform_config_selectorIlLb0EEEZNS1_14transform_implILb0ES3_S5_NS0_18transform_iteratorINS0_17counting_iteratorImlEEZNS1_24adjacent_difference_implIS3_Lb1ELb0EPlSB_ZN2at6native12_GLOBAL__N_124unique_dim_cuda_templateIN3c108BFloat16EEESt5tupleIJNSC_6TensorESJ_SJ_EERKSJ_lbbbEUlllE1_EE10hipError_tPvRmT2_T3_mT4_P12ihipStream_tbEUlmE_lEESB_NS0_8identityIvEEEESO_SR_SS_mST_SV_bEUlT_E_NS1_11comp_targetILNS1_3genE9ELNS1_11target_archE1100ELNS1_3gpuE3ELNS1_3repE0EEENS1_30default_config_static_selectorELNS0_4arch9wavefront6targetE1EEEvT1_: ; @_ZN7rocprim17ROCPRIM_400000_NS6detail17trampoline_kernelINS0_14default_configENS1_25transform_config_selectorIlLb0EEEZNS1_14transform_implILb0ES3_S5_NS0_18transform_iteratorINS0_17counting_iteratorImlEEZNS1_24adjacent_difference_implIS3_Lb1ELb0EPlSB_ZN2at6native12_GLOBAL__N_124unique_dim_cuda_templateIN3c108BFloat16EEESt5tupleIJNSC_6TensorESJ_SJ_EERKSJ_lbbbEUlllE1_EE10hipError_tPvRmT2_T3_mT4_P12ihipStream_tbEUlmE_lEESB_NS0_8identityIvEEEESO_SR_SS_mST_SV_bEUlT_E_NS1_11comp_targetILNS1_3genE9ELNS1_11target_archE1100ELNS1_3gpuE3ELNS1_3repE0EEENS1_30default_config_static_selectorELNS0_4arch9wavefront6targetE1EEEvT1_
; %bb.0:
	.section	.rodata,"a",@progbits
	.p2align	6, 0x0
	.amdhsa_kernel _ZN7rocprim17ROCPRIM_400000_NS6detail17trampoline_kernelINS0_14default_configENS1_25transform_config_selectorIlLb0EEEZNS1_14transform_implILb0ES3_S5_NS0_18transform_iteratorINS0_17counting_iteratorImlEEZNS1_24adjacent_difference_implIS3_Lb1ELb0EPlSB_ZN2at6native12_GLOBAL__N_124unique_dim_cuda_templateIN3c108BFloat16EEESt5tupleIJNSC_6TensorESJ_SJ_EERKSJ_lbbbEUlllE1_EE10hipError_tPvRmT2_T3_mT4_P12ihipStream_tbEUlmE_lEESB_NS0_8identityIvEEEESO_SR_SS_mST_SV_bEUlT_E_NS1_11comp_targetILNS1_3genE9ELNS1_11target_archE1100ELNS1_3gpuE3ELNS1_3repE0EEENS1_30default_config_static_selectorELNS0_4arch9wavefront6targetE1EEEvT1_
		.amdhsa_group_segment_fixed_size 0
		.amdhsa_private_segment_fixed_size 0
		.amdhsa_kernarg_size 56
		.amdhsa_user_sgpr_count 2
		.amdhsa_user_sgpr_dispatch_ptr 0
		.amdhsa_user_sgpr_queue_ptr 0
		.amdhsa_user_sgpr_kernarg_segment_ptr 1
		.amdhsa_user_sgpr_dispatch_id 0
		.amdhsa_user_sgpr_kernarg_preload_length 0
		.amdhsa_user_sgpr_kernarg_preload_offset 0
		.amdhsa_user_sgpr_private_segment_size 0
		.amdhsa_uses_dynamic_stack 0
		.amdhsa_enable_private_segment 0
		.amdhsa_system_sgpr_workgroup_id_x 1
		.amdhsa_system_sgpr_workgroup_id_y 0
		.amdhsa_system_sgpr_workgroup_id_z 0
		.amdhsa_system_sgpr_workgroup_info 0
		.amdhsa_system_vgpr_workitem_id 0
		.amdhsa_next_free_vgpr 1
		.amdhsa_next_free_sgpr 0
		.amdhsa_accum_offset 4
		.amdhsa_reserve_vcc 0
		.amdhsa_float_round_mode_32 0
		.amdhsa_float_round_mode_16_64 0
		.amdhsa_float_denorm_mode_32 3
		.amdhsa_float_denorm_mode_16_64 3
		.amdhsa_dx10_clamp 1
		.amdhsa_ieee_mode 1
		.amdhsa_fp16_overflow 0
		.amdhsa_tg_split 0
		.amdhsa_exception_fp_ieee_invalid_op 0
		.amdhsa_exception_fp_denorm_src 0
		.amdhsa_exception_fp_ieee_div_zero 0
		.amdhsa_exception_fp_ieee_overflow 0
		.amdhsa_exception_fp_ieee_underflow 0
		.amdhsa_exception_fp_ieee_inexact 0
		.amdhsa_exception_int_div_zero 0
	.end_amdhsa_kernel
	.section	.text._ZN7rocprim17ROCPRIM_400000_NS6detail17trampoline_kernelINS0_14default_configENS1_25transform_config_selectorIlLb0EEEZNS1_14transform_implILb0ES3_S5_NS0_18transform_iteratorINS0_17counting_iteratorImlEEZNS1_24adjacent_difference_implIS3_Lb1ELb0EPlSB_ZN2at6native12_GLOBAL__N_124unique_dim_cuda_templateIN3c108BFloat16EEESt5tupleIJNSC_6TensorESJ_SJ_EERKSJ_lbbbEUlllE1_EE10hipError_tPvRmT2_T3_mT4_P12ihipStream_tbEUlmE_lEESB_NS0_8identityIvEEEESO_SR_SS_mST_SV_bEUlT_E_NS1_11comp_targetILNS1_3genE9ELNS1_11target_archE1100ELNS1_3gpuE3ELNS1_3repE0EEENS1_30default_config_static_selectorELNS0_4arch9wavefront6targetE1EEEvT1_,"axG",@progbits,_ZN7rocprim17ROCPRIM_400000_NS6detail17trampoline_kernelINS0_14default_configENS1_25transform_config_selectorIlLb0EEEZNS1_14transform_implILb0ES3_S5_NS0_18transform_iteratorINS0_17counting_iteratorImlEEZNS1_24adjacent_difference_implIS3_Lb1ELb0EPlSB_ZN2at6native12_GLOBAL__N_124unique_dim_cuda_templateIN3c108BFloat16EEESt5tupleIJNSC_6TensorESJ_SJ_EERKSJ_lbbbEUlllE1_EE10hipError_tPvRmT2_T3_mT4_P12ihipStream_tbEUlmE_lEESB_NS0_8identityIvEEEESO_SR_SS_mST_SV_bEUlT_E_NS1_11comp_targetILNS1_3genE9ELNS1_11target_archE1100ELNS1_3gpuE3ELNS1_3repE0EEENS1_30default_config_static_selectorELNS0_4arch9wavefront6targetE1EEEvT1_,comdat
.Lfunc_end1164:
	.size	_ZN7rocprim17ROCPRIM_400000_NS6detail17trampoline_kernelINS0_14default_configENS1_25transform_config_selectorIlLb0EEEZNS1_14transform_implILb0ES3_S5_NS0_18transform_iteratorINS0_17counting_iteratorImlEEZNS1_24adjacent_difference_implIS3_Lb1ELb0EPlSB_ZN2at6native12_GLOBAL__N_124unique_dim_cuda_templateIN3c108BFloat16EEESt5tupleIJNSC_6TensorESJ_SJ_EERKSJ_lbbbEUlllE1_EE10hipError_tPvRmT2_T3_mT4_P12ihipStream_tbEUlmE_lEESB_NS0_8identityIvEEEESO_SR_SS_mST_SV_bEUlT_E_NS1_11comp_targetILNS1_3genE9ELNS1_11target_archE1100ELNS1_3gpuE3ELNS1_3repE0EEENS1_30default_config_static_selectorELNS0_4arch9wavefront6targetE1EEEvT1_, .Lfunc_end1164-_ZN7rocprim17ROCPRIM_400000_NS6detail17trampoline_kernelINS0_14default_configENS1_25transform_config_selectorIlLb0EEEZNS1_14transform_implILb0ES3_S5_NS0_18transform_iteratorINS0_17counting_iteratorImlEEZNS1_24adjacent_difference_implIS3_Lb1ELb0EPlSB_ZN2at6native12_GLOBAL__N_124unique_dim_cuda_templateIN3c108BFloat16EEESt5tupleIJNSC_6TensorESJ_SJ_EERKSJ_lbbbEUlllE1_EE10hipError_tPvRmT2_T3_mT4_P12ihipStream_tbEUlmE_lEESB_NS0_8identityIvEEEESO_SR_SS_mST_SV_bEUlT_E_NS1_11comp_targetILNS1_3genE9ELNS1_11target_archE1100ELNS1_3gpuE3ELNS1_3repE0EEENS1_30default_config_static_selectorELNS0_4arch9wavefront6targetE1EEEvT1_
                                        ; -- End function
	.set _ZN7rocprim17ROCPRIM_400000_NS6detail17trampoline_kernelINS0_14default_configENS1_25transform_config_selectorIlLb0EEEZNS1_14transform_implILb0ES3_S5_NS0_18transform_iteratorINS0_17counting_iteratorImlEEZNS1_24adjacent_difference_implIS3_Lb1ELb0EPlSB_ZN2at6native12_GLOBAL__N_124unique_dim_cuda_templateIN3c108BFloat16EEESt5tupleIJNSC_6TensorESJ_SJ_EERKSJ_lbbbEUlllE1_EE10hipError_tPvRmT2_T3_mT4_P12ihipStream_tbEUlmE_lEESB_NS0_8identityIvEEEESO_SR_SS_mST_SV_bEUlT_E_NS1_11comp_targetILNS1_3genE9ELNS1_11target_archE1100ELNS1_3gpuE3ELNS1_3repE0EEENS1_30default_config_static_selectorELNS0_4arch9wavefront6targetE1EEEvT1_.num_vgpr, 0
	.set _ZN7rocprim17ROCPRIM_400000_NS6detail17trampoline_kernelINS0_14default_configENS1_25transform_config_selectorIlLb0EEEZNS1_14transform_implILb0ES3_S5_NS0_18transform_iteratorINS0_17counting_iteratorImlEEZNS1_24adjacent_difference_implIS3_Lb1ELb0EPlSB_ZN2at6native12_GLOBAL__N_124unique_dim_cuda_templateIN3c108BFloat16EEESt5tupleIJNSC_6TensorESJ_SJ_EERKSJ_lbbbEUlllE1_EE10hipError_tPvRmT2_T3_mT4_P12ihipStream_tbEUlmE_lEESB_NS0_8identityIvEEEESO_SR_SS_mST_SV_bEUlT_E_NS1_11comp_targetILNS1_3genE9ELNS1_11target_archE1100ELNS1_3gpuE3ELNS1_3repE0EEENS1_30default_config_static_selectorELNS0_4arch9wavefront6targetE1EEEvT1_.num_agpr, 0
	.set _ZN7rocprim17ROCPRIM_400000_NS6detail17trampoline_kernelINS0_14default_configENS1_25transform_config_selectorIlLb0EEEZNS1_14transform_implILb0ES3_S5_NS0_18transform_iteratorINS0_17counting_iteratorImlEEZNS1_24adjacent_difference_implIS3_Lb1ELb0EPlSB_ZN2at6native12_GLOBAL__N_124unique_dim_cuda_templateIN3c108BFloat16EEESt5tupleIJNSC_6TensorESJ_SJ_EERKSJ_lbbbEUlllE1_EE10hipError_tPvRmT2_T3_mT4_P12ihipStream_tbEUlmE_lEESB_NS0_8identityIvEEEESO_SR_SS_mST_SV_bEUlT_E_NS1_11comp_targetILNS1_3genE9ELNS1_11target_archE1100ELNS1_3gpuE3ELNS1_3repE0EEENS1_30default_config_static_selectorELNS0_4arch9wavefront6targetE1EEEvT1_.numbered_sgpr, 0
	.set _ZN7rocprim17ROCPRIM_400000_NS6detail17trampoline_kernelINS0_14default_configENS1_25transform_config_selectorIlLb0EEEZNS1_14transform_implILb0ES3_S5_NS0_18transform_iteratorINS0_17counting_iteratorImlEEZNS1_24adjacent_difference_implIS3_Lb1ELb0EPlSB_ZN2at6native12_GLOBAL__N_124unique_dim_cuda_templateIN3c108BFloat16EEESt5tupleIJNSC_6TensorESJ_SJ_EERKSJ_lbbbEUlllE1_EE10hipError_tPvRmT2_T3_mT4_P12ihipStream_tbEUlmE_lEESB_NS0_8identityIvEEEESO_SR_SS_mST_SV_bEUlT_E_NS1_11comp_targetILNS1_3genE9ELNS1_11target_archE1100ELNS1_3gpuE3ELNS1_3repE0EEENS1_30default_config_static_selectorELNS0_4arch9wavefront6targetE1EEEvT1_.num_named_barrier, 0
	.set _ZN7rocprim17ROCPRIM_400000_NS6detail17trampoline_kernelINS0_14default_configENS1_25transform_config_selectorIlLb0EEEZNS1_14transform_implILb0ES3_S5_NS0_18transform_iteratorINS0_17counting_iteratorImlEEZNS1_24adjacent_difference_implIS3_Lb1ELb0EPlSB_ZN2at6native12_GLOBAL__N_124unique_dim_cuda_templateIN3c108BFloat16EEESt5tupleIJNSC_6TensorESJ_SJ_EERKSJ_lbbbEUlllE1_EE10hipError_tPvRmT2_T3_mT4_P12ihipStream_tbEUlmE_lEESB_NS0_8identityIvEEEESO_SR_SS_mST_SV_bEUlT_E_NS1_11comp_targetILNS1_3genE9ELNS1_11target_archE1100ELNS1_3gpuE3ELNS1_3repE0EEENS1_30default_config_static_selectorELNS0_4arch9wavefront6targetE1EEEvT1_.private_seg_size, 0
	.set _ZN7rocprim17ROCPRIM_400000_NS6detail17trampoline_kernelINS0_14default_configENS1_25transform_config_selectorIlLb0EEEZNS1_14transform_implILb0ES3_S5_NS0_18transform_iteratorINS0_17counting_iteratorImlEEZNS1_24adjacent_difference_implIS3_Lb1ELb0EPlSB_ZN2at6native12_GLOBAL__N_124unique_dim_cuda_templateIN3c108BFloat16EEESt5tupleIJNSC_6TensorESJ_SJ_EERKSJ_lbbbEUlllE1_EE10hipError_tPvRmT2_T3_mT4_P12ihipStream_tbEUlmE_lEESB_NS0_8identityIvEEEESO_SR_SS_mST_SV_bEUlT_E_NS1_11comp_targetILNS1_3genE9ELNS1_11target_archE1100ELNS1_3gpuE3ELNS1_3repE0EEENS1_30default_config_static_selectorELNS0_4arch9wavefront6targetE1EEEvT1_.uses_vcc, 0
	.set _ZN7rocprim17ROCPRIM_400000_NS6detail17trampoline_kernelINS0_14default_configENS1_25transform_config_selectorIlLb0EEEZNS1_14transform_implILb0ES3_S5_NS0_18transform_iteratorINS0_17counting_iteratorImlEEZNS1_24adjacent_difference_implIS3_Lb1ELb0EPlSB_ZN2at6native12_GLOBAL__N_124unique_dim_cuda_templateIN3c108BFloat16EEESt5tupleIJNSC_6TensorESJ_SJ_EERKSJ_lbbbEUlllE1_EE10hipError_tPvRmT2_T3_mT4_P12ihipStream_tbEUlmE_lEESB_NS0_8identityIvEEEESO_SR_SS_mST_SV_bEUlT_E_NS1_11comp_targetILNS1_3genE9ELNS1_11target_archE1100ELNS1_3gpuE3ELNS1_3repE0EEENS1_30default_config_static_selectorELNS0_4arch9wavefront6targetE1EEEvT1_.uses_flat_scratch, 0
	.set _ZN7rocprim17ROCPRIM_400000_NS6detail17trampoline_kernelINS0_14default_configENS1_25transform_config_selectorIlLb0EEEZNS1_14transform_implILb0ES3_S5_NS0_18transform_iteratorINS0_17counting_iteratorImlEEZNS1_24adjacent_difference_implIS3_Lb1ELb0EPlSB_ZN2at6native12_GLOBAL__N_124unique_dim_cuda_templateIN3c108BFloat16EEESt5tupleIJNSC_6TensorESJ_SJ_EERKSJ_lbbbEUlllE1_EE10hipError_tPvRmT2_T3_mT4_P12ihipStream_tbEUlmE_lEESB_NS0_8identityIvEEEESO_SR_SS_mST_SV_bEUlT_E_NS1_11comp_targetILNS1_3genE9ELNS1_11target_archE1100ELNS1_3gpuE3ELNS1_3repE0EEENS1_30default_config_static_selectorELNS0_4arch9wavefront6targetE1EEEvT1_.has_dyn_sized_stack, 0
	.set _ZN7rocprim17ROCPRIM_400000_NS6detail17trampoline_kernelINS0_14default_configENS1_25transform_config_selectorIlLb0EEEZNS1_14transform_implILb0ES3_S5_NS0_18transform_iteratorINS0_17counting_iteratorImlEEZNS1_24adjacent_difference_implIS3_Lb1ELb0EPlSB_ZN2at6native12_GLOBAL__N_124unique_dim_cuda_templateIN3c108BFloat16EEESt5tupleIJNSC_6TensorESJ_SJ_EERKSJ_lbbbEUlllE1_EE10hipError_tPvRmT2_T3_mT4_P12ihipStream_tbEUlmE_lEESB_NS0_8identityIvEEEESO_SR_SS_mST_SV_bEUlT_E_NS1_11comp_targetILNS1_3genE9ELNS1_11target_archE1100ELNS1_3gpuE3ELNS1_3repE0EEENS1_30default_config_static_selectorELNS0_4arch9wavefront6targetE1EEEvT1_.has_recursion, 0
	.set _ZN7rocprim17ROCPRIM_400000_NS6detail17trampoline_kernelINS0_14default_configENS1_25transform_config_selectorIlLb0EEEZNS1_14transform_implILb0ES3_S5_NS0_18transform_iteratorINS0_17counting_iteratorImlEEZNS1_24adjacent_difference_implIS3_Lb1ELb0EPlSB_ZN2at6native12_GLOBAL__N_124unique_dim_cuda_templateIN3c108BFloat16EEESt5tupleIJNSC_6TensorESJ_SJ_EERKSJ_lbbbEUlllE1_EE10hipError_tPvRmT2_T3_mT4_P12ihipStream_tbEUlmE_lEESB_NS0_8identityIvEEEESO_SR_SS_mST_SV_bEUlT_E_NS1_11comp_targetILNS1_3genE9ELNS1_11target_archE1100ELNS1_3gpuE3ELNS1_3repE0EEENS1_30default_config_static_selectorELNS0_4arch9wavefront6targetE1EEEvT1_.has_indirect_call, 0
	.section	.AMDGPU.csdata,"",@progbits
; Kernel info:
; codeLenInByte = 0
; TotalNumSgprs: 6
; NumVgprs: 0
; NumAgprs: 0
; TotalNumVgprs: 0
; ScratchSize: 0
; MemoryBound: 0
; FloatMode: 240
; IeeeMode: 1
; LDSByteSize: 0 bytes/workgroup (compile time only)
; SGPRBlocks: 0
; VGPRBlocks: 0
; NumSGPRsForWavesPerEU: 6
; NumVGPRsForWavesPerEU: 1
; AccumOffset: 4
; Occupancy: 8
; WaveLimiterHint : 0
; COMPUTE_PGM_RSRC2:SCRATCH_EN: 0
; COMPUTE_PGM_RSRC2:USER_SGPR: 2
; COMPUTE_PGM_RSRC2:TRAP_HANDLER: 0
; COMPUTE_PGM_RSRC2:TGID_X_EN: 1
; COMPUTE_PGM_RSRC2:TGID_Y_EN: 0
; COMPUTE_PGM_RSRC2:TGID_Z_EN: 0
; COMPUTE_PGM_RSRC2:TIDIG_COMP_CNT: 0
; COMPUTE_PGM_RSRC3_GFX90A:ACCUM_OFFSET: 0
; COMPUTE_PGM_RSRC3_GFX90A:TG_SPLIT: 0
	.section	.text._ZN7rocprim17ROCPRIM_400000_NS6detail17trampoline_kernelINS0_14default_configENS1_25transform_config_selectorIlLb0EEEZNS1_14transform_implILb0ES3_S5_NS0_18transform_iteratorINS0_17counting_iteratorImlEEZNS1_24adjacent_difference_implIS3_Lb1ELb0EPlSB_ZN2at6native12_GLOBAL__N_124unique_dim_cuda_templateIN3c108BFloat16EEESt5tupleIJNSC_6TensorESJ_SJ_EERKSJ_lbbbEUlllE1_EE10hipError_tPvRmT2_T3_mT4_P12ihipStream_tbEUlmE_lEESB_NS0_8identityIvEEEESO_SR_SS_mST_SV_bEUlT_E_NS1_11comp_targetILNS1_3genE8ELNS1_11target_archE1030ELNS1_3gpuE2ELNS1_3repE0EEENS1_30default_config_static_selectorELNS0_4arch9wavefront6targetE1EEEvT1_,"axG",@progbits,_ZN7rocprim17ROCPRIM_400000_NS6detail17trampoline_kernelINS0_14default_configENS1_25transform_config_selectorIlLb0EEEZNS1_14transform_implILb0ES3_S5_NS0_18transform_iteratorINS0_17counting_iteratorImlEEZNS1_24adjacent_difference_implIS3_Lb1ELb0EPlSB_ZN2at6native12_GLOBAL__N_124unique_dim_cuda_templateIN3c108BFloat16EEESt5tupleIJNSC_6TensorESJ_SJ_EERKSJ_lbbbEUlllE1_EE10hipError_tPvRmT2_T3_mT4_P12ihipStream_tbEUlmE_lEESB_NS0_8identityIvEEEESO_SR_SS_mST_SV_bEUlT_E_NS1_11comp_targetILNS1_3genE8ELNS1_11target_archE1030ELNS1_3gpuE2ELNS1_3repE0EEENS1_30default_config_static_selectorELNS0_4arch9wavefront6targetE1EEEvT1_,comdat
	.globl	_ZN7rocprim17ROCPRIM_400000_NS6detail17trampoline_kernelINS0_14default_configENS1_25transform_config_selectorIlLb0EEEZNS1_14transform_implILb0ES3_S5_NS0_18transform_iteratorINS0_17counting_iteratorImlEEZNS1_24adjacent_difference_implIS3_Lb1ELb0EPlSB_ZN2at6native12_GLOBAL__N_124unique_dim_cuda_templateIN3c108BFloat16EEESt5tupleIJNSC_6TensorESJ_SJ_EERKSJ_lbbbEUlllE1_EE10hipError_tPvRmT2_T3_mT4_P12ihipStream_tbEUlmE_lEESB_NS0_8identityIvEEEESO_SR_SS_mST_SV_bEUlT_E_NS1_11comp_targetILNS1_3genE8ELNS1_11target_archE1030ELNS1_3gpuE2ELNS1_3repE0EEENS1_30default_config_static_selectorELNS0_4arch9wavefront6targetE1EEEvT1_ ; -- Begin function _ZN7rocprim17ROCPRIM_400000_NS6detail17trampoline_kernelINS0_14default_configENS1_25transform_config_selectorIlLb0EEEZNS1_14transform_implILb0ES3_S5_NS0_18transform_iteratorINS0_17counting_iteratorImlEEZNS1_24adjacent_difference_implIS3_Lb1ELb0EPlSB_ZN2at6native12_GLOBAL__N_124unique_dim_cuda_templateIN3c108BFloat16EEESt5tupleIJNSC_6TensorESJ_SJ_EERKSJ_lbbbEUlllE1_EE10hipError_tPvRmT2_T3_mT4_P12ihipStream_tbEUlmE_lEESB_NS0_8identityIvEEEESO_SR_SS_mST_SV_bEUlT_E_NS1_11comp_targetILNS1_3genE8ELNS1_11target_archE1030ELNS1_3gpuE2ELNS1_3repE0EEENS1_30default_config_static_selectorELNS0_4arch9wavefront6targetE1EEEvT1_
	.p2align	8
	.type	_ZN7rocprim17ROCPRIM_400000_NS6detail17trampoline_kernelINS0_14default_configENS1_25transform_config_selectorIlLb0EEEZNS1_14transform_implILb0ES3_S5_NS0_18transform_iteratorINS0_17counting_iteratorImlEEZNS1_24adjacent_difference_implIS3_Lb1ELb0EPlSB_ZN2at6native12_GLOBAL__N_124unique_dim_cuda_templateIN3c108BFloat16EEESt5tupleIJNSC_6TensorESJ_SJ_EERKSJ_lbbbEUlllE1_EE10hipError_tPvRmT2_T3_mT4_P12ihipStream_tbEUlmE_lEESB_NS0_8identityIvEEEESO_SR_SS_mST_SV_bEUlT_E_NS1_11comp_targetILNS1_3genE8ELNS1_11target_archE1030ELNS1_3gpuE2ELNS1_3repE0EEENS1_30default_config_static_selectorELNS0_4arch9wavefront6targetE1EEEvT1_,@function
_ZN7rocprim17ROCPRIM_400000_NS6detail17trampoline_kernelINS0_14default_configENS1_25transform_config_selectorIlLb0EEEZNS1_14transform_implILb0ES3_S5_NS0_18transform_iteratorINS0_17counting_iteratorImlEEZNS1_24adjacent_difference_implIS3_Lb1ELb0EPlSB_ZN2at6native12_GLOBAL__N_124unique_dim_cuda_templateIN3c108BFloat16EEESt5tupleIJNSC_6TensorESJ_SJ_EERKSJ_lbbbEUlllE1_EE10hipError_tPvRmT2_T3_mT4_P12ihipStream_tbEUlmE_lEESB_NS0_8identityIvEEEESO_SR_SS_mST_SV_bEUlT_E_NS1_11comp_targetILNS1_3genE8ELNS1_11target_archE1030ELNS1_3gpuE2ELNS1_3repE0EEENS1_30default_config_static_selectorELNS0_4arch9wavefront6targetE1EEEvT1_: ; @_ZN7rocprim17ROCPRIM_400000_NS6detail17trampoline_kernelINS0_14default_configENS1_25transform_config_selectorIlLb0EEEZNS1_14transform_implILb0ES3_S5_NS0_18transform_iteratorINS0_17counting_iteratorImlEEZNS1_24adjacent_difference_implIS3_Lb1ELb0EPlSB_ZN2at6native12_GLOBAL__N_124unique_dim_cuda_templateIN3c108BFloat16EEESt5tupleIJNSC_6TensorESJ_SJ_EERKSJ_lbbbEUlllE1_EE10hipError_tPvRmT2_T3_mT4_P12ihipStream_tbEUlmE_lEESB_NS0_8identityIvEEEESO_SR_SS_mST_SV_bEUlT_E_NS1_11comp_targetILNS1_3genE8ELNS1_11target_archE1030ELNS1_3gpuE2ELNS1_3repE0EEENS1_30default_config_static_selectorELNS0_4arch9wavefront6targetE1EEEvT1_
; %bb.0:
	.section	.rodata,"a",@progbits
	.p2align	6, 0x0
	.amdhsa_kernel _ZN7rocprim17ROCPRIM_400000_NS6detail17trampoline_kernelINS0_14default_configENS1_25transform_config_selectorIlLb0EEEZNS1_14transform_implILb0ES3_S5_NS0_18transform_iteratorINS0_17counting_iteratorImlEEZNS1_24adjacent_difference_implIS3_Lb1ELb0EPlSB_ZN2at6native12_GLOBAL__N_124unique_dim_cuda_templateIN3c108BFloat16EEESt5tupleIJNSC_6TensorESJ_SJ_EERKSJ_lbbbEUlllE1_EE10hipError_tPvRmT2_T3_mT4_P12ihipStream_tbEUlmE_lEESB_NS0_8identityIvEEEESO_SR_SS_mST_SV_bEUlT_E_NS1_11comp_targetILNS1_3genE8ELNS1_11target_archE1030ELNS1_3gpuE2ELNS1_3repE0EEENS1_30default_config_static_selectorELNS0_4arch9wavefront6targetE1EEEvT1_
		.amdhsa_group_segment_fixed_size 0
		.amdhsa_private_segment_fixed_size 0
		.amdhsa_kernarg_size 56
		.amdhsa_user_sgpr_count 2
		.amdhsa_user_sgpr_dispatch_ptr 0
		.amdhsa_user_sgpr_queue_ptr 0
		.amdhsa_user_sgpr_kernarg_segment_ptr 1
		.amdhsa_user_sgpr_dispatch_id 0
		.amdhsa_user_sgpr_kernarg_preload_length 0
		.amdhsa_user_sgpr_kernarg_preload_offset 0
		.amdhsa_user_sgpr_private_segment_size 0
		.amdhsa_uses_dynamic_stack 0
		.amdhsa_enable_private_segment 0
		.amdhsa_system_sgpr_workgroup_id_x 1
		.amdhsa_system_sgpr_workgroup_id_y 0
		.amdhsa_system_sgpr_workgroup_id_z 0
		.amdhsa_system_sgpr_workgroup_info 0
		.amdhsa_system_vgpr_workitem_id 0
		.amdhsa_next_free_vgpr 1
		.amdhsa_next_free_sgpr 0
		.amdhsa_accum_offset 4
		.amdhsa_reserve_vcc 0
		.amdhsa_float_round_mode_32 0
		.amdhsa_float_round_mode_16_64 0
		.amdhsa_float_denorm_mode_32 3
		.amdhsa_float_denorm_mode_16_64 3
		.amdhsa_dx10_clamp 1
		.amdhsa_ieee_mode 1
		.amdhsa_fp16_overflow 0
		.amdhsa_tg_split 0
		.amdhsa_exception_fp_ieee_invalid_op 0
		.amdhsa_exception_fp_denorm_src 0
		.amdhsa_exception_fp_ieee_div_zero 0
		.amdhsa_exception_fp_ieee_overflow 0
		.amdhsa_exception_fp_ieee_underflow 0
		.amdhsa_exception_fp_ieee_inexact 0
		.amdhsa_exception_int_div_zero 0
	.end_amdhsa_kernel
	.section	.text._ZN7rocprim17ROCPRIM_400000_NS6detail17trampoline_kernelINS0_14default_configENS1_25transform_config_selectorIlLb0EEEZNS1_14transform_implILb0ES3_S5_NS0_18transform_iteratorINS0_17counting_iteratorImlEEZNS1_24adjacent_difference_implIS3_Lb1ELb0EPlSB_ZN2at6native12_GLOBAL__N_124unique_dim_cuda_templateIN3c108BFloat16EEESt5tupleIJNSC_6TensorESJ_SJ_EERKSJ_lbbbEUlllE1_EE10hipError_tPvRmT2_T3_mT4_P12ihipStream_tbEUlmE_lEESB_NS0_8identityIvEEEESO_SR_SS_mST_SV_bEUlT_E_NS1_11comp_targetILNS1_3genE8ELNS1_11target_archE1030ELNS1_3gpuE2ELNS1_3repE0EEENS1_30default_config_static_selectorELNS0_4arch9wavefront6targetE1EEEvT1_,"axG",@progbits,_ZN7rocprim17ROCPRIM_400000_NS6detail17trampoline_kernelINS0_14default_configENS1_25transform_config_selectorIlLb0EEEZNS1_14transform_implILb0ES3_S5_NS0_18transform_iteratorINS0_17counting_iteratorImlEEZNS1_24adjacent_difference_implIS3_Lb1ELb0EPlSB_ZN2at6native12_GLOBAL__N_124unique_dim_cuda_templateIN3c108BFloat16EEESt5tupleIJNSC_6TensorESJ_SJ_EERKSJ_lbbbEUlllE1_EE10hipError_tPvRmT2_T3_mT4_P12ihipStream_tbEUlmE_lEESB_NS0_8identityIvEEEESO_SR_SS_mST_SV_bEUlT_E_NS1_11comp_targetILNS1_3genE8ELNS1_11target_archE1030ELNS1_3gpuE2ELNS1_3repE0EEENS1_30default_config_static_selectorELNS0_4arch9wavefront6targetE1EEEvT1_,comdat
.Lfunc_end1165:
	.size	_ZN7rocprim17ROCPRIM_400000_NS6detail17trampoline_kernelINS0_14default_configENS1_25transform_config_selectorIlLb0EEEZNS1_14transform_implILb0ES3_S5_NS0_18transform_iteratorINS0_17counting_iteratorImlEEZNS1_24adjacent_difference_implIS3_Lb1ELb0EPlSB_ZN2at6native12_GLOBAL__N_124unique_dim_cuda_templateIN3c108BFloat16EEESt5tupleIJNSC_6TensorESJ_SJ_EERKSJ_lbbbEUlllE1_EE10hipError_tPvRmT2_T3_mT4_P12ihipStream_tbEUlmE_lEESB_NS0_8identityIvEEEESO_SR_SS_mST_SV_bEUlT_E_NS1_11comp_targetILNS1_3genE8ELNS1_11target_archE1030ELNS1_3gpuE2ELNS1_3repE0EEENS1_30default_config_static_selectorELNS0_4arch9wavefront6targetE1EEEvT1_, .Lfunc_end1165-_ZN7rocprim17ROCPRIM_400000_NS6detail17trampoline_kernelINS0_14default_configENS1_25transform_config_selectorIlLb0EEEZNS1_14transform_implILb0ES3_S5_NS0_18transform_iteratorINS0_17counting_iteratorImlEEZNS1_24adjacent_difference_implIS3_Lb1ELb0EPlSB_ZN2at6native12_GLOBAL__N_124unique_dim_cuda_templateIN3c108BFloat16EEESt5tupleIJNSC_6TensorESJ_SJ_EERKSJ_lbbbEUlllE1_EE10hipError_tPvRmT2_T3_mT4_P12ihipStream_tbEUlmE_lEESB_NS0_8identityIvEEEESO_SR_SS_mST_SV_bEUlT_E_NS1_11comp_targetILNS1_3genE8ELNS1_11target_archE1030ELNS1_3gpuE2ELNS1_3repE0EEENS1_30default_config_static_selectorELNS0_4arch9wavefront6targetE1EEEvT1_
                                        ; -- End function
	.set _ZN7rocprim17ROCPRIM_400000_NS6detail17trampoline_kernelINS0_14default_configENS1_25transform_config_selectorIlLb0EEEZNS1_14transform_implILb0ES3_S5_NS0_18transform_iteratorINS0_17counting_iteratorImlEEZNS1_24adjacent_difference_implIS3_Lb1ELb0EPlSB_ZN2at6native12_GLOBAL__N_124unique_dim_cuda_templateIN3c108BFloat16EEESt5tupleIJNSC_6TensorESJ_SJ_EERKSJ_lbbbEUlllE1_EE10hipError_tPvRmT2_T3_mT4_P12ihipStream_tbEUlmE_lEESB_NS0_8identityIvEEEESO_SR_SS_mST_SV_bEUlT_E_NS1_11comp_targetILNS1_3genE8ELNS1_11target_archE1030ELNS1_3gpuE2ELNS1_3repE0EEENS1_30default_config_static_selectorELNS0_4arch9wavefront6targetE1EEEvT1_.num_vgpr, 0
	.set _ZN7rocprim17ROCPRIM_400000_NS6detail17trampoline_kernelINS0_14default_configENS1_25transform_config_selectorIlLb0EEEZNS1_14transform_implILb0ES3_S5_NS0_18transform_iteratorINS0_17counting_iteratorImlEEZNS1_24adjacent_difference_implIS3_Lb1ELb0EPlSB_ZN2at6native12_GLOBAL__N_124unique_dim_cuda_templateIN3c108BFloat16EEESt5tupleIJNSC_6TensorESJ_SJ_EERKSJ_lbbbEUlllE1_EE10hipError_tPvRmT2_T3_mT4_P12ihipStream_tbEUlmE_lEESB_NS0_8identityIvEEEESO_SR_SS_mST_SV_bEUlT_E_NS1_11comp_targetILNS1_3genE8ELNS1_11target_archE1030ELNS1_3gpuE2ELNS1_3repE0EEENS1_30default_config_static_selectorELNS0_4arch9wavefront6targetE1EEEvT1_.num_agpr, 0
	.set _ZN7rocprim17ROCPRIM_400000_NS6detail17trampoline_kernelINS0_14default_configENS1_25transform_config_selectorIlLb0EEEZNS1_14transform_implILb0ES3_S5_NS0_18transform_iteratorINS0_17counting_iteratorImlEEZNS1_24adjacent_difference_implIS3_Lb1ELb0EPlSB_ZN2at6native12_GLOBAL__N_124unique_dim_cuda_templateIN3c108BFloat16EEESt5tupleIJNSC_6TensorESJ_SJ_EERKSJ_lbbbEUlllE1_EE10hipError_tPvRmT2_T3_mT4_P12ihipStream_tbEUlmE_lEESB_NS0_8identityIvEEEESO_SR_SS_mST_SV_bEUlT_E_NS1_11comp_targetILNS1_3genE8ELNS1_11target_archE1030ELNS1_3gpuE2ELNS1_3repE0EEENS1_30default_config_static_selectorELNS0_4arch9wavefront6targetE1EEEvT1_.numbered_sgpr, 0
	.set _ZN7rocprim17ROCPRIM_400000_NS6detail17trampoline_kernelINS0_14default_configENS1_25transform_config_selectorIlLb0EEEZNS1_14transform_implILb0ES3_S5_NS0_18transform_iteratorINS0_17counting_iteratorImlEEZNS1_24adjacent_difference_implIS3_Lb1ELb0EPlSB_ZN2at6native12_GLOBAL__N_124unique_dim_cuda_templateIN3c108BFloat16EEESt5tupleIJNSC_6TensorESJ_SJ_EERKSJ_lbbbEUlllE1_EE10hipError_tPvRmT2_T3_mT4_P12ihipStream_tbEUlmE_lEESB_NS0_8identityIvEEEESO_SR_SS_mST_SV_bEUlT_E_NS1_11comp_targetILNS1_3genE8ELNS1_11target_archE1030ELNS1_3gpuE2ELNS1_3repE0EEENS1_30default_config_static_selectorELNS0_4arch9wavefront6targetE1EEEvT1_.num_named_barrier, 0
	.set _ZN7rocprim17ROCPRIM_400000_NS6detail17trampoline_kernelINS0_14default_configENS1_25transform_config_selectorIlLb0EEEZNS1_14transform_implILb0ES3_S5_NS0_18transform_iteratorINS0_17counting_iteratorImlEEZNS1_24adjacent_difference_implIS3_Lb1ELb0EPlSB_ZN2at6native12_GLOBAL__N_124unique_dim_cuda_templateIN3c108BFloat16EEESt5tupleIJNSC_6TensorESJ_SJ_EERKSJ_lbbbEUlllE1_EE10hipError_tPvRmT2_T3_mT4_P12ihipStream_tbEUlmE_lEESB_NS0_8identityIvEEEESO_SR_SS_mST_SV_bEUlT_E_NS1_11comp_targetILNS1_3genE8ELNS1_11target_archE1030ELNS1_3gpuE2ELNS1_3repE0EEENS1_30default_config_static_selectorELNS0_4arch9wavefront6targetE1EEEvT1_.private_seg_size, 0
	.set _ZN7rocprim17ROCPRIM_400000_NS6detail17trampoline_kernelINS0_14default_configENS1_25transform_config_selectorIlLb0EEEZNS1_14transform_implILb0ES3_S5_NS0_18transform_iteratorINS0_17counting_iteratorImlEEZNS1_24adjacent_difference_implIS3_Lb1ELb0EPlSB_ZN2at6native12_GLOBAL__N_124unique_dim_cuda_templateIN3c108BFloat16EEESt5tupleIJNSC_6TensorESJ_SJ_EERKSJ_lbbbEUlllE1_EE10hipError_tPvRmT2_T3_mT4_P12ihipStream_tbEUlmE_lEESB_NS0_8identityIvEEEESO_SR_SS_mST_SV_bEUlT_E_NS1_11comp_targetILNS1_3genE8ELNS1_11target_archE1030ELNS1_3gpuE2ELNS1_3repE0EEENS1_30default_config_static_selectorELNS0_4arch9wavefront6targetE1EEEvT1_.uses_vcc, 0
	.set _ZN7rocprim17ROCPRIM_400000_NS6detail17trampoline_kernelINS0_14default_configENS1_25transform_config_selectorIlLb0EEEZNS1_14transform_implILb0ES3_S5_NS0_18transform_iteratorINS0_17counting_iteratorImlEEZNS1_24adjacent_difference_implIS3_Lb1ELb0EPlSB_ZN2at6native12_GLOBAL__N_124unique_dim_cuda_templateIN3c108BFloat16EEESt5tupleIJNSC_6TensorESJ_SJ_EERKSJ_lbbbEUlllE1_EE10hipError_tPvRmT2_T3_mT4_P12ihipStream_tbEUlmE_lEESB_NS0_8identityIvEEEESO_SR_SS_mST_SV_bEUlT_E_NS1_11comp_targetILNS1_3genE8ELNS1_11target_archE1030ELNS1_3gpuE2ELNS1_3repE0EEENS1_30default_config_static_selectorELNS0_4arch9wavefront6targetE1EEEvT1_.uses_flat_scratch, 0
	.set _ZN7rocprim17ROCPRIM_400000_NS6detail17trampoline_kernelINS0_14default_configENS1_25transform_config_selectorIlLb0EEEZNS1_14transform_implILb0ES3_S5_NS0_18transform_iteratorINS0_17counting_iteratorImlEEZNS1_24adjacent_difference_implIS3_Lb1ELb0EPlSB_ZN2at6native12_GLOBAL__N_124unique_dim_cuda_templateIN3c108BFloat16EEESt5tupleIJNSC_6TensorESJ_SJ_EERKSJ_lbbbEUlllE1_EE10hipError_tPvRmT2_T3_mT4_P12ihipStream_tbEUlmE_lEESB_NS0_8identityIvEEEESO_SR_SS_mST_SV_bEUlT_E_NS1_11comp_targetILNS1_3genE8ELNS1_11target_archE1030ELNS1_3gpuE2ELNS1_3repE0EEENS1_30default_config_static_selectorELNS0_4arch9wavefront6targetE1EEEvT1_.has_dyn_sized_stack, 0
	.set _ZN7rocprim17ROCPRIM_400000_NS6detail17trampoline_kernelINS0_14default_configENS1_25transform_config_selectorIlLb0EEEZNS1_14transform_implILb0ES3_S5_NS0_18transform_iteratorINS0_17counting_iteratorImlEEZNS1_24adjacent_difference_implIS3_Lb1ELb0EPlSB_ZN2at6native12_GLOBAL__N_124unique_dim_cuda_templateIN3c108BFloat16EEESt5tupleIJNSC_6TensorESJ_SJ_EERKSJ_lbbbEUlllE1_EE10hipError_tPvRmT2_T3_mT4_P12ihipStream_tbEUlmE_lEESB_NS0_8identityIvEEEESO_SR_SS_mST_SV_bEUlT_E_NS1_11comp_targetILNS1_3genE8ELNS1_11target_archE1030ELNS1_3gpuE2ELNS1_3repE0EEENS1_30default_config_static_selectorELNS0_4arch9wavefront6targetE1EEEvT1_.has_recursion, 0
	.set _ZN7rocprim17ROCPRIM_400000_NS6detail17trampoline_kernelINS0_14default_configENS1_25transform_config_selectorIlLb0EEEZNS1_14transform_implILb0ES3_S5_NS0_18transform_iteratorINS0_17counting_iteratorImlEEZNS1_24adjacent_difference_implIS3_Lb1ELb0EPlSB_ZN2at6native12_GLOBAL__N_124unique_dim_cuda_templateIN3c108BFloat16EEESt5tupleIJNSC_6TensorESJ_SJ_EERKSJ_lbbbEUlllE1_EE10hipError_tPvRmT2_T3_mT4_P12ihipStream_tbEUlmE_lEESB_NS0_8identityIvEEEESO_SR_SS_mST_SV_bEUlT_E_NS1_11comp_targetILNS1_3genE8ELNS1_11target_archE1030ELNS1_3gpuE2ELNS1_3repE0EEENS1_30default_config_static_selectorELNS0_4arch9wavefront6targetE1EEEvT1_.has_indirect_call, 0
	.section	.AMDGPU.csdata,"",@progbits
; Kernel info:
; codeLenInByte = 0
; TotalNumSgprs: 6
; NumVgprs: 0
; NumAgprs: 0
; TotalNumVgprs: 0
; ScratchSize: 0
; MemoryBound: 0
; FloatMode: 240
; IeeeMode: 1
; LDSByteSize: 0 bytes/workgroup (compile time only)
; SGPRBlocks: 0
; VGPRBlocks: 0
; NumSGPRsForWavesPerEU: 6
; NumVGPRsForWavesPerEU: 1
; AccumOffset: 4
; Occupancy: 8
; WaveLimiterHint : 0
; COMPUTE_PGM_RSRC2:SCRATCH_EN: 0
; COMPUTE_PGM_RSRC2:USER_SGPR: 2
; COMPUTE_PGM_RSRC2:TRAP_HANDLER: 0
; COMPUTE_PGM_RSRC2:TGID_X_EN: 1
; COMPUTE_PGM_RSRC2:TGID_Y_EN: 0
; COMPUTE_PGM_RSRC2:TGID_Z_EN: 0
; COMPUTE_PGM_RSRC2:TIDIG_COMP_CNT: 0
; COMPUTE_PGM_RSRC3_GFX90A:ACCUM_OFFSET: 0
; COMPUTE_PGM_RSRC3_GFX90A:TG_SPLIT: 0
	.section	.text._ZN7rocprim17ROCPRIM_400000_NS6detail17trampoline_kernelINS0_14default_configENS1_35adjacent_difference_config_selectorILb1ElEEZNS1_24adjacent_difference_implIS3_Lb1ELb0EPlS7_ZN2at6native12_GLOBAL__N_124unique_dim_cuda_templateIN3c108BFloat16EEESt5tupleIJNS8_6TensorESF_SF_EERKSF_lbbbEUlllE1_EE10hipError_tPvRmT2_T3_mT4_P12ihipStream_tbEUlT_E_NS1_11comp_targetILNS1_3genE0ELNS1_11target_archE4294967295ELNS1_3gpuE0ELNS1_3repE0EEENS1_30default_config_static_selectorELNS0_4arch9wavefront6targetE1EEEvT1_,"axG",@progbits,_ZN7rocprim17ROCPRIM_400000_NS6detail17trampoline_kernelINS0_14default_configENS1_35adjacent_difference_config_selectorILb1ElEEZNS1_24adjacent_difference_implIS3_Lb1ELb0EPlS7_ZN2at6native12_GLOBAL__N_124unique_dim_cuda_templateIN3c108BFloat16EEESt5tupleIJNS8_6TensorESF_SF_EERKSF_lbbbEUlllE1_EE10hipError_tPvRmT2_T3_mT4_P12ihipStream_tbEUlT_E_NS1_11comp_targetILNS1_3genE0ELNS1_11target_archE4294967295ELNS1_3gpuE0ELNS1_3repE0EEENS1_30default_config_static_selectorELNS0_4arch9wavefront6targetE1EEEvT1_,comdat
	.globl	_ZN7rocprim17ROCPRIM_400000_NS6detail17trampoline_kernelINS0_14default_configENS1_35adjacent_difference_config_selectorILb1ElEEZNS1_24adjacent_difference_implIS3_Lb1ELb0EPlS7_ZN2at6native12_GLOBAL__N_124unique_dim_cuda_templateIN3c108BFloat16EEESt5tupleIJNS8_6TensorESF_SF_EERKSF_lbbbEUlllE1_EE10hipError_tPvRmT2_T3_mT4_P12ihipStream_tbEUlT_E_NS1_11comp_targetILNS1_3genE0ELNS1_11target_archE4294967295ELNS1_3gpuE0ELNS1_3repE0EEENS1_30default_config_static_selectorELNS0_4arch9wavefront6targetE1EEEvT1_ ; -- Begin function _ZN7rocprim17ROCPRIM_400000_NS6detail17trampoline_kernelINS0_14default_configENS1_35adjacent_difference_config_selectorILb1ElEEZNS1_24adjacent_difference_implIS3_Lb1ELb0EPlS7_ZN2at6native12_GLOBAL__N_124unique_dim_cuda_templateIN3c108BFloat16EEESt5tupleIJNS8_6TensorESF_SF_EERKSF_lbbbEUlllE1_EE10hipError_tPvRmT2_T3_mT4_P12ihipStream_tbEUlT_E_NS1_11comp_targetILNS1_3genE0ELNS1_11target_archE4294967295ELNS1_3gpuE0ELNS1_3repE0EEENS1_30default_config_static_selectorELNS0_4arch9wavefront6targetE1EEEvT1_
	.p2align	8
	.type	_ZN7rocprim17ROCPRIM_400000_NS6detail17trampoline_kernelINS0_14default_configENS1_35adjacent_difference_config_selectorILb1ElEEZNS1_24adjacent_difference_implIS3_Lb1ELb0EPlS7_ZN2at6native12_GLOBAL__N_124unique_dim_cuda_templateIN3c108BFloat16EEESt5tupleIJNS8_6TensorESF_SF_EERKSF_lbbbEUlllE1_EE10hipError_tPvRmT2_T3_mT4_P12ihipStream_tbEUlT_E_NS1_11comp_targetILNS1_3genE0ELNS1_11target_archE4294967295ELNS1_3gpuE0ELNS1_3repE0EEENS1_30default_config_static_selectorELNS0_4arch9wavefront6targetE1EEEvT1_,@function
_ZN7rocprim17ROCPRIM_400000_NS6detail17trampoline_kernelINS0_14default_configENS1_35adjacent_difference_config_selectorILb1ElEEZNS1_24adjacent_difference_implIS3_Lb1ELb0EPlS7_ZN2at6native12_GLOBAL__N_124unique_dim_cuda_templateIN3c108BFloat16EEESt5tupleIJNS8_6TensorESF_SF_EERKSF_lbbbEUlllE1_EE10hipError_tPvRmT2_T3_mT4_P12ihipStream_tbEUlT_E_NS1_11comp_targetILNS1_3genE0ELNS1_11target_archE4294967295ELNS1_3gpuE0ELNS1_3repE0EEENS1_30default_config_static_selectorELNS0_4arch9wavefront6targetE1EEEvT1_: ; @_ZN7rocprim17ROCPRIM_400000_NS6detail17trampoline_kernelINS0_14default_configENS1_35adjacent_difference_config_selectorILb1ElEEZNS1_24adjacent_difference_implIS3_Lb1ELb0EPlS7_ZN2at6native12_GLOBAL__N_124unique_dim_cuda_templateIN3c108BFloat16EEESt5tupleIJNS8_6TensorESF_SF_EERKSF_lbbbEUlllE1_EE10hipError_tPvRmT2_T3_mT4_P12ihipStream_tbEUlT_E_NS1_11comp_targetILNS1_3genE0ELNS1_11target_archE4294967295ELNS1_3gpuE0ELNS1_3repE0EEENS1_30default_config_static_selectorELNS0_4arch9wavefront6targetE1EEEvT1_
; %bb.0:
	s_load_dwordx16 s[4:19], s[0:1], 0x0
	s_mov_b32 s25, 0
	s_mov_b64 s[26:27], -1
	s_waitcnt lgkmcnt(0)
	s_lshl_b64 s[6:7], s[6:7], 3
	s_add_u32 s30, s4, s6
	s_addc_u32 s31, s5, s7
	s_lshl_b32 s4, s2, 10
	s_lshr_b64 s[0:1], s[10:11], 10
	s_and_b32 s24, s10, 0x3ff
	s_cmp_lg_u64 s[24:25], 0
	s_cselect_b64 s[20:21], -1, 0
	v_cndmask_b32_e64 v1, 0, 1, s[20:21]
	s_mov_b32 s24, s2
	v_readfirstlane_b32 s3, v1
	s_add_u32 s22, s0, s3
	s_addc_u32 s23, s1, 0
	s_add_u32 s2, s18, s2
	s_addc_u32 s3, s19, 0
	s_add_u32 s20, s22, -1
	s_addc_u32 s21, s23, -1
	v_mov_b64_e32 v[2:3], s[20:21]
	v_cmp_ge_u64_e64 s[0:1], s[2:3], v[2:3]
	s_and_b64 vcc, exec, s[0:1]
	s_cbranch_vccz .LBB1166_6
; %bb.1:
	s_lshl_b32 s5, s20, 10
	s_sub_i32 s11, s10, s5
	s_mov_b32 s5, s25
	s_lshl_b64 s[26:27], s[4:5], 3
	s_add_u32 s26, s30, s26
	v_mov_b32_e32 v2, 0
	s_addc_u32 s27, s31, s27
	v_cmp_gt_u32_e32 vcc, s11, v0
	v_mov_b32_e32 v3, v2
	v_mov_b32_e32 v4, v2
	v_mov_b32_e32 v5, v2
	s_and_saveexec_b64 s[28:29], vcc
	s_cbranch_execz .LBB1166_3
; %bb.2:
	v_lshlrev_b32_e32 v1, 3, v0
	global_load_dwordx2 v[4:5], v1, s[26:27]
	v_mov_b32_e32 v6, v2
	v_mov_b32_e32 v7, v2
	s_waitcnt vmcnt(0)
	v_mov_b64_e32 v[2:3], v[4:5]
	v_mov_b64_e32 v[4:5], v[6:7]
.LBB1166_3:
	s_or_b64 exec, exec, s[28:29]
	v_or_b32_e32 v1, 0x200, v0
	v_cmp_gt_u32_e32 vcc, s11, v1
	s_and_saveexec_b64 s[28:29], vcc
	s_cbranch_execz .LBB1166_5
; %bb.4:
	v_lshlrev_b32_e32 v4, 3, v1
	global_load_dwordx2 v[4:5], v4, s[26:27]
.LBB1166_5:
	s_or_b64 exec, exec, s[28:29]
	v_lshrrev_b32_e32 v6, 2, v0
	v_lshrrev_b32_e32 v1, 2, v1
	v_and_b32_e32 v6, 0x78, v6
	v_lshlrev_b32_e32 v7, 3, v0
	v_and_b32_e32 v1, 0xf8, v1
	v_add_u32_e32 v6, v6, v7
	v_add_u32_e32 v1, v1, v7
	s_mov_b64 s[26:27], 0
	ds_write_b64 v6, v[2:3]
	s_waitcnt vmcnt(0)
	ds_write_b64 v1, v[4:5] offset:4096
	s_waitcnt lgkmcnt(0)
	s_barrier
.LBB1166_6:
	s_and_b64 vcc, exec, s[26:27]
	s_cbranch_vccz .LBB1166_8
; %bb.7:
	s_mov_b32 s5, 0
	s_lshl_b64 s[26:27], s[4:5], 3
	s_add_u32 s26, s30, s26
	s_addc_u32 s27, s31, s27
	v_lshlrev_b32_e32 v2, 3, v0
	v_mov_b32_e32 v3, 0
	v_lshl_add_u64 v[4:5], s[26:27], 0, v[2:3]
	v_add_co_u32_e32 v4, vcc, 0x1000, v4
	v_lshrrev_b32_e32 v1, 2, v0
	s_nop 0
	v_addc_co_u32_e32 v5, vcc, 0, v5, vcc
	global_load_dwordx2 v[6:7], v2, s[26:27]
	global_load_dwordx2 v[8:9], v[4:5], off
	v_or_b32_e32 v3, 0x200, v0
	v_and_b32_e32 v1, 0x78, v1
	v_lshrrev_b32_e32 v3, 2, v3
	v_add_u32_e32 v1, v1, v2
	v_and_b32_e32 v3, 0xf8, v3
	v_add_u32_e32 v2, v3, v2
	s_waitcnt vmcnt(1)
	ds_write_b64 v1, v[6:7]
	s_waitcnt vmcnt(0)
	ds_write_b64 v2, v[8:9] offset:4096
	s_waitcnt lgkmcnt(0)
	s_barrier
.LBB1166_8:
	v_lshrrev_b32_e32 v1, 1, v0
	v_and_b32_e32 v2, 0xf8, v1
	v_lshl_add_u32 v2, v0, 4, v2
	ds_read2_b64 v[2:5], v2 offset1:1
	s_cmp_eq_u64 s[2:3], 0
	s_waitcnt lgkmcnt(0)
	s_barrier
	s_cbranch_scc1 .LBB1166_15
; %bb.9:
	s_lshl_b64 s[18:19], s[18:19], 3
	s_add_u32 s5, s16, s18
	s_addc_u32 s11, s17, s19
	s_lshl_b64 s[16:17], s[24:25], 3
	s_add_u32 s5, s5, s16
	s_addc_u32 s11, s11, s17
	s_add_u32 s16, s5, -8
	s_addc_u32 s17, s11, -1
	s_load_dwordx2 s[16:17], s[16:17], 0x0
	s_cmp_eq_u64 s[2:3], s[20:21]
	s_cbranch_scc1 .LBB1166_16
; %bb.10:
	v_cmp_lt_i64_e64 s[24:25], s[12:13], 1
	v_lshlrev_b32_e32 v12, 3, v0
	v_mov_b64_e32 v[8:9], 0
	v_cmp_gt_i64_e64 s[18:19], s[12:13], 0
	s_and_b64 vcc, exec, s[24:25]
	ds_write_b64 v12, v[4:5]
	s_cbranch_vccnz .LBB1166_18
; %bb.11:
	v_mul_lo_u32 v8, v5, s12
	v_mul_lo_u32 v9, v4, s13
	v_mad_u64_u32 v[6:7], s[24:25], v4, s12, 0
	v_add3_u32 v7, v7, v9, v8
	v_mul_lo_u32 v10, v3, s12
	v_mul_lo_u32 v11, v2, s13
	v_mad_u64_u32 v[8:9], s[24:25], v2, s12, 0
	v_add3_u32 v9, v9, v11, v10
	v_lshl_add_u64 v[6:7], v[6:7], 1, s[14:15]
	v_lshl_add_u64 v[10:11], v[8:9], 1, s[14:15]
	s_mov_b64 s[24:25], 0
	s_mov_b64 s[26:27], s[12:13]
                                        ; implicit-def: $sgpr28_sgpr29
	s_branch .LBB1166_13
.LBB1166_12:                            ;   in Loop: Header=BB1166_13 Depth=1
	s_or_b64 exec, exec, s[30:31]
	s_and_b64 s[30:31], exec, s[28:29]
	s_or_b64 s[24:25], s[30:31], s[24:25]
	s_andn2_b64 exec, exec, s[24:25]
	s_cbranch_execz .LBB1166_17
.LBB1166_13:                            ; =>This Inner Loop Header: Depth=1
	global_load_ushort v13, v[10:11], off
	global_load_ushort v14, v[6:7], off
	v_mov_b64_e32 v[8:9], 1
	s_or_b64 s[28:29], s[28:29], exec
	s_waitcnt vmcnt(1)
	v_lshlrev_b32_e32 v13, 16, v13
	s_waitcnt vmcnt(0)
	v_lshlrev_b32_e32 v14, 16, v14
	v_cmp_eq_f32_e32 vcc, v14, v13
	s_and_saveexec_b64 s[30:31], vcc
	s_cbranch_execz .LBB1166_12
; %bb.14:                               ;   in Loop: Header=BB1166_13 Depth=1
	s_add_u32 s26, s26, -1
	s_addc_u32 s27, s27, -1
	s_cmp_eq_u64 s[26:27], 0
	s_cselect_b64 s[34:35], -1, 0
	s_andn2_b64 s[28:29], s[28:29], exec
	s_and_b64 s[34:35], s[34:35], exec
	v_lshl_add_u64 v[6:7], v[6:7], 0, 2
	v_lshl_add_u64 v[10:11], v[10:11], 0, 2
	v_mov_b64_e32 v[8:9], 0
	s_or_b64 s[28:29], s[28:29], s[34:35]
	s_branch .LBB1166_12
.LBB1166_15:
                                        ; implicit-def: $vgpr8_vgpr9
                                        ; implicit-def: $vgpr6_vgpr7
	s_branch .LBB1166_47
.LBB1166_16:
                                        ; implicit-def: $vgpr8_vgpr9
                                        ; implicit-def: $vgpr6_vgpr7
	s_cbranch_execnz .LBB1166_27
	s_branch .LBB1166_46
.LBB1166_17:
	s_or_b64 exec, exec, s[24:25]
.LBB1166_18:
	v_cmp_ne_u32_e32 vcc, 0, v0
	s_waitcnt lgkmcnt(0)
	v_mov_b64_e32 v[6:7], s[16:17]
	s_barrier
	s_and_saveexec_b64 s[24:25], vcc
; %bb.19:
	v_add_u32_e32 v6, -8, v12
	ds_read_b64 v[6:7], v6
; %bb.20:
	s_or_b64 exec, exec, s[24:25]
	s_andn2_b64 vcc, exec, s[18:19]
	s_cbranch_vccnz .LBB1166_26
; %bb.21:
	v_mul_lo_u32 v12, v3, s12
	v_mul_lo_u32 v13, v2, s13
	v_mad_u64_u32 v[10:11], s[18:19], v2, s12, 0
	v_add3_u32 v11, v11, v13, v12
	s_waitcnt lgkmcnt(0)
	v_mul_lo_u32 v12, v7, s12
	v_mul_lo_u32 v13, v6, s13
	v_mad_u64_u32 v[6:7], s[18:19], v6, s12, 0
	v_add3_u32 v7, v7, v13, v12
	v_lshl_add_u64 v[10:11], v[10:11], 1, s[14:15]
	v_lshl_add_u64 v[12:13], v[6:7], 1, s[14:15]
	s_mov_b64 s[18:19], 0
	s_mov_b64 s[24:25], s[12:13]
                                        ; implicit-def: $sgpr26_sgpr27
	s_branch .LBB1166_23
.LBB1166_22:                            ;   in Loop: Header=BB1166_23 Depth=1
	s_or_b64 exec, exec, s[28:29]
	s_and_b64 s[28:29], exec, s[26:27]
	s_or_b64 s[18:19], s[28:29], s[18:19]
	s_andn2_b64 exec, exec, s[18:19]
	s_cbranch_execz .LBB1166_25
.LBB1166_23:                            ; =>This Inner Loop Header: Depth=1
	global_load_ushort v14, v[12:13], off
	global_load_ushort v15, v[10:11], off
	v_mov_b64_e32 v[6:7], 1
	s_or_b64 s[26:27], s[26:27], exec
	s_waitcnt vmcnt(1)
	v_lshlrev_b32_e32 v14, 16, v14
	s_waitcnt vmcnt(0)
	v_lshlrev_b32_e32 v15, 16, v15
	v_cmp_eq_f32_e32 vcc, v15, v14
	s_and_saveexec_b64 s[28:29], vcc
	s_cbranch_execz .LBB1166_22
; %bb.24:                               ;   in Loop: Header=BB1166_23 Depth=1
	s_add_u32 s24, s24, -1
	s_addc_u32 s25, s25, -1
	s_cmp_eq_u64 s[24:25], 0
	s_cselect_b64 s[30:31], -1, 0
	s_andn2_b64 s[26:27], s[26:27], exec
	s_and_b64 s[30:31], s[30:31], exec
	v_lshl_add_u64 v[10:11], v[10:11], 0, 2
	v_lshl_add_u64 v[12:13], v[12:13], 0, 2
	v_mov_b64_e32 v[6:7], 0
	s_or_b64 s[26:27], s[26:27], s[30:31]
	s_branch .LBB1166_22
.LBB1166_25:
	s_or_b64 exec, exec, s[18:19]
	s_branch .LBB1166_46
.LBB1166_26:
	s_waitcnt lgkmcnt(0)
	v_mov_b64_e32 v[6:7], 0
	s_branch .LBB1166_46
.LBB1166_27:
	s_lshl_b32 s2, s2, 10
	v_lshlrev_b32_e32 v14, 1, v0
	s_sub_i32 s5, s10, s2
	v_or_b32_e32 v6, 1, v14
	v_lshlrev_b32_e32 v15, 3, v0
	v_cmp_gt_u32_e32 vcc, s5, v6
	v_mov_b64_e32 v[8:9], v[4:5]
	ds_write_b64 v15, v[4:5]
	v_mov_b64_e32 v[6:7], v[2:3]
	s_and_saveexec_b64 s[2:3], vcc
	s_cbranch_execz .LBB1166_35
; %bb.28:
	v_cmp_lt_i64_e64 s[18:19], s[12:13], 1
	s_and_b64 vcc, exec, s[18:19]
	s_cbranch_vccnz .LBB1166_34
; %bb.29:
	v_mul_lo_u32 v8, v5, s12
	v_mul_lo_u32 v9, v4, s13
	v_mad_u64_u32 v[6:7], s[18:19], v4, s12, 0
	v_add3_u32 v7, v7, v9, v8
	v_mul_lo_u32 v10, v3, s12
	v_mul_lo_u32 v11, v2, s13
	v_mad_u64_u32 v[8:9], s[18:19], v2, s12, 0
	v_add3_u32 v9, v9, v11, v10
	v_lshl_add_u64 v[6:7], v[6:7], 1, s[14:15]
	v_lshl_add_u64 v[10:11], v[8:9], 1, s[14:15]
	s_mov_b64 s[18:19], 0
	s_mov_b64 s[24:25], s[12:13]
                                        ; implicit-def: $sgpr26_sgpr27
	s_branch .LBB1166_31
.LBB1166_30:                            ;   in Loop: Header=BB1166_31 Depth=1
	s_or_b64 exec, exec, s[28:29]
	s_and_b64 s[28:29], exec, s[26:27]
	s_or_b64 s[18:19], s[28:29], s[18:19]
	s_andn2_b64 exec, exec, s[18:19]
	s_cbranch_execz .LBB1166_33
.LBB1166_31:                            ; =>This Inner Loop Header: Depth=1
	global_load_ushort v12, v[10:11], off
	global_load_ushort v13, v[6:7], off
	v_mov_b64_e32 v[8:9], 1
	s_or_b64 s[26:27], s[26:27], exec
	s_waitcnt vmcnt(1)
	v_lshlrev_b32_e32 v12, 16, v12
	s_waitcnt vmcnt(0)
	v_lshlrev_b32_e32 v13, 16, v13
	v_cmp_eq_f32_e32 vcc, v13, v12
	s_and_saveexec_b64 s[28:29], vcc
	s_cbranch_execz .LBB1166_30
; %bb.32:                               ;   in Loop: Header=BB1166_31 Depth=1
	s_add_u32 s24, s24, -1
	s_addc_u32 s25, s25, -1
	s_cmp_eq_u64 s[24:25], 0
	s_cselect_b64 s[30:31], -1, 0
	s_andn2_b64 s[26:27], s[26:27], exec
	s_and_b64 s[30:31], s[30:31], exec
	v_lshl_add_u64 v[6:7], v[6:7], 0, 2
	v_lshl_add_u64 v[10:11], v[10:11], 0, 2
	v_mov_b64_e32 v[8:9], 0
	s_or_b64 s[26:27], s[26:27], s[30:31]
	s_branch .LBB1166_30
.LBB1166_33:
	s_or_b64 exec, exec, s[18:19]
	s_branch .LBB1166_35
.LBB1166_34:
	v_mov_b64_e32 v[8:9], 0
.LBB1166_35:
	s_or_b64 exec, exec, s[2:3]
	v_cmp_ne_u32_e32 vcc, 0, v0
	s_waitcnt lgkmcnt(0)
	v_mov_b64_e32 v[12:13], s[16:17]
	s_barrier
	s_and_saveexec_b64 s[2:3], vcc
; %bb.36:
	v_add_u32_e32 v6, -8, v15
	ds_read_b64 v[12:13], v6
; %bb.37:
	s_or_b64 exec, exec, s[2:3]
	v_cmp_gt_u32_e32 vcc, s5, v14
	v_mov_b64_e32 v[6:7], v[2:3]
	s_and_saveexec_b64 s[2:3], vcc
	s_cbranch_execz .LBB1166_45
; %bb.38:
	v_cmp_lt_i64_e64 s[16:17], s[12:13], 1
	s_and_b64 vcc, exec, s[16:17]
	s_cbranch_vccnz .LBB1166_44
; %bb.39:
	v_mul_lo_u32 v10, v3, s12
	v_mul_lo_u32 v11, v2, s13
	v_mad_u64_u32 v[6:7], s[16:17], v2, s12, 0
	v_add3_u32 v7, v7, v11, v10
	v_lshl_add_u64 v[10:11], v[6:7], 1, s[14:15]
	s_waitcnt lgkmcnt(0)
	v_mul_lo_u32 v13, v13, s12
	v_mul_lo_u32 v14, v12, s13
	v_mad_u64_u32 v[6:7], s[16:17], v12, s12, 0
	v_add3_u32 v7, v7, v14, v13
	v_lshl_add_u64 v[12:13], v[6:7], 1, s[14:15]
	s_mov_b64 s[16:17], 0
	s_mov_b64 s[18:19], s[12:13]
                                        ; implicit-def: $sgpr24_sgpr25
	s_branch .LBB1166_41
.LBB1166_40:                            ;   in Loop: Header=BB1166_41 Depth=1
	s_or_b64 exec, exec, s[26:27]
	s_and_b64 s[26:27], exec, s[24:25]
	s_or_b64 s[16:17], s[26:27], s[16:17]
	s_andn2_b64 exec, exec, s[16:17]
	s_cbranch_execz .LBB1166_43
.LBB1166_41:                            ; =>This Inner Loop Header: Depth=1
	global_load_ushort v14, v[12:13], off
	global_load_ushort v15, v[10:11], off
	v_mov_b64_e32 v[6:7], 1
	s_or_b64 s[24:25], s[24:25], exec
	s_waitcnt vmcnt(1)
	v_lshlrev_b32_e32 v14, 16, v14
	s_waitcnt vmcnt(0)
	v_lshlrev_b32_e32 v15, 16, v15
	v_cmp_eq_f32_e32 vcc, v15, v14
	s_and_saveexec_b64 s[26:27], vcc
	s_cbranch_execz .LBB1166_40
; %bb.42:                               ;   in Loop: Header=BB1166_41 Depth=1
	s_add_u32 s18, s18, -1
	s_addc_u32 s19, s19, -1
	s_cmp_eq_u64 s[18:19], 0
	s_cselect_b64 s[28:29], -1, 0
	s_andn2_b64 s[24:25], s[24:25], exec
	s_and_b64 s[28:29], s[28:29], exec
	v_lshl_add_u64 v[10:11], v[10:11], 0, 2
	v_lshl_add_u64 v[12:13], v[12:13], 0, 2
	v_mov_b64_e32 v[6:7], 0
	s_or_b64 s[24:25], s[24:25], s[28:29]
	s_branch .LBB1166_40
.LBB1166_43:
	s_or_b64 exec, exec, s[16:17]
	s_branch .LBB1166_45
.LBB1166_44:
	v_mov_b64_e32 v[6:7], 0
.LBB1166_45:
	s_or_b64 exec, exec, s[2:3]
.LBB1166_46:
	s_cbranch_execnz .LBB1166_81
.LBB1166_47:
	s_cmp_eq_u64 s[22:23], 1
	s_cbranch_scc1 .LBB1166_53
; %bb.48:
	s_waitcnt lgkmcnt(0)
	v_cmp_lt_i64_e64 s[16:17], s[12:13], 1
	v_lshlrev_b32_e32 v12, 3, v0
	v_mov_b64_e32 v[8:9], 0
	v_cmp_gt_i64_e64 s[2:3], s[12:13], 0
	s_and_b64 vcc, exec, s[16:17]
	ds_write_b64 v12, v[4:5]
	s_cbranch_vccnz .LBB1166_55
; %bb.49:
	v_mul_lo_u32 v8, v5, s12
	v_mul_lo_u32 v9, v4, s13
	v_mad_u64_u32 v[6:7], s[16:17], v4, s12, 0
	v_add3_u32 v7, v7, v9, v8
	v_mul_lo_u32 v10, v3, s12
	v_mul_lo_u32 v11, v2, s13
	v_mad_u64_u32 v[8:9], s[16:17], v2, s12, 0
	v_add3_u32 v9, v9, v11, v10
	v_lshl_add_u64 v[6:7], v[6:7], 1, s[14:15]
	v_lshl_add_u64 v[10:11], v[8:9], 1, s[14:15]
	s_mov_b64 s[16:17], 0
	s_mov_b64 s[18:19], s[12:13]
                                        ; implicit-def: $sgpr22_sgpr23
	s_branch .LBB1166_51
.LBB1166_50:                            ;   in Loop: Header=BB1166_51 Depth=1
	s_or_b64 exec, exec, s[24:25]
	s_and_b64 s[24:25], exec, s[22:23]
	s_or_b64 s[16:17], s[24:25], s[16:17]
	s_andn2_b64 exec, exec, s[16:17]
	s_cbranch_execz .LBB1166_54
.LBB1166_51:                            ; =>This Inner Loop Header: Depth=1
	global_load_ushort v13, v[10:11], off
	global_load_ushort v14, v[6:7], off
	v_mov_b64_e32 v[8:9], 1
	s_or_b64 s[22:23], s[22:23], exec
	s_waitcnt vmcnt(1)
	v_lshlrev_b32_e32 v13, 16, v13
	s_waitcnt vmcnt(0)
	v_lshlrev_b32_e32 v14, 16, v14
	v_cmp_eq_f32_e32 vcc, v14, v13
	s_and_saveexec_b64 s[24:25], vcc
	s_cbranch_execz .LBB1166_50
; %bb.52:                               ;   in Loop: Header=BB1166_51 Depth=1
	s_add_u32 s18, s18, -1
	s_addc_u32 s19, s19, -1
	s_cmp_eq_u64 s[18:19], 0
	s_cselect_b64 s[26:27], -1, 0
	s_andn2_b64 s[22:23], s[22:23], exec
	s_and_b64 s[26:27], s[26:27], exec
	v_lshl_add_u64 v[6:7], v[6:7], 0, 2
	v_lshl_add_u64 v[10:11], v[10:11], 0, 2
	v_mov_b64_e32 v[8:9], 0
	s_or_b64 s[22:23], s[22:23], s[26:27]
	s_branch .LBB1166_50
.LBB1166_53:
                                        ; implicit-def: $vgpr8_vgpr9
                                        ; implicit-def: $vgpr6_vgpr7
	s_cbranch_execnz .LBB1166_64
	s_branch .LBB1166_81
.LBB1166_54:
	s_or_b64 exec, exec, s[16:17]
.LBB1166_55:
	v_cmp_ne_u32_e32 vcc, 0, v0
	v_mov_b64_e32 v[6:7], v[2:3]
	s_waitcnt lgkmcnt(0)
	s_barrier
	s_and_saveexec_b64 s[16:17], vcc
	s_cbranch_execz .LBB1166_63
; %bb.56:
	s_andn2_b64 vcc, exec, s[2:3]
	s_cbranch_vccnz .LBB1166_62
; %bb.57:
	v_add_u32_e32 v6, -8, v12
	ds_read_b64 v[6:7], v6
	v_mul_lo_u32 v12, v3, s12
	v_mul_lo_u32 v13, v2, s13
	v_mad_u64_u32 v[10:11], s[2:3], v2, s12, 0
	v_add3_u32 v11, v11, v13, v12
	s_waitcnt lgkmcnt(0)
	v_mul_lo_u32 v12, s13, v6
	v_mul_lo_u32 v13, s12, v7
	v_mad_u64_u32 v[6:7], s[2:3], s12, v6, 0
	v_add3_u32 v7, v7, v13, v12
	v_lshl_add_u64 v[10:11], v[10:11], 1, s[14:15]
	v_lshl_add_u64 v[12:13], v[6:7], 1, s[14:15]
	s_mov_b64 s[2:3], 0
	s_mov_b64 s[18:19], s[12:13]
                                        ; implicit-def: $sgpr22_sgpr23
	s_branch .LBB1166_59
.LBB1166_58:                            ;   in Loop: Header=BB1166_59 Depth=1
	s_or_b64 exec, exec, s[24:25]
	s_and_b64 s[24:25], exec, s[22:23]
	s_or_b64 s[2:3], s[24:25], s[2:3]
	s_andn2_b64 exec, exec, s[2:3]
	s_cbranch_execz .LBB1166_61
.LBB1166_59:                            ; =>This Inner Loop Header: Depth=1
	global_load_ushort v14, v[12:13], off
	global_load_ushort v15, v[10:11], off
	v_mov_b64_e32 v[6:7], 1
	s_or_b64 s[22:23], s[22:23], exec
	s_waitcnt vmcnt(1)
	v_lshlrev_b32_e32 v14, 16, v14
	s_waitcnt vmcnt(0)
	v_lshlrev_b32_e32 v15, 16, v15
	v_cmp_eq_f32_e32 vcc, v15, v14
	s_and_saveexec_b64 s[24:25], vcc
	s_cbranch_execz .LBB1166_58
; %bb.60:                               ;   in Loop: Header=BB1166_59 Depth=1
	s_add_u32 s18, s18, -1
	s_addc_u32 s19, s19, -1
	s_cmp_eq_u64 s[18:19], 0
	s_cselect_b64 s[26:27], -1, 0
	s_andn2_b64 s[22:23], s[22:23], exec
	s_and_b64 s[26:27], s[26:27], exec
	v_lshl_add_u64 v[10:11], v[10:11], 0, 2
	v_lshl_add_u64 v[12:13], v[12:13], 0, 2
	v_mov_b64_e32 v[6:7], 0
	s_or_b64 s[22:23], s[22:23], s[26:27]
	s_branch .LBB1166_58
.LBB1166_61:
	s_or_b64 exec, exec, s[2:3]
	s_branch .LBB1166_63
.LBB1166_62:
	v_mov_b64_e32 v[6:7], 0
.LBB1166_63:
	s_or_b64 exec, exec, s[16:17]
	s_branch .LBB1166_81
.LBB1166_64:
	v_lshlrev_b32_e32 v11, 1, v0
	v_or_b32_e32 v6, 1, v11
	v_lshlrev_b32_e32 v10, 3, v0
	v_cmp_gt_u32_e32 vcc, s10, v6
	v_mov_b64_e32 v[8:9], v[4:5]
	ds_write_b64 v10, v[4:5]
	v_mov_b64_e32 v[6:7], v[2:3]
	s_and_saveexec_b64 s[2:3], vcc
	s_cbranch_execz .LBB1166_72
; %bb.65:
	s_waitcnt lgkmcnt(0)
	v_cmp_lt_i64_e64 s[16:17], s[12:13], 1
	s_and_b64 vcc, exec, s[16:17]
	s_cbranch_vccnz .LBB1166_71
; %bb.66:
	v_mul_lo_u32 v6, v5, s12
	v_mul_lo_u32 v7, v4, s13
	v_mad_u64_u32 v[4:5], s[16:17], v4, s12, 0
	v_add3_u32 v5, v5, v7, v6
	v_mul_lo_u32 v8, v3, s12
	v_mul_lo_u32 v9, v2, s13
	v_mad_u64_u32 v[6:7], s[16:17], v2, s12, 0
	v_add3_u32 v7, v7, v9, v8
	v_lshl_add_u64 v[4:5], v[4:5], 1, s[14:15]
	v_lshl_add_u64 v[6:7], v[6:7], 1, s[14:15]
	s_mov_b64 s[16:17], 0
	s_mov_b64 s[18:19], s[12:13]
                                        ; implicit-def: $sgpr22_sgpr23
	s_branch .LBB1166_68
.LBB1166_67:                            ;   in Loop: Header=BB1166_68 Depth=1
	s_or_b64 exec, exec, s[24:25]
	s_and_b64 s[24:25], exec, s[22:23]
	s_or_b64 s[16:17], s[24:25], s[16:17]
	s_andn2_b64 exec, exec, s[16:17]
	s_cbranch_execz .LBB1166_70
.LBB1166_68:                            ; =>This Inner Loop Header: Depth=1
	global_load_ushort v12, v[6:7], off
	global_load_ushort v13, v[4:5], off
	v_mov_b64_e32 v[8:9], 1
	s_or_b64 s[22:23], s[22:23], exec
	s_waitcnt vmcnt(1)
	v_lshlrev_b32_e32 v12, 16, v12
	s_waitcnt vmcnt(0)
	v_lshlrev_b32_e32 v13, 16, v13
	v_cmp_eq_f32_e32 vcc, v13, v12
	s_and_saveexec_b64 s[24:25], vcc
	s_cbranch_execz .LBB1166_67
; %bb.69:                               ;   in Loop: Header=BB1166_68 Depth=1
	s_add_u32 s18, s18, -1
	s_addc_u32 s19, s19, -1
	s_cmp_eq_u64 s[18:19], 0
	s_cselect_b64 s[26:27], -1, 0
	s_andn2_b64 s[22:23], s[22:23], exec
	s_and_b64 s[26:27], s[26:27], exec
	v_lshl_add_u64 v[4:5], v[4:5], 0, 2
	v_lshl_add_u64 v[6:7], v[6:7], 0, 2
	v_mov_b64_e32 v[8:9], 0
	s_or_b64 s[22:23], s[22:23], s[26:27]
	s_branch .LBB1166_67
.LBB1166_70:
	s_or_b64 exec, exec, s[16:17]
	s_branch .LBB1166_72
.LBB1166_71:
	v_mov_b64_e32 v[8:9], 0
.LBB1166_72:
	s_or_b64 exec, exec, s[2:3]
	v_cmp_ne_u32_e32 vcc, 0, v0
	v_cmp_gt_u32_e64 s[2:3], s10, v11
	s_waitcnt lgkmcnt(0)
	s_and_b64 s[16:17], vcc, s[2:3]
	s_barrier
	s_and_saveexec_b64 s[2:3], s[16:17]
	s_cbranch_execz .LBB1166_80
; %bb.73:
	v_cmp_lt_i64_e64 s[16:17], s[12:13], 1
	s_and_b64 vcc, exec, s[16:17]
	s_cbranch_vccnz .LBB1166_79
; %bb.74:
	v_add_u32_e32 v4, -8, v10
	ds_read_b64 v[6:7], v4
	v_mul_lo_u32 v4, v3, s12
	v_mul_lo_u32 v5, v2, s13
	v_mad_u64_u32 v[2:3], s[16:17], v2, s12, 0
	v_add3_u32 v3, v3, v5, v4
	v_lshl_add_u64 v[4:5], v[2:3], 1, s[14:15]
	s_waitcnt lgkmcnt(0)
	v_mul_lo_u32 v10, s13, v6
	v_mul_lo_u32 v7, s12, v7
	v_mad_u64_u32 v[2:3], s[16:17], s12, v6, 0
	v_add3_u32 v3, v3, v7, v10
	v_lshl_add_u64 v[6:7], v[2:3], 1, s[14:15]
	s_mov_b64 s[14:15], 0
                                        ; implicit-def: $sgpr16_sgpr17
	s_branch .LBB1166_76
.LBB1166_75:                            ;   in Loop: Header=BB1166_76 Depth=1
	s_or_b64 exec, exec, s[18:19]
	s_and_b64 s[18:19], exec, s[16:17]
	s_or_b64 s[14:15], s[18:19], s[14:15]
	s_andn2_b64 exec, exec, s[14:15]
	s_cbranch_execz .LBB1166_78
.LBB1166_76:                            ; =>This Inner Loop Header: Depth=1
	global_load_ushort v10, v[6:7], off
	global_load_ushort v11, v[4:5], off
	v_mov_b64_e32 v[2:3], 1
	s_or_b64 s[16:17], s[16:17], exec
	s_waitcnt vmcnt(1)
	v_lshlrev_b32_e32 v10, 16, v10
	s_waitcnt vmcnt(0)
	v_lshlrev_b32_e32 v11, 16, v11
	v_cmp_eq_f32_e32 vcc, v11, v10
	s_and_saveexec_b64 s[18:19], vcc
	s_cbranch_execz .LBB1166_75
; %bb.77:                               ;   in Loop: Header=BB1166_76 Depth=1
	s_add_u32 s12, s12, -1
	s_addc_u32 s13, s13, -1
	s_cmp_eq_u64 s[12:13], 0
	s_cselect_b64 s[22:23], -1, 0
	s_andn2_b64 s[16:17], s[16:17], exec
	s_and_b64 s[22:23], s[22:23], exec
	v_lshl_add_u64 v[4:5], v[4:5], 0, 2
	v_lshl_add_u64 v[6:7], v[6:7], 0, 2
	v_mov_b64_e32 v[2:3], 0
	s_or_b64 s[16:17], s[16:17], s[22:23]
	s_branch .LBB1166_75
.LBB1166_78:
	s_or_b64 exec, exec, s[14:15]
	s_branch .LBB1166_80
.LBB1166_79:
	v_mov_b64_e32 v[2:3], 0
.LBB1166_80:
	s_or_b64 exec, exec, s[2:3]
	v_mov_b64_e32 v[6:7], v[2:3]
.LBB1166_81:
	s_add_u32 s6, s8, s6
	s_addc_u32 s7, s9, s7
	s_and_b64 vcc, exec, s[0:1]
	s_waitcnt lgkmcnt(0)
	s_barrier
	s_cbranch_vccz .LBB1166_85
; %bb.82:
	v_and_b32_e32 v2, 0xf8, v1
	v_lshl_add_u32 v2, v0, 4, v2
	v_or_b32_e32 v10, 0x200, v0
	ds_write2_b64 v2, v[6:7], v[8:9] offset1:1
	v_lshrrev_b32_e32 v2, 2, v10
	v_and_b32_e32 v2, 0xf8, v2
	v_lshlrev_b32_e32 v4, 3, v0
	v_add_u32_e32 v2, v2, v4
	s_lshl_b32 s0, s20, 10
	s_mov_b32 s5, 0
	s_waitcnt lgkmcnt(0)
	s_barrier
	ds_read_b64 v[2:3], v2 offset:4096
	s_sub_i32 s2, s10, s0
	s_lshl_b64 s[0:1], s[4:5], 3
	s_add_u32 s0, s6, s0
	s_addc_u32 s1, s7, s1
	v_mov_b32_e32 v5, 0
	v_lshl_add_u64 v[4:5], s[0:1], 0, v[4:5]
	v_cmp_gt_u32_e32 vcc, s2, v0
	s_and_saveexec_b64 s[0:1], vcc
	s_cbranch_execz .LBB1166_84
; %bb.83:
	v_lshrrev_b32_e32 v11, 2, v0
	v_and_b32_e32 v11, 0x78, v11
	v_lshl_add_u32 v11, v0, 3, v11
	ds_read_b64 v[12:13], v11
	s_waitcnt lgkmcnt(0)
	global_store_dwordx2 v[4:5], v[12:13], off
.LBB1166_84:
	s_or_b64 exec, exec, s[0:1]
	v_cmp_gt_u32_e64 s[0:1], s2, v10
	s_branch .LBB1166_87
.LBB1166_85:
	s_mov_b64 s[0:1], 0
                                        ; implicit-def: $vgpr2_vgpr3
                                        ; implicit-def: $vgpr4_vgpr5
	s_cbranch_execz .LBB1166_87
; %bb.86:
	v_and_b32_e32 v1, 0xf8, v1
	v_lshl_add_u32 v1, v0, 4, v1
	ds_write2_b64 v1, v[6:7], v[8:9] offset1:1
	v_lshrrev_b32_e32 v1, 2, v0
	v_lshlrev_b32_e32 v6, 3, v0
	v_or_b32_e32 v0, 0x200, v0
	v_lshrrev_b32_e32 v0, 2, v0
	v_and_b32_e32 v1, 0x78, v1
	v_and_b32_e32 v0, 0xf8, v0
	v_add_u32_e32 v1, v1, v6
	v_add_u32_e32 v0, v0, v6
	s_mov_b32 s5, 0
	s_waitcnt lgkmcnt(0)
	s_barrier
	ds_read_b64 v[8:9], v1
	ds_read_b64 v[2:3], v0 offset:4096
	s_lshl_b64 s[2:3], s[4:5], 3
	s_add_u32 s2, s6, s2
	s_addc_u32 s3, s7, s3
	v_mov_b32_e32 v7, 0
	v_lshl_add_u64 v[4:5], s[2:3], 0, v[6:7]
	s_or_b64 s[0:1], s[0:1], exec
	s_waitcnt lgkmcnt(1)
	global_store_dwordx2 v6, v[8:9], s[2:3]
.LBB1166_87:
	s_and_saveexec_b64 s[2:3], s[0:1]
	s_cbranch_execnz .LBB1166_89
; %bb.88:
	s_endpgm
.LBB1166_89:
	v_add_co_u32_e32 v0, vcc, 0x1000, v4
	s_nop 1
	v_addc_co_u32_e32 v1, vcc, 0, v5, vcc
	s_waitcnt lgkmcnt(0)
	global_store_dwordx2 v[0:1], v[2:3], off
	s_endpgm
	.section	.rodata,"a",@progbits
	.p2align	6, 0x0
	.amdhsa_kernel _ZN7rocprim17ROCPRIM_400000_NS6detail17trampoline_kernelINS0_14default_configENS1_35adjacent_difference_config_selectorILb1ElEEZNS1_24adjacent_difference_implIS3_Lb1ELb0EPlS7_ZN2at6native12_GLOBAL__N_124unique_dim_cuda_templateIN3c108BFloat16EEESt5tupleIJNS8_6TensorESF_SF_EERKSF_lbbbEUlllE1_EE10hipError_tPvRmT2_T3_mT4_P12ihipStream_tbEUlT_E_NS1_11comp_targetILNS1_3genE0ELNS1_11target_archE4294967295ELNS1_3gpuE0ELNS1_3repE0EEENS1_30default_config_static_selectorELNS0_4arch9wavefront6targetE1EEEvT1_
		.amdhsa_group_segment_fixed_size 8448
		.amdhsa_private_segment_fixed_size 0
		.amdhsa_kernarg_size 64
		.amdhsa_user_sgpr_count 2
		.amdhsa_user_sgpr_dispatch_ptr 0
		.amdhsa_user_sgpr_queue_ptr 0
		.amdhsa_user_sgpr_kernarg_segment_ptr 1
		.amdhsa_user_sgpr_dispatch_id 0
		.amdhsa_user_sgpr_kernarg_preload_length 0
		.amdhsa_user_sgpr_kernarg_preload_offset 0
		.amdhsa_user_sgpr_private_segment_size 0
		.amdhsa_uses_dynamic_stack 0
		.amdhsa_enable_private_segment 0
		.amdhsa_system_sgpr_workgroup_id_x 1
		.amdhsa_system_sgpr_workgroup_id_y 0
		.amdhsa_system_sgpr_workgroup_id_z 0
		.amdhsa_system_sgpr_workgroup_info 0
		.amdhsa_system_vgpr_workitem_id 0
		.amdhsa_next_free_vgpr 16
		.amdhsa_next_free_sgpr 36
		.amdhsa_accum_offset 16
		.amdhsa_reserve_vcc 1
		.amdhsa_float_round_mode_32 0
		.amdhsa_float_round_mode_16_64 0
		.amdhsa_float_denorm_mode_32 3
		.amdhsa_float_denorm_mode_16_64 3
		.amdhsa_dx10_clamp 1
		.amdhsa_ieee_mode 1
		.amdhsa_fp16_overflow 0
		.amdhsa_tg_split 0
		.amdhsa_exception_fp_ieee_invalid_op 0
		.amdhsa_exception_fp_denorm_src 0
		.amdhsa_exception_fp_ieee_div_zero 0
		.amdhsa_exception_fp_ieee_overflow 0
		.amdhsa_exception_fp_ieee_underflow 0
		.amdhsa_exception_fp_ieee_inexact 0
		.amdhsa_exception_int_div_zero 0
	.end_amdhsa_kernel
	.section	.text._ZN7rocprim17ROCPRIM_400000_NS6detail17trampoline_kernelINS0_14default_configENS1_35adjacent_difference_config_selectorILb1ElEEZNS1_24adjacent_difference_implIS3_Lb1ELb0EPlS7_ZN2at6native12_GLOBAL__N_124unique_dim_cuda_templateIN3c108BFloat16EEESt5tupleIJNS8_6TensorESF_SF_EERKSF_lbbbEUlllE1_EE10hipError_tPvRmT2_T3_mT4_P12ihipStream_tbEUlT_E_NS1_11comp_targetILNS1_3genE0ELNS1_11target_archE4294967295ELNS1_3gpuE0ELNS1_3repE0EEENS1_30default_config_static_selectorELNS0_4arch9wavefront6targetE1EEEvT1_,"axG",@progbits,_ZN7rocprim17ROCPRIM_400000_NS6detail17trampoline_kernelINS0_14default_configENS1_35adjacent_difference_config_selectorILb1ElEEZNS1_24adjacent_difference_implIS3_Lb1ELb0EPlS7_ZN2at6native12_GLOBAL__N_124unique_dim_cuda_templateIN3c108BFloat16EEESt5tupleIJNS8_6TensorESF_SF_EERKSF_lbbbEUlllE1_EE10hipError_tPvRmT2_T3_mT4_P12ihipStream_tbEUlT_E_NS1_11comp_targetILNS1_3genE0ELNS1_11target_archE4294967295ELNS1_3gpuE0ELNS1_3repE0EEENS1_30default_config_static_selectorELNS0_4arch9wavefront6targetE1EEEvT1_,comdat
.Lfunc_end1166:
	.size	_ZN7rocprim17ROCPRIM_400000_NS6detail17trampoline_kernelINS0_14default_configENS1_35adjacent_difference_config_selectorILb1ElEEZNS1_24adjacent_difference_implIS3_Lb1ELb0EPlS7_ZN2at6native12_GLOBAL__N_124unique_dim_cuda_templateIN3c108BFloat16EEESt5tupleIJNS8_6TensorESF_SF_EERKSF_lbbbEUlllE1_EE10hipError_tPvRmT2_T3_mT4_P12ihipStream_tbEUlT_E_NS1_11comp_targetILNS1_3genE0ELNS1_11target_archE4294967295ELNS1_3gpuE0ELNS1_3repE0EEENS1_30default_config_static_selectorELNS0_4arch9wavefront6targetE1EEEvT1_, .Lfunc_end1166-_ZN7rocprim17ROCPRIM_400000_NS6detail17trampoline_kernelINS0_14default_configENS1_35adjacent_difference_config_selectorILb1ElEEZNS1_24adjacent_difference_implIS3_Lb1ELb0EPlS7_ZN2at6native12_GLOBAL__N_124unique_dim_cuda_templateIN3c108BFloat16EEESt5tupleIJNS8_6TensorESF_SF_EERKSF_lbbbEUlllE1_EE10hipError_tPvRmT2_T3_mT4_P12ihipStream_tbEUlT_E_NS1_11comp_targetILNS1_3genE0ELNS1_11target_archE4294967295ELNS1_3gpuE0ELNS1_3repE0EEENS1_30default_config_static_selectorELNS0_4arch9wavefront6targetE1EEEvT1_
                                        ; -- End function
	.set _ZN7rocprim17ROCPRIM_400000_NS6detail17trampoline_kernelINS0_14default_configENS1_35adjacent_difference_config_selectorILb1ElEEZNS1_24adjacent_difference_implIS3_Lb1ELb0EPlS7_ZN2at6native12_GLOBAL__N_124unique_dim_cuda_templateIN3c108BFloat16EEESt5tupleIJNS8_6TensorESF_SF_EERKSF_lbbbEUlllE1_EE10hipError_tPvRmT2_T3_mT4_P12ihipStream_tbEUlT_E_NS1_11comp_targetILNS1_3genE0ELNS1_11target_archE4294967295ELNS1_3gpuE0ELNS1_3repE0EEENS1_30default_config_static_selectorELNS0_4arch9wavefront6targetE1EEEvT1_.num_vgpr, 16
	.set _ZN7rocprim17ROCPRIM_400000_NS6detail17trampoline_kernelINS0_14default_configENS1_35adjacent_difference_config_selectorILb1ElEEZNS1_24adjacent_difference_implIS3_Lb1ELb0EPlS7_ZN2at6native12_GLOBAL__N_124unique_dim_cuda_templateIN3c108BFloat16EEESt5tupleIJNS8_6TensorESF_SF_EERKSF_lbbbEUlllE1_EE10hipError_tPvRmT2_T3_mT4_P12ihipStream_tbEUlT_E_NS1_11comp_targetILNS1_3genE0ELNS1_11target_archE4294967295ELNS1_3gpuE0ELNS1_3repE0EEENS1_30default_config_static_selectorELNS0_4arch9wavefront6targetE1EEEvT1_.num_agpr, 0
	.set _ZN7rocprim17ROCPRIM_400000_NS6detail17trampoline_kernelINS0_14default_configENS1_35adjacent_difference_config_selectorILb1ElEEZNS1_24adjacent_difference_implIS3_Lb1ELb0EPlS7_ZN2at6native12_GLOBAL__N_124unique_dim_cuda_templateIN3c108BFloat16EEESt5tupleIJNS8_6TensorESF_SF_EERKSF_lbbbEUlllE1_EE10hipError_tPvRmT2_T3_mT4_P12ihipStream_tbEUlT_E_NS1_11comp_targetILNS1_3genE0ELNS1_11target_archE4294967295ELNS1_3gpuE0ELNS1_3repE0EEENS1_30default_config_static_selectorELNS0_4arch9wavefront6targetE1EEEvT1_.numbered_sgpr, 36
	.set _ZN7rocprim17ROCPRIM_400000_NS6detail17trampoline_kernelINS0_14default_configENS1_35adjacent_difference_config_selectorILb1ElEEZNS1_24adjacent_difference_implIS3_Lb1ELb0EPlS7_ZN2at6native12_GLOBAL__N_124unique_dim_cuda_templateIN3c108BFloat16EEESt5tupleIJNS8_6TensorESF_SF_EERKSF_lbbbEUlllE1_EE10hipError_tPvRmT2_T3_mT4_P12ihipStream_tbEUlT_E_NS1_11comp_targetILNS1_3genE0ELNS1_11target_archE4294967295ELNS1_3gpuE0ELNS1_3repE0EEENS1_30default_config_static_selectorELNS0_4arch9wavefront6targetE1EEEvT1_.num_named_barrier, 0
	.set _ZN7rocprim17ROCPRIM_400000_NS6detail17trampoline_kernelINS0_14default_configENS1_35adjacent_difference_config_selectorILb1ElEEZNS1_24adjacent_difference_implIS3_Lb1ELb0EPlS7_ZN2at6native12_GLOBAL__N_124unique_dim_cuda_templateIN3c108BFloat16EEESt5tupleIJNS8_6TensorESF_SF_EERKSF_lbbbEUlllE1_EE10hipError_tPvRmT2_T3_mT4_P12ihipStream_tbEUlT_E_NS1_11comp_targetILNS1_3genE0ELNS1_11target_archE4294967295ELNS1_3gpuE0ELNS1_3repE0EEENS1_30default_config_static_selectorELNS0_4arch9wavefront6targetE1EEEvT1_.private_seg_size, 0
	.set _ZN7rocprim17ROCPRIM_400000_NS6detail17trampoline_kernelINS0_14default_configENS1_35adjacent_difference_config_selectorILb1ElEEZNS1_24adjacent_difference_implIS3_Lb1ELb0EPlS7_ZN2at6native12_GLOBAL__N_124unique_dim_cuda_templateIN3c108BFloat16EEESt5tupleIJNS8_6TensorESF_SF_EERKSF_lbbbEUlllE1_EE10hipError_tPvRmT2_T3_mT4_P12ihipStream_tbEUlT_E_NS1_11comp_targetILNS1_3genE0ELNS1_11target_archE4294967295ELNS1_3gpuE0ELNS1_3repE0EEENS1_30default_config_static_selectorELNS0_4arch9wavefront6targetE1EEEvT1_.uses_vcc, 1
	.set _ZN7rocprim17ROCPRIM_400000_NS6detail17trampoline_kernelINS0_14default_configENS1_35adjacent_difference_config_selectorILb1ElEEZNS1_24adjacent_difference_implIS3_Lb1ELb0EPlS7_ZN2at6native12_GLOBAL__N_124unique_dim_cuda_templateIN3c108BFloat16EEESt5tupleIJNS8_6TensorESF_SF_EERKSF_lbbbEUlllE1_EE10hipError_tPvRmT2_T3_mT4_P12ihipStream_tbEUlT_E_NS1_11comp_targetILNS1_3genE0ELNS1_11target_archE4294967295ELNS1_3gpuE0ELNS1_3repE0EEENS1_30default_config_static_selectorELNS0_4arch9wavefront6targetE1EEEvT1_.uses_flat_scratch, 0
	.set _ZN7rocprim17ROCPRIM_400000_NS6detail17trampoline_kernelINS0_14default_configENS1_35adjacent_difference_config_selectorILb1ElEEZNS1_24adjacent_difference_implIS3_Lb1ELb0EPlS7_ZN2at6native12_GLOBAL__N_124unique_dim_cuda_templateIN3c108BFloat16EEESt5tupleIJNS8_6TensorESF_SF_EERKSF_lbbbEUlllE1_EE10hipError_tPvRmT2_T3_mT4_P12ihipStream_tbEUlT_E_NS1_11comp_targetILNS1_3genE0ELNS1_11target_archE4294967295ELNS1_3gpuE0ELNS1_3repE0EEENS1_30default_config_static_selectorELNS0_4arch9wavefront6targetE1EEEvT1_.has_dyn_sized_stack, 0
	.set _ZN7rocprim17ROCPRIM_400000_NS6detail17trampoline_kernelINS0_14default_configENS1_35adjacent_difference_config_selectorILb1ElEEZNS1_24adjacent_difference_implIS3_Lb1ELb0EPlS7_ZN2at6native12_GLOBAL__N_124unique_dim_cuda_templateIN3c108BFloat16EEESt5tupleIJNS8_6TensorESF_SF_EERKSF_lbbbEUlllE1_EE10hipError_tPvRmT2_T3_mT4_P12ihipStream_tbEUlT_E_NS1_11comp_targetILNS1_3genE0ELNS1_11target_archE4294967295ELNS1_3gpuE0ELNS1_3repE0EEENS1_30default_config_static_selectorELNS0_4arch9wavefront6targetE1EEEvT1_.has_recursion, 0
	.set _ZN7rocprim17ROCPRIM_400000_NS6detail17trampoline_kernelINS0_14default_configENS1_35adjacent_difference_config_selectorILb1ElEEZNS1_24adjacent_difference_implIS3_Lb1ELb0EPlS7_ZN2at6native12_GLOBAL__N_124unique_dim_cuda_templateIN3c108BFloat16EEESt5tupleIJNS8_6TensorESF_SF_EERKSF_lbbbEUlllE1_EE10hipError_tPvRmT2_T3_mT4_P12ihipStream_tbEUlT_E_NS1_11comp_targetILNS1_3genE0ELNS1_11target_archE4294967295ELNS1_3gpuE0ELNS1_3repE0EEENS1_30default_config_static_selectorELNS0_4arch9wavefront6targetE1EEEvT1_.has_indirect_call, 0
	.section	.AMDGPU.csdata,"",@progbits
; Kernel info:
; codeLenInByte = 3240
; TotalNumSgprs: 42
; NumVgprs: 16
; NumAgprs: 0
; TotalNumVgprs: 16
; ScratchSize: 0
; MemoryBound: 0
; FloatMode: 240
; IeeeMode: 1
; LDSByteSize: 8448 bytes/workgroup (compile time only)
; SGPRBlocks: 5
; VGPRBlocks: 1
; NumSGPRsForWavesPerEU: 42
; NumVGPRsForWavesPerEU: 16
; AccumOffset: 16
; Occupancy: 8
; WaveLimiterHint : 1
; COMPUTE_PGM_RSRC2:SCRATCH_EN: 0
; COMPUTE_PGM_RSRC2:USER_SGPR: 2
; COMPUTE_PGM_RSRC2:TRAP_HANDLER: 0
; COMPUTE_PGM_RSRC2:TGID_X_EN: 1
; COMPUTE_PGM_RSRC2:TGID_Y_EN: 0
; COMPUTE_PGM_RSRC2:TGID_Z_EN: 0
; COMPUTE_PGM_RSRC2:TIDIG_COMP_CNT: 0
; COMPUTE_PGM_RSRC3_GFX90A:ACCUM_OFFSET: 3
; COMPUTE_PGM_RSRC3_GFX90A:TG_SPLIT: 0
	.section	.text._ZN7rocprim17ROCPRIM_400000_NS6detail17trampoline_kernelINS0_14default_configENS1_35adjacent_difference_config_selectorILb1ElEEZNS1_24adjacent_difference_implIS3_Lb1ELb0EPlS7_ZN2at6native12_GLOBAL__N_124unique_dim_cuda_templateIN3c108BFloat16EEESt5tupleIJNS8_6TensorESF_SF_EERKSF_lbbbEUlllE1_EE10hipError_tPvRmT2_T3_mT4_P12ihipStream_tbEUlT_E_NS1_11comp_targetILNS1_3genE10ELNS1_11target_archE1201ELNS1_3gpuE5ELNS1_3repE0EEENS1_30default_config_static_selectorELNS0_4arch9wavefront6targetE1EEEvT1_,"axG",@progbits,_ZN7rocprim17ROCPRIM_400000_NS6detail17trampoline_kernelINS0_14default_configENS1_35adjacent_difference_config_selectorILb1ElEEZNS1_24adjacent_difference_implIS3_Lb1ELb0EPlS7_ZN2at6native12_GLOBAL__N_124unique_dim_cuda_templateIN3c108BFloat16EEESt5tupleIJNS8_6TensorESF_SF_EERKSF_lbbbEUlllE1_EE10hipError_tPvRmT2_T3_mT4_P12ihipStream_tbEUlT_E_NS1_11comp_targetILNS1_3genE10ELNS1_11target_archE1201ELNS1_3gpuE5ELNS1_3repE0EEENS1_30default_config_static_selectorELNS0_4arch9wavefront6targetE1EEEvT1_,comdat
	.globl	_ZN7rocprim17ROCPRIM_400000_NS6detail17trampoline_kernelINS0_14default_configENS1_35adjacent_difference_config_selectorILb1ElEEZNS1_24adjacent_difference_implIS3_Lb1ELb0EPlS7_ZN2at6native12_GLOBAL__N_124unique_dim_cuda_templateIN3c108BFloat16EEESt5tupleIJNS8_6TensorESF_SF_EERKSF_lbbbEUlllE1_EE10hipError_tPvRmT2_T3_mT4_P12ihipStream_tbEUlT_E_NS1_11comp_targetILNS1_3genE10ELNS1_11target_archE1201ELNS1_3gpuE5ELNS1_3repE0EEENS1_30default_config_static_selectorELNS0_4arch9wavefront6targetE1EEEvT1_ ; -- Begin function _ZN7rocprim17ROCPRIM_400000_NS6detail17trampoline_kernelINS0_14default_configENS1_35adjacent_difference_config_selectorILb1ElEEZNS1_24adjacent_difference_implIS3_Lb1ELb0EPlS7_ZN2at6native12_GLOBAL__N_124unique_dim_cuda_templateIN3c108BFloat16EEESt5tupleIJNS8_6TensorESF_SF_EERKSF_lbbbEUlllE1_EE10hipError_tPvRmT2_T3_mT4_P12ihipStream_tbEUlT_E_NS1_11comp_targetILNS1_3genE10ELNS1_11target_archE1201ELNS1_3gpuE5ELNS1_3repE0EEENS1_30default_config_static_selectorELNS0_4arch9wavefront6targetE1EEEvT1_
	.p2align	8
	.type	_ZN7rocprim17ROCPRIM_400000_NS6detail17trampoline_kernelINS0_14default_configENS1_35adjacent_difference_config_selectorILb1ElEEZNS1_24adjacent_difference_implIS3_Lb1ELb0EPlS7_ZN2at6native12_GLOBAL__N_124unique_dim_cuda_templateIN3c108BFloat16EEESt5tupleIJNS8_6TensorESF_SF_EERKSF_lbbbEUlllE1_EE10hipError_tPvRmT2_T3_mT4_P12ihipStream_tbEUlT_E_NS1_11comp_targetILNS1_3genE10ELNS1_11target_archE1201ELNS1_3gpuE5ELNS1_3repE0EEENS1_30default_config_static_selectorELNS0_4arch9wavefront6targetE1EEEvT1_,@function
_ZN7rocprim17ROCPRIM_400000_NS6detail17trampoline_kernelINS0_14default_configENS1_35adjacent_difference_config_selectorILb1ElEEZNS1_24adjacent_difference_implIS3_Lb1ELb0EPlS7_ZN2at6native12_GLOBAL__N_124unique_dim_cuda_templateIN3c108BFloat16EEESt5tupleIJNS8_6TensorESF_SF_EERKSF_lbbbEUlllE1_EE10hipError_tPvRmT2_T3_mT4_P12ihipStream_tbEUlT_E_NS1_11comp_targetILNS1_3genE10ELNS1_11target_archE1201ELNS1_3gpuE5ELNS1_3repE0EEENS1_30default_config_static_selectorELNS0_4arch9wavefront6targetE1EEEvT1_: ; @_ZN7rocprim17ROCPRIM_400000_NS6detail17trampoline_kernelINS0_14default_configENS1_35adjacent_difference_config_selectorILb1ElEEZNS1_24adjacent_difference_implIS3_Lb1ELb0EPlS7_ZN2at6native12_GLOBAL__N_124unique_dim_cuda_templateIN3c108BFloat16EEESt5tupleIJNS8_6TensorESF_SF_EERKSF_lbbbEUlllE1_EE10hipError_tPvRmT2_T3_mT4_P12ihipStream_tbEUlT_E_NS1_11comp_targetILNS1_3genE10ELNS1_11target_archE1201ELNS1_3gpuE5ELNS1_3repE0EEENS1_30default_config_static_selectorELNS0_4arch9wavefront6targetE1EEEvT1_
; %bb.0:
	.section	.rodata,"a",@progbits
	.p2align	6, 0x0
	.amdhsa_kernel _ZN7rocprim17ROCPRIM_400000_NS6detail17trampoline_kernelINS0_14default_configENS1_35adjacent_difference_config_selectorILb1ElEEZNS1_24adjacent_difference_implIS3_Lb1ELb0EPlS7_ZN2at6native12_GLOBAL__N_124unique_dim_cuda_templateIN3c108BFloat16EEESt5tupleIJNS8_6TensorESF_SF_EERKSF_lbbbEUlllE1_EE10hipError_tPvRmT2_T3_mT4_P12ihipStream_tbEUlT_E_NS1_11comp_targetILNS1_3genE10ELNS1_11target_archE1201ELNS1_3gpuE5ELNS1_3repE0EEENS1_30default_config_static_selectorELNS0_4arch9wavefront6targetE1EEEvT1_
		.amdhsa_group_segment_fixed_size 0
		.amdhsa_private_segment_fixed_size 0
		.amdhsa_kernarg_size 64
		.amdhsa_user_sgpr_count 2
		.amdhsa_user_sgpr_dispatch_ptr 0
		.amdhsa_user_sgpr_queue_ptr 0
		.amdhsa_user_sgpr_kernarg_segment_ptr 1
		.amdhsa_user_sgpr_dispatch_id 0
		.amdhsa_user_sgpr_kernarg_preload_length 0
		.amdhsa_user_sgpr_kernarg_preload_offset 0
		.amdhsa_user_sgpr_private_segment_size 0
		.amdhsa_uses_dynamic_stack 0
		.amdhsa_enable_private_segment 0
		.amdhsa_system_sgpr_workgroup_id_x 1
		.amdhsa_system_sgpr_workgroup_id_y 0
		.amdhsa_system_sgpr_workgroup_id_z 0
		.amdhsa_system_sgpr_workgroup_info 0
		.amdhsa_system_vgpr_workitem_id 0
		.amdhsa_next_free_vgpr 1
		.amdhsa_next_free_sgpr 0
		.amdhsa_accum_offset 4
		.amdhsa_reserve_vcc 0
		.amdhsa_float_round_mode_32 0
		.amdhsa_float_round_mode_16_64 0
		.amdhsa_float_denorm_mode_32 3
		.amdhsa_float_denorm_mode_16_64 3
		.amdhsa_dx10_clamp 1
		.amdhsa_ieee_mode 1
		.amdhsa_fp16_overflow 0
		.amdhsa_tg_split 0
		.amdhsa_exception_fp_ieee_invalid_op 0
		.amdhsa_exception_fp_denorm_src 0
		.amdhsa_exception_fp_ieee_div_zero 0
		.amdhsa_exception_fp_ieee_overflow 0
		.amdhsa_exception_fp_ieee_underflow 0
		.amdhsa_exception_fp_ieee_inexact 0
		.amdhsa_exception_int_div_zero 0
	.end_amdhsa_kernel
	.section	.text._ZN7rocprim17ROCPRIM_400000_NS6detail17trampoline_kernelINS0_14default_configENS1_35adjacent_difference_config_selectorILb1ElEEZNS1_24adjacent_difference_implIS3_Lb1ELb0EPlS7_ZN2at6native12_GLOBAL__N_124unique_dim_cuda_templateIN3c108BFloat16EEESt5tupleIJNS8_6TensorESF_SF_EERKSF_lbbbEUlllE1_EE10hipError_tPvRmT2_T3_mT4_P12ihipStream_tbEUlT_E_NS1_11comp_targetILNS1_3genE10ELNS1_11target_archE1201ELNS1_3gpuE5ELNS1_3repE0EEENS1_30default_config_static_selectorELNS0_4arch9wavefront6targetE1EEEvT1_,"axG",@progbits,_ZN7rocprim17ROCPRIM_400000_NS6detail17trampoline_kernelINS0_14default_configENS1_35adjacent_difference_config_selectorILb1ElEEZNS1_24adjacent_difference_implIS3_Lb1ELb0EPlS7_ZN2at6native12_GLOBAL__N_124unique_dim_cuda_templateIN3c108BFloat16EEESt5tupleIJNS8_6TensorESF_SF_EERKSF_lbbbEUlllE1_EE10hipError_tPvRmT2_T3_mT4_P12ihipStream_tbEUlT_E_NS1_11comp_targetILNS1_3genE10ELNS1_11target_archE1201ELNS1_3gpuE5ELNS1_3repE0EEENS1_30default_config_static_selectorELNS0_4arch9wavefront6targetE1EEEvT1_,comdat
.Lfunc_end1167:
	.size	_ZN7rocprim17ROCPRIM_400000_NS6detail17trampoline_kernelINS0_14default_configENS1_35adjacent_difference_config_selectorILb1ElEEZNS1_24adjacent_difference_implIS3_Lb1ELb0EPlS7_ZN2at6native12_GLOBAL__N_124unique_dim_cuda_templateIN3c108BFloat16EEESt5tupleIJNS8_6TensorESF_SF_EERKSF_lbbbEUlllE1_EE10hipError_tPvRmT2_T3_mT4_P12ihipStream_tbEUlT_E_NS1_11comp_targetILNS1_3genE10ELNS1_11target_archE1201ELNS1_3gpuE5ELNS1_3repE0EEENS1_30default_config_static_selectorELNS0_4arch9wavefront6targetE1EEEvT1_, .Lfunc_end1167-_ZN7rocprim17ROCPRIM_400000_NS6detail17trampoline_kernelINS0_14default_configENS1_35adjacent_difference_config_selectorILb1ElEEZNS1_24adjacent_difference_implIS3_Lb1ELb0EPlS7_ZN2at6native12_GLOBAL__N_124unique_dim_cuda_templateIN3c108BFloat16EEESt5tupleIJNS8_6TensorESF_SF_EERKSF_lbbbEUlllE1_EE10hipError_tPvRmT2_T3_mT4_P12ihipStream_tbEUlT_E_NS1_11comp_targetILNS1_3genE10ELNS1_11target_archE1201ELNS1_3gpuE5ELNS1_3repE0EEENS1_30default_config_static_selectorELNS0_4arch9wavefront6targetE1EEEvT1_
                                        ; -- End function
	.set _ZN7rocprim17ROCPRIM_400000_NS6detail17trampoline_kernelINS0_14default_configENS1_35adjacent_difference_config_selectorILb1ElEEZNS1_24adjacent_difference_implIS3_Lb1ELb0EPlS7_ZN2at6native12_GLOBAL__N_124unique_dim_cuda_templateIN3c108BFloat16EEESt5tupleIJNS8_6TensorESF_SF_EERKSF_lbbbEUlllE1_EE10hipError_tPvRmT2_T3_mT4_P12ihipStream_tbEUlT_E_NS1_11comp_targetILNS1_3genE10ELNS1_11target_archE1201ELNS1_3gpuE5ELNS1_3repE0EEENS1_30default_config_static_selectorELNS0_4arch9wavefront6targetE1EEEvT1_.num_vgpr, 0
	.set _ZN7rocprim17ROCPRIM_400000_NS6detail17trampoline_kernelINS0_14default_configENS1_35adjacent_difference_config_selectorILb1ElEEZNS1_24adjacent_difference_implIS3_Lb1ELb0EPlS7_ZN2at6native12_GLOBAL__N_124unique_dim_cuda_templateIN3c108BFloat16EEESt5tupleIJNS8_6TensorESF_SF_EERKSF_lbbbEUlllE1_EE10hipError_tPvRmT2_T3_mT4_P12ihipStream_tbEUlT_E_NS1_11comp_targetILNS1_3genE10ELNS1_11target_archE1201ELNS1_3gpuE5ELNS1_3repE0EEENS1_30default_config_static_selectorELNS0_4arch9wavefront6targetE1EEEvT1_.num_agpr, 0
	.set _ZN7rocprim17ROCPRIM_400000_NS6detail17trampoline_kernelINS0_14default_configENS1_35adjacent_difference_config_selectorILb1ElEEZNS1_24adjacent_difference_implIS3_Lb1ELb0EPlS7_ZN2at6native12_GLOBAL__N_124unique_dim_cuda_templateIN3c108BFloat16EEESt5tupleIJNS8_6TensorESF_SF_EERKSF_lbbbEUlllE1_EE10hipError_tPvRmT2_T3_mT4_P12ihipStream_tbEUlT_E_NS1_11comp_targetILNS1_3genE10ELNS1_11target_archE1201ELNS1_3gpuE5ELNS1_3repE0EEENS1_30default_config_static_selectorELNS0_4arch9wavefront6targetE1EEEvT1_.numbered_sgpr, 0
	.set _ZN7rocprim17ROCPRIM_400000_NS6detail17trampoline_kernelINS0_14default_configENS1_35adjacent_difference_config_selectorILb1ElEEZNS1_24adjacent_difference_implIS3_Lb1ELb0EPlS7_ZN2at6native12_GLOBAL__N_124unique_dim_cuda_templateIN3c108BFloat16EEESt5tupleIJNS8_6TensorESF_SF_EERKSF_lbbbEUlllE1_EE10hipError_tPvRmT2_T3_mT4_P12ihipStream_tbEUlT_E_NS1_11comp_targetILNS1_3genE10ELNS1_11target_archE1201ELNS1_3gpuE5ELNS1_3repE0EEENS1_30default_config_static_selectorELNS0_4arch9wavefront6targetE1EEEvT1_.num_named_barrier, 0
	.set _ZN7rocprim17ROCPRIM_400000_NS6detail17trampoline_kernelINS0_14default_configENS1_35adjacent_difference_config_selectorILb1ElEEZNS1_24adjacent_difference_implIS3_Lb1ELb0EPlS7_ZN2at6native12_GLOBAL__N_124unique_dim_cuda_templateIN3c108BFloat16EEESt5tupleIJNS8_6TensorESF_SF_EERKSF_lbbbEUlllE1_EE10hipError_tPvRmT2_T3_mT4_P12ihipStream_tbEUlT_E_NS1_11comp_targetILNS1_3genE10ELNS1_11target_archE1201ELNS1_3gpuE5ELNS1_3repE0EEENS1_30default_config_static_selectorELNS0_4arch9wavefront6targetE1EEEvT1_.private_seg_size, 0
	.set _ZN7rocprim17ROCPRIM_400000_NS6detail17trampoline_kernelINS0_14default_configENS1_35adjacent_difference_config_selectorILb1ElEEZNS1_24adjacent_difference_implIS3_Lb1ELb0EPlS7_ZN2at6native12_GLOBAL__N_124unique_dim_cuda_templateIN3c108BFloat16EEESt5tupleIJNS8_6TensorESF_SF_EERKSF_lbbbEUlllE1_EE10hipError_tPvRmT2_T3_mT4_P12ihipStream_tbEUlT_E_NS1_11comp_targetILNS1_3genE10ELNS1_11target_archE1201ELNS1_3gpuE5ELNS1_3repE0EEENS1_30default_config_static_selectorELNS0_4arch9wavefront6targetE1EEEvT1_.uses_vcc, 0
	.set _ZN7rocprim17ROCPRIM_400000_NS6detail17trampoline_kernelINS0_14default_configENS1_35adjacent_difference_config_selectorILb1ElEEZNS1_24adjacent_difference_implIS3_Lb1ELb0EPlS7_ZN2at6native12_GLOBAL__N_124unique_dim_cuda_templateIN3c108BFloat16EEESt5tupleIJNS8_6TensorESF_SF_EERKSF_lbbbEUlllE1_EE10hipError_tPvRmT2_T3_mT4_P12ihipStream_tbEUlT_E_NS1_11comp_targetILNS1_3genE10ELNS1_11target_archE1201ELNS1_3gpuE5ELNS1_3repE0EEENS1_30default_config_static_selectorELNS0_4arch9wavefront6targetE1EEEvT1_.uses_flat_scratch, 0
	.set _ZN7rocprim17ROCPRIM_400000_NS6detail17trampoline_kernelINS0_14default_configENS1_35adjacent_difference_config_selectorILb1ElEEZNS1_24adjacent_difference_implIS3_Lb1ELb0EPlS7_ZN2at6native12_GLOBAL__N_124unique_dim_cuda_templateIN3c108BFloat16EEESt5tupleIJNS8_6TensorESF_SF_EERKSF_lbbbEUlllE1_EE10hipError_tPvRmT2_T3_mT4_P12ihipStream_tbEUlT_E_NS1_11comp_targetILNS1_3genE10ELNS1_11target_archE1201ELNS1_3gpuE5ELNS1_3repE0EEENS1_30default_config_static_selectorELNS0_4arch9wavefront6targetE1EEEvT1_.has_dyn_sized_stack, 0
	.set _ZN7rocprim17ROCPRIM_400000_NS6detail17trampoline_kernelINS0_14default_configENS1_35adjacent_difference_config_selectorILb1ElEEZNS1_24adjacent_difference_implIS3_Lb1ELb0EPlS7_ZN2at6native12_GLOBAL__N_124unique_dim_cuda_templateIN3c108BFloat16EEESt5tupleIJNS8_6TensorESF_SF_EERKSF_lbbbEUlllE1_EE10hipError_tPvRmT2_T3_mT4_P12ihipStream_tbEUlT_E_NS1_11comp_targetILNS1_3genE10ELNS1_11target_archE1201ELNS1_3gpuE5ELNS1_3repE0EEENS1_30default_config_static_selectorELNS0_4arch9wavefront6targetE1EEEvT1_.has_recursion, 0
	.set _ZN7rocprim17ROCPRIM_400000_NS6detail17trampoline_kernelINS0_14default_configENS1_35adjacent_difference_config_selectorILb1ElEEZNS1_24adjacent_difference_implIS3_Lb1ELb0EPlS7_ZN2at6native12_GLOBAL__N_124unique_dim_cuda_templateIN3c108BFloat16EEESt5tupleIJNS8_6TensorESF_SF_EERKSF_lbbbEUlllE1_EE10hipError_tPvRmT2_T3_mT4_P12ihipStream_tbEUlT_E_NS1_11comp_targetILNS1_3genE10ELNS1_11target_archE1201ELNS1_3gpuE5ELNS1_3repE0EEENS1_30default_config_static_selectorELNS0_4arch9wavefront6targetE1EEEvT1_.has_indirect_call, 0
	.section	.AMDGPU.csdata,"",@progbits
; Kernel info:
; codeLenInByte = 0
; TotalNumSgprs: 6
; NumVgprs: 0
; NumAgprs: 0
; TotalNumVgprs: 0
; ScratchSize: 0
; MemoryBound: 0
; FloatMode: 240
; IeeeMode: 1
; LDSByteSize: 0 bytes/workgroup (compile time only)
; SGPRBlocks: 0
; VGPRBlocks: 0
; NumSGPRsForWavesPerEU: 6
; NumVGPRsForWavesPerEU: 1
; AccumOffset: 4
; Occupancy: 8
; WaveLimiterHint : 0
; COMPUTE_PGM_RSRC2:SCRATCH_EN: 0
; COMPUTE_PGM_RSRC2:USER_SGPR: 2
; COMPUTE_PGM_RSRC2:TRAP_HANDLER: 0
; COMPUTE_PGM_RSRC2:TGID_X_EN: 1
; COMPUTE_PGM_RSRC2:TGID_Y_EN: 0
; COMPUTE_PGM_RSRC2:TGID_Z_EN: 0
; COMPUTE_PGM_RSRC2:TIDIG_COMP_CNT: 0
; COMPUTE_PGM_RSRC3_GFX90A:ACCUM_OFFSET: 0
; COMPUTE_PGM_RSRC3_GFX90A:TG_SPLIT: 0
	.section	.text._ZN7rocprim17ROCPRIM_400000_NS6detail17trampoline_kernelINS0_14default_configENS1_35adjacent_difference_config_selectorILb1ElEEZNS1_24adjacent_difference_implIS3_Lb1ELb0EPlS7_ZN2at6native12_GLOBAL__N_124unique_dim_cuda_templateIN3c108BFloat16EEESt5tupleIJNS8_6TensorESF_SF_EERKSF_lbbbEUlllE1_EE10hipError_tPvRmT2_T3_mT4_P12ihipStream_tbEUlT_E_NS1_11comp_targetILNS1_3genE5ELNS1_11target_archE942ELNS1_3gpuE9ELNS1_3repE0EEENS1_30default_config_static_selectorELNS0_4arch9wavefront6targetE1EEEvT1_,"axG",@progbits,_ZN7rocprim17ROCPRIM_400000_NS6detail17trampoline_kernelINS0_14default_configENS1_35adjacent_difference_config_selectorILb1ElEEZNS1_24adjacent_difference_implIS3_Lb1ELb0EPlS7_ZN2at6native12_GLOBAL__N_124unique_dim_cuda_templateIN3c108BFloat16EEESt5tupleIJNS8_6TensorESF_SF_EERKSF_lbbbEUlllE1_EE10hipError_tPvRmT2_T3_mT4_P12ihipStream_tbEUlT_E_NS1_11comp_targetILNS1_3genE5ELNS1_11target_archE942ELNS1_3gpuE9ELNS1_3repE0EEENS1_30default_config_static_selectorELNS0_4arch9wavefront6targetE1EEEvT1_,comdat
	.globl	_ZN7rocprim17ROCPRIM_400000_NS6detail17trampoline_kernelINS0_14default_configENS1_35adjacent_difference_config_selectorILb1ElEEZNS1_24adjacent_difference_implIS3_Lb1ELb0EPlS7_ZN2at6native12_GLOBAL__N_124unique_dim_cuda_templateIN3c108BFloat16EEESt5tupleIJNS8_6TensorESF_SF_EERKSF_lbbbEUlllE1_EE10hipError_tPvRmT2_T3_mT4_P12ihipStream_tbEUlT_E_NS1_11comp_targetILNS1_3genE5ELNS1_11target_archE942ELNS1_3gpuE9ELNS1_3repE0EEENS1_30default_config_static_selectorELNS0_4arch9wavefront6targetE1EEEvT1_ ; -- Begin function _ZN7rocprim17ROCPRIM_400000_NS6detail17trampoline_kernelINS0_14default_configENS1_35adjacent_difference_config_selectorILb1ElEEZNS1_24adjacent_difference_implIS3_Lb1ELb0EPlS7_ZN2at6native12_GLOBAL__N_124unique_dim_cuda_templateIN3c108BFloat16EEESt5tupleIJNS8_6TensorESF_SF_EERKSF_lbbbEUlllE1_EE10hipError_tPvRmT2_T3_mT4_P12ihipStream_tbEUlT_E_NS1_11comp_targetILNS1_3genE5ELNS1_11target_archE942ELNS1_3gpuE9ELNS1_3repE0EEENS1_30default_config_static_selectorELNS0_4arch9wavefront6targetE1EEEvT1_
	.p2align	8
	.type	_ZN7rocprim17ROCPRIM_400000_NS6detail17trampoline_kernelINS0_14default_configENS1_35adjacent_difference_config_selectorILb1ElEEZNS1_24adjacent_difference_implIS3_Lb1ELb0EPlS7_ZN2at6native12_GLOBAL__N_124unique_dim_cuda_templateIN3c108BFloat16EEESt5tupleIJNS8_6TensorESF_SF_EERKSF_lbbbEUlllE1_EE10hipError_tPvRmT2_T3_mT4_P12ihipStream_tbEUlT_E_NS1_11comp_targetILNS1_3genE5ELNS1_11target_archE942ELNS1_3gpuE9ELNS1_3repE0EEENS1_30default_config_static_selectorELNS0_4arch9wavefront6targetE1EEEvT1_,@function
_ZN7rocprim17ROCPRIM_400000_NS6detail17trampoline_kernelINS0_14default_configENS1_35adjacent_difference_config_selectorILb1ElEEZNS1_24adjacent_difference_implIS3_Lb1ELb0EPlS7_ZN2at6native12_GLOBAL__N_124unique_dim_cuda_templateIN3c108BFloat16EEESt5tupleIJNS8_6TensorESF_SF_EERKSF_lbbbEUlllE1_EE10hipError_tPvRmT2_T3_mT4_P12ihipStream_tbEUlT_E_NS1_11comp_targetILNS1_3genE5ELNS1_11target_archE942ELNS1_3gpuE9ELNS1_3repE0EEENS1_30default_config_static_selectorELNS0_4arch9wavefront6targetE1EEEvT1_: ; @_ZN7rocprim17ROCPRIM_400000_NS6detail17trampoline_kernelINS0_14default_configENS1_35adjacent_difference_config_selectorILb1ElEEZNS1_24adjacent_difference_implIS3_Lb1ELb0EPlS7_ZN2at6native12_GLOBAL__N_124unique_dim_cuda_templateIN3c108BFloat16EEESt5tupleIJNS8_6TensorESF_SF_EERKSF_lbbbEUlllE1_EE10hipError_tPvRmT2_T3_mT4_P12ihipStream_tbEUlT_E_NS1_11comp_targetILNS1_3genE5ELNS1_11target_archE942ELNS1_3gpuE9ELNS1_3repE0EEENS1_30default_config_static_selectorELNS0_4arch9wavefront6targetE1EEEvT1_
; %bb.0:
	.section	.rodata,"a",@progbits
	.p2align	6, 0x0
	.amdhsa_kernel _ZN7rocprim17ROCPRIM_400000_NS6detail17trampoline_kernelINS0_14default_configENS1_35adjacent_difference_config_selectorILb1ElEEZNS1_24adjacent_difference_implIS3_Lb1ELb0EPlS7_ZN2at6native12_GLOBAL__N_124unique_dim_cuda_templateIN3c108BFloat16EEESt5tupleIJNS8_6TensorESF_SF_EERKSF_lbbbEUlllE1_EE10hipError_tPvRmT2_T3_mT4_P12ihipStream_tbEUlT_E_NS1_11comp_targetILNS1_3genE5ELNS1_11target_archE942ELNS1_3gpuE9ELNS1_3repE0EEENS1_30default_config_static_selectorELNS0_4arch9wavefront6targetE1EEEvT1_
		.amdhsa_group_segment_fixed_size 0
		.amdhsa_private_segment_fixed_size 0
		.amdhsa_kernarg_size 64
		.amdhsa_user_sgpr_count 2
		.amdhsa_user_sgpr_dispatch_ptr 0
		.amdhsa_user_sgpr_queue_ptr 0
		.amdhsa_user_sgpr_kernarg_segment_ptr 1
		.amdhsa_user_sgpr_dispatch_id 0
		.amdhsa_user_sgpr_kernarg_preload_length 0
		.amdhsa_user_sgpr_kernarg_preload_offset 0
		.amdhsa_user_sgpr_private_segment_size 0
		.amdhsa_uses_dynamic_stack 0
		.amdhsa_enable_private_segment 0
		.amdhsa_system_sgpr_workgroup_id_x 1
		.amdhsa_system_sgpr_workgroup_id_y 0
		.amdhsa_system_sgpr_workgroup_id_z 0
		.amdhsa_system_sgpr_workgroup_info 0
		.amdhsa_system_vgpr_workitem_id 0
		.amdhsa_next_free_vgpr 1
		.amdhsa_next_free_sgpr 0
		.amdhsa_accum_offset 4
		.amdhsa_reserve_vcc 0
		.amdhsa_float_round_mode_32 0
		.amdhsa_float_round_mode_16_64 0
		.amdhsa_float_denorm_mode_32 3
		.amdhsa_float_denorm_mode_16_64 3
		.amdhsa_dx10_clamp 1
		.amdhsa_ieee_mode 1
		.amdhsa_fp16_overflow 0
		.amdhsa_tg_split 0
		.amdhsa_exception_fp_ieee_invalid_op 0
		.amdhsa_exception_fp_denorm_src 0
		.amdhsa_exception_fp_ieee_div_zero 0
		.amdhsa_exception_fp_ieee_overflow 0
		.amdhsa_exception_fp_ieee_underflow 0
		.amdhsa_exception_fp_ieee_inexact 0
		.amdhsa_exception_int_div_zero 0
	.end_amdhsa_kernel
	.section	.text._ZN7rocprim17ROCPRIM_400000_NS6detail17trampoline_kernelINS0_14default_configENS1_35adjacent_difference_config_selectorILb1ElEEZNS1_24adjacent_difference_implIS3_Lb1ELb0EPlS7_ZN2at6native12_GLOBAL__N_124unique_dim_cuda_templateIN3c108BFloat16EEESt5tupleIJNS8_6TensorESF_SF_EERKSF_lbbbEUlllE1_EE10hipError_tPvRmT2_T3_mT4_P12ihipStream_tbEUlT_E_NS1_11comp_targetILNS1_3genE5ELNS1_11target_archE942ELNS1_3gpuE9ELNS1_3repE0EEENS1_30default_config_static_selectorELNS0_4arch9wavefront6targetE1EEEvT1_,"axG",@progbits,_ZN7rocprim17ROCPRIM_400000_NS6detail17trampoline_kernelINS0_14default_configENS1_35adjacent_difference_config_selectorILb1ElEEZNS1_24adjacent_difference_implIS3_Lb1ELb0EPlS7_ZN2at6native12_GLOBAL__N_124unique_dim_cuda_templateIN3c108BFloat16EEESt5tupleIJNS8_6TensorESF_SF_EERKSF_lbbbEUlllE1_EE10hipError_tPvRmT2_T3_mT4_P12ihipStream_tbEUlT_E_NS1_11comp_targetILNS1_3genE5ELNS1_11target_archE942ELNS1_3gpuE9ELNS1_3repE0EEENS1_30default_config_static_selectorELNS0_4arch9wavefront6targetE1EEEvT1_,comdat
.Lfunc_end1168:
	.size	_ZN7rocprim17ROCPRIM_400000_NS6detail17trampoline_kernelINS0_14default_configENS1_35adjacent_difference_config_selectorILb1ElEEZNS1_24adjacent_difference_implIS3_Lb1ELb0EPlS7_ZN2at6native12_GLOBAL__N_124unique_dim_cuda_templateIN3c108BFloat16EEESt5tupleIJNS8_6TensorESF_SF_EERKSF_lbbbEUlllE1_EE10hipError_tPvRmT2_T3_mT4_P12ihipStream_tbEUlT_E_NS1_11comp_targetILNS1_3genE5ELNS1_11target_archE942ELNS1_3gpuE9ELNS1_3repE0EEENS1_30default_config_static_selectorELNS0_4arch9wavefront6targetE1EEEvT1_, .Lfunc_end1168-_ZN7rocprim17ROCPRIM_400000_NS6detail17trampoline_kernelINS0_14default_configENS1_35adjacent_difference_config_selectorILb1ElEEZNS1_24adjacent_difference_implIS3_Lb1ELb0EPlS7_ZN2at6native12_GLOBAL__N_124unique_dim_cuda_templateIN3c108BFloat16EEESt5tupleIJNS8_6TensorESF_SF_EERKSF_lbbbEUlllE1_EE10hipError_tPvRmT2_T3_mT4_P12ihipStream_tbEUlT_E_NS1_11comp_targetILNS1_3genE5ELNS1_11target_archE942ELNS1_3gpuE9ELNS1_3repE0EEENS1_30default_config_static_selectorELNS0_4arch9wavefront6targetE1EEEvT1_
                                        ; -- End function
	.set _ZN7rocprim17ROCPRIM_400000_NS6detail17trampoline_kernelINS0_14default_configENS1_35adjacent_difference_config_selectorILb1ElEEZNS1_24adjacent_difference_implIS3_Lb1ELb0EPlS7_ZN2at6native12_GLOBAL__N_124unique_dim_cuda_templateIN3c108BFloat16EEESt5tupleIJNS8_6TensorESF_SF_EERKSF_lbbbEUlllE1_EE10hipError_tPvRmT2_T3_mT4_P12ihipStream_tbEUlT_E_NS1_11comp_targetILNS1_3genE5ELNS1_11target_archE942ELNS1_3gpuE9ELNS1_3repE0EEENS1_30default_config_static_selectorELNS0_4arch9wavefront6targetE1EEEvT1_.num_vgpr, 0
	.set _ZN7rocprim17ROCPRIM_400000_NS6detail17trampoline_kernelINS0_14default_configENS1_35adjacent_difference_config_selectorILb1ElEEZNS1_24adjacent_difference_implIS3_Lb1ELb0EPlS7_ZN2at6native12_GLOBAL__N_124unique_dim_cuda_templateIN3c108BFloat16EEESt5tupleIJNS8_6TensorESF_SF_EERKSF_lbbbEUlllE1_EE10hipError_tPvRmT2_T3_mT4_P12ihipStream_tbEUlT_E_NS1_11comp_targetILNS1_3genE5ELNS1_11target_archE942ELNS1_3gpuE9ELNS1_3repE0EEENS1_30default_config_static_selectorELNS0_4arch9wavefront6targetE1EEEvT1_.num_agpr, 0
	.set _ZN7rocprim17ROCPRIM_400000_NS6detail17trampoline_kernelINS0_14default_configENS1_35adjacent_difference_config_selectorILb1ElEEZNS1_24adjacent_difference_implIS3_Lb1ELb0EPlS7_ZN2at6native12_GLOBAL__N_124unique_dim_cuda_templateIN3c108BFloat16EEESt5tupleIJNS8_6TensorESF_SF_EERKSF_lbbbEUlllE1_EE10hipError_tPvRmT2_T3_mT4_P12ihipStream_tbEUlT_E_NS1_11comp_targetILNS1_3genE5ELNS1_11target_archE942ELNS1_3gpuE9ELNS1_3repE0EEENS1_30default_config_static_selectorELNS0_4arch9wavefront6targetE1EEEvT1_.numbered_sgpr, 0
	.set _ZN7rocprim17ROCPRIM_400000_NS6detail17trampoline_kernelINS0_14default_configENS1_35adjacent_difference_config_selectorILb1ElEEZNS1_24adjacent_difference_implIS3_Lb1ELb0EPlS7_ZN2at6native12_GLOBAL__N_124unique_dim_cuda_templateIN3c108BFloat16EEESt5tupleIJNS8_6TensorESF_SF_EERKSF_lbbbEUlllE1_EE10hipError_tPvRmT2_T3_mT4_P12ihipStream_tbEUlT_E_NS1_11comp_targetILNS1_3genE5ELNS1_11target_archE942ELNS1_3gpuE9ELNS1_3repE0EEENS1_30default_config_static_selectorELNS0_4arch9wavefront6targetE1EEEvT1_.num_named_barrier, 0
	.set _ZN7rocprim17ROCPRIM_400000_NS6detail17trampoline_kernelINS0_14default_configENS1_35adjacent_difference_config_selectorILb1ElEEZNS1_24adjacent_difference_implIS3_Lb1ELb0EPlS7_ZN2at6native12_GLOBAL__N_124unique_dim_cuda_templateIN3c108BFloat16EEESt5tupleIJNS8_6TensorESF_SF_EERKSF_lbbbEUlllE1_EE10hipError_tPvRmT2_T3_mT4_P12ihipStream_tbEUlT_E_NS1_11comp_targetILNS1_3genE5ELNS1_11target_archE942ELNS1_3gpuE9ELNS1_3repE0EEENS1_30default_config_static_selectorELNS0_4arch9wavefront6targetE1EEEvT1_.private_seg_size, 0
	.set _ZN7rocprim17ROCPRIM_400000_NS6detail17trampoline_kernelINS0_14default_configENS1_35adjacent_difference_config_selectorILb1ElEEZNS1_24adjacent_difference_implIS3_Lb1ELb0EPlS7_ZN2at6native12_GLOBAL__N_124unique_dim_cuda_templateIN3c108BFloat16EEESt5tupleIJNS8_6TensorESF_SF_EERKSF_lbbbEUlllE1_EE10hipError_tPvRmT2_T3_mT4_P12ihipStream_tbEUlT_E_NS1_11comp_targetILNS1_3genE5ELNS1_11target_archE942ELNS1_3gpuE9ELNS1_3repE0EEENS1_30default_config_static_selectorELNS0_4arch9wavefront6targetE1EEEvT1_.uses_vcc, 0
	.set _ZN7rocprim17ROCPRIM_400000_NS6detail17trampoline_kernelINS0_14default_configENS1_35adjacent_difference_config_selectorILb1ElEEZNS1_24adjacent_difference_implIS3_Lb1ELb0EPlS7_ZN2at6native12_GLOBAL__N_124unique_dim_cuda_templateIN3c108BFloat16EEESt5tupleIJNS8_6TensorESF_SF_EERKSF_lbbbEUlllE1_EE10hipError_tPvRmT2_T3_mT4_P12ihipStream_tbEUlT_E_NS1_11comp_targetILNS1_3genE5ELNS1_11target_archE942ELNS1_3gpuE9ELNS1_3repE0EEENS1_30default_config_static_selectorELNS0_4arch9wavefront6targetE1EEEvT1_.uses_flat_scratch, 0
	.set _ZN7rocprim17ROCPRIM_400000_NS6detail17trampoline_kernelINS0_14default_configENS1_35adjacent_difference_config_selectorILb1ElEEZNS1_24adjacent_difference_implIS3_Lb1ELb0EPlS7_ZN2at6native12_GLOBAL__N_124unique_dim_cuda_templateIN3c108BFloat16EEESt5tupleIJNS8_6TensorESF_SF_EERKSF_lbbbEUlllE1_EE10hipError_tPvRmT2_T3_mT4_P12ihipStream_tbEUlT_E_NS1_11comp_targetILNS1_3genE5ELNS1_11target_archE942ELNS1_3gpuE9ELNS1_3repE0EEENS1_30default_config_static_selectorELNS0_4arch9wavefront6targetE1EEEvT1_.has_dyn_sized_stack, 0
	.set _ZN7rocprim17ROCPRIM_400000_NS6detail17trampoline_kernelINS0_14default_configENS1_35adjacent_difference_config_selectorILb1ElEEZNS1_24adjacent_difference_implIS3_Lb1ELb0EPlS7_ZN2at6native12_GLOBAL__N_124unique_dim_cuda_templateIN3c108BFloat16EEESt5tupleIJNS8_6TensorESF_SF_EERKSF_lbbbEUlllE1_EE10hipError_tPvRmT2_T3_mT4_P12ihipStream_tbEUlT_E_NS1_11comp_targetILNS1_3genE5ELNS1_11target_archE942ELNS1_3gpuE9ELNS1_3repE0EEENS1_30default_config_static_selectorELNS0_4arch9wavefront6targetE1EEEvT1_.has_recursion, 0
	.set _ZN7rocprim17ROCPRIM_400000_NS6detail17trampoline_kernelINS0_14default_configENS1_35adjacent_difference_config_selectorILb1ElEEZNS1_24adjacent_difference_implIS3_Lb1ELb0EPlS7_ZN2at6native12_GLOBAL__N_124unique_dim_cuda_templateIN3c108BFloat16EEESt5tupleIJNS8_6TensorESF_SF_EERKSF_lbbbEUlllE1_EE10hipError_tPvRmT2_T3_mT4_P12ihipStream_tbEUlT_E_NS1_11comp_targetILNS1_3genE5ELNS1_11target_archE942ELNS1_3gpuE9ELNS1_3repE0EEENS1_30default_config_static_selectorELNS0_4arch9wavefront6targetE1EEEvT1_.has_indirect_call, 0
	.section	.AMDGPU.csdata,"",@progbits
; Kernel info:
; codeLenInByte = 0
; TotalNumSgprs: 6
; NumVgprs: 0
; NumAgprs: 0
; TotalNumVgprs: 0
; ScratchSize: 0
; MemoryBound: 0
; FloatMode: 240
; IeeeMode: 1
; LDSByteSize: 0 bytes/workgroup (compile time only)
; SGPRBlocks: 0
; VGPRBlocks: 0
; NumSGPRsForWavesPerEU: 6
; NumVGPRsForWavesPerEU: 1
; AccumOffset: 4
; Occupancy: 8
; WaveLimiterHint : 0
; COMPUTE_PGM_RSRC2:SCRATCH_EN: 0
; COMPUTE_PGM_RSRC2:USER_SGPR: 2
; COMPUTE_PGM_RSRC2:TRAP_HANDLER: 0
; COMPUTE_PGM_RSRC2:TGID_X_EN: 1
; COMPUTE_PGM_RSRC2:TGID_Y_EN: 0
; COMPUTE_PGM_RSRC2:TGID_Z_EN: 0
; COMPUTE_PGM_RSRC2:TIDIG_COMP_CNT: 0
; COMPUTE_PGM_RSRC3_GFX90A:ACCUM_OFFSET: 0
; COMPUTE_PGM_RSRC3_GFX90A:TG_SPLIT: 0
	.section	.text._ZN7rocprim17ROCPRIM_400000_NS6detail17trampoline_kernelINS0_14default_configENS1_35adjacent_difference_config_selectorILb1ElEEZNS1_24adjacent_difference_implIS3_Lb1ELb0EPlS7_ZN2at6native12_GLOBAL__N_124unique_dim_cuda_templateIN3c108BFloat16EEESt5tupleIJNS8_6TensorESF_SF_EERKSF_lbbbEUlllE1_EE10hipError_tPvRmT2_T3_mT4_P12ihipStream_tbEUlT_E_NS1_11comp_targetILNS1_3genE4ELNS1_11target_archE910ELNS1_3gpuE8ELNS1_3repE0EEENS1_30default_config_static_selectorELNS0_4arch9wavefront6targetE1EEEvT1_,"axG",@progbits,_ZN7rocprim17ROCPRIM_400000_NS6detail17trampoline_kernelINS0_14default_configENS1_35adjacent_difference_config_selectorILb1ElEEZNS1_24adjacent_difference_implIS3_Lb1ELb0EPlS7_ZN2at6native12_GLOBAL__N_124unique_dim_cuda_templateIN3c108BFloat16EEESt5tupleIJNS8_6TensorESF_SF_EERKSF_lbbbEUlllE1_EE10hipError_tPvRmT2_T3_mT4_P12ihipStream_tbEUlT_E_NS1_11comp_targetILNS1_3genE4ELNS1_11target_archE910ELNS1_3gpuE8ELNS1_3repE0EEENS1_30default_config_static_selectorELNS0_4arch9wavefront6targetE1EEEvT1_,comdat
	.globl	_ZN7rocprim17ROCPRIM_400000_NS6detail17trampoline_kernelINS0_14default_configENS1_35adjacent_difference_config_selectorILb1ElEEZNS1_24adjacent_difference_implIS3_Lb1ELb0EPlS7_ZN2at6native12_GLOBAL__N_124unique_dim_cuda_templateIN3c108BFloat16EEESt5tupleIJNS8_6TensorESF_SF_EERKSF_lbbbEUlllE1_EE10hipError_tPvRmT2_T3_mT4_P12ihipStream_tbEUlT_E_NS1_11comp_targetILNS1_3genE4ELNS1_11target_archE910ELNS1_3gpuE8ELNS1_3repE0EEENS1_30default_config_static_selectorELNS0_4arch9wavefront6targetE1EEEvT1_ ; -- Begin function _ZN7rocprim17ROCPRIM_400000_NS6detail17trampoline_kernelINS0_14default_configENS1_35adjacent_difference_config_selectorILb1ElEEZNS1_24adjacent_difference_implIS3_Lb1ELb0EPlS7_ZN2at6native12_GLOBAL__N_124unique_dim_cuda_templateIN3c108BFloat16EEESt5tupleIJNS8_6TensorESF_SF_EERKSF_lbbbEUlllE1_EE10hipError_tPvRmT2_T3_mT4_P12ihipStream_tbEUlT_E_NS1_11comp_targetILNS1_3genE4ELNS1_11target_archE910ELNS1_3gpuE8ELNS1_3repE0EEENS1_30default_config_static_selectorELNS0_4arch9wavefront6targetE1EEEvT1_
	.p2align	8
	.type	_ZN7rocprim17ROCPRIM_400000_NS6detail17trampoline_kernelINS0_14default_configENS1_35adjacent_difference_config_selectorILb1ElEEZNS1_24adjacent_difference_implIS3_Lb1ELb0EPlS7_ZN2at6native12_GLOBAL__N_124unique_dim_cuda_templateIN3c108BFloat16EEESt5tupleIJNS8_6TensorESF_SF_EERKSF_lbbbEUlllE1_EE10hipError_tPvRmT2_T3_mT4_P12ihipStream_tbEUlT_E_NS1_11comp_targetILNS1_3genE4ELNS1_11target_archE910ELNS1_3gpuE8ELNS1_3repE0EEENS1_30default_config_static_selectorELNS0_4arch9wavefront6targetE1EEEvT1_,@function
_ZN7rocprim17ROCPRIM_400000_NS6detail17trampoline_kernelINS0_14default_configENS1_35adjacent_difference_config_selectorILb1ElEEZNS1_24adjacent_difference_implIS3_Lb1ELb0EPlS7_ZN2at6native12_GLOBAL__N_124unique_dim_cuda_templateIN3c108BFloat16EEESt5tupleIJNS8_6TensorESF_SF_EERKSF_lbbbEUlllE1_EE10hipError_tPvRmT2_T3_mT4_P12ihipStream_tbEUlT_E_NS1_11comp_targetILNS1_3genE4ELNS1_11target_archE910ELNS1_3gpuE8ELNS1_3repE0EEENS1_30default_config_static_selectorELNS0_4arch9wavefront6targetE1EEEvT1_: ; @_ZN7rocprim17ROCPRIM_400000_NS6detail17trampoline_kernelINS0_14default_configENS1_35adjacent_difference_config_selectorILb1ElEEZNS1_24adjacent_difference_implIS3_Lb1ELb0EPlS7_ZN2at6native12_GLOBAL__N_124unique_dim_cuda_templateIN3c108BFloat16EEESt5tupleIJNS8_6TensorESF_SF_EERKSF_lbbbEUlllE1_EE10hipError_tPvRmT2_T3_mT4_P12ihipStream_tbEUlT_E_NS1_11comp_targetILNS1_3genE4ELNS1_11target_archE910ELNS1_3gpuE8ELNS1_3repE0EEENS1_30default_config_static_selectorELNS0_4arch9wavefront6targetE1EEEvT1_
; %bb.0:
	.section	.rodata,"a",@progbits
	.p2align	6, 0x0
	.amdhsa_kernel _ZN7rocprim17ROCPRIM_400000_NS6detail17trampoline_kernelINS0_14default_configENS1_35adjacent_difference_config_selectorILb1ElEEZNS1_24adjacent_difference_implIS3_Lb1ELb0EPlS7_ZN2at6native12_GLOBAL__N_124unique_dim_cuda_templateIN3c108BFloat16EEESt5tupleIJNS8_6TensorESF_SF_EERKSF_lbbbEUlllE1_EE10hipError_tPvRmT2_T3_mT4_P12ihipStream_tbEUlT_E_NS1_11comp_targetILNS1_3genE4ELNS1_11target_archE910ELNS1_3gpuE8ELNS1_3repE0EEENS1_30default_config_static_selectorELNS0_4arch9wavefront6targetE1EEEvT1_
		.amdhsa_group_segment_fixed_size 0
		.amdhsa_private_segment_fixed_size 0
		.amdhsa_kernarg_size 64
		.amdhsa_user_sgpr_count 2
		.amdhsa_user_sgpr_dispatch_ptr 0
		.amdhsa_user_sgpr_queue_ptr 0
		.amdhsa_user_sgpr_kernarg_segment_ptr 1
		.amdhsa_user_sgpr_dispatch_id 0
		.amdhsa_user_sgpr_kernarg_preload_length 0
		.amdhsa_user_sgpr_kernarg_preload_offset 0
		.amdhsa_user_sgpr_private_segment_size 0
		.amdhsa_uses_dynamic_stack 0
		.amdhsa_enable_private_segment 0
		.amdhsa_system_sgpr_workgroup_id_x 1
		.amdhsa_system_sgpr_workgroup_id_y 0
		.amdhsa_system_sgpr_workgroup_id_z 0
		.amdhsa_system_sgpr_workgroup_info 0
		.amdhsa_system_vgpr_workitem_id 0
		.amdhsa_next_free_vgpr 1
		.amdhsa_next_free_sgpr 0
		.amdhsa_accum_offset 4
		.amdhsa_reserve_vcc 0
		.amdhsa_float_round_mode_32 0
		.amdhsa_float_round_mode_16_64 0
		.amdhsa_float_denorm_mode_32 3
		.amdhsa_float_denorm_mode_16_64 3
		.amdhsa_dx10_clamp 1
		.amdhsa_ieee_mode 1
		.amdhsa_fp16_overflow 0
		.amdhsa_tg_split 0
		.amdhsa_exception_fp_ieee_invalid_op 0
		.amdhsa_exception_fp_denorm_src 0
		.amdhsa_exception_fp_ieee_div_zero 0
		.amdhsa_exception_fp_ieee_overflow 0
		.amdhsa_exception_fp_ieee_underflow 0
		.amdhsa_exception_fp_ieee_inexact 0
		.amdhsa_exception_int_div_zero 0
	.end_amdhsa_kernel
	.section	.text._ZN7rocprim17ROCPRIM_400000_NS6detail17trampoline_kernelINS0_14default_configENS1_35adjacent_difference_config_selectorILb1ElEEZNS1_24adjacent_difference_implIS3_Lb1ELb0EPlS7_ZN2at6native12_GLOBAL__N_124unique_dim_cuda_templateIN3c108BFloat16EEESt5tupleIJNS8_6TensorESF_SF_EERKSF_lbbbEUlllE1_EE10hipError_tPvRmT2_T3_mT4_P12ihipStream_tbEUlT_E_NS1_11comp_targetILNS1_3genE4ELNS1_11target_archE910ELNS1_3gpuE8ELNS1_3repE0EEENS1_30default_config_static_selectorELNS0_4arch9wavefront6targetE1EEEvT1_,"axG",@progbits,_ZN7rocprim17ROCPRIM_400000_NS6detail17trampoline_kernelINS0_14default_configENS1_35adjacent_difference_config_selectorILb1ElEEZNS1_24adjacent_difference_implIS3_Lb1ELb0EPlS7_ZN2at6native12_GLOBAL__N_124unique_dim_cuda_templateIN3c108BFloat16EEESt5tupleIJNS8_6TensorESF_SF_EERKSF_lbbbEUlllE1_EE10hipError_tPvRmT2_T3_mT4_P12ihipStream_tbEUlT_E_NS1_11comp_targetILNS1_3genE4ELNS1_11target_archE910ELNS1_3gpuE8ELNS1_3repE0EEENS1_30default_config_static_selectorELNS0_4arch9wavefront6targetE1EEEvT1_,comdat
.Lfunc_end1169:
	.size	_ZN7rocprim17ROCPRIM_400000_NS6detail17trampoline_kernelINS0_14default_configENS1_35adjacent_difference_config_selectorILb1ElEEZNS1_24adjacent_difference_implIS3_Lb1ELb0EPlS7_ZN2at6native12_GLOBAL__N_124unique_dim_cuda_templateIN3c108BFloat16EEESt5tupleIJNS8_6TensorESF_SF_EERKSF_lbbbEUlllE1_EE10hipError_tPvRmT2_T3_mT4_P12ihipStream_tbEUlT_E_NS1_11comp_targetILNS1_3genE4ELNS1_11target_archE910ELNS1_3gpuE8ELNS1_3repE0EEENS1_30default_config_static_selectorELNS0_4arch9wavefront6targetE1EEEvT1_, .Lfunc_end1169-_ZN7rocprim17ROCPRIM_400000_NS6detail17trampoline_kernelINS0_14default_configENS1_35adjacent_difference_config_selectorILb1ElEEZNS1_24adjacent_difference_implIS3_Lb1ELb0EPlS7_ZN2at6native12_GLOBAL__N_124unique_dim_cuda_templateIN3c108BFloat16EEESt5tupleIJNS8_6TensorESF_SF_EERKSF_lbbbEUlllE1_EE10hipError_tPvRmT2_T3_mT4_P12ihipStream_tbEUlT_E_NS1_11comp_targetILNS1_3genE4ELNS1_11target_archE910ELNS1_3gpuE8ELNS1_3repE0EEENS1_30default_config_static_selectorELNS0_4arch9wavefront6targetE1EEEvT1_
                                        ; -- End function
	.set _ZN7rocprim17ROCPRIM_400000_NS6detail17trampoline_kernelINS0_14default_configENS1_35adjacent_difference_config_selectorILb1ElEEZNS1_24adjacent_difference_implIS3_Lb1ELb0EPlS7_ZN2at6native12_GLOBAL__N_124unique_dim_cuda_templateIN3c108BFloat16EEESt5tupleIJNS8_6TensorESF_SF_EERKSF_lbbbEUlllE1_EE10hipError_tPvRmT2_T3_mT4_P12ihipStream_tbEUlT_E_NS1_11comp_targetILNS1_3genE4ELNS1_11target_archE910ELNS1_3gpuE8ELNS1_3repE0EEENS1_30default_config_static_selectorELNS0_4arch9wavefront6targetE1EEEvT1_.num_vgpr, 0
	.set _ZN7rocprim17ROCPRIM_400000_NS6detail17trampoline_kernelINS0_14default_configENS1_35adjacent_difference_config_selectorILb1ElEEZNS1_24adjacent_difference_implIS3_Lb1ELb0EPlS7_ZN2at6native12_GLOBAL__N_124unique_dim_cuda_templateIN3c108BFloat16EEESt5tupleIJNS8_6TensorESF_SF_EERKSF_lbbbEUlllE1_EE10hipError_tPvRmT2_T3_mT4_P12ihipStream_tbEUlT_E_NS1_11comp_targetILNS1_3genE4ELNS1_11target_archE910ELNS1_3gpuE8ELNS1_3repE0EEENS1_30default_config_static_selectorELNS0_4arch9wavefront6targetE1EEEvT1_.num_agpr, 0
	.set _ZN7rocprim17ROCPRIM_400000_NS6detail17trampoline_kernelINS0_14default_configENS1_35adjacent_difference_config_selectorILb1ElEEZNS1_24adjacent_difference_implIS3_Lb1ELb0EPlS7_ZN2at6native12_GLOBAL__N_124unique_dim_cuda_templateIN3c108BFloat16EEESt5tupleIJNS8_6TensorESF_SF_EERKSF_lbbbEUlllE1_EE10hipError_tPvRmT2_T3_mT4_P12ihipStream_tbEUlT_E_NS1_11comp_targetILNS1_3genE4ELNS1_11target_archE910ELNS1_3gpuE8ELNS1_3repE0EEENS1_30default_config_static_selectorELNS0_4arch9wavefront6targetE1EEEvT1_.numbered_sgpr, 0
	.set _ZN7rocprim17ROCPRIM_400000_NS6detail17trampoline_kernelINS0_14default_configENS1_35adjacent_difference_config_selectorILb1ElEEZNS1_24adjacent_difference_implIS3_Lb1ELb0EPlS7_ZN2at6native12_GLOBAL__N_124unique_dim_cuda_templateIN3c108BFloat16EEESt5tupleIJNS8_6TensorESF_SF_EERKSF_lbbbEUlllE1_EE10hipError_tPvRmT2_T3_mT4_P12ihipStream_tbEUlT_E_NS1_11comp_targetILNS1_3genE4ELNS1_11target_archE910ELNS1_3gpuE8ELNS1_3repE0EEENS1_30default_config_static_selectorELNS0_4arch9wavefront6targetE1EEEvT1_.num_named_barrier, 0
	.set _ZN7rocprim17ROCPRIM_400000_NS6detail17trampoline_kernelINS0_14default_configENS1_35adjacent_difference_config_selectorILb1ElEEZNS1_24adjacent_difference_implIS3_Lb1ELb0EPlS7_ZN2at6native12_GLOBAL__N_124unique_dim_cuda_templateIN3c108BFloat16EEESt5tupleIJNS8_6TensorESF_SF_EERKSF_lbbbEUlllE1_EE10hipError_tPvRmT2_T3_mT4_P12ihipStream_tbEUlT_E_NS1_11comp_targetILNS1_3genE4ELNS1_11target_archE910ELNS1_3gpuE8ELNS1_3repE0EEENS1_30default_config_static_selectorELNS0_4arch9wavefront6targetE1EEEvT1_.private_seg_size, 0
	.set _ZN7rocprim17ROCPRIM_400000_NS6detail17trampoline_kernelINS0_14default_configENS1_35adjacent_difference_config_selectorILb1ElEEZNS1_24adjacent_difference_implIS3_Lb1ELb0EPlS7_ZN2at6native12_GLOBAL__N_124unique_dim_cuda_templateIN3c108BFloat16EEESt5tupleIJNS8_6TensorESF_SF_EERKSF_lbbbEUlllE1_EE10hipError_tPvRmT2_T3_mT4_P12ihipStream_tbEUlT_E_NS1_11comp_targetILNS1_3genE4ELNS1_11target_archE910ELNS1_3gpuE8ELNS1_3repE0EEENS1_30default_config_static_selectorELNS0_4arch9wavefront6targetE1EEEvT1_.uses_vcc, 0
	.set _ZN7rocprim17ROCPRIM_400000_NS6detail17trampoline_kernelINS0_14default_configENS1_35adjacent_difference_config_selectorILb1ElEEZNS1_24adjacent_difference_implIS3_Lb1ELb0EPlS7_ZN2at6native12_GLOBAL__N_124unique_dim_cuda_templateIN3c108BFloat16EEESt5tupleIJNS8_6TensorESF_SF_EERKSF_lbbbEUlllE1_EE10hipError_tPvRmT2_T3_mT4_P12ihipStream_tbEUlT_E_NS1_11comp_targetILNS1_3genE4ELNS1_11target_archE910ELNS1_3gpuE8ELNS1_3repE0EEENS1_30default_config_static_selectorELNS0_4arch9wavefront6targetE1EEEvT1_.uses_flat_scratch, 0
	.set _ZN7rocprim17ROCPRIM_400000_NS6detail17trampoline_kernelINS0_14default_configENS1_35adjacent_difference_config_selectorILb1ElEEZNS1_24adjacent_difference_implIS3_Lb1ELb0EPlS7_ZN2at6native12_GLOBAL__N_124unique_dim_cuda_templateIN3c108BFloat16EEESt5tupleIJNS8_6TensorESF_SF_EERKSF_lbbbEUlllE1_EE10hipError_tPvRmT2_T3_mT4_P12ihipStream_tbEUlT_E_NS1_11comp_targetILNS1_3genE4ELNS1_11target_archE910ELNS1_3gpuE8ELNS1_3repE0EEENS1_30default_config_static_selectorELNS0_4arch9wavefront6targetE1EEEvT1_.has_dyn_sized_stack, 0
	.set _ZN7rocprim17ROCPRIM_400000_NS6detail17trampoline_kernelINS0_14default_configENS1_35adjacent_difference_config_selectorILb1ElEEZNS1_24adjacent_difference_implIS3_Lb1ELb0EPlS7_ZN2at6native12_GLOBAL__N_124unique_dim_cuda_templateIN3c108BFloat16EEESt5tupleIJNS8_6TensorESF_SF_EERKSF_lbbbEUlllE1_EE10hipError_tPvRmT2_T3_mT4_P12ihipStream_tbEUlT_E_NS1_11comp_targetILNS1_3genE4ELNS1_11target_archE910ELNS1_3gpuE8ELNS1_3repE0EEENS1_30default_config_static_selectorELNS0_4arch9wavefront6targetE1EEEvT1_.has_recursion, 0
	.set _ZN7rocprim17ROCPRIM_400000_NS6detail17trampoline_kernelINS0_14default_configENS1_35adjacent_difference_config_selectorILb1ElEEZNS1_24adjacent_difference_implIS3_Lb1ELb0EPlS7_ZN2at6native12_GLOBAL__N_124unique_dim_cuda_templateIN3c108BFloat16EEESt5tupleIJNS8_6TensorESF_SF_EERKSF_lbbbEUlllE1_EE10hipError_tPvRmT2_T3_mT4_P12ihipStream_tbEUlT_E_NS1_11comp_targetILNS1_3genE4ELNS1_11target_archE910ELNS1_3gpuE8ELNS1_3repE0EEENS1_30default_config_static_selectorELNS0_4arch9wavefront6targetE1EEEvT1_.has_indirect_call, 0
	.section	.AMDGPU.csdata,"",@progbits
; Kernel info:
; codeLenInByte = 0
; TotalNumSgprs: 6
; NumVgprs: 0
; NumAgprs: 0
; TotalNumVgprs: 0
; ScratchSize: 0
; MemoryBound: 0
; FloatMode: 240
; IeeeMode: 1
; LDSByteSize: 0 bytes/workgroup (compile time only)
; SGPRBlocks: 0
; VGPRBlocks: 0
; NumSGPRsForWavesPerEU: 6
; NumVGPRsForWavesPerEU: 1
; AccumOffset: 4
; Occupancy: 8
; WaveLimiterHint : 0
; COMPUTE_PGM_RSRC2:SCRATCH_EN: 0
; COMPUTE_PGM_RSRC2:USER_SGPR: 2
; COMPUTE_PGM_RSRC2:TRAP_HANDLER: 0
; COMPUTE_PGM_RSRC2:TGID_X_EN: 1
; COMPUTE_PGM_RSRC2:TGID_Y_EN: 0
; COMPUTE_PGM_RSRC2:TGID_Z_EN: 0
; COMPUTE_PGM_RSRC2:TIDIG_COMP_CNT: 0
; COMPUTE_PGM_RSRC3_GFX90A:ACCUM_OFFSET: 0
; COMPUTE_PGM_RSRC3_GFX90A:TG_SPLIT: 0
	.section	.text._ZN7rocprim17ROCPRIM_400000_NS6detail17trampoline_kernelINS0_14default_configENS1_35adjacent_difference_config_selectorILb1ElEEZNS1_24adjacent_difference_implIS3_Lb1ELb0EPlS7_ZN2at6native12_GLOBAL__N_124unique_dim_cuda_templateIN3c108BFloat16EEESt5tupleIJNS8_6TensorESF_SF_EERKSF_lbbbEUlllE1_EE10hipError_tPvRmT2_T3_mT4_P12ihipStream_tbEUlT_E_NS1_11comp_targetILNS1_3genE3ELNS1_11target_archE908ELNS1_3gpuE7ELNS1_3repE0EEENS1_30default_config_static_selectorELNS0_4arch9wavefront6targetE1EEEvT1_,"axG",@progbits,_ZN7rocprim17ROCPRIM_400000_NS6detail17trampoline_kernelINS0_14default_configENS1_35adjacent_difference_config_selectorILb1ElEEZNS1_24adjacent_difference_implIS3_Lb1ELb0EPlS7_ZN2at6native12_GLOBAL__N_124unique_dim_cuda_templateIN3c108BFloat16EEESt5tupleIJNS8_6TensorESF_SF_EERKSF_lbbbEUlllE1_EE10hipError_tPvRmT2_T3_mT4_P12ihipStream_tbEUlT_E_NS1_11comp_targetILNS1_3genE3ELNS1_11target_archE908ELNS1_3gpuE7ELNS1_3repE0EEENS1_30default_config_static_selectorELNS0_4arch9wavefront6targetE1EEEvT1_,comdat
	.globl	_ZN7rocprim17ROCPRIM_400000_NS6detail17trampoline_kernelINS0_14default_configENS1_35adjacent_difference_config_selectorILb1ElEEZNS1_24adjacent_difference_implIS3_Lb1ELb0EPlS7_ZN2at6native12_GLOBAL__N_124unique_dim_cuda_templateIN3c108BFloat16EEESt5tupleIJNS8_6TensorESF_SF_EERKSF_lbbbEUlllE1_EE10hipError_tPvRmT2_T3_mT4_P12ihipStream_tbEUlT_E_NS1_11comp_targetILNS1_3genE3ELNS1_11target_archE908ELNS1_3gpuE7ELNS1_3repE0EEENS1_30default_config_static_selectorELNS0_4arch9wavefront6targetE1EEEvT1_ ; -- Begin function _ZN7rocprim17ROCPRIM_400000_NS6detail17trampoline_kernelINS0_14default_configENS1_35adjacent_difference_config_selectorILb1ElEEZNS1_24adjacent_difference_implIS3_Lb1ELb0EPlS7_ZN2at6native12_GLOBAL__N_124unique_dim_cuda_templateIN3c108BFloat16EEESt5tupleIJNS8_6TensorESF_SF_EERKSF_lbbbEUlllE1_EE10hipError_tPvRmT2_T3_mT4_P12ihipStream_tbEUlT_E_NS1_11comp_targetILNS1_3genE3ELNS1_11target_archE908ELNS1_3gpuE7ELNS1_3repE0EEENS1_30default_config_static_selectorELNS0_4arch9wavefront6targetE1EEEvT1_
	.p2align	8
	.type	_ZN7rocprim17ROCPRIM_400000_NS6detail17trampoline_kernelINS0_14default_configENS1_35adjacent_difference_config_selectorILb1ElEEZNS1_24adjacent_difference_implIS3_Lb1ELb0EPlS7_ZN2at6native12_GLOBAL__N_124unique_dim_cuda_templateIN3c108BFloat16EEESt5tupleIJNS8_6TensorESF_SF_EERKSF_lbbbEUlllE1_EE10hipError_tPvRmT2_T3_mT4_P12ihipStream_tbEUlT_E_NS1_11comp_targetILNS1_3genE3ELNS1_11target_archE908ELNS1_3gpuE7ELNS1_3repE0EEENS1_30default_config_static_selectorELNS0_4arch9wavefront6targetE1EEEvT1_,@function
_ZN7rocprim17ROCPRIM_400000_NS6detail17trampoline_kernelINS0_14default_configENS1_35adjacent_difference_config_selectorILb1ElEEZNS1_24adjacent_difference_implIS3_Lb1ELb0EPlS7_ZN2at6native12_GLOBAL__N_124unique_dim_cuda_templateIN3c108BFloat16EEESt5tupleIJNS8_6TensorESF_SF_EERKSF_lbbbEUlllE1_EE10hipError_tPvRmT2_T3_mT4_P12ihipStream_tbEUlT_E_NS1_11comp_targetILNS1_3genE3ELNS1_11target_archE908ELNS1_3gpuE7ELNS1_3repE0EEENS1_30default_config_static_selectorELNS0_4arch9wavefront6targetE1EEEvT1_: ; @_ZN7rocprim17ROCPRIM_400000_NS6detail17trampoline_kernelINS0_14default_configENS1_35adjacent_difference_config_selectorILb1ElEEZNS1_24adjacent_difference_implIS3_Lb1ELb0EPlS7_ZN2at6native12_GLOBAL__N_124unique_dim_cuda_templateIN3c108BFloat16EEESt5tupleIJNS8_6TensorESF_SF_EERKSF_lbbbEUlllE1_EE10hipError_tPvRmT2_T3_mT4_P12ihipStream_tbEUlT_E_NS1_11comp_targetILNS1_3genE3ELNS1_11target_archE908ELNS1_3gpuE7ELNS1_3repE0EEENS1_30default_config_static_selectorELNS0_4arch9wavefront6targetE1EEEvT1_
; %bb.0:
	.section	.rodata,"a",@progbits
	.p2align	6, 0x0
	.amdhsa_kernel _ZN7rocprim17ROCPRIM_400000_NS6detail17trampoline_kernelINS0_14default_configENS1_35adjacent_difference_config_selectorILb1ElEEZNS1_24adjacent_difference_implIS3_Lb1ELb0EPlS7_ZN2at6native12_GLOBAL__N_124unique_dim_cuda_templateIN3c108BFloat16EEESt5tupleIJNS8_6TensorESF_SF_EERKSF_lbbbEUlllE1_EE10hipError_tPvRmT2_T3_mT4_P12ihipStream_tbEUlT_E_NS1_11comp_targetILNS1_3genE3ELNS1_11target_archE908ELNS1_3gpuE7ELNS1_3repE0EEENS1_30default_config_static_selectorELNS0_4arch9wavefront6targetE1EEEvT1_
		.amdhsa_group_segment_fixed_size 0
		.amdhsa_private_segment_fixed_size 0
		.amdhsa_kernarg_size 64
		.amdhsa_user_sgpr_count 2
		.amdhsa_user_sgpr_dispatch_ptr 0
		.amdhsa_user_sgpr_queue_ptr 0
		.amdhsa_user_sgpr_kernarg_segment_ptr 1
		.amdhsa_user_sgpr_dispatch_id 0
		.amdhsa_user_sgpr_kernarg_preload_length 0
		.amdhsa_user_sgpr_kernarg_preload_offset 0
		.amdhsa_user_sgpr_private_segment_size 0
		.amdhsa_uses_dynamic_stack 0
		.amdhsa_enable_private_segment 0
		.amdhsa_system_sgpr_workgroup_id_x 1
		.amdhsa_system_sgpr_workgroup_id_y 0
		.amdhsa_system_sgpr_workgroup_id_z 0
		.amdhsa_system_sgpr_workgroup_info 0
		.amdhsa_system_vgpr_workitem_id 0
		.amdhsa_next_free_vgpr 1
		.amdhsa_next_free_sgpr 0
		.amdhsa_accum_offset 4
		.amdhsa_reserve_vcc 0
		.amdhsa_float_round_mode_32 0
		.amdhsa_float_round_mode_16_64 0
		.amdhsa_float_denorm_mode_32 3
		.amdhsa_float_denorm_mode_16_64 3
		.amdhsa_dx10_clamp 1
		.amdhsa_ieee_mode 1
		.amdhsa_fp16_overflow 0
		.amdhsa_tg_split 0
		.amdhsa_exception_fp_ieee_invalid_op 0
		.amdhsa_exception_fp_denorm_src 0
		.amdhsa_exception_fp_ieee_div_zero 0
		.amdhsa_exception_fp_ieee_overflow 0
		.amdhsa_exception_fp_ieee_underflow 0
		.amdhsa_exception_fp_ieee_inexact 0
		.amdhsa_exception_int_div_zero 0
	.end_amdhsa_kernel
	.section	.text._ZN7rocprim17ROCPRIM_400000_NS6detail17trampoline_kernelINS0_14default_configENS1_35adjacent_difference_config_selectorILb1ElEEZNS1_24adjacent_difference_implIS3_Lb1ELb0EPlS7_ZN2at6native12_GLOBAL__N_124unique_dim_cuda_templateIN3c108BFloat16EEESt5tupleIJNS8_6TensorESF_SF_EERKSF_lbbbEUlllE1_EE10hipError_tPvRmT2_T3_mT4_P12ihipStream_tbEUlT_E_NS1_11comp_targetILNS1_3genE3ELNS1_11target_archE908ELNS1_3gpuE7ELNS1_3repE0EEENS1_30default_config_static_selectorELNS0_4arch9wavefront6targetE1EEEvT1_,"axG",@progbits,_ZN7rocprim17ROCPRIM_400000_NS6detail17trampoline_kernelINS0_14default_configENS1_35adjacent_difference_config_selectorILb1ElEEZNS1_24adjacent_difference_implIS3_Lb1ELb0EPlS7_ZN2at6native12_GLOBAL__N_124unique_dim_cuda_templateIN3c108BFloat16EEESt5tupleIJNS8_6TensorESF_SF_EERKSF_lbbbEUlllE1_EE10hipError_tPvRmT2_T3_mT4_P12ihipStream_tbEUlT_E_NS1_11comp_targetILNS1_3genE3ELNS1_11target_archE908ELNS1_3gpuE7ELNS1_3repE0EEENS1_30default_config_static_selectorELNS0_4arch9wavefront6targetE1EEEvT1_,comdat
.Lfunc_end1170:
	.size	_ZN7rocprim17ROCPRIM_400000_NS6detail17trampoline_kernelINS0_14default_configENS1_35adjacent_difference_config_selectorILb1ElEEZNS1_24adjacent_difference_implIS3_Lb1ELb0EPlS7_ZN2at6native12_GLOBAL__N_124unique_dim_cuda_templateIN3c108BFloat16EEESt5tupleIJNS8_6TensorESF_SF_EERKSF_lbbbEUlllE1_EE10hipError_tPvRmT2_T3_mT4_P12ihipStream_tbEUlT_E_NS1_11comp_targetILNS1_3genE3ELNS1_11target_archE908ELNS1_3gpuE7ELNS1_3repE0EEENS1_30default_config_static_selectorELNS0_4arch9wavefront6targetE1EEEvT1_, .Lfunc_end1170-_ZN7rocprim17ROCPRIM_400000_NS6detail17trampoline_kernelINS0_14default_configENS1_35adjacent_difference_config_selectorILb1ElEEZNS1_24adjacent_difference_implIS3_Lb1ELb0EPlS7_ZN2at6native12_GLOBAL__N_124unique_dim_cuda_templateIN3c108BFloat16EEESt5tupleIJNS8_6TensorESF_SF_EERKSF_lbbbEUlllE1_EE10hipError_tPvRmT2_T3_mT4_P12ihipStream_tbEUlT_E_NS1_11comp_targetILNS1_3genE3ELNS1_11target_archE908ELNS1_3gpuE7ELNS1_3repE0EEENS1_30default_config_static_selectorELNS0_4arch9wavefront6targetE1EEEvT1_
                                        ; -- End function
	.set _ZN7rocprim17ROCPRIM_400000_NS6detail17trampoline_kernelINS0_14default_configENS1_35adjacent_difference_config_selectorILb1ElEEZNS1_24adjacent_difference_implIS3_Lb1ELb0EPlS7_ZN2at6native12_GLOBAL__N_124unique_dim_cuda_templateIN3c108BFloat16EEESt5tupleIJNS8_6TensorESF_SF_EERKSF_lbbbEUlllE1_EE10hipError_tPvRmT2_T3_mT4_P12ihipStream_tbEUlT_E_NS1_11comp_targetILNS1_3genE3ELNS1_11target_archE908ELNS1_3gpuE7ELNS1_3repE0EEENS1_30default_config_static_selectorELNS0_4arch9wavefront6targetE1EEEvT1_.num_vgpr, 0
	.set _ZN7rocprim17ROCPRIM_400000_NS6detail17trampoline_kernelINS0_14default_configENS1_35adjacent_difference_config_selectorILb1ElEEZNS1_24adjacent_difference_implIS3_Lb1ELb0EPlS7_ZN2at6native12_GLOBAL__N_124unique_dim_cuda_templateIN3c108BFloat16EEESt5tupleIJNS8_6TensorESF_SF_EERKSF_lbbbEUlllE1_EE10hipError_tPvRmT2_T3_mT4_P12ihipStream_tbEUlT_E_NS1_11comp_targetILNS1_3genE3ELNS1_11target_archE908ELNS1_3gpuE7ELNS1_3repE0EEENS1_30default_config_static_selectorELNS0_4arch9wavefront6targetE1EEEvT1_.num_agpr, 0
	.set _ZN7rocprim17ROCPRIM_400000_NS6detail17trampoline_kernelINS0_14default_configENS1_35adjacent_difference_config_selectorILb1ElEEZNS1_24adjacent_difference_implIS3_Lb1ELb0EPlS7_ZN2at6native12_GLOBAL__N_124unique_dim_cuda_templateIN3c108BFloat16EEESt5tupleIJNS8_6TensorESF_SF_EERKSF_lbbbEUlllE1_EE10hipError_tPvRmT2_T3_mT4_P12ihipStream_tbEUlT_E_NS1_11comp_targetILNS1_3genE3ELNS1_11target_archE908ELNS1_3gpuE7ELNS1_3repE0EEENS1_30default_config_static_selectorELNS0_4arch9wavefront6targetE1EEEvT1_.numbered_sgpr, 0
	.set _ZN7rocprim17ROCPRIM_400000_NS6detail17trampoline_kernelINS0_14default_configENS1_35adjacent_difference_config_selectorILb1ElEEZNS1_24adjacent_difference_implIS3_Lb1ELb0EPlS7_ZN2at6native12_GLOBAL__N_124unique_dim_cuda_templateIN3c108BFloat16EEESt5tupleIJNS8_6TensorESF_SF_EERKSF_lbbbEUlllE1_EE10hipError_tPvRmT2_T3_mT4_P12ihipStream_tbEUlT_E_NS1_11comp_targetILNS1_3genE3ELNS1_11target_archE908ELNS1_3gpuE7ELNS1_3repE0EEENS1_30default_config_static_selectorELNS0_4arch9wavefront6targetE1EEEvT1_.num_named_barrier, 0
	.set _ZN7rocprim17ROCPRIM_400000_NS6detail17trampoline_kernelINS0_14default_configENS1_35adjacent_difference_config_selectorILb1ElEEZNS1_24adjacent_difference_implIS3_Lb1ELb0EPlS7_ZN2at6native12_GLOBAL__N_124unique_dim_cuda_templateIN3c108BFloat16EEESt5tupleIJNS8_6TensorESF_SF_EERKSF_lbbbEUlllE1_EE10hipError_tPvRmT2_T3_mT4_P12ihipStream_tbEUlT_E_NS1_11comp_targetILNS1_3genE3ELNS1_11target_archE908ELNS1_3gpuE7ELNS1_3repE0EEENS1_30default_config_static_selectorELNS0_4arch9wavefront6targetE1EEEvT1_.private_seg_size, 0
	.set _ZN7rocprim17ROCPRIM_400000_NS6detail17trampoline_kernelINS0_14default_configENS1_35adjacent_difference_config_selectorILb1ElEEZNS1_24adjacent_difference_implIS3_Lb1ELb0EPlS7_ZN2at6native12_GLOBAL__N_124unique_dim_cuda_templateIN3c108BFloat16EEESt5tupleIJNS8_6TensorESF_SF_EERKSF_lbbbEUlllE1_EE10hipError_tPvRmT2_T3_mT4_P12ihipStream_tbEUlT_E_NS1_11comp_targetILNS1_3genE3ELNS1_11target_archE908ELNS1_3gpuE7ELNS1_3repE0EEENS1_30default_config_static_selectorELNS0_4arch9wavefront6targetE1EEEvT1_.uses_vcc, 0
	.set _ZN7rocprim17ROCPRIM_400000_NS6detail17trampoline_kernelINS0_14default_configENS1_35adjacent_difference_config_selectorILb1ElEEZNS1_24adjacent_difference_implIS3_Lb1ELb0EPlS7_ZN2at6native12_GLOBAL__N_124unique_dim_cuda_templateIN3c108BFloat16EEESt5tupleIJNS8_6TensorESF_SF_EERKSF_lbbbEUlllE1_EE10hipError_tPvRmT2_T3_mT4_P12ihipStream_tbEUlT_E_NS1_11comp_targetILNS1_3genE3ELNS1_11target_archE908ELNS1_3gpuE7ELNS1_3repE0EEENS1_30default_config_static_selectorELNS0_4arch9wavefront6targetE1EEEvT1_.uses_flat_scratch, 0
	.set _ZN7rocprim17ROCPRIM_400000_NS6detail17trampoline_kernelINS0_14default_configENS1_35adjacent_difference_config_selectorILb1ElEEZNS1_24adjacent_difference_implIS3_Lb1ELb0EPlS7_ZN2at6native12_GLOBAL__N_124unique_dim_cuda_templateIN3c108BFloat16EEESt5tupleIJNS8_6TensorESF_SF_EERKSF_lbbbEUlllE1_EE10hipError_tPvRmT2_T3_mT4_P12ihipStream_tbEUlT_E_NS1_11comp_targetILNS1_3genE3ELNS1_11target_archE908ELNS1_3gpuE7ELNS1_3repE0EEENS1_30default_config_static_selectorELNS0_4arch9wavefront6targetE1EEEvT1_.has_dyn_sized_stack, 0
	.set _ZN7rocprim17ROCPRIM_400000_NS6detail17trampoline_kernelINS0_14default_configENS1_35adjacent_difference_config_selectorILb1ElEEZNS1_24adjacent_difference_implIS3_Lb1ELb0EPlS7_ZN2at6native12_GLOBAL__N_124unique_dim_cuda_templateIN3c108BFloat16EEESt5tupleIJNS8_6TensorESF_SF_EERKSF_lbbbEUlllE1_EE10hipError_tPvRmT2_T3_mT4_P12ihipStream_tbEUlT_E_NS1_11comp_targetILNS1_3genE3ELNS1_11target_archE908ELNS1_3gpuE7ELNS1_3repE0EEENS1_30default_config_static_selectorELNS0_4arch9wavefront6targetE1EEEvT1_.has_recursion, 0
	.set _ZN7rocprim17ROCPRIM_400000_NS6detail17trampoline_kernelINS0_14default_configENS1_35adjacent_difference_config_selectorILb1ElEEZNS1_24adjacent_difference_implIS3_Lb1ELb0EPlS7_ZN2at6native12_GLOBAL__N_124unique_dim_cuda_templateIN3c108BFloat16EEESt5tupleIJNS8_6TensorESF_SF_EERKSF_lbbbEUlllE1_EE10hipError_tPvRmT2_T3_mT4_P12ihipStream_tbEUlT_E_NS1_11comp_targetILNS1_3genE3ELNS1_11target_archE908ELNS1_3gpuE7ELNS1_3repE0EEENS1_30default_config_static_selectorELNS0_4arch9wavefront6targetE1EEEvT1_.has_indirect_call, 0
	.section	.AMDGPU.csdata,"",@progbits
; Kernel info:
; codeLenInByte = 0
; TotalNumSgprs: 6
; NumVgprs: 0
; NumAgprs: 0
; TotalNumVgprs: 0
; ScratchSize: 0
; MemoryBound: 0
; FloatMode: 240
; IeeeMode: 1
; LDSByteSize: 0 bytes/workgroup (compile time only)
; SGPRBlocks: 0
; VGPRBlocks: 0
; NumSGPRsForWavesPerEU: 6
; NumVGPRsForWavesPerEU: 1
; AccumOffset: 4
; Occupancy: 8
; WaveLimiterHint : 0
; COMPUTE_PGM_RSRC2:SCRATCH_EN: 0
; COMPUTE_PGM_RSRC2:USER_SGPR: 2
; COMPUTE_PGM_RSRC2:TRAP_HANDLER: 0
; COMPUTE_PGM_RSRC2:TGID_X_EN: 1
; COMPUTE_PGM_RSRC2:TGID_Y_EN: 0
; COMPUTE_PGM_RSRC2:TGID_Z_EN: 0
; COMPUTE_PGM_RSRC2:TIDIG_COMP_CNT: 0
; COMPUTE_PGM_RSRC3_GFX90A:ACCUM_OFFSET: 0
; COMPUTE_PGM_RSRC3_GFX90A:TG_SPLIT: 0
	.section	.text._ZN7rocprim17ROCPRIM_400000_NS6detail17trampoline_kernelINS0_14default_configENS1_35adjacent_difference_config_selectorILb1ElEEZNS1_24adjacent_difference_implIS3_Lb1ELb0EPlS7_ZN2at6native12_GLOBAL__N_124unique_dim_cuda_templateIN3c108BFloat16EEESt5tupleIJNS8_6TensorESF_SF_EERKSF_lbbbEUlllE1_EE10hipError_tPvRmT2_T3_mT4_P12ihipStream_tbEUlT_E_NS1_11comp_targetILNS1_3genE2ELNS1_11target_archE906ELNS1_3gpuE6ELNS1_3repE0EEENS1_30default_config_static_selectorELNS0_4arch9wavefront6targetE1EEEvT1_,"axG",@progbits,_ZN7rocprim17ROCPRIM_400000_NS6detail17trampoline_kernelINS0_14default_configENS1_35adjacent_difference_config_selectorILb1ElEEZNS1_24adjacent_difference_implIS3_Lb1ELb0EPlS7_ZN2at6native12_GLOBAL__N_124unique_dim_cuda_templateIN3c108BFloat16EEESt5tupleIJNS8_6TensorESF_SF_EERKSF_lbbbEUlllE1_EE10hipError_tPvRmT2_T3_mT4_P12ihipStream_tbEUlT_E_NS1_11comp_targetILNS1_3genE2ELNS1_11target_archE906ELNS1_3gpuE6ELNS1_3repE0EEENS1_30default_config_static_selectorELNS0_4arch9wavefront6targetE1EEEvT1_,comdat
	.globl	_ZN7rocprim17ROCPRIM_400000_NS6detail17trampoline_kernelINS0_14default_configENS1_35adjacent_difference_config_selectorILb1ElEEZNS1_24adjacent_difference_implIS3_Lb1ELb0EPlS7_ZN2at6native12_GLOBAL__N_124unique_dim_cuda_templateIN3c108BFloat16EEESt5tupleIJNS8_6TensorESF_SF_EERKSF_lbbbEUlllE1_EE10hipError_tPvRmT2_T3_mT4_P12ihipStream_tbEUlT_E_NS1_11comp_targetILNS1_3genE2ELNS1_11target_archE906ELNS1_3gpuE6ELNS1_3repE0EEENS1_30default_config_static_selectorELNS0_4arch9wavefront6targetE1EEEvT1_ ; -- Begin function _ZN7rocprim17ROCPRIM_400000_NS6detail17trampoline_kernelINS0_14default_configENS1_35adjacent_difference_config_selectorILb1ElEEZNS1_24adjacent_difference_implIS3_Lb1ELb0EPlS7_ZN2at6native12_GLOBAL__N_124unique_dim_cuda_templateIN3c108BFloat16EEESt5tupleIJNS8_6TensorESF_SF_EERKSF_lbbbEUlllE1_EE10hipError_tPvRmT2_T3_mT4_P12ihipStream_tbEUlT_E_NS1_11comp_targetILNS1_3genE2ELNS1_11target_archE906ELNS1_3gpuE6ELNS1_3repE0EEENS1_30default_config_static_selectorELNS0_4arch9wavefront6targetE1EEEvT1_
	.p2align	8
	.type	_ZN7rocprim17ROCPRIM_400000_NS6detail17trampoline_kernelINS0_14default_configENS1_35adjacent_difference_config_selectorILb1ElEEZNS1_24adjacent_difference_implIS3_Lb1ELb0EPlS7_ZN2at6native12_GLOBAL__N_124unique_dim_cuda_templateIN3c108BFloat16EEESt5tupleIJNS8_6TensorESF_SF_EERKSF_lbbbEUlllE1_EE10hipError_tPvRmT2_T3_mT4_P12ihipStream_tbEUlT_E_NS1_11comp_targetILNS1_3genE2ELNS1_11target_archE906ELNS1_3gpuE6ELNS1_3repE0EEENS1_30default_config_static_selectorELNS0_4arch9wavefront6targetE1EEEvT1_,@function
_ZN7rocprim17ROCPRIM_400000_NS6detail17trampoline_kernelINS0_14default_configENS1_35adjacent_difference_config_selectorILb1ElEEZNS1_24adjacent_difference_implIS3_Lb1ELb0EPlS7_ZN2at6native12_GLOBAL__N_124unique_dim_cuda_templateIN3c108BFloat16EEESt5tupleIJNS8_6TensorESF_SF_EERKSF_lbbbEUlllE1_EE10hipError_tPvRmT2_T3_mT4_P12ihipStream_tbEUlT_E_NS1_11comp_targetILNS1_3genE2ELNS1_11target_archE906ELNS1_3gpuE6ELNS1_3repE0EEENS1_30default_config_static_selectorELNS0_4arch9wavefront6targetE1EEEvT1_: ; @_ZN7rocprim17ROCPRIM_400000_NS6detail17trampoline_kernelINS0_14default_configENS1_35adjacent_difference_config_selectorILb1ElEEZNS1_24adjacent_difference_implIS3_Lb1ELb0EPlS7_ZN2at6native12_GLOBAL__N_124unique_dim_cuda_templateIN3c108BFloat16EEESt5tupleIJNS8_6TensorESF_SF_EERKSF_lbbbEUlllE1_EE10hipError_tPvRmT2_T3_mT4_P12ihipStream_tbEUlT_E_NS1_11comp_targetILNS1_3genE2ELNS1_11target_archE906ELNS1_3gpuE6ELNS1_3repE0EEENS1_30default_config_static_selectorELNS0_4arch9wavefront6targetE1EEEvT1_
; %bb.0:
	.section	.rodata,"a",@progbits
	.p2align	6, 0x0
	.amdhsa_kernel _ZN7rocprim17ROCPRIM_400000_NS6detail17trampoline_kernelINS0_14default_configENS1_35adjacent_difference_config_selectorILb1ElEEZNS1_24adjacent_difference_implIS3_Lb1ELb0EPlS7_ZN2at6native12_GLOBAL__N_124unique_dim_cuda_templateIN3c108BFloat16EEESt5tupleIJNS8_6TensorESF_SF_EERKSF_lbbbEUlllE1_EE10hipError_tPvRmT2_T3_mT4_P12ihipStream_tbEUlT_E_NS1_11comp_targetILNS1_3genE2ELNS1_11target_archE906ELNS1_3gpuE6ELNS1_3repE0EEENS1_30default_config_static_selectorELNS0_4arch9wavefront6targetE1EEEvT1_
		.amdhsa_group_segment_fixed_size 0
		.amdhsa_private_segment_fixed_size 0
		.amdhsa_kernarg_size 64
		.amdhsa_user_sgpr_count 2
		.amdhsa_user_sgpr_dispatch_ptr 0
		.amdhsa_user_sgpr_queue_ptr 0
		.amdhsa_user_sgpr_kernarg_segment_ptr 1
		.amdhsa_user_sgpr_dispatch_id 0
		.amdhsa_user_sgpr_kernarg_preload_length 0
		.amdhsa_user_sgpr_kernarg_preload_offset 0
		.amdhsa_user_sgpr_private_segment_size 0
		.amdhsa_uses_dynamic_stack 0
		.amdhsa_enable_private_segment 0
		.amdhsa_system_sgpr_workgroup_id_x 1
		.amdhsa_system_sgpr_workgroup_id_y 0
		.amdhsa_system_sgpr_workgroup_id_z 0
		.amdhsa_system_sgpr_workgroup_info 0
		.amdhsa_system_vgpr_workitem_id 0
		.amdhsa_next_free_vgpr 1
		.amdhsa_next_free_sgpr 0
		.amdhsa_accum_offset 4
		.amdhsa_reserve_vcc 0
		.amdhsa_float_round_mode_32 0
		.amdhsa_float_round_mode_16_64 0
		.amdhsa_float_denorm_mode_32 3
		.amdhsa_float_denorm_mode_16_64 3
		.amdhsa_dx10_clamp 1
		.amdhsa_ieee_mode 1
		.amdhsa_fp16_overflow 0
		.amdhsa_tg_split 0
		.amdhsa_exception_fp_ieee_invalid_op 0
		.amdhsa_exception_fp_denorm_src 0
		.amdhsa_exception_fp_ieee_div_zero 0
		.amdhsa_exception_fp_ieee_overflow 0
		.amdhsa_exception_fp_ieee_underflow 0
		.amdhsa_exception_fp_ieee_inexact 0
		.amdhsa_exception_int_div_zero 0
	.end_amdhsa_kernel
	.section	.text._ZN7rocprim17ROCPRIM_400000_NS6detail17trampoline_kernelINS0_14default_configENS1_35adjacent_difference_config_selectorILb1ElEEZNS1_24adjacent_difference_implIS3_Lb1ELb0EPlS7_ZN2at6native12_GLOBAL__N_124unique_dim_cuda_templateIN3c108BFloat16EEESt5tupleIJNS8_6TensorESF_SF_EERKSF_lbbbEUlllE1_EE10hipError_tPvRmT2_T3_mT4_P12ihipStream_tbEUlT_E_NS1_11comp_targetILNS1_3genE2ELNS1_11target_archE906ELNS1_3gpuE6ELNS1_3repE0EEENS1_30default_config_static_selectorELNS0_4arch9wavefront6targetE1EEEvT1_,"axG",@progbits,_ZN7rocprim17ROCPRIM_400000_NS6detail17trampoline_kernelINS0_14default_configENS1_35adjacent_difference_config_selectorILb1ElEEZNS1_24adjacent_difference_implIS3_Lb1ELb0EPlS7_ZN2at6native12_GLOBAL__N_124unique_dim_cuda_templateIN3c108BFloat16EEESt5tupleIJNS8_6TensorESF_SF_EERKSF_lbbbEUlllE1_EE10hipError_tPvRmT2_T3_mT4_P12ihipStream_tbEUlT_E_NS1_11comp_targetILNS1_3genE2ELNS1_11target_archE906ELNS1_3gpuE6ELNS1_3repE0EEENS1_30default_config_static_selectorELNS0_4arch9wavefront6targetE1EEEvT1_,comdat
.Lfunc_end1171:
	.size	_ZN7rocprim17ROCPRIM_400000_NS6detail17trampoline_kernelINS0_14default_configENS1_35adjacent_difference_config_selectorILb1ElEEZNS1_24adjacent_difference_implIS3_Lb1ELb0EPlS7_ZN2at6native12_GLOBAL__N_124unique_dim_cuda_templateIN3c108BFloat16EEESt5tupleIJNS8_6TensorESF_SF_EERKSF_lbbbEUlllE1_EE10hipError_tPvRmT2_T3_mT4_P12ihipStream_tbEUlT_E_NS1_11comp_targetILNS1_3genE2ELNS1_11target_archE906ELNS1_3gpuE6ELNS1_3repE0EEENS1_30default_config_static_selectorELNS0_4arch9wavefront6targetE1EEEvT1_, .Lfunc_end1171-_ZN7rocprim17ROCPRIM_400000_NS6detail17trampoline_kernelINS0_14default_configENS1_35adjacent_difference_config_selectorILb1ElEEZNS1_24adjacent_difference_implIS3_Lb1ELb0EPlS7_ZN2at6native12_GLOBAL__N_124unique_dim_cuda_templateIN3c108BFloat16EEESt5tupleIJNS8_6TensorESF_SF_EERKSF_lbbbEUlllE1_EE10hipError_tPvRmT2_T3_mT4_P12ihipStream_tbEUlT_E_NS1_11comp_targetILNS1_3genE2ELNS1_11target_archE906ELNS1_3gpuE6ELNS1_3repE0EEENS1_30default_config_static_selectorELNS0_4arch9wavefront6targetE1EEEvT1_
                                        ; -- End function
	.set _ZN7rocprim17ROCPRIM_400000_NS6detail17trampoline_kernelINS0_14default_configENS1_35adjacent_difference_config_selectorILb1ElEEZNS1_24adjacent_difference_implIS3_Lb1ELb0EPlS7_ZN2at6native12_GLOBAL__N_124unique_dim_cuda_templateIN3c108BFloat16EEESt5tupleIJNS8_6TensorESF_SF_EERKSF_lbbbEUlllE1_EE10hipError_tPvRmT2_T3_mT4_P12ihipStream_tbEUlT_E_NS1_11comp_targetILNS1_3genE2ELNS1_11target_archE906ELNS1_3gpuE6ELNS1_3repE0EEENS1_30default_config_static_selectorELNS0_4arch9wavefront6targetE1EEEvT1_.num_vgpr, 0
	.set _ZN7rocprim17ROCPRIM_400000_NS6detail17trampoline_kernelINS0_14default_configENS1_35adjacent_difference_config_selectorILb1ElEEZNS1_24adjacent_difference_implIS3_Lb1ELb0EPlS7_ZN2at6native12_GLOBAL__N_124unique_dim_cuda_templateIN3c108BFloat16EEESt5tupleIJNS8_6TensorESF_SF_EERKSF_lbbbEUlllE1_EE10hipError_tPvRmT2_T3_mT4_P12ihipStream_tbEUlT_E_NS1_11comp_targetILNS1_3genE2ELNS1_11target_archE906ELNS1_3gpuE6ELNS1_3repE0EEENS1_30default_config_static_selectorELNS0_4arch9wavefront6targetE1EEEvT1_.num_agpr, 0
	.set _ZN7rocprim17ROCPRIM_400000_NS6detail17trampoline_kernelINS0_14default_configENS1_35adjacent_difference_config_selectorILb1ElEEZNS1_24adjacent_difference_implIS3_Lb1ELb0EPlS7_ZN2at6native12_GLOBAL__N_124unique_dim_cuda_templateIN3c108BFloat16EEESt5tupleIJNS8_6TensorESF_SF_EERKSF_lbbbEUlllE1_EE10hipError_tPvRmT2_T3_mT4_P12ihipStream_tbEUlT_E_NS1_11comp_targetILNS1_3genE2ELNS1_11target_archE906ELNS1_3gpuE6ELNS1_3repE0EEENS1_30default_config_static_selectorELNS0_4arch9wavefront6targetE1EEEvT1_.numbered_sgpr, 0
	.set _ZN7rocprim17ROCPRIM_400000_NS6detail17trampoline_kernelINS0_14default_configENS1_35adjacent_difference_config_selectorILb1ElEEZNS1_24adjacent_difference_implIS3_Lb1ELb0EPlS7_ZN2at6native12_GLOBAL__N_124unique_dim_cuda_templateIN3c108BFloat16EEESt5tupleIJNS8_6TensorESF_SF_EERKSF_lbbbEUlllE1_EE10hipError_tPvRmT2_T3_mT4_P12ihipStream_tbEUlT_E_NS1_11comp_targetILNS1_3genE2ELNS1_11target_archE906ELNS1_3gpuE6ELNS1_3repE0EEENS1_30default_config_static_selectorELNS0_4arch9wavefront6targetE1EEEvT1_.num_named_barrier, 0
	.set _ZN7rocprim17ROCPRIM_400000_NS6detail17trampoline_kernelINS0_14default_configENS1_35adjacent_difference_config_selectorILb1ElEEZNS1_24adjacent_difference_implIS3_Lb1ELb0EPlS7_ZN2at6native12_GLOBAL__N_124unique_dim_cuda_templateIN3c108BFloat16EEESt5tupleIJNS8_6TensorESF_SF_EERKSF_lbbbEUlllE1_EE10hipError_tPvRmT2_T3_mT4_P12ihipStream_tbEUlT_E_NS1_11comp_targetILNS1_3genE2ELNS1_11target_archE906ELNS1_3gpuE6ELNS1_3repE0EEENS1_30default_config_static_selectorELNS0_4arch9wavefront6targetE1EEEvT1_.private_seg_size, 0
	.set _ZN7rocprim17ROCPRIM_400000_NS6detail17trampoline_kernelINS0_14default_configENS1_35adjacent_difference_config_selectorILb1ElEEZNS1_24adjacent_difference_implIS3_Lb1ELb0EPlS7_ZN2at6native12_GLOBAL__N_124unique_dim_cuda_templateIN3c108BFloat16EEESt5tupleIJNS8_6TensorESF_SF_EERKSF_lbbbEUlllE1_EE10hipError_tPvRmT2_T3_mT4_P12ihipStream_tbEUlT_E_NS1_11comp_targetILNS1_3genE2ELNS1_11target_archE906ELNS1_3gpuE6ELNS1_3repE0EEENS1_30default_config_static_selectorELNS0_4arch9wavefront6targetE1EEEvT1_.uses_vcc, 0
	.set _ZN7rocprim17ROCPRIM_400000_NS6detail17trampoline_kernelINS0_14default_configENS1_35adjacent_difference_config_selectorILb1ElEEZNS1_24adjacent_difference_implIS3_Lb1ELb0EPlS7_ZN2at6native12_GLOBAL__N_124unique_dim_cuda_templateIN3c108BFloat16EEESt5tupleIJNS8_6TensorESF_SF_EERKSF_lbbbEUlllE1_EE10hipError_tPvRmT2_T3_mT4_P12ihipStream_tbEUlT_E_NS1_11comp_targetILNS1_3genE2ELNS1_11target_archE906ELNS1_3gpuE6ELNS1_3repE0EEENS1_30default_config_static_selectorELNS0_4arch9wavefront6targetE1EEEvT1_.uses_flat_scratch, 0
	.set _ZN7rocprim17ROCPRIM_400000_NS6detail17trampoline_kernelINS0_14default_configENS1_35adjacent_difference_config_selectorILb1ElEEZNS1_24adjacent_difference_implIS3_Lb1ELb0EPlS7_ZN2at6native12_GLOBAL__N_124unique_dim_cuda_templateIN3c108BFloat16EEESt5tupleIJNS8_6TensorESF_SF_EERKSF_lbbbEUlllE1_EE10hipError_tPvRmT2_T3_mT4_P12ihipStream_tbEUlT_E_NS1_11comp_targetILNS1_3genE2ELNS1_11target_archE906ELNS1_3gpuE6ELNS1_3repE0EEENS1_30default_config_static_selectorELNS0_4arch9wavefront6targetE1EEEvT1_.has_dyn_sized_stack, 0
	.set _ZN7rocprim17ROCPRIM_400000_NS6detail17trampoline_kernelINS0_14default_configENS1_35adjacent_difference_config_selectorILb1ElEEZNS1_24adjacent_difference_implIS3_Lb1ELb0EPlS7_ZN2at6native12_GLOBAL__N_124unique_dim_cuda_templateIN3c108BFloat16EEESt5tupleIJNS8_6TensorESF_SF_EERKSF_lbbbEUlllE1_EE10hipError_tPvRmT2_T3_mT4_P12ihipStream_tbEUlT_E_NS1_11comp_targetILNS1_3genE2ELNS1_11target_archE906ELNS1_3gpuE6ELNS1_3repE0EEENS1_30default_config_static_selectorELNS0_4arch9wavefront6targetE1EEEvT1_.has_recursion, 0
	.set _ZN7rocprim17ROCPRIM_400000_NS6detail17trampoline_kernelINS0_14default_configENS1_35adjacent_difference_config_selectorILb1ElEEZNS1_24adjacent_difference_implIS3_Lb1ELb0EPlS7_ZN2at6native12_GLOBAL__N_124unique_dim_cuda_templateIN3c108BFloat16EEESt5tupleIJNS8_6TensorESF_SF_EERKSF_lbbbEUlllE1_EE10hipError_tPvRmT2_T3_mT4_P12ihipStream_tbEUlT_E_NS1_11comp_targetILNS1_3genE2ELNS1_11target_archE906ELNS1_3gpuE6ELNS1_3repE0EEENS1_30default_config_static_selectorELNS0_4arch9wavefront6targetE1EEEvT1_.has_indirect_call, 0
	.section	.AMDGPU.csdata,"",@progbits
; Kernel info:
; codeLenInByte = 0
; TotalNumSgprs: 6
; NumVgprs: 0
; NumAgprs: 0
; TotalNumVgprs: 0
; ScratchSize: 0
; MemoryBound: 0
; FloatMode: 240
; IeeeMode: 1
; LDSByteSize: 0 bytes/workgroup (compile time only)
; SGPRBlocks: 0
; VGPRBlocks: 0
; NumSGPRsForWavesPerEU: 6
; NumVGPRsForWavesPerEU: 1
; AccumOffset: 4
; Occupancy: 8
; WaveLimiterHint : 0
; COMPUTE_PGM_RSRC2:SCRATCH_EN: 0
; COMPUTE_PGM_RSRC2:USER_SGPR: 2
; COMPUTE_PGM_RSRC2:TRAP_HANDLER: 0
; COMPUTE_PGM_RSRC2:TGID_X_EN: 1
; COMPUTE_PGM_RSRC2:TGID_Y_EN: 0
; COMPUTE_PGM_RSRC2:TGID_Z_EN: 0
; COMPUTE_PGM_RSRC2:TIDIG_COMP_CNT: 0
; COMPUTE_PGM_RSRC3_GFX90A:ACCUM_OFFSET: 0
; COMPUTE_PGM_RSRC3_GFX90A:TG_SPLIT: 0
	.section	.text._ZN7rocprim17ROCPRIM_400000_NS6detail17trampoline_kernelINS0_14default_configENS1_35adjacent_difference_config_selectorILb1ElEEZNS1_24adjacent_difference_implIS3_Lb1ELb0EPlS7_ZN2at6native12_GLOBAL__N_124unique_dim_cuda_templateIN3c108BFloat16EEESt5tupleIJNS8_6TensorESF_SF_EERKSF_lbbbEUlllE1_EE10hipError_tPvRmT2_T3_mT4_P12ihipStream_tbEUlT_E_NS1_11comp_targetILNS1_3genE9ELNS1_11target_archE1100ELNS1_3gpuE3ELNS1_3repE0EEENS1_30default_config_static_selectorELNS0_4arch9wavefront6targetE1EEEvT1_,"axG",@progbits,_ZN7rocprim17ROCPRIM_400000_NS6detail17trampoline_kernelINS0_14default_configENS1_35adjacent_difference_config_selectorILb1ElEEZNS1_24adjacent_difference_implIS3_Lb1ELb0EPlS7_ZN2at6native12_GLOBAL__N_124unique_dim_cuda_templateIN3c108BFloat16EEESt5tupleIJNS8_6TensorESF_SF_EERKSF_lbbbEUlllE1_EE10hipError_tPvRmT2_T3_mT4_P12ihipStream_tbEUlT_E_NS1_11comp_targetILNS1_3genE9ELNS1_11target_archE1100ELNS1_3gpuE3ELNS1_3repE0EEENS1_30default_config_static_selectorELNS0_4arch9wavefront6targetE1EEEvT1_,comdat
	.globl	_ZN7rocprim17ROCPRIM_400000_NS6detail17trampoline_kernelINS0_14default_configENS1_35adjacent_difference_config_selectorILb1ElEEZNS1_24adjacent_difference_implIS3_Lb1ELb0EPlS7_ZN2at6native12_GLOBAL__N_124unique_dim_cuda_templateIN3c108BFloat16EEESt5tupleIJNS8_6TensorESF_SF_EERKSF_lbbbEUlllE1_EE10hipError_tPvRmT2_T3_mT4_P12ihipStream_tbEUlT_E_NS1_11comp_targetILNS1_3genE9ELNS1_11target_archE1100ELNS1_3gpuE3ELNS1_3repE0EEENS1_30default_config_static_selectorELNS0_4arch9wavefront6targetE1EEEvT1_ ; -- Begin function _ZN7rocprim17ROCPRIM_400000_NS6detail17trampoline_kernelINS0_14default_configENS1_35adjacent_difference_config_selectorILb1ElEEZNS1_24adjacent_difference_implIS3_Lb1ELb0EPlS7_ZN2at6native12_GLOBAL__N_124unique_dim_cuda_templateIN3c108BFloat16EEESt5tupleIJNS8_6TensorESF_SF_EERKSF_lbbbEUlllE1_EE10hipError_tPvRmT2_T3_mT4_P12ihipStream_tbEUlT_E_NS1_11comp_targetILNS1_3genE9ELNS1_11target_archE1100ELNS1_3gpuE3ELNS1_3repE0EEENS1_30default_config_static_selectorELNS0_4arch9wavefront6targetE1EEEvT1_
	.p2align	8
	.type	_ZN7rocprim17ROCPRIM_400000_NS6detail17trampoline_kernelINS0_14default_configENS1_35adjacent_difference_config_selectorILb1ElEEZNS1_24adjacent_difference_implIS3_Lb1ELb0EPlS7_ZN2at6native12_GLOBAL__N_124unique_dim_cuda_templateIN3c108BFloat16EEESt5tupleIJNS8_6TensorESF_SF_EERKSF_lbbbEUlllE1_EE10hipError_tPvRmT2_T3_mT4_P12ihipStream_tbEUlT_E_NS1_11comp_targetILNS1_3genE9ELNS1_11target_archE1100ELNS1_3gpuE3ELNS1_3repE0EEENS1_30default_config_static_selectorELNS0_4arch9wavefront6targetE1EEEvT1_,@function
_ZN7rocprim17ROCPRIM_400000_NS6detail17trampoline_kernelINS0_14default_configENS1_35adjacent_difference_config_selectorILb1ElEEZNS1_24adjacent_difference_implIS3_Lb1ELb0EPlS7_ZN2at6native12_GLOBAL__N_124unique_dim_cuda_templateIN3c108BFloat16EEESt5tupleIJNS8_6TensorESF_SF_EERKSF_lbbbEUlllE1_EE10hipError_tPvRmT2_T3_mT4_P12ihipStream_tbEUlT_E_NS1_11comp_targetILNS1_3genE9ELNS1_11target_archE1100ELNS1_3gpuE3ELNS1_3repE0EEENS1_30default_config_static_selectorELNS0_4arch9wavefront6targetE1EEEvT1_: ; @_ZN7rocprim17ROCPRIM_400000_NS6detail17trampoline_kernelINS0_14default_configENS1_35adjacent_difference_config_selectorILb1ElEEZNS1_24adjacent_difference_implIS3_Lb1ELb0EPlS7_ZN2at6native12_GLOBAL__N_124unique_dim_cuda_templateIN3c108BFloat16EEESt5tupleIJNS8_6TensorESF_SF_EERKSF_lbbbEUlllE1_EE10hipError_tPvRmT2_T3_mT4_P12ihipStream_tbEUlT_E_NS1_11comp_targetILNS1_3genE9ELNS1_11target_archE1100ELNS1_3gpuE3ELNS1_3repE0EEENS1_30default_config_static_selectorELNS0_4arch9wavefront6targetE1EEEvT1_
; %bb.0:
	.section	.rodata,"a",@progbits
	.p2align	6, 0x0
	.amdhsa_kernel _ZN7rocprim17ROCPRIM_400000_NS6detail17trampoline_kernelINS0_14default_configENS1_35adjacent_difference_config_selectorILb1ElEEZNS1_24adjacent_difference_implIS3_Lb1ELb0EPlS7_ZN2at6native12_GLOBAL__N_124unique_dim_cuda_templateIN3c108BFloat16EEESt5tupleIJNS8_6TensorESF_SF_EERKSF_lbbbEUlllE1_EE10hipError_tPvRmT2_T3_mT4_P12ihipStream_tbEUlT_E_NS1_11comp_targetILNS1_3genE9ELNS1_11target_archE1100ELNS1_3gpuE3ELNS1_3repE0EEENS1_30default_config_static_selectorELNS0_4arch9wavefront6targetE1EEEvT1_
		.amdhsa_group_segment_fixed_size 0
		.amdhsa_private_segment_fixed_size 0
		.amdhsa_kernarg_size 64
		.amdhsa_user_sgpr_count 2
		.amdhsa_user_sgpr_dispatch_ptr 0
		.amdhsa_user_sgpr_queue_ptr 0
		.amdhsa_user_sgpr_kernarg_segment_ptr 1
		.amdhsa_user_sgpr_dispatch_id 0
		.amdhsa_user_sgpr_kernarg_preload_length 0
		.amdhsa_user_sgpr_kernarg_preload_offset 0
		.amdhsa_user_sgpr_private_segment_size 0
		.amdhsa_uses_dynamic_stack 0
		.amdhsa_enable_private_segment 0
		.amdhsa_system_sgpr_workgroup_id_x 1
		.amdhsa_system_sgpr_workgroup_id_y 0
		.amdhsa_system_sgpr_workgroup_id_z 0
		.amdhsa_system_sgpr_workgroup_info 0
		.amdhsa_system_vgpr_workitem_id 0
		.amdhsa_next_free_vgpr 1
		.amdhsa_next_free_sgpr 0
		.amdhsa_accum_offset 4
		.amdhsa_reserve_vcc 0
		.amdhsa_float_round_mode_32 0
		.amdhsa_float_round_mode_16_64 0
		.amdhsa_float_denorm_mode_32 3
		.amdhsa_float_denorm_mode_16_64 3
		.amdhsa_dx10_clamp 1
		.amdhsa_ieee_mode 1
		.amdhsa_fp16_overflow 0
		.amdhsa_tg_split 0
		.amdhsa_exception_fp_ieee_invalid_op 0
		.amdhsa_exception_fp_denorm_src 0
		.amdhsa_exception_fp_ieee_div_zero 0
		.amdhsa_exception_fp_ieee_overflow 0
		.amdhsa_exception_fp_ieee_underflow 0
		.amdhsa_exception_fp_ieee_inexact 0
		.amdhsa_exception_int_div_zero 0
	.end_amdhsa_kernel
	.section	.text._ZN7rocprim17ROCPRIM_400000_NS6detail17trampoline_kernelINS0_14default_configENS1_35adjacent_difference_config_selectorILb1ElEEZNS1_24adjacent_difference_implIS3_Lb1ELb0EPlS7_ZN2at6native12_GLOBAL__N_124unique_dim_cuda_templateIN3c108BFloat16EEESt5tupleIJNS8_6TensorESF_SF_EERKSF_lbbbEUlllE1_EE10hipError_tPvRmT2_T3_mT4_P12ihipStream_tbEUlT_E_NS1_11comp_targetILNS1_3genE9ELNS1_11target_archE1100ELNS1_3gpuE3ELNS1_3repE0EEENS1_30default_config_static_selectorELNS0_4arch9wavefront6targetE1EEEvT1_,"axG",@progbits,_ZN7rocprim17ROCPRIM_400000_NS6detail17trampoline_kernelINS0_14default_configENS1_35adjacent_difference_config_selectorILb1ElEEZNS1_24adjacent_difference_implIS3_Lb1ELb0EPlS7_ZN2at6native12_GLOBAL__N_124unique_dim_cuda_templateIN3c108BFloat16EEESt5tupleIJNS8_6TensorESF_SF_EERKSF_lbbbEUlllE1_EE10hipError_tPvRmT2_T3_mT4_P12ihipStream_tbEUlT_E_NS1_11comp_targetILNS1_3genE9ELNS1_11target_archE1100ELNS1_3gpuE3ELNS1_3repE0EEENS1_30default_config_static_selectorELNS0_4arch9wavefront6targetE1EEEvT1_,comdat
.Lfunc_end1172:
	.size	_ZN7rocprim17ROCPRIM_400000_NS6detail17trampoline_kernelINS0_14default_configENS1_35adjacent_difference_config_selectorILb1ElEEZNS1_24adjacent_difference_implIS3_Lb1ELb0EPlS7_ZN2at6native12_GLOBAL__N_124unique_dim_cuda_templateIN3c108BFloat16EEESt5tupleIJNS8_6TensorESF_SF_EERKSF_lbbbEUlllE1_EE10hipError_tPvRmT2_T3_mT4_P12ihipStream_tbEUlT_E_NS1_11comp_targetILNS1_3genE9ELNS1_11target_archE1100ELNS1_3gpuE3ELNS1_3repE0EEENS1_30default_config_static_selectorELNS0_4arch9wavefront6targetE1EEEvT1_, .Lfunc_end1172-_ZN7rocprim17ROCPRIM_400000_NS6detail17trampoline_kernelINS0_14default_configENS1_35adjacent_difference_config_selectorILb1ElEEZNS1_24adjacent_difference_implIS3_Lb1ELb0EPlS7_ZN2at6native12_GLOBAL__N_124unique_dim_cuda_templateIN3c108BFloat16EEESt5tupleIJNS8_6TensorESF_SF_EERKSF_lbbbEUlllE1_EE10hipError_tPvRmT2_T3_mT4_P12ihipStream_tbEUlT_E_NS1_11comp_targetILNS1_3genE9ELNS1_11target_archE1100ELNS1_3gpuE3ELNS1_3repE0EEENS1_30default_config_static_selectorELNS0_4arch9wavefront6targetE1EEEvT1_
                                        ; -- End function
	.set _ZN7rocprim17ROCPRIM_400000_NS6detail17trampoline_kernelINS0_14default_configENS1_35adjacent_difference_config_selectorILb1ElEEZNS1_24adjacent_difference_implIS3_Lb1ELb0EPlS7_ZN2at6native12_GLOBAL__N_124unique_dim_cuda_templateIN3c108BFloat16EEESt5tupleIJNS8_6TensorESF_SF_EERKSF_lbbbEUlllE1_EE10hipError_tPvRmT2_T3_mT4_P12ihipStream_tbEUlT_E_NS1_11comp_targetILNS1_3genE9ELNS1_11target_archE1100ELNS1_3gpuE3ELNS1_3repE0EEENS1_30default_config_static_selectorELNS0_4arch9wavefront6targetE1EEEvT1_.num_vgpr, 0
	.set _ZN7rocprim17ROCPRIM_400000_NS6detail17trampoline_kernelINS0_14default_configENS1_35adjacent_difference_config_selectorILb1ElEEZNS1_24adjacent_difference_implIS3_Lb1ELb0EPlS7_ZN2at6native12_GLOBAL__N_124unique_dim_cuda_templateIN3c108BFloat16EEESt5tupleIJNS8_6TensorESF_SF_EERKSF_lbbbEUlllE1_EE10hipError_tPvRmT2_T3_mT4_P12ihipStream_tbEUlT_E_NS1_11comp_targetILNS1_3genE9ELNS1_11target_archE1100ELNS1_3gpuE3ELNS1_3repE0EEENS1_30default_config_static_selectorELNS0_4arch9wavefront6targetE1EEEvT1_.num_agpr, 0
	.set _ZN7rocprim17ROCPRIM_400000_NS6detail17trampoline_kernelINS0_14default_configENS1_35adjacent_difference_config_selectorILb1ElEEZNS1_24adjacent_difference_implIS3_Lb1ELb0EPlS7_ZN2at6native12_GLOBAL__N_124unique_dim_cuda_templateIN3c108BFloat16EEESt5tupleIJNS8_6TensorESF_SF_EERKSF_lbbbEUlllE1_EE10hipError_tPvRmT2_T3_mT4_P12ihipStream_tbEUlT_E_NS1_11comp_targetILNS1_3genE9ELNS1_11target_archE1100ELNS1_3gpuE3ELNS1_3repE0EEENS1_30default_config_static_selectorELNS0_4arch9wavefront6targetE1EEEvT1_.numbered_sgpr, 0
	.set _ZN7rocprim17ROCPRIM_400000_NS6detail17trampoline_kernelINS0_14default_configENS1_35adjacent_difference_config_selectorILb1ElEEZNS1_24adjacent_difference_implIS3_Lb1ELb0EPlS7_ZN2at6native12_GLOBAL__N_124unique_dim_cuda_templateIN3c108BFloat16EEESt5tupleIJNS8_6TensorESF_SF_EERKSF_lbbbEUlllE1_EE10hipError_tPvRmT2_T3_mT4_P12ihipStream_tbEUlT_E_NS1_11comp_targetILNS1_3genE9ELNS1_11target_archE1100ELNS1_3gpuE3ELNS1_3repE0EEENS1_30default_config_static_selectorELNS0_4arch9wavefront6targetE1EEEvT1_.num_named_barrier, 0
	.set _ZN7rocprim17ROCPRIM_400000_NS6detail17trampoline_kernelINS0_14default_configENS1_35adjacent_difference_config_selectorILb1ElEEZNS1_24adjacent_difference_implIS3_Lb1ELb0EPlS7_ZN2at6native12_GLOBAL__N_124unique_dim_cuda_templateIN3c108BFloat16EEESt5tupleIJNS8_6TensorESF_SF_EERKSF_lbbbEUlllE1_EE10hipError_tPvRmT2_T3_mT4_P12ihipStream_tbEUlT_E_NS1_11comp_targetILNS1_3genE9ELNS1_11target_archE1100ELNS1_3gpuE3ELNS1_3repE0EEENS1_30default_config_static_selectorELNS0_4arch9wavefront6targetE1EEEvT1_.private_seg_size, 0
	.set _ZN7rocprim17ROCPRIM_400000_NS6detail17trampoline_kernelINS0_14default_configENS1_35adjacent_difference_config_selectorILb1ElEEZNS1_24adjacent_difference_implIS3_Lb1ELb0EPlS7_ZN2at6native12_GLOBAL__N_124unique_dim_cuda_templateIN3c108BFloat16EEESt5tupleIJNS8_6TensorESF_SF_EERKSF_lbbbEUlllE1_EE10hipError_tPvRmT2_T3_mT4_P12ihipStream_tbEUlT_E_NS1_11comp_targetILNS1_3genE9ELNS1_11target_archE1100ELNS1_3gpuE3ELNS1_3repE0EEENS1_30default_config_static_selectorELNS0_4arch9wavefront6targetE1EEEvT1_.uses_vcc, 0
	.set _ZN7rocprim17ROCPRIM_400000_NS6detail17trampoline_kernelINS0_14default_configENS1_35adjacent_difference_config_selectorILb1ElEEZNS1_24adjacent_difference_implIS3_Lb1ELb0EPlS7_ZN2at6native12_GLOBAL__N_124unique_dim_cuda_templateIN3c108BFloat16EEESt5tupleIJNS8_6TensorESF_SF_EERKSF_lbbbEUlllE1_EE10hipError_tPvRmT2_T3_mT4_P12ihipStream_tbEUlT_E_NS1_11comp_targetILNS1_3genE9ELNS1_11target_archE1100ELNS1_3gpuE3ELNS1_3repE0EEENS1_30default_config_static_selectorELNS0_4arch9wavefront6targetE1EEEvT1_.uses_flat_scratch, 0
	.set _ZN7rocprim17ROCPRIM_400000_NS6detail17trampoline_kernelINS0_14default_configENS1_35adjacent_difference_config_selectorILb1ElEEZNS1_24adjacent_difference_implIS3_Lb1ELb0EPlS7_ZN2at6native12_GLOBAL__N_124unique_dim_cuda_templateIN3c108BFloat16EEESt5tupleIJNS8_6TensorESF_SF_EERKSF_lbbbEUlllE1_EE10hipError_tPvRmT2_T3_mT4_P12ihipStream_tbEUlT_E_NS1_11comp_targetILNS1_3genE9ELNS1_11target_archE1100ELNS1_3gpuE3ELNS1_3repE0EEENS1_30default_config_static_selectorELNS0_4arch9wavefront6targetE1EEEvT1_.has_dyn_sized_stack, 0
	.set _ZN7rocprim17ROCPRIM_400000_NS6detail17trampoline_kernelINS0_14default_configENS1_35adjacent_difference_config_selectorILb1ElEEZNS1_24adjacent_difference_implIS3_Lb1ELb0EPlS7_ZN2at6native12_GLOBAL__N_124unique_dim_cuda_templateIN3c108BFloat16EEESt5tupleIJNS8_6TensorESF_SF_EERKSF_lbbbEUlllE1_EE10hipError_tPvRmT2_T3_mT4_P12ihipStream_tbEUlT_E_NS1_11comp_targetILNS1_3genE9ELNS1_11target_archE1100ELNS1_3gpuE3ELNS1_3repE0EEENS1_30default_config_static_selectorELNS0_4arch9wavefront6targetE1EEEvT1_.has_recursion, 0
	.set _ZN7rocprim17ROCPRIM_400000_NS6detail17trampoline_kernelINS0_14default_configENS1_35adjacent_difference_config_selectorILb1ElEEZNS1_24adjacent_difference_implIS3_Lb1ELb0EPlS7_ZN2at6native12_GLOBAL__N_124unique_dim_cuda_templateIN3c108BFloat16EEESt5tupleIJNS8_6TensorESF_SF_EERKSF_lbbbEUlllE1_EE10hipError_tPvRmT2_T3_mT4_P12ihipStream_tbEUlT_E_NS1_11comp_targetILNS1_3genE9ELNS1_11target_archE1100ELNS1_3gpuE3ELNS1_3repE0EEENS1_30default_config_static_selectorELNS0_4arch9wavefront6targetE1EEEvT1_.has_indirect_call, 0
	.section	.AMDGPU.csdata,"",@progbits
; Kernel info:
; codeLenInByte = 0
; TotalNumSgprs: 6
; NumVgprs: 0
; NumAgprs: 0
; TotalNumVgprs: 0
; ScratchSize: 0
; MemoryBound: 0
; FloatMode: 240
; IeeeMode: 1
; LDSByteSize: 0 bytes/workgroup (compile time only)
; SGPRBlocks: 0
; VGPRBlocks: 0
; NumSGPRsForWavesPerEU: 6
; NumVGPRsForWavesPerEU: 1
; AccumOffset: 4
; Occupancy: 8
; WaveLimiterHint : 0
; COMPUTE_PGM_RSRC2:SCRATCH_EN: 0
; COMPUTE_PGM_RSRC2:USER_SGPR: 2
; COMPUTE_PGM_RSRC2:TRAP_HANDLER: 0
; COMPUTE_PGM_RSRC2:TGID_X_EN: 1
; COMPUTE_PGM_RSRC2:TGID_Y_EN: 0
; COMPUTE_PGM_RSRC2:TGID_Z_EN: 0
; COMPUTE_PGM_RSRC2:TIDIG_COMP_CNT: 0
; COMPUTE_PGM_RSRC3_GFX90A:ACCUM_OFFSET: 0
; COMPUTE_PGM_RSRC3_GFX90A:TG_SPLIT: 0
	.section	.text._ZN7rocprim17ROCPRIM_400000_NS6detail17trampoline_kernelINS0_14default_configENS1_35adjacent_difference_config_selectorILb1ElEEZNS1_24adjacent_difference_implIS3_Lb1ELb0EPlS7_ZN2at6native12_GLOBAL__N_124unique_dim_cuda_templateIN3c108BFloat16EEESt5tupleIJNS8_6TensorESF_SF_EERKSF_lbbbEUlllE1_EE10hipError_tPvRmT2_T3_mT4_P12ihipStream_tbEUlT_E_NS1_11comp_targetILNS1_3genE8ELNS1_11target_archE1030ELNS1_3gpuE2ELNS1_3repE0EEENS1_30default_config_static_selectorELNS0_4arch9wavefront6targetE1EEEvT1_,"axG",@progbits,_ZN7rocprim17ROCPRIM_400000_NS6detail17trampoline_kernelINS0_14default_configENS1_35adjacent_difference_config_selectorILb1ElEEZNS1_24adjacent_difference_implIS3_Lb1ELb0EPlS7_ZN2at6native12_GLOBAL__N_124unique_dim_cuda_templateIN3c108BFloat16EEESt5tupleIJNS8_6TensorESF_SF_EERKSF_lbbbEUlllE1_EE10hipError_tPvRmT2_T3_mT4_P12ihipStream_tbEUlT_E_NS1_11comp_targetILNS1_3genE8ELNS1_11target_archE1030ELNS1_3gpuE2ELNS1_3repE0EEENS1_30default_config_static_selectorELNS0_4arch9wavefront6targetE1EEEvT1_,comdat
	.globl	_ZN7rocprim17ROCPRIM_400000_NS6detail17trampoline_kernelINS0_14default_configENS1_35adjacent_difference_config_selectorILb1ElEEZNS1_24adjacent_difference_implIS3_Lb1ELb0EPlS7_ZN2at6native12_GLOBAL__N_124unique_dim_cuda_templateIN3c108BFloat16EEESt5tupleIJNS8_6TensorESF_SF_EERKSF_lbbbEUlllE1_EE10hipError_tPvRmT2_T3_mT4_P12ihipStream_tbEUlT_E_NS1_11comp_targetILNS1_3genE8ELNS1_11target_archE1030ELNS1_3gpuE2ELNS1_3repE0EEENS1_30default_config_static_selectorELNS0_4arch9wavefront6targetE1EEEvT1_ ; -- Begin function _ZN7rocprim17ROCPRIM_400000_NS6detail17trampoline_kernelINS0_14default_configENS1_35adjacent_difference_config_selectorILb1ElEEZNS1_24adjacent_difference_implIS3_Lb1ELb0EPlS7_ZN2at6native12_GLOBAL__N_124unique_dim_cuda_templateIN3c108BFloat16EEESt5tupleIJNS8_6TensorESF_SF_EERKSF_lbbbEUlllE1_EE10hipError_tPvRmT2_T3_mT4_P12ihipStream_tbEUlT_E_NS1_11comp_targetILNS1_3genE8ELNS1_11target_archE1030ELNS1_3gpuE2ELNS1_3repE0EEENS1_30default_config_static_selectorELNS0_4arch9wavefront6targetE1EEEvT1_
	.p2align	8
	.type	_ZN7rocprim17ROCPRIM_400000_NS6detail17trampoline_kernelINS0_14default_configENS1_35adjacent_difference_config_selectorILb1ElEEZNS1_24adjacent_difference_implIS3_Lb1ELb0EPlS7_ZN2at6native12_GLOBAL__N_124unique_dim_cuda_templateIN3c108BFloat16EEESt5tupleIJNS8_6TensorESF_SF_EERKSF_lbbbEUlllE1_EE10hipError_tPvRmT2_T3_mT4_P12ihipStream_tbEUlT_E_NS1_11comp_targetILNS1_3genE8ELNS1_11target_archE1030ELNS1_3gpuE2ELNS1_3repE0EEENS1_30default_config_static_selectorELNS0_4arch9wavefront6targetE1EEEvT1_,@function
_ZN7rocprim17ROCPRIM_400000_NS6detail17trampoline_kernelINS0_14default_configENS1_35adjacent_difference_config_selectorILb1ElEEZNS1_24adjacent_difference_implIS3_Lb1ELb0EPlS7_ZN2at6native12_GLOBAL__N_124unique_dim_cuda_templateIN3c108BFloat16EEESt5tupleIJNS8_6TensorESF_SF_EERKSF_lbbbEUlllE1_EE10hipError_tPvRmT2_T3_mT4_P12ihipStream_tbEUlT_E_NS1_11comp_targetILNS1_3genE8ELNS1_11target_archE1030ELNS1_3gpuE2ELNS1_3repE0EEENS1_30default_config_static_selectorELNS0_4arch9wavefront6targetE1EEEvT1_: ; @_ZN7rocprim17ROCPRIM_400000_NS6detail17trampoline_kernelINS0_14default_configENS1_35adjacent_difference_config_selectorILb1ElEEZNS1_24adjacent_difference_implIS3_Lb1ELb0EPlS7_ZN2at6native12_GLOBAL__N_124unique_dim_cuda_templateIN3c108BFloat16EEESt5tupleIJNS8_6TensorESF_SF_EERKSF_lbbbEUlllE1_EE10hipError_tPvRmT2_T3_mT4_P12ihipStream_tbEUlT_E_NS1_11comp_targetILNS1_3genE8ELNS1_11target_archE1030ELNS1_3gpuE2ELNS1_3repE0EEENS1_30default_config_static_selectorELNS0_4arch9wavefront6targetE1EEEvT1_
; %bb.0:
	.section	.rodata,"a",@progbits
	.p2align	6, 0x0
	.amdhsa_kernel _ZN7rocprim17ROCPRIM_400000_NS6detail17trampoline_kernelINS0_14default_configENS1_35adjacent_difference_config_selectorILb1ElEEZNS1_24adjacent_difference_implIS3_Lb1ELb0EPlS7_ZN2at6native12_GLOBAL__N_124unique_dim_cuda_templateIN3c108BFloat16EEESt5tupleIJNS8_6TensorESF_SF_EERKSF_lbbbEUlllE1_EE10hipError_tPvRmT2_T3_mT4_P12ihipStream_tbEUlT_E_NS1_11comp_targetILNS1_3genE8ELNS1_11target_archE1030ELNS1_3gpuE2ELNS1_3repE0EEENS1_30default_config_static_selectorELNS0_4arch9wavefront6targetE1EEEvT1_
		.amdhsa_group_segment_fixed_size 0
		.amdhsa_private_segment_fixed_size 0
		.amdhsa_kernarg_size 64
		.amdhsa_user_sgpr_count 2
		.amdhsa_user_sgpr_dispatch_ptr 0
		.amdhsa_user_sgpr_queue_ptr 0
		.amdhsa_user_sgpr_kernarg_segment_ptr 1
		.amdhsa_user_sgpr_dispatch_id 0
		.amdhsa_user_sgpr_kernarg_preload_length 0
		.amdhsa_user_sgpr_kernarg_preload_offset 0
		.amdhsa_user_sgpr_private_segment_size 0
		.amdhsa_uses_dynamic_stack 0
		.amdhsa_enable_private_segment 0
		.amdhsa_system_sgpr_workgroup_id_x 1
		.amdhsa_system_sgpr_workgroup_id_y 0
		.amdhsa_system_sgpr_workgroup_id_z 0
		.amdhsa_system_sgpr_workgroup_info 0
		.amdhsa_system_vgpr_workitem_id 0
		.amdhsa_next_free_vgpr 1
		.amdhsa_next_free_sgpr 0
		.amdhsa_accum_offset 4
		.amdhsa_reserve_vcc 0
		.amdhsa_float_round_mode_32 0
		.amdhsa_float_round_mode_16_64 0
		.amdhsa_float_denorm_mode_32 3
		.amdhsa_float_denorm_mode_16_64 3
		.amdhsa_dx10_clamp 1
		.amdhsa_ieee_mode 1
		.amdhsa_fp16_overflow 0
		.amdhsa_tg_split 0
		.amdhsa_exception_fp_ieee_invalid_op 0
		.amdhsa_exception_fp_denorm_src 0
		.amdhsa_exception_fp_ieee_div_zero 0
		.amdhsa_exception_fp_ieee_overflow 0
		.amdhsa_exception_fp_ieee_underflow 0
		.amdhsa_exception_fp_ieee_inexact 0
		.amdhsa_exception_int_div_zero 0
	.end_amdhsa_kernel
	.section	.text._ZN7rocprim17ROCPRIM_400000_NS6detail17trampoline_kernelINS0_14default_configENS1_35adjacent_difference_config_selectorILb1ElEEZNS1_24adjacent_difference_implIS3_Lb1ELb0EPlS7_ZN2at6native12_GLOBAL__N_124unique_dim_cuda_templateIN3c108BFloat16EEESt5tupleIJNS8_6TensorESF_SF_EERKSF_lbbbEUlllE1_EE10hipError_tPvRmT2_T3_mT4_P12ihipStream_tbEUlT_E_NS1_11comp_targetILNS1_3genE8ELNS1_11target_archE1030ELNS1_3gpuE2ELNS1_3repE0EEENS1_30default_config_static_selectorELNS0_4arch9wavefront6targetE1EEEvT1_,"axG",@progbits,_ZN7rocprim17ROCPRIM_400000_NS6detail17trampoline_kernelINS0_14default_configENS1_35adjacent_difference_config_selectorILb1ElEEZNS1_24adjacent_difference_implIS3_Lb1ELb0EPlS7_ZN2at6native12_GLOBAL__N_124unique_dim_cuda_templateIN3c108BFloat16EEESt5tupleIJNS8_6TensorESF_SF_EERKSF_lbbbEUlllE1_EE10hipError_tPvRmT2_T3_mT4_P12ihipStream_tbEUlT_E_NS1_11comp_targetILNS1_3genE8ELNS1_11target_archE1030ELNS1_3gpuE2ELNS1_3repE0EEENS1_30default_config_static_selectorELNS0_4arch9wavefront6targetE1EEEvT1_,comdat
.Lfunc_end1173:
	.size	_ZN7rocprim17ROCPRIM_400000_NS6detail17trampoline_kernelINS0_14default_configENS1_35adjacent_difference_config_selectorILb1ElEEZNS1_24adjacent_difference_implIS3_Lb1ELb0EPlS7_ZN2at6native12_GLOBAL__N_124unique_dim_cuda_templateIN3c108BFloat16EEESt5tupleIJNS8_6TensorESF_SF_EERKSF_lbbbEUlllE1_EE10hipError_tPvRmT2_T3_mT4_P12ihipStream_tbEUlT_E_NS1_11comp_targetILNS1_3genE8ELNS1_11target_archE1030ELNS1_3gpuE2ELNS1_3repE0EEENS1_30default_config_static_selectorELNS0_4arch9wavefront6targetE1EEEvT1_, .Lfunc_end1173-_ZN7rocprim17ROCPRIM_400000_NS6detail17trampoline_kernelINS0_14default_configENS1_35adjacent_difference_config_selectorILb1ElEEZNS1_24adjacent_difference_implIS3_Lb1ELb0EPlS7_ZN2at6native12_GLOBAL__N_124unique_dim_cuda_templateIN3c108BFloat16EEESt5tupleIJNS8_6TensorESF_SF_EERKSF_lbbbEUlllE1_EE10hipError_tPvRmT2_T3_mT4_P12ihipStream_tbEUlT_E_NS1_11comp_targetILNS1_3genE8ELNS1_11target_archE1030ELNS1_3gpuE2ELNS1_3repE0EEENS1_30default_config_static_selectorELNS0_4arch9wavefront6targetE1EEEvT1_
                                        ; -- End function
	.set _ZN7rocprim17ROCPRIM_400000_NS6detail17trampoline_kernelINS0_14default_configENS1_35adjacent_difference_config_selectorILb1ElEEZNS1_24adjacent_difference_implIS3_Lb1ELb0EPlS7_ZN2at6native12_GLOBAL__N_124unique_dim_cuda_templateIN3c108BFloat16EEESt5tupleIJNS8_6TensorESF_SF_EERKSF_lbbbEUlllE1_EE10hipError_tPvRmT2_T3_mT4_P12ihipStream_tbEUlT_E_NS1_11comp_targetILNS1_3genE8ELNS1_11target_archE1030ELNS1_3gpuE2ELNS1_3repE0EEENS1_30default_config_static_selectorELNS0_4arch9wavefront6targetE1EEEvT1_.num_vgpr, 0
	.set _ZN7rocprim17ROCPRIM_400000_NS6detail17trampoline_kernelINS0_14default_configENS1_35adjacent_difference_config_selectorILb1ElEEZNS1_24adjacent_difference_implIS3_Lb1ELb0EPlS7_ZN2at6native12_GLOBAL__N_124unique_dim_cuda_templateIN3c108BFloat16EEESt5tupleIJNS8_6TensorESF_SF_EERKSF_lbbbEUlllE1_EE10hipError_tPvRmT2_T3_mT4_P12ihipStream_tbEUlT_E_NS1_11comp_targetILNS1_3genE8ELNS1_11target_archE1030ELNS1_3gpuE2ELNS1_3repE0EEENS1_30default_config_static_selectorELNS0_4arch9wavefront6targetE1EEEvT1_.num_agpr, 0
	.set _ZN7rocprim17ROCPRIM_400000_NS6detail17trampoline_kernelINS0_14default_configENS1_35adjacent_difference_config_selectorILb1ElEEZNS1_24adjacent_difference_implIS3_Lb1ELb0EPlS7_ZN2at6native12_GLOBAL__N_124unique_dim_cuda_templateIN3c108BFloat16EEESt5tupleIJNS8_6TensorESF_SF_EERKSF_lbbbEUlllE1_EE10hipError_tPvRmT2_T3_mT4_P12ihipStream_tbEUlT_E_NS1_11comp_targetILNS1_3genE8ELNS1_11target_archE1030ELNS1_3gpuE2ELNS1_3repE0EEENS1_30default_config_static_selectorELNS0_4arch9wavefront6targetE1EEEvT1_.numbered_sgpr, 0
	.set _ZN7rocprim17ROCPRIM_400000_NS6detail17trampoline_kernelINS0_14default_configENS1_35adjacent_difference_config_selectorILb1ElEEZNS1_24adjacent_difference_implIS3_Lb1ELb0EPlS7_ZN2at6native12_GLOBAL__N_124unique_dim_cuda_templateIN3c108BFloat16EEESt5tupleIJNS8_6TensorESF_SF_EERKSF_lbbbEUlllE1_EE10hipError_tPvRmT2_T3_mT4_P12ihipStream_tbEUlT_E_NS1_11comp_targetILNS1_3genE8ELNS1_11target_archE1030ELNS1_3gpuE2ELNS1_3repE0EEENS1_30default_config_static_selectorELNS0_4arch9wavefront6targetE1EEEvT1_.num_named_barrier, 0
	.set _ZN7rocprim17ROCPRIM_400000_NS6detail17trampoline_kernelINS0_14default_configENS1_35adjacent_difference_config_selectorILb1ElEEZNS1_24adjacent_difference_implIS3_Lb1ELb0EPlS7_ZN2at6native12_GLOBAL__N_124unique_dim_cuda_templateIN3c108BFloat16EEESt5tupleIJNS8_6TensorESF_SF_EERKSF_lbbbEUlllE1_EE10hipError_tPvRmT2_T3_mT4_P12ihipStream_tbEUlT_E_NS1_11comp_targetILNS1_3genE8ELNS1_11target_archE1030ELNS1_3gpuE2ELNS1_3repE0EEENS1_30default_config_static_selectorELNS0_4arch9wavefront6targetE1EEEvT1_.private_seg_size, 0
	.set _ZN7rocprim17ROCPRIM_400000_NS6detail17trampoline_kernelINS0_14default_configENS1_35adjacent_difference_config_selectorILb1ElEEZNS1_24adjacent_difference_implIS3_Lb1ELb0EPlS7_ZN2at6native12_GLOBAL__N_124unique_dim_cuda_templateIN3c108BFloat16EEESt5tupleIJNS8_6TensorESF_SF_EERKSF_lbbbEUlllE1_EE10hipError_tPvRmT2_T3_mT4_P12ihipStream_tbEUlT_E_NS1_11comp_targetILNS1_3genE8ELNS1_11target_archE1030ELNS1_3gpuE2ELNS1_3repE0EEENS1_30default_config_static_selectorELNS0_4arch9wavefront6targetE1EEEvT1_.uses_vcc, 0
	.set _ZN7rocprim17ROCPRIM_400000_NS6detail17trampoline_kernelINS0_14default_configENS1_35adjacent_difference_config_selectorILb1ElEEZNS1_24adjacent_difference_implIS3_Lb1ELb0EPlS7_ZN2at6native12_GLOBAL__N_124unique_dim_cuda_templateIN3c108BFloat16EEESt5tupleIJNS8_6TensorESF_SF_EERKSF_lbbbEUlllE1_EE10hipError_tPvRmT2_T3_mT4_P12ihipStream_tbEUlT_E_NS1_11comp_targetILNS1_3genE8ELNS1_11target_archE1030ELNS1_3gpuE2ELNS1_3repE0EEENS1_30default_config_static_selectorELNS0_4arch9wavefront6targetE1EEEvT1_.uses_flat_scratch, 0
	.set _ZN7rocprim17ROCPRIM_400000_NS6detail17trampoline_kernelINS0_14default_configENS1_35adjacent_difference_config_selectorILb1ElEEZNS1_24adjacent_difference_implIS3_Lb1ELb0EPlS7_ZN2at6native12_GLOBAL__N_124unique_dim_cuda_templateIN3c108BFloat16EEESt5tupleIJNS8_6TensorESF_SF_EERKSF_lbbbEUlllE1_EE10hipError_tPvRmT2_T3_mT4_P12ihipStream_tbEUlT_E_NS1_11comp_targetILNS1_3genE8ELNS1_11target_archE1030ELNS1_3gpuE2ELNS1_3repE0EEENS1_30default_config_static_selectorELNS0_4arch9wavefront6targetE1EEEvT1_.has_dyn_sized_stack, 0
	.set _ZN7rocprim17ROCPRIM_400000_NS6detail17trampoline_kernelINS0_14default_configENS1_35adjacent_difference_config_selectorILb1ElEEZNS1_24adjacent_difference_implIS3_Lb1ELb0EPlS7_ZN2at6native12_GLOBAL__N_124unique_dim_cuda_templateIN3c108BFloat16EEESt5tupleIJNS8_6TensorESF_SF_EERKSF_lbbbEUlllE1_EE10hipError_tPvRmT2_T3_mT4_P12ihipStream_tbEUlT_E_NS1_11comp_targetILNS1_3genE8ELNS1_11target_archE1030ELNS1_3gpuE2ELNS1_3repE0EEENS1_30default_config_static_selectorELNS0_4arch9wavefront6targetE1EEEvT1_.has_recursion, 0
	.set _ZN7rocprim17ROCPRIM_400000_NS6detail17trampoline_kernelINS0_14default_configENS1_35adjacent_difference_config_selectorILb1ElEEZNS1_24adjacent_difference_implIS3_Lb1ELb0EPlS7_ZN2at6native12_GLOBAL__N_124unique_dim_cuda_templateIN3c108BFloat16EEESt5tupleIJNS8_6TensorESF_SF_EERKSF_lbbbEUlllE1_EE10hipError_tPvRmT2_T3_mT4_P12ihipStream_tbEUlT_E_NS1_11comp_targetILNS1_3genE8ELNS1_11target_archE1030ELNS1_3gpuE2ELNS1_3repE0EEENS1_30default_config_static_selectorELNS0_4arch9wavefront6targetE1EEEvT1_.has_indirect_call, 0
	.section	.AMDGPU.csdata,"",@progbits
; Kernel info:
; codeLenInByte = 0
; TotalNumSgprs: 6
; NumVgprs: 0
; NumAgprs: 0
; TotalNumVgprs: 0
; ScratchSize: 0
; MemoryBound: 0
; FloatMode: 240
; IeeeMode: 1
; LDSByteSize: 0 bytes/workgroup (compile time only)
; SGPRBlocks: 0
; VGPRBlocks: 0
; NumSGPRsForWavesPerEU: 6
; NumVGPRsForWavesPerEU: 1
; AccumOffset: 4
; Occupancy: 8
; WaveLimiterHint : 0
; COMPUTE_PGM_RSRC2:SCRATCH_EN: 0
; COMPUTE_PGM_RSRC2:USER_SGPR: 2
; COMPUTE_PGM_RSRC2:TRAP_HANDLER: 0
; COMPUTE_PGM_RSRC2:TGID_X_EN: 1
; COMPUTE_PGM_RSRC2:TGID_Y_EN: 0
; COMPUTE_PGM_RSRC2:TGID_Z_EN: 0
; COMPUTE_PGM_RSRC2:TIDIG_COMP_CNT: 0
; COMPUTE_PGM_RSRC3_GFX90A:ACCUM_OFFSET: 0
; COMPUTE_PGM_RSRC3_GFX90A:TG_SPLIT: 0
	.section	.text._ZN7rocprim17ROCPRIM_400000_NS6detail17trampoline_kernelINS0_14default_configENS1_25partition_config_selectorILNS1_17partition_subalgoE8ElNS0_10empty_typeEbEEZZNS1_14partition_implILS5_8ELb0ES3_jPlPS6_PKS6_NS0_5tupleIJS9_S6_EEENSD_IJSA_SA_EEENS0_18inequality_wrapperIZN2at6native12_GLOBAL__N_124unique_dim_cuda_templateIN3c108BFloat16EEESt5tupleIJNSH_6TensorESO_SO_EERKSO_lbbbEUlllE0_EEPmJS6_EEE10hipError_tPvRmT3_T4_T5_T6_T7_T9_mT8_P12ihipStream_tbDpT10_ENKUlT_T0_E_clISt17integral_constantIbLb0EES1E_EEDaS19_S1A_EUlS19_E_NS1_11comp_targetILNS1_3genE0ELNS1_11target_archE4294967295ELNS1_3gpuE0ELNS1_3repE0EEENS1_30default_config_static_selectorELNS0_4arch9wavefront6targetE1EEEvT1_,"axG",@progbits,_ZN7rocprim17ROCPRIM_400000_NS6detail17trampoline_kernelINS0_14default_configENS1_25partition_config_selectorILNS1_17partition_subalgoE8ElNS0_10empty_typeEbEEZZNS1_14partition_implILS5_8ELb0ES3_jPlPS6_PKS6_NS0_5tupleIJS9_S6_EEENSD_IJSA_SA_EEENS0_18inequality_wrapperIZN2at6native12_GLOBAL__N_124unique_dim_cuda_templateIN3c108BFloat16EEESt5tupleIJNSH_6TensorESO_SO_EERKSO_lbbbEUlllE0_EEPmJS6_EEE10hipError_tPvRmT3_T4_T5_T6_T7_T9_mT8_P12ihipStream_tbDpT10_ENKUlT_T0_E_clISt17integral_constantIbLb0EES1E_EEDaS19_S1A_EUlS19_E_NS1_11comp_targetILNS1_3genE0ELNS1_11target_archE4294967295ELNS1_3gpuE0ELNS1_3repE0EEENS1_30default_config_static_selectorELNS0_4arch9wavefront6targetE1EEEvT1_,comdat
	.globl	_ZN7rocprim17ROCPRIM_400000_NS6detail17trampoline_kernelINS0_14default_configENS1_25partition_config_selectorILNS1_17partition_subalgoE8ElNS0_10empty_typeEbEEZZNS1_14partition_implILS5_8ELb0ES3_jPlPS6_PKS6_NS0_5tupleIJS9_S6_EEENSD_IJSA_SA_EEENS0_18inequality_wrapperIZN2at6native12_GLOBAL__N_124unique_dim_cuda_templateIN3c108BFloat16EEESt5tupleIJNSH_6TensorESO_SO_EERKSO_lbbbEUlllE0_EEPmJS6_EEE10hipError_tPvRmT3_T4_T5_T6_T7_T9_mT8_P12ihipStream_tbDpT10_ENKUlT_T0_E_clISt17integral_constantIbLb0EES1E_EEDaS19_S1A_EUlS19_E_NS1_11comp_targetILNS1_3genE0ELNS1_11target_archE4294967295ELNS1_3gpuE0ELNS1_3repE0EEENS1_30default_config_static_selectorELNS0_4arch9wavefront6targetE1EEEvT1_ ; -- Begin function _ZN7rocprim17ROCPRIM_400000_NS6detail17trampoline_kernelINS0_14default_configENS1_25partition_config_selectorILNS1_17partition_subalgoE8ElNS0_10empty_typeEbEEZZNS1_14partition_implILS5_8ELb0ES3_jPlPS6_PKS6_NS0_5tupleIJS9_S6_EEENSD_IJSA_SA_EEENS0_18inequality_wrapperIZN2at6native12_GLOBAL__N_124unique_dim_cuda_templateIN3c108BFloat16EEESt5tupleIJNSH_6TensorESO_SO_EERKSO_lbbbEUlllE0_EEPmJS6_EEE10hipError_tPvRmT3_T4_T5_T6_T7_T9_mT8_P12ihipStream_tbDpT10_ENKUlT_T0_E_clISt17integral_constantIbLb0EES1E_EEDaS19_S1A_EUlS19_E_NS1_11comp_targetILNS1_3genE0ELNS1_11target_archE4294967295ELNS1_3gpuE0ELNS1_3repE0EEENS1_30default_config_static_selectorELNS0_4arch9wavefront6targetE1EEEvT1_
	.p2align	8
	.type	_ZN7rocprim17ROCPRIM_400000_NS6detail17trampoline_kernelINS0_14default_configENS1_25partition_config_selectorILNS1_17partition_subalgoE8ElNS0_10empty_typeEbEEZZNS1_14partition_implILS5_8ELb0ES3_jPlPS6_PKS6_NS0_5tupleIJS9_S6_EEENSD_IJSA_SA_EEENS0_18inequality_wrapperIZN2at6native12_GLOBAL__N_124unique_dim_cuda_templateIN3c108BFloat16EEESt5tupleIJNSH_6TensorESO_SO_EERKSO_lbbbEUlllE0_EEPmJS6_EEE10hipError_tPvRmT3_T4_T5_T6_T7_T9_mT8_P12ihipStream_tbDpT10_ENKUlT_T0_E_clISt17integral_constantIbLb0EES1E_EEDaS19_S1A_EUlS19_E_NS1_11comp_targetILNS1_3genE0ELNS1_11target_archE4294967295ELNS1_3gpuE0ELNS1_3repE0EEENS1_30default_config_static_selectorELNS0_4arch9wavefront6targetE1EEEvT1_,@function
_ZN7rocprim17ROCPRIM_400000_NS6detail17trampoline_kernelINS0_14default_configENS1_25partition_config_selectorILNS1_17partition_subalgoE8ElNS0_10empty_typeEbEEZZNS1_14partition_implILS5_8ELb0ES3_jPlPS6_PKS6_NS0_5tupleIJS9_S6_EEENSD_IJSA_SA_EEENS0_18inequality_wrapperIZN2at6native12_GLOBAL__N_124unique_dim_cuda_templateIN3c108BFloat16EEESt5tupleIJNSH_6TensorESO_SO_EERKSO_lbbbEUlllE0_EEPmJS6_EEE10hipError_tPvRmT3_T4_T5_T6_T7_T9_mT8_P12ihipStream_tbDpT10_ENKUlT_T0_E_clISt17integral_constantIbLb0EES1E_EEDaS19_S1A_EUlS19_E_NS1_11comp_targetILNS1_3genE0ELNS1_11target_archE4294967295ELNS1_3gpuE0ELNS1_3repE0EEENS1_30default_config_static_selectorELNS0_4arch9wavefront6targetE1EEEvT1_: ; @_ZN7rocprim17ROCPRIM_400000_NS6detail17trampoline_kernelINS0_14default_configENS1_25partition_config_selectorILNS1_17partition_subalgoE8ElNS0_10empty_typeEbEEZZNS1_14partition_implILS5_8ELb0ES3_jPlPS6_PKS6_NS0_5tupleIJS9_S6_EEENSD_IJSA_SA_EEENS0_18inequality_wrapperIZN2at6native12_GLOBAL__N_124unique_dim_cuda_templateIN3c108BFloat16EEESt5tupleIJNSH_6TensorESO_SO_EERKSO_lbbbEUlllE0_EEPmJS6_EEE10hipError_tPvRmT3_T4_T5_T6_T7_T9_mT8_P12ihipStream_tbDpT10_ENKUlT_T0_E_clISt17integral_constantIbLb0EES1E_EEDaS19_S1A_EUlS19_E_NS1_11comp_targetILNS1_3genE0ELNS1_11target_archE4294967295ELNS1_3gpuE0ELNS1_3repE0EEENS1_30default_config_static_selectorELNS0_4arch9wavefront6targetE1EEEvT1_
; %bb.0:
	s_load_dwordx4 s[4:7], s[0:1], 0x8
	s_load_dwordx8 s[24:31], s[0:1], 0x40
	s_load_dwordx4 s[20:23], s[0:1], 0x60
	s_load_dword s3, s[0:1], 0x70
	v_lshlrev_b32_e32 v18, 3, v0
	s_waitcnt lgkmcnt(0)
	s_lshl_b64 s[8:9], s[6:7], 3
	s_add_u32 s12, s4, s8
	s_addc_u32 s13, s5, s9
	s_mul_i32 s8, s3, 0xe00
	s_add_i32 s10, s3, -1
	s_add_i32 s3, s8, s6
	s_sub_i32 s3, s28, s3
	s_add_u32 s8, s6, s8
	s_addc_u32 s9, s7, 0
	v_mov_b64_e32 v[2:3], s[8:9]
	s_cmp_eq_u32 s2, s10
	s_load_dwordx2 s[26:27], s[26:27], 0x0
	v_cmp_le_u64_e32 vcc, s[28:29], v[2:3]
	s_cselect_b64 s[28:29], -1, 0
	s_mul_i32 s4, s2, 0xe00
	s_mov_b32 s5, 0
	s_and_b64 s[8:9], s[28:29], vcc
	s_xor_b64 s[34:35], s[8:9], -1
	s_lshl_b64 s[4:5], s[4:5], 3
	s_add_u32 s4, s12, s4
	s_mov_b64 s[10:11], -1
	s_addc_u32 s5, s13, s5
	s_and_b64 vcc, exec, s[34:35]
	s_cbranch_vccz .LBB1174_2
; %bb.1:
	v_lshlrev_b32_e32 v2, 3, v0
	v_mov_b32_e32 v3, 0
	v_lshl_add_u64 v[4:5], s[4:5], 0, v[2:3]
	v_add_co_u32_e32 v8, vcc, 0x1000, v4
	global_load_dwordx2 v[6:7], v2, s[4:5]
	s_nop 0
	v_addc_co_u32_e32 v9, vcc, 0, v5, vcc
	v_add_co_u32_e32 v10, vcc, 0x2000, v4
	s_mov_b64 s[10:11], 0
	s_nop 0
	v_addc_co_u32_e32 v11, vcc, 0, v5, vcc
	v_add_co_u32_e32 v12, vcc, 0x3000, v4
	s_nop 1
	v_addc_co_u32_e32 v13, vcc, 0, v5, vcc
	v_add_co_u32_e32 v14, vcc, 0x4000, v4
	s_nop 1
	v_addc_co_u32_e32 v15, vcc, 0, v5, vcc
	global_load_dwordx2 v[16:17], v[8:9], off
	global_load_dwordx2 v[20:21], v[10:11], off
	;; [unrolled: 1-line block ×4, first 2 shown]
	v_add_co_u32_e32 v8, vcc, 0x5000, v4
	s_nop 1
	v_addc_co_u32_e32 v9, vcc, 0, v5, vcc
	v_add_co_u32_e32 v4, vcc, 0x6000, v4
	s_nop 1
	v_addc_co_u32_e32 v5, vcc, 0, v5, vcc
	global_load_dwordx2 v[10:11], v[8:9], off
	global_load_dwordx2 v[12:13], v[4:5], off
	s_waitcnt vmcnt(5)
	ds_write2st64_b64 v2, v[6:7], v[16:17] offset1:8
	s_waitcnt vmcnt(3)
	ds_write2st64_b64 v2, v[20:21], v[22:23] offset0:16 offset1:24
	s_waitcnt vmcnt(1)
	ds_write2st64_b64 v2, v[24:25], v[10:11] offset0:32 offset1:40
	s_waitcnt vmcnt(0)
	ds_write_b64 v2, v[12:13] offset:24576
	s_waitcnt lgkmcnt(0)
	s_barrier
.LBB1174_2:
	s_andn2_b64 vcc, exec, s[10:11]
	s_addk_i32 s3, 0xe00
	s_cbranch_vccnz .LBB1174_18
; %bb.3:
	v_mov_b32_e32 v2, 0
	v_cmp_gt_u32_e32 vcc, s3, v0
	v_mov_b32_e32 v3, v2
	v_mov_b32_e32 v4, v2
	;; [unrolled: 1-line block ×13, first 2 shown]
	s_and_saveexec_b64 s[10:11], vcc
	s_cbranch_execz .LBB1174_5
; %bb.4:
	v_lshlrev_b32_e32 v1, 3, v0
	global_load_dwordx2 v[4:5], v1, s[4:5]
	v_mov_b32_e32 v6, v2
	v_mov_b32_e32 v7, v2
	;; [unrolled: 1-line block ×12, first 2 shown]
	s_waitcnt vmcnt(0)
	v_mov_b64_e32 v[2:3], v[4:5]
	v_mov_b64_e32 v[4:5], v[6:7]
	;; [unrolled: 1-line block ×8, first 2 shown]
.LBB1174_5:
	s_or_b64 exec, exec, s[10:11]
	v_or_b32_e32 v1, 0x200, v0
	v_cmp_gt_u32_e32 vcc, s3, v1
	s_and_saveexec_b64 s[10:11], vcc
	s_cbranch_execz .LBB1174_7
; %bb.6:
	v_lshlrev_b32_e32 v1, 3, v1
	global_load_dwordx2 v[4:5], v1, s[4:5]
.LBB1174_7:
	s_or_b64 exec, exec, s[10:11]
	v_or_b32_e32 v1, 0x400, v0
	v_cmp_gt_u32_e32 vcc, s3, v1
	s_and_saveexec_b64 s[10:11], vcc
	s_cbranch_execz .LBB1174_9
; %bb.8:
	v_lshlrev_b32_e32 v1, 3, v1
	global_load_dwordx2 v[6:7], v1, s[4:5]
.LBB1174_9:
	;; [unrolled: 9-line block ×6, first 2 shown]
	s_or_b64 exec, exec, s[10:11]
	v_lshlrev_b32_e32 v1, 3, v0
	s_waitcnt vmcnt(0)
	ds_write2st64_b64 v1, v[2:3], v[4:5] offset1:8
	ds_write2st64_b64 v1, v[6:7], v[8:9] offset0:16 offset1:24
	ds_write2st64_b64 v1, v[10:11], v[12:13] offset0:32 offset1:40
	ds_write_b64 v1, v[14:15] offset:24576
	s_waitcnt lgkmcnt(0)
	s_barrier
.LBB1174_18:
	v_mul_u32_u24_e32 v1, 7, v0
	v_lshlrev_b32_e32 v24, 3, v1
	s_waitcnt lgkmcnt(0)
	ds_read2_b64 v[10:13], v24 offset1:1
	ds_read2_b64 v[6:9], v24 offset0:2 offset1:3
	ds_read2_b64 v[2:5], v24 offset0:4 offset1:5
	ds_read_b64 v[14:15], v24 offset:48
	s_cmp_lg_u32 s2, 0
	s_cselect_b64 s[16:17], -1, 0
	s_cmp_lg_u64 s[6:7], 0
	s_cselect_b64 s[6:7], -1, 0
	s_or_b64 s[6:7], s[16:17], s[6:7]
	s_mov_b64 s[10:11], 0
	s_and_b64 vcc, exec, s[6:7]
	v_cmp_gt_i64_e64 s[12:13], s[30:31], 0
	s_waitcnt lgkmcnt(0)
	s_barrier
	s_cbranch_vccz .LBB1174_34
; %bb.19:
	s_add_u32 s4, s4, -8
	s_addc_u32 s5, s5, -1
	s_load_dwordx2 s[10:11], s[4:5], 0x0
	v_cndmask_b32_e64 v16, 0, 1, s[12:13]
	v_lshlrev_b32_e32 v25, 3, v0
	s_mov_b64 s[6:7], 0
	s_and_b64 vcc, exec, s[34:35]
	v_cmp_ne_u32_e64 s[4:5], 1, v16
	ds_write_b64 v25, v[14:15]
	s_cbranch_vccz .LBB1174_36
; %bb.20:
	s_and_b64 vcc, exec, s[4:5]
	s_cbranch_vccnz .LBB1174_37
; %bb.21:
	v_mul_lo_u32 v19, v5, s30
	v_mul_lo_u32 v20, v4, s31
	v_mad_u64_u32 v[16:17], s[6:7], v4, s30, 0
	v_add3_u32 v17, v17, v20, v19
	v_mul_lo_u32 v19, v15, s30
	v_mul_lo_u32 v22, v14, s31
	v_mad_u64_u32 v[20:21], s[6:7], v14, s30, 0
	s_add_u32 s14, s30, -1
	v_lshl_add_u64 v[16:17], v[16:17], 1, s[20:21]
	v_add3_u32 v21, v21, v22, v19
	s_addc_u32 s15, s31, -1
	v_lshl_add_u64 v[20:21], v[20:21], 1, s[20:21]
	s_mov_b64 s[18:19], 0
	s_mov_b64 s[36:37], s[14:15]
	v_mov_b64_e32 v[22:23], v[16:17]
                                        ; implicit-def: $sgpr12_sgpr13
.LBB1174_22:                            ; =>This Inner Loop Header: Depth=1
	global_load_ushort v19, v[20:21], off
	global_load_ushort v26, v[22:23], off
	s_add_u32 s6, s36, -1
	s_addc_u32 s7, s37, -1
	s_cmp_eq_u64 s[36:37], 0
	s_mov_b64 s[36:37], s[6:7]
	s_cselect_b64 s[38:39], -1, 0
	v_lshl_add_u64 v[22:23], v[22:23], 0, 2
	v_lshl_add_u64 v[20:21], v[20:21], 0, 2
	s_waitcnt vmcnt(1)
	v_lshlrev_b32_e32 v19, 16, v19
	s_waitcnt vmcnt(0)
	v_lshlrev_b32_e32 v26, 16, v26
	v_cmp_neq_f32_e64 s[6:7], v26, v19
	s_or_b64 s[6:7], s[6:7], s[38:39]
	s_and_b64 s[6:7], exec, s[6:7]
	v_cmp_eq_f32_e32 vcc, v26, v19
	s_or_b64 s[18:19], s[6:7], s[18:19]
	s_andn2_b64 s[6:7], s[12:13], exec
	s_and_b64 s[12:13], vcc, exec
	s_or_b64 s[12:13], s[6:7], s[12:13]
	s_andn2_b64 exec, exec, s[18:19]
	s_cbranch_execnz .LBB1174_22
; %bb.23:
	s_or_b64 exec, exec, s[18:19]
	v_mul_lo_u32 v19, v3, s30
	v_mul_lo_u32 v22, v2, s31
	v_mad_u64_u32 v[20:21], s[6:7], v2, s30, 0
	v_add3_u32 v21, v21, v22, v19
	v_lshl_add_u64 v[20:21], v[20:21], 1, s[20:21]
	s_mov_b64 s[36:37], 0
	s_mov_b64 s[38:39], s[14:15]
	v_mov_b64_e32 v[22:23], v[20:21]
                                        ; implicit-def: $sgpr18_sgpr19
.LBB1174_24:                            ; =>This Inner Loop Header: Depth=1
	global_load_ushort v19, v[16:17], off
	global_load_ushort v26, v[22:23], off
	s_add_u32 s6, s38, -1
	s_addc_u32 s7, s39, -1
	s_cmp_eq_u64 s[38:39], 0
	s_mov_b64 s[38:39], s[6:7]
	s_cselect_b64 s[40:41], -1, 0
	v_lshl_add_u64 v[22:23], v[22:23], 0, 2
	v_lshl_add_u64 v[16:17], v[16:17], 0, 2
	s_waitcnt vmcnt(1)
	v_lshlrev_b32_e32 v19, 16, v19
	s_waitcnt vmcnt(0)
	v_lshlrev_b32_e32 v26, 16, v26
	v_cmp_neq_f32_e64 s[6:7], v26, v19
	s_or_b64 s[6:7], s[6:7], s[40:41]
	s_and_b64 s[6:7], exec, s[6:7]
	v_cmp_eq_f32_e32 vcc, v26, v19
	s_or_b64 s[36:37], s[6:7], s[36:37]
	s_andn2_b64 s[6:7], s[18:19], exec
	s_and_b64 s[18:19], vcc, exec
	s_or_b64 s[18:19], s[6:7], s[18:19]
	s_andn2_b64 exec, exec, s[36:37]
	s_cbranch_execnz .LBB1174_24
; %bb.25:
	s_or_b64 exec, exec, s[36:37]
	v_mul_lo_u32 v19, v9, s30
	v_mul_lo_u32 v22, v8, s31
	v_mad_u64_u32 v[16:17], s[6:7], v8, s30, 0
	v_add3_u32 v17, v17, v22, v19
	v_lshl_add_u64 v[16:17], v[16:17], 1, s[20:21]
	s_mov_b64 s[38:39], 0
	s_mov_b64 s[40:41], s[14:15]
	v_mov_b64_e32 v[22:23], v[16:17]
                                        ; implicit-def: $sgpr36_sgpr37
.LBB1174_26:                            ; =>This Inner Loop Header: Depth=1
	global_load_ushort v19, v[20:21], off
	global_load_ushort v26, v[22:23], off
	s_add_u32 s6, s40, -1
	s_addc_u32 s7, s41, -1
	s_cmp_eq_u64 s[40:41], 0
	s_mov_b64 s[40:41], s[6:7]
	s_cselect_b64 s[42:43], -1, 0
	v_lshl_add_u64 v[22:23], v[22:23], 0, 2
	v_lshl_add_u64 v[20:21], v[20:21], 0, 2
	s_waitcnt vmcnt(1)
	v_lshlrev_b32_e32 v19, 16, v19
	s_waitcnt vmcnt(0)
	v_lshlrev_b32_e32 v26, 16, v26
	v_cmp_neq_f32_e64 s[6:7], v26, v19
	s_or_b64 s[6:7], s[6:7], s[42:43]
	s_and_b64 s[6:7], exec, s[6:7]
	v_cmp_eq_f32_e32 vcc, v26, v19
	s_or_b64 s[38:39], s[6:7], s[38:39]
	s_andn2_b64 s[6:7], s[36:37], exec
	s_and_b64 s[36:37], vcc, exec
	s_or_b64 s[36:37], s[6:7], s[36:37]
	s_andn2_b64 exec, exec, s[38:39]
	s_cbranch_execnz .LBB1174_26
; %bb.27:
	s_or_b64 exec, exec, s[38:39]
	v_mul_lo_u32 v19, v7, s30
	v_mul_lo_u32 v22, v6, s31
	v_mad_u64_u32 v[20:21], s[6:7], v6, s30, 0
	v_add3_u32 v21, v21, v22, v19
	v_lshl_add_u64 v[20:21], v[20:21], 1, s[20:21]
	s_mov_b64 s[40:41], 0
	s_mov_b64 s[42:43], s[14:15]
	v_mov_b64_e32 v[22:23], v[20:21]
                                        ; implicit-def: $sgpr38_sgpr39
.LBB1174_28:                            ; =>This Inner Loop Header: Depth=1
	global_load_ushort v19, v[16:17], off
	global_load_ushort v26, v[22:23], off
	s_add_u32 s6, s42, -1
	s_addc_u32 s7, s43, -1
	s_cmp_eq_u64 s[42:43], 0
	s_mov_b64 s[42:43], s[6:7]
	s_cselect_b64 s[44:45], -1, 0
	v_lshl_add_u64 v[22:23], v[22:23], 0, 2
	v_lshl_add_u64 v[16:17], v[16:17], 0, 2
	s_waitcnt vmcnt(1)
	v_lshlrev_b32_e32 v19, 16, v19
	s_waitcnt vmcnt(0)
	v_lshlrev_b32_e32 v26, 16, v26
	v_cmp_neq_f32_e64 s[6:7], v26, v19
	s_or_b64 s[6:7], s[6:7], s[44:45]
	s_and_b64 s[6:7], exec, s[6:7]
	v_cmp_eq_f32_e32 vcc, v26, v19
	s_or_b64 s[40:41], s[6:7], s[40:41]
	s_andn2_b64 s[6:7], s[38:39], exec
	s_and_b64 s[38:39], vcc, exec
	s_or_b64 s[38:39], s[6:7], s[38:39]
	s_andn2_b64 exec, exec, s[40:41]
	s_cbranch_execnz .LBB1174_28
; %bb.29:
	s_or_b64 exec, exec, s[40:41]
	v_mul_lo_u32 v19, v13, s30
	v_mul_lo_u32 v22, v12, s31
	v_mad_u64_u32 v[16:17], s[6:7], v12, s30, 0
	v_add3_u32 v17, v17, v22, v19
	v_lshl_add_u64 v[16:17], v[16:17], 1, s[20:21]
	s_mov_b64 s[42:43], 0
	s_mov_b64 s[44:45], s[14:15]
	v_mov_b64_e32 v[22:23], v[16:17]
                                        ; implicit-def: $sgpr40_sgpr41
.LBB1174_30:                            ; =>This Inner Loop Header: Depth=1
	global_load_ushort v19, v[20:21], off
	global_load_ushort v26, v[22:23], off
	s_add_u32 s6, s44, -1
	s_addc_u32 s7, s45, -1
	s_cmp_eq_u64 s[44:45], 0
	s_mov_b64 s[44:45], s[6:7]
	s_cselect_b64 s[46:47], -1, 0
	v_lshl_add_u64 v[22:23], v[22:23], 0, 2
	v_lshl_add_u64 v[20:21], v[20:21], 0, 2
	s_waitcnt vmcnt(1)
	v_lshlrev_b32_e32 v19, 16, v19
	s_waitcnt vmcnt(0)
	v_lshlrev_b32_e32 v26, 16, v26
	v_cmp_neq_f32_e64 s[6:7], v26, v19
	s_or_b64 s[6:7], s[6:7], s[46:47]
	s_and_b64 s[6:7], exec, s[6:7]
	v_cmp_eq_f32_e32 vcc, v26, v19
	s_or_b64 s[42:43], s[6:7], s[42:43]
	s_andn2_b64 s[6:7], s[40:41], exec
	s_and_b64 s[40:41], vcc, exec
	s_or_b64 s[40:41], s[6:7], s[40:41]
	s_andn2_b64 exec, exec, s[42:43]
	s_cbranch_execnz .LBB1174_30
; %bb.31:
	s_or_b64 exec, exec, s[42:43]
	v_mul_lo_u32 v19, v11, s30
	v_mul_lo_u32 v22, v10, s31
	v_mad_u64_u32 v[20:21], s[6:7], v10, s30, 0
	v_add3_u32 v21, v21, v22, v19
	v_lshl_add_u64 v[20:21], v[20:21], 1, s[20:21]
	s_mov_b64 s[44:45], 0
                                        ; implicit-def: $sgpr42_sgpr43
.LBB1174_32:                            ; =>This Inner Loop Header: Depth=1
	global_load_ushort v19, v[16:17], off
	global_load_ushort v22, v[20:21], off
	s_add_u32 s6, s14, -1
	s_addc_u32 s7, s15, -1
	s_cmp_eq_u64 s[14:15], 0
	s_mov_b64 s[14:15], s[6:7]
	s_cselect_b64 s[46:47], -1, 0
	v_lshl_add_u64 v[20:21], v[20:21], 0, 2
	v_lshl_add_u64 v[16:17], v[16:17], 0, 2
	s_waitcnt vmcnt(1)
	v_lshlrev_b32_e32 v19, 16, v19
	s_waitcnt vmcnt(0)
	v_lshlrev_b32_e32 v22, 16, v22
	v_cmp_neq_f32_e64 s[6:7], v22, v19
	s_or_b64 s[6:7], s[6:7], s[46:47]
	s_and_b64 s[6:7], exec, s[6:7]
	v_cmp_eq_f32_e32 vcc, v22, v19
	s_or_b64 s[44:45], s[6:7], s[44:45]
	s_andn2_b64 s[6:7], s[42:43], exec
	s_and_b64 s[42:43], vcc, exec
	s_or_b64 s[42:43], s[6:7], s[42:43]
	s_andn2_b64 exec, exec, s[44:45]
	s_cbranch_execnz .LBB1174_32
; %bb.33:
	s_or_b64 exec, exec, s[44:45]
	s_xor_b64 s[6:7], s[18:19], -1
	v_cndmask_b32_e64 v40, 0, 1, s[6:7]
	s_xor_b64 s[6:7], s[38:39], -1
	v_cndmask_b32_e64 v16, 0, 1, s[6:7]
	v_lshlrev_b16_e32 v16, 8, v16
	s_xor_b64 s[6:7], s[12:13], -1
	v_lshrrev_b32_e32 v16, 8, v16
	v_mov_b32_e32 v20, 1
	s_xor_b64 s[12:13], s[40:41], -1
	v_cndmask_b32_e64 v19, 0, 1, s[6:7]
	s_xor_b64 s[6:7], s[36:37], -1
	v_and_b32_sdwa v16, v16, v20 dst_sel:BYTE_1 dst_unused:UNUSED_PAD src0_sel:DWORD src1_sel:DWORD
	v_cndmask_b32_e64 v20, 0, 1, s[12:13]
	v_cndmask_b32_e64 v17, 0, 1, s[6:7]
	s_xor_b64 s[6:7], s[42:43], -1
	v_or_b32_sdwa v22, v20, v16 dst_sel:WORD_1 dst_unused:UNUSED_PAD src0_sel:DWORD src1_sel:DWORD
	s_branch .LBB1174_38
.LBB1174_34:
                                        ; implicit-def: $sgpr6_sgpr7
                                        ; implicit-def: $vgpr19
                                        ; implicit-def: $vgpr40
                                        ; implicit-def: $vgpr17
                                        ; implicit-def: $vgpr21
	s_branch .LBB1174_91
.LBB1174_35:
                                        ; implicit-def: $vgpr42
                                        ; implicit-def: $vgpr41
                                        ; implicit-def: $vgpr20
	s_branch .LBB1174_160
.LBB1174_36:
                                        ; implicit-def: $sgpr6_sgpr7
                                        ; implicit-def: $vgpr19
                                        ; implicit-def: $vgpr40
                                        ; implicit-def: $vgpr17
                                        ; implicit-def: $vgpr21
	s_cbranch_execnz .LBB1174_45
	s_branch .LBB1174_90
.LBB1174_37:
	v_mov_b32_e32 v22, 0
	v_mov_b32_e32 v19, 0
	;; [unrolled: 1-line block ×4, first 2 shown]
.LBB1174_38:
	v_cmp_ne_u32_e32 vcc, 0, v0
	s_waitcnt lgkmcnt(0)
	v_mov_b64_e32 v[20:21], s[10:11]
	s_barrier
	s_and_saveexec_b64 s[12:13], vcc
; %bb.39:
	v_add_u32_e32 v16, -8, v25
	ds_read_b64 v[20:21], v16
; %bb.40:
	s_or_b64 exec, exec, s[12:13]
	v_cndmask_b32_e64 v23, 0, 1, s[6:7]
	v_lshrrev_b32_e32 v16, 16, v22
	s_mov_b32 s6, 0xc0c0304
	v_perm_b32 v16, v16, v22, s6
	v_lshlrev_b16_e32 v23, 8, v23
	s_movk_i32 s6, 0xff
	v_bitop3_b16 v22, v22, v23, s6 bitop3:0xec
	v_and_b32_e32 v26, 0xffff, v22
	s_mov_b64 s[12:13], 0
	s_and_b64 vcc, exec, s[4:5]
	s_mov_b64 s[6:7], 0
	s_cbranch_vccnz .LBB1174_44
; %bb.41:
	s_waitcnt lgkmcnt(0)
	v_mul_lo_u32 v22, v21, s30
	v_mul_lo_u32 v23, v20, s31
	v_mad_u64_u32 v[20:21], s[6:7], v20, s30, 0
	v_add3_u32 v21, v21, v23, v22
	v_mul_lo_u32 v27, v11, s30
	v_mul_lo_u32 v28, v10, s31
	v_mad_u64_u32 v[22:23], s[6:7], v10, s30, 0
	v_add3_u32 v23, v23, v28, v27
	s_add_u32 s36, s30, -1
	v_lshl_add_u64 v[20:21], v[20:21], 1, s[20:21]
	v_lshl_add_u64 v[22:23], v[22:23], 1, s[20:21]
	s_addc_u32 s37, s31, -1
	s_mov_b64 s[14:15], 0
                                        ; implicit-def: $sgpr18_sgpr19
.LBB1174_42:                            ; =>This Inner Loop Header: Depth=1
	global_load_ushort v27, v[22:23], off
	global_load_ushort v28, v[20:21], off
	s_add_u32 s6, s36, -1
	s_addc_u32 s7, s37, -1
	s_cmp_eq_u64 s[36:37], 0
	s_mov_b64 s[36:37], s[6:7]
	s_cselect_b64 s[38:39], -1, 0
	v_lshl_add_u64 v[20:21], v[20:21], 0, 2
	v_lshl_add_u64 v[22:23], v[22:23], 0, 2
	s_waitcnt vmcnt(1)
	v_lshlrev_b32_e32 v27, 16, v27
	s_waitcnt vmcnt(0)
	v_lshlrev_b32_e32 v28, 16, v28
	v_cmp_neq_f32_e64 s[6:7], v28, v27
	s_or_b64 s[6:7], s[6:7], s[38:39]
	s_and_b64 s[6:7], exec, s[6:7]
	v_cmp_eq_f32_e32 vcc, v28, v27
	s_or_b64 s[14:15], s[6:7], s[14:15]
	s_andn2_b64 s[6:7], s[18:19], exec
	s_and_b64 s[18:19], vcc, exec
	s_or_b64 s[18:19], s[6:7], s[18:19]
	s_andn2_b64 exec, exec, s[14:15]
	s_cbranch_execnz .LBB1174_42
; %bb.43:
	s_or_b64 exec, exec, s[14:15]
	s_xor_b64 s[6:7], s[18:19], -1
.LBB1174_44:
	s_waitcnt lgkmcnt(0)
	v_lshl_or_b32 v21, v16, 16, v26
	s_and_b64 vcc, exec, s[12:13]
	s_cbranch_vccz .LBB1174_90
.LBB1174_45:
	v_add_u32_e32 v16, 6, v1
	v_cmp_gt_u32_e32 vcc, s3, v16
	s_mov_b64 s[14:15], 0
	s_mov_b64 s[12:13], 0
	s_and_saveexec_b64 s[18:19], vcc
	s_cbranch_execz .LBB1174_51
; %bb.46:
	s_and_b64 vcc, exec, s[4:5]
	s_mov_b64 s[6:7], 0
	s_cbranch_vccnz .LBB1174_50
; %bb.47:
	v_mul_lo_u32 v19, v5, s30
	v_mul_lo_u32 v20, v4, s31
	v_mad_u64_u32 v[16:17], s[6:7], v4, s30, 0
	v_add3_u32 v17, v17, v20, v19
	v_mul_lo_u32 v19, v15, s30
	v_mul_lo_u32 v22, v14, s31
	v_mad_u64_u32 v[20:21], s[6:7], v14, s30, 0
	v_add3_u32 v21, v21, v22, v19
	s_add_u32 s38, s30, -1
	v_lshl_add_u64 v[16:17], v[16:17], 1, s[20:21]
	v_lshl_add_u64 v[20:21], v[20:21], 1, s[20:21]
	s_addc_u32 s39, s31, -1
                                        ; implicit-def: $sgpr36_sgpr37
.LBB1174_48:                            ; =>This Inner Loop Header: Depth=1
	global_load_ushort v19, v[20:21], off
	global_load_ushort v22, v[16:17], off
	s_add_u32 s6, s38, -1
	s_addc_u32 s7, s39, -1
	s_cmp_eq_u64 s[38:39], 0
	s_mov_b64 s[38:39], s[6:7]
	s_cselect_b64 s[40:41], -1, 0
	v_lshl_add_u64 v[16:17], v[16:17], 0, 2
	v_lshl_add_u64 v[20:21], v[20:21], 0, 2
	s_waitcnt vmcnt(1)
	v_lshlrev_b32_e32 v19, 16, v19
	s_waitcnt vmcnt(0)
	v_lshlrev_b32_e32 v22, 16, v22
	v_cmp_neq_f32_e64 s[6:7], v22, v19
	s_or_b64 s[6:7], s[6:7], s[40:41]
	s_and_b64 s[6:7], exec, s[6:7]
	v_cmp_eq_f32_e32 vcc, v22, v19
	s_or_b64 s[12:13], s[6:7], s[12:13]
	s_andn2_b64 s[6:7], s[36:37], exec
	s_and_b64 s[36:37], vcc, exec
	s_or_b64 s[36:37], s[6:7], s[36:37]
	s_andn2_b64 exec, exec, s[12:13]
	s_cbranch_execnz .LBB1174_48
; %bb.49:
	s_or_b64 exec, exec, s[12:13]
	s_xor_b64 s[6:7], s[36:37], -1
.LBB1174_50:
	s_and_b64 s[12:13], s[6:7], exec
.LBB1174_51:
	s_or_b64 exec, exec, s[18:19]
	v_add_u32_e32 v16, 5, v1
	v_cmp_gt_u32_e32 vcc, s3, v16
	s_and_saveexec_b64 s[18:19], vcc
	s_cbranch_execz .LBB1174_57
; %bb.52:
	s_and_b64 vcc, exec, s[4:5]
	s_mov_b64 s[6:7], 0
	s_cbranch_vccnz .LBB1174_56
; %bb.53:
	v_mul_lo_u32 v19, v3, s30
	v_mul_lo_u32 v20, v2, s31
	v_mad_u64_u32 v[16:17], s[6:7], v2, s30, 0
	v_add3_u32 v17, v17, v20, v19
	v_mul_lo_u32 v19, v5, s30
	v_mul_lo_u32 v22, v4, s31
	v_mad_u64_u32 v[20:21], s[6:7], v4, s30, 0
	v_add3_u32 v21, v21, v22, v19
	s_add_u32 s38, s30, -1
	v_lshl_add_u64 v[16:17], v[16:17], 1, s[20:21]
	v_lshl_add_u64 v[20:21], v[20:21], 1, s[20:21]
	s_addc_u32 s39, s31, -1
	s_mov_b64 s[14:15], 0
                                        ; implicit-def: $sgpr36_sgpr37
.LBB1174_54:                            ; =>This Inner Loop Header: Depth=1
	global_load_ushort v19, v[20:21], off
	global_load_ushort v22, v[16:17], off
	s_add_u32 s6, s38, -1
	s_addc_u32 s7, s39, -1
	s_cmp_eq_u64 s[38:39], 0
	s_mov_b64 s[38:39], s[6:7]
	s_cselect_b64 s[40:41], -1, 0
	v_lshl_add_u64 v[16:17], v[16:17], 0, 2
	v_lshl_add_u64 v[20:21], v[20:21], 0, 2
	s_waitcnt vmcnt(1)
	v_lshlrev_b32_e32 v19, 16, v19
	s_waitcnt vmcnt(0)
	v_lshlrev_b32_e32 v22, 16, v22
	v_cmp_neq_f32_e64 s[6:7], v22, v19
	s_or_b64 s[6:7], s[6:7], s[40:41]
	s_and_b64 s[6:7], exec, s[6:7]
	v_cmp_eq_f32_e32 vcc, v22, v19
	s_or_b64 s[14:15], s[6:7], s[14:15]
	s_andn2_b64 s[6:7], s[36:37], exec
	s_and_b64 s[36:37], vcc, exec
	s_or_b64 s[36:37], s[6:7], s[36:37]
	s_andn2_b64 exec, exec, s[14:15]
	s_cbranch_execnz .LBB1174_54
; %bb.55:
	s_or_b64 exec, exec, s[14:15]
	s_xor_b64 s[6:7], s[36:37], -1
.LBB1174_56:
	s_and_b64 s[14:15], s[6:7], exec
.LBB1174_57:
	s_or_b64 exec, exec, s[18:19]
	v_add_u32_e32 v16, 4, v1
	v_cmp_gt_u32_e32 vcc, s3, v16
	s_mov_b64 s[36:37], 0
	s_mov_b64 s[18:19], 0
	s_and_saveexec_b64 s[38:39], vcc
	s_cbranch_execz .LBB1174_63
; %bb.58:
	s_and_b64 vcc, exec, s[4:5]
	s_mov_b64 s[6:7], 0
	s_cbranch_vccnz .LBB1174_62
; %bb.59:
	v_mul_lo_u32 v19, v9, s30
	v_mul_lo_u32 v20, v8, s31
	v_mad_u64_u32 v[16:17], s[6:7], v8, s30, 0
	v_add3_u32 v17, v17, v20, v19
	v_mul_lo_u32 v19, v3, s30
	v_mul_lo_u32 v22, v2, s31
	v_mad_u64_u32 v[20:21], s[6:7], v2, s30, 0
	v_add3_u32 v21, v21, v22, v19
	s_add_u32 s42, s30, -1
	v_lshl_add_u64 v[16:17], v[16:17], 1, s[20:21]
	v_lshl_add_u64 v[20:21], v[20:21], 1, s[20:21]
	s_addc_u32 s43, s31, -1
                                        ; implicit-def: $sgpr40_sgpr41
.LBB1174_60:                            ; =>This Inner Loop Header: Depth=1
	global_load_ushort v19, v[20:21], off
	global_load_ushort v22, v[16:17], off
	s_add_u32 s6, s42, -1
	s_addc_u32 s7, s43, -1
	s_cmp_eq_u64 s[42:43], 0
	s_mov_b64 s[42:43], s[6:7]
	s_cselect_b64 s[44:45], -1, 0
	v_lshl_add_u64 v[16:17], v[16:17], 0, 2
	v_lshl_add_u64 v[20:21], v[20:21], 0, 2
	s_waitcnt vmcnt(1)
	v_lshlrev_b32_e32 v19, 16, v19
	s_waitcnt vmcnt(0)
	v_lshlrev_b32_e32 v22, 16, v22
	v_cmp_neq_f32_e64 s[6:7], v22, v19
	s_or_b64 s[6:7], s[6:7], s[44:45]
	s_and_b64 s[6:7], exec, s[6:7]
	v_cmp_eq_f32_e32 vcc, v22, v19
	s_or_b64 s[18:19], s[6:7], s[18:19]
	s_andn2_b64 s[6:7], s[40:41], exec
	s_and_b64 s[40:41], vcc, exec
	s_or_b64 s[40:41], s[6:7], s[40:41]
	s_andn2_b64 exec, exec, s[18:19]
	s_cbranch_execnz .LBB1174_60
; %bb.61:
	s_or_b64 exec, exec, s[18:19]
	s_xor_b64 s[6:7], s[40:41], -1
.LBB1174_62:
	s_and_b64 s[18:19], s[6:7], exec
.LBB1174_63:
	s_or_b64 exec, exec, s[38:39]
	v_add_u32_e32 v16, 3, v1
	v_cmp_gt_u32_e32 vcc, s3, v16
	s_and_saveexec_b64 s[38:39], vcc
	s_cbranch_execz .LBB1174_69
; %bb.64:
	s_and_b64 vcc, exec, s[4:5]
	s_mov_b64 s[6:7], 0
	s_cbranch_vccnz .LBB1174_68
; %bb.65:
	v_mul_lo_u32 v19, v7, s30
	v_mul_lo_u32 v20, v6, s31
	v_mad_u64_u32 v[16:17], s[6:7], v6, s30, 0
	v_add3_u32 v17, v17, v20, v19
	v_mul_lo_u32 v19, v9, s30
	v_mul_lo_u32 v22, v8, s31
	v_mad_u64_u32 v[20:21], s[6:7], v8, s30, 0
	v_add3_u32 v21, v21, v22, v19
	s_add_u32 s42, s30, -1
	v_lshl_add_u64 v[16:17], v[16:17], 1, s[20:21]
	v_lshl_add_u64 v[20:21], v[20:21], 1, s[20:21]
	s_addc_u32 s43, s31, -1
	s_mov_b64 s[36:37], 0
                                        ; implicit-def: $sgpr40_sgpr41
.LBB1174_66:                            ; =>This Inner Loop Header: Depth=1
	global_load_ushort v19, v[20:21], off
	global_load_ushort v22, v[16:17], off
	s_add_u32 s6, s42, -1
	s_addc_u32 s7, s43, -1
	s_cmp_eq_u64 s[42:43], 0
	s_mov_b64 s[42:43], s[6:7]
	s_cselect_b64 s[44:45], -1, 0
	v_lshl_add_u64 v[16:17], v[16:17], 0, 2
	v_lshl_add_u64 v[20:21], v[20:21], 0, 2
	s_waitcnt vmcnt(1)
	v_lshlrev_b32_e32 v19, 16, v19
	s_waitcnt vmcnt(0)
	v_lshlrev_b32_e32 v22, 16, v22
	v_cmp_neq_f32_e64 s[6:7], v22, v19
	s_or_b64 s[6:7], s[6:7], s[44:45]
	s_and_b64 s[6:7], exec, s[6:7]
	v_cmp_eq_f32_e32 vcc, v22, v19
	s_or_b64 s[36:37], s[6:7], s[36:37]
	s_andn2_b64 s[6:7], s[40:41], exec
	s_and_b64 s[40:41], vcc, exec
	s_or_b64 s[40:41], s[6:7], s[40:41]
	s_andn2_b64 exec, exec, s[36:37]
	s_cbranch_execnz .LBB1174_66
; %bb.67:
	s_or_b64 exec, exec, s[36:37]
	s_xor_b64 s[6:7], s[40:41], -1
.LBB1174_68:
	s_and_b64 s[36:37], s[6:7], exec
.LBB1174_69:
	s_or_b64 exec, exec, s[38:39]
	v_add_u32_e32 v16, 2, v1
	v_cmp_gt_u32_e32 vcc, s3, v16
	s_mov_b64 s[38:39], 0
	s_mov_b64 s[40:41], 0
	s_and_saveexec_b64 s[42:43], vcc
	s_cbranch_execz .LBB1174_75
; %bb.70:
	s_and_b64 vcc, exec, s[4:5]
	s_mov_b64 s[6:7], 0
	s_cbranch_vccnz .LBB1174_74
; %bb.71:
	v_mul_lo_u32 v19, v13, s30
	v_mul_lo_u32 v20, v12, s31
	v_mad_u64_u32 v[16:17], s[6:7], v12, s30, 0
	v_add3_u32 v17, v17, v20, v19
	v_mul_lo_u32 v19, v7, s30
	v_mul_lo_u32 v22, v6, s31
	v_mad_u64_u32 v[20:21], s[6:7], v6, s30, 0
	v_add3_u32 v21, v21, v22, v19
	s_add_u32 s46, s30, -1
	v_lshl_add_u64 v[16:17], v[16:17], 1, s[20:21]
	v_lshl_add_u64 v[20:21], v[20:21], 1, s[20:21]
	s_addc_u32 s47, s31, -1
                                        ; implicit-def: $sgpr44_sgpr45
.LBB1174_72:                            ; =>This Inner Loop Header: Depth=1
	global_load_ushort v19, v[20:21], off
	global_load_ushort v22, v[16:17], off
	s_add_u32 s6, s46, -1
	s_addc_u32 s7, s47, -1
	s_cmp_eq_u64 s[46:47], 0
	s_mov_b64 s[46:47], s[6:7]
	s_cselect_b64 s[48:49], -1, 0
	v_lshl_add_u64 v[16:17], v[16:17], 0, 2
	v_lshl_add_u64 v[20:21], v[20:21], 0, 2
	s_waitcnt vmcnt(1)
	v_lshlrev_b32_e32 v19, 16, v19
	s_waitcnt vmcnt(0)
	v_lshlrev_b32_e32 v22, 16, v22
	v_cmp_neq_f32_e64 s[6:7], v22, v19
	s_or_b64 s[6:7], s[6:7], s[48:49]
	s_and_b64 s[6:7], exec, s[6:7]
	v_cmp_eq_f32_e32 vcc, v22, v19
	s_or_b64 s[40:41], s[6:7], s[40:41]
	s_andn2_b64 s[6:7], s[44:45], exec
	s_and_b64 s[44:45], vcc, exec
	s_or_b64 s[44:45], s[6:7], s[44:45]
	s_andn2_b64 exec, exec, s[40:41]
	s_cbranch_execnz .LBB1174_72
; %bb.73:
	s_or_b64 exec, exec, s[40:41]
	s_xor_b64 s[6:7], s[44:45], -1
.LBB1174_74:
	s_and_b64 s[40:41], s[6:7], exec
.LBB1174_75:
	s_or_b64 exec, exec, s[42:43]
	v_add_u32_e32 v16, 1, v1
	v_cmp_gt_u32_e32 vcc, s3, v16
	s_and_saveexec_b64 s[42:43], vcc
	s_cbranch_execz .LBB1174_81
; %bb.76:
	s_and_b64 vcc, exec, s[4:5]
	s_mov_b64 s[6:7], 0
	s_cbranch_vccnz .LBB1174_80
; %bb.77:
	v_mul_lo_u32 v19, v11, s30
	v_mul_lo_u32 v20, v10, s31
	v_mad_u64_u32 v[16:17], s[6:7], v10, s30, 0
	v_add3_u32 v17, v17, v20, v19
	v_mul_lo_u32 v19, v13, s30
	v_mul_lo_u32 v22, v12, s31
	v_mad_u64_u32 v[20:21], s[6:7], v12, s30, 0
	v_add3_u32 v21, v21, v22, v19
	s_add_u32 s46, s30, -1
	v_lshl_add_u64 v[16:17], v[16:17], 1, s[20:21]
	v_lshl_add_u64 v[20:21], v[20:21], 1, s[20:21]
	s_addc_u32 s47, s31, -1
	s_mov_b64 s[38:39], 0
                                        ; implicit-def: $sgpr44_sgpr45
.LBB1174_78:                            ; =>This Inner Loop Header: Depth=1
	global_load_ushort v19, v[20:21], off
	global_load_ushort v22, v[16:17], off
	s_add_u32 s6, s46, -1
	s_addc_u32 s7, s47, -1
	s_cmp_eq_u64 s[46:47], 0
	s_mov_b64 s[46:47], s[6:7]
	s_cselect_b64 s[48:49], -1, 0
	v_lshl_add_u64 v[16:17], v[16:17], 0, 2
	v_lshl_add_u64 v[20:21], v[20:21], 0, 2
	s_waitcnt vmcnt(1)
	v_lshlrev_b32_e32 v19, 16, v19
	s_waitcnt vmcnt(0)
	v_lshlrev_b32_e32 v22, 16, v22
	v_cmp_neq_f32_e64 s[6:7], v22, v19
	s_or_b64 s[6:7], s[6:7], s[48:49]
	s_and_b64 s[6:7], exec, s[6:7]
	v_cmp_eq_f32_e32 vcc, v22, v19
	s_or_b64 s[38:39], s[6:7], s[38:39]
	s_andn2_b64 s[6:7], s[44:45], exec
	s_and_b64 s[44:45], vcc, exec
	s_or_b64 s[44:45], s[6:7], s[44:45]
	s_andn2_b64 exec, exec, s[38:39]
	s_cbranch_execnz .LBB1174_78
; %bb.79:
	s_or_b64 exec, exec, s[38:39]
	s_xor_b64 s[6:7], s[44:45], -1
.LBB1174_80:
	s_and_b64 s[38:39], s[6:7], exec
.LBB1174_81:
	s_or_b64 exec, exec, s[42:43]
	v_cmp_ne_u32_e32 vcc, 0, v0
	s_waitcnt lgkmcnt(0)
	v_mov_b64_e32 v[16:17], s[10:11]
	s_barrier
	s_and_saveexec_b64 s[6:7], vcc
; %bb.82:
	v_add_u32_e32 v16, -8, v25
	ds_read_b64 v[16:17], v16
; %bb.83:
	s_or_b64 exec, exec, s[6:7]
	v_cndmask_b32_e64 v20, 0, 1, s[36:37]
	v_cndmask_b32_e64 v19, 0, 1, s[40:41]
	;; [unrolled: 1-line block ×3, first 2 shown]
	v_lshlrev_b16_e32 v20, 8, v20
	v_cmp_gt_u32_e32 vcc, s3, v1
	v_lshlrev_b16_e32 v22, 8, v21
	v_or_b32_sdwa v23, v19, v20 dst_sel:WORD_1 dst_unused:UNUSED_PAD src0_sel:DWORD src1_sel:DWORD
	s_mov_b64 s[6:7], 0
	s_and_saveexec_b64 s[10:11], vcc
	s_cbranch_execz .LBB1174_89
; %bb.84:
	s_and_b64 vcc, exec, s[4:5]
	s_mov_b64 s[4:5], 0
	s_cbranch_vccnz .LBB1174_88
; %bb.85:
	s_waitcnt lgkmcnt(0)
	v_mul_lo_u32 v19, v17, s30
	v_mul_lo_u32 v20, v16, s31
	v_mad_u64_u32 v[16:17], s[4:5], v16, s30, 0
	v_add3_u32 v17, v17, v20, v19
	v_mul_lo_u32 v19, v11, s30
	v_mul_lo_u32 v25, v10, s31
	v_mad_u64_u32 v[20:21], s[4:5], v10, s30, 0
	v_add3_u32 v21, v21, v25, v19
	s_add_u32 s38, s30, -1
	v_lshl_add_u64 v[16:17], v[16:17], 1, s[20:21]
	v_lshl_add_u64 v[20:21], v[20:21], 1, s[20:21]
	s_addc_u32 s39, s31, -1
                                        ; implicit-def: $sgpr36_sgpr37
.LBB1174_86:                            ; =>This Inner Loop Header: Depth=1
	global_load_ushort v19, v[20:21], off
	global_load_ushort v25, v[16:17], off
	s_add_u32 s4, s38, -1
	s_addc_u32 s5, s39, -1
	s_cmp_eq_u64 s[38:39], 0
	s_mov_b64 s[38:39], s[4:5]
	s_cselect_b64 s[40:41], -1, 0
	v_lshl_add_u64 v[16:17], v[16:17], 0, 2
	v_lshl_add_u64 v[20:21], v[20:21], 0, 2
	s_waitcnt vmcnt(1)
	v_lshlrev_b32_e32 v19, 16, v19
	s_waitcnt vmcnt(0)
	v_lshlrev_b32_e32 v25, 16, v25
	v_cmp_neq_f32_e64 s[4:5], v25, v19
	s_or_b64 s[4:5], s[4:5], s[40:41]
	s_and_b64 s[4:5], exec, s[4:5]
	v_cmp_eq_f32_e32 vcc, v25, v19
	s_or_b64 s[6:7], s[4:5], s[6:7]
	s_andn2_b64 s[4:5], s[36:37], exec
	s_and_b64 s[36:37], vcc, exec
	s_or_b64 s[36:37], s[4:5], s[36:37]
	s_andn2_b64 exec, exec, s[6:7]
	s_cbranch_execnz .LBB1174_86
; %bb.87:
	s_or_b64 exec, exec, s[6:7]
	s_xor_b64 s[4:5], s[36:37], -1
.LBB1174_88:
	s_and_b64 s[6:7], s[4:5], exec
.LBB1174_89:
	s_or_b64 exec, exec, s[10:11]
	s_waitcnt lgkmcnt(0)
	v_cndmask_b32_e64 v17, 0, 1, s[18:19]
	v_cndmask_b32_e64 v40, 0, 1, s[14:15]
	;; [unrolled: 1-line block ×3, first 2 shown]
	v_or_b32_e32 v21, v22, v23
.LBB1174_90:
	s_waitcnt lgkmcnt(0)
	s_mov_b64 s[10:11], -1
	s_cbranch_execnz .LBB1174_35
.LBB1174_91:
	s_movk_i32 s4, 0xffd0
	v_mad_i32_i24 v26, v0, s4, v24
	s_mov_b64 s[6:7], 0
	v_cmp_gt_i64_e64 s[12:13], s[30:31], 0
	s_and_b64 vcc, exec, s[34:35]
	ds_write_b64 v26, v[14:15]
	s_cbranch_vccz .LBB1174_106
; %bb.92:
	v_cndmask_b32_e64 v16, 0, 1, s[12:13]
	v_cmp_ne_u32_e64 s[4:5], 1, v16
	s_andn2_b64 vcc, exec, s[12:13]
	s_cbranch_vccnz .LBB1174_107
; %bb.93:
	v_mul_lo_u32 v19, v5, s30
	v_mul_lo_u32 v20, v4, s31
	v_mad_u64_u32 v[16:17], s[6:7], v4, s30, 0
	v_add3_u32 v17, v17, v20, v19
	v_mul_lo_u32 v19, v15, s30
	v_mul_lo_u32 v22, v14, s31
	v_mad_u64_u32 v[20:21], s[6:7], v14, s30, 0
	s_add_u32 s18, s30, -1
	v_lshl_add_u64 v[16:17], v[16:17], 1, s[20:21]
	v_add3_u32 v21, v21, v22, v19
	s_addc_u32 s19, s31, -1
	v_lshl_add_u64 v[20:21], v[20:21], 1, s[20:21]
	s_mov_b64 s[36:37], 0
	s_mov_b64 s[38:39], s[18:19]
	v_mov_b64_e32 v[22:23], v[16:17]
                                        ; implicit-def: $sgpr14_sgpr15
.LBB1174_94:                            ; =>This Inner Loop Header: Depth=1
	global_load_ushort v19, v[20:21], off
	global_load_ushort v24, v[22:23], off
	s_add_u32 s6, s38, -1
	s_addc_u32 s7, s39, -1
	s_cmp_eq_u64 s[38:39], 0
	s_mov_b64 s[38:39], s[6:7]
	s_cselect_b64 s[40:41], -1, 0
	v_lshl_add_u64 v[22:23], v[22:23], 0, 2
	v_lshl_add_u64 v[20:21], v[20:21], 0, 2
	s_waitcnt vmcnt(1)
	v_lshlrev_b32_e32 v19, 16, v19
	s_waitcnt vmcnt(0)
	v_lshlrev_b32_e32 v24, 16, v24
	v_cmp_neq_f32_e64 s[6:7], v24, v19
	s_or_b64 s[6:7], s[6:7], s[40:41]
	s_and_b64 s[6:7], exec, s[6:7]
	v_cmp_eq_f32_e32 vcc, v24, v19
	s_or_b64 s[36:37], s[6:7], s[36:37]
	s_andn2_b64 s[6:7], s[14:15], exec
	s_and_b64 s[14:15], vcc, exec
	s_or_b64 s[14:15], s[6:7], s[14:15]
	s_andn2_b64 exec, exec, s[36:37]
	s_cbranch_execnz .LBB1174_94
; %bb.95:
	s_or_b64 exec, exec, s[36:37]
	v_mul_lo_u32 v19, v3, s30
	v_mul_lo_u32 v22, v2, s31
	v_mad_u64_u32 v[20:21], s[6:7], v2, s30, 0
	v_add3_u32 v21, v21, v22, v19
	v_lshl_add_u64 v[20:21], v[20:21], 1, s[20:21]
	s_mov_b64 s[38:39], 0
	s_mov_b64 s[40:41], s[18:19]
	v_mov_b64_e32 v[22:23], v[20:21]
                                        ; implicit-def: $sgpr36_sgpr37
.LBB1174_96:                            ; =>This Inner Loop Header: Depth=1
	global_load_ushort v19, v[16:17], off
	global_load_ushort v24, v[22:23], off
	s_add_u32 s6, s40, -1
	s_addc_u32 s7, s41, -1
	s_cmp_eq_u64 s[40:41], 0
	s_mov_b64 s[40:41], s[6:7]
	s_cselect_b64 s[42:43], -1, 0
	v_lshl_add_u64 v[22:23], v[22:23], 0, 2
	v_lshl_add_u64 v[16:17], v[16:17], 0, 2
	s_waitcnt vmcnt(1)
	v_lshlrev_b32_e32 v19, 16, v19
	s_waitcnt vmcnt(0)
	v_lshlrev_b32_e32 v24, 16, v24
	v_cmp_neq_f32_e64 s[6:7], v24, v19
	s_or_b64 s[6:7], s[6:7], s[42:43]
	s_and_b64 s[6:7], exec, s[6:7]
	v_cmp_eq_f32_e32 vcc, v24, v19
	s_or_b64 s[38:39], s[6:7], s[38:39]
	s_andn2_b64 s[6:7], s[36:37], exec
	s_and_b64 s[36:37], vcc, exec
	s_or_b64 s[36:37], s[6:7], s[36:37]
	s_andn2_b64 exec, exec, s[38:39]
	s_cbranch_execnz .LBB1174_96
; %bb.97:
	s_or_b64 exec, exec, s[38:39]
	v_mul_lo_u32 v19, v9, s30
	v_mul_lo_u32 v22, v8, s31
	v_mad_u64_u32 v[16:17], s[6:7], v8, s30, 0
	v_add3_u32 v17, v17, v22, v19
	v_lshl_add_u64 v[16:17], v[16:17], 1, s[20:21]
	s_mov_b64 s[40:41], 0
	s_mov_b64 s[42:43], s[18:19]
	v_mov_b64_e32 v[22:23], v[16:17]
                                        ; implicit-def: $sgpr38_sgpr39
.LBB1174_98:                            ; =>This Inner Loop Header: Depth=1
	global_load_ushort v19, v[20:21], off
	global_load_ushort v24, v[22:23], off
	s_add_u32 s6, s42, -1
	s_addc_u32 s7, s43, -1
	s_cmp_eq_u64 s[42:43], 0
	s_mov_b64 s[42:43], s[6:7]
	s_cselect_b64 s[44:45], -1, 0
	v_lshl_add_u64 v[22:23], v[22:23], 0, 2
	v_lshl_add_u64 v[20:21], v[20:21], 0, 2
	s_waitcnt vmcnt(1)
	v_lshlrev_b32_e32 v19, 16, v19
	s_waitcnt vmcnt(0)
	v_lshlrev_b32_e32 v24, 16, v24
	v_cmp_neq_f32_e64 s[6:7], v24, v19
	s_or_b64 s[6:7], s[6:7], s[44:45]
	s_and_b64 s[6:7], exec, s[6:7]
	v_cmp_eq_f32_e32 vcc, v24, v19
	s_or_b64 s[40:41], s[6:7], s[40:41]
	s_andn2_b64 s[6:7], s[38:39], exec
	s_and_b64 s[38:39], vcc, exec
	s_or_b64 s[38:39], s[6:7], s[38:39]
	s_andn2_b64 exec, exec, s[40:41]
	s_cbranch_execnz .LBB1174_98
; %bb.99:
	s_or_b64 exec, exec, s[40:41]
	v_mul_lo_u32 v19, v7, s30
	v_mul_lo_u32 v22, v6, s31
	v_mad_u64_u32 v[20:21], s[6:7], v6, s30, 0
	v_add3_u32 v21, v21, v22, v19
	v_lshl_add_u64 v[20:21], v[20:21], 1, s[20:21]
	s_mov_b64 s[42:43], 0
	s_mov_b64 s[44:45], s[18:19]
	v_mov_b64_e32 v[22:23], v[20:21]
                                        ; implicit-def: $sgpr40_sgpr41
.LBB1174_100:                           ; =>This Inner Loop Header: Depth=1
	global_load_ushort v19, v[16:17], off
	global_load_ushort v24, v[22:23], off
	s_add_u32 s6, s44, -1
	s_addc_u32 s7, s45, -1
	s_cmp_eq_u64 s[44:45], 0
	s_mov_b64 s[44:45], s[6:7]
	s_cselect_b64 s[46:47], -1, 0
	v_lshl_add_u64 v[22:23], v[22:23], 0, 2
	v_lshl_add_u64 v[16:17], v[16:17], 0, 2
	s_waitcnt vmcnt(1)
	v_lshlrev_b32_e32 v19, 16, v19
	s_waitcnt vmcnt(0)
	v_lshlrev_b32_e32 v24, 16, v24
	v_cmp_neq_f32_e64 s[6:7], v24, v19
	s_or_b64 s[6:7], s[6:7], s[46:47]
	s_and_b64 s[6:7], exec, s[6:7]
	v_cmp_eq_f32_e32 vcc, v24, v19
	s_or_b64 s[42:43], s[6:7], s[42:43]
	s_andn2_b64 s[6:7], s[40:41], exec
	s_and_b64 s[40:41], vcc, exec
	s_or_b64 s[40:41], s[6:7], s[40:41]
	s_andn2_b64 exec, exec, s[42:43]
	s_cbranch_execnz .LBB1174_100
; %bb.101:
	s_or_b64 exec, exec, s[42:43]
	v_mul_lo_u32 v19, v13, s30
	v_mul_lo_u32 v22, v12, s31
	v_mad_u64_u32 v[16:17], s[6:7], v12, s30, 0
	v_add3_u32 v17, v17, v22, v19
	v_lshl_add_u64 v[16:17], v[16:17], 1, s[20:21]
	s_mov_b64 s[44:45], 0
	s_mov_b64 s[46:47], s[18:19]
	v_mov_b64_e32 v[22:23], v[16:17]
                                        ; implicit-def: $sgpr42_sgpr43
.LBB1174_102:                           ; =>This Inner Loop Header: Depth=1
	global_load_ushort v19, v[20:21], off
	global_load_ushort v24, v[22:23], off
	s_add_u32 s6, s46, -1
	s_addc_u32 s7, s47, -1
	s_cmp_eq_u64 s[46:47], 0
	s_mov_b64 s[46:47], s[6:7]
	s_cselect_b64 s[48:49], -1, 0
	v_lshl_add_u64 v[22:23], v[22:23], 0, 2
	v_lshl_add_u64 v[20:21], v[20:21], 0, 2
	s_waitcnt vmcnt(1)
	v_lshlrev_b32_e32 v19, 16, v19
	s_waitcnt vmcnt(0)
	v_lshlrev_b32_e32 v24, 16, v24
	v_cmp_neq_f32_e64 s[6:7], v24, v19
	s_or_b64 s[6:7], s[6:7], s[48:49]
	s_and_b64 s[6:7], exec, s[6:7]
	v_cmp_eq_f32_e32 vcc, v24, v19
	s_or_b64 s[44:45], s[6:7], s[44:45]
	s_andn2_b64 s[6:7], s[42:43], exec
	s_and_b64 s[42:43], vcc, exec
	s_or_b64 s[42:43], s[6:7], s[42:43]
	s_andn2_b64 exec, exec, s[44:45]
	s_cbranch_execnz .LBB1174_102
; %bb.103:
	s_or_b64 exec, exec, s[44:45]
	v_mul_lo_u32 v19, v11, s30
	v_mul_lo_u32 v22, v10, s31
	v_mad_u64_u32 v[20:21], s[6:7], v10, s30, 0
	v_add3_u32 v21, v21, v22, v19
	v_lshl_add_u64 v[20:21], v[20:21], 1, s[20:21]
	s_mov_b64 s[46:47], 0
                                        ; implicit-def: $sgpr44_sgpr45
.LBB1174_104:                           ; =>This Inner Loop Header: Depth=1
	global_load_ushort v19, v[16:17], off
	global_load_ushort v22, v[20:21], off
	s_add_u32 s6, s18, -1
	s_addc_u32 s7, s19, -1
	s_cmp_eq_u64 s[18:19], 0
	s_mov_b64 s[18:19], s[6:7]
	s_cselect_b64 s[48:49], -1, 0
	v_lshl_add_u64 v[20:21], v[20:21], 0, 2
	v_lshl_add_u64 v[16:17], v[16:17], 0, 2
	s_waitcnt vmcnt(1)
	v_lshlrev_b32_e32 v19, 16, v19
	s_waitcnt vmcnt(0)
	v_lshlrev_b32_e32 v22, 16, v22
	v_cmp_neq_f32_e64 s[6:7], v22, v19
	s_or_b64 s[6:7], s[6:7], s[48:49]
	s_and_b64 s[6:7], exec, s[6:7]
	v_cmp_eq_f32_e32 vcc, v22, v19
	s_or_b64 s[46:47], s[6:7], s[46:47]
	s_andn2_b64 s[6:7], s[44:45], exec
	s_and_b64 s[44:45], vcc, exec
	s_or_b64 s[44:45], s[6:7], s[44:45]
	s_andn2_b64 exec, exec, s[46:47]
	s_cbranch_execnz .LBB1174_104
; %bb.105:
	s_or_b64 exec, exec, s[46:47]
	s_xor_b64 s[6:7], s[36:37], -1
	v_cndmask_b32_e64 v40, 0, 1, s[6:7]
	s_xor_b64 s[6:7], s[40:41], -1
	v_cndmask_b32_e64 v16, 0, 1, s[6:7]
	v_lshlrev_b16_e32 v16, 8, v16
	s_xor_b64 s[6:7], s[14:15], -1
	v_lshrrev_b32_e32 v16, 8, v16
	v_mov_b32_e32 v20, 1
	s_xor_b64 s[14:15], s[42:43], -1
	v_cndmask_b32_e64 v19, 0, 1, s[6:7]
	s_xor_b64 s[6:7], s[38:39], -1
	v_and_b32_sdwa v16, v16, v20 dst_sel:BYTE_1 dst_unused:UNUSED_PAD src0_sel:DWORD src1_sel:DWORD
	v_cndmask_b32_e64 v20, 0, 1, s[14:15]
	v_cndmask_b32_e64 v17, 0, 1, s[6:7]
	s_xor_b64 s[6:7], s[44:45], -1
	v_or_b32_sdwa v16, v20, v16 dst_sel:WORD_1 dst_unused:UNUSED_PAD src0_sel:DWORD src1_sel:DWORD
	s_branch .LBB1174_108
.LBB1174_106:
                                        ; implicit-def: $sgpr6_sgpr7
                                        ; implicit-def: $vgpr19
                                        ; implicit-def: $vgpr40
                                        ; implicit-def: $vgpr17
                                        ; implicit-def: $vgpr21
                                        ; implicit-def: $vgpr42
                                        ; implicit-def: $vgpr41
                                        ; implicit-def: $vgpr20
	s_cbranch_execnz .LBB1174_115
	s_branch .LBB1174_160
.LBB1174_107:
	v_mov_b32_e32 v16, 0
	v_mov_b32_e32 v19, 0
	;; [unrolled: 1-line block ×4, first 2 shown]
.LBB1174_108:
	v_lshrrev_b32_e32 v41, 16, v16
	v_lshrrev_b32_e32 v20, 24, v16
	v_cndmask_b32_e64 v42, 0, 1, s[6:7]
	v_mov_b32_e32 v16, 1
	v_cmp_ne_u32_e32 vcc, 0, v0
	s_waitcnt lgkmcnt(0)
	s_barrier
                                        ; implicit-def: $sgpr6_sgpr7
                                        ; implicit-def: $vgpr21
	s_and_saveexec_b64 s[14:15], vcc
	s_xor_b64 s[14:15], exec, s[14:15]
	s_cbranch_execz .LBB1174_114
; %bb.109:
	v_lshlrev_b16_e32 v21, 8, v20
	s_movk_i32 s6, 0xff
	v_bitop3_b16 v21, v41, v21, s6 bitop3:0xec
	v_lshlrev_b16_e32 v22, 8, v42
	v_lshlrev_b32_e32 v21, 16, v21
	v_or_b32_e32 v22, 1, v22
	v_or_b32_sdwa v21, v22, v21 dst_sel:DWORD dst_unused:UNUSED_PAD src0_sel:WORD_0 src1_sel:DWORD
	s_mov_b32 s33, 0x3020104
	s_and_b64 vcc, exec, s[4:5]
	s_mov_b64 s[6:7], 0
	s_cbranch_vccnz .LBB1174_113
; %bb.110:
	v_add_u32_e32 v22, -8, v26
	ds_read_b64 v[22:23], v22
	v_mul_lo_u32 v27, v11, s30
	v_mul_lo_u32 v28, v10, s31
	s_add_u32 s36, s30, -1
	s_addc_u32 s37, s31, -1
	s_waitcnt lgkmcnt(0)
	v_mul_lo_u32 v24, v23, s30
	v_mul_lo_u32 v25, v22, s31
	v_mad_u64_u32 v[22:23], s[4:5], v22, s30, 0
	v_add3_u32 v23, v23, v25, v24
	v_mad_u64_u32 v[24:25], s[4:5], v10, s30, 0
	v_add3_u32 v25, v25, v28, v27
	v_lshl_add_u64 v[22:23], v[22:23], 1, s[20:21]
	v_lshl_add_u64 v[24:25], v[24:25], 1, s[20:21]
                                        ; implicit-def: $sgpr18_sgpr19
.LBB1174_111:                           ; =>This Inner Loop Header: Depth=1
	global_load_ushort v27, v[24:25], off
	global_load_ushort v28, v[22:23], off
	s_add_u32 s4, s36, -1
	s_addc_u32 s5, s37, -1
	s_cmp_eq_u64 s[36:37], 0
	s_mov_b64 s[36:37], s[4:5]
	s_cselect_b64 s[38:39], -1, 0
	v_lshl_add_u64 v[22:23], v[22:23], 0, 2
	v_lshl_add_u64 v[24:25], v[24:25], 0, 2
	s_waitcnt vmcnt(1)
	v_lshlrev_b32_e32 v27, 16, v27
	s_waitcnt vmcnt(0)
	v_lshlrev_b32_e32 v28, 16, v28
	v_cmp_neq_f32_e64 s[4:5], v28, v27
	s_or_b64 s[4:5], s[4:5], s[38:39]
	s_and_b64 s[4:5], exec, s[4:5]
	v_cmp_eq_f32_e32 vcc, v28, v27
	s_or_b64 s[6:7], s[4:5], s[6:7]
	s_andn2_b64 s[4:5], s[18:19], exec
	s_and_b64 s[18:19], vcc, exec
	s_or_b64 s[18:19], s[4:5], s[18:19]
	s_andn2_b64 exec, exec, s[6:7]
	s_cbranch_execnz .LBB1174_111
; %bb.112:
	s_or_b64 exec, exec, s[6:7]
	s_xor_b64 s[6:7], s[18:19], -1
.LBB1174_113:
	v_perm_b32 v21, v21, v21, s33
	s_or_b64 s[10:11], s[10:11], exec
.LBB1174_114:
	s_or_b64 exec, exec, s[14:15]
	s_branch .LBB1174_160
.LBB1174_115:
	v_add_u32_e32 v16, 6, v1
	v_cmp_gt_u32_e32 vcc, s3, v16
	s_mov_b64 s[14:15], 0
	s_mov_b64 s[6:7], 0
	s_and_saveexec_b64 s[18:19], vcc
	s_cbranch_execz .LBB1174_121
; %bb.116:
	s_andn2_b64 vcc, exec, s[12:13]
	s_mov_b64 s[4:5], 0
	s_cbranch_vccnz .LBB1174_120
; %bb.117:
	v_mul_lo_u32 v19, v5, s30
	v_mul_lo_u32 v20, v4, s31
	v_mad_u64_u32 v[16:17], s[4:5], v4, s30, 0
	v_add3_u32 v17, v17, v20, v19
	v_mul_lo_u32 v19, v15, s30
	v_mul_lo_u32 v22, v14, s31
	v_mad_u64_u32 v[20:21], s[4:5], v14, s30, 0
	v_add3_u32 v21, v21, v22, v19
	s_add_u32 s38, s30, -1
	v_lshl_add_u64 v[16:17], v[16:17], 1, s[20:21]
	v_lshl_add_u64 v[20:21], v[20:21], 1, s[20:21]
	s_addc_u32 s39, s31, -1
                                        ; implicit-def: $sgpr36_sgpr37
.LBB1174_118:                           ; =>This Inner Loop Header: Depth=1
	global_load_ushort v19, v[20:21], off
	global_load_ushort v22, v[16:17], off
	s_add_u32 s4, s38, -1
	s_addc_u32 s5, s39, -1
	s_cmp_eq_u64 s[38:39], 0
	s_mov_b64 s[38:39], s[4:5]
	s_cselect_b64 s[40:41], -1, 0
	v_lshl_add_u64 v[16:17], v[16:17], 0, 2
	v_lshl_add_u64 v[20:21], v[20:21], 0, 2
	s_waitcnt vmcnt(1)
	v_lshlrev_b32_e32 v19, 16, v19
	s_waitcnt vmcnt(0)
	v_lshlrev_b32_e32 v22, 16, v22
	v_cmp_neq_f32_e64 s[4:5], v22, v19
	s_or_b64 s[4:5], s[4:5], s[40:41]
	s_and_b64 s[4:5], exec, s[4:5]
	v_cmp_eq_f32_e32 vcc, v22, v19
	s_or_b64 s[6:7], s[4:5], s[6:7]
	s_andn2_b64 s[4:5], s[36:37], exec
	s_and_b64 s[36:37], vcc, exec
	s_or_b64 s[36:37], s[4:5], s[36:37]
	s_andn2_b64 exec, exec, s[6:7]
	s_cbranch_execnz .LBB1174_118
; %bb.119:
	s_or_b64 exec, exec, s[6:7]
	s_xor_b64 s[4:5], s[36:37], -1
.LBB1174_120:
	s_and_b64 s[6:7], s[4:5], exec
.LBB1174_121:
	s_or_b64 exec, exec, s[18:19]
	v_add_u32_e32 v16, 5, v1
	v_cmp_gt_u32_e32 vcc, s3, v16
	s_and_saveexec_b64 s[18:19], vcc
	s_cbranch_execz .LBB1174_127
; %bb.122:
	s_andn2_b64 vcc, exec, s[12:13]
	s_mov_b64 s[4:5], 0
	s_cbranch_vccnz .LBB1174_126
; %bb.123:
	v_mul_lo_u32 v19, v3, s30
	v_mul_lo_u32 v20, v2, s31
	v_mad_u64_u32 v[16:17], s[4:5], v2, s30, 0
	v_add3_u32 v17, v17, v20, v19
	v_mul_lo_u32 v19, v5, s30
	v_mul_lo_u32 v22, v4, s31
	v_mad_u64_u32 v[20:21], s[4:5], v4, s30, 0
	v_add3_u32 v21, v21, v22, v19
	s_add_u32 s38, s30, -1
	v_lshl_add_u64 v[16:17], v[16:17], 1, s[20:21]
	v_lshl_add_u64 v[20:21], v[20:21], 1, s[20:21]
	s_addc_u32 s39, s31, -1
	s_mov_b64 s[14:15], 0
                                        ; implicit-def: $sgpr36_sgpr37
.LBB1174_124:                           ; =>This Inner Loop Header: Depth=1
	global_load_ushort v19, v[20:21], off
	global_load_ushort v22, v[16:17], off
	s_add_u32 s4, s38, -1
	s_addc_u32 s5, s39, -1
	s_cmp_eq_u64 s[38:39], 0
	s_mov_b64 s[38:39], s[4:5]
	s_cselect_b64 s[40:41], -1, 0
	v_lshl_add_u64 v[16:17], v[16:17], 0, 2
	v_lshl_add_u64 v[20:21], v[20:21], 0, 2
	s_waitcnt vmcnt(1)
	v_lshlrev_b32_e32 v19, 16, v19
	s_waitcnt vmcnt(0)
	v_lshlrev_b32_e32 v22, 16, v22
	v_cmp_neq_f32_e64 s[4:5], v22, v19
	s_or_b64 s[4:5], s[4:5], s[40:41]
	s_and_b64 s[4:5], exec, s[4:5]
	v_cmp_eq_f32_e32 vcc, v22, v19
	s_or_b64 s[14:15], s[4:5], s[14:15]
	s_andn2_b64 s[4:5], s[36:37], exec
	s_and_b64 s[36:37], vcc, exec
	s_or_b64 s[36:37], s[4:5], s[36:37]
	s_andn2_b64 exec, exec, s[14:15]
	s_cbranch_execnz .LBB1174_124
; %bb.125:
	s_or_b64 exec, exec, s[14:15]
	s_xor_b64 s[4:5], s[36:37], -1
.LBB1174_126:
	s_and_b64 s[14:15], s[4:5], exec
.LBB1174_127:
	s_or_b64 exec, exec, s[18:19]
	v_add_u32_e32 v16, 4, v1
	v_cmp_gt_u32_e32 vcc, s3, v16
	s_mov_b64 s[18:19], 0
	s_mov_b64 s[36:37], 0
	s_and_saveexec_b64 s[38:39], vcc
	s_cbranch_execz .LBB1174_133
; %bb.128:
	s_andn2_b64 vcc, exec, s[12:13]
	s_mov_b64 s[4:5], 0
	s_cbranch_vccnz .LBB1174_132
; %bb.129:
	v_mul_lo_u32 v19, v9, s30
	v_mul_lo_u32 v20, v8, s31
	v_mad_u64_u32 v[16:17], s[4:5], v8, s30, 0
	v_add3_u32 v17, v17, v20, v19
	v_mul_lo_u32 v19, v3, s30
	v_mul_lo_u32 v22, v2, s31
	v_mad_u64_u32 v[20:21], s[4:5], v2, s30, 0
	v_add3_u32 v21, v21, v22, v19
	s_add_u32 s42, s30, -1
	v_lshl_add_u64 v[16:17], v[16:17], 1, s[20:21]
	v_lshl_add_u64 v[20:21], v[20:21], 1, s[20:21]
	s_addc_u32 s43, s31, -1
                                        ; implicit-def: $sgpr40_sgpr41
.LBB1174_130:                           ; =>This Inner Loop Header: Depth=1
	global_load_ushort v19, v[20:21], off
	global_load_ushort v22, v[16:17], off
	s_add_u32 s4, s42, -1
	s_addc_u32 s5, s43, -1
	s_cmp_eq_u64 s[42:43], 0
	s_mov_b64 s[42:43], s[4:5]
	s_cselect_b64 s[44:45], -1, 0
	v_lshl_add_u64 v[16:17], v[16:17], 0, 2
	v_lshl_add_u64 v[20:21], v[20:21], 0, 2
	s_waitcnt vmcnt(1)
	v_lshlrev_b32_e32 v19, 16, v19
	s_waitcnt vmcnt(0)
	v_lshlrev_b32_e32 v22, 16, v22
	v_cmp_neq_f32_e64 s[4:5], v22, v19
	s_or_b64 s[4:5], s[4:5], s[44:45]
	s_and_b64 s[4:5], exec, s[4:5]
	v_cmp_eq_f32_e32 vcc, v22, v19
	s_or_b64 s[36:37], s[4:5], s[36:37]
	s_andn2_b64 s[4:5], s[40:41], exec
	s_and_b64 s[40:41], vcc, exec
	s_or_b64 s[40:41], s[4:5], s[40:41]
	s_andn2_b64 exec, exec, s[36:37]
	s_cbranch_execnz .LBB1174_130
; %bb.131:
	s_or_b64 exec, exec, s[36:37]
	s_xor_b64 s[4:5], s[40:41], -1
.LBB1174_132:
	s_and_b64 s[36:37], s[4:5], exec
.LBB1174_133:
	s_or_b64 exec, exec, s[38:39]
	v_add_u32_e32 v16, 3, v1
	v_cmp_gt_u32_e32 vcc, s3, v16
	s_and_saveexec_b64 s[38:39], vcc
	s_cbranch_execz .LBB1174_139
; %bb.134:
	s_andn2_b64 vcc, exec, s[12:13]
	s_mov_b64 s[4:5], 0
	s_cbranch_vccnz .LBB1174_138
; %bb.135:
	v_mul_lo_u32 v19, v7, s30
	v_mul_lo_u32 v20, v6, s31
	v_mad_u64_u32 v[16:17], s[4:5], v6, s30, 0
	v_add3_u32 v17, v17, v20, v19
	v_mul_lo_u32 v19, v9, s30
	v_mul_lo_u32 v22, v8, s31
	v_mad_u64_u32 v[20:21], s[4:5], v8, s30, 0
	v_add3_u32 v21, v21, v22, v19
	s_add_u32 s42, s30, -1
	v_lshl_add_u64 v[16:17], v[16:17], 1, s[20:21]
	v_lshl_add_u64 v[20:21], v[20:21], 1, s[20:21]
	s_addc_u32 s43, s31, -1
	s_mov_b64 s[18:19], 0
                                        ; implicit-def: $sgpr40_sgpr41
.LBB1174_136:                           ; =>This Inner Loop Header: Depth=1
	global_load_ushort v19, v[20:21], off
	global_load_ushort v22, v[16:17], off
	s_add_u32 s4, s42, -1
	s_addc_u32 s5, s43, -1
	s_cmp_eq_u64 s[42:43], 0
	s_mov_b64 s[42:43], s[4:5]
	s_cselect_b64 s[44:45], -1, 0
	v_lshl_add_u64 v[16:17], v[16:17], 0, 2
	v_lshl_add_u64 v[20:21], v[20:21], 0, 2
	s_waitcnt vmcnt(1)
	v_lshlrev_b32_e32 v19, 16, v19
	s_waitcnt vmcnt(0)
	v_lshlrev_b32_e32 v22, 16, v22
	v_cmp_neq_f32_e64 s[4:5], v22, v19
	s_or_b64 s[4:5], s[4:5], s[44:45]
	s_and_b64 s[4:5], exec, s[4:5]
	v_cmp_eq_f32_e32 vcc, v22, v19
	s_or_b64 s[18:19], s[4:5], s[18:19]
	s_andn2_b64 s[4:5], s[40:41], exec
	s_and_b64 s[40:41], vcc, exec
	s_or_b64 s[40:41], s[4:5], s[40:41]
	s_andn2_b64 exec, exec, s[18:19]
	s_cbranch_execnz .LBB1174_136
; %bb.137:
	s_or_b64 exec, exec, s[18:19]
	s_xor_b64 s[4:5], s[40:41], -1
.LBB1174_138:
	s_and_b64 s[18:19], s[4:5], exec
.LBB1174_139:
	s_or_b64 exec, exec, s[38:39]
	v_add_u32_e32 v16, 2, v1
	v_cmp_gt_u32_e32 vcc, s3, v16
	s_mov_b64 s[38:39], 0
	s_mov_b64 s[40:41], 0
	s_and_saveexec_b64 s[42:43], vcc
	s_cbranch_execz .LBB1174_145
; %bb.140:
	s_andn2_b64 vcc, exec, s[12:13]
	s_mov_b64 s[4:5], 0
	s_cbranch_vccnz .LBB1174_144
; %bb.141:
	v_mul_lo_u32 v19, v13, s30
	v_mul_lo_u32 v20, v12, s31
	v_mad_u64_u32 v[16:17], s[4:5], v12, s30, 0
	v_add3_u32 v17, v17, v20, v19
	v_mul_lo_u32 v19, v7, s30
	v_mul_lo_u32 v22, v6, s31
	v_mad_u64_u32 v[20:21], s[4:5], v6, s30, 0
	v_add3_u32 v21, v21, v22, v19
	s_add_u32 s46, s30, -1
	v_lshl_add_u64 v[16:17], v[16:17], 1, s[20:21]
	v_lshl_add_u64 v[20:21], v[20:21], 1, s[20:21]
	s_addc_u32 s47, s31, -1
                                        ; implicit-def: $sgpr44_sgpr45
.LBB1174_142:                           ; =>This Inner Loop Header: Depth=1
	global_load_ushort v19, v[20:21], off
	global_load_ushort v22, v[16:17], off
	s_add_u32 s4, s46, -1
	s_addc_u32 s5, s47, -1
	s_cmp_eq_u64 s[46:47], 0
	s_mov_b64 s[46:47], s[4:5]
	s_cselect_b64 s[48:49], -1, 0
	v_lshl_add_u64 v[16:17], v[16:17], 0, 2
	v_lshl_add_u64 v[20:21], v[20:21], 0, 2
	s_waitcnt vmcnt(1)
	v_lshlrev_b32_e32 v19, 16, v19
	s_waitcnt vmcnt(0)
	v_lshlrev_b32_e32 v22, 16, v22
	v_cmp_neq_f32_e64 s[4:5], v22, v19
	s_or_b64 s[4:5], s[4:5], s[48:49]
	s_and_b64 s[4:5], exec, s[4:5]
	v_cmp_eq_f32_e32 vcc, v22, v19
	s_or_b64 s[40:41], s[4:5], s[40:41]
	s_andn2_b64 s[4:5], s[44:45], exec
	s_and_b64 s[44:45], vcc, exec
	s_or_b64 s[44:45], s[4:5], s[44:45]
	s_andn2_b64 exec, exec, s[40:41]
	s_cbranch_execnz .LBB1174_142
; %bb.143:
	s_or_b64 exec, exec, s[40:41]
	s_xor_b64 s[4:5], s[44:45], -1
.LBB1174_144:
	s_and_b64 s[40:41], s[4:5], exec
.LBB1174_145:
	s_or_b64 exec, exec, s[42:43]
	v_add_u32_e32 v16, 1, v1
	v_cmp_gt_u32_e32 vcc, s3, v16
	s_and_saveexec_b64 s[42:43], vcc
	s_cbranch_execz .LBB1174_151
; %bb.146:
	s_andn2_b64 vcc, exec, s[12:13]
	s_mov_b64 s[4:5], 0
	s_cbranch_vccnz .LBB1174_150
; %bb.147:
	v_mul_lo_u32 v19, v11, s30
	v_mul_lo_u32 v20, v10, s31
	v_mad_u64_u32 v[16:17], s[4:5], v10, s30, 0
	v_add3_u32 v17, v17, v20, v19
	v_mul_lo_u32 v19, v13, s30
	v_mul_lo_u32 v22, v12, s31
	v_mad_u64_u32 v[20:21], s[4:5], v12, s30, 0
	v_add3_u32 v21, v21, v22, v19
	s_add_u32 s46, s30, -1
	v_lshl_add_u64 v[16:17], v[16:17], 1, s[20:21]
	v_lshl_add_u64 v[20:21], v[20:21], 1, s[20:21]
	s_addc_u32 s47, s31, -1
	s_mov_b64 s[38:39], 0
                                        ; implicit-def: $sgpr44_sgpr45
.LBB1174_148:                           ; =>This Inner Loop Header: Depth=1
	global_load_ushort v19, v[20:21], off
	global_load_ushort v22, v[16:17], off
	s_add_u32 s4, s46, -1
	s_addc_u32 s5, s47, -1
	s_cmp_eq_u64 s[46:47], 0
	s_mov_b64 s[46:47], s[4:5]
	s_cselect_b64 s[48:49], -1, 0
	v_lshl_add_u64 v[16:17], v[16:17], 0, 2
	v_lshl_add_u64 v[20:21], v[20:21], 0, 2
	s_waitcnt vmcnt(1)
	v_lshlrev_b32_e32 v19, 16, v19
	s_waitcnt vmcnt(0)
	v_lshlrev_b32_e32 v22, 16, v22
	v_cmp_neq_f32_e64 s[4:5], v22, v19
	s_or_b64 s[4:5], s[4:5], s[48:49]
	s_and_b64 s[4:5], exec, s[4:5]
	v_cmp_eq_f32_e32 vcc, v22, v19
	s_or_b64 s[38:39], s[4:5], s[38:39]
	s_andn2_b64 s[4:5], s[44:45], exec
	s_and_b64 s[44:45], vcc, exec
	s_or_b64 s[44:45], s[4:5], s[44:45]
	s_andn2_b64 exec, exec, s[38:39]
	s_cbranch_execnz .LBB1174_148
; %bb.149:
	s_or_b64 exec, exec, s[38:39]
	s_xor_b64 s[4:5], s[44:45], -1
.LBB1174_150:
	s_and_b64 s[38:39], s[4:5], exec
.LBB1174_151:
	s_or_b64 exec, exec, s[42:43]
	v_cndmask_b32_e64 v17, 0, 1, s[36:37]
	v_cndmask_b32_e64 v40, 0, 1, s[14:15]
	v_cndmask_b32_e64 v19, 0, 1, s[6:7]
	v_cndmask_b32_e64 v41, 0, 1, s[40:41]
	v_cndmask_b32_e64 v20, 0, 1, s[18:19]
	v_cndmask_b32_e64 v42, 0, 1, s[38:39]
	v_mov_b32_e32 v16, 1
	v_cmp_ne_u32_e32 vcc, 0, v0
	s_waitcnt lgkmcnt(0)
	s_barrier
                                        ; implicit-def: $sgpr6_sgpr7
                                        ; implicit-def: $vgpr21
	s_and_saveexec_b64 s[14:15], vcc
	s_cbranch_execz .LBB1174_159
; %bb.152:
	v_lshlrev_b16_e32 v21, 8, v42
	v_lshlrev_b16_e32 v22, 8, v20
	v_or_b32_e32 v21, 1, v21
	v_or_b32_sdwa v22, v41, v22 dst_sel:WORD_1 dst_unused:UNUSED_PAD src0_sel:DWORD src1_sel:DWORD
	v_cmp_gt_u32_e32 vcc, s3, v1
	v_or_b32_sdwa v21, v21, v22 dst_sel:DWORD dst_unused:UNUSED_PAD src0_sel:WORD_0 src1_sel:DWORD
	s_mov_b32 s33, 0x3020104
	s_mov_b64 s[6:7], 0
	s_and_saveexec_b64 s[18:19], vcc
	s_cbranch_execz .LBB1174_158
; %bb.153:
	s_andn2_b64 vcc, exec, s[12:13]
	s_mov_b64 s[4:5], 0
	s_cbranch_vccnz .LBB1174_157
; %bb.154:
	v_add_u32_e32 v22, -8, v26
	ds_read_b64 v[22:23], v22
	v_mul_lo_u32 v26, v11, s30
	v_mul_lo_u32 v27, v10, s31
                                        ; implicit-def: $sgpr12_sgpr13
	s_waitcnt lgkmcnt(0)
	v_mul_lo_u32 v24, v23, s30
	v_mul_lo_u32 v25, v22, s31
	v_mad_u64_u32 v[22:23], s[4:5], v22, s30, 0
	v_add3_u32 v23, v23, v25, v24
	v_mad_u64_u32 v[24:25], s[4:5], v10, s30, 0
	v_add3_u32 v25, v25, v27, v26
	v_lshl_add_u64 v[22:23], v[22:23], 1, s[20:21]
	v_lshl_add_u64 v[24:25], v[24:25], 1, s[20:21]
	s_add_u32 s20, s30, -1
	s_addc_u32 s21, s31, -1
.LBB1174_155:                           ; =>This Inner Loop Header: Depth=1
	global_load_ushort v26, v[24:25], off
	global_load_ushort v27, v[22:23], off
	s_add_u32 s4, s20, -1
	s_addc_u32 s5, s21, -1
	s_cmp_eq_u64 s[20:21], 0
	s_mov_b64 s[20:21], s[4:5]
	s_cselect_b64 s[30:31], -1, 0
	v_lshl_add_u64 v[22:23], v[22:23], 0, 2
	v_lshl_add_u64 v[24:25], v[24:25], 0, 2
	s_waitcnt vmcnt(1)
	v_lshlrev_b32_e32 v26, 16, v26
	s_waitcnt vmcnt(0)
	v_lshlrev_b32_e32 v27, 16, v27
	v_cmp_neq_f32_e64 s[4:5], v27, v26
	s_or_b64 s[4:5], s[4:5], s[30:31]
	s_and_b64 s[4:5], exec, s[4:5]
	v_cmp_eq_f32_e32 vcc, v27, v26
	s_or_b64 s[6:7], s[4:5], s[6:7]
	s_andn2_b64 s[4:5], s[12:13], exec
	s_and_b64 s[12:13], vcc, exec
	s_or_b64 s[12:13], s[4:5], s[12:13]
	s_andn2_b64 exec, exec, s[6:7]
	s_cbranch_execnz .LBB1174_155
; %bb.156:
	s_or_b64 exec, exec, s[6:7]
	s_xor_b64 s[4:5], s[12:13], -1
.LBB1174_157:
	s_and_b64 s[6:7], s[4:5], exec
.LBB1174_158:
	s_or_b64 exec, exec, s[18:19]
	v_perm_b32 v21, v21, v21, s33
	s_or_b64 s[10:11], s[10:11], exec
.LBB1174_159:
	s_or_b64 exec, exec, s[14:15]
.LBB1174_160:
	s_and_saveexec_b64 s[4:5], s[10:11]
; %bb.161:
	v_lshrrev_b32_e32 v20, 24, v21
	v_lshrrev_b32_e32 v41, 16, v21
	;; [unrolled: 1-line block ×3, first 2 shown]
	v_cndmask_b32_e64 v16, 0, 1, s[6:7]
; %bb.162:
	s_or_b64 exec, exec, s[4:5]
	s_andn2_b64 vcc, exec, s[8:9]
	s_cbranch_vccnz .LBB1174_166
; %bb.163:
	s_mov_b32 s4, 0xc0c0004
	v_perm_b32 v20, v41, v20, s4
	v_perm_b32 v16, v16, v42, s4
	v_lshlrev_b32_e32 v20, 16, v20
	v_or_b32_e32 v16, v16, v20
	v_cmp_gt_u32_e32 vcc, s3, v1
	v_add_u32_e32 v22, 1, v1
	v_perm_b32 v17, v17, v40, s4
	v_cndmask_b32_e32 v20, v20, v16, vcc
	v_and_b32_e32 v20, 0xffff00ff, v20
	v_cmp_gt_u32_e32 vcc, s3, v22
	v_add_u32_e32 v22, 2, v1
	s_mov_b32 s4, 0x40c0100
	v_cndmask_b32_e32 v20, v20, v16, vcc
	v_lshrrev_b32_e32 v23, 24, v20
	v_and_b32_e32 v19, 0xff, v19
	v_perm_b32 v20, v23, v20, s4
	v_cmp_gt_u32_e32 vcc, s3, v22
	v_lshlrev_b32_e32 v19, 16, v19
	v_add_u32_e32 v22, 3, v1
	v_cndmask_b32_e32 v20, v20, v16, vcc
	s_mov_b32 s4, 0xffff00
	v_or_b32_e32 v21, v17, v19
	v_and_b32_e32 v20, 0xffffff, v20
	v_cmp_gt_u32_e32 vcc, s3, v22
	v_bitop3_b32 v17, v17, s4, v19 bitop3:0xc8
	v_add_u32_e32 v19, 4, v1
	v_cndmask_b32_e32 v20, v20, v16, vcc
	v_cmp_gt_u32_e32 vcc, s3, v19
	v_add_u32_e32 v19, 5, v1
	v_cmp_gt_u32_e64 s[4:5], s3, v19
	v_cndmask_b32_e32 v17, v17, v21, vcc
	v_and_b32_e32 v17, 0xffff00ff, v17
	s_or_b64 vcc, s[4:5], vcc
	v_cndmask_b32_e64 v17, v17, v21, s[4:5]
	v_cndmask_b32_e32 v16, v20, v16, vcc
	v_add_u32_e32 v1, 6, v1
	v_lshrrev_b32_e32 v41, 16, v16
	v_lshrrev_b32_e32 v42, 8, v16
	v_lshrrev_b64 v[20:21], 24, v[16:17]
	v_lshrrev_b32_e32 v19, 16, v17
	v_lshrrev_b32_e32 v40, 8, v17
	v_cmp_le_u32_e32 vcc, s3, v1
	s_and_saveexec_b64 s[4:5], vcc
; %bb.164:
	v_mov_b32_e32 v19, 0
; %bb.165:
	s_or_b64 exec, exec, s[4:5]
.LBB1174_166:
	v_and_b32_e32 v1, 0xff, v16
	v_and_b32_e32 v21, 0xff, v42
	;; [unrolled: 1-line block ×5, first 2 shown]
	v_add3_u32 v23, v21, v1, v33
	v_and_b32_e32 v39, 0xff, v40
	v_and_b32_e32 v22, 0xff, v19
	v_add3_u32 v23, v23, v35, v37
	v_add3_u32 v45, v23, v39, v22
	v_mbcnt_lo_u32_b32 v22, -1, 0
	v_mbcnt_hi_u32_b32 v43, -1, v22
	v_and_b32_e32 v22, 15, v43
	v_cmp_eq_u32_e64 s[14:15], 0, v22
	v_cmp_lt_u32_e64 s[12:13], 1, v22
	v_cmp_lt_u32_e64 s[10:11], 3, v22
	;; [unrolled: 1-line block ×3, first 2 shown]
	v_and_b32_e32 v22, 16, v43
	v_cmp_eq_u32_e64 s[6:7], 0, v22
	v_or_b32_e32 v22, 63, v0
	v_cmp_lt_u32_e64 s[18:19], 31, v43
	v_lshrrev_b32_e32 v44, 6, v0
	v_cmp_eq_u32_e64 s[4:5], v0, v22
	s_and_b64 vcc, exec, s[16:17]
	s_waitcnt lgkmcnt(0)
	s_barrier
	s_cbranch_vccz .LBB1174_188
; %bb.167:
	v_mov_b32_dpp v22, v45 row_shr:1 row_mask:0xf bank_mask:0xf
	v_cndmask_b32_e64 v22, v22, 0, s[14:15]
	v_add_u32_e32 v22, v22, v45
	s_nop 1
	v_mov_b32_dpp v23, v22 row_shr:2 row_mask:0xf bank_mask:0xf
	v_cndmask_b32_e64 v23, 0, v23, s[12:13]
	v_add_u32_e32 v22, v22, v23
	s_nop 1
	;; [unrolled: 4-line block ×4, first 2 shown]
	v_mov_b32_dpp v23, v22 row_bcast:15 row_mask:0xf bank_mask:0xf
	v_cndmask_b32_e64 v23, v23, 0, s[6:7]
	v_add_u32_e32 v22, v22, v23
	s_nop 1
	v_mov_b32_dpp v23, v22 row_bcast:31 row_mask:0xf bank_mask:0xf
	v_cndmask_b32_e64 v23, 0, v23, s[18:19]
	v_add_u32_e32 v22, v22, v23
	s_and_saveexec_b64 s[16:17], s[4:5]
; %bb.168:
	v_lshlrev_b32_e32 v23, 2, v44
	ds_write_b32 v23, v22
; %bb.169:
	s_or_b64 exec, exec, s[16:17]
	v_cmp_gt_u32_e32 vcc, 8, v0
	s_waitcnt lgkmcnt(0)
	s_barrier
	s_and_saveexec_b64 s[16:17], vcc
	s_cbranch_execz .LBB1174_171
; %bb.170:
	v_lshlrev_b32_e32 v23, 2, v0
	ds_read_b32 v24, v23
	v_and_b32_e32 v25, 7, v43
	v_cmp_ne_u32_e32 vcc, 0, v25
	s_waitcnt lgkmcnt(0)
	v_mov_b32_dpp v26, v24 row_shr:1 row_mask:0xf bank_mask:0xf
	v_cndmask_b32_e32 v26, 0, v26, vcc
	v_add_u32_e32 v24, v26, v24
	v_cmp_lt_u32_e32 vcc, 1, v25
	s_nop 0
	v_mov_b32_dpp v26, v24 row_shr:2 row_mask:0xf bank_mask:0xf
	v_cndmask_b32_e32 v26, 0, v26, vcc
	v_add_u32_e32 v24, v24, v26
	v_cmp_lt_u32_e32 vcc, 3, v25
	s_nop 0
	v_mov_b32_dpp v26, v24 row_shr:4 row_mask:0xf bank_mask:0xf
	v_cndmask_b32_e32 v25, 0, v26, vcc
	v_add_u32_e32 v24, v24, v25
	ds_write_b32 v23, v24
.LBB1174_171:
	s_or_b64 exec, exec, s[16:17]
	v_cmp_gt_u32_e32 vcc, 64, v0
	v_cmp_lt_u32_e64 s[16:17], 63, v0
	s_waitcnt lgkmcnt(0)
	s_barrier
                                        ; implicit-def: $vgpr32
	s_and_saveexec_b64 s[20:21], s[16:17]
	s_cbranch_execz .LBB1174_173
; %bb.172:
	v_lshl_add_u32 v23, v44, 2, -4
	ds_read_b32 v32, v23
	s_waitcnt lgkmcnt(0)
	v_add_u32_e32 v22, v32, v22
.LBB1174_173:
	s_or_b64 exec, exec, s[20:21]
	v_subrev_co_u32_e64 v23, s[16:17], 1, v43
	v_and_b32_e32 v24, 64, v43
	v_cmp_lt_i32_e64 s[20:21], v23, v24
	s_nop 1
	v_cndmask_b32_e64 v23, v23, v43, s[20:21]
	v_lshlrev_b32_e32 v23, 2, v23
	ds_bpermute_b32 v34, v23, v22
	s_and_saveexec_b64 s[20:21], vcc
	s_cbranch_execz .LBB1174_193
; %bb.174:
	v_mov_b32_e32 v29, 0
	ds_read_b32 v22, v29 offset:28
	s_and_saveexec_b64 s[30:31], s[16:17]
	s_cbranch_execz .LBB1174_176
; %bb.175:
	s_add_i32 s36, s2, 64
	s_mov_b32 s37, 0
	s_lshl_b64 s[36:37], s[36:37], 3
	s_add_u32 s36, s22, s36
	v_mov_b32_e32 v23, 1
	s_addc_u32 s37, s23, s37
	s_waitcnt lgkmcnt(0)
	global_store_dwordx2 v29, v[22:23], s[36:37] sc1
.LBB1174_176:
	s_or_b64 exec, exec, s[30:31]
	v_xad_u32 v24, v43, -1, s2
	v_add_u32_e32 v28, 64, v24
	v_lshl_add_u64 v[30:31], v[28:29], 3, s[22:23]
	global_load_dwordx2 v[26:27], v[30:31], off sc1
	s_waitcnt vmcnt(0)
	v_cmp_eq_u16_sdwa s[36:37], v27, v29 src0_sel:BYTE_0 src1_sel:DWORD
	s_and_saveexec_b64 s[30:31], s[36:37]
	s_cbranch_execz .LBB1174_180
; %bb.177:
	s_mov_b64 s[36:37], 0
	v_mov_b32_e32 v23, 0
.LBB1174_178:                           ; =>This Inner Loop Header: Depth=1
	global_load_dwordx2 v[26:27], v[30:31], off sc1
	s_waitcnt vmcnt(0)
	v_cmp_ne_u16_sdwa s[38:39], v27, v23 src0_sel:BYTE_0 src1_sel:DWORD
	s_or_b64 s[36:37], s[38:39], s[36:37]
	s_andn2_b64 exec, exec, s[36:37]
	s_cbranch_execnz .LBB1174_178
; %bb.179:
	s_or_b64 exec, exec, s[36:37]
.LBB1174_180:
	s_or_b64 exec, exec, s[30:31]
	v_and_b32_e32 v38, 63, v43
	v_mov_b32_e32 v36, 2
	v_cmp_ne_u32_e32 vcc, 63, v38
	v_cmp_eq_u16_sdwa s[30:31], v27, v36 src0_sel:BYTE_0 src1_sel:DWORD
	v_lshlrev_b64 v[28:29], v43, -1
	v_addc_co_u32_e32 v30, vcc, 0, v43, vcc
	v_and_b32_e32 v23, s31, v29
	v_lshlrev_b32_e32 v46, 2, v30
	v_or_b32_e32 v23, 0x80000000, v23
	ds_bpermute_b32 v30, v46, v26
	v_and_b32_e32 v25, s30, v28
	v_ffbl_b32_e32 v23, v23
	v_add_u32_e32 v23, 32, v23
	v_ffbl_b32_e32 v25, v25
	v_min_u32_e32 v23, v25, v23
	v_cmp_lt_u32_e32 vcc, v38, v23
	v_add_u32_e32 v48, 2, v38
	v_add_u32_e32 v50, 4, v38
	s_waitcnt lgkmcnt(0)
	v_cndmask_b32_e32 v25, 0, v30, vcc
	v_cmp_gt_u32_e32 vcc, 62, v38
	v_add_u32_e32 v25, v25, v26
	v_add_u32_e32 v52, 8, v38
	v_cndmask_b32_e64 v26, 0, 2, vcc
	v_add_lshl_u32 v47, v26, v43, 2
	ds_bpermute_b32 v26, v47, v25
	v_cmp_le_u32_e32 vcc, v48, v23
	v_add_u32_e32 v54, 16, v38
	v_add_u32_e32 v56, 32, v38
	s_waitcnt lgkmcnt(0)
	v_cndmask_b32_e32 v26, 0, v26, vcc
	v_cmp_gt_u32_e32 vcc, 60, v38
	v_add_u32_e32 v25, v25, v26
	s_nop 0
	v_cndmask_b32_e64 v26, 0, 4, vcc
	v_add_lshl_u32 v49, v26, v43, 2
	ds_bpermute_b32 v26, v49, v25
	v_cmp_le_u32_e32 vcc, v50, v23
	s_waitcnt lgkmcnt(0)
	s_nop 0
	v_cndmask_b32_e32 v26, 0, v26, vcc
	v_cmp_gt_u32_e32 vcc, 56, v38
	v_add_u32_e32 v25, v25, v26
	s_nop 0
	v_cndmask_b32_e64 v26, 0, 8, vcc
	v_add_lshl_u32 v51, v26, v43, 2
	ds_bpermute_b32 v26, v51, v25
	v_cmp_le_u32_e32 vcc, v52, v23
	s_waitcnt lgkmcnt(0)
	s_nop 0
	;; [unrolled: 10-line block ×3, first 2 shown]
	v_cndmask_b32_e32 v26, 0, v26, vcc
	v_add_u32_e32 v25, v25, v26
	v_mov_b32_e32 v26, 0x80
	v_lshl_or_b32 v55, v43, 2, v26
	ds_bpermute_b32 v26, v55, v25
	v_cmp_le_u32_e32 vcc, v56, v23
	s_waitcnt lgkmcnt(0)
	s_nop 0
	v_cndmask_b32_e32 v23, 0, v26, vcc
	v_add_u32_e32 v26, v25, v23
	v_mov_b32_e32 v25, 0
	s_branch .LBB1174_183
.LBB1174_181:                           ;   in Loop: Header=BB1174_183 Depth=1
	s_or_b64 exec, exec, s[30:31]
	v_cmp_eq_u16_sdwa s[30:31], v27, v36 src0_sel:BYTE_0 src1_sel:DWORD
	ds_bpermute_b32 v57, v46, v26
	v_subrev_u32_e32 v24, 64, v24
	v_and_b32_e32 v30, s31, v29
	v_or_b32_e32 v30, 0x80000000, v30
	v_and_b32_e32 v31, s30, v28
	v_ffbl_b32_e32 v30, v30
	v_add_u32_e32 v30, 32, v30
	v_ffbl_b32_e32 v31, v31
	v_min_u32_e32 v30, v31, v30
	v_cmp_lt_u32_e32 vcc, v38, v30
	s_mov_b64 s[30:31], 0
	s_waitcnt lgkmcnt(0)
	v_cndmask_b32_e32 v31, 0, v57, vcc
	v_add_u32_e32 v26, v31, v26
	ds_bpermute_b32 v31, v47, v26
	v_cmp_le_u32_e32 vcc, v48, v30
	s_waitcnt lgkmcnt(0)
	s_nop 0
	v_cndmask_b32_e32 v31, 0, v31, vcc
	v_add_u32_e32 v26, v26, v31
	ds_bpermute_b32 v31, v49, v26
	v_cmp_le_u32_e32 vcc, v50, v30
	s_waitcnt lgkmcnt(0)
	s_nop 0
	;; [unrolled: 6-line block ×5, first 2 shown]
	v_cndmask_b32_e32 v30, 0, v31, vcc
	v_add3_u32 v26, v30, v23, v26
.LBB1174_182:                           ;   in Loop: Header=BB1174_183 Depth=1
	s_and_b64 vcc, exec, s[30:31]
	s_cbranch_vccnz .LBB1174_189
.LBB1174_183:                           ; =>This Loop Header: Depth=1
                                        ;     Child Loop BB1174_186 Depth 2
	v_cmp_ne_u16_sdwa s[30:31], v27, v36 src0_sel:BYTE_0 src1_sel:DWORD
	v_mov_b32_e32 v23, v26
	s_cmp_lg_u64 s[30:31], exec
	s_mov_b64 s[30:31], -1
                                        ; implicit-def: $vgpr26
                                        ; implicit-def: $vgpr27
	s_cbranch_scc1 .LBB1174_182
; %bb.184:                              ;   in Loop: Header=BB1174_183 Depth=1
	v_lshl_add_u64 v[30:31], v[24:25], 3, s[22:23]
	global_load_dwordx2 v[26:27], v[30:31], off sc1
	s_waitcnt vmcnt(0)
	v_cmp_eq_u16_sdwa s[36:37], v27, v25 src0_sel:BYTE_0 src1_sel:DWORD
	s_and_saveexec_b64 s[30:31], s[36:37]
	s_cbranch_execz .LBB1174_181
; %bb.185:                              ;   in Loop: Header=BB1174_183 Depth=1
	s_mov_b64 s[36:37], 0
.LBB1174_186:                           ;   Parent Loop BB1174_183 Depth=1
                                        ; =>  This Inner Loop Header: Depth=2
	global_load_dwordx2 v[26:27], v[30:31], off sc1
	s_waitcnt vmcnt(0)
	v_cmp_ne_u16_sdwa s[38:39], v27, v25 src0_sel:BYTE_0 src1_sel:DWORD
	s_or_b64 s[36:37], s[38:39], s[36:37]
	s_andn2_b64 exec, exec, s[36:37]
	s_cbranch_execnz .LBB1174_186
; %bb.187:                              ;   in Loop: Header=BB1174_183 Depth=1
	s_or_b64 exec, exec, s[36:37]
	s_branch .LBB1174_181
.LBB1174_188:
                                        ; implicit-def: $vgpr26
                                        ; implicit-def: $vgpr28
                                        ; implicit-def: $vgpr30
                                        ; implicit-def: $vgpr32
                                        ; implicit-def: $vgpr34
                                        ; implicit-def: $vgpr36
                                        ; implicit-def: $vgpr38
                                        ; implicit-def: $vgpr24
                                        ; implicit-def: $vgpr22
	s_load_dwordx2 s[2:3], s[0:1], 0x28
	s_cbranch_execnz .LBB1174_194
	s_branch .LBB1174_203
.LBB1174_189:
	s_and_saveexec_b64 s[30:31], s[16:17]
	s_cbranch_execz .LBB1174_191
; %bb.190:
	s_add_i32 s2, s2, 64
	s_mov_b32 s3, 0
	s_lshl_b64 s[2:3], s[2:3], 3
	s_add_u32 s2, s22, s2
	v_add_u32_e32 v24, v23, v22
	v_mov_b32_e32 v25, 2
	s_addc_u32 s3, s23, s3
	v_mov_b32_e32 v26, 0
	global_store_dwordx2 v26, v[24:25], s[2:3] sc1
	ds_write_b64 v26, v[22:23] offset:28672
.LBB1174_191:
	s_or_b64 exec, exec, s[30:31]
	v_cmp_eq_u32_e32 vcc, 0, v0
	s_and_b64 exec, exec, vcc
; %bb.192:
	v_mov_b32_e32 v22, 0
	ds_write_b32 v22, v23 offset:28
.LBB1174_193:
	s_or_b64 exec, exec, s[20:21]
	v_mov_b32_e32 v22, 0
	s_waitcnt lgkmcnt(0)
	s_barrier
	ds_read_b32 v23, v22 offset:28
	v_cndmask_b32_e64 v24, v34, v32, s[16:17]
	v_cmp_ne_u32_e32 vcc, 0, v0
	s_waitcnt lgkmcnt(0)
	s_barrier
	v_cndmask_b32_e32 v24, 0, v24, vcc
	v_add_u32_e32 v38, v23, v24
	v_add_u32_e32 v36, v38, v1
	ds_read_b64 v[22:23], v22 offset:28672
	v_add_u32_e32 v34, v36, v21
	v_add_u32_e32 v32, v34, v33
	;; [unrolled: 1-line block ×5, first 2 shown]
	s_waitcnt lgkmcnt(0)
	v_mov_b32_e32 v24, v23
	s_load_dwordx2 s[2:3], s[0:1], 0x28
	s_branch .LBB1174_203
.LBB1174_194:
	v_mov_b32_dpp v22, v45 row_shr:1 row_mask:0xf bank_mask:0xf
	v_cndmask_b32_e64 v22, v22, 0, s[14:15]
	v_add_u32_e32 v22, v22, v45
	s_nop 1
	v_mov_b32_dpp v23, v22 row_shr:2 row_mask:0xf bank_mask:0xf
	v_cndmask_b32_e64 v23, 0, v23, s[12:13]
	v_add_u32_e32 v22, v22, v23
	s_nop 1
	;; [unrolled: 4-line block ×4, first 2 shown]
	v_mov_b32_dpp v23, v22 row_bcast:15 row_mask:0xf bank_mask:0xf
	v_cndmask_b32_e64 v23, v23, 0, s[6:7]
	v_add_u32_e32 v22, v22, v23
	s_nop 1
	v_mov_b32_dpp v23, v22 row_bcast:31 row_mask:0xf bank_mask:0xf
	v_cndmask_b32_e64 v23, 0, v23, s[18:19]
	v_add_u32_e32 v22, v22, v23
	s_and_saveexec_b64 s[0:1], s[4:5]
; %bb.195:
	v_lshlrev_b32_e32 v23, 2, v44
	ds_write_b32 v23, v22
; %bb.196:
	s_or_b64 exec, exec, s[0:1]
	v_cmp_gt_u32_e32 vcc, 8, v0
	s_waitcnt lgkmcnt(0)
	s_barrier
	s_and_saveexec_b64 s[0:1], vcc
	s_cbranch_execz .LBB1174_198
; %bb.197:
	v_lshlrev_b32_e32 v23, 2, v0
	ds_read_b32 v24, v23
	v_and_b32_e32 v25, 7, v43
	v_cmp_ne_u32_e32 vcc, 0, v25
	s_waitcnt lgkmcnt(0)
	v_mov_b32_dpp v26, v24 row_shr:1 row_mask:0xf bank_mask:0xf
	v_cndmask_b32_e32 v26, 0, v26, vcc
	v_add_u32_e32 v24, v26, v24
	v_cmp_lt_u32_e32 vcc, 1, v25
	s_nop 0
	v_mov_b32_dpp v26, v24 row_shr:2 row_mask:0xf bank_mask:0xf
	v_cndmask_b32_e32 v26, 0, v26, vcc
	v_add_u32_e32 v24, v24, v26
	v_cmp_lt_u32_e32 vcc, 3, v25
	s_nop 0
	v_mov_b32_dpp v26, v24 row_shr:4 row_mask:0xf bank_mask:0xf
	v_cndmask_b32_e32 v25, 0, v26, vcc
	v_add_u32_e32 v24, v24, v25
	ds_write_b32 v23, v24
.LBB1174_198:
	s_or_b64 exec, exec, s[0:1]
	v_cmp_lt_u32_e32 vcc, 63, v0
	v_mov_b32_e32 v23, 0
	v_mov_b32_e32 v24, 0
	s_waitcnt lgkmcnt(0)
	s_barrier
	s_and_saveexec_b64 s[0:1], vcc
; %bb.199:
	v_lshl_add_u32 v24, v44, 2, -4
	ds_read_b32 v24, v24
; %bb.200:
	s_or_b64 exec, exec, s[0:1]
	v_subrev_co_u32_e32 v25, vcc, 1, v43
	v_and_b32_e32 v26, 64, v43
	v_cmp_lt_i32_e64 s[0:1], v25, v26
	s_waitcnt lgkmcnt(0)
	v_add_u32_e32 v22, v24, v22
	v_cndmask_b32_e64 v25, v25, v43, s[0:1]
	v_lshlrev_b32_e32 v25, 2, v25
	ds_bpermute_b32 v25, v25, v22
	ds_read_b32 v22, v23 offset:28
	v_cmp_eq_u32_e64 s[0:1], 0, v0
	s_and_saveexec_b64 s[4:5], s[0:1]
	s_cbranch_execz .LBB1174_202
; %bb.201:
	v_mov_b32_e32 v26, 0
	v_mov_b32_e32 v23, 2
	s_waitcnt lgkmcnt(0)
	global_store_dwordx2 v26, v[22:23], s[22:23] offset:512 sc1
.LBB1174_202:
	s_or_b64 exec, exec, s[4:5]
	s_waitcnt lgkmcnt(1)
	v_cndmask_b32_e32 v23, v25, v24, vcc
	v_cndmask_b32_e64 v38, v23, 0, s[0:1]
	v_add_u32_e32 v36, v38, v1
	v_add_u32_e32 v34, v36, v21
	;; [unrolled: 1-line block ×6, first 2 shown]
	s_waitcnt lgkmcnt(0)
	s_barrier
	v_mov_b32_e32 v24, 0
.LBB1174_203:
	s_movk_i32 s0, 0x201
	v_cmp_gt_u32_e32 vcc, s0, v22
	v_and_b32_e32 v1, 1, v16
	s_mov_b64 s[4:5], -1
	v_cmp_eq_u32_e64 s[0:1], 1, v1
	s_cbranch_vccnz .LBB1174_207
; %bb.204:
	s_and_b64 vcc, exec, s[4:5]
	s_cbranch_vccnz .LBB1174_222
.LBB1174_205:
	v_cmp_eq_u32_e32 vcc, 0, v0
	s_and_b64 s[0:1], vcc, s[28:29]
	s_waitcnt lgkmcnt(0)
	s_and_saveexec_b64 s[2:3], s[0:1]
	s_cbranch_execnz .LBB1174_239
.LBB1174_206:
	s_endpgm
.LBB1174_207:
	v_add_u32_e32 v16, v24, v22
	v_cmp_lt_u32_e32 vcc, v38, v16
	s_or_b64 s[4:5], s[34:35], vcc
	s_and_b64 s[4:5], s[4:5], s[0:1]
	s_and_saveexec_b64 s[0:1], s[4:5]
	s_cbranch_execz .LBB1174_209
; %bb.208:
	s_lshl_b64 s[4:5], s[26:27], 3
	s_waitcnt lgkmcnt(0)
	s_add_u32 s4, s2, s4
	s_addc_u32 s5, s3, s5
	v_mov_b32_e32 v39, 0
	v_lshl_add_u64 v[44:45], v[38:39], 3, s[4:5]
	global_store_dwordx2 v[44:45], v[10:11], off
.LBB1174_209:
	s_or_b64 exec, exec, s[0:1]
	v_cmp_lt_u32_e32 vcc, v36, v16
	v_and_b32_e32 v21, 1, v42
	s_or_b64 s[0:1], s[34:35], vcc
	v_cmp_eq_u32_e32 vcc, 1, v21
	s_and_b64 s[4:5], s[0:1], vcc
	s_and_saveexec_b64 s[0:1], s[4:5]
	s_cbranch_execz .LBB1174_211
; %bb.210:
	s_lshl_b64 s[4:5], s[26:27], 3
	s_waitcnt lgkmcnt(0)
	s_add_u32 s4, s2, s4
	s_addc_u32 s5, s3, s5
	v_mov_b32_e32 v37, 0
	v_lshl_add_u64 v[44:45], v[36:37], 3, s[4:5]
	global_store_dwordx2 v[44:45], v[12:13], off
.LBB1174_211:
	s_or_b64 exec, exec, s[0:1]
	v_cmp_lt_u32_e32 vcc, v34, v16
	v_and_b32_e32 v21, 1, v41
	s_or_b64 s[0:1], s[34:35], vcc
	v_cmp_eq_u32_e32 vcc, 1, v21
	s_and_b64 s[4:5], s[0:1], vcc
	;; [unrolled: 17-line block ×6, first 2 shown]
	s_and_saveexec_b64 s[0:1], s[4:5]
	s_cbranch_execz .LBB1174_221
; %bb.220:
	s_lshl_b64 s[4:5], s[26:27], 3
	s_waitcnt lgkmcnt(0)
	s_add_u32 s4, s2, s4
	s_addc_u32 s5, s3, s5
	v_mov_b32_e32 v27, 0
	v_lshl_add_u64 v[44:45], v[26:27], 3, s[4:5]
	global_store_dwordx2 v[44:45], v[14:15], off
.LBB1174_221:
	s_or_b64 exec, exec, s[0:1]
	s_branch .LBB1174_205
.LBB1174_222:
	v_cmp_eq_u32_e32 vcc, 1, v1
	s_and_saveexec_b64 s[0:1], vcc
; %bb.223:
	v_sub_u32_e32 v1, v38, v24
	v_lshlrev_b32_e32 v1, 3, v1
	ds_write_b64 v1, v[10:11]
; %bb.224:
	s_or_b64 exec, exec, s[0:1]
	v_and_b32_e32 v1, 1, v42
	v_cmp_eq_u32_e32 vcc, 1, v1
	s_and_saveexec_b64 s[0:1], vcc
; %bb.225:
	v_sub_u32_e32 v1, v36, v24
	v_lshlrev_b32_e32 v1, 3, v1
	ds_write_b64 v1, v[12:13]
; %bb.226:
	s_or_b64 exec, exec, s[0:1]
	v_and_b32_e32 v1, 1, v41
	;; [unrolled: 9-line block ×6, first 2 shown]
	v_cmp_eq_u32_e32 vcc, 1, v1
	s_and_saveexec_b64 s[0:1], vcc
; %bb.235:
	v_sub_u32_e32 v1, v26, v24
	v_lshlrev_b32_e32 v1, 3, v1
	ds_write_b64 v1, v[14:15]
; %bb.236:
	s_or_b64 exec, exec, s[0:1]
	v_mov_b32_e32 v25, 0
	s_lshl_b64 s[0:1], s[26:27], 3
	v_lshlrev_b64 v[2:3], 3, v[24:25]
	v_lshl_add_u64 v[2:3], s[0:1], 0, v[2:3]
	v_mov_b32_e32 v19, v25
	s_waitcnt lgkmcnt(0)
	v_lshl_add_u64 v[2:3], s[2:3], 0, v[2:3]
	v_lshl_add_u64 v[2:3], v[2:3], 0, v[18:19]
	s_mov_b64 s[0:1], 0
	s_mov_b64 s[2:3], 0x1000
	v_mov_b32_e32 v1, v0
	s_barrier
.LBB1174_237:                           ; =>This Inner Loop Header: Depth=1
	ds_read_b64 v[4:5], v18
	v_add_u32_e32 v1, 0x200, v1
	v_cmp_ge_u32_e32 vcc, v1, v22
	v_add_u32_e32 v18, 0x1000, v18
	s_or_b64 s[0:1], vcc, s[0:1]
	s_waitcnt lgkmcnt(0)
	global_store_dwordx2 v[2:3], v[4:5], off
	v_lshl_add_u64 v[2:3], v[2:3], 0, s[2:3]
	s_andn2_b64 exec, exec, s[0:1]
	s_cbranch_execnz .LBB1174_237
; %bb.238:
	s_or_b64 exec, exec, s[0:1]
	v_cmp_eq_u32_e32 vcc, 0, v0
	s_and_b64 s[0:1], vcc, s[28:29]
	s_and_saveexec_b64 s[2:3], s[0:1]
	s_cbranch_execz .LBB1174_206
.LBB1174_239:
	v_mov_b32_e32 v23, 0
	v_lshl_add_u64 v[0:1], s[26:27], 0, v[22:23]
	v_mov_b32_e32 v25, v23
	v_lshl_add_u64 v[0:1], v[0:1], 0, v[24:25]
	global_store_dwordx2 v23, v[0:1], s[24:25]
	s_endpgm
	.section	.rodata,"a",@progbits
	.p2align	6, 0x0
	.amdhsa_kernel _ZN7rocprim17ROCPRIM_400000_NS6detail17trampoline_kernelINS0_14default_configENS1_25partition_config_selectorILNS1_17partition_subalgoE8ElNS0_10empty_typeEbEEZZNS1_14partition_implILS5_8ELb0ES3_jPlPS6_PKS6_NS0_5tupleIJS9_S6_EEENSD_IJSA_SA_EEENS0_18inequality_wrapperIZN2at6native12_GLOBAL__N_124unique_dim_cuda_templateIN3c108BFloat16EEESt5tupleIJNSH_6TensorESO_SO_EERKSO_lbbbEUlllE0_EEPmJS6_EEE10hipError_tPvRmT3_T4_T5_T6_T7_T9_mT8_P12ihipStream_tbDpT10_ENKUlT_T0_E_clISt17integral_constantIbLb0EES1E_EEDaS19_S1A_EUlS19_E_NS1_11comp_targetILNS1_3genE0ELNS1_11target_archE4294967295ELNS1_3gpuE0ELNS1_3repE0EEENS1_30default_config_static_selectorELNS0_4arch9wavefront6targetE1EEEvT1_
		.amdhsa_group_segment_fixed_size 28680
		.amdhsa_private_segment_fixed_size 0
		.amdhsa_kernarg_size 120
		.amdhsa_user_sgpr_count 2
		.amdhsa_user_sgpr_dispatch_ptr 0
		.amdhsa_user_sgpr_queue_ptr 0
		.amdhsa_user_sgpr_kernarg_segment_ptr 1
		.amdhsa_user_sgpr_dispatch_id 0
		.amdhsa_user_sgpr_kernarg_preload_length 0
		.amdhsa_user_sgpr_kernarg_preload_offset 0
		.amdhsa_user_sgpr_private_segment_size 0
		.amdhsa_uses_dynamic_stack 0
		.amdhsa_enable_private_segment 0
		.amdhsa_system_sgpr_workgroup_id_x 1
		.amdhsa_system_sgpr_workgroup_id_y 0
		.amdhsa_system_sgpr_workgroup_id_z 0
		.amdhsa_system_sgpr_workgroup_info 0
		.amdhsa_system_vgpr_workitem_id 0
		.amdhsa_next_free_vgpr 58
		.amdhsa_next_free_sgpr 50
		.amdhsa_accum_offset 60
		.amdhsa_reserve_vcc 1
		.amdhsa_float_round_mode_32 0
		.amdhsa_float_round_mode_16_64 0
		.amdhsa_float_denorm_mode_32 3
		.amdhsa_float_denorm_mode_16_64 3
		.amdhsa_dx10_clamp 1
		.amdhsa_ieee_mode 1
		.amdhsa_fp16_overflow 0
		.amdhsa_tg_split 0
		.amdhsa_exception_fp_ieee_invalid_op 0
		.amdhsa_exception_fp_denorm_src 0
		.amdhsa_exception_fp_ieee_div_zero 0
		.amdhsa_exception_fp_ieee_overflow 0
		.amdhsa_exception_fp_ieee_underflow 0
		.amdhsa_exception_fp_ieee_inexact 0
		.amdhsa_exception_int_div_zero 0
	.end_amdhsa_kernel
	.section	.text._ZN7rocprim17ROCPRIM_400000_NS6detail17trampoline_kernelINS0_14default_configENS1_25partition_config_selectorILNS1_17partition_subalgoE8ElNS0_10empty_typeEbEEZZNS1_14partition_implILS5_8ELb0ES3_jPlPS6_PKS6_NS0_5tupleIJS9_S6_EEENSD_IJSA_SA_EEENS0_18inequality_wrapperIZN2at6native12_GLOBAL__N_124unique_dim_cuda_templateIN3c108BFloat16EEESt5tupleIJNSH_6TensorESO_SO_EERKSO_lbbbEUlllE0_EEPmJS6_EEE10hipError_tPvRmT3_T4_T5_T6_T7_T9_mT8_P12ihipStream_tbDpT10_ENKUlT_T0_E_clISt17integral_constantIbLb0EES1E_EEDaS19_S1A_EUlS19_E_NS1_11comp_targetILNS1_3genE0ELNS1_11target_archE4294967295ELNS1_3gpuE0ELNS1_3repE0EEENS1_30default_config_static_selectorELNS0_4arch9wavefront6targetE1EEEvT1_,"axG",@progbits,_ZN7rocprim17ROCPRIM_400000_NS6detail17trampoline_kernelINS0_14default_configENS1_25partition_config_selectorILNS1_17partition_subalgoE8ElNS0_10empty_typeEbEEZZNS1_14partition_implILS5_8ELb0ES3_jPlPS6_PKS6_NS0_5tupleIJS9_S6_EEENSD_IJSA_SA_EEENS0_18inequality_wrapperIZN2at6native12_GLOBAL__N_124unique_dim_cuda_templateIN3c108BFloat16EEESt5tupleIJNSH_6TensorESO_SO_EERKSO_lbbbEUlllE0_EEPmJS6_EEE10hipError_tPvRmT3_T4_T5_T6_T7_T9_mT8_P12ihipStream_tbDpT10_ENKUlT_T0_E_clISt17integral_constantIbLb0EES1E_EEDaS19_S1A_EUlS19_E_NS1_11comp_targetILNS1_3genE0ELNS1_11target_archE4294967295ELNS1_3gpuE0ELNS1_3repE0EEENS1_30default_config_static_selectorELNS0_4arch9wavefront6targetE1EEEvT1_,comdat
.Lfunc_end1174:
	.size	_ZN7rocprim17ROCPRIM_400000_NS6detail17trampoline_kernelINS0_14default_configENS1_25partition_config_selectorILNS1_17partition_subalgoE8ElNS0_10empty_typeEbEEZZNS1_14partition_implILS5_8ELb0ES3_jPlPS6_PKS6_NS0_5tupleIJS9_S6_EEENSD_IJSA_SA_EEENS0_18inequality_wrapperIZN2at6native12_GLOBAL__N_124unique_dim_cuda_templateIN3c108BFloat16EEESt5tupleIJNSH_6TensorESO_SO_EERKSO_lbbbEUlllE0_EEPmJS6_EEE10hipError_tPvRmT3_T4_T5_T6_T7_T9_mT8_P12ihipStream_tbDpT10_ENKUlT_T0_E_clISt17integral_constantIbLb0EES1E_EEDaS19_S1A_EUlS19_E_NS1_11comp_targetILNS1_3genE0ELNS1_11target_archE4294967295ELNS1_3gpuE0ELNS1_3repE0EEENS1_30default_config_static_selectorELNS0_4arch9wavefront6targetE1EEEvT1_, .Lfunc_end1174-_ZN7rocprim17ROCPRIM_400000_NS6detail17trampoline_kernelINS0_14default_configENS1_25partition_config_selectorILNS1_17partition_subalgoE8ElNS0_10empty_typeEbEEZZNS1_14partition_implILS5_8ELb0ES3_jPlPS6_PKS6_NS0_5tupleIJS9_S6_EEENSD_IJSA_SA_EEENS0_18inequality_wrapperIZN2at6native12_GLOBAL__N_124unique_dim_cuda_templateIN3c108BFloat16EEESt5tupleIJNSH_6TensorESO_SO_EERKSO_lbbbEUlllE0_EEPmJS6_EEE10hipError_tPvRmT3_T4_T5_T6_T7_T9_mT8_P12ihipStream_tbDpT10_ENKUlT_T0_E_clISt17integral_constantIbLb0EES1E_EEDaS19_S1A_EUlS19_E_NS1_11comp_targetILNS1_3genE0ELNS1_11target_archE4294967295ELNS1_3gpuE0ELNS1_3repE0EEENS1_30default_config_static_selectorELNS0_4arch9wavefront6targetE1EEEvT1_
                                        ; -- End function
	.set _ZN7rocprim17ROCPRIM_400000_NS6detail17trampoline_kernelINS0_14default_configENS1_25partition_config_selectorILNS1_17partition_subalgoE8ElNS0_10empty_typeEbEEZZNS1_14partition_implILS5_8ELb0ES3_jPlPS6_PKS6_NS0_5tupleIJS9_S6_EEENSD_IJSA_SA_EEENS0_18inequality_wrapperIZN2at6native12_GLOBAL__N_124unique_dim_cuda_templateIN3c108BFloat16EEESt5tupleIJNSH_6TensorESO_SO_EERKSO_lbbbEUlllE0_EEPmJS6_EEE10hipError_tPvRmT3_T4_T5_T6_T7_T9_mT8_P12ihipStream_tbDpT10_ENKUlT_T0_E_clISt17integral_constantIbLb0EES1E_EEDaS19_S1A_EUlS19_E_NS1_11comp_targetILNS1_3genE0ELNS1_11target_archE4294967295ELNS1_3gpuE0ELNS1_3repE0EEENS1_30default_config_static_selectorELNS0_4arch9wavefront6targetE1EEEvT1_.num_vgpr, 58
	.set _ZN7rocprim17ROCPRIM_400000_NS6detail17trampoline_kernelINS0_14default_configENS1_25partition_config_selectorILNS1_17partition_subalgoE8ElNS0_10empty_typeEbEEZZNS1_14partition_implILS5_8ELb0ES3_jPlPS6_PKS6_NS0_5tupleIJS9_S6_EEENSD_IJSA_SA_EEENS0_18inequality_wrapperIZN2at6native12_GLOBAL__N_124unique_dim_cuda_templateIN3c108BFloat16EEESt5tupleIJNSH_6TensorESO_SO_EERKSO_lbbbEUlllE0_EEPmJS6_EEE10hipError_tPvRmT3_T4_T5_T6_T7_T9_mT8_P12ihipStream_tbDpT10_ENKUlT_T0_E_clISt17integral_constantIbLb0EES1E_EEDaS19_S1A_EUlS19_E_NS1_11comp_targetILNS1_3genE0ELNS1_11target_archE4294967295ELNS1_3gpuE0ELNS1_3repE0EEENS1_30default_config_static_selectorELNS0_4arch9wavefront6targetE1EEEvT1_.num_agpr, 0
	.set _ZN7rocprim17ROCPRIM_400000_NS6detail17trampoline_kernelINS0_14default_configENS1_25partition_config_selectorILNS1_17partition_subalgoE8ElNS0_10empty_typeEbEEZZNS1_14partition_implILS5_8ELb0ES3_jPlPS6_PKS6_NS0_5tupleIJS9_S6_EEENSD_IJSA_SA_EEENS0_18inequality_wrapperIZN2at6native12_GLOBAL__N_124unique_dim_cuda_templateIN3c108BFloat16EEESt5tupleIJNSH_6TensorESO_SO_EERKSO_lbbbEUlllE0_EEPmJS6_EEE10hipError_tPvRmT3_T4_T5_T6_T7_T9_mT8_P12ihipStream_tbDpT10_ENKUlT_T0_E_clISt17integral_constantIbLb0EES1E_EEDaS19_S1A_EUlS19_E_NS1_11comp_targetILNS1_3genE0ELNS1_11target_archE4294967295ELNS1_3gpuE0ELNS1_3repE0EEENS1_30default_config_static_selectorELNS0_4arch9wavefront6targetE1EEEvT1_.numbered_sgpr, 50
	.set _ZN7rocprim17ROCPRIM_400000_NS6detail17trampoline_kernelINS0_14default_configENS1_25partition_config_selectorILNS1_17partition_subalgoE8ElNS0_10empty_typeEbEEZZNS1_14partition_implILS5_8ELb0ES3_jPlPS6_PKS6_NS0_5tupleIJS9_S6_EEENSD_IJSA_SA_EEENS0_18inequality_wrapperIZN2at6native12_GLOBAL__N_124unique_dim_cuda_templateIN3c108BFloat16EEESt5tupleIJNSH_6TensorESO_SO_EERKSO_lbbbEUlllE0_EEPmJS6_EEE10hipError_tPvRmT3_T4_T5_T6_T7_T9_mT8_P12ihipStream_tbDpT10_ENKUlT_T0_E_clISt17integral_constantIbLb0EES1E_EEDaS19_S1A_EUlS19_E_NS1_11comp_targetILNS1_3genE0ELNS1_11target_archE4294967295ELNS1_3gpuE0ELNS1_3repE0EEENS1_30default_config_static_selectorELNS0_4arch9wavefront6targetE1EEEvT1_.num_named_barrier, 0
	.set _ZN7rocprim17ROCPRIM_400000_NS6detail17trampoline_kernelINS0_14default_configENS1_25partition_config_selectorILNS1_17partition_subalgoE8ElNS0_10empty_typeEbEEZZNS1_14partition_implILS5_8ELb0ES3_jPlPS6_PKS6_NS0_5tupleIJS9_S6_EEENSD_IJSA_SA_EEENS0_18inequality_wrapperIZN2at6native12_GLOBAL__N_124unique_dim_cuda_templateIN3c108BFloat16EEESt5tupleIJNSH_6TensorESO_SO_EERKSO_lbbbEUlllE0_EEPmJS6_EEE10hipError_tPvRmT3_T4_T5_T6_T7_T9_mT8_P12ihipStream_tbDpT10_ENKUlT_T0_E_clISt17integral_constantIbLb0EES1E_EEDaS19_S1A_EUlS19_E_NS1_11comp_targetILNS1_3genE0ELNS1_11target_archE4294967295ELNS1_3gpuE0ELNS1_3repE0EEENS1_30default_config_static_selectorELNS0_4arch9wavefront6targetE1EEEvT1_.private_seg_size, 0
	.set _ZN7rocprim17ROCPRIM_400000_NS6detail17trampoline_kernelINS0_14default_configENS1_25partition_config_selectorILNS1_17partition_subalgoE8ElNS0_10empty_typeEbEEZZNS1_14partition_implILS5_8ELb0ES3_jPlPS6_PKS6_NS0_5tupleIJS9_S6_EEENSD_IJSA_SA_EEENS0_18inequality_wrapperIZN2at6native12_GLOBAL__N_124unique_dim_cuda_templateIN3c108BFloat16EEESt5tupleIJNSH_6TensorESO_SO_EERKSO_lbbbEUlllE0_EEPmJS6_EEE10hipError_tPvRmT3_T4_T5_T6_T7_T9_mT8_P12ihipStream_tbDpT10_ENKUlT_T0_E_clISt17integral_constantIbLb0EES1E_EEDaS19_S1A_EUlS19_E_NS1_11comp_targetILNS1_3genE0ELNS1_11target_archE4294967295ELNS1_3gpuE0ELNS1_3repE0EEENS1_30default_config_static_selectorELNS0_4arch9wavefront6targetE1EEEvT1_.uses_vcc, 1
	.set _ZN7rocprim17ROCPRIM_400000_NS6detail17trampoline_kernelINS0_14default_configENS1_25partition_config_selectorILNS1_17partition_subalgoE8ElNS0_10empty_typeEbEEZZNS1_14partition_implILS5_8ELb0ES3_jPlPS6_PKS6_NS0_5tupleIJS9_S6_EEENSD_IJSA_SA_EEENS0_18inequality_wrapperIZN2at6native12_GLOBAL__N_124unique_dim_cuda_templateIN3c108BFloat16EEESt5tupleIJNSH_6TensorESO_SO_EERKSO_lbbbEUlllE0_EEPmJS6_EEE10hipError_tPvRmT3_T4_T5_T6_T7_T9_mT8_P12ihipStream_tbDpT10_ENKUlT_T0_E_clISt17integral_constantIbLb0EES1E_EEDaS19_S1A_EUlS19_E_NS1_11comp_targetILNS1_3genE0ELNS1_11target_archE4294967295ELNS1_3gpuE0ELNS1_3repE0EEENS1_30default_config_static_selectorELNS0_4arch9wavefront6targetE1EEEvT1_.uses_flat_scratch, 0
	.set _ZN7rocprim17ROCPRIM_400000_NS6detail17trampoline_kernelINS0_14default_configENS1_25partition_config_selectorILNS1_17partition_subalgoE8ElNS0_10empty_typeEbEEZZNS1_14partition_implILS5_8ELb0ES3_jPlPS6_PKS6_NS0_5tupleIJS9_S6_EEENSD_IJSA_SA_EEENS0_18inequality_wrapperIZN2at6native12_GLOBAL__N_124unique_dim_cuda_templateIN3c108BFloat16EEESt5tupleIJNSH_6TensorESO_SO_EERKSO_lbbbEUlllE0_EEPmJS6_EEE10hipError_tPvRmT3_T4_T5_T6_T7_T9_mT8_P12ihipStream_tbDpT10_ENKUlT_T0_E_clISt17integral_constantIbLb0EES1E_EEDaS19_S1A_EUlS19_E_NS1_11comp_targetILNS1_3genE0ELNS1_11target_archE4294967295ELNS1_3gpuE0ELNS1_3repE0EEENS1_30default_config_static_selectorELNS0_4arch9wavefront6targetE1EEEvT1_.has_dyn_sized_stack, 0
	.set _ZN7rocprim17ROCPRIM_400000_NS6detail17trampoline_kernelINS0_14default_configENS1_25partition_config_selectorILNS1_17partition_subalgoE8ElNS0_10empty_typeEbEEZZNS1_14partition_implILS5_8ELb0ES3_jPlPS6_PKS6_NS0_5tupleIJS9_S6_EEENSD_IJSA_SA_EEENS0_18inequality_wrapperIZN2at6native12_GLOBAL__N_124unique_dim_cuda_templateIN3c108BFloat16EEESt5tupleIJNSH_6TensorESO_SO_EERKSO_lbbbEUlllE0_EEPmJS6_EEE10hipError_tPvRmT3_T4_T5_T6_T7_T9_mT8_P12ihipStream_tbDpT10_ENKUlT_T0_E_clISt17integral_constantIbLb0EES1E_EEDaS19_S1A_EUlS19_E_NS1_11comp_targetILNS1_3genE0ELNS1_11target_archE4294967295ELNS1_3gpuE0ELNS1_3repE0EEENS1_30default_config_static_selectorELNS0_4arch9wavefront6targetE1EEEvT1_.has_recursion, 0
	.set _ZN7rocprim17ROCPRIM_400000_NS6detail17trampoline_kernelINS0_14default_configENS1_25partition_config_selectorILNS1_17partition_subalgoE8ElNS0_10empty_typeEbEEZZNS1_14partition_implILS5_8ELb0ES3_jPlPS6_PKS6_NS0_5tupleIJS9_S6_EEENSD_IJSA_SA_EEENS0_18inequality_wrapperIZN2at6native12_GLOBAL__N_124unique_dim_cuda_templateIN3c108BFloat16EEESt5tupleIJNSH_6TensorESO_SO_EERKSO_lbbbEUlllE0_EEPmJS6_EEE10hipError_tPvRmT3_T4_T5_T6_T7_T9_mT8_P12ihipStream_tbDpT10_ENKUlT_T0_E_clISt17integral_constantIbLb0EES1E_EEDaS19_S1A_EUlS19_E_NS1_11comp_targetILNS1_3genE0ELNS1_11target_archE4294967295ELNS1_3gpuE0ELNS1_3repE0EEENS1_30default_config_static_selectorELNS0_4arch9wavefront6targetE1EEEvT1_.has_indirect_call, 0
	.section	.AMDGPU.csdata,"",@progbits
; Kernel info:
; codeLenInByte = 11132
; TotalNumSgprs: 56
; NumVgprs: 58
; NumAgprs: 0
; TotalNumVgprs: 58
; ScratchSize: 0
; MemoryBound: 0
; FloatMode: 240
; IeeeMode: 1
; LDSByteSize: 28680 bytes/workgroup (compile time only)
; SGPRBlocks: 6
; VGPRBlocks: 7
; NumSGPRsForWavesPerEU: 56
; NumVGPRsForWavesPerEU: 58
; AccumOffset: 60
; Occupancy: 8
; WaveLimiterHint : 1
; COMPUTE_PGM_RSRC2:SCRATCH_EN: 0
; COMPUTE_PGM_RSRC2:USER_SGPR: 2
; COMPUTE_PGM_RSRC2:TRAP_HANDLER: 0
; COMPUTE_PGM_RSRC2:TGID_X_EN: 1
; COMPUTE_PGM_RSRC2:TGID_Y_EN: 0
; COMPUTE_PGM_RSRC2:TGID_Z_EN: 0
; COMPUTE_PGM_RSRC2:TIDIG_COMP_CNT: 0
; COMPUTE_PGM_RSRC3_GFX90A:ACCUM_OFFSET: 14
; COMPUTE_PGM_RSRC3_GFX90A:TG_SPLIT: 0
	.section	.text._ZN7rocprim17ROCPRIM_400000_NS6detail17trampoline_kernelINS0_14default_configENS1_25partition_config_selectorILNS1_17partition_subalgoE8ElNS0_10empty_typeEbEEZZNS1_14partition_implILS5_8ELb0ES3_jPlPS6_PKS6_NS0_5tupleIJS9_S6_EEENSD_IJSA_SA_EEENS0_18inequality_wrapperIZN2at6native12_GLOBAL__N_124unique_dim_cuda_templateIN3c108BFloat16EEESt5tupleIJNSH_6TensorESO_SO_EERKSO_lbbbEUlllE0_EEPmJS6_EEE10hipError_tPvRmT3_T4_T5_T6_T7_T9_mT8_P12ihipStream_tbDpT10_ENKUlT_T0_E_clISt17integral_constantIbLb0EES1E_EEDaS19_S1A_EUlS19_E_NS1_11comp_targetILNS1_3genE5ELNS1_11target_archE942ELNS1_3gpuE9ELNS1_3repE0EEENS1_30default_config_static_selectorELNS0_4arch9wavefront6targetE1EEEvT1_,"axG",@progbits,_ZN7rocprim17ROCPRIM_400000_NS6detail17trampoline_kernelINS0_14default_configENS1_25partition_config_selectorILNS1_17partition_subalgoE8ElNS0_10empty_typeEbEEZZNS1_14partition_implILS5_8ELb0ES3_jPlPS6_PKS6_NS0_5tupleIJS9_S6_EEENSD_IJSA_SA_EEENS0_18inequality_wrapperIZN2at6native12_GLOBAL__N_124unique_dim_cuda_templateIN3c108BFloat16EEESt5tupleIJNSH_6TensorESO_SO_EERKSO_lbbbEUlllE0_EEPmJS6_EEE10hipError_tPvRmT3_T4_T5_T6_T7_T9_mT8_P12ihipStream_tbDpT10_ENKUlT_T0_E_clISt17integral_constantIbLb0EES1E_EEDaS19_S1A_EUlS19_E_NS1_11comp_targetILNS1_3genE5ELNS1_11target_archE942ELNS1_3gpuE9ELNS1_3repE0EEENS1_30default_config_static_selectorELNS0_4arch9wavefront6targetE1EEEvT1_,comdat
	.globl	_ZN7rocprim17ROCPRIM_400000_NS6detail17trampoline_kernelINS0_14default_configENS1_25partition_config_selectorILNS1_17partition_subalgoE8ElNS0_10empty_typeEbEEZZNS1_14partition_implILS5_8ELb0ES3_jPlPS6_PKS6_NS0_5tupleIJS9_S6_EEENSD_IJSA_SA_EEENS0_18inequality_wrapperIZN2at6native12_GLOBAL__N_124unique_dim_cuda_templateIN3c108BFloat16EEESt5tupleIJNSH_6TensorESO_SO_EERKSO_lbbbEUlllE0_EEPmJS6_EEE10hipError_tPvRmT3_T4_T5_T6_T7_T9_mT8_P12ihipStream_tbDpT10_ENKUlT_T0_E_clISt17integral_constantIbLb0EES1E_EEDaS19_S1A_EUlS19_E_NS1_11comp_targetILNS1_3genE5ELNS1_11target_archE942ELNS1_3gpuE9ELNS1_3repE0EEENS1_30default_config_static_selectorELNS0_4arch9wavefront6targetE1EEEvT1_ ; -- Begin function _ZN7rocprim17ROCPRIM_400000_NS6detail17trampoline_kernelINS0_14default_configENS1_25partition_config_selectorILNS1_17partition_subalgoE8ElNS0_10empty_typeEbEEZZNS1_14partition_implILS5_8ELb0ES3_jPlPS6_PKS6_NS0_5tupleIJS9_S6_EEENSD_IJSA_SA_EEENS0_18inequality_wrapperIZN2at6native12_GLOBAL__N_124unique_dim_cuda_templateIN3c108BFloat16EEESt5tupleIJNSH_6TensorESO_SO_EERKSO_lbbbEUlllE0_EEPmJS6_EEE10hipError_tPvRmT3_T4_T5_T6_T7_T9_mT8_P12ihipStream_tbDpT10_ENKUlT_T0_E_clISt17integral_constantIbLb0EES1E_EEDaS19_S1A_EUlS19_E_NS1_11comp_targetILNS1_3genE5ELNS1_11target_archE942ELNS1_3gpuE9ELNS1_3repE0EEENS1_30default_config_static_selectorELNS0_4arch9wavefront6targetE1EEEvT1_
	.p2align	8
	.type	_ZN7rocprim17ROCPRIM_400000_NS6detail17trampoline_kernelINS0_14default_configENS1_25partition_config_selectorILNS1_17partition_subalgoE8ElNS0_10empty_typeEbEEZZNS1_14partition_implILS5_8ELb0ES3_jPlPS6_PKS6_NS0_5tupleIJS9_S6_EEENSD_IJSA_SA_EEENS0_18inequality_wrapperIZN2at6native12_GLOBAL__N_124unique_dim_cuda_templateIN3c108BFloat16EEESt5tupleIJNSH_6TensorESO_SO_EERKSO_lbbbEUlllE0_EEPmJS6_EEE10hipError_tPvRmT3_T4_T5_T6_T7_T9_mT8_P12ihipStream_tbDpT10_ENKUlT_T0_E_clISt17integral_constantIbLb0EES1E_EEDaS19_S1A_EUlS19_E_NS1_11comp_targetILNS1_3genE5ELNS1_11target_archE942ELNS1_3gpuE9ELNS1_3repE0EEENS1_30default_config_static_selectorELNS0_4arch9wavefront6targetE1EEEvT1_,@function
_ZN7rocprim17ROCPRIM_400000_NS6detail17trampoline_kernelINS0_14default_configENS1_25partition_config_selectorILNS1_17partition_subalgoE8ElNS0_10empty_typeEbEEZZNS1_14partition_implILS5_8ELb0ES3_jPlPS6_PKS6_NS0_5tupleIJS9_S6_EEENSD_IJSA_SA_EEENS0_18inequality_wrapperIZN2at6native12_GLOBAL__N_124unique_dim_cuda_templateIN3c108BFloat16EEESt5tupleIJNSH_6TensorESO_SO_EERKSO_lbbbEUlllE0_EEPmJS6_EEE10hipError_tPvRmT3_T4_T5_T6_T7_T9_mT8_P12ihipStream_tbDpT10_ENKUlT_T0_E_clISt17integral_constantIbLb0EES1E_EEDaS19_S1A_EUlS19_E_NS1_11comp_targetILNS1_3genE5ELNS1_11target_archE942ELNS1_3gpuE9ELNS1_3repE0EEENS1_30default_config_static_selectorELNS0_4arch9wavefront6targetE1EEEvT1_: ; @_ZN7rocprim17ROCPRIM_400000_NS6detail17trampoline_kernelINS0_14default_configENS1_25partition_config_selectorILNS1_17partition_subalgoE8ElNS0_10empty_typeEbEEZZNS1_14partition_implILS5_8ELb0ES3_jPlPS6_PKS6_NS0_5tupleIJS9_S6_EEENSD_IJSA_SA_EEENS0_18inequality_wrapperIZN2at6native12_GLOBAL__N_124unique_dim_cuda_templateIN3c108BFloat16EEESt5tupleIJNSH_6TensorESO_SO_EERKSO_lbbbEUlllE0_EEPmJS6_EEE10hipError_tPvRmT3_T4_T5_T6_T7_T9_mT8_P12ihipStream_tbDpT10_ENKUlT_T0_E_clISt17integral_constantIbLb0EES1E_EEDaS19_S1A_EUlS19_E_NS1_11comp_targetILNS1_3genE5ELNS1_11target_archE942ELNS1_3gpuE9ELNS1_3repE0EEENS1_30default_config_static_selectorELNS0_4arch9wavefront6targetE1EEEvT1_
; %bb.0:
	.section	.rodata,"a",@progbits
	.p2align	6, 0x0
	.amdhsa_kernel _ZN7rocprim17ROCPRIM_400000_NS6detail17trampoline_kernelINS0_14default_configENS1_25partition_config_selectorILNS1_17partition_subalgoE8ElNS0_10empty_typeEbEEZZNS1_14partition_implILS5_8ELb0ES3_jPlPS6_PKS6_NS0_5tupleIJS9_S6_EEENSD_IJSA_SA_EEENS0_18inequality_wrapperIZN2at6native12_GLOBAL__N_124unique_dim_cuda_templateIN3c108BFloat16EEESt5tupleIJNSH_6TensorESO_SO_EERKSO_lbbbEUlllE0_EEPmJS6_EEE10hipError_tPvRmT3_T4_T5_T6_T7_T9_mT8_P12ihipStream_tbDpT10_ENKUlT_T0_E_clISt17integral_constantIbLb0EES1E_EEDaS19_S1A_EUlS19_E_NS1_11comp_targetILNS1_3genE5ELNS1_11target_archE942ELNS1_3gpuE9ELNS1_3repE0EEENS1_30default_config_static_selectorELNS0_4arch9wavefront6targetE1EEEvT1_
		.amdhsa_group_segment_fixed_size 0
		.amdhsa_private_segment_fixed_size 0
		.amdhsa_kernarg_size 120
		.amdhsa_user_sgpr_count 2
		.amdhsa_user_sgpr_dispatch_ptr 0
		.amdhsa_user_sgpr_queue_ptr 0
		.amdhsa_user_sgpr_kernarg_segment_ptr 1
		.amdhsa_user_sgpr_dispatch_id 0
		.amdhsa_user_sgpr_kernarg_preload_length 0
		.amdhsa_user_sgpr_kernarg_preload_offset 0
		.amdhsa_user_sgpr_private_segment_size 0
		.amdhsa_uses_dynamic_stack 0
		.amdhsa_enable_private_segment 0
		.amdhsa_system_sgpr_workgroup_id_x 1
		.amdhsa_system_sgpr_workgroup_id_y 0
		.amdhsa_system_sgpr_workgroup_id_z 0
		.amdhsa_system_sgpr_workgroup_info 0
		.amdhsa_system_vgpr_workitem_id 0
		.amdhsa_next_free_vgpr 1
		.amdhsa_next_free_sgpr 0
		.amdhsa_accum_offset 4
		.amdhsa_reserve_vcc 0
		.amdhsa_float_round_mode_32 0
		.amdhsa_float_round_mode_16_64 0
		.amdhsa_float_denorm_mode_32 3
		.amdhsa_float_denorm_mode_16_64 3
		.amdhsa_dx10_clamp 1
		.amdhsa_ieee_mode 1
		.amdhsa_fp16_overflow 0
		.amdhsa_tg_split 0
		.amdhsa_exception_fp_ieee_invalid_op 0
		.amdhsa_exception_fp_denorm_src 0
		.amdhsa_exception_fp_ieee_div_zero 0
		.amdhsa_exception_fp_ieee_overflow 0
		.amdhsa_exception_fp_ieee_underflow 0
		.amdhsa_exception_fp_ieee_inexact 0
		.amdhsa_exception_int_div_zero 0
	.end_amdhsa_kernel
	.section	.text._ZN7rocprim17ROCPRIM_400000_NS6detail17trampoline_kernelINS0_14default_configENS1_25partition_config_selectorILNS1_17partition_subalgoE8ElNS0_10empty_typeEbEEZZNS1_14partition_implILS5_8ELb0ES3_jPlPS6_PKS6_NS0_5tupleIJS9_S6_EEENSD_IJSA_SA_EEENS0_18inequality_wrapperIZN2at6native12_GLOBAL__N_124unique_dim_cuda_templateIN3c108BFloat16EEESt5tupleIJNSH_6TensorESO_SO_EERKSO_lbbbEUlllE0_EEPmJS6_EEE10hipError_tPvRmT3_T4_T5_T6_T7_T9_mT8_P12ihipStream_tbDpT10_ENKUlT_T0_E_clISt17integral_constantIbLb0EES1E_EEDaS19_S1A_EUlS19_E_NS1_11comp_targetILNS1_3genE5ELNS1_11target_archE942ELNS1_3gpuE9ELNS1_3repE0EEENS1_30default_config_static_selectorELNS0_4arch9wavefront6targetE1EEEvT1_,"axG",@progbits,_ZN7rocprim17ROCPRIM_400000_NS6detail17trampoline_kernelINS0_14default_configENS1_25partition_config_selectorILNS1_17partition_subalgoE8ElNS0_10empty_typeEbEEZZNS1_14partition_implILS5_8ELb0ES3_jPlPS6_PKS6_NS0_5tupleIJS9_S6_EEENSD_IJSA_SA_EEENS0_18inequality_wrapperIZN2at6native12_GLOBAL__N_124unique_dim_cuda_templateIN3c108BFloat16EEESt5tupleIJNSH_6TensorESO_SO_EERKSO_lbbbEUlllE0_EEPmJS6_EEE10hipError_tPvRmT3_T4_T5_T6_T7_T9_mT8_P12ihipStream_tbDpT10_ENKUlT_T0_E_clISt17integral_constantIbLb0EES1E_EEDaS19_S1A_EUlS19_E_NS1_11comp_targetILNS1_3genE5ELNS1_11target_archE942ELNS1_3gpuE9ELNS1_3repE0EEENS1_30default_config_static_selectorELNS0_4arch9wavefront6targetE1EEEvT1_,comdat
.Lfunc_end1175:
	.size	_ZN7rocprim17ROCPRIM_400000_NS6detail17trampoline_kernelINS0_14default_configENS1_25partition_config_selectorILNS1_17partition_subalgoE8ElNS0_10empty_typeEbEEZZNS1_14partition_implILS5_8ELb0ES3_jPlPS6_PKS6_NS0_5tupleIJS9_S6_EEENSD_IJSA_SA_EEENS0_18inequality_wrapperIZN2at6native12_GLOBAL__N_124unique_dim_cuda_templateIN3c108BFloat16EEESt5tupleIJNSH_6TensorESO_SO_EERKSO_lbbbEUlllE0_EEPmJS6_EEE10hipError_tPvRmT3_T4_T5_T6_T7_T9_mT8_P12ihipStream_tbDpT10_ENKUlT_T0_E_clISt17integral_constantIbLb0EES1E_EEDaS19_S1A_EUlS19_E_NS1_11comp_targetILNS1_3genE5ELNS1_11target_archE942ELNS1_3gpuE9ELNS1_3repE0EEENS1_30default_config_static_selectorELNS0_4arch9wavefront6targetE1EEEvT1_, .Lfunc_end1175-_ZN7rocprim17ROCPRIM_400000_NS6detail17trampoline_kernelINS0_14default_configENS1_25partition_config_selectorILNS1_17partition_subalgoE8ElNS0_10empty_typeEbEEZZNS1_14partition_implILS5_8ELb0ES3_jPlPS6_PKS6_NS0_5tupleIJS9_S6_EEENSD_IJSA_SA_EEENS0_18inequality_wrapperIZN2at6native12_GLOBAL__N_124unique_dim_cuda_templateIN3c108BFloat16EEESt5tupleIJNSH_6TensorESO_SO_EERKSO_lbbbEUlllE0_EEPmJS6_EEE10hipError_tPvRmT3_T4_T5_T6_T7_T9_mT8_P12ihipStream_tbDpT10_ENKUlT_T0_E_clISt17integral_constantIbLb0EES1E_EEDaS19_S1A_EUlS19_E_NS1_11comp_targetILNS1_3genE5ELNS1_11target_archE942ELNS1_3gpuE9ELNS1_3repE0EEENS1_30default_config_static_selectorELNS0_4arch9wavefront6targetE1EEEvT1_
                                        ; -- End function
	.set _ZN7rocprim17ROCPRIM_400000_NS6detail17trampoline_kernelINS0_14default_configENS1_25partition_config_selectorILNS1_17partition_subalgoE8ElNS0_10empty_typeEbEEZZNS1_14partition_implILS5_8ELb0ES3_jPlPS6_PKS6_NS0_5tupleIJS9_S6_EEENSD_IJSA_SA_EEENS0_18inequality_wrapperIZN2at6native12_GLOBAL__N_124unique_dim_cuda_templateIN3c108BFloat16EEESt5tupleIJNSH_6TensorESO_SO_EERKSO_lbbbEUlllE0_EEPmJS6_EEE10hipError_tPvRmT3_T4_T5_T6_T7_T9_mT8_P12ihipStream_tbDpT10_ENKUlT_T0_E_clISt17integral_constantIbLb0EES1E_EEDaS19_S1A_EUlS19_E_NS1_11comp_targetILNS1_3genE5ELNS1_11target_archE942ELNS1_3gpuE9ELNS1_3repE0EEENS1_30default_config_static_selectorELNS0_4arch9wavefront6targetE1EEEvT1_.num_vgpr, 0
	.set _ZN7rocprim17ROCPRIM_400000_NS6detail17trampoline_kernelINS0_14default_configENS1_25partition_config_selectorILNS1_17partition_subalgoE8ElNS0_10empty_typeEbEEZZNS1_14partition_implILS5_8ELb0ES3_jPlPS6_PKS6_NS0_5tupleIJS9_S6_EEENSD_IJSA_SA_EEENS0_18inequality_wrapperIZN2at6native12_GLOBAL__N_124unique_dim_cuda_templateIN3c108BFloat16EEESt5tupleIJNSH_6TensorESO_SO_EERKSO_lbbbEUlllE0_EEPmJS6_EEE10hipError_tPvRmT3_T4_T5_T6_T7_T9_mT8_P12ihipStream_tbDpT10_ENKUlT_T0_E_clISt17integral_constantIbLb0EES1E_EEDaS19_S1A_EUlS19_E_NS1_11comp_targetILNS1_3genE5ELNS1_11target_archE942ELNS1_3gpuE9ELNS1_3repE0EEENS1_30default_config_static_selectorELNS0_4arch9wavefront6targetE1EEEvT1_.num_agpr, 0
	.set _ZN7rocprim17ROCPRIM_400000_NS6detail17trampoline_kernelINS0_14default_configENS1_25partition_config_selectorILNS1_17partition_subalgoE8ElNS0_10empty_typeEbEEZZNS1_14partition_implILS5_8ELb0ES3_jPlPS6_PKS6_NS0_5tupleIJS9_S6_EEENSD_IJSA_SA_EEENS0_18inequality_wrapperIZN2at6native12_GLOBAL__N_124unique_dim_cuda_templateIN3c108BFloat16EEESt5tupleIJNSH_6TensorESO_SO_EERKSO_lbbbEUlllE0_EEPmJS6_EEE10hipError_tPvRmT3_T4_T5_T6_T7_T9_mT8_P12ihipStream_tbDpT10_ENKUlT_T0_E_clISt17integral_constantIbLb0EES1E_EEDaS19_S1A_EUlS19_E_NS1_11comp_targetILNS1_3genE5ELNS1_11target_archE942ELNS1_3gpuE9ELNS1_3repE0EEENS1_30default_config_static_selectorELNS0_4arch9wavefront6targetE1EEEvT1_.numbered_sgpr, 0
	.set _ZN7rocprim17ROCPRIM_400000_NS6detail17trampoline_kernelINS0_14default_configENS1_25partition_config_selectorILNS1_17partition_subalgoE8ElNS0_10empty_typeEbEEZZNS1_14partition_implILS5_8ELb0ES3_jPlPS6_PKS6_NS0_5tupleIJS9_S6_EEENSD_IJSA_SA_EEENS0_18inequality_wrapperIZN2at6native12_GLOBAL__N_124unique_dim_cuda_templateIN3c108BFloat16EEESt5tupleIJNSH_6TensorESO_SO_EERKSO_lbbbEUlllE0_EEPmJS6_EEE10hipError_tPvRmT3_T4_T5_T6_T7_T9_mT8_P12ihipStream_tbDpT10_ENKUlT_T0_E_clISt17integral_constantIbLb0EES1E_EEDaS19_S1A_EUlS19_E_NS1_11comp_targetILNS1_3genE5ELNS1_11target_archE942ELNS1_3gpuE9ELNS1_3repE0EEENS1_30default_config_static_selectorELNS0_4arch9wavefront6targetE1EEEvT1_.num_named_barrier, 0
	.set _ZN7rocprim17ROCPRIM_400000_NS6detail17trampoline_kernelINS0_14default_configENS1_25partition_config_selectorILNS1_17partition_subalgoE8ElNS0_10empty_typeEbEEZZNS1_14partition_implILS5_8ELb0ES3_jPlPS6_PKS6_NS0_5tupleIJS9_S6_EEENSD_IJSA_SA_EEENS0_18inequality_wrapperIZN2at6native12_GLOBAL__N_124unique_dim_cuda_templateIN3c108BFloat16EEESt5tupleIJNSH_6TensorESO_SO_EERKSO_lbbbEUlllE0_EEPmJS6_EEE10hipError_tPvRmT3_T4_T5_T6_T7_T9_mT8_P12ihipStream_tbDpT10_ENKUlT_T0_E_clISt17integral_constantIbLb0EES1E_EEDaS19_S1A_EUlS19_E_NS1_11comp_targetILNS1_3genE5ELNS1_11target_archE942ELNS1_3gpuE9ELNS1_3repE0EEENS1_30default_config_static_selectorELNS0_4arch9wavefront6targetE1EEEvT1_.private_seg_size, 0
	.set _ZN7rocprim17ROCPRIM_400000_NS6detail17trampoline_kernelINS0_14default_configENS1_25partition_config_selectorILNS1_17partition_subalgoE8ElNS0_10empty_typeEbEEZZNS1_14partition_implILS5_8ELb0ES3_jPlPS6_PKS6_NS0_5tupleIJS9_S6_EEENSD_IJSA_SA_EEENS0_18inequality_wrapperIZN2at6native12_GLOBAL__N_124unique_dim_cuda_templateIN3c108BFloat16EEESt5tupleIJNSH_6TensorESO_SO_EERKSO_lbbbEUlllE0_EEPmJS6_EEE10hipError_tPvRmT3_T4_T5_T6_T7_T9_mT8_P12ihipStream_tbDpT10_ENKUlT_T0_E_clISt17integral_constantIbLb0EES1E_EEDaS19_S1A_EUlS19_E_NS1_11comp_targetILNS1_3genE5ELNS1_11target_archE942ELNS1_3gpuE9ELNS1_3repE0EEENS1_30default_config_static_selectorELNS0_4arch9wavefront6targetE1EEEvT1_.uses_vcc, 0
	.set _ZN7rocprim17ROCPRIM_400000_NS6detail17trampoline_kernelINS0_14default_configENS1_25partition_config_selectorILNS1_17partition_subalgoE8ElNS0_10empty_typeEbEEZZNS1_14partition_implILS5_8ELb0ES3_jPlPS6_PKS6_NS0_5tupleIJS9_S6_EEENSD_IJSA_SA_EEENS0_18inequality_wrapperIZN2at6native12_GLOBAL__N_124unique_dim_cuda_templateIN3c108BFloat16EEESt5tupleIJNSH_6TensorESO_SO_EERKSO_lbbbEUlllE0_EEPmJS6_EEE10hipError_tPvRmT3_T4_T5_T6_T7_T9_mT8_P12ihipStream_tbDpT10_ENKUlT_T0_E_clISt17integral_constantIbLb0EES1E_EEDaS19_S1A_EUlS19_E_NS1_11comp_targetILNS1_3genE5ELNS1_11target_archE942ELNS1_3gpuE9ELNS1_3repE0EEENS1_30default_config_static_selectorELNS0_4arch9wavefront6targetE1EEEvT1_.uses_flat_scratch, 0
	.set _ZN7rocprim17ROCPRIM_400000_NS6detail17trampoline_kernelINS0_14default_configENS1_25partition_config_selectorILNS1_17partition_subalgoE8ElNS0_10empty_typeEbEEZZNS1_14partition_implILS5_8ELb0ES3_jPlPS6_PKS6_NS0_5tupleIJS9_S6_EEENSD_IJSA_SA_EEENS0_18inequality_wrapperIZN2at6native12_GLOBAL__N_124unique_dim_cuda_templateIN3c108BFloat16EEESt5tupleIJNSH_6TensorESO_SO_EERKSO_lbbbEUlllE0_EEPmJS6_EEE10hipError_tPvRmT3_T4_T5_T6_T7_T9_mT8_P12ihipStream_tbDpT10_ENKUlT_T0_E_clISt17integral_constantIbLb0EES1E_EEDaS19_S1A_EUlS19_E_NS1_11comp_targetILNS1_3genE5ELNS1_11target_archE942ELNS1_3gpuE9ELNS1_3repE0EEENS1_30default_config_static_selectorELNS0_4arch9wavefront6targetE1EEEvT1_.has_dyn_sized_stack, 0
	.set _ZN7rocprim17ROCPRIM_400000_NS6detail17trampoline_kernelINS0_14default_configENS1_25partition_config_selectorILNS1_17partition_subalgoE8ElNS0_10empty_typeEbEEZZNS1_14partition_implILS5_8ELb0ES3_jPlPS6_PKS6_NS0_5tupleIJS9_S6_EEENSD_IJSA_SA_EEENS0_18inequality_wrapperIZN2at6native12_GLOBAL__N_124unique_dim_cuda_templateIN3c108BFloat16EEESt5tupleIJNSH_6TensorESO_SO_EERKSO_lbbbEUlllE0_EEPmJS6_EEE10hipError_tPvRmT3_T4_T5_T6_T7_T9_mT8_P12ihipStream_tbDpT10_ENKUlT_T0_E_clISt17integral_constantIbLb0EES1E_EEDaS19_S1A_EUlS19_E_NS1_11comp_targetILNS1_3genE5ELNS1_11target_archE942ELNS1_3gpuE9ELNS1_3repE0EEENS1_30default_config_static_selectorELNS0_4arch9wavefront6targetE1EEEvT1_.has_recursion, 0
	.set _ZN7rocprim17ROCPRIM_400000_NS6detail17trampoline_kernelINS0_14default_configENS1_25partition_config_selectorILNS1_17partition_subalgoE8ElNS0_10empty_typeEbEEZZNS1_14partition_implILS5_8ELb0ES3_jPlPS6_PKS6_NS0_5tupleIJS9_S6_EEENSD_IJSA_SA_EEENS0_18inequality_wrapperIZN2at6native12_GLOBAL__N_124unique_dim_cuda_templateIN3c108BFloat16EEESt5tupleIJNSH_6TensorESO_SO_EERKSO_lbbbEUlllE0_EEPmJS6_EEE10hipError_tPvRmT3_T4_T5_T6_T7_T9_mT8_P12ihipStream_tbDpT10_ENKUlT_T0_E_clISt17integral_constantIbLb0EES1E_EEDaS19_S1A_EUlS19_E_NS1_11comp_targetILNS1_3genE5ELNS1_11target_archE942ELNS1_3gpuE9ELNS1_3repE0EEENS1_30default_config_static_selectorELNS0_4arch9wavefront6targetE1EEEvT1_.has_indirect_call, 0
	.section	.AMDGPU.csdata,"",@progbits
; Kernel info:
; codeLenInByte = 0
; TotalNumSgprs: 6
; NumVgprs: 0
; NumAgprs: 0
; TotalNumVgprs: 0
; ScratchSize: 0
; MemoryBound: 0
; FloatMode: 240
; IeeeMode: 1
; LDSByteSize: 0 bytes/workgroup (compile time only)
; SGPRBlocks: 0
; VGPRBlocks: 0
; NumSGPRsForWavesPerEU: 6
; NumVGPRsForWavesPerEU: 1
; AccumOffset: 4
; Occupancy: 8
; WaveLimiterHint : 0
; COMPUTE_PGM_RSRC2:SCRATCH_EN: 0
; COMPUTE_PGM_RSRC2:USER_SGPR: 2
; COMPUTE_PGM_RSRC2:TRAP_HANDLER: 0
; COMPUTE_PGM_RSRC2:TGID_X_EN: 1
; COMPUTE_PGM_RSRC2:TGID_Y_EN: 0
; COMPUTE_PGM_RSRC2:TGID_Z_EN: 0
; COMPUTE_PGM_RSRC2:TIDIG_COMP_CNT: 0
; COMPUTE_PGM_RSRC3_GFX90A:ACCUM_OFFSET: 0
; COMPUTE_PGM_RSRC3_GFX90A:TG_SPLIT: 0
	.section	.text._ZN7rocprim17ROCPRIM_400000_NS6detail17trampoline_kernelINS0_14default_configENS1_25partition_config_selectorILNS1_17partition_subalgoE8ElNS0_10empty_typeEbEEZZNS1_14partition_implILS5_8ELb0ES3_jPlPS6_PKS6_NS0_5tupleIJS9_S6_EEENSD_IJSA_SA_EEENS0_18inequality_wrapperIZN2at6native12_GLOBAL__N_124unique_dim_cuda_templateIN3c108BFloat16EEESt5tupleIJNSH_6TensorESO_SO_EERKSO_lbbbEUlllE0_EEPmJS6_EEE10hipError_tPvRmT3_T4_T5_T6_T7_T9_mT8_P12ihipStream_tbDpT10_ENKUlT_T0_E_clISt17integral_constantIbLb0EES1E_EEDaS19_S1A_EUlS19_E_NS1_11comp_targetILNS1_3genE4ELNS1_11target_archE910ELNS1_3gpuE8ELNS1_3repE0EEENS1_30default_config_static_selectorELNS0_4arch9wavefront6targetE1EEEvT1_,"axG",@progbits,_ZN7rocprim17ROCPRIM_400000_NS6detail17trampoline_kernelINS0_14default_configENS1_25partition_config_selectorILNS1_17partition_subalgoE8ElNS0_10empty_typeEbEEZZNS1_14partition_implILS5_8ELb0ES3_jPlPS6_PKS6_NS0_5tupleIJS9_S6_EEENSD_IJSA_SA_EEENS0_18inequality_wrapperIZN2at6native12_GLOBAL__N_124unique_dim_cuda_templateIN3c108BFloat16EEESt5tupleIJNSH_6TensorESO_SO_EERKSO_lbbbEUlllE0_EEPmJS6_EEE10hipError_tPvRmT3_T4_T5_T6_T7_T9_mT8_P12ihipStream_tbDpT10_ENKUlT_T0_E_clISt17integral_constantIbLb0EES1E_EEDaS19_S1A_EUlS19_E_NS1_11comp_targetILNS1_3genE4ELNS1_11target_archE910ELNS1_3gpuE8ELNS1_3repE0EEENS1_30default_config_static_selectorELNS0_4arch9wavefront6targetE1EEEvT1_,comdat
	.globl	_ZN7rocprim17ROCPRIM_400000_NS6detail17trampoline_kernelINS0_14default_configENS1_25partition_config_selectorILNS1_17partition_subalgoE8ElNS0_10empty_typeEbEEZZNS1_14partition_implILS5_8ELb0ES3_jPlPS6_PKS6_NS0_5tupleIJS9_S6_EEENSD_IJSA_SA_EEENS0_18inequality_wrapperIZN2at6native12_GLOBAL__N_124unique_dim_cuda_templateIN3c108BFloat16EEESt5tupleIJNSH_6TensorESO_SO_EERKSO_lbbbEUlllE0_EEPmJS6_EEE10hipError_tPvRmT3_T4_T5_T6_T7_T9_mT8_P12ihipStream_tbDpT10_ENKUlT_T0_E_clISt17integral_constantIbLb0EES1E_EEDaS19_S1A_EUlS19_E_NS1_11comp_targetILNS1_3genE4ELNS1_11target_archE910ELNS1_3gpuE8ELNS1_3repE0EEENS1_30default_config_static_selectorELNS0_4arch9wavefront6targetE1EEEvT1_ ; -- Begin function _ZN7rocprim17ROCPRIM_400000_NS6detail17trampoline_kernelINS0_14default_configENS1_25partition_config_selectorILNS1_17partition_subalgoE8ElNS0_10empty_typeEbEEZZNS1_14partition_implILS5_8ELb0ES3_jPlPS6_PKS6_NS0_5tupleIJS9_S6_EEENSD_IJSA_SA_EEENS0_18inequality_wrapperIZN2at6native12_GLOBAL__N_124unique_dim_cuda_templateIN3c108BFloat16EEESt5tupleIJNSH_6TensorESO_SO_EERKSO_lbbbEUlllE0_EEPmJS6_EEE10hipError_tPvRmT3_T4_T5_T6_T7_T9_mT8_P12ihipStream_tbDpT10_ENKUlT_T0_E_clISt17integral_constantIbLb0EES1E_EEDaS19_S1A_EUlS19_E_NS1_11comp_targetILNS1_3genE4ELNS1_11target_archE910ELNS1_3gpuE8ELNS1_3repE0EEENS1_30default_config_static_selectorELNS0_4arch9wavefront6targetE1EEEvT1_
	.p2align	8
	.type	_ZN7rocprim17ROCPRIM_400000_NS6detail17trampoline_kernelINS0_14default_configENS1_25partition_config_selectorILNS1_17partition_subalgoE8ElNS0_10empty_typeEbEEZZNS1_14partition_implILS5_8ELb0ES3_jPlPS6_PKS6_NS0_5tupleIJS9_S6_EEENSD_IJSA_SA_EEENS0_18inequality_wrapperIZN2at6native12_GLOBAL__N_124unique_dim_cuda_templateIN3c108BFloat16EEESt5tupleIJNSH_6TensorESO_SO_EERKSO_lbbbEUlllE0_EEPmJS6_EEE10hipError_tPvRmT3_T4_T5_T6_T7_T9_mT8_P12ihipStream_tbDpT10_ENKUlT_T0_E_clISt17integral_constantIbLb0EES1E_EEDaS19_S1A_EUlS19_E_NS1_11comp_targetILNS1_3genE4ELNS1_11target_archE910ELNS1_3gpuE8ELNS1_3repE0EEENS1_30default_config_static_selectorELNS0_4arch9wavefront6targetE1EEEvT1_,@function
_ZN7rocprim17ROCPRIM_400000_NS6detail17trampoline_kernelINS0_14default_configENS1_25partition_config_selectorILNS1_17partition_subalgoE8ElNS0_10empty_typeEbEEZZNS1_14partition_implILS5_8ELb0ES3_jPlPS6_PKS6_NS0_5tupleIJS9_S6_EEENSD_IJSA_SA_EEENS0_18inequality_wrapperIZN2at6native12_GLOBAL__N_124unique_dim_cuda_templateIN3c108BFloat16EEESt5tupleIJNSH_6TensorESO_SO_EERKSO_lbbbEUlllE0_EEPmJS6_EEE10hipError_tPvRmT3_T4_T5_T6_T7_T9_mT8_P12ihipStream_tbDpT10_ENKUlT_T0_E_clISt17integral_constantIbLb0EES1E_EEDaS19_S1A_EUlS19_E_NS1_11comp_targetILNS1_3genE4ELNS1_11target_archE910ELNS1_3gpuE8ELNS1_3repE0EEENS1_30default_config_static_selectorELNS0_4arch9wavefront6targetE1EEEvT1_: ; @_ZN7rocprim17ROCPRIM_400000_NS6detail17trampoline_kernelINS0_14default_configENS1_25partition_config_selectorILNS1_17partition_subalgoE8ElNS0_10empty_typeEbEEZZNS1_14partition_implILS5_8ELb0ES3_jPlPS6_PKS6_NS0_5tupleIJS9_S6_EEENSD_IJSA_SA_EEENS0_18inequality_wrapperIZN2at6native12_GLOBAL__N_124unique_dim_cuda_templateIN3c108BFloat16EEESt5tupleIJNSH_6TensorESO_SO_EERKSO_lbbbEUlllE0_EEPmJS6_EEE10hipError_tPvRmT3_T4_T5_T6_T7_T9_mT8_P12ihipStream_tbDpT10_ENKUlT_T0_E_clISt17integral_constantIbLb0EES1E_EEDaS19_S1A_EUlS19_E_NS1_11comp_targetILNS1_3genE4ELNS1_11target_archE910ELNS1_3gpuE8ELNS1_3repE0EEENS1_30default_config_static_selectorELNS0_4arch9wavefront6targetE1EEEvT1_
; %bb.0:
	.section	.rodata,"a",@progbits
	.p2align	6, 0x0
	.amdhsa_kernel _ZN7rocprim17ROCPRIM_400000_NS6detail17trampoline_kernelINS0_14default_configENS1_25partition_config_selectorILNS1_17partition_subalgoE8ElNS0_10empty_typeEbEEZZNS1_14partition_implILS5_8ELb0ES3_jPlPS6_PKS6_NS0_5tupleIJS9_S6_EEENSD_IJSA_SA_EEENS0_18inequality_wrapperIZN2at6native12_GLOBAL__N_124unique_dim_cuda_templateIN3c108BFloat16EEESt5tupleIJNSH_6TensorESO_SO_EERKSO_lbbbEUlllE0_EEPmJS6_EEE10hipError_tPvRmT3_T4_T5_T6_T7_T9_mT8_P12ihipStream_tbDpT10_ENKUlT_T0_E_clISt17integral_constantIbLb0EES1E_EEDaS19_S1A_EUlS19_E_NS1_11comp_targetILNS1_3genE4ELNS1_11target_archE910ELNS1_3gpuE8ELNS1_3repE0EEENS1_30default_config_static_selectorELNS0_4arch9wavefront6targetE1EEEvT1_
		.amdhsa_group_segment_fixed_size 0
		.amdhsa_private_segment_fixed_size 0
		.amdhsa_kernarg_size 120
		.amdhsa_user_sgpr_count 2
		.amdhsa_user_sgpr_dispatch_ptr 0
		.amdhsa_user_sgpr_queue_ptr 0
		.amdhsa_user_sgpr_kernarg_segment_ptr 1
		.amdhsa_user_sgpr_dispatch_id 0
		.amdhsa_user_sgpr_kernarg_preload_length 0
		.amdhsa_user_sgpr_kernarg_preload_offset 0
		.amdhsa_user_sgpr_private_segment_size 0
		.amdhsa_uses_dynamic_stack 0
		.amdhsa_enable_private_segment 0
		.amdhsa_system_sgpr_workgroup_id_x 1
		.amdhsa_system_sgpr_workgroup_id_y 0
		.amdhsa_system_sgpr_workgroup_id_z 0
		.amdhsa_system_sgpr_workgroup_info 0
		.amdhsa_system_vgpr_workitem_id 0
		.amdhsa_next_free_vgpr 1
		.amdhsa_next_free_sgpr 0
		.amdhsa_accum_offset 4
		.amdhsa_reserve_vcc 0
		.amdhsa_float_round_mode_32 0
		.amdhsa_float_round_mode_16_64 0
		.amdhsa_float_denorm_mode_32 3
		.amdhsa_float_denorm_mode_16_64 3
		.amdhsa_dx10_clamp 1
		.amdhsa_ieee_mode 1
		.amdhsa_fp16_overflow 0
		.amdhsa_tg_split 0
		.amdhsa_exception_fp_ieee_invalid_op 0
		.amdhsa_exception_fp_denorm_src 0
		.amdhsa_exception_fp_ieee_div_zero 0
		.amdhsa_exception_fp_ieee_overflow 0
		.amdhsa_exception_fp_ieee_underflow 0
		.amdhsa_exception_fp_ieee_inexact 0
		.amdhsa_exception_int_div_zero 0
	.end_amdhsa_kernel
	.section	.text._ZN7rocprim17ROCPRIM_400000_NS6detail17trampoline_kernelINS0_14default_configENS1_25partition_config_selectorILNS1_17partition_subalgoE8ElNS0_10empty_typeEbEEZZNS1_14partition_implILS5_8ELb0ES3_jPlPS6_PKS6_NS0_5tupleIJS9_S6_EEENSD_IJSA_SA_EEENS0_18inequality_wrapperIZN2at6native12_GLOBAL__N_124unique_dim_cuda_templateIN3c108BFloat16EEESt5tupleIJNSH_6TensorESO_SO_EERKSO_lbbbEUlllE0_EEPmJS6_EEE10hipError_tPvRmT3_T4_T5_T6_T7_T9_mT8_P12ihipStream_tbDpT10_ENKUlT_T0_E_clISt17integral_constantIbLb0EES1E_EEDaS19_S1A_EUlS19_E_NS1_11comp_targetILNS1_3genE4ELNS1_11target_archE910ELNS1_3gpuE8ELNS1_3repE0EEENS1_30default_config_static_selectorELNS0_4arch9wavefront6targetE1EEEvT1_,"axG",@progbits,_ZN7rocprim17ROCPRIM_400000_NS6detail17trampoline_kernelINS0_14default_configENS1_25partition_config_selectorILNS1_17partition_subalgoE8ElNS0_10empty_typeEbEEZZNS1_14partition_implILS5_8ELb0ES3_jPlPS6_PKS6_NS0_5tupleIJS9_S6_EEENSD_IJSA_SA_EEENS0_18inequality_wrapperIZN2at6native12_GLOBAL__N_124unique_dim_cuda_templateIN3c108BFloat16EEESt5tupleIJNSH_6TensorESO_SO_EERKSO_lbbbEUlllE0_EEPmJS6_EEE10hipError_tPvRmT3_T4_T5_T6_T7_T9_mT8_P12ihipStream_tbDpT10_ENKUlT_T0_E_clISt17integral_constantIbLb0EES1E_EEDaS19_S1A_EUlS19_E_NS1_11comp_targetILNS1_3genE4ELNS1_11target_archE910ELNS1_3gpuE8ELNS1_3repE0EEENS1_30default_config_static_selectorELNS0_4arch9wavefront6targetE1EEEvT1_,comdat
.Lfunc_end1176:
	.size	_ZN7rocprim17ROCPRIM_400000_NS6detail17trampoline_kernelINS0_14default_configENS1_25partition_config_selectorILNS1_17partition_subalgoE8ElNS0_10empty_typeEbEEZZNS1_14partition_implILS5_8ELb0ES3_jPlPS6_PKS6_NS0_5tupleIJS9_S6_EEENSD_IJSA_SA_EEENS0_18inequality_wrapperIZN2at6native12_GLOBAL__N_124unique_dim_cuda_templateIN3c108BFloat16EEESt5tupleIJNSH_6TensorESO_SO_EERKSO_lbbbEUlllE0_EEPmJS6_EEE10hipError_tPvRmT3_T4_T5_T6_T7_T9_mT8_P12ihipStream_tbDpT10_ENKUlT_T0_E_clISt17integral_constantIbLb0EES1E_EEDaS19_S1A_EUlS19_E_NS1_11comp_targetILNS1_3genE4ELNS1_11target_archE910ELNS1_3gpuE8ELNS1_3repE0EEENS1_30default_config_static_selectorELNS0_4arch9wavefront6targetE1EEEvT1_, .Lfunc_end1176-_ZN7rocprim17ROCPRIM_400000_NS6detail17trampoline_kernelINS0_14default_configENS1_25partition_config_selectorILNS1_17partition_subalgoE8ElNS0_10empty_typeEbEEZZNS1_14partition_implILS5_8ELb0ES3_jPlPS6_PKS6_NS0_5tupleIJS9_S6_EEENSD_IJSA_SA_EEENS0_18inequality_wrapperIZN2at6native12_GLOBAL__N_124unique_dim_cuda_templateIN3c108BFloat16EEESt5tupleIJNSH_6TensorESO_SO_EERKSO_lbbbEUlllE0_EEPmJS6_EEE10hipError_tPvRmT3_T4_T5_T6_T7_T9_mT8_P12ihipStream_tbDpT10_ENKUlT_T0_E_clISt17integral_constantIbLb0EES1E_EEDaS19_S1A_EUlS19_E_NS1_11comp_targetILNS1_3genE4ELNS1_11target_archE910ELNS1_3gpuE8ELNS1_3repE0EEENS1_30default_config_static_selectorELNS0_4arch9wavefront6targetE1EEEvT1_
                                        ; -- End function
	.set _ZN7rocprim17ROCPRIM_400000_NS6detail17trampoline_kernelINS0_14default_configENS1_25partition_config_selectorILNS1_17partition_subalgoE8ElNS0_10empty_typeEbEEZZNS1_14partition_implILS5_8ELb0ES3_jPlPS6_PKS6_NS0_5tupleIJS9_S6_EEENSD_IJSA_SA_EEENS0_18inequality_wrapperIZN2at6native12_GLOBAL__N_124unique_dim_cuda_templateIN3c108BFloat16EEESt5tupleIJNSH_6TensorESO_SO_EERKSO_lbbbEUlllE0_EEPmJS6_EEE10hipError_tPvRmT3_T4_T5_T6_T7_T9_mT8_P12ihipStream_tbDpT10_ENKUlT_T0_E_clISt17integral_constantIbLb0EES1E_EEDaS19_S1A_EUlS19_E_NS1_11comp_targetILNS1_3genE4ELNS1_11target_archE910ELNS1_3gpuE8ELNS1_3repE0EEENS1_30default_config_static_selectorELNS0_4arch9wavefront6targetE1EEEvT1_.num_vgpr, 0
	.set _ZN7rocprim17ROCPRIM_400000_NS6detail17trampoline_kernelINS0_14default_configENS1_25partition_config_selectorILNS1_17partition_subalgoE8ElNS0_10empty_typeEbEEZZNS1_14partition_implILS5_8ELb0ES3_jPlPS6_PKS6_NS0_5tupleIJS9_S6_EEENSD_IJSA_SA_EEENS0_18inequality_wrapperIZN2at6native12_GLOBAL__N_124unique_dim_cuda_templateIN3c108BFloat16EEESt5tupleIJNSH_6TensorESO_SO_EERKSO_lbbbEUlllE0_EEPmJS6_EEE10hipError_tPvRmT3_T4_T5_T6_T7_T9_mT8_P12ihipStream_tbDpT10_ENKUlT_T0_E_clISt17integral_constantIbLb0EES1E_EEDaS19_S1A_EUlS19_E_NS1_11comp_targetILNS1_3genE4ELNS1_11target_archE910ELNS1_3gpuE8ELNS1_3repE0EEENS1_30default_config_static_selectorELNS0_4arch9wavefront6targetE1EEEvT1_.num_agpr, 0
	.set _ZN7rocprim17ROCPRIM_400000_NS6detail17trampoline_kernelINS0_14default_configENS1_25partition_config_selectorILNS1_17partition_subalgoE8ElNS0_10empty_typeEbEEZZNS1_14partition_implILS5_8ELb0ES3_jPlPS6_PKS6_NS0_5tupleIJS9_S6_EEENSD_IJSA_SA_EEENS0_18inequality_wrapperIZN2at6native12_GLOBAL__N_124unique_dim_cuda_templateIN3c108BFloat16EEESt5tupleIJNSH_6TensorESO_SO_EERKSO_lbbbEUlllE0_EEPmJS6_EEE10hipError_tPvRmT3_T4_T5_T6_T7_T9_mT8_P12ihipStream_tbDpT10_ENKUlT_T0_E_clISt17integral_constantIbLb0EES1E_EEDaS19_S1A_EUlS19_E_NS1_11comp_targetILNS1_3genE4ELNS1_11target_archE910ELNS1_3gpuE8ELNS1_3repE0EEENS1_30default_config_static_selectorELNS0_4arch9wavefront6targetE1EEEvT1_.numbered_sgpr, 0
	.set _ZN7rocprim17ROCPRIM_400000_NS6detail17trampoline_kernelINS0_14default_configENS1_25partition_config_selectorILNS1_17partition_subalgoE8ElNS0_10empty_typeEbEEZZNS1_14partition_implILS5_8ELb0ES3_jPlPS6_PKS6_NS0_5tupleIJS9_S6_EEENSD_IJSA_SA_EEENS0_18inequality_wrapperIZN2at6native12_GLOBAL__N_124unique_dim_cuda_templateIN3c108BFloat16EEESt5tupleIJNSH_6TensorESO_SO_EERKSO_lbbbEUlllE0_EEPmJS6_EEE10hipError_tPvRmT3_T4_T5_T6_T7_T9_mT8_P12ihipStream_tbDpT10_ENKUlT_T0_E_clISt17integral_constantIbLb0EES1E_EEDaS19_S1A_EUlS19_E_NS1_11comp_targetILNS1_3genE4ELNS1_11target_archE910ELNS1_3gpuE8ELNS1_3repE0EEENS1_30default_config_static_selectorELNS0_4arch9wavefront6targetE1EEEvT1_.num_named_barrier, 0
	.set _ZN7rocprim17ROCPRIM_400000_NS6detail17trampoline_kernelINS0_14default_configENS1_25partition_config_selectorILNS1_17partition_subalgoE8ElNS0_10empty_typeEbEEZZNS1_14partition_implILS5_8ELb0ES3_jPlPS6_PKS6_NS0_5tupleIJS9_S6_EEENSD_IJSA_SA_EEENS0_18inequality_wrapperIZN2at6native12_GLOBAL__N_124unique_dim_cuda_templateIN3c108BFloat16EEESt5tupleIJNSH_6TensorESO_SO_EERKSO_lbbbEUlllE0_EEPmJS6_EEE10hipError_tPvRmT3_T4_T5_T6_T7_T9_mT8_P12ihipStream_tbDpT10_ENKUlT_T0_E_clISt17integral_constantIbLb0EES1E_EEDaS19_S1A_EUlS19_E_NS1_11comp_targetILNS1_3genE4ELNS1_11target_archE910ELNS1_3gpuE8ELNS1_3repE0EEENS1_30default_config_static_selectorELNS0_4arch9wavefront6targetE1EEEvT1_.private_seg_size, 0
	.set _ZN7rocprim17ROCPRIM_400000_NS6detail17trampoline_kernelINS0_14default_configENS1_25partition_config_selectorILNS1_17partition_subalgoE8ElNS0_10empty_typeEbEEZZNS1_14partition_implILS5_8ELb0ES3_jPlPS6_PKS6_NS0_5tupleIJS9_S6_EEENSD_IJSA_SA_EEENS0_18inequality_wrapperIZN2at6native12_GLOBAL__N_124unique_dim_cuda_templateIN3c108BFloat16EEESt5tupleIJNSH_6TensorESO_SO_EERKSO_lbbbEUlllE0_EEPmJS6_EEE10hipError_tPvRmT3_T4_T5_T6_T7_T9_mT8_P12ihipStream_tbDpT10_ENKUlT_T0_E_clISt17integral_constantIbLb0EES1E_EEDaS19_S1A_EUlS19_E_NS1_11comp_targetILNS1_3genE4ELNS1_11target_archE910ELNS1_3gpuE8ELNS1_3repE0EEENS1_30default_config_static_selectorELNS0_4arch9wavefront6targetE1EEEvT1_.uses_vcc, 0
	.set _ZN7rocprim17ROCPRIM_400000_NS6detail17trampoline_kernelINS0_14default_configENS1_25partition_config_selectorILNS1_17partition_subalgoE8ElNS0_10empty_typeEbEEZZNS1_14partition_implILS5_8ELb0ES3_jPlPS6_PKS6_NS0_5tupleIJS9_S6_EEENSD_IJSA_SA_EEENS0_18inequality_wrapperIZN2at6native12_GLOBAL__N_124unique_dim_cuda_templateIN3c108BFloat16EEESt5tupleIJNSH_6TensorESO_SO_EERKSO_lbbbEUlllE0_EEPmJS6_EEE10hipError_tPvRmT3_T4_T5_T6_T7_T9_mT8_P12ihipStream_tbDpT10_ENKUlT_T0_E_clISt17integral_constantIbLb0EES1E_EEDaS19_S1A_EUlS19_E_NS1_11comp_targetILNS1_3genE4ELNS1_11target_archE910ELNS1_3gpuE8ELNS1_3repE0EEENS1_30default_config_static_selectorELNS0_4arch9wavefront6targetE1EEEvT1_.uses_flat_scratch, 0
	.set _ZN7rocprim17ROCPRIM_400000_NS6detail17trampoline_kernelINS0_14default_configENS1_25partition_config_selectorILNS1_17partition_subalgoE8ElNS0_10empty_typeEbEEZZNS1_14partition_implILS5_8ELb0ES3_jPlPS6_PKS6_NS0_5tupleIJS9_S6_EEENSD_IJSA_SA_EEENS0_18inequality_wrapperIZN2at6native12_GLOBAL__N_124unique_dim_cuda_templateIN3c108BFloat16EEESt5tupleIJNSH_6TensorESO_SO_EERKSO_lbbbEUlllE0_EEPmJS6_EEE10hipError_tPvRmT3_T4_T5_T6_T7_T9_mT8_P12ihipStream_tbDpT10_ENKUlT_T0_E_clISt17integral_constantIbLb0EES1E_EEDaS19_S1A_EUlS19_E_NS1_11comp_targetILNS1_3genE4ELNS1_11target_archE910ELNS1_3gpuE8ELNS1_3repE0EEENS1_30default_config_static_selectorELNS0_4arch9wavefront6targetE1EEEvT1_.has_dyn_sized_stack, 0
	.set _ZN7rocprim17ROCPRIM_400000_NS6detail17trampoline_kernelINS0_14default_configENS1_25partition_config_selectorILNS1_17partition_subalgoE8ElNS0_10empty_typeEbEEZZNS1_14partition_implILS5_8ELb0ES3_jPlPS6_PKS6_NS0_5tupleIJS9_S6_EEENSD_IJSA_SA_EEENS0_18inequality_wrapperIZN2at6native12_GLOBAL__N_124unique_dim_cuda_templateIN3c108BFloat16EEESt5tupleIJNSH_6TensorESO_SO_EERKSO_lbbbEUlllE0_EEPmJS6_EEE10hipError_tPvRmT3_T4_T5_T6_T7_T9_mT8_P12ihipStream_tbDpT10_ENKUlT_T0_E_clISt17integral_constantIbLb0EES1E_EEDaS19_S1A_EUlS19_E_NS1_11comp_targetILNS1_3genE4ELNS1_11target_archE910ELNS1_3gpuE8ELNS1_3repE0EEENS1_30default_config_static_selectorELNS0_4arch9wavefront6targetE1EEEvT1_.has_recursion, 0
	.set _ZN7rocprim17ROCPRIM_400000_NS6detail17trampoline_kernelINS0_14default_configENS1_25partition_config_selectorILNS1_17partition_subalgoE8ElNS0_10empty_typeEbEEZZNS1_14partition_implILS5_8ELb0ES3_jPlPS6_PKS6_NS0_5tupleIJS9_S6_EEENSD_IJSA_SA_EEENS0_18inequality_wrapperIZN2at6native12_GLOBAL__N_124unique_dim_cuda_templateIN3c108BFloat16EEESt5tupleIJNSH_6TensorESO_SO_EERKSO_lbbbEUlllE0_EEPmJS6_EEE10hipError_tPvRmT3_T4_T5_T6_T7_T9_mT8_P12ihipStream_tbDpT10_ENKUlT_T0_E_clISt17integral_constantIbLb0EES1E_EEDaS19_S1A_EUlS19_E_NS1_11comp_targetILNS1_3genE4ELNS1_11target_archE910ELNS1_3gpuE8ELNS1_3repE0EEENS1_30default_config_static_selectorELNS0_4arch9wavefront6targetE1EEEvT1_.has_indirect_call, 0
	.section	.AMDGPU.csdata,"",@progbits
; Kernel info:
; codeLenInByte = 0
; TotalNumSgprs: 6
; NumVgprs: 0
; NumAgprs: 0
; TotalNumVgprs: 0
; ScratchSize: 0
; MemoryBound: 0
; FloatMode: 240
; IeeeMode: 1
; LDSByteSize: 0 bytes/workgroup (compile time only)
; SGPRBlocks: 0
; VGPRBlocks: 0
; NumSGPRsForWavesPerEU: 6
; NumVGPRsForWavesPerEU: 1
; AccumOffset: 4
; Occupancy: 8
; WaveLimiterHint : 0
; COMPUTE_PGM_RSRC2:SCRATCH_EN: 0
; COMPUTE_PGM_RSRC2:USER_SGPR: 2
; COMPUTE_PGM_RSRC2:TRAP_HANDLER: 0
; COMPUTE_PGM_RSRC2:TGID_X_EN: 1
; COMPUTE_PGM_RSRC2:TGID_Y_EN: 0
; COMPUTE_PGM_RSRC2:TGID_Z_EN: 0
; COMPUTE_PGM_RSRC2:TIDIG_COMP_CNT: 0
; COMPUTE_PGM_RSRC3_GFX90A:ACCUM_OFFSET: 0
; COMPUTE_PGM_RSRC3_GFX90A:TG_SPLIT: 0
	.section	.text._ZN7rocprim17ROCPRIM_400000_NS6detail17trampoline_kernelINS0_14default_configENS1_25partition_config_selectorILNS1_17partition_subalgoE8ElNS0_10empty_typeEbEEZZNS1_14partition_implILS5_8ELb0ES3_jPlPS6_PKS6_NS0_5tupleIJS9_S6_EEENSD_IJSA_SA_EEENS0_18inequality_wrapperIZN2at6native12_GLOBAL__N_124unique_dim_cuda_templateIN3c108BFloat16EEESt5tupleIJNSH_6TensorESO_SO_EERKSO_lbbbEUlllE0_EEPmJS6_EEE10hipError_tPvRmT3_T4_T5_T6_T7_T9_mT8_P12ihipStream_tbDpT10_ENKUlT_T0_E_clISt17integral_constantIbLb0EES1E_EEDaS19_S1A_EUlS19_E_NS1_11comp_targetILNS1_3genE3ELNS1_11target_archE908ELNS1_3gpuE7ELNS1_3repE0EEENS1_30default_config_static_selectorELNS0_4arch9wavefront6targetE1EEEvT1_,"axG",@progbits,_ZN7rocprim17ROCPRIM_400000_NS6detail17trampoline_kernelINS0_14default_configENS1_25partition_config_selectorILNS1_17partition_subalgoE8ElNS0_10empty_typeEbEEZZNS1_14partition_implILS5_8ELb0ES3_jPlPS6_PKS6_NS0_5tupleIJS9_S6_EEENSD_IJSA_SA_EEENS0_18inequality_wrapperIZN2at6native12_GLOBAL__N_124unique_dim_cuda_templateIN3c108BFloat16EEESt5tupleIJNSH_6TensorESO_SO_EERKSO_lbbbEUlllE0_EEPmJS6_EEE10hipError_tPvRmT3_T4_T5_T6_T7_T9_mT8_P12ihipStream_tbDpT10_ENKUlT_T0_E_clISt17integral_constantIbLb0EES1E_EEDaS19_S1A_EUlS19_E_NS1_11comp_targetILNS1_3genE3ELNS1_11target_archE908ELNS1_3gpuE7ELNS1_3repE0EEENS1_30default_config_static_selectorELNS0_4arch9wavefront6targetE1EEEvT1_,comdat
	.globl	_ZN7rocprim17ROCPRIM_400000_NS6detail17trampoline_kernelINS0_14default_configENS1_25partition_config_selectorILNS1_17partition_subalgoE8ElNS0_10empty_typeEbEEZZNS1_14partition_implILS5_8ELb0ES3_jPlPS6_PKS6_NS0_5tupleIJS9_S6_EEENSD_IJSA_SA_EEENS0_18inequality_wrapperIZN2at6native12_GLOBAL__N_124unique_dim_cuda_templateIN3c108BFloat16EEESt5tupleIJNSH_6TensorESO_SO_EERKSO_lbbbEUlllE0_EEPmJS6_EEE10hipError_tPvRmT3_T4_T5_T6_T7_T9_mT8_P12ihipStream_tbDpT10_ENKUlT_T0_E_clISt17integral_constantIbLb0EES1E_EEDaS19_S1A_EUlS19_E_NS1_11comp_targetILNS1_3genE3ELNS1_11target_archE908ELNS1_3gpuE7ELNS1_3repE0EEENS1_30default_config_static_selectorELNS0_4arch9wavefront6targetE1EEEvT1_ ; -- Begin function _ZN7rocprim17ROCPRIM_400000_NS6detail17trampoline_kernelINS0_14default_configENS1_25partition_config_selectorILNS1_17partition_subalgoE8ElNS0_10empty_typeEbEEZZNS1_14partition_implILS5_8ELb0ES3_jPlPS6_PKS6_NS0_5tupleIJS9_S6_EEENSD_IJSA_SA_EEENS0_18inequality_wrapperIZN2at6native12_GLOBAL__N_124unique_dim_cuda_templateIN3c108BFloat16EEESt5tupleIJNSH_6TensorESO_SO_EERKSO_lbbbEUlllE0_EEPmJS6_EEE10hipError_tPvRmT3_T4_T5_T6_T7_T9_mT8_P12ihipStream_tbDpT10_ENKUlT_T0_E_clISt17integral_constantIbLb0EES1E_EEDaS19_S1A_EUlS19_E_NS1_11comp_targetILNS1_3genE3ELNS1_11target_archE908ELNS1_3gpuE7ELNS1_3repE0EEENS1_30default_config_static_selectorELNS0_4arch9wavefront6targetE1EEEvT1_
	.p2align	8
	.type	_ZN7rocprim17ROCPRIM_400000_NS6detail17trampoline_kernelINS0_14default_configENS1_25partition_config_selectorILNS1_17partition_subalgoE8ElNS0_10empty_typeEbEEZZNS1_14partition_implILS5_8ELb0ES3_jPlPS6_PKS6_NS0_5tupleIJS9_S6_EEENSD_IJSA_SA_EEENS0_18inequality_wrapperIZN2at6native12_GLOBAL__N_124unique_dim_cuda_templateIN3c108BFloat16EEESt5tupleIJNSH_6TensorESO_SO_EERKSO_lbbbEUlllE0_EEPmJS6_EEE10hipError_tPvRmT3_T4_T5_T6_T7_T9_mT8_P12ihipStream_tbDpT10_ENKUlT_T0_E_clISt17integral_constantIbLb0EES1E_EEDaS19_S1A_EUlS19_E_NS1_11comp_targetILNS1_3genE3ELNS1_11target_archE908ELNS1_3gpuE7ELNS1_3repE0EEENS1_30default_config_static_selectorELNS0_4arch9wavefront6targetE1EEEvT1_,@function
_ZN7rocprim17ROCPRIM_400000_NS6detail17trampoline_kernelINS0_14default_configENS1_25partition_config_selectorILNS1_17partition_subalgoE8ElNS0_10empty_typeEbEEZZNS1_14partition_implILS5_8ELb0ES3_jPlPS6_PKS6_NS0_5tupleIJS9_S6_EEENSD_IJSA_SA_EEENS0_18inequality_wrapperIZN2at6native12_GLOBAL__N_124unique_dim_cuda_templateIN3c108BFloat16EEESt5tupleIJNSH_6TensorESO_SO_EERKSO_lbbbEUlllE0_EEPmJS6_EEE10hipError_tPvRmT3_T4_T5_T6_T7_T9_mT8_P12ihipStream_tbDpT10_ENKUlT_T0_E_clISt17integral_constantIbLb0EES1E_EEDaS19_S1A_EUlS19_E_NS1_11comp_targetILNS1_3genE3ELNS1_11target_archE908ELNS1_3gpuE7ELNS1_3repE0EEENS1_30default_config_static_selectorELNS0_4arch9wavefront6targetE1EEEvT1_: ; @_ZN7rocprim17ROCPRIM_400000_NS6detail17trampoline_kernelINS0_14default_configENS1_25partition_config_selectorILNS1_17partition_subalgoE8ElNS0_10empty_typeEbEEZZNS1_14partition_implILS5_8ELb0ES3_jPlPS6_PKS6_NS0_5tupleIJS9_S6_EEENSD_IJSA_SA_EEENS0_18inequality_wrapperIZN2at6native12_GLOBAL__N_124unique_dim_cuda_templateIN3c108BFloat16EEESt5tupleIJNSH_6TensorESO_SO_EERKSO_lbbbEUlllE0_EEPmJS6_EEE10hipError_tPvRmT3_T4_T5_T6_T7_T9_mT8_P12ihipStream_tbDpT10_ENKUlT_T0_E_clISt17integral_constantIbLb0EES1E_EEDaS19_S1A_EUlS19_E_NS1_11comp_targetILNS1_3genE3ELNS1_11target_archE908ELNS1_3gpuE7ELNS1_3repE0EEENS1_30default_config_static_selectorELNS0_4arch9wavefront6targetE1EEEvT1_
; %bb.0:
	.section	.rodata,"a",@progbits
	.p2align	6, 0x0
	.amdhsa_kernel _ZN7rocprim17ROCPRIM_400000_NS6detail17trampoline_kernelINS0_14default_configENS1_25partition_config_selectorILNS1_17partition_subalgoE8ElNS0_10empty_typeEbEEZZNS1_14partition_implILS5_8ELb0ES3_jPlPS6_PKS6_NS0_5tupleIJS9_S6_EEENSD_IJSA_SA_EEENS0_18inequality_wrapperIZN2at6native12_GLOBAL__N_124unique_dim_cuda_templateIN3c108BFloat16EEESt5tupleIJNSH_6TensorESO_SO_EERKSO_lbbbEUlllE0_EEPmJS6_EEE10hipError_tPvRmT3_T4_T5_T6_T7_T9_mT8_P12ihipStream_tbDpT10_ENKUlT_T0_E_clISt17integral_constantIbLb0EES1E_EEDaS19_S1A_EUlS19_E_NS1_11comp_targetILNS1_3genE3ELNS1_11target_archE908ELNS1_3gpuE7ELNS1_3repE0EEENS1_30default_config_static_selectorELNS0_4arch9wavefront6targetE1EEEvT1_
		.amdhsa_group_segment_fixed_size 0
		.amdhsa_private_segment_fixed_size 0
		.amdhsa_kernarg_size 120
		.amdhsa_user_sgpr_count 2
		.amdhsa_user_sgpr_dispatch_ptr 0
		.amdhsa_user_sgpr_queue_ptr 0
		.amdhsa_user_sgpr_kernarg_segment_ptr 1
		.amdhsa_user_sgpr_dispatch_id 0
		.amdhsa_user_sgpr_kernarg_preload_length 0
		.amdhsa_user_sgpr_kernarg_preload_offset 0
		.amdhsa_user_sgpr_private_segment_size 0
		.amdhsa_uses_dynamic_stack 0
		.amdhsa_enable_private_segment 0
		.amdhsa_system_sgpr_workgroup_id_x 1
		.amdhsa_system_sgpr_workgroup_id_y 0
		.amdhsa_system_sgpr_workgroup_id_z 0
		.amdhsa_system_sgpr_workgroup_info 0
		.amdhsa_system_vgpr_workitem_id 0
		.amdhsa_next_free_vgpr 1
		.amdhsa_next_free_sgpr 0
		.amdhsa_accum_offset 4
		.amdhsa_reserve_vcc 0
		.amdhsa_float_round_mode_32 0
		.amdhsa_float_round_mode_16_64 0
		.amdhsa_float_denorm_mode_32 3
		.amdhsa_float_denorm_mode_16_64 3
		.amdhsa_dx10_clamp 1
		.amdhsa_ieee_mode 1
		.amdhsa_fp16_overflow 0
		.amdhsa_tg_split 0
		.amdhsa_exception_fp_ieee_invalid_op 0
		.amdhsa_exception_fp_denorm_src 0
		.amdhsa_exception_fp_ieee_div_zero 0
		.amdhsa_exception_fp_ieee_overflow 0
		.amdhsa_exception_fp_ieee_underflow 0
		.amdhsa_exception_fp_ieee_inexact 0
		.amdhsa_exception_int_div_zero 0
	.end_amdhsa_kernel
	.section	.text._ZN7rocprim17ROCPRIM_400000_NS6detail17trampoline_kernelINS0_14default_configENS1_25partition_config_selectorILNS1_17partition_subalgoE8ElNS0_10empty_typeEbEEZZNS1_14partition_implILS5_8ELb0ES3_jPlPS6_PKS6_NS0_5tupleIJS9_S6_EEENSD_IJSA_SA_EEENS0_18inequality_wrapperIZN2at6native12_GLOBAL__N_124unique_dim_cuda_templateIN3c108BFloat16EEESt5tupleIJNSH_6TensorESO_SO_EERKSO_lbbbEUlllE0_EEPmJS6_EEE10hipError_tPvRmT3_T4_T5_T6_T7_T9_mT8_P12ihipStream_tbDpT10_ENKUlT_T0_E_clISt17integral_constantIbLb0EES1E_EEDaS19_S1A_EUlS19_E_NS1_11comp_targetILNS1_3genE3ELNS1_11target_archE908ELNS1_3gpuE7ELNS1_3repE0EEENS1_30default_config_static_selectorELNS0_4arch9wavefront6targetE1EEEvT1_,"axG",@progbits,_ZN7rocprim17ROCPRIM_400000_NS6detail17trampoline_kernelINS0_14default_configENS1_25partition_config_selectorILNS1_17partition_subalgoE8ElNS0_10empty_typeEbEEZZNS1_14partition_implILS5_8ELb0ES3_jPlPS6_PKS6_NS0_5tupleIJS9_S6_EEENSD_IJSA_SA_EEENS0_18inequality_wrapperIZN2at6native12_GLOBAL__N_124unique_dim_cuda_templateIN3c108BFloat16EEESt5tupleIJNSH_6TensorESO_SO_EERKSO_lbbbEUlllE0_EEPmJS6_EEE10hipError_tPvRmT3_T4_T5_T6_T7_T9_mT8_P12ihipStream_tbDpT10_ENKUlT_T0_E_clISt17integral_constantIbLb0EES1E_EEDaS19_S1A_EUlS19_E_NS1_11comp_targetILNS1_3genE3ELNS1_11target_archE908ELNS1_3gpuE7ELNS1_3repE0EEENS1_30default_config_static_selectorELNS0_4arch9wavefront6targetE1EEEvT1_,comdat
.Lfunc_end1177:
	.size	_ZN7rocprim17ROCPRIM_400000_NS6detail17trampoline_kernelINS0_14default_configENS1_25partition_config_selectorILNS1_17partition_subalgoE8ElNS0_10empty_typeEbEEZZNS1_14partition_implILS5_8ELb0ES3_jPlPS6_PKS6_NS0_5tupleIJS9_S6_EEENSD_IJSA_SA_EEENS0_18inequality_wrapperIZN2at6native12_GLOBAL__N_124unique_dim_cuda_templateIN3c108BFloat16EEESt5tupleIJNSH_6TensorESO_SO_EERKSO_lbbbEUlllE0_EEPmJS6_EEE10hipError_tPvRmT3_T4_T5_T6_T7_T9_mT8_P12ihipStream_tbDpT10_ENKUlT_T0_E_clISt17integral_constantIbLb0EES1E_EEDaS19_S1A_EUlS19_E_NS1_11comp_targetILNS1_3genE3ELNS1_11target_archE908ELNS1_3gpuE7ELNS1_3repE0EEENS1_30default_config_static_selectorELNS0_4arch9wavefront6targetE1EEEvT1_, .Lfunc_end1177-_ZN7rocprim17ROCPRIM_400000_NS6detail17trampoline_kernelINS0_14default_configENS1_25partition_config_selectorILNS1_17partition_subalgoE8ElNS0_10empty_typeEbEEZZNS1_14partition_implILS5_8ELb0ES3_jPlPS6_PKS6_NS0_5tupleIJS9_S6_EEENSD_IJSA_SA_EEENS0_18inequality_wrapperIZN2at6native12_GLOBAL__N_124unique_dim_cuda_templateIN3c108BFloat16EEESt5tupleIJNSH_6TensorESO_SO_EERKSO_lbbbEUlllE0_EEPmJS6_EEE10hipError_tPvRmT3_T4_T5_T6_T7_T9_mT8_P12ihipStream_tbDpT10_ENKUlT_T0_E_clISt17integral_constantIbLb0EES1E_EEDaS19_S1A_EUlS19_E_NS1_11comp_targetILNS1_3genE3ELNS1_11target_archE908ELNS1_3gpuE7ELNS1_3repE0EEENS1_30default_config_static_selectorELNS0_4arch9wavefront6targetE1EEEvT1_
                                        ; -- End function
	.set _ZN7rocprim17ROCPRIM_400000_NS6detail17trampoline_kernelINS0_14default_configENS1_25partition_config_selectorILNS1_17partition_subalgoE8ElNS0_10empty_typeEbEEZZNS1_14partition_implILS5_8ELb0ES3_jPlPS6_PKS6_NS0_5tupleIJS9_S6_EEENSD_IJSA_SA_EEENS0_18inequality_wrapperIZN2at6native12_GLOBAL__N_124unique_dim_cuda_templateIN3c108BFloat16EEESt5tupleIJNSH_6TensorESO_SO_EERKSO_lbbbEUlllE0_EEPmJS6_EEE10hipError_tPvRmT3_T4_T5_T6_T7_T9_mT8_P12ihipStream_tbDpT10_ENKUlT_T0_E_clISt17integral_constantIbLb0EES1E_EEDaS19_S1A_EUlS19_E_NS1_11comp_targetILNS1_3genE3ELNS1_11target_archE908ELNS1_3gpuE7ELNS1_3repE0EEENS1_30default_config_static_selectorELNS0_4arch9wavefront6targetE1EEEvT1_.num_vgpr, 0
	.set _ZN7rocprim17ROCPRIM_400000_NS6detail17trampoline_kernelINS0_14default_configENS1_25partition_config_selectorILNS1_17partition_subalgoE8ElNS0_10empty_typeEbEEZZNS1_14partition_implILS5_8ELb0ES3_jPlPS6_PKS6_NS0_5tupleIJS9_S6_EEENSD_IJSA_SA_EEENS0_18inequality_wrapperIZN2at6native12_GLOBAL__N_124unique_dim_cuda_templateIN3c108BFloat16EEESt5tupleIJNSH_6TensorESO_SO_EERKSO_lbbbEUlllE0_EEPmJS6_EEE10hipError_tPvRmT3_T4_T5_T6_T7_T9_mT8_P12ihipStream_tbDpT10_ENKUlT_T0_E_clISt17integral_constantIbLb0EES1E_EEDaS19_S1A_EUlS19_E_NS1_11comp_targetILNS1_3genE3ELNS1_11target_archE908ELNS1_3gpuE7ELNS1_3repE0EEENS1_30default_config_static_selectorELNS0_4arch9wavefront6targetE1EEEvT1_.num_agpr, 0
	.set _ZN7rocprim17ROCPRIM_400000_NS6detail17trampoline_kernelINS0_14default_configENS1_25partition_config_selectorILNS1_17partition_subalgoE8ElNS0_10empty_typeEbEEZZNS1_14partition_implILS5_8ELb0ES3_jPlPS6_PKS6_NS0_5tupleIJS9_S6_EEENSD_IJSA_SA_EEENS0_18inequality_wrapperIZN2at6native12_GLOBAL__N_124unique_dim_cuda_templateIN3c108BFloat16EEESt5tupleIJNSH_6TensorESO_SO_EERKSO_lbbbEUlllE0_EEPmJS6_EEE10hipError_tPvRmT3_T4_T5_T6_T7_T9_mT8_P12ihipStream_tbDpT10_ENKUlT_T0_E_clISt17integral_constantIbLb0EES1E_EEDaS19_S1A_EUlS19_E_NS1_11comp_targetILNS1_3genE3ELNS1_11target_archE908ELNS1_3gpuE7ELNS1_3repE0EEENS1_30default_config_static_selectorELNS0_4arch9wavefront6targetE1EEEvT1_.numbered_sgpr, 0
	.set _ZN7rocprim17ROCPRIM_400000_NS6detail17trampoline_kernelINS0_14default_configENS1_25partition_config_selectorILNS1_17partition_subalgoE8ElNS0_10empty_typeEbEEZZNS1_14partition_implILS5_8ELb0ES3_jPlPS6_PKS6_NS0_5tupleIJS9_S6_EEENSD_IJSA_SA_EEENS0_18inequality_wrapperIZN2at6native12_GLOBAL__N_124unique_dim_cuda_templateIN3c108BFloat16EEESt5tupleIJNSH_6TensorESO_SO_EERKSO_lbbbEUlllE0_EEPmJS6_EEE10hipError_tPvRmT3_T4_T5_T6_T7_T9_mT8_P12ihipStream_tbDpT10_ENKUlT_T0_E_clISt17integral_constantIbLb0EES1E_EEDaS19_S1A_EUlS19_E_NS1_11comp_targetILNS1_3genE3ELNS1_11target_archE908ELNS1_3gpuE7ELNS1_3repE0EEENS1_30default_config_static_selectorELNS0_4arch9wavefront6targetE1EEEvT1_.num_named_barrier, 0
	.set _ZN7rocprim17ROCPRIM_400000_NS6detail17trampoline_kernelINS0_14default_configENS1_25partition_config_selectorILNS1_17partition_subalgoE8ElNS0_10empty_typeEbEEZZNS1_14partition_implILS5_8ELb0ES3_jPlPS6_PKS6_NS0_5tupleIJS9_S6_EEENSD_IJSA_SA_EEENS0_18inequality_wrapperIZN2at6native12_GLOBAL__N_124unique_dim_cuda_templateIN3c108BFloat16EEESt5tupleIJNSH_6TensorESO_SO_EERKSO_lbbbEUlllE0_EEPmJS6_EEE10hipError_tPvRmT3_T4_T5_T6_T7_T9_mT8_P12ihipStream_tbDpT10_ENKUlT_T0_E_clISt17integral_constantIbLb0EES1E_EEDaS19_S1A_EUlS19_E_NS1_11comp_targetILNS1_3genE3ELNS1_11target_archE908ELNS1_3gpuE7ELNS1_3repE0EEENS1_30default_config_static_selectorELNS0_4arch9wavefront6targetE1EEEvT1_.private_seg_size, 0
	.set _ZN7rocprim17ROCPRIM_400000_NS6detail17trampoline_kernelINS0_14default_configENS1_25partition_config_selectorILNS1_17partition_subalgoE8ElNS0_10empty_typeEbEEZZNS1_14partition_implILS5_8ELb0ES3_jPlPS6_PKS6_NS0_5tupleIJS9_S6_EEENSD_IJSA_SA_EEENS0_18inequality_wrapperIZN2at6native12_GLOBAL__N_124unique_dim_cuda_templateIN3c108BFloat16EEESt5tupleIJNSH_6TensorESO_SO_EERKSO_lbbbEUlllE0_EEPmJS6_EEE10hipError_tPvRmT3_T4_T5_T6_T7_T9_mT8_P12ihipStream_tbDpT10_ENKUlT_T0_E_clISt17integral_constantIbLb0EES1E_EEDaS19_S1A_EUlS19_E_NS1_11comp_targetILNS1_3genE3ELNS1_11target_archE908ELNS1_3gpuE7ELNS1_3repE0EEENS1_30default_config_static_selectorELNS0_4arch9wavefront6targetE1EEEvT1_.uses_vcc, 0
	.set _ZN7rocprim17ROCPRIM_400000_NS6detail17trampoline_kernelINS0_14default_configENS1_25partition_config_selectorILNS1_17partition_subalgoE8ElNS0_10empty_typeEbEEZZNS1_14partition_implILS5_8ELb0ES3_jPlPS6_PKS6_NS0_5tupleIJS9_S6_EEENSD_IJSA_SA_EEENS0_18inequality_wrapperIZN2at6native12_GLOBAL__N_124unique_dim_cuda_templateIN3c108BFloat16EEESt5tupleIJNSH_6TensorESO_SO_EERKSO_lbbbEUlllE0_EEPmJS6_EEE10hipError_tPvRmT3_T4_T5_T6_T7_T9_mT8_P12ihipStream_tbDpT10_ENKUlT_T0_E_clISt17integral_constantIbLb0EES1E_EEDaS19_S1A_EUlS19_E_NS1_11comp_targetILNS1_3genE3ELNS1_11target_archE908ELNS1_3gpuE7ELNS1_3repE0EEENS1_30default_config_static_selectorELNS0_4arch9wavefront6targetE1EEEvT1_.uses_flat_scratch, 0
	.set _ZN7rocprim17ROCPRIM_400000_NS6detail17trampoline_kernelINS0_14default_configENS1_25partition_config_selectorILNS1_17partition_subalgoE8ElNS0_10empty_typeEbEEZZNS1_14partition_implILS5_8ELb0ES3_jPlPS6_PKS6_NS0_5tupleIJS9_S6_EEENSD_IJSA_SA_EEENS0_18inequality_wrapperIZN2at6native12_GLOBAL__N_124unique_dim_cuda_templateIN3c108BFloat16EEESt5tupleIJNSH_6TensorESO_SO_EERKSO_lbbbEUlllE0_EEPmJS6_EEE10hipError_tPvRmT3_T4_T5_T6_T7_T9_mT8_P12ihipStream_tbDpT10_ENKUlT_T0_E_clISt17integral_constantIbLb0EES1E_EEDaS19_S1A_EUlS19_E_NS1_11comp_targetILNS1_3genE3ELNS1_11target_archE908ELNS1_3gpuE7ELNS1_3repE0EEENS1_30default_config_static_selectorELNS0_4arch9wavefront6targetE1EEEvT1_.has_dyn_sized_stack, 0
	.set _ZN7rocprim17ROCPRIM_400000_NS6detail17trampoline_kernelINS0_14default_configENS1_25partition_config_selectorILNS1_17partition_subalgoE8ElNS0_10empty_typeEbEEZZNS1_14partition_implILS5_8ELb0ES3_jPlPS6_PKS6_NS0_5tupleIJS9_S6_EEENSD_IJSA_SA_EEENS0_18inequality_wrapperIZN2at6native12_GLOBAL__N_124unique_dim_cuda_templateIN3c108BFloat16EEESt5tupleIJNSH_6TensorESO_SO_EERKSO_lbbbEUlllE0_EEPmJS6_EEE10hipError_tPvRmT3_T4_T5_T6_T7_T9_mT8_P12ihipStream_tbDpT10_ENKUlT_T0_E_clISt17integral_constantIbLb0EES1E_EEDaS19_S1A_EUlS19_E_NS1_11comp_targetILNS1_3genE3ELNS1_11target_archE908ELNS1_3gpuE7ELNS1_3repE0EEENS1_30default_config_static_selectorELNS0_4arch9wavefront6targetE1EEEvT1_.has_recursion, 0
	.set _ZN7rocprim17ROCPRIM_400000_NS6detail17trampoline_kernelINS0_14default_configENS1_25partition_config_selectorILNS1_17partition_subalgoE8ElNS0_10empty_typeEbEEZZNS1_14partition_implILS5_8ELb0ES3_jPlPS6_PKS6_NS0_5tupleIJS9_S6_EEENSD_IJSA_SA_EEENS0_18inequality_wrapperIZN2at6native12_GLOBAL__N_124unique_dim_cuda_templateIN3c108BFloat16EEESt5tupleIJNSH_6TensorESO_SO_EERKSO_lbbbEUlllE0_EEPmJS6_EEE10hipError_tPvRmT3_T4_T5_T6_T7_T9_mT8_P12ihipStream_tbDpT10_ENKUlT_T0_E_clISt17integral_constantIbLb0EES1E_EEDaS19_S1A_EUlS19_E_NS1_11comp_targetILNS1_3genE3ELNS1_11target_archE908ELNS1_3gpuE7ELNS1_3repE0EEENS1_30default_config_static_selectorELNS0_4arch9wavefront6targetE1EEEvT1_.has_indirect_call, 0
	.section	.AMDGPU.csdata,"",@progbits
; Kernel info:
; codeLenInByte = 0
; TotalNumSgprs: 6
; NumVgprs: 0
; NumAgprs: 0
; TotalNumVgprs: 0
; ScratchSize: 0
; MemoryBound: 0
; FloatMode: 240
; IeeeMode: 1
; LDSByteSize: 0 bytes/workgroup (compile time only)
; SGPRBlocks: 0
; VGPRBlocks: 0
; NumSGPRsForWavesPerEU: 6
; NumVGPRsForWavesPerEU: 1
; AccumOffset: 4
; Occupancy: 8
; WaveLimiterHint : 0
; COMPUTE_PGM_RSRC2:SCRATCH_EN: 0
; COMPUTE_PGM_RSRC2:USER_SGPR: 2
; COMPUTE_PGM_RSRC2:TRAP_HANDLER: 0
; COMPUTE_PGM_RSRC2:TGID_X_EN: 1
; COMPUTE_PGM_RSRC2:TGID_Y_EN: 0
; COMPUTE_PGM_RSRC2:TGID_Z_EN: 0
; COMPUTE_PGM_RSRC2:TIDIG_COMP_CNT: 0
; COMPUTE_PGM_RSRC3_GFX90A:ACCUM_OFFSET: 0
; COMPUTE_PGM_RSRC3_GFX90A:TG_SPLIT: 0
	.section	.text._ZN7rocprim17ROCPRIM_400000_NS6detail17trampoline_kernelINS0_14default_configENS1_25partition_config_selectorILNS1_17partition_subalgoE8ElNS0_10empty_typeEbEEZZNS1_14partition_implILS5_8ELb0ES3_jPlPS6_PKS6_NS0_5tupleIJS9_S6_EEENSD_IJSA_SA_EEENS0_18inequality_wrapperIZN2at6native12_GLOBAL__N_124unique_dim_cuda_templateIN3c108BFloat16EEESt5tupleIJNSH_6TensorESO_SO_EERKSO_lbbbEUlllE0_EEPmJS6_EEE10hipError_tPvRmT3_T4_T5_T6_T7_T9_mT8_P12ihipStream_tbDpT10_ENKUlT_T0_E_clISt17integral_constantIbLb0EES1E_EEDaS19_S1A_EUlS19_E_NS1_11comp_targetILNS1_3genE2ELNS1_11target_archE906ELNS1_3gpuE6ELNS1_3repE0EEENS1_30default_config_static_selectorELNS0_4arch9wavefront6targetE1EEEvT1_,"axG",@progbits,_ZN7rocprim17ROCPRIM_400000_NS6detail17trampoline_kernelINS0_14default_configENS1_25partition_config_selectorILNS1_17partition_subalgoE8ElNS0_10empty_typeEbEEZZNS1_14partition_implILS5_8ELb0ES3_jPlPS6_PKS6_NS0_5tupleIJS9_S6_EEENSD_IJSA_SA_EEENS0_18inequality_wrapperIZN2at6native12_GLOBAL__N_124unique_dim_cuda_templateIN3c108BFloat16EEESt5tupleIJNSH_6TensorESO_SO_EERKSO_lbbbEUlllE0_EEPmJS6_EEE10hipError_tPvRmT3_T4_T5_T6_T7_T9_mT8_P12ihipStream_tbDpT10_ENKUlT_T0_E_clISt17integral_constantIbLb0EES1E_EEDaS19_S1A_EUlS19_E_NS1_11comp_targetILNS1_3genE2ELNS1_11target_archE906ELNS1_3gpuE6ELNS1_3repE0EEENS1_30default_config_static_selectorELNS0_4arch9wavefront6targetE1EEEvT1_,comdat
	.globl	_ZN7rocprim17ROCPRIM_400000_NS6detail17trampoline_kernelINS0_14default_configENS1_25partition_config_selectorILNS1_17partition_subalgoE8ElNS0_10empty_typeEbEEZZNS1_14partition_implILS5_8ELb0ES3_jPlPS6_PKS6_NS0_5tupleIJS9_S6_EEENSD_IJSA_SA_EEENS0_18inequality_wrapperIZN2at6native12_GLOBAL__N_124unique_dim_cuda_templateIN3c108BFloat16EEESt5tupleIJNSH_6TensorESO_SO_EERKSO_lbbbEUlllE0_EEPmJS6_EEE10hipError_tPvRmT3_T4_T5_T6_T7_T9_mT8_P12ihipStream_tbDpT10_ENKUlT_T0_E_clISt17integral_constantIbLb0EES1E_EEDaS19_S1A_EUlS19_E_NS1_11comp_targetILNS1_3genE2ELNS1_11target_archE906ELNS1_3gpuE6ELNS1_3repE0EEENS1_30default_config_static_selectorELNS0_4arch9wavefront6targetE1EEEvT1_ ; -- Begin function _ZN7rocprim17ROCPRIM_400000_NS6detail17trampoline_kernelINS0_14default_configENS1_25partition_config_selectorILNS1_17partition_subalgoE8ElNS0_10empty_typeEbEEZZNS1_14partition_implILS5_8ELb0ES3_jPlPS6_PKS6_NS0_5tupleIJS9_S6_EEENSD_IJSA_SA_EEENS0_18inequality_wrapperIZN2at6native12_GLOBAL__N_124unique_dim_cuda_templateIN3c108BFloat16EEESt5tupleIJNSH_6TensorESO_SO_EERKSO_lbbbEUlllE0_EEPmJS6_EEE10hipError_tPvRmT3_T4_T5_T6_T7_T9_mT8_P12ihipStream_tbDpT10_ENKUlT_T0_E_clISt17integral_constantIbLb0EES1E_EEDaS19_S1A_EUlS19_E_NS1_11comp_targetILNS1_3genE2ELNS1_11target_archE906ELNS1_3gpuE6ELNS1_3repE0EEENS1_30default_config_static_selectorELNS0_4arch9wavefront6targetE1EEEvT1_
	.p2align	8
	.type	_ZN7rocprim17ROCPRIM_400000_NS6detail17trampoline_kernelINS0_14default_configENS1_25partition_config_selectorILNS1_17partition_subalgoE8ElNS0_10empty_typeEbEEZZNS1_14partition_implILS5_8ELb0ES3_jPlPS6_PKS6_NS0_5tupleIJS9_S6_EEENSD_IJSA_SA_EEENS0_18inequality_wrapperIZN2at6native12_GLOBAL__N_124unique_dim_cuda_templateIN3c108BFloat16EEESt5tupleIJNSH_6TensorESO_SO_EERKSO_lbbbEUlllE0_EEPmJS6_EEE10hipError_tPvRmT3_T4_T5_T6_T7_T9_mT8_P12ihipStream_tbDpT10_ENKUlT_T0_E_clISt17integral_constantIbLb0EES1E_EEDaS19_S1A_EUlS19_E_NS1_11comp_targetILNS1_3genE2ELNS1_11target_archE906ELNS1_3gpuE6ELNS1_3repE0EEENS1_30default_config_static_selectorELNS0_4arch9wavefront6targetE1EEEvT1_,@function
_ZN7rocprim17ROCPRIM_400000_NS6detail17trampoline_kernelINS0_14default_configENS1_25partition_config_selectorILNS1_17partition_subalgoE8ElNS0_10empty_typeEbEEZZNS1_14partition_implILS5_8ELb0ES3_jPlPS6_PKS6_NS0_5tupleIJS9_S6_EEENSD_IJSA_SA_EEENS0_18inequality_wrapperIZN2at6native12_GLOBAL__N_124unique_dim_cuda_templateIN3c108BFloat16EEESt5tupleIJNSH_6TensorESO_SO_EERKSO_lbbbEUlllE0_EEPmJS6_EEE10hipError_tPvRmT3_T4_T5_T6_T7_T9_mT8_P12ihipStream_tbDpT10_ENKUlT_T0_E_clISt17integral_constantIbLb0EES1E_EEDaS19_S1A_EUlS19_E_NS1_11comp_targetILNS1_3genE2ELNS1_11target_archE906ELNS1_3gpuE6ELNS1_3repE0EEENS1_30default_config_static_selectorELNS0_4arch9wavefront6targetE1EEEvT1_: ; @_ZN7rocprim17ROCPRIM_400000_NS6detail17trampoline_kernelINS0_14default_configENS1_25partition_config_selectorILNS1_17partition_subalgoE8ElNS0_10empty_typeEbEEZZNS1_14partition_implILS5_8ELb0ES3_jPlPS6_PKS6_NS0_5tupleIJS9_S6_EEENSD_IJSA_SA_EEENS0_18inequality_wrapperIZN2at6native12_GLOBAL__N_124unique_dim_cuda_templateIN3c108BFloat16EEESt5tupleIJNSH_6TensorESO_SO_EERKSO_lbbbEUlllE0_EEPmJS6_EEE10hipError_tPvRmT3_T4_T5_T6_T7_T9_mT8_P12ihipStream_tbDpT10_ENKUlT_T0_E_clISt17integral_constantIbLb0EES1E_EEDaS19_S1A_EUlS19_E_NS1_11comp_targetILNS1_3genE2ELNS1_11target_archE906ELNS1_3gpuE6ELNS1_3repE0EEENS1_30default_config_static_selectorELNS0_4arch9wavefront6targetE1EEEvT1_
; %bb.0:
	.section	.rodata,"a",@progbits
	.p2align	6, 0x0
	.amdhsa_kernel _ZN7rocprim17ROCPRIM_400000_NS6detail17trampoline_kernelINS0_14default_configENS1_25partition_config_selectorILNS1_17partition_subalgoE8ElNS0_10empty_typeEbEEZZNS1_14partition_implILS5_8ELb0ES3_jPlPS6_PKS6_NS0_5tupleIJS9_S6_EEENSD_IJSA_SA_EEENS0_18inequality_wrapperIZN2at6native12_GLOBAL__N_124unique_dim_cuda_templateIN3c108BFloat16EEESt5tupleIJNSH_6TensorESO_SO_EERKSO_lbbbEUlllE0_EEPmJS6_EEE10hipError_tPvRmT3_T4_T5_T6_T7_T9_mT8_P12ihipStream_tbDpT10_ENKUlT_T0_E_clISt17integral_constantIbLb0EES1E_EEDaS19_S1A_EUlS19_E_NS1_11comp_targetILNS1_3genE2ELNS1_11target_archE906ELNS1_3gpuE6ELNS1_3repE0EEENS1_30default_config_static_selectorELNS0_4arch9wavefront6targetE1EEEvT1_
		.amdhsa_group_segment_fixed_size 0
		.amdhsa_private_segment_fixed_size 0
		.amdhsa_kernarg_size 120
		.amdhsa_user_sgpr_count 2
		.amdhsa_user_sgpr_dispatch_ptr 0
		.amdhsa_user_sgpr_queue_ptr 0
		.amdhsa_user_sgpr_kernarg_segment_ptr 1
		.amdhsa_user_sgpr_dispatch_id 0
		.amdhsa_user_sgpr_kernarg_preload_length 0
		.amdhsa_user_sgpr_kernarg_preload_offset 0
		.amdhsa_user_sgpr_private_segment_size 0
		.amdhsa_uses_dynamic_stack 0
		.amdhsa_enable_private_segment 0
		.amdhsa_system_sgpr_workgroup_id_x 1
		.amdhsa_system_sgpr_workgroup_id_y 0
		.amdhsa_system_sgpr_workgroup_id_z 0
		.amdhsa_system_sgpr_workgroup_info 0
		.amdhsa_system_vgpr_workitem_id 0
		.amdhsa_next_free_vgpr 1
		.amdhsa_next_free_sgpr 0
		.amdhsa_accum_offset 4
		.amdhsa_reserve_vcc 0
		.amdhsa_float_round_mode_32 0
		.amdhsa_float_round_mode_16_64 0
		.amdhsa_float_denorm_mode_32 3
		.amdhsa_float_denorm_mode_16_64 3
		.amdhsa_dx10_clamp 1
		.amdhsa_ieee_mode 1
		.amdhsa_fp16_overflow 0
		.amdhsa_tg_split 0
		.amdhsa_exception_fp_ieee_invalid_op 0
		.amdhsa_exception_fp_denorm_src 0
		.amdhsa_exception_fp_ieee_div_zero 0
		.amdhsa_exception_fp_ieee_overflow 0
		.amdhsa_exception_fp_ieee_underflow 0
		.amdhsa_exception_fp_ieee_inexact 0
		.amdhsa_exception_int_div_zero 0
	.end_amdhsa_kernel
	.section	.text._ZN7rocprim17ROCPRIM_400000_NS6detail17trampoline_kernelINS0_14default_configENS1_25partition_config_selectorILNS1_17partition_subalgoE8ElNS0_10empty_typeEbEEZZNS1_14partition_implILS5_8ELb0ES3_jPlPS6_PKS6_NS0_5tupleIJS9_S6_EEENSD_IJSA_SA_EEENS0_18inequality_wrapperIZN2at6native12_GLOBAL__N_124unique_dim_cuda_templateIN3c108BFloat16EEESt5tupleIJNSH_6TensorESO_SO_EERKSO_lbbbEUlllE0_EEPmJS6_EEE10hipError_tPvRmT3_T4_T5_T6_T7_T9_mT8_P12ihipStream_tbDpT10_ENKUlT_T0_E_clISt17integral_constantIbLb0EES1E_EEDaS19_S1A_EUlS19_E_NS1_11comp_targetILNS1_3genE2ELNS1_11target_archE906ELNS1_3gpuE6ELNS1_3repE0EEENS1_30default_config_static_selectorELNS0_4arch9wavefront6targetE1EEEvT1_,"axG",@progbits,_ZN7rocprim17ROCPRIM_400000_NS6detail17trampoline_kernelINS0_14default_configENS1_25partition_config_selectorILNS1_17partition_subalgoE8ElNS0_10empty_typeEbEEZZNS1_14partition_implILS5_8ELb0ES3_jPlPS6_PKS6_NS0_5tupleIJS9_S6_EEENSD_IJSA_SA_EEENS0_18inequality_wrapperIZN2at6native12_GLOBAL__N_124unique_dim_cuda_templateIN3c108BFloat16EEESt5tupleIJNSH_6TensorESO_SO_EERKSO_lbbbEUlllE0_EEPmJS6_EEE10hipError_tPvRmT3_T4_T5_T6_T7_T9_mT8_P12ihipStream_tbDpT10_ENKUlT_T0_E_clISt17integral_constantIbLb0EES1E_EEDaS19_S1A_EUlS19_E_NS1_11comp_targetILNS1_3genE2ELNS1_11target_archE906ELNS1_3gpuE6ELNS1_3repE0EEENS1_30default_config_static_selectorELNS0_4arch9wavefront6targetE1EEEvT1_,comdat
.Lfunc_end1178:
	.size	_ZN7rocprim17ROCPRIM_400000_NS6detail17trampoline_kernelINS0_14default_configENS1_25partition_config_selectorILNS1_17partition_subalgoE8ElNS0_10empty_typeEbEEZZNS1_14partition_implILS5_8ELb0ES3_jPlPS6_PKS6_NS0_5tupleIJS9_S6_EEENSD_IJSA_SA_EEENS0_18inequality_wrapperIZN2at6native12_GLOBAL__N_124unique_dim_cuda_templateIN3c108BFloat16EEESt5tupleIJNSH_6TensorESO_SO_EERKSO_lbbbEUlllE0_EEPmJS6_EEE10hipError_tPvRmT3_T4_T5_T6_T7_T9_mT8_P12ihipStream_tbDpT10_ENKUlT_T0_E_clISt17integral_constantIbLb0EES1E_EEDaS19_S1A_EUlS19_E_NS1_11comp_targetILNS1_3genE2ELNS1_11target_archE906ELNS1_3gpuE6ELNS1_3repE0EEENS1_30default_config_static_selectorELNS0_4arch9wavefront6targetE1EEEvT1_, .Lfunc_end1178-_ZN7rocprim17ROCPRIM_400000_NS6detail17trampoline_kernelINS0_14default_configENS1_25partition_config_selectorILNS1_17partition_subalgoE8ElNS0_10empty_typeEbEEZZNS1_14partition_implILS5_8ELb0ES3_jPlPS6_PKS6_NS0_5tupleIJS9_S6_EEENSD_IJSA_SA_EEENS0_18inequality_wrapperIZN2at6native12_GLOBAL__N_124unique_dim_cuda_templateIN3c108BFloat16EEESt5tupleIJNSH_6TensorESO_SO_EERKSO_lbbbEUlllE0_EEPmJS6_EEE10hipError_tPvRmT3_T4_T5_T6_T7_T9_mT8_P12ihipStream_tbDpT10_ENKUlT_T0_E_clISt17integral_constantIbLb0EES1E_EEDaS19_S1A_EUlS19_E_NS1_11comp_targetILNS1_3genE2ELNS1_11target_archE906ELNS1_3gpuE6ELNS1_3repE0EEENS1_30default_config_static_selectorELNS0_4arch9wavefront6targetE1EEEvT1_
                                        ; -- End function
	.set _ZN7rocprim17ROCPRIM_400000_NS6detail17trampoline_kernelINS0_14default_configENS1_25partition_config_selectorILNS1_17partition_subalgoE8ElNS0_10empty_typeEbEEZZNS1_14partition_implILS5_8ELb0ES3_jPlPS6_PKS6_NS0_5tupleIJS9_S6_EEENSD_IJSA_SA_EEENS0_18inequality_wrapperIZN2at6native12_GLOBAL__N_124unique_dim_cuda_templateIN3c108BFloat16EEESt5tupleIJNSH_6TensorESO_SO_EERKSO_lbbbEUlllE0_EEPmJS6_EEE10hipError_tPvRmT3_T4_T5_T6_T7_T9_mT8_P12ihipStream_tbDpT10_ENKUlT_T0_E_clISt17integral_constantIbLb0EES1E_EEDaS19_S1A_EUlS19_E_NS1_11comp_targetILNS1_3genE2ELNS1_11target_archE906ELNS1_3gpuE6ELNS1_3repE0EEENS1_30default_config_static_selectorELNS0_4arch9wavefront6targetE1EEEvT1_.num_vgpr, 0
	.set _ZN7rocprim17ROCPRIM_400000_NS6detail17trampoline_kernelINS0_14default_configENS1_25partition_config_selectorILNS1_17partition_subalgoE8ElNS0_10empty_typeEbEEZZNS1_14partition_implILS5_8ELb0ES3_jPlPS6_PKS6_NS0_5tupleIJS9_S6_EEENSD_IJSA_SA_EEENS0_18inequality_wrapperIZN2at6native12_GLOBAL__N_124unique_dim_cuda_templateIN3c108BFloat16EEESt5tupleIJNSH_6TensorESO_SO_EERKSO_lbbbEUlllE0_EEPmJS6_EEE10hipError_tPvRmT3_T4_T5_T6_T7_T9_mT8_P12ihipStream_tbDpT10_ENKUlT_T0_E_clISt17integral_constantIbLb0EES1E_EEDaS19_S1A_EUlS19_E_NS1_11comp_targetILNS1_3genE2ELNS1_11target_archE906ELNS1_3gpuE6ELNS1_3repE0EEENS1_30default_config_static_selectorELNS0_4arch9wavefront6targetE1EEEvT1_.num_agpr, 0
	.set _ZN7rocprim17ROCPRIM_400000_NS6detail17trampoline_kernelINS0_14default_configENS1_25partition_config_selectorILNS1_17partition_subalgoE8ElNS0_10empty_typeEbEEZZNS1_14partition_implILS5_8ELb0ES3_jPlPS6_PKS6_NS0_5tupleIJS9_S6_EEENSD_IJSA_SA_EEENS0_18inequality_wrapperIZN2at6native12_GLOBAL__N_124unique_dim_cuda_templateIN3c108BFloat16EEESt5tupleIJNSH_6TensorESO_SO_EERKSO_lbbbEUlllE0_EEPmJS6_EEE10hipError_tPvRmT3_T4_T5_T6_T7_T9_mT8_P12ihipStream_tbDpT10_ENKUlT_T0_E_clISt17integral_constantIbLb0EES1E_EEDaS19_S1A_EUlS19_E_NS1_11comp_targetILNS1_3genE2ELNS1_11target_archE906ELNS1_3gpuE6ELNS1_3repE0EEENS1_30default_config_static_selectorELNS0_4arch9wavefront6targetE1EEEvT1_.numbered_sgpr, 0
	.set _ZN7rocprim17ROCPRIM_400000_NS6detail17trampoline_kernelINS0_14default_configENS1_25partition_config_selectorILNS1_17partition_subalgoE8ElNS0_10empty_typeEbEEZZNS1_14partition_implILS5_8ELb0ES3_jPlPS6_PKS6_NS0_5tupleIJS9_S6_EEENSD_IJSA_SA_EEENS0_18inequality_wrapperIZN2at6native12_GLOBAL__N_124unique_dim_cuda_templateIN3c108BFloat16EEESt5tupleIJNSH_6TensorESO_SO_EERKSO_lbbbEUlllE0_EEPmJS6_EEE10hipError_tPvRmT3_T4_T5_T6_T7_T9_mT8_P12ihipStream_tbDpT10_ENKUlT_T0_E_clISt17integral_constantIbLb0EES1E_EEDaS19_S1A_EUlS19_E_NS1_11comp_targetILNS1_3genE2ELNS1_11target_archE906ELNS1_3gpuE6ELNS1_3repE0EEENS1_30default_config_static_selectorELNS0_4arch9wavefront6targetE1EEEvT1_.num_named_barrier, 0
	.set _ZN7rocprim17ROCPRIM_400000_NS6detail17trampoline_kernelINS0_14default_configENS1_25partition_config_selectorILNS1_17partition_subalgoE8ElNS0_10empty_typeEbEEZZNS1_14partition_implILS5_8ELb0ES3_jPlPS6_PKS6_NS0_5tupleIJS9_S6_EEENSD_IJSA_SA_EEENS0_18inequality_wrapperIZN2at6native12_GLOBAL__N_124unique_dim_cuda_templateIN3c108BFloat16EEESt5tupleIJNSH_6TensorESO_SO_EERKSO_lbbbEUlllE0_EEPmJS6_EEE10hipError_tPvRmT3_T4_T5_T6_T7_T9_mT8_P12ihipStream_tbDpT10_ENKUlT_T0_E_clISt17integral_constantIbLb0EES1E_EEDaS19_S1A_EUlS19_E_NS1_11comp_targetILNS1_3genE2ELNS1_11target_archE906ELNS1_3gpuE6ELNS1_3repE0EEENS1_30default_config_static_selectorELNS0_4arch9wavefront6targetE1EEEvT1_.private_seg_size, 0
	.set _ZN7rocprim17ROCPRIM_400000_NS6detail17trampoline_kernelINS0_14default_configENS1_25partition_config_selectorILNS1_17partition_subalgoE8ElNS0_10empty_typeEbEEZZNS1_14partition_implILS5_8ELb0ES3_jPlPS6_PKS6_NS0_5tupleIJS9_S6_EEENSD_IJSA_SA_EEENS0_18inequality_wrapperIZN2at6native12_GLOBAL__N_124unique_dim_cuda_templateIN3c108BFloat16EEESt5tupleIJNSH_6TensorESO_SO_EERKSO_lbbbEUlllE0_EEPmJS6_EEE10hipError_tPvRmT3_T4_T5_T6_T7_T9_mT8_P12ihipStream_tbDpT10_ENKUlT_T0_E_clISt17integral_constantIbLb0EES1E_EEDaS19_S1A_EUlS19_E_NS1_11comp_targetILNS1_3genE2ELNS1_11target_archE906ELNS1_3gpuE6ELNS1_3repE0EEENS1_30default_config_static_selectorELNS0_4arch9wavefront6targetE1EEEvT1_.uses_vcc, 0
	.set _ZN7rocprim17ROCPRIM_400000_NS6detail17trampoline_kernelINS0_14default_configENS1_25partition_config_selectorILNS1_17partition_subalgoE8ElNS0_10empty_typeEbEEZZNS1_14partition_implILS5_8ELb0ES3_jPlPS6_PKS6_NS0_5tupleIJS9_S6_EEENSD_IJSA_SA_EEENS0_18inequality_wrapperIZN2at6native12_GLOBAL__N_124unique_dim_cuda_templateIN3c108BFloat16EEESt5tupleIJNSH_6TensorESO_SO_EERKSO_lbbbEUlllE0_EEPmJS6_EEE10hipError_tPvRmT3_T4_T5_T6_T7_T9_mT8_P12ihipStream_tbDpT10_ENKUlT_T0_E_clISt17integral_constantIbLb0EES1E_EEDaS19_S1A_EUlS19_E_NS1_11comp_targetILNS1_3genE2ELNS1_11target_archE906ELNS1_3gpuE6ELNS1_3repE0EEENS1_30default_config_static_selectorELNS0_4arch9wavefront6targetE1EEEvT1_.uses_flat_scratch, 0
	.set _ZN7rocprim17ROCPRIM_400000_NS6detail17trampoline_kernelINS0_14default_configENS1_25partition_config_selectorILNS1_17partition_subalgoE8ElNS0_10empty_typeEbEEZZNS1_14partition_implILS5_8ELb0ES3_jPlPS6_PKS6_NS0_5tupleIJS9_S6_EEENSD_IJSA_SA_EEENS0_18inequality_wrapperIZN2at6native12_GLOBAL__N_124unique_dim_cuda_templateIN3c108BFloat16EEESt5tupleIJNSH_6TensorESO_SO_EERKSO_lbbbEUlllE0_EEPmJS6_EEE10hipError_tPvRmT3_T4_T5_T6_T7_T9_mT8_P12ihipStream_tbDpT10_ENKUlT_T0_E_clISt17integral_constantIbLb0EES1E_EEDaS19_S1A_EUlS19_E_NS1_11comp_targetILNS1_3genE2ELNS1_11target_archE906ELNS1_3gpuE6ELNS1_3repE0EEENS1_30default_config_static_selectorELNS0_4arch9wavefront6targetE1EEEvT1_.has_dyn_sized_stack, 0
	.set _ZN7rocprim17ROCPRIM_400000_NS6detail17trampoline_kernelINS0_14default_configENS1_25partition_config_selectorILNS1_17partition_subalgoE8ElNS0_10empty_typeEbEEZZNS1_14partition_implILS5_8ELb0ES3_jPlPS6_PKS6_NS0_5tupleIJS9_S6_EEENSD_IJSA_SA_EEENS0_18inequality_wrapperIZN2at6native12_GLOBAL__N_124unique_dim_cuda_templateIN3c108BFloat16EEESt5tupleIJNSH_6TensorESO_SO_EERKSO_lbbbEUlllE0_EEPmJS6_EEE10hipError_tPvRmT3_T4_T5_T6_T7_T9_mT8_P12ihipStream_tbDpT10_ENKUlT_T0_E_clISt17integral_constantIbLb0EES1E_EEDaS19_S1A_EUlS19_E_NS1_11comp_targetILNS1_3genE2ELNS1_11target_archE906ELNS1_3gpuE6ELNS1_3repE0EEENS1_30default_config_static_selectorELNS0_4arch9wavefront6targetE1EEEvT1_.has_recursion, 0
	.set _ZN7rocprim17ROCPRIM_400000_NS6detail17trampoline_kernelINS0_14default_configENS1_25partition_config_selectorILNS1_17partition_subalgoE8ElNS0_10empty_typeEbEEZZNS1_14partition_implILS5_8ELb0ES3_jPlPS6_PKS6_NS0_5tupleIJS9_S6_EEENSD_IJSA_SA_EEENS0_18inequality_wrapperIZN2at6native12_GLOBAL__N_124unique_dim_cuda_templateIN3c108BFloat16EEESt5tupleIJNSH_6TensorESO_SO_EERKSO_lbbbEUlllE0_EEPmJS6_EEE10hipError_tPvRmT3_T4_T5_T6_T7_T9_mT8_P12ihipStream_tbDpT10_ENKUlT_T0_E_clISt17integral_constantIbLb0EES1E_EEDaS19_S1A_EUlS19_E_NS1_11comp_targetILNS1_3genE2ELNS1_11target_archE906ELNS1_3gpuE6ELNS1_3repE0EEENS1_30default_config_static_selectorELNS0_4arch9wavefront6targetE1EEEvT1_.has_indirect_call, 0
	.section	.AMDGPU.csdata,"",@progbits
; Kernel info:
; codeLenInByte = 0
; TotalNumSgprs: 6
; NumVgprs: 0
; NumAgprs: 0
; TotalNumVgprs: 0
; ScratchSize: 0
; MemoryBound: 0
; FloatMode: 240
; IeeeMode: 1
; LDSByteSize: 0 bytes/workgroup (compile time only)
; SGPRBlocks: 0
; VGPRBlocks: 0
; NumSGPRsForWavesPerEU: 6
; NumVGPRsForWavesPerEU: 1
; AccumOffset: 4
; Occupancy: 8
; WaveLimiterHint : 0
; COMPUTE_PGM_RSRC2:SCRATCH_EN: 0
; COMPUTE_PGM_RSRC2:USER_SGPR: 2
; COMPUTE_PGM_RSRC2:TRAP_HANDLER: 0
; COMPUTE_PGM_RSRC2:TGID_X_EN: 1
; COMPUTE_PGM_RSRC2:TGID_Y_EN: 0
; COMPUTE_PGM_RSRC2:TGID_Z_EN: 0
; COMPUTE_PGM_RSRC2:TIDIG_COMP_CNT: 0
; COMPUTE_PGM_RSRC3_GFX90A:ACCUM_OFFSET: 0
; COMPUTE_PGM_RSRC3_GFX90A:TG_SPLIT: 0
	.section	.text._ZN7rocprim17ROCPRIM_400000_NS6detail17trampoline_kernelINS0_14default_configENS1_25partition_config_selectorILNS1_17partition_subalgoE8ElNS0_10empty_typeEbEEZZNS1_14partition_implILS5_8ELb0ES3_jPlPS6_PKS6_NS0_5tupleIJS9_S6_EEENSD_IJSA_SA_EEENS0_18inequality_wrapperIZN2at6native12_GLOBAL__N_124unique_dim_cuda_templateIN3c108BFloat16EEESt5tupleIJNSH_6TensorESO_SO_EERKSO_lbbbEUlllE0_EEPmJS6_EEE10hipError_tPvRmT3_T4_T5_T6_T7_T9_mT8_P12ihipStream_tbDpT10_ENKUlT_T0_E_clISt17integral_constantIbLb0EES1E_EEDaS19_S1A_EUlS19_E_NS1_11comp_targetILNS1_3genE10ELNS1_11target_archE1200ELNS1_3gpuE4ELNS1_3repE0EEENS1_30default_config_static_selectorELNS0_4arch9wavefront6targetE1EEEvT1_,"axG",@progbits,_ZN7rocprim17ROCPRIM_400000_NS6detail17trampoline_kernelINS0_14default_configENS1_25partition_config_selectorILNS1_17partition_subalgoE8ElNS0_10empty_typeEbEEZZNS1_14partition_implILS5_8ELb0ES3_jPlPS6_PKS6_NS0_5tupleIJS9_S6_EEENSD_IJSA_SA_EEENS0_18inequality_wrapperIZN2at6native12_GLOBAL__N_124unique_dim_cuda_templateIN3c108BFloat16EEESt5tupleIJNSH_6TensorESO_SO_EERKSO_lbbbEUlllE0_EEPmJS6_EEE10hipError_tPvRmT3_T4_T5_T6_T7_T9_mT8_P12ihipStream_tbDpT10_ENKUlT_T0_E_clISt17integral_constantIbLb0EES1E_EEDaS19_S1A_EUlS19_E_NS1_11comp_targetILNS1_3genE10ELNS1_11target_archE1200ELNS1_3gpuE4ELNS1_3repE0EEENS1_30default_config_static_selectorELNS0_4arch9wavefront6targetE1EEEvT1_,comdat
	.globl	_ZN7rocprim17ROCPRIM_400000_NS6detail17trampoline_kernelINS0_14default_configENS1_25partition_config_selectorILNS1_17partition_subalgoE8ElNS0_10empty_typeEbEEZZNS1_14partition_implILS5_8ELb0ES3_jPlPS6_PKS6_NS0_5tupleIJS9_S6_EEENSD_IJSA_SA_EEENS0_18inequality_wrapperIZN2at6native12_GLOBAL__N_124unique_dim_cuda_templateIN3c108BFloat16EEESt5tupleIJNSH_6TensorESO_SO_EERKSO_lbbbEUlllE0_EEPmJS6_EEE10hipError_tPvRmT3_T4_T5_T6_T7_T9_mT8_P12ihipStream_tbDpT10_ENKUlT_T0_E_clISt17integral_constantIbLb0EES1E_EEDaS19_S1A_EUlS19_E_NS1_11comp_targetILNS1_3genE10ELNS1_11target_archE1200ELNS1_3gpuE4ELNS1_3repE0EEENS1_30default_config_static_selectorELNS0_4arch9wavefront6targetE1EEEvT1_ ; -- Begin function _ZN7rocprim17ROCPRIM_400000_NS6detail17trampoline_kernelINS0_14default_configENS1_25partition_config_selectorILNS1_17partition_subalgoE8ElNS0_10empty_typeEbEEZZNS1_14partition_implILS5_8ELb0ES3_jPlPS6_PKS6_NS0_5tupleIJS9_S6_EEENSD_IJSA_SA_EEENS0_18inequality_wrapperIZN2at6native12_GLOBAL__N_124unique_dim_cuda_templateIN3c108BFloat16EEESt5tupleIJNSH_6TensorESO_SO_EERKSO_lbbbEUlllE0_EEPmJS6_EEE10hipError_tPvRmT3_T4_T5_T6_T7_T9_mT8_P12ihipStream_tbDpT10_ENKUlT_T0_E_clISt17integral_constantIbLb0EES1E_EEDaS19_S1A_EUlS19_E_NS1_11comp_targetILNS1_3genE10ELNS1_11target_archE1200ELNS1_3gpuE4ELNS1_3repE0EEENS1_30default_config_static_selectorELNS0_4arch9wavefront6targetE1EEEvT1_
	.p2align	8
	.type	_ZN7rocprim17ROCPRIM_400000_NS6detail17trampoline_kernelINS0_14default_configENS1_25partition_config_selectorILNS1_17partition_subalgoE8ElNS0_10empty_typeEbEEZZNS1_14partition_implILS5_8ELb0ES3_jPlPS6_PKS6_NS0_5tupleIJS9_S6_EEENSD_IJSA_SA_EEENS0_18inequality_wrapperIZN2at6native12_GLOBAL__N_124unique_dim_cuda_templateIN3c108BFloat16EEESt5tupleIJNSH_6TensorESO_SO_EERKSO_lbbbEUlllE0_EEPmJS6_EEE10hipError_tPvRmT3_T4_T5_T6_T7_T9_mT8_P12ihipStream_tbDpT10_ENKUlT_T0_E_clISt17integral_constantIbLb0EES1E_EEDaS19_S1A_EUlS19_E_NS1_11comp_targetILNS1_3genE10ELNS1_11target_archE1200ELNS1_3gpuE4ELNS1_3repE0EEENS1_30default_config_static_selectorELNS0_4arch9wavefront6targetE1EEEvT1_,@function
_ZN7rocprim17ROCPRIM_400000_NS6detail17trampoline_kernelINS0_14default_configENS1_25partition_config_selectorILNS1_17partition_subalgoE8ElNS0_10empty_typeEbEEZZNS1_14partition_implILS5_8ELb0ES3_jPlPS6_PKS6_NS0_5tupleIJS9_S6_EEENSD_IJSA_SA_EEENS0_18inequality_wrapperIZN2at6native12_GLOBAL__N_124unique_dim_cuda_templateIN3c108BFloat16EEESt5tupleIJNSH_6TensorESO_SO_EERKSO_lbbbEUlllE0_EEPmJS6_EEE10hipError_tPvRmT3_T4_T5_T6_T7_T9_mT8_P12ihipStream_tbDpT10_ENKUlT_T0_E_clISt17integral_constantIbLb0EES1E_EEDaS19_S1A_EUlS19_E_NS1_11comp_targetILNS1_3genE10ELNS1_11target_archE1200ELNS1_3gpuE4ELNS1_3repE0EEENS1_30default_config_static_selectorELNS0_4arch9wavefront6targetE1EEEvT1_: ; @_ZN7rocprim17ROCPRIM_400000_NS6detail17trampoline_kernelINS0_14default_configENS1_25partition_config_selectorILNS1_17partition_subalgoE8ElNS0_10empty_typeEbEEZZNS1_14partition_implILS5_8ELb0ES3_jPlPS6_PKS6_NS0_5tupleIJS9_S6_EEENSD_IJSA_SA_EEENS0_18inequality_wrapperIZN2at6native12_GLOBAL__N_124unique_dim_cuda_templateIN3c108BFloat16EEESt5tupleIJNSH_6TensorESO_SO_EERKSO_lbbbEUlllE0_EEPmJS6_EEE10hipError_tPvRmT3_T4_T5_T6_T7_T9_mT8_P12ihipStream_tbDpT10_ENKUlT_T0_E_clISt17integral_constantIbLb0EES1E_EEDaS19_S1A_EUlS19_E_NS1_11comp_targetILNS1_3genE10ELNS1_11target_archE1200ELNS1_3gpuE4ELNS1_3repE0EEENS1_30default_config_static_selectorELNS0_4arch9wavefront6targetE1EEEvT1_
; %bb.0:
	.section	.rodata,"a",@progbits
	.p2align	6, 0x0
	.amdhsa_kernel _ZN7rocprim17ROCPRIM_400000_NS6detail17trampoline_kernelINS0_14default_configENS1_25partition_config_selectorILNS1_17partition_subalgoE8ElNS0_10empty_typeEbEEZZNS1_14partition_implILS5_8ELb0ES3_jPlPS6_PKS6_NS0_5tupleIJS9_S6_EEENSD_IJSA_SA_EEENS0_18inequality_wrapperIZN2at6native12_GLOBAL__N_124unique_dim_cuda_templateIN3c108BFloat16EEESt5tupleIJNSH_6TensorESO_SO_EERKSO_lbbbEUlllE0_EEPmJS6_EEE10hipError_tPvRmT3_T4_T5_T6_T7_T9_mT8_P12ihipStream_tbDpT10_ENKUlT_T0_E_clISt17integral_constantIbLb0EES1E_EEDaS19_S1A_EUlS19_E_NS1_11comp_targetILNS1_3genE10ELNS1_11target_archE1200ELNS1_3gpuE4ELNS1_3repE0EEENS1_30default_config_static_selectorELNS0_4arch9wavefront6targetE1EEEvT1_
		.amdhsa_group_segment_fixed_size 0
		.amdhsa_private_segment_fixed_size 0
		.amdhsa_kernarg_size 120
		.amdhsa_user_sgpr_count 2
		.amdhsa_user_sgpr_dispatch_ptr 0
		.amdhsa_user_sgpr_queue_ptr 0
		.amdhsa_user_sgpr_kernarg_segment_ptr 1
		.amdhsa_user_sgpr_dispatch_id 0
		.amdhsa_user_sgpr_kernarg_preload_length 0
		.amdhsa_user_sgpr_kernarg_preload_offset 0
		.amdhsa_user_sgpr_private_segment_size 0
		.amdhsa_uses_dynamic_stack 0
		.amdhsa_enable_private_segment 0
		.amdhsa_system_sgpr_workgroup_id_x 1
		.amdhsa_system_sgpr_workgroup_id_y 0
		.amdhsa_system_sgpr_workgroup_id_z 0
		.amdhsa_system_sgpr_workgroup_info 0
		.amdhsa_system_vgpr_workitem_id 0
		.amdhsa_next_free_vgpr 1
		.amdhsa_next_free_sgpr 0
		.amdhsa_accum_offset 4
		.amdhsa_reserve_vcc 0
		.amdhsa_float_round_mode_32 0
		.amdhsa_float_round_mode_16_64 0
		.amdhsa_float_denorm_mode_32 3
		.amdhsa_float_denorm_mode_16_64 3
		.amdhsa_dx10_clamp 1
		.amdhsa_ieee_mode 1
		.amdhsa_fp16_overflow 0
		.amdhsa_tg_split 0
		.amdhsa_exception_fp_ieee_invalid_op 0
		.amdhsa_exception_fp_denorm_src 0
		.amdhsa_exception_fp_ieee_div_zero 0
		.amdhsa_exception_fp_ieee_overflow 0
		.amdhsa_exception_fp_ieee_underflow 0
		.amdhsa_exception_fp_ieee_inexact 0
		.amdhsa_exception_int_div_zero 0
	.end_amdhsa_kernel
	.section	.text._ZN7rocprim17ROCPRIM_400000_NS6detail17trampoline_kernelINS0_14default_configENS1_25partition_config_selectorILNS1_17partition_subalgoE8ElNS0_10empty_typeEbEEZZNS1_14partition_implILS5_8ELb0ES3_jPlPS6_PKS6_NS0_5tupleIJS9_S6_EEENSD_IJSA_SA_EEENS0_18inequality_wrapperIZN2at6native12_GLOBAL__N_124unique_dim_cuda_templateIN3c108BFloat16EEESt5tupleIJNSH_6TensorESO_SO_EERKSO_lbbbEUlllE0_EEPmJS6_EEE10hipError_tPvRmT3_T4_T5_T6_T7_T9_mT8_P12ihipStream_tbDpT10_ENKUlT_T0_E_clISt17integral_constantIbLb0EES1E_EEDaS19_S1A_EUlS19_E_NS1_11comp_targetILNS1_3genE10ELNS1_11target_archE1200ELNS1_3gpuE4ELNS1_3repE0EEENS1_30default_config_static_selectorELNS0_4arch9wavefront6targetE1EEEvT1_,"axG",@progbits,_ZN7rocprim17ROCPRIM_400000_NS6detail17trampoline_kernelINS0_14default_configENS1_25partition_config_selectorILNS1_17partition_subalgoE8ElNS0_10empty_typeEbEEZZNS1_14partition_implILS5_8ELb0ES3_jPlPS6_PKS6_NS0_5tupleIJS9_S6_EEENSD_IJSA_SA_EEENS0_18inequality_wrapperIZN2at6native12_GLOBAL__N_124unique_dim_cuda_templateIN3c108BFloat16EEESt5tupleIJNSH_6TensorESO_SO_EERKSO_lbbbEUlllE0_EEPmJS6_EEE10hipError_tPvRmT3_T4_T5_T6_T7_T9_mT8_P12ihipStream_tbDpT10_ENKUlT_T0_E_clISt17integral_constantIbLb0EES1E_EEDaS19_S1A_EUlS19_E_NS1_11comp_targetILNS1_3genE10ELNS1_11target_archE1200ELNS1_3gpuE4ELNS1_3repE0EEENS1_30default_config_static_selectorELNS0_4arch9wavefront6targetE1EEEvT1_,comdat
.Lfunc_end1179:
	.size	_ZN7rocprim17ROCPRIM_400000_NS6detail17trampoline_kernelINS0_14default_configENS1_25partition_config_selectorILNS1_17partition_subalgoE8ElNS0_10empty_typeEbEEZZNS1_14partition_implILS5_8ELb0ES3_jPlPS6_PKS6_NS0_5tupleIJS9_S6_EEENSD_IJSA_SA_EEENS0_18inequality_wrapperIZN2at6native12_GLOBAL__N_124unique_dim_cuda_templateIN3c108BFloat16EEESt5tupleIJNSH_6TensorESO_SO_EERKSO_lbbbEUlllE0_EEPmJS6_EEE10hipError_tPvRmT3_T4_T5_T6_T7_T9_mT8_P12ihipStream_tbDpT10_ENKUlT_T0_E_clISt17integral_constantIbLb0EES1E_EEDaS19_S1A_EUlS19_E_NS1_11comp_targetILNS1_3genE10ELNS1_11target_archE1200ELNS1_3gpuE4ELNS1_3repE0EEENS1_30default_config_static_selectorELNS0_4arch9wavefront6targetE1EEEvT1_, .Lfunc_end1179-_ZN7rocprim17ROCPRIM_400000_NS6detail17trampoline_kernelINS0_14default_configENS1_25partition_config_selectorILNS1_17partition_subalgoE8ElNS0_10empty_typeEbEEZZNS1_14partition_implILS5_8ELb0ES3_jPlPS6_PKS6_NS0_5tupleIJS9_S6_EEENSD_IJSA_SA_EEENS0_18inequality_wrapperIZN2at6native12_GLOBAL__N_124unique_dim_cuda_templateIN3c108BFloat16EEESt5tupleIJNSH_6TensorESO_SO_EERKSO_lbbbEUlllE0_EEPmJS6_EEE10hipError_tPvRmT3_T4_T5_T6_T7_T9_mT8_P12ihipStream_tbDpT10_ENKUlT_T0_E_clISt17integral_constantIbLb0EES1E_EEDaS19_S1A_EUlS19_E_NS1_11comp_targetILNS1_3genE10ELNS1_11target_archE1200ELNS1_3gpuE4ELNS1_3repE0EEENS1_30default_config_static_selectorELNS0_4arch9wavefront6targetE1EEEvT1_
                                        ; -- End function
	.set _ZN7rocprim17ROCPRIM_400000_NS6detail17trampoline_kernelINS0_14default_configENS1_25partition_config_selectorILNS1_17partition_subalgoE8ElNS0_10empty_typeEbEEZZNS1_14partition_implILS5_8ELb0ES3_jPlPS6_PKS6_NS0_5tupleIJS9_S6_EEENSD_IJSA_SA_EEENS0_18inequality_wrapperIZN2at6native12_GLOBAL__N_124unique_dim_cuda_templateIN3c108BFloat16EEESt5tupleIJNSH_6TensorESO_SO_EERKSO_lbbbEUlllE0_EEPmJS6_EEE10hipError_tPvRmT3_T4_T5_T6_T7_T9_mT8_P12ihipStream_tbDpT10_ENKUlT_T0_E_clISt17integral_constantIbLb0EES1E_EEDaS19_S1A_EUlS19_E_NS1_11comp_targetILNS1_3genE10ELNS1_11target_archE1200ELNS1_3gpuE4ELNS1_3repE0EEENS1_30default_config_static_selectorELNS0_4arch9wavefront6targetE1EEEvT1_.num_vgpr, 0
	.set _ZN7rocprim17ROCPRIM_400000_NS6detail17trampoline_kernelINS0_14default_configENS1_25partition_config_selectorILNS1_17partition_subalgoE8ElNS0_10empty_typeEbEEZZNS1_14partition_implILS5_8ELb0ES3_jPlPS6_PKS6_NS0_5tupleIJS9_S6_EEENSD_IJSA_SA_EEENS0_18inequality_wrapperIZN2at6native12_GLOBAL__N_124unique_dim_cuda_templateIN3c108BFloat16EEESt5tupleIJNSH_6TensorESO_SO_EERKSO_lbbbEUlllE0_EEPmJS6_EEE10hipError_tPvRmT3_T4_T5_T6_T7_T9_mT8_P12ihipStream_tbDpT10_ENKUlT_T0_E_clISt17integral_constantIbLb0EES1E_EEDaS19_S1A_EUlS19_E_NS1_11comp_targetILNS1_3genE10ELNS1_11target_archE1200ELNS1_3gpuE4ELNS1_3repE0EEENS1_30default_config_static_selectorELNS0_4arch9wavefront6targetE1EEEvT1_.num_agpr, 0
	.set _ZN7rocprim17ROCPRIM_400000_NS6detail17trampoline_kernelINS0_14default_configENS1_25partition_config_selectorILNS1_17partition_subalgoE8ElNS0_10empty_typeEbEEZZNS1_14partition_implILS5_8ELb0ES3_jPlPS6_PKS6_NS0_5tupleIJS9_S6_EEENSD_IJSA_SA_EEENS0_18inequality_wrapperIZN2at6native12_GLOBAL__N_124unique_dim_cuda_templateIN3c108BFloat16EEESt5tupleIJNSH_6TensorESO_SO_EERKSO_lbbbEUlllE0_EEPmJS6_EEE10hipError_tPvRmT3_T4_T5_T6_T7_T9_mT8_P12ihipStream_tbDpT10_ENKUlT_T0_E_clISt17integral_constantIbLb0EES1E_EEDaS19_S1A_EUlS19_E_NS1_11comp_targetILNS1_3genE10ELNS1_11target_archE1200ELNS1_3gpuE4ELNS1_3repE0EEENS1_30default_config_static_selectorELNS0_4arch9wavefront6targetE1EEEvT1_.numbered_sgpr, 0
	.set _ZN7rocprim17ROCPRIM_400000_NS6detail17trampoline_kernelINS0_14default_configENS1_25partition_config_selectorILNS1_17partition_subalgoE8ElNS0_10empty_typeEbEEZZNS1_14partition_implILS5_8ELb0ES3_jPlPS6_PKS6_NS0_5tupleIJS9_S6_EEENSD_IJSA_SA_EEENS0_18inequality_wrapperIZN2at6native12_GLOBAL__N_124unique_dim_cuda_templateIN3c108BFloat16EEESt5tupleIJNSH_6TensorESO_SO_EERKSO_lbbbEUlllE0_EEPmJS6_EEE10hipError_tPvRmT3_T4_T5_T6_T7_T9_mT8_P12ihipStream_tbDpT10_ENKUlT_T0_E_clISt17integral_constantIbLb0EES1E_EEDaS19_S1A_EUlS19_E_NS1_11comp_targetILNS1_3genE10ELNS1_11target_archE1200ELNS1_3gpuE4ELNS1_3repE0EEENS1_30default_config_static_selectorELNS0_4arch9wavefront6targetE1EEEvT1_.num_named_barrier, 0
	.set _ZN7rocprim17ROCPRIM_400000_NS6detail17trampoline_kernelINS0_14default_configENS1_25partition_config_selectorILNS1_17partition_subalgoE8ElNS0_10empty_typeEbEEZZNS1_14partition_implILS5_8ELb0ES3_jPlPS6_PKS6_NS0_5tupleIJS9_S6_EEENSD_IJSA_SA_EEENS0_18inequality_wrapperIZN2at6native12_GLOBAL__N_124unique_dim_cuda_templateIN3c108BFloat16EEESt5tupleIJNSH_6TensorESO_SO_EERKSO_lbbbEUlllE0_EEPmJS6_EEE10hipError_tPvRmT3_T4_T5_T6_T7_T9_mT8_P12ihipStream_tbDpT10_ENKUlT_T0_E_clISt17integral_constantIbLb0EES1E_EEDaS19_S1A_EUlS19_E_NS1_11comp_targetILNS1_3genE10ELNS1_11target_archE1200ELNS1_3gpuE4ELNS1_3repE0EEENS1_30default_config_static_selectorELNS0_4arch9wavefront6targetE1EEEvT1_.private_seg_size, 0
	.set _ZN7rocprim17ROCPRIM_400000_NS6detail17trampoline_kernelINS0_14default_configENS1_25partition_config_selectorILNS1_17partition_subalgoE8ElNS0_10empty_typeEbEEZZNS1_14partition_implILS5_8ELb0ES3_jPlPS6_PKS6_NS0_5tupleIJS9_S6_EEENSD_IJSA_SA_EEENS0_18inequality_wrapperIZN2at6native12_GLOBAL__N_124unique_dim_cuda_templateIN3c108BFloat16EEESt5tupleIJNSH_6TensorESO_SO_EERKSO_lbbbEUlllE0_EEPmJS6_EEE10hipError_tPvRmT3_T4_T5_T6_T7_T9_mT8_P12ihipStream_tbDpT10_ENKUlT_T0_E_clISt17integral_constantIbLb0EES1E_EEDaS19_S1A_EUlS19_E_NS1_11comp_targetILNS1_3genE10ELNS1_11target_archE1200ELNS1_3gpuE4ELNS1_3repE0EEENS1_30default_config_static_selectorELNS0_4arch9wavefront6targetE1EEEvT1_.uses_vcc, 0
	.set _ZN7rocprim17ROCPRIM_400000_NS6detail17trampoline_kernelINS0_14default_configENS1_25partition_config_selectorILNS1_17partition_subalgoE8ElNS0_10empty_typeEbEEZZNS1_14partition_implILS5_8ELb0ES3_jPlPS6_PKS6_NS0_5tupleIJS9_S6_EEENSD_IJSA_SA_EEENS0_18inequality_wrapperIZN2at6native12_GLOBAL__N_124unique_dim_cuda_templateIN3c108BFloat16EEESt5tupleIJNSH_6TensorESO_SO_EERKSO_lbbbEUlllE0_EEPmJS6_EEE10hipError_tPvRmT3_T4_T5_T6_T7_T9_mT8_P12ihipStream_tbDpT10_ENKUlT_T0_E_clISt17integral_constantIbLb0EES1E_EEDaS19_S1A_EUlS19_E_NS1_11comp_targetILNS1_3genE10ELNS1_11target_archE1200ELNS1_3gpuE4ELNS1_3repE0EEENS1_30default_config_static_selectorELNS0_4arch9wavefront6targetE1EEEvT1_.uses_flat_scratch, 0
	.set _ZN7rocprim17ROCPRIM_400000_NS6detail17trampoline_kernelINS0_14default_configENS1_25partition_config_selectorILNS1_17partition_subalgoE8ElNS0_10empty_typeEbEEZZNS1_14partition_implILS5_8ELb0ES3_jPlPS6_PKS6_NS0_5tupleIJS9_S6_EEENSD_IJSA_SA_EEENS0_18inequality_wrapperIZN2at6native12_GLOBAL__N_124unique_dim_cuda_templateIN3c108BFloat16EEESt5tupleIJNSH_6TensorESO_SO_EERKSO_lbbbEUlllE0_EEPmJS6_EEE10hipError_tPvRmT3_T4_T5_T6_T7_T9_mT8_P12ihipStream_tbDpT10_ENKUlT_T0_E_clISt17integral_constantIbLb0EES1E_EEDaS19_S1A_EUlS19_E_NS1_11comp_targetILNS1_3genE10ELNS1_11target_archE1200ELNS1_3gpuE4ELNS1_3repE0EEENS1_30default_config_static_selectorELNS0_4arch9wavefront6targetE1EEEvT1_.has_dyn_sized_stack, 0
	.set _ZN7rocprim17ROCPRIM_400000_NS6detail17trampoline_kernelINS0_14default_configENS1_25partition_config_selectorILNS1_17partition_subalgoE8ElNS0_10empty_typeEbEEZZNS1_14partition_implILS5_8ELb0ES3_jPlPS6_PKS6_NS0_5tupleIJS9_S6_EEENSD_IJSA_SA_EEENS0_18inequality_wrapperIZN2at6native12_GLOBAL__N_124unique_dim_cuda_templateIN3c108BFloat16EEESt5tupleIJNSH_6TensorESO_SO_EERKSO_lbbbEUlllE0_EEPmJS6_EEE10hipError_tPvRmT3_T4_T5_T6_T7_T9_mT8_P12ihipStream_tbDpT10_ENKUlT_T0_E_clISt17integral_constantIbLb0EES1E_EEDaS19_S1A_EUlS19_E_NS1_11comp_targetILNS1_3genE10ELNS1_11target_archE1200ELNS1_3gpuE4ELNS1_3repE0EEENS1_30default_config_static_selectorELNS0_4arch9wavefront6targetE1EEEvT1_.has_recursion, 0
	.set _ZN7rocprim17ROCPRIM_400000_NS6detail17trampoline_kernelINS0_14default_configENS1_25partition_config_selectorILNS1_17partition_subalgoE8ElNS0_10empty_typeEbEEZZNS1_14partition_implILS5_8ELb0ES3_jPlPS6_PKS6_NS0_5tupleIJS9_S6_EEENSD_IJSA_SA_EEENS0_18inequality_wrapperIZN2at6native12_GLOBAL__N_124unique_dim_cuda_templateIN3c108BFloat16EEESt5tupleIJNSH_6TensorESO_SO_EERKSO_lbbbEUlllE0_EEPmJS6_EEE10hipError_tPvRmT3_T4_T5_T6_T7_T9_mT8_P12ihipStream_tbDpT10_ENKUlT_T0_E_clISt17integral_constantIbLb0EES1E_EEDaS19_S1A_EUlS19_E_NS1_11comp_targetILNS1_3genE10ELNS1_11target_archE1200ELNS1_3gpuE4ELNS1_3repE0EEENS1_30default_config_static_selectorELNS0_4arch9wavefront6targetE1EEEvT1_.has_indirect_call, 0
	.section	.AMDGPU.csdata,"",@progbits
; Kernel info:
; codeLenInByte = 0
; TotalNumSgprs: 6
; NumVgprs: 0
; NumAgprs: 0
; TotalNumVgprs: 0
; ScratchSize: 0
; MemoryBound: 0
; FloatMode: 240
; IeeeMode: 1
; LDSByteSize: 0 bytes/workgroup (compile time only)
; SGPRBlocks: 0
; VGPRBlocks: 0
; NumSGPRsForWavesPerEU: 6
; NumVGPRsForWavesPerEU: 1
; AccumOffset: 4
; Occupancy: 8
; WaveLimiterHint : 0
; COMPUTE_PGM_RSRC2:SCRATCH_EN: 0
; COMPUTE_PGM_RSRC2:USER_SGPR: 2
; COMPUTE_PGM_RSRC2:TRAP_HANDLER: 0
; COMPUTE_PGM_RSRC2:TGID_X_EN: 1
; COMPUTE_PGM_RSRC2:TGID_Y_EN: 0
; COMPUTE_PGM_RSRC2:TGID_Z_EN: 0
; COMPUTE_PGM_RSRC2:TIDIG_COMP_CNT: 0
; COMPUTE_PGM_RSRC3_GFX90A:ACCUM_OFFSET: 0
; COMPUTE_PGM_RSRC3_GFX90A:TG_SPLIT: 0
	.section	.text._ZN7rocprim17ROCPRIM_400000_NS6detail17trampoline_kernelINS0_14default_configENS1_25partition_config_selectorILNS1_17partition_subalgoE8ElNS0_10empty_typeEbEEZZNS1_14partition_implILS5_8ELb0ES3_jPlPS6_PKS6_NS0_5tupleIJS9_S6_EEENSD_IJSA_SA_EEENS0_18inequality_wrapperIZN2at6native12_GLOBAL__N_124unique_dim_cuda_templateIN3c108BFloat16EEESt5tupleIJNSH_6TensorESO_SO_EERKSO_lbbbEUlllE0_EEPmJS6_EEE10hipError_tPvRmT3_T4_T5_T6_T7_T9_mT8_P12ihipStream_tbDpT10_ENKUlT_T0_E_clISt17integral_constantIbLb0EES1E_EEDaS19_S1A_EUlS19_E_NS1_11comp_targetILNS1_3genE9ELNS1_11target_archE1100ELNS1_3gpuE3ELNS1_3repE0EEENS1_30default_config_static_selectorELNS0_4arch9wavefront6targetE1EEEvT1_,"axG",@progbits,_ZN7rocprim17ROCPRIM_400000_NS6detail17trampoline_kernelINS0_14default_configENS1_25partition_config_selectorILNS1_17partition_subalgoE8ElNS0_10empty_typeEbEEZZNS1_14partition_implILS5_8ELb0ES3_jPlPS6_PKS6_NS0_5tupleIJS9_S6_EEENSD_IJSA_SA_EEENS0_18inequality_wrapperIZN2at6native12_GLOBAL__N_124unique_dim_cuda_templateIN3c108BFloat16EEESt5tupleIJNSH_6TensorESO_SO_EERKSO_lbbbEUlllE0_EEPmJS6_EEE10hipError_tPvRmT3_T4_T5_T6_T7_T9_mT8_P12ihipStream_tbDpT10_ENKUlT_T0_E_clISt17integral_constantIbLb0EES1E_EEDaS19_S1A_EUlS19_E_NS1_11comp_targetILNS1_3genE9ELNS1_11target_archE1100ELNS1_3gpuE3ELNS1_3repE0EEENS1_30default_config_static_selectorELNS0_4arch9wavefront6targetE1EEEvT1_,comdat
	.globl	_ZN7rocprim17ROCPRIM_400000_NS6detail17trampoline_kernelINS0_14default_configENS1_25partition_config_selectorILNS1_17partition_subalgoE8ElNS0_10empty_typeEbEEZZNS1_14partition_implILS5_8ELb0ES3_jPlPS6_PKS6_NS0_5tupleIJS9_S6_EEENSD_IJSA_SA_EEENS0_18inequality_wrapperIZN2at6native12_GLOBAL__N_124unique_dim_cuda_templateIN3c108BFloat16EEESt5tupleIJNSH_6TensorESO_SO_EERKSO_lbbbEUlllE0_EEPmJS6_EEE10hipError_tPvRmT3_T4_T5_T6_T7_T9_mT8_P12ihipStream_tbDpT10_ENKUlT_T0_E_clISt17integral_constantIbLb0EES1E_EEDaS19_S1A_EUlS19_E_NS1_11comp_targetILNS1_3genE9ELNS1_11target_archE1100ELNS1_3gpuE3ELNS1_3repE0EEENS1_30default_config_static_selectorELNS0_4arch9wavefront6targetE1EEEvT1_ ; -- Begin function _ZN7rocprim17ROCPRIM_400000_NS6detail17trampoline_kernelINS0_14default_configENS1_25partition_config_selectorILNS1_17partition_subalgoE8ElNS0_10empty_typeEbEEZZNS1_14partition_implILS5_8ELb0ES3_jPlPS6_PKS6_NS0_5tupleIJS9_S6_EEENSD_IJSA_SA_EEENS0_18inequality_wrapperIZN2at6native12_GLOBAL__N_124unique_dim_cuda_templateIN3c108BFloat16EEESt5tupleIJNSH_6TensorESO_SO_EERKSO_lbbbEUlllE0_EEPmJS6_EEE10hipError_tPvRmT3_T4_T5_T6_T7_T9_mT8_P12ihipStream_tbDpT10_ENKUlT_T0_E_clISt17integral_constantIbLb0EES1E_EEDaS19_S1A_EUlS19_E_NS1_11comp_targetILNS1_3genE9ELNS1_11target_archE1100ELNS1_3gpuE3ELNS1_3repE0EEENS1_30default_config_static_selectorELNS0_4arch9wavefront6targetE1EEEvT1_
	.p2align	8
	.type	_ZN7rocprim17ROCPRIM_400000_NS6detail17trampoline_kernelINS0_14default_configENS1_25partition_config_selectorILNS1_17partition_subalgoE8ElNS0_10empty_typeEbEEZZNS1_14partition_implILS5_8ELb0ES3_jPlPS6_PKS6_NS0_5tupleIJS9_S6_EEENSD_IJSA_SA_EEENS0_18inequality_wrapperIZN2at6native12_GLOBAL__N_124unique_dim_cuda_templateIN3c108BFloat16EEESt5tupleIJNSH_6TensorESO_SO_EERKSO_lbbbEUlllE0_EEPmJS6_EEE10hipError_tPvRmT3_T4_T5_T6_T7_T9_mT8_P12ihipStream_tbDpT10_ENKUlT_T0_E_clISt17integral_constantIbLb0EES1E_EEDaS19_S1A_EUlS19_E_NS1_11comp_targetILNS1_3genE9ELNS1_11target_archE1100ELNS1_3gpuE3ELNS1_3repE0EEENS1_30default_config_static_selectorELNS0_4arch9wavefront6targetE1EEEvT1_,@function
_ZN7rocprim17ROCPRIM_400000_NS6detail17trampoline_kernelINS0_14default_configENS1_25partition_config_selectorILNS1_17partition_subalgoE8ElNS0_10empty_typeEbEEZZNS1_14partition_implILS5_8ELb0ES3_jPlPS6_PKS6_NS0_5tupleIJS9_S6_EEENSD_IJSA_SA_EEENS0_18inequality_wrapperIZN2at6native12_GLOBAL__N_124unique_dim_cuda_templateIN3c108BFloat16EEESt5tupleIJNSH_6TensorESO_SO_EERKSO_lbbbEUlllE0_EEPmJS6_EEE10hipError_tPvRmT3_T4_T5_T6_T7_T9_mT8_P12ihipStream_tbDpT10_ENKUlT_T0_E_clISt17integral_constantIbLb0EES1E_EEDaS19_S1A_EUlS19_E_NS1_11comp_targetILNS1_3genE9ELNS1_11target_archE1100ELNS1_3gpuE3ELNS1_3repE0EEENS1_30default_config_static_selectorELNS0_4arch9wavefront6targetE1EEEvT1_: ; @_ZN7rocprim17ROCPRIM_400000_NS6detail17trampoline_kernelINS0_14default_configENS1_25partition_config_selectorILNS1_17partition_subalgoE8ElNS0_10empty_typeEbEEZZNS1_14partition_implILS5_8ELb0ES3_jPlPS6_PKS6_NS0_5tupleIJS9_S6_EEENSD_IJSA_SA_EEENS0_18inequality_wrapperIZN2at6native12_GLOBAL__N_124unique_dim_cuda_templateIN3c108BFloat16EEESt5tupleIJNSH_6TensorESO_SO_EERKSO_lbbbEUlllE0_EEPmJS6_EEE10hipError_tPvRmT3_T4_T5_T6_T7_T9_mT8_P12ihipStream_tbDpT10_ENKUlT_T0_E_clISt17integral_constantIbLb0EES1E_EEDaS19_S1A_EUlS19_E_NS1_11comp_targetILNS1_3genE9ELNS1_11target_archE1100ELNS1_3gpuE3ELNS1_3repE0EEENS1_30default_config_static_selectorELNS0_4arch9wavefront6targetE1EEEvT1_
; %bb.0:
	.section	.rodata,"a",@progbits
	.p2align	6, 0x0
	.amdhsa_kernel _ZN7rocprim17ROCPRIM_400000_NS6detail17trampoline_kernelINS0_14default_configENS1_25partition_config_selectorILNS1_17partition_subalgoE8ElNS0_10empty_typeEbEEZZNS1_14partition_implILS5_8ELb0ES3_jPlPS6_PKS6_NS0_5tupleIJS9_S6_EEENSD_IJSA_SA_EEENS0_18inequality_wrapperIZN2at6native12_GLOBAL__N_124unique_dim_cuda_templateIN3c108BFloat16EEESt5tupleIJNSH_6TensorESO_SO_EERKSO_lbbbEUlllE0_EEPmJS6_EEE10hipError_tPvRmT3_T4_T5_T6_T7_T9_mT8_P12ihipStream_tbDpT10_ENKUlT_T0_E_clISt17integral_constantIbLb0EES1E_EEDaS19_S1A_EUlS19_E_NS1_11comp_targetILNS1_3genE9ELNS1_11target_archE1100ELNS1_3gpuE3ELNS1_3repE0EEENS1_30default_config_static_selectorELNS0_4arch9wavefront6targetE1EEEvT1_
		.amdhsa_group_segment_fixed_size 0
		.amdhsa_private_segment_fixed_size 0
		.amdhsa_kernarg_size 120
		.amdhsa_user_sgpr_count 2
		.amdhsa_user_sgpr_dispatch_ptr 0
		.amdhsa_user_sgpr_queue_ptr 0
		.amdhsa_user_sgpr_kernarg_segment_ptr 1
		.amdhsa_user_sgpr_dispatch_id 0
		.amdhsa_user_sgpr_kernarg_preload_length 0
		.amdhsa_user_sgpr_kernarg_preload_offset 0
		.amdhsa_user_sgpr_private_segment_size 0
		.amdhsa_uses_dynamic_stack 0
		.amdhsa_enable_private_segment 0
		.amdhsa_system_sgpr_workgroup_id_x 1
		.amdhsa_system_sgpr_workgroup_id_y 0
		.amdhsa_system_sgpr_workgroup_id_z 0
		.amdhsa_system_sgpr_workgroup_info 0
		.amdhsa_system_vgpr_workitem_id 0
		.amdhsa_next_free_vgpr 1
		.amdhsa_next_free_sgpr 0
		.amdhsa_accum_offset 4
		.amdhsa_reserve_vcc 0
		.amdhsa_float_round_mode_32 0
		.amdhsa_float_round_mode_16_64 0
		.amdhsa_float_denorm_mode_32 3
		.amdhsa_float_denorm_mode_16_64 3
		.amdhsa_dx10_clamp 1
		.amdhsa_ieee_mode 1
		.amdhsa_fp16_overflow 0
		.amdhsa_tg_split 0
		.amdhsa_exception_fp_ieee_invalid_op 0
		.amdhsa_exception_fp_denorm_src 0
		.amdhsa_exception_fp_ieee_div_zero 0
		.amdhsa_exception_fp_ieee_overflow 0
		.amdhsa_exception_fp_ieee_underflow 0
		.amdhsa_exception_fp_ieee_inexact 0
		.amdhsa_exception_int_div_zero 0
	.end_amdhsa_kernel
	.section	.text._ZN7rocprim17ROCPRIM_400000_NS6detail17trampoline_kernelINS0_14default_configENS1_25partition_config_selectorILNS1_17partition_subalgoE8ElNS0_10empty_typeEbEEZZNS1_14partition_implILS5_8ELb0ES3_jPlPS6_PKS6_NS0_5tupleIJS9_S6_EEENSD_IJSA_SA_EEENS0_18inequality_wrapperIZN2at6native12_GLOBAL__N_124unique_dim_cuda_templateIN3c108BFloat16EEESt5tupleIJNSH_6TensorESO_SO_EERKSO_lbbbEUlllE0_EEPmJS6_EEE10hipError_tPvRmT3_T4_T5_T6_T7_T9_mT8_P12ihipStream_tbDpT10_ENKUlT_T0_E_clISt17integral_constantIbLb0EES1E_EEDaS19_S1A_EUlS19_E_NS1_11comp_targetILNS1_3genE9ELNS1_11target_archE1100ELNS1_3gpuE3ELNS1_3repE0EEENS1_30default_config_static_selectorELNS0_4arch9wavefront6targetE1EEEvT1_,"axG",@progbits,_ZN7rocprim17ROCPRIM_400000_NS6detail17trampoline_kernelINS0_14default_configENS1_25partition_config_selectorILNS1_17partition_subalgoE8ElNS0_10empty_typeEbEEZZNS1_14partition_implILS5_8ELb0ES3_jPlPS6_PKS6_NS0_5tupleIJS9_S6_EEENSD_IJSA_SA_EEENS0_18inequality_wrapperIZN2at6native12_GLOBAL__N_124unique_dim_cuda_templateIN3c108BFloat16EEESt5tupleIJNSH_6TensorESO_SO_EERKSO_lbbbEUlllE0_EEPmJS6_EEE10hipError_tPvRmT3_T4_T5_T6_T7_T9_mT8_P12ihipStream_tbDpT10_ENKUlT_T0_E_clISt17integral_constantIbLb0EES1E_EEDaS19_S1A_EUlS19_E_NS1_11comp_targetILNS1_3genE9ELNS1_11target_archE1100ELNS1_3gpuE3ELNS1_3repE0EEENS1_30default_config_static_selectorELNS0_4arch9wavefront6targetE1EEEvT1_,comdat
.Lfunc_end1180:
	.size	_ZN7rocprim17ROCPRIM_400000_NS6detail17trampoline_kernelINS0_14default_configENS1_25partition_config_selectorILNS1_17partition_subalgoE8ElNS0_10empty_typeEbEEZZNS1_14partition_implILS5_8ELb0ES3_jPlPS6_PKS6_NS0_5tupleIJS9_S6_EEENSD_IJSA_SA_EEENS0_18inequality_wrapperIZN2at6native12_GLOBAL__N_124unique_dim_cuda_templateIN3c108BFloat16EEESt5tupleIJNSH_6TensorESO_SO_EERKSO_lbbbEUlllE0_EEPmJS6_EEE10hipError_tPvRmT3_T4_T5_T6_T7_T9_mT8_P12ihipStream_tbDpT10_ENKUlT_T0_E_clISt17integral_constantIbLb0EES1E_EEDaS19_S1A_EUlS19_E_NS1_11comp_targetILNS1_3genE9ELNS1_11target_archE1100ELNS1_3gpuE3ELNS1_3repE0EEENS1_30default_config_static_selectorELNS0_4arch9wavefront6targetE1EEEvT1_, .Lfunc_end1180-_ZN7rocprim17ROCPRIM_400000_NS6detail17trampoline_kernelINS0_14default_configENS1_25partition_config_selectorILNS1_17partition_subalgoE8ElNS0_10empty_typeEbEEZZNS1_14partition_implILS5_8ELb0ES3_jPlPS6_PKS6_NS0_5tupleIJS9_S6_EEENSD_IJSA_SA_EEENS0_18inequality_wrapperIZN2at6native12_GLOBAL__N_124unique_dim_cuda_templateIN3c108BFloat16EEESt5tupleIJNSH_6TensorESO_SO_EERKSO_lbbbEUlllE0_EEPmJS6_EEE10hipError_tPvRmT3_T4_T5_T6_T7_T9_mT8_P12ihipStream_tbDpT10_ENKUlT_T0_E_clISt17integral_constantIbLb0EES1E_EEDaS19_S1A_EUlS19_E_NS1_11comp_targetILNS1_3genE9ELNS1_11target_archE1100ELNS1_3gpuE3ELNS1_3repE0EEENS1_30default_config_static_selectorELNS0_4arch9wavefront6targetE1EEEvT1_
                                        ; -- End function
	.set _ZN7rocprim17ROCPRIM_400000_NS6detail17trampoline_kernelINS0_14default_configENS1_25partition_config_selectorILNS1_17partition_subalgoE8ElNS0_10empty_typeEbEEZZNS1_14partition_implILS5_8ELb0ES3_jPlPS6_PKS6_NS0_5tupleIJS9_S6_EEENSD_IJSA_SA_EEENS0_18inequality_wrapperIZN2at6native12_GLOBAL__N_124unique_dim_cuda_templateIN3c108BFloat16EEESt5tupleIJNSH_6TensorESO_SO_EERKSO_lbbbEUlllE0_EEPmJS6_EEE10hipError_tPvRmT3_T4_T5_T6_T7_T9_mT8_P12ihipStream_tbDpT10_ENKUlT_T0_E_clISt17integral_constantIbLb0EES1E_EEDaS19_S1A_EUlS19_E_NS1_11comp_targetILNS1_3genE9ELNS1_11target_archE1100ELNS1_3gpuE3ELNS1_3repE0EEENS1_30default_config_static_selectorELNS0_4arch9wavefront6targetE1EEEvT1_.num_vgpr, 0
	.set _ZN7rocprim17ROCPRIM_400000_NS6detail17trampoline_kernelINS0_14default_configENS1_25partition_config_selectorILNS1_17partition_subalgoE8ElNS0_10empty_typeEbEEZZNS1_14partition_implILS5_8ELb0ES3_jPlPS6_PKS6_NS0_5tupleIJS9_S6_EEENSD_IJSA_SA_EEENS0_18inequality_wrapperIZN2at6native12_GLOBAL__N_124unique_dim_cuda_templateIN3c108BFloat16EEESt5tupleIJNSH_6TensorESO_SO_EERKSO_lbbbEUlllE0_EEPmJS6_EEE10hipError_tPvRmT3_T4_T5_T6_T7_T9_mT8_P12ihipStream_tbDpT10_ENKUlT_T0_E_clISt17integral_constantIbLb0EES1E_EEDaS19_S1A_EUlS19_E_NS1_11comp_targetILNS1_3genE9ELNS1_11target_archE1100ELNS1_3gpuE3ELNS1_3repE0EEENS1_30default_config_static_selectorELNS0_4arch9wavefront6targetE1EEEvT1_.num_agpr, 0
	.set _ZN7rocprim17ROCPRIM_400000_NS6detail17trampoline_kernelINS0_14default_configENS1_25partition_config_selectorILNS1_17partition_subalgoE8ElNS0_10empty_typeEbEEZZNS1_14partition_implILS5_8ELb0ES3_jPlPS6_PKS6_NS0_5tupleIJS9_S6_EEENSD_IJSA_SA_EEENS0_18inequality_wrapperIZN2at6native12_GLOBAL__N_124unique_dim_cuda_templateIN3c108BFloat16EEESt5tupleIJNSH_6TensorESO_SO_EERKSO_lbbbEUlllE0_EEPmJS6_EEE10hipError_tPvRmT3_T4_T5_T6_T7_T9_mT8_P12ihipStream_tbDpT10_ENKUlT_T0_E_clISt17integral_constantIbLb0EES1E_EEDaS19_S1A_EUlS19_E_NS1_11comp_targetILNS1_3genE9ELNS1_11target_archE1100ELNS1_3gpuE3ELNS1_3repE0EEENS1_30default_config_static_selectorELNS0_4arch9wavefront6targetE1EEEvT1_.numbered_sgpr, 0
	.set _ZN7rocprim17ROCPRIM_400000_NS6detail17trampoline_kernelINS0_14default_configENS1_25partition_config_selectorILNS1_17partition_subalgoE8ElNS0_10empty_typeEbEEZZNS1_14partition_implILS5_8ELb0ES3_jPlPS6_PKS6_NS0_5tupleIJS9_S6_EEENSD_IJSA_SA_EEENS0_18inequality_wrapperIZN2at6native12_GLOBAL__N_124unique_dim_cuda_templateIN3c108BFloat16EEESt5tupleIJNSH_6TensorESO_SO_EERKSO_lbbbEUlllE0_EEPmJS6_EEE10hipError_tPvRmT3_T4_T5_T6_T7_T9_mT8_P12ihipStream_tbDpT10_ENKUlT_T0_E_clISt17integral_constantIbLb0EES1E_EEDaS19_S1A_EUlS19_E_NS1_11comp_targetILNS1_3genE9ELNS1_11target_archE1100ELNS1_3gpuE3ELNS1_3repE0EEENS1_30default_config_static_selectorELNS0_4arch9wavefront6targetE1EEEvT1_.num_named_barrier, 0
	.set _ZN7rocprim17ROCPRIM_400000_NS6detail17trampoline_kernelINS0_14default_configENS1_25partition_config_selectorILNS1_17partition_subalgoE8ElNS0_10empty_typeEbEEZZNS1_14partition_implILS5_8ELb0ES3_jPlPS6_PKS6_NS0_5tupleIJS9_S6_EEENSD_IJSA_SA_EEENS0_18inequality_wrapperIZN2at6native12_GLOBAL__N_124unique_dim_cuda_templateIN3c108BFloat16EEESt5tupleIJNSH_6TensorESO_SO_EERKSO_lbbbEUlllE0_EEPmJS6_EEE10hipError_tPvRmT3_T4_T5_T6_T7_T9_mT8_P12ihipStream_tbDpT10_ENKUlT_T0_E_clISt17integral_constantIbLb0EES1E_EEDaS19_S1A_EUlS19_E_NS1_11comp_targetILNS1_3genE9ELNS1_11target_archE1100ELNS1_3gpuE3ELNS1_3repE0EEENS1_30default_config_static_selectorELNS0_4arch9wavefront6targetE1EEEvT1_.private_seg_size, 0
	.set _ZN7rocprim17ROCPRIM_400000_NS6detail17trampoline_kernelINS0_14default_configENS1_25partition_config_selectorILNS1_17partition_subalgoE8ElNS0_10empty_typeEbEEZZNS1_14partition_implILS5_8ELb0ES3_jPlPS6_PKS6_NS0_5tupleIJS9_S6_EEENSD_IJSA_SA_EEENS0_18inequality_wrapperIZN2at6native12_GLOBAL__N_124unique_dim_cuda_templateIN3c108BFloat16EEESt5tupleIJNSH_6TensorESO_SO_EERKSO_lbbbEUlllE0_EEPmJS6_EEE10hipError_tPvRmT3_T4_T5_T6_T7_T9_mT8_P12ihipStream_tbDpT10_ENKUlT_T0_E_clISt17integral_constantIbLb0EES1E_EEDaS19_S1A_EUlS19_E_NS1_11comp_targetILNS1_3genE9ELNS1_11target_archE1100ELNS1_3gpuE3ELNS1_3repE0EEENS1_30default_config_static_selectorELNS0_4arch9wavefront6targetE1EEEvT1_.uses_vcc, 0
	.set _ZN7rocprim17ROCPRIM_400000_NS6detail17trampoline_kernelINS0_14default_configENS1_25partition_config_selectorILNS1_17partition_subalgoE8ElNS0_10empty_typeEbEEZZNS1_14partition_implILS5_8ELb0ES3_jPlPS6_PKS6_NS0_5tupleIJS9_S6_EEENSD_IJSA_SA_EEENS0_18inequality_wrapperIZN2at6native12_GLOBAL__N_124unique_dim_cuda_templateIN3c108BFloat16EEESt5tupleIJNSH_6TensorESO_SO_EERKSO_lbbbEUlllE0_EEPmJS6_EEE10hipError_tPvRmT3_T4_T5_T6_T7_T9_mT8_P12ihipStream_tbDpT10_ENKUlT_T0_E_clISt17integral_constantIbLb0EES1E_EEDaS19_S1A_EUlS19_E_NS1_11comp_targetILNS1_3genE9ELNS1_11target_archE1100ELNS1_3gpuE3ELNS1_3repE0EEENS1_30default_config_static_selectorELNS0_4arch9wavefront6targetE1EEEvT1_.uses_flat_scratch, 0
	.set _ZN7rocprim17ROCPRIM_400000_NS6detail17trampoline_kernelINS0_14default_configENS1_25partition_config_selectorILNS1_17partition_subalgoE8ElNS0_10empty_typeEbEEZZNS1_14partition_implILS5_8ELb0ES3_jPlPS6_PKS6_NS0_5tupleIJS9_S6_EEENSD_IJSA_SA_EEENS0_18inequality_wrapperIZN2at6native12_GLOBAL__N_124unique_dim_cuda_templateIN3c108BFloat16EEESt5tupleIJNSH_6TensorESO_SO_EERKSO_lbbbEUlllE0_EEPmJS6_EEE10hipError_tPvRmT3_T4_T5_T6_T7_T9_mT8_P12ihipStream_tbDpT10_ENKUlT_T0_E_clISt17integral_constantIbLb0EES1E_EEDaS19_S1A_EUlS19_E_NS1_11comp_targetILNS1_3genE9ELNS1_11target_archE1100ELNS1_3gpuE3ELNS1_3repE0EEENS1_30default_config_static_selectorELNS0_4arch9wavefront6targetE1EEEvT1_.has_dyn_sized_stack, 0
	.set _ZN7rocprim17ROCPRIM_400000_NS6detail17trampoline_kernelINS0_14default_configENS1_25partition_config_selectorILNS1_17partition_subalgoE8ElNS0_10empty_typeEbEEZZNS1_14partition_implILS5_8ELb0ES3_jPlPS6_PKS6_NS0_5tupleIJS9_S6_EEENSD_IJSA_SA_EEENS0_18inequality_wrapperIZN2at6native12_GLOBAL__N_124unique_dim_cuda_templateIN3c108BFloat16EEESt5tupleIJNSH_6TensorESO_SO_EERKSO_lbbbEUlllE0_EEPmJS6_EEE10hipError_tPvRmT3_T4_T5_T6_T7_T9_mT8_P12ihipStream_tbDpT10_ENKUlT_T0_E_clISt17integral_constantIbLb0EES1E_EEDaS19_S1A_EUlS19_E_NS1_11comp_targetILNS1_3genE9ELNS1_11target_archE1100ELNS1_3gpuE3ELNS1_3repE0EEENS1_30default_config_static_selectorELNS0_4arch9wavefront6targetE1EEEvT1_.has_recursion, 0
	.set _ZN7rocprim17ROCPRIM_400000_NS6detail17trampoline_kernelINS0_14default_configENS1_25partition_config_selectorILNS1_17partition_subalgoE8ElNS0_10empty_typeEbEEZZNS1_14partition_implILS5_8ELb0ES3_jPlPS6_PKS6_NS0_5tupleIJS9_S6_EEENSD_IJSA_SA_EEENS0_18inequality_wrapperIZN2at6native12_GLOBAL__N_124unique_dim_cuda_templateIN3c108BFloat16EEESt5tupleIJNSH_6TensorESO_SO_EERKSO_lbbbEUlllE0_EEPmJS6_EEE10hipError_tPvRmT3_T4_T5_T6_T7_T9_mT8_P12ihipStream_tbDpT10_ENKUlT_T0_E_clISt17integral_constantIbLb0EES1E_EEDaS19_S1A_EUlS19_E_NS1_11comp_targetILNS1_3genE9ELNS1_11target_archE1100ELNS1_3gpuE3ELNS1_3repE0EEENS1_30default_config_static_selectorELNS0_4arch9wavefront6targetE1EEEvT1_.has_indirect_call, 0
	.section	.AMDGPU.csdata,"",@progbits
; Kernel info:
; codeLenInByte = 0
; TotalNumSgprs: 6
; NumVgprs: 0
; NumAgprs: 0
; TotalNumVgprs: 0
; ScratchSize: 0
; MemoryBound: 0
; FloatMode: 240
; IeeeMode: 1
; LDSByteSize: 0 bytes/workgroup (compile time only)
; SGPRBlocks: 0
; VGPRBlocks: 0
; NumSGPRsForWavesPerEU: 6
; NumVGPRsForWavesPerEU: 1
; AccumOffset: 4
; Occupancy: 8
; WaveLimiterHint : 0
; COMPUTE_PGM_RSRC2:SCRATCH_EN: 0
; COMPUTE_PGM_RSRC2:USER_SGPR: 2
; COMPUTE_PGM_RSRC2:TRAP_HANDLER: 0
; COMPUTE_PGM_RSRC2:TGID_X_EN: 1
; COMPUTE_PGM_RSRC2:TGID_Y_EN: 0
; COMPUTE_PGM_RSRC2:TGID_Z_EN: 0
; COMPUTE_PGM_RSRC2:TIDIG_COMP_CNT: 0
; COMPUTE_PGM_RSRC3_GFX90A:ACCUM_OFFSET: 0
; COMPUTE_PGM_RSRC3_GFX90A:TG_SPLIT: 0
	.section	.text._ZN7rocprim17ROCPRIM_400000_NS6detail17trampoline_kernelINS0_14default_configENS1_25partition_config_selectorILNS1_17partition_subalgoE8ElNS0_10empty_typeEbEEZZNS1_14partition_implILS5_8ELb0ES3_jPlPS6_PKS6_NS0_5tupleIJS9_S6_EEENSD_IJSA_SA_EEENS0_18inequality_wrapperIZN2at6native12_GLOBAL__N_124unique_dim_cuda_templateIN3c108BFloat16EEESt5tupleIJNSH_6TensorESO_SO_EERKSO_lbbbEUlllE0_EEPmJS6_EEE10hipError_tPvRmT3_T4_T5_T6_T7_T9_mT8_P12ihipStream_tbDpT10_ENKUlT_T0_E_clISt17integral_constantIbLb0EES1E_EEDaS19_S1A_EUlS19_E_NS1_11comp_targetILNS1_3genE8ELNS1_11target_archE1030ELNS1_3gpuE2ELNS1_3repE0EEENS1_30default_config_static_selectorELNS0_4arch9wavefront6targetE1EEEvT1_,"axG",@progbits,_ZN7rocprim17ROCPRIM_400000_NS6detail17trampoline_kernelINS0_14default_configENS1_25partition_config_selectorILNS1_17partition_subalgoE8ElNS0_10empty_typeEbEEZZNS1_14partition_implILS5_8ELb0ES3_jPlPS6_PKS6_NS0_5tupleIJS9_S6_EEENSD_IJSA_SA_EEENS0_18inequality_wrapperIZN2at6native12_GLOBAL__N_124unique_dim_cuda_templateIN3c108BFloat16EEESt5tupleIJNSH_6TensorESO_SO_EERKSO_lbbbEUlllE0_EEPmJS6_EEE10hipError_tPvRmT3_T4_T5_T6_T7_T9_mT8_P12ihipStream_tbDpT10_ENKUlT_T0_E_clISt17integral_constantIbLb0EES1E_EEDaS19_S1A_EUlS19_E_NS1_11comp_targetILNS1_3genE8ELNS1_11target_archE1030ELNS1_3gpuE2ELNS1_3repE0EEENS1_30default_config_static_selectorELNS0_4arch9wavefront6targetE1EEEvT1_,comdat
	.globl	_ZN7rocprim17ROCPRIM_400000_NS6detail17trampoline_kernelINS0_14default_configENS1_25partition_config_selectorILNS1_17partition_subalgoE8ElNS0_10empty_typeEbEEZZNS1_14partition_implILS5_8ELb0ES3_jPlPS6_PKS6_NS0_5tupleIJS9_S6_EEENSD_IJSA_SA_EEENS0_18inequality_wrapperIZN2at6native12_GLOBAL__N_124unique_dim_cuda_templateIN3c108BFloat16EEESt5tupleIJNSH_6TensorESO_SO_EERKSO_lbbbEUlllE0_EEPmJS6_EEE10hipError_tPvRmT3_T4_T5_T6_T7_T9_mT8_P12ihipStream_tbDpT10_ENKUlT_T0_E_clISt17integral_constantIbLb0EES1E_EEDaS19_S1A_EUlS19_E_NS1_11comp_targetILNS1_3genE8ELNS1_11target_archE1030ELNS1_3gpuE2ELNS1_3repE0EEENS1_30default_config_static_selectorELNS0_4arch9wavefront6targetE1EEEvT1_ ; -- Begin function _ZN7rocprim17ROCPRIM_400000_NS6detail17trampoline_kernelINS0_14default_configENS1_25partition_config_selectorILNS1_17partition_subalgoE8ElNS0_10empty_typeEbEEZZNS1_14partition_implILS5_8ELb0ES3_jPlPS6_PKS6_NS0_5tupleIJS9_S6_EEENSD_IJSA_SA_EEENS0_18inequality_wrapperIZN2at6native12_GLOBAL__N_124unique_dim_cuda_templateIN3c108BFloat16EEESt5tupleIJNSH_6TensorESO_SO_EERKSO_lbbbEUlllE0_EEPmJS6_EEE10hipError_tPvRmT3_T4_T5_T6_T7_T9_mT8_P12ihipStream_tbDpT10_ENKUlT_T0_E_clISt17integral_constantIbLb0EES1E_EEDaS19_S1A_EUlS19_E_NS1_11comp_targetILNS1_3genE8ELNS1_11target_archE1030ELNS1_3gpuE2ELNS1_3repE0EEENS1_30default_config_static_selectorELNS0_4arch9wavefront6targetE1EEEvT1_
	.p2align	8
	.type	_ZN7rocprim17ROCPRIM_400000_NS6detail17trampoline_kernelINS0_14default_configENS1_25partition_config_selectorILNS1_17partition_subalgoE8ElNS0_10empty_typeEbEEZZNS1_14partition_implILS5_8ELb0ES3_jPlPS6_PKS6_NS0_5tupleIJS9_S6_EEENSD_IJSA_SA_EEENS0_18inequality_wrapperIZN2at6native12_GLOBAL__N_124unique_dim_cuda_templateIN3c108BFloat16EEESt5tupleIJNSH_6TensorESO_SO_EERKSO_lbbbEUlllE0_EEPmJS6_EEE10hipError_tPvRmT3_T4_T5_T6_T7_T9_mT8_P12ihipStream_tbDpT10_ENKUlT_T0_E_clISt17integral_constantIbLb0EES1E_EEDaS19_S1A_EUlS19_E_NS1_11comp_targetILNS1_3genE8ELNS1_11target_archE1030ELNS1_3gpuE2ELNS1_3repE0EEENS1_30default_config_static_selectorELNS0_4arch9wavefront6targetE1EEEvT1_,@function
_ZN7rocprim17ROCPRIM_400000_NS6detail17trampoline_kernelINS0_14default_configENS1_25partition_config_selectorILNS1_17partition_subalgoE8ElNS0_10empty_typeEbEEZZNS1_14partition_implILS5_8ELb0ES3_jPlPS6_PKS6_NS0_5tupleIJS9_S6_EEENSD_IJSA_SA_EEENS0_18inequality_wrapperIZN2at6native12_GLOBAL__N_124unique_dim_cuda_templateIN3c108BFloat16EEESt5tupleIJNSH_6TensorESO_SO_EERKSO_lbbbEUlllE0_EEPmJS6_EEE10hipError_tPvRmT3_T4_T5_T6_T7_T9_mT8_P12ihipStream_tbDpT10_ENKUlT_T0_E_clISt17integral_constantIbLb0EES1E_EEDaS19_S1A_EUlS19_E_NS1_11comp_targetILNS1_3genE8ELNS1_11target_archE1030ELNS1_3gpuE2ELNS1_3repE0EEENS1_30default_config_static_selectorELNS0_4arch9wavefront6targetE1EEEvT1_: ; @_ZN7rocprim17ROCPRIM_400000_NS6detail17trampoline_kernelINS0_14default_configENS1_25partition_config_selectorILNS1_17partition_subalgoE8ElNS0_10empty_typeEbEEZZNS1_14partition_implILS5_8ELb0ES3_jPlPS6_PKS6_NS0_5tupleIJS9_S6_EEENSD_IJSA_SA_EEENS0_18inequality_wrapperIZN2at6native12_GLOBAL__N_124unique_dim_cuda_templateIN3c108BFloat16EEESt5tupleIJNSH_6TensorESO_SO_EERKSO_lbbbEUlllE0_EEPmJS6_EEE10hipError_tPvRmT3_T4_T5_T6_T7_T9_mT8_P12ihipStream_tbDpT10_ENKUlT_T0_E_clISt17integral_constantIbLb0EES1E_EEDaS19_S1A_EUlS19_E_NS1_11comp_targetILNS1_3genE8ELNS1_11target_archE1030ELNS1_3gpuE2ELNS1_3repE0EEENS1_30default_config_static_selectorELNS0_4arch9wavefront6targetE1EEEvT1_
; %bb.0:
	.section	.rodata,"a",@progbits
	.p2align	6, 0x0
	.amdhsa_kernel _ZN7rocprim17ROCPRIM_400000_NS6detail17trampoline_kernelINS0_14default_configENS1_25partition_config_selectorILNS1_17partition_subalgoE8ElNS0_10empty_typeEbEEZZNS1_14partition_implILS5_8ELb0ES3_jPlPS6_PKS6_NS0_5tupleIJS9_S6_EEENSD_IJSA_SA_EEENS0_18inequality_wrapperIZN2at6native12_GLOBAL__N_124unique_dim_cuda_templateIN3c108BFloat16EEESt5tupleIJNSH_6TensorESO_SO_EERKSO_lbbbEUlllE0_EEPmJS6_EEE10hipError_tPvRmT3_T4_T5_T6_T7_T9_mT8_P12ihipStream_tbDpT10_ENKUlT_T0_E_clISt17integral_constantIbLb0EES1E_EEDaS19_S1A_EUlS19_E_NS1_11comp_targetILNS1_3genE8ELNS1_11target_archE1030ELNS1_3gpuE2ELNS1_3repE0EEENS1_30default_config_static_selectorELNS0_4arch9wavefront6targetE1EEEvT1_
		.amdhsa_group_segment_fixed_size 0
		.amdhsa_private_segment_fixed_size 0
		.amdhsa_kernarg_size 120
		.amdhsa_user_sgpr_count 2
		.amdhsa_user_sgpr_dispatch_ptr 0
		.amdhsa_user_sgpr_queue_ptr 0
		.amdhsa_user_sgpr_kernarg_segment_ptr 1
		.amdhsa_user_sgpr_dispatch_id 0
		.amdhsa_user_sgpr_kernarg_preload_length 0
		.amdhsa_user_sgpr_kernarg_preload_offset 0
		.amdhsa_user_sgpr_private_segment_size 0
		.amdhsa_uses_dynamic_stack 0
		.amdhsa_enable_private_segment 0
		.amdhsa_system_sgpr_workgroup_id_x 1
		.amdhsa_system_sgpr_workgroup_id_y 0
		.amdhsa_system_sgpr_workgroup_id_z 0
		.amdhsa_system_sgpr_workgroup_info 0
		.amdhsa_system_vgpr_workitem_id 0
		.amdhsa_next_free_vgpr 1
		.amdhsa_next_free_sgpr 0
		.amdhsa_accum_offset 4
		.amdhsa_reserve_vcc 0
		.amdhsa_float_round_mode_32 0
		.amdhsa_float_round_mode_16_64 0
		.amdhsa_float_denorm_mode_32 3
		.amdhsa_float_denorm_mode_16_64 3
		.amdhsa_dx10_clamp 1
		.amdhsa_ieee_mode 1
		.amdhsa_fp16_overflow 0
		.amdhsa_tg_split 0
		.amdhsa_exception_fp_ieee_invalid_op 0
		.amdhsa_exception_fp_denorm_src 0
		.amdhsa_exception_fp_ieee_div_zero 0
		.amdhsa_exception_fp_ieee_overflow 0
		.amdhsa_exception_fp_ieee_underflow 0
		.amdhsa_exception_fp_ieee_inexact 0
		.amdhsa_exception_int_div_zero 0
	.end_amdhsa_kernel
	.section	.text._ZN7rocprim17ROCPRIM_400000_NS6detail17trampoline_kernelINS0_14default_configENS1_25partition_config_selectorILNS1_17partition_subalgoE8ElNS0_10empty_typeEbEEZZNS1_14partition_implILS5_8ELb0ES3_jPlPS6_PKS6_NS0_5tupleIJS9_S6_EEENSD_IJSA_SA_EEENS0_18inequality_wrapperIZN2at6native12_GLOBAL__N_124unique_dim_cuda_templateIN3c108BFloat16EEESt5tupleIJNSH_6TensorESO_SO_EERKSO_lbbbEUlllE0_EEPmJS6_EEE10hipError_tPvRmT3_T4_T5_T6_T7_T9_mT8_P12ihipStream_tbDpT10_ENKUlT_T0_E_clISt17integral_constantIbLb0EES1E_EEDaS19_S1A_EUlS19_E_NS1_11comp_targetILNS1_3genE8ELNS1_11target_archE1030ELNS1_3gpuE2ELNS1_3repE0EEENS1_30default_config_static_selectorELNS0_4arch9wavefront6targetE1EEEvT1_,"axG",@progbits,_ZN7rocprim17ROCPRIM_400000_NS6detail17trampoline_kernelINS0_14default_configENS1_25partition_config_selectorILNS1_17partition_subalgoE8ElNS0_10empty_typeEbEEZZNS1_14partition_implILS5_8ELb0ES3_jPlPS6_PKS6_NS0_5tupleIJS9_S6_EEENSD_IJSA_SA_EEENS0_18inequality_wrapperIZN2at6native12_GLOBAL__N_124unique_dim_cuda_templateIN3c108BFloat16EEESt5tupleIJNSH_6TensorESO_SO_EERKSO_lbbbEUlllE0_EEPmJS6_EEE10hipError_tPvRmT3_T4_T5_T6_T7_T9_mT8_P12ihipStream_tbDpT10_ENKUlT_T0_E_clISt17integral_constantIbLb0EES1E_EEDaS19_S1A_EUlS19_E_NS1_11comp_targetILNS1_3genE8ELNS1_11target_archE1030ELNS1_3gpuE2ELNS1_3repE0EEENS1_30default_config_static_selectorELNS0_4arch9wavefront6targetE1EEEvT1_,comdat
.Lfunc_end1181:
	.size	_ZN7rocprim17ROCPRIM_400000_NS6detail17trampoline_kernelINS0_14default_configENS1_25partition_config_selectorILNS1_17partition_subalgoE8ElNS0_10empty_typeEbEEZZNS1_14partition_implILS5_8ELb0ES3_jPlPS6_PKS6_NS0_5tupleIJS9_S6_EEENSD_IJSA_SA_EEENS0_18inequality_wrapperIZN2at6native12_GLOBAL__N_124unique_dim_cuda_templateIN3c108BFloat16EEESt5tupleIJNSH_6TensorESO_SO_EERKSO_lbbbEUlllE0_EEPmJS6_EEE10hipError_tPvRmT3_T4_T5_T6_T7_T9_mT8_P12ihipStream_tbDpT10_ENKUlT_T0_E_clISt17integral_constantIbLb0EES1E_EEDaS19_S1A_EUlS19_E_NS1_11comp_targetILNS1_3genE8ELNS1_11target_archE1030ELNS1_3gpuE2ELNS1_3repE0EEENS1_30default_config_static_selectorELNS0_4arch9wavefront6targetE1EEEvT1_, .Lfunc_end1181-_ZN7rocprim17ROCPRIM_400000_NS6detail17trampoline_kernelINS0_14default_configENS1_25partition_config_selectorILNS1_17partition_subalgoE8ElNS0_10empty_typeEbEEZZNS1_14partition_implILS5_8ELb0ES3_jPlPS6_PKS6_NS0_5tupleIJS9_S6_EEENSD_IJSA_SA_EEENS0_18inequality_wrapperIZN2at6native12_GLOBAL__N_124unique_dim_cuda_templateIN3c108BFloat16EEESt5tupleIJNSH_6TensorESO_SO_EERKSO_lbbbEUlllE0_EEPmJS6_EEE10hipError_tPvRmT3_T4_T5_T6_T7_T9_mT8_P12ihipStream_tbDpT10_ENKUlT_T0_E_clISt17integral_constantIbLb0EES1E_EEDaS19_S1A_EUlS19_E_NS1_11comp_targetILNS1_3genE8ELNS1_11target_archE1030ELNS1_3gpuE2ELNS1_3repE0EEENS1_30default_config_static_selectorELNS0_4arch9wavefront6targetE1EEEvT1_
                                        ; -- End function
	.set _ZN7rocprim17ROCPRIM_400000_NS6detail17trampoline_kernelINS0_14default_configENS1_25partition_config_selectorILNS1_17partition_subalgoE8ElNS0_10empty_typeEbEEZZNS1_14partition_implILS5_8ELb0ES3_jPlPS6_PKS6_NS0_5tupleIJS9_S6_EEENSD_IJSA_SA_EEENS0_18inequality_wrapperIZN2at6native12_GLOBAL__N_124unique_dim_cuda_templateIN3c108BFloat16EEESt5tupleIJNSH_6TensorESO_SO_EERKSO_lbbbEUlllE0_EEPmJS6_EEE10hipError_tPvRmT3_T4_T5_T6_T7_T9_mT8_P12ihipStream_tbDpT10_ENKUlT_T0_E_clISt17integral_constantIbLb0EES1E_EEDaS19_S1A_EUlS19_E_NS1_11comp_targetILNS1_3genE8ELNS1_11target_archE1030ELNS1_3gpuE2ELNS1_3repE0EEENS1_30default_config_static_selectorELNS0_4arch9wavefront6targetE1EEEvT1_.num_vgpr, 0
	.set _ZN7rocprim17ROCPRIM_400000_NS6detail17trampoline_kernelINS0_14default_configENS1_25partition_config_selectorILNS1_17partition_subalgoE8ElNS0_10empty_typeEbEEZZNS1_14partition_implILS5_8ELb0ES3_jPlPS6_PKS6_NS0_5tupleIJS9_S6_EEENSD_IJSA_SA_EEENS0_18inequality_wrapperIZN2at6native12_GLOBAL__N_124unique_dim_cuda_templateIN3c108BFloat16EEESt5tupleIJNSH_6TensorESO_SO_EERKSO_lbbbEUlllE0_EEPmJS6_EEE10hipError_tPvRmT3_T4_T5_T6_T7_T9_mT8_P12ihipStream_tbDpT10_ENKUlT_T0_E_clISt17integral_constantIbLb0EES1E_EEDaS19_S1A_EUlS19_E_NS1_11comp_targetILNS1_3genE8ELNS1_11target_archE1030ELNS1_3gpuE2ELNS1_3repE0EEENS1_30default_config_static_selectorELNS0_4arch9wavefront6targetE1EEEvT1_.num_agpr, 0
	.set _ZN7rocprim17ROCPRIM_400000_NS6detail17trampoline_kernelINS0_14default_configENS1_25partition_config_selectorILNS1_17partition_subalgoE8ElNS0_10empty_typeEbEEZZNS1_14partition_implILS5_8ELb0ES3_jPlPS6_PKS6_NS0_5tupleIJS9_S6_EEENSD_IJSA_SA_EEENS0_18inequality_wrapperIZN2at6native12_GLOBAL__N_124unique_dim_cuda_templateIN3c108BFloat16EEESt5tupleIJNSH_6TensorESO_SO_EERKSO_lbbbEUlllE0_EEPmJS6_EEE10hipError_tPvRmT3_T4_T5_T6_T7_T9_mT8_P12ihipStream_tbDpT10_ENKUlT_T0_E_clISt17integral_constantIbLb0EES1E_EEDaS19_S1A_EUlS19_E_NS1_11comp_targetILNS1_3genE8ELNS1_11target_archE1030ELNS1_3gpuE2ELNS1_3repE0EEENS1_30default_config_static_selectorELNS0_4arch9wavefront6targetE1EEEvT1_.numbered_sgpr, 0
	.set _ZN7rocprim17ROCPRIM_400000_NS6detail17trampoline_kernelINS0_14default_configENS1_25partition_config_selectorILNS1_17partition_subalgoE8ElNS0_10empty_typeEbEEZZNS1_14partition_implILS5_8ELb0ES3_jPlPS6_PKS6_NS0_5tupleIJS9_S6_EEENSD_IJSA_SA_EEENS0_18inequality_wrapperIZN2at6native12_GLOBAL__N_124unique_dim_cuda_templateIN3c108BFloat16EEESt5tupleIJNSH_6TensorESO_SO_EERKSO_lbbbEUlllE0_EEPmJS6_EEE10hipError_tPvRmT3_T4_T5_T6_T7_T9_mT8_P12ihipStream_tbDpT10_ENKUlT_T0_E_clISt17integral_constantIbLb0EES1E_EEDaS19_S1A_EUlS19_E_NS1_11comp_targetILNS1_3genE8ELNS1_11target_archE1030ELNS1_3gpuE2ELNS1_3repE0EEENS1_30default_config_static_selectorELNS0_4arch9wavefront6targetE1EEEvT1_.num_named_barrier, 0
	.set _ZN7rocprim17ROCPRIM_400000_NS6detail17trampoline_kernelINS0_14default_configENS1_25partition_config_selectorILNS1_17partition_subalgoE8ElNS0_10empty_typeEbEEZZNS1_14partition_implILS5_8ELb0ES3_jPlPS6_PKS6_NS0_5tupleIJS9_S6_EEENSD_IJSA_SA_EEENS0_18inequality_wrapperIZN2at6native12_GLOBAL__N_124unique_dim_cuda_templateIN3c108BFloat16EEESt5tupleIJNSH_6TensorESO_SO_EERKSO_lbbbEUlllE0_EEPmJS6_EEE10hipError_tPvRmT3_T4_T5_T6_T7_T9_mT8_P12ihipStream_tbDpT10_ENKUlT_T0_E_clISt17integral_constantIbLb0EES1E_EEDaS19_S1A_EUlS19_E_NS1_11comp_targetILNS1_3genE8ELNS1_11target_archE1030ELNS1_3gpuE2ELNS1_3repE0EEENS1_30default_config_static_selectorELNS0_4arch9wavefront6targetE1EEEvT1_.private_seg_size, 0
	.set _ZN7rocprim17ROCPRIM_400000_NS6detail17trampoline_kernelINS0_14default_configENS1_25partition_config_selectorILNS1_17partition_subalgoE8ElNS0_10empty_typeEbEEZZNS1_14partition_implILS5_8ELb0ES3_jPlPS6_PKS6_NS0_5tupleIJS9_S6_EEENSD_IJSA_SA_EEENS0_18inequality_wrapperIZN2at6native12_GLOBAL__N_124unique_dim_cuda_templateIN3c108BFloat16EEESt5tupleIJNSH_6TensorESO_SO_EERKSO_lbbbEUlllE0_EEPmJS6_EEE10hipError_tPvRmT3_T4_T5_T6_T7_T9_mT8_P12ihipStream_tbDpT10_ENKUlT_T0_E_clISt17integral_constantIbLb0EES1E_EEDaS19_S1A_EUlS19_E_NS1_11comp_targetILNS1_3genE8ELNS1_11target_archE1030ELNS1_3gpuE2ELNS1_3repE0EEENS1_30default_config_static_selectorELNS0_4arch9wavefront6targetE1EEEvT1_.uses_vcc, 0
	.set _ZN7rocprim17ROCPRIM_400000_NS6detail17trampoline_kernelINS0_14default_configENS1_25partition_config_selectorILNS1_17partition_subalgoE8ElNS0_10empty_typeEbEEZZNS1_14partition_implILS5_8ELb0ES3_jPlPS6_PKS6_NS0_5tupleIJS9_S6_EEENSD_IJSA_SA_EEENS0_18inequality_wrapperIZN2at6native12_GLOBAL__N_124unique_dim_cuda_templateIN3c108BFloat16EEESt5tupleIJNSH_6TensorESO_SO_EERKSO_lbbbEUlllE0_EEPmJS6_EEE10hipError_tPvRmT3_T4_T5_T6_T7_T9_mT8_P12ihipStream_tbDpT10_ENKUlT_T0_E_clISt17integral_constantIbLb0EES1E_EEDaS19_S1A_EUlS19_E_NS1_11comp_targetILNS1_3genE8ELNS1_11target_archE1030ELNS1_3gpuE2ELNS1_3repE0EEENS1_30default_config_static_selectorELNS0_4arch9wavefront6targetE1EEEvT1_.uses_flat_scratch, 0
	.set _ZN7rocprim17ROCPRIM_400000_NS6detail17trampoline_kernelINS0_14default_configENS1_25partition_config_selectorILNS1_17partition_subalgoE8ElNS0_10empty_typeEbEEZZNS1_14partition_implILS5_8ELb0ES3_jPlPS6_PKS6_NS0_5tupleIJS9_S6_EEENSD_IJSA_SA_EEENS0_18inequality_wrapperIZN2at6native12_GLOBAL__N_124unique_dim_cuda_templateIN3c108BFloat16EEESt5tupleIJNSH_6TensorESO_SO_EERKSO_lbbbEUlllE0_EEPmJS6_EEE10hipError_tPvRmT3_T4_T5_T6_T7_T9_mT8_P12ihipStream_tbDpT10_ENKUlT_T0_E_clISt17integral_constantIbLb0EES1E_EEDaS19_S1A_EUlS19_E_NS1_11comp_targetILNS1_3genE8ELNS1_11target_archE1030ELNS1_3gpuE2ELNS1_3repE0EEENS1_30default_config_static_selectorELNS0_4arch9wavefront6targetE1EEEvT1_.has_dyn_sized_stack, 0
	.set _ZN7rocprim17ROCPRIM_400000_NS6detail17trampoline_kernelINS0_14default_configENS1_25partition_config_selectorILNS1_17partition_subalgoE8ElNS0_10empty_typeEbEEZZNS1_14partition_implILS5_8ELb0ES3_jPlPS6_PKS6_NS0_5tupleIJS9_S6_EEENSD_IJSA_SA_EEENS0_18inequality_wrapperIZN2at6native12_GLOBAL__N_124unique_dim_cuda_templateIN3c108BFloat16EEESt5tupleIJNSH_6TensorESO_SO_EERKSO_lbbbEUlllE0_EEPmJS6_EEE10hipError_tPvRmT3_T4_T5_T6_T7_T9_mT8_P12ihipStream_tbDpT10_ENKUlT_T0_E_clISt17integral_constantIbLb0EES1E_EEDaS19_S1A_EUlS19_E_NS1_11comp_targetILNS1_3genE8ELNS1_11target_archE1030ELNS1_3gpuE2ELNS1_3repE0EEENS1_30default_config_static_selectorELNS0_4arch9wavefront6targetE1EEEvT1_.has_recursion, 0
	.set _ZN7rocprim17ROCPRIM_400000_NS6detail17trampoline_kernelINS0_14default_configENS1_25partition_config_selectorILNS1_17partition_subalgoE8ElNS0_10empty_typeEbEEZZNS1_14partition_implILS5_8ELb0ES3_jPlPS6_PKS6_NS0_5tupleIJS9_S6_EEENSD_IJSA_SA_EEENS0_18inequality_wrapperIZN2at6native12_GLOBAL__N_124unique_dim_cuda_templateIN3c108BFloat16EEESt5tupleIJNSH_6TensorESO_SO_EERKSO_lbbbEUlllE0_EEPmJS6_EEE10hipError_tPvRmT3_T4_T5_T6_T7_T9_mT8_P12ihipStream_tbDpT10_ENKUlT_T0_E_clISt17integral_constantIbLb0EES1E_EEDaS19_S1A_EUlS19_E_NS1_11comp_targetILNS1_3genE8ELNS1_11target_archE1030ELNS1_3gpuE2ELNS1_3repE0EEENS1_30default_config_static_selectorELNS0_4arch9wavefront6targetE1EEEvT1_.has_indirect_call, 0
	.section	.AMDGPU.csdata,"",@progbits
; Kernel info:
; codeLenInByte = 0
; TotalNumSgprs: 6
; NumVgprs: 0
; NumAgprs: 0
; TotalNumVgprs: 0
; ScratchSize: 0
; MemoryBound: 0
; FloatMode: 240
; IeeeMode: 1
; LDSByteSize: 0 bytes/workgroup (compile time only)
; SGPRBlocks: 0
; VGPRBlocks: 0
; NumSGPRsForWavesPerEU: 6
; NumVGPRsForWavesPerEU: 1
; AccumOffset: 4
; Occupancy: 8
; WaveLimiterHint : 0
; COMPUTE_PGM_RSRC2:SCRATCH_EN: 0
; COMPUTE_PGM_RSRC2:USER_SGPR: 2
; COMPUTE_PGM_RSRC2:TRAP_HANDLER: 0
; COMPUTE_PGM_RSRC2:TGID_X_EN: 1
; COMPUTE_PGM_RSRC2:TGID_Y_EN: 0
; COMPUTE_PGM_RSRC2:TGID_Z_EN: 0
; COMPUTE_PGM_RSRC2:TIDIG_COMP_CNT: 0
; COMPUTE_PGM_RSRC3_GFX90A:ACCUM_OFFSET: 0
; COMPUTE_PGM_RSRC3_GFX90A:TG_SPLIT: 0
	.section	.text._ZN7rocprim17ROCPRIM_400000_NS6detail17trampoline_kernelINS0_14default_configENS1_25partition_config_selectorILNS1_17partition_subalgoE8ElNS0_10empty_typeEbEEZZNS1_14partition_implILS5_8ELb0ES3_jPlPS6_PKS6_NS0_5tupleIJS9_S6_EEENSD_IJSA_SA_EEENS0_18inequality_wrapperIZN2at6native12_GLOBAL__N_124unique_dim_cuda_templateIN3c108BFloat16EEESt5tupleIJNSH_6TensorESO_SO_EERKSO_lbbbEUlllE0_EEPmJS6_EEE10hipError_tPvRmT3_T4_T5_T6_T7_T9_mT8_P12ihipStream_tbDpT10_ENKUlT_T0_E_clISt17integral_constantIbLb1EES1E_EEDaS19_S1A_EUlS19_E_NS1_11comp_targetILNS1_3genE0ELNS1_11target_archE4294967295ELNS1_3gpuE0ELNS1_3repE0EEENS1_30default_config_static_selectorELNS0_4arch9wavefront6targetE1EEEvT1_,"axG",@progbits,_ZN7rocprim17ROCPRIM_400000_NS6detail17trampoline_kernelINS0_14default_configENS1_25partition_config_selectorILNS1_17partition_subalgoE8ElNS0_10empty_typeEbEEZZNS1_14partition_implILS5_8ELb0ES3_jPlPS6_PKS6_NS0_5tupleIJS9_S6_EEENSD_IJSA_SA_EEENS0_18inequality_wrapperIZN2at6native12_GLOBAL__N_124unique_dim_cuda_templateIN3c108BFloat16EEESt5tupleIJNSH_6TensorESO_SO_EERKSO_lbbbEUlllE0_EEPmJS6_EEE10hipError_tPvRmT3_T4_T5_T6_T7_T9_mT8_P12ihipStream_tbDpT10_ENKUlT_T0_E_clISt17integral_constantIbLb1EES1E_EEDaS19_S1A_EUlS19_E_NS1_11comp_targetILNS1_3genE0ELNS1_11target_archE4294967295ELNS1_3gpuE0ELNS1_3repE0EEENS1_30default_config_static_selectorELNS0_4arch9wavefront6targetE1EEEvT1_,comdat
	.globl	_ZN7rocprim17ROCPRIM_400000_NS6detail17trampoline_kernelINS0_14default_configENS1_25partition_config_selectorILNS1_17partition_subalgoE8ElNS0_10empty_typeEbEEZZNS1_14partition_implILS5_8ELb0ES3_jPlPS6_PKS6_NS0_5tupleIJS9_S6_EEENSD_IJSA_SA_EEENS0_18inequality_wrapperIZN2at6native12_GLOBAL__N_124unique_dim_cuda_templateIN3c108BFloat16EEESt5tupleIJNSH_6TensorESO_SO_EERKSO_lbbbEUlllE0_EEPmJS6_EEE10hipError_tPvRmT3_T4_T5_T6_T7_T9_mT8_P12ihipStream_tbDpT10_ENKUlT_T0_E_clISt17integral_constantIbLb1EES1E_EEDaS19_S1A_EUlS19_E_NS1_11comp_targetILNS1_3genE0ELNS1_11target_archE4294967295ELNS1_3gpuE0ELNS1_3repE0EEENS1_30default_config_static_selectorELNS0_4arch9wavefront6targetE1EEEvT1_ ; -- Begin function _ZN7rocprim17ROCPRIM_400000_NS6detail17trampoline_kernelINS0_14default_configENS1_25partition_config_selectorILNS1_17partition_subalgoE8ElNS0_10empty_typeEbEEZZNS1_14partition_implILS5_8ELb0ES3_jPlPS6_PKS6_NS0_5tupleIJS9_S6_EEENSD_IJSA_SA_EEENS0_18inequality_wrapperIZN2at6native12_GLOBAL__N_124unique_dim_cuda_templateIN3c108BFloat16EEESt5tupleIJNSH_6TensorESO_SO_EERKSO_lbbbEUlllE0_EEPmJS6_EEE10hipError_tPvRmT3_T4_T5_T6_T7_T9_mT8_P12ihipStream_tbDpT10_ENKUlT_T0_E_clISt17integral_constantIbLb1EES1E_EEDaS19_S1A_EUlS19_E_NS1_11comp_targetILNS1_3genE0ELNS1_11target_archE4294967295ELNS1_3gpuE0ELNS1_3repE0EEENS1_30default_config_static_selectorELNS0_4arch9wavefront6targetE1EEEvT1_
	.p2align	8
	.type	_ZN7rocprim17ROCPRIM_400000_NS6detail17trampoline_kernelINS0_14default_configENS1_25partition_config_selectorILNS1_17partition_subalgoE8ElNS0_10empty_typeEbEEZZNS1_14partition_implILS5_8ELb0ES3_jPlPS6_PKS6_NS0_5tupleIJS9_S6_EEENSD_IJSA_SA_EEENS0_18inequality_wrapperIZN2at6native12_GLOBAL__N_124unique_dim_cuda_templateIN3c108BFloat16EEESt5tupleIJNSH_6TensorESO_SO_EERKSO_lbbbEUlllE0_EEPmJS6_EEE10hipError_tPvRmT3_T4_T5_T6_T7_T9_mT8_P12ihipStream_tbDpT10_ENKUlT_T0_E_clISt17integral_constantIbLb1EES1E_EEDaS19_S1A_EUlS19_E_NS1_11comp_targetILNS1_3genE0ELNS1_11target_archE4294967295ELNS1_3gpuE0ELNS1_3repE0EEENS1_30default_config_static_selectorELNS0_4arch9wavefront6targetE1EEEvT1_,@function
_ZN7rocprim17ROCPRIM_400000_NS6detail17trampoline_kernelINS0_14default_configENS1_25partition_config_selectorILNS1_17partition_subalgoE8ElNS0_10empty_typeEbEEZZNS1_14partition_implILS5_8ELb0ES3_jPlPS6_PKS6_NS0_5tupleIJS9_S6_EEENSD_IJSA_SA_EEENS0_18inequality_wrapperIZN2at6native12_GLOBAL__N_124unique_dim_cuda_templateIN3c108BFloat16EEESt5tupleIJNSH_6TensorESO_SO_EERKSO_lbbbEUlllE0_EEPmJS6_EEE10hipError_tPvRmT3_T4_T5_T6_T7_T9_mT8_P12ihipStream_tbDpT10_ENKUlT_T0_E_clISt17integral_constantIbLb1EES1E_EEDaS19_S1A_EUlS19_E_NS1_11comp_targetILNS1_3genE0ELNS1_11target_archE4294967295ELNS1_3gpuE0ELNS1_3repE0EEENS1_30default_config_static_selectorELNS0_4arch9wavefront6targetE1EEEvT1_: ; @_ZN7rocprim17ROCPRIM_400000_NS6detail17trampoline_kernelINS0_14default_configENS1_25partition_config_selectorILNS1_17partition_subalgoE8ElNS0_10empty_typeEbEEZZNS1_14partition_implILS5_8ELb0ES3_jPlPS6_PKS6_NS0_5tupleIJS9_S6_EEENSD_IJSA_SA_EEENS0_18inequality_wrapperIZN2at6native12_GLOBAL__N_124unique_dim_cuda_templateIN3c108BFloat16EEESt5tupleIJNSH_6TensorESO_SO_EERKSO_lbbbEUlllE0_EEPmJS6_EEE10hipError_tPvRmT3_T4_T5_T6_T7_T9_mT8_P12ihipStream_tbDpT10_ENKUlT_T0_E_clISt17integral_constantIbLb1EES1E_EEDaS19_S1A_EUlS19_E_NS1_11comp_targetILNS1_3genE0ELNS1_11target_archE4294967295ELNS1_3gpuE0ELNS1_3repE0EEENS1_30default_config_static_selectorELNS0_4arch9wavefront6targetE1EEEvT1_
; %bb.0:
	s_endpgm
	.section	.rodata,"a",@progbits
	.p2align	6, 0x0
	.amdhsa_kernel _ZN7rocprim17ROCPRIM_400000_NS6detail17trampoline_kernelINS0_14default_configENS1_25partition_config_selectorILNS1_17partition_subalgoE8ElNS0_10empty_typeEbEEZZNS1_14partition_implILS5_8ELb0ES3_jPlPS6_PKS6_NS0_5tupleIJS9_S6_EEENSD_IJSA_SA_EEENS0_18inequality_wrapperIZN2at6native12_GLOBAL__N_124unique_dim_cuda_templateIN3c108BFloat16EEESt5tupleIJNSH_6TensorESO_SO_EERKSO_lbbbEUlllE0_EEPmJS6_EEE10hipError_tPvRmT3_T4_T5_T6_T7_T9_mT8_P12ihipStream_tbDpT10_ENKUlT_T0_E_clISt17integral_constantIbLb1EES1E_EEDaS19_S1A_EUlS19_E_NS1_11comp_targetILNS1_3genE0ELNS1_11target_archE4294967295ELNS1_3gpuE0ELNS1_3repE0EEENS1_30default_config_static_selectorELNS0_4arch9wavefront6targetE1EEEvT1_
		.amdhsa_group_segment_fixed_size 0
		.amdhsa_private_segment_fixed_size 0
		.amdhsa_kernarg_size 136
		.amdhsa_user_sgpr_count 2
		.amdhsa_user_sgpr_dispatch_ptr 0
		.amdhsa_user_sgpr_queue_ptr 0
		.amdhsa_user_sgpr_kernarg_segment_ptr 1
		.amdhsa_user_sgpr_dispatch_id 0
		.amdhsa_user_sgpr_kernarg_preload_length 0
		.amdhsa_user_sgpr_kernarg_preload_offset 0
		.amdhsa_user_sgpr_private_segment_size 0
		.amdhsa_uses_dynamic_stack 0
		.amdhsa_enable_private_segment 0
		.amdhsa_system_sgpr_workgroup_id_x 1
		.amdhsa_system_sgpr_workgroup_id_y 0
		.amdhsa_system_sgpr_workgroup_id_z 0
		.amdhsa_system_sgpr_workgroup_info 0
		.amdhsa_system_vgpr_workitem_id 0
		.amdhsa_next_free_vgpr 1
		.amdhsa_next_free_sgpr 0
		.amdhsa_accum_offset 4
		.amdhsa_reserve_vcc 0
		.amdhsa_float_round_mode_32 0
		.amdhsa_float_round_mode_16_64 0
		.amdhsa_float_denorm_mode_32 3
		.amdhsa_float_denorm_mode_16_64 3
		.amdhsa_dx10_clamp 1
		.amdhsa_ieee_mode 1
		.amdhsa_fp16_overflow 0
		.amdhsa_tg_split 0
		.amdhsa_exception_fp_ieee_invalid_op 0
		.amdhsa_exception_fp_denorm_src 0
		.amdhsa_exception_fp_ieee_div_zero 0
		.amdhsa_exception_fp_ieee_overflow 0
		.amdhsa_exception_fp_ieee_underflow 0
		.amdhsa_exception_fp_ieee_inexact 0
		.amdhsa_exception_int_div_zero 0
	.end_amdhsa_kernel
	.section	.text._ZN7rocprim17ROCPRIM_400000_NS6detail17trampoline_kernelINS0_14default_configENS1_25partition_config_selectorILNS1_17partition_subalgoE8ElNS0_10empty_typeEbEEZZNS1_14partition_implILS5_8ELb0ES3_jPlPS6_PKS6_NS0_5tupleIJS9_S6_EEENSD_IJSA_SA_EEENS0_18inequality_wrapperIZN2at6native12_GLOBAL__N_124unique_dim_cuda_templateIN3c108BFloat16EEESt5tupleIJNSH_6TensorESO_SO_EERKSO_lbbbEUlllE0_EEPmJS6_EEE10hipError_tPvRmT3_T4_T5_T6_T7_T9_mT8_P12ihipStream_tbDpT10_ENKUlT_T0_E_clISt17integral_constantIbLb1EES1E_EEDaS19_S1A_EUlS19_E_NS1_11comp_targetILNS1_3genE0ELNS1_11target_archE4294967295ELNS1_3gpuE0ELNS1_3repE0EEENS1_30default_config_static_selectorELNS0_4arch9wavefront6targetE1EEEvT1_,"axG",@progbits,_ZN7rocprim17ROCPRIM_400000_NS6detail17trampoline_kernelINS0_14default_configENS1_25partition_config_selectorILNS1_17partition_subalgoE8ElNS0_10empty_typeEbEEZZNS1_14partition_implILS5_8ELb0ES3_jPlPS6_PKS6_NS0_5tupleIJS9_S6_EEENSD_IJSA_SA_EEENS0_18inequality_wrapperIZN2at6native12_GLOBAL__N_124unique_dim_cuda_templateIN3c108BFloat16EEESt5tupleIJNSH_6TensorESO_SO_EERKSO_lbbbEUlllE0_EEPmJS6_EEE10hipError_tPvRmT3_T4_T5_T6_T7_T9_mT8_P12ihipStream_tbDpT10_ENKUlT_T0_E_clISt17integral_constantIbLb1EES1E_EEDaS19_S1A_EUlS19_E_NS1_11comp_targetILNS1_3genE0ELNS1_11target_archE4294967295ELNS1_3gpuE0ELNS1_3repE0EEENS1_30default_config_static_selectorELNS0_4arch9wavefront6targetE1EEEvT1_,comdat
.Lfunc_end1182:
	.size	_ZN7rocprim17ROCPRIM_400000_NS6detail17trampoline_kernelINS0_14default_configENS1_25partition_config_selectorILNS1_17partition_subalgoE8ElNS0_10empty_typeEbEEZZNS1_14partition_implILS5_8ELb0ES3_jPlPS6_PKS6_NS0_5tupleIJS9_S6_EEENSD_IJSA_SA_EEENS0_18inequality_wrapperIZN2at6native12_GLOBAL__N_124unique_dim_cuda_templateIN3c108BFloat16EEESt5tupleIJNSH_6TensorESO_SO_EERKSO_lbbbEUlllE0_EEPmJS6_EEE10hipError_tPvRmT3_T4_T5_T6_T7_T9_mT8_P12ihipStream_tbDpT10_ENKUlT_T0_E_clISt17integral_constantIbLb1EES1E_EEDaS19_S1A_EUlS19_E_NS1_11comp_targetILNS1_3genE0ELNS1_11target_archE4294967295ELNS1_3gpuE0ELNS1_3repE0EEENS1_30default_config_static_selectorELNS0_4arch9wavefront6targetE1EEEvT1_, .Lfunc_end1182-_ZN7rocprim17ROCPRIM_400000_NS6detail17trampoline_kernelINS0_14default_configENS1_25partition_config_selectorILNS1_17partition_subalgoE8ElNS0_10empty_typeEbEEZZNS1_14partition_implILS5_8ELb0ES3_jPlPS6_PKS6_NS0_5tupleIJS9_S6_EEENSD_IJSA_SA_EEENS0_18inequality_wrapperIZN2at6native12_GLOBAL__N_124unique_dim_cuda_templateIN3c108BFloat16EEESt5tupleIJNSH_6TensorESO_SO_EERKSO_lbbbEUlllE0_EEPmJS6_EEE10hipError_tPvRmT3_T4_T5_T6_T7_T9_mT8_P12ihipStream_tbDpT10_ENKUlT_T0_E_clISt17integral_constantIbLb1EES1E_EEDaS19_S1A_EUlS19_E_NS1_11comp_targetILNS1_3genE0ELNS1_11target_archE4294967295ELNS1_3gpuE0ELNS1_3repE0EEENS1_30default_config_static_selectorELNS0_4arch9wavefront6targetE1EEEvT1_
                                        ; -- End function
	.set _ZN7rocprim17ROCPRIM_400000_NS6detail17trampoline_kernelINS0_14default_configENS1_25partition_config_selectorILNS1_17partition_subalgoE8ElNS0_10empty_typeEbEEZZNS1_14partition_implILS5_8ELb0ES3_jPlPS6_PKS6_NS0_5tupleIJS9_S6_EEENSD_IJSA_SA_EEENS0_18inequality_wrapperIZN2at6native12_GLOBAL__N_124unique_dim_cuda_templateIN3c108BFloat16EEESt5tupleIJNSH_6TensorESO_SO_EERKSO_lbbbEUlllE0_EEPmJS6_EEE10hipError_tPvRmT3_T4_T5_T6_T7_T9_mT8_P12ihipStream_tbDpT10_ENKUlT_T0_E_clISt17integral_constantIbLb1EES1E_EEDaS19_S1A_EUlS19_E_NS1_11comp_targetILNS1_3genE0ELNS1_11target_archE4294967295ELNS1_3gpuE0ELNS1_3repE0EEENS1_30default_config_static_selectorELNS0_4arch9wavefront6targetE1EEEvT1_.num_vgpr, 0
	.set _ZN7rocprim17ROCPRIM_400000_NS6detail17trampoline_kernelINS0_14default_configENS1_25partition_config_selectorILNS1_17partition_subalgoE8ElNS0_10empty_typeEbEEZZNS1_14partition_implILS5_8ELb0ES3_jPlPS6_PKS6_NS0_5tupleIJS9_S6_EEENSD_IJSA_SA_EEENS0_18inequality_wrapperIZN2at6native12_GLOBAL__N_124unique_dim_cuda_templateIN3c108BFloat16EEESt5tupleIJNSH_6TensorESO_SO_EERKSO_lbbbEUlllE0_EEPmJS6_EEE10hipError_tPvRmT3_T4_T5_T6_T7_T9_mT8_P12ihipStream_tbDpT10_ENKUlT_T0_E_clISt17integral_constantIbLb1EES1E_EEDaS19_S1A_EUlS19_E_NS1_11comp_targetILNS1_3genE0ELNS1_11target_archE4294967295ELNS1_3gpuE0ELNS1_3repE0EEENS1_30default_config_static_selectorELNS0_4arch9wavefront6targetE1EEEvT1_.num_agpr, 0
	.set _ZN7rocprim17ROCPRIM_400000_NS6detail17trampoline_kernelINS0_14default_configENS1_25partition_config_selectorILNS1_17partition_subalgoE8ElNS0_10empty_typeEbEEZZNS1_14partition_implILS5_8ELb0ES3_jPlPS6_PKS6_NS0_5tupleIJS9_S6_EEENSD_IJSA_SA_EEENS0_18inequality_wrapperIZN2at6native12_GLOBAL__N_124unique_dim_cuda_templateIN3c108BFloat16EEESt5tupleIJNSH_6TensorESO_SO_EERKSO_lbbbEUlllE0_EEPmJS6_EEE10hipError_tPvRmT3_T4_T5_T6_T7_T9_mT8_P12ihipStream_tbDpT10_ENKUlT_T0_E_clISt17integral_constantIbLb1EES1E_EEDaS19_S1A_EUlS19_E_NS1_11comp_targetILNS1_3genE0ELNS1_11target_archE4294967295ELNS1_3gpuE0ELNS1_3repE0EEENS1_30default_config_static_selectorELNS0_4arch9wavefront6targetE1EEEvT1_.numbered_sgpr, 0
	.set _ZN7rocprim17ROCPRIM_400000_NS6detail17trampoline_kernelINS0_14default_configENS1_25partition_config_selectorILNS1_17partition_subalgoE8ElNS0_10empty_typeEbEEZZNS1_14partition_implILS5_8ELb0ES3_jPlPS6_PKS6_NS0_5tupleIJS9_S6_EEENSD_IJSA_SA_EEENS0_18inequality_wrapperIZN2at6native12_GLOBAL__N_124unique_dim_cuda_templateIN3c108BFloat16EEESt5tupleIJNSH_6TensorESO_SO_EERKSO_lbbbEUlllE0_EEPmJS6_EEE10hipError_tPvRmT3_T4_T5_T6_T7_T9_mT8_P12ihipStream_tbDpT10_ENKUlT_T0_E_clISt17integral_constantIbLb1EES1E_EEDaS19_S1A_EUlS19_E_NS1_11comp_targetILNS1_3genE0ELNS1_11target_archE4294967295ELNS1_3gpuE0ELNS1_3repE0EEENS1_30default_config_static_selectorELNS0_4arch9wavefront6targetE1EEEvT1_.num_named_barrier, 0
	.set _ZN7rocprim17ROCPRIM_400000_NS6detail17trampoline_kernelINS0_14default_configENS1_25partition_config_selectorILNS1_17partition_subalgoE8ElNS0_10empty_typeEbEEZZNS1_14partition_implILS5_8ELb0ES3_jPlPS6_PKS6_NS0_5tupleIJS9_S6_EEENSD_IJSA_SA_EEENS0_18inequality_wrapperIZN2at6native12_GLOBAL__N_124unique_dim_cuda_templateIN3c108BFloat16EEESt5tupleIJNSH_6TensorESO_SO_EERKSO_lbbbEUlllE0_EEPmJS6_EEE10hipError_tPvRmT3_T4_T5_T6_T7_T9_mT8_P12ihipStream_tbDpT10_ENKUlT_T0_E_clISt17integral_constantIbLb1EES1E_EEDaS19_S1A_EUlS19_E_NS1_11comp_targetILNS1_3genE0ELNS1_11target_archE4294967295ELNS1_3gpuE0ELNS1_3repE0EEENS1_30default_config_static_selectorELNS0_4arch9wavefront6targetE1EEEvT1_.private_seg_size, 0
	.set _ZN7rocprim17ROCPRIM_400000_NS6detail17trampoline_kernelINS0_14default_configENS1_25partition_config_selectorILNS1_17partition_subalgoE8ElNS0_10empty_typeEbEEZZNS1_14partition_implILS5_8ELb0ES3_jPlPS6_PKS6_NS0_5tupleIJS9_S6_EEENSD_IJSA_SA_EEENS0_18inequality_wrapperIZN2at6native12_GLOBAL__N_124unique_dim_cuda_templateIN3c108BFloat16EEESt5tupleIJNSH_6TensorESO_SO_EERKSO_lbbbEUlllE0_EEPmJS6_EEE10hipError_tPvRmT3_T4_T5_T6_T7_T9_mT8_P12ihipStream_tbDpT10_ENKUlT_T0_E_clISt17integral_constantIbLb1EES1E_EEDaS19_S1A_EUlS19_E_NS1_11comp_targetILNS1_3genE0ELNS1_11target_archE4294967295ELNS1_3gpuE0ELNS1_3repE0EEENS1_30default_config_static_selectorELNS0_4arch9wavefront6targetE1EEEvT1_.uses_vcc, 0
	.set _ZN7rocprim17ROCPRIM_400000_NS6detail17trampoline_kernelINS0_14default_configENS1_25partition_config_selectorILNS1_17partition_subalgoE8ElNS0_10empty_typeEbEEZZNS1_14partition_implILS5_8ELb0ES3_jPlPS6_PKS6_NS0_5tupleIJS9_S6_EEENSD_IJSA_SA_EEENS0_18inequality_wrapperIZN2at6native12_GLOBAL__N_124unique_dim_cuda_templateIN3c108BFloat16EEESt5tupleIJNSH_6TensorESO_SO_EERKSO_lbbbEUlllE0_EEPmJS6_EEE10hipError_tPvRmT3_T4_T5_T6_T7_T9_mT8_P12ihipStream_tbDpT10_ENKUlT_T0_E_clISt17integral_constantIbLb1EES1E_EEDaS19_S1A_EUlS19_E_NS1_11comp_targetILNS1_3genE0ELNS1_11target_archE4294967295ELNS1_3gpuE0ELNS1_3repE0EEENS1_30default_config_static_selectorELNS0_4arch9wavefront6targetE1EEEvT1_.uses_flat_scratch, 0
	.set _ZN7rocprim17ROCPRIM_400000_NS6detail17trampoline_kernelINS0_14default_configENS1_25partition_config_selectorILNS1_17partition_subalgoE8ElNS0_10empty_typeEbEEZZNS1_14partition_implILS5_8ELb0ES3_jPlPS6_PKS6_NS0_5tupleIJS9_S6_EEENSD_IJSA_SA_EEENS0_18inequality_wrapperIZN2at6native12_GLOBAL__N_124unique_dim_cuda_templateIN3c108BFloat16EEESt5tupleIJNSH_6TensorESO_SO_EERKSO_lbbbEUlllE0_EEPmJS6_EEE10hipError_tPvRmT3_T4_T5_T6_T7_T9_mT8_P12ihipStream_tbDpT10_ENKUlT_T0_E_clISt17integral_constantIbLb1EES1E_EEDaS19_S1A_EUlS19_E_NS1_11comp_targetILNS1_3genE0ELNS1_11target_archE4294967295ELNS1_3gpuE0ELNS1_3repE0EEENS1_30default_config_static_selectorELNS0_4arch9wavefront6targetE1EEEvT1_.has_dyn_sized_stack, 0
	.set _ZN7rocprim17ROCPRIM_400000_NS6detail17trampoline_kernelINS0_14default_configENS1_25partition_config_selectorILNS1_17partition_subalgoE8ElNS0_10empty_typeEbEEZZNS1_14partition_implILS5_8ELb0ES3_jPlPS6_PKS6_NS0_5tupleIJS9_S6_EEENSD_IJSA_SA_EEENS0_18inequality_wrapperIZN2at6native12_GLOBAL__N_124unique_dim_cuda_templateIN3c108BFloat16EEESt5tupleIJNSH_6TensorESO_SO_EERKSO_lbbbEUlllE0_EEPmJS6_EEE10hipError_tPvRmT3_T4_T5_T6_T7_T9_mT8_P12ihipStream_tbDpT10_ENKUlT_T0_E_clISt17integral_constantIbLb1EES1E_EEDaS19_S1A_EUlS19_E_NS1_11comp_targetILNS1_3genE0ELNS1_11target_archE4294967295ELNS1_3gpuE0ELNS1_3repE0EEENS1_30default_config_static_selectorELNS0_4arch9wavefront6targetE1EEEvT1_.has_recursion, 0
	.set _ZN7rocprim17ROCPRIM_400000_NS6detail17trampoline_kernelINS0_14default_configENS1_25partition_config_selectorILNS1_17partition_subalgoE8ElNS0_10empty_typeEbEEZZNS1_14partition_implILS5_8ELb0ES3_jPlPS6_PKS6_NS0_5tupleIJS9_S6_EEENSD_IJSA_SA_EEENS0_18inequality_wrapperIZN2at6native12_GLOBAL__N_124unique_dim_cuda_templateIN3c108BFloat16EEESt5tupleIJNSH_6TensorESO_SO_EERKSO_lbbbEUlllE0_EEPmJS6_EEE10hipError_tPvRmT3_T4_T5_T6_T7_T9_mT8_P12ihipStream_tbDpT10_ENKUlT_T0_E_clISt17integral_constantIbLb1EES1E_EEDaS19_S1A_EUlS19_E_NS1_11comp_targetILNS1_3genE0ELNS1_11target_archE4294967295ELNS1_3gpuE0ELNS1_3repE0EEENS1_30default_config_static_selectorELNS0_4arch9wavefront6targetE1EEEvT1_.has_indirect_call, 0
	.section	.AMDGPU.csdata,"",@progbits
; Kernel info:
; codeLenInByte = 4
; TotalNumSgprs: 6
; NumVgprs: 0
; NumAgprs: 0
; TotalNumVgprs: 0
; ScratchSize: 0
; MemoryBound: 0
; FloatMode: 240
; IeeeMode: 1
; LDSByteSize: 0 bytes/workgroup (compile time only)
; SGPRBlocks: 0
; VGPRBlocks: 0
; NumSGPRsForWavesPerEU: 6
; NumVGPRsForWavesPerEU: 1
; AccumOffset: 4
; Occupancy: 8
; WaveLimiterHint : 0
; COMPUTE_PGM_RSRC2:SCRATCH_EN: 0
; COMPUTE_PGM_RSRC2:USER_SGPR: 2
; COMPUTE_PGM_RSRC2:TRAP_HANDLER: 0
; COMPUTE_PGM_RSRC2:TGID_X_EN: 1
; COMPUTE_PGM_RSRC2:TGID_Y_EN: 0
; COMPUTE_PGM_RSRC2:TGID_Z_EN: 0
; COMPUTE_PGM_RSRC2:TIDIG_COMP_CNT: 0
; COMPUTE_PGM_RSRC3_GFX90A:ACCUM_OFFSET: 0
; COMPUTE_PGM_RSRC3_GFX90A:TG_SPLIT: 0
	.section	.text._ZN7rocprim17ROCPRIM_400000_NS6detail17trampoline_kernelINS0_14default_configENS1_25partition_config_selectorILNS1_17partition_subalgoE8ElNS0_10empty_typeEbEEZZNS1_14partition_implILS5_8ELb0ES3_jPlPS6_PKS6_NS0_5tupleIJS9_S6_EEENSD_IJSA_SA_EEENS0_18inequality_wrapperIZN2at6native12_GLOBAL__N_124unique_dim_cuda_templateIN3c108BFloat16EEESt5tupleIJNSH_6TensorESO_SO_EERKSO_lbbbEUlllE0_EEPmJS6_EEE10hipError_tPvRmT3_T4_T5_T6_T7_T9_mT8_P12ihipStream_tbDpT10_ENKUlT_T0_E_clISt17integral_constantIbLb1EES1E_EEDaS19_S1A_EUlS19_E_NS1_11comp_targetILNS1_3genE5ELNS1_11target_archE942ELNS1_3gpuE9ELNS1_3repE0EEENS1_30default_config_static_selectorELNS0_4arch9wavefront6targetE1EEEvT1_,"axG",@progbits,_ZN7rocprim17ROCPRIM_400000_NS6detail17trampoline_kernelINS0_14default_configENS1_25partition_config_selectorILNS1_17partition_subalgoE8ElNS0_10empty_typeEbEEZZNS1_14partition_implILS5_8ELb0ES3_jPlPS6_PKS6_NS0_5tupleIJS9_S6_EEENSD_IJSA_SA_EEENS0_18inequality_wrapperIZN2at6native12_GLOBAL__N_124unique_dim_cuda_templateIN3c108BFloat16EEESt5tupleIJNSH_6TensorESO_SO_EERKSO_lbbbEUlllE0_EEPmJS6_EEE10hipError_tPvRmT3_T4_T5_T6_T7_T9_mT8_P12ihipStream_tbDpT10_ENKUlT_T0_E_clISt17integral_constantIbLb1EES1E_EEDaS19_S1A_EUlS19_E_NS1_11comp_targetILNS1_3genE5ELNS1_11target_archE942ELNS1_3gpuE9ELNS1_3repE0EEENS1_30default_config_static_selectorELNS0_4arch9wavefront6targetE1EEEvT1_,comdat
	.globl	_ZN7rocprim17ROCPRIM_400000_NS6detail17trampoline_kernelINS0_14default_configENS1_25partition_config_selectorILNS1_17partition_subalgoE8ElNS0_10empty_typeEbEEZZNS1_14partition_implILS5_8ELb0ES3_jPlPS6_PKS6_NS0_5tupleIJS9_S6_EEENSD_IJSA_SA_EEENS0_18inequality_wrapperIZN2at6native12_GLOBAL__N_124unique_dim_cuda_templateIN3c108BFloat16EEESt5tupleIJNSH_6TensorESO_SO_EERKSO_lbbbEUlllE0_EEPmJS6_EEE10hipError_tPvRmT3_T4_T5_T6_T7_T9_mT8_P12ihipStream_tbDpT10_ENKUlT_T0_E_clISt17integral_constantIbLb1EES1E_EEDaS19_S1A_EUlS19_E_NS1_11comp_targetILNS1_3genE5ELNS1_11target_archE942ELNS1_3gpuE9ELNS1_3repE0EEENS1_30default_config_static_selectorELNS0_4arch9wavefront6targetE1EEEvT1_ ; -- Begin function _ZN7rocprim17ROCPRIM_400000_NS6detail17trampoline_kernelINS0_14default_configENS1_25partition_config_selectorILNS1_17partition_subalgoE8ElNS0_10empty_typeEbEEZZNS1_14partition_implILS5_8ELb0ES3_jPlPS6_PKS6_NS0_5tupleIJS9_S6_EEENSD_IJSA_SA_EEENS0_18inequality_wrapperIZN2at6native12_GLOBAL__N_124unique_dim_cuda_templateIN3c108BFloat16EEESt5tupleIJNSH_6TensorESO_SO_EERKSO_lbbbEUlllE0_EEPmJS6_EEE10hipError_tPvRmT3_T4_T5_T6_T7_T9_mT8_P12ihipStream_tbDpT10_ENKUlT_T0_E_clISt17integral_constantIbLb1EES1E_EEDaS19_S1A_EUlS19_E_NS1_11comp_targetILNS1_3genE5ELNS1_11target_archE942ELNS1_3gpuE9ELNS1_3repE0EEENS1_30default_config_static_selectorELNS0_4arch9wavefront6targetE1EEEvT1_
	.p2align	8
	.type	_ZN7rocprim17ROCPRIM_400000_NS6detail17trampoline_kernelINS0_14default_configENS1_25partition_config_selectorILNS1_17partition_subalgoE8ElNS0_10empty_typeEbEEZZNS1_14partition_implILS5_8ELb0ES3_jPlPS6_PKS6_NS0_5tupleIJS9_S6_EEENSD_IJSA_SA_EEENS0_18inequality_wrapperIZN2at6native12_GLOBAL__N_124unique_dim_cuda_templateIN3c108BFloat16EEESt5tupleIJNSH_6TensorESO_SO_EERKSO_lbbbEUlllE0_EEPmJS6_EEE10hipError_tPvRmT3_T4_T5_T6_T7_T9_mT8_P12ihipStream_tbDpT10_ENKUlT_T0_E_clISt17integral_constantIbLb1EES1E_EEDaS19_S1A_EUlS19_E_NS1_11comp_targetILNS1_3genE5ELNS1_11target_archE942ELNS1_3gpuE9ELNS1_3repE0EEENS1_30default_config_static_selectorELNS0_4arch9wavefront6targetE1EEEvT1_,@function
_ZN7rocprim17ROCPRIM_400000_NS6detail17trampoline_kernelINS0_14default_configENS1_25partition_config_selectorILNS1_17partition_subalgoE8ElNS0_10empty_typeEbEEZZNS1_14partition_implILS5_8ELb0ES3_jPlPS6_PKS6_NS0_5tupleIJS9_S6_EEENSD_IJSA_SA_EEENS0_18inequality_wrapperIZN2at6native12_GLOBAL__N_124unique_dim_cuda_templateIN3c108BFloat16EEESt5tupleIJNSH_6TensorESO_SO_EERKSO_lbbbEUlllE0_EEPmJS6_EEE10hipError_tPvRmT3_T4_T5_T6_T7_T9_mT8_P12ihipStream_tbDpT10_ENKUlT_T0_E_clISt17integral_constantIbLb1EES1E_EEDaS19_S1A_EUlS19_E_NS1_11comp_targetILNS1_3genE5ELNS1_11target_archE942ELNS1_3gpuE9ELNS1_3repE0EEENS1_30default_config_static_selectorELNS0_4arch9wavefront6targetE1EEEvT1_: ; @_ZN7rocprim17ROCPRIM_400000_NS6detail17trampoline_kernelINS0_14default_configENS1_25partition_config_selectorILNS1_17partition_subalgoE8ElNS0_10empty_typeEbEEZZNS1_14partition_implILS5_8ELb0ES3_jPlPS6_PKS6_NS0_5tupleIJS9_S6_EEENSD_IJSA_SA_EEENS0_18inequality_wrapperIZN2at6native12_GLOBAL__N_124unique_dim_cuda_templateIN3c108BFloat16EEESt5tupleIJNSH_6TensorESO_SO_EERKSO_lbbbEUlllE0_EEPmJS6_EEE10hipError_tPvRmT3_T4_T5_T6_T7_T9_mT8_P12ihipStream_tbDpT10_ENKUlT_T0_E_clISt17integral_constantIbLb1EES1E_EEDaS19_S1A_EUlS19_E_NS1_11comp_targetILNS1_3genE5ELNS1_11target_archE942ELNS1_3gpuE9ELNS1_3repE0EEENS1_30default_config_static_selectorELNS0_4arch9wavefront6targetE1EEEvT1_
; %bb.0:
	.section	.rodata,"a",@progbits
	.p2align	6, 0x0
	.amdhsa_kernel _ZN7rocprim17ROCPRIM_400000_NS6detail17trampoline_kernelINS0_14default_configENS1_25partition_config_selectorILNS1_17partition_subalgoE8ElNS0_10empty_typeEbEEZZNS1_14partition_implILS5_8ELb0ES3_jPlPS6_PKS6_NS0_5tupleIJS9_S6_EEENSD_IJSA_SA_EEENS0_18inequality_wrapperIZN2at6native12_GLOBAL__N_124unique_dim_cuda_templateIN3c108BFloat16EEESt5tupleIJNSH_6TensorESO_SO_EERKSO_lbbbEUlllE0_EEPmJS6_EEE10hipError_tPvRmT3_T4_T5_T6_T7_T9_mT8_P12ihipStream_tbDpT10_ENKUlT_T0_E_clISt17integral_constantIbLb1EES1E_EEDaS19_S1A_EUlS19_E_NS1_11comp_targetILNS1_3genE5ELNS1_11target_archE942ELNS1_3gpuE9ELNS1_3repE0EEENS1_30default_config_static_selectorELNS0_4arch9wavefront6targetE1EEEvT1_
		.amdhsa_group_segment_fixed_size 0
		.amdhsa_private_segment_fixed_size 0
		.amdhsa_kernarg_size 136
		.amdhsa_user_sgpr_count 2
		.amdhsa_user_sgpr_dispatch_ptr 0
		.amdhsa_user_sgpr_queue_ptr 0
		.amdhsa_user_sgpr_kernarg_segment_ptr 1
		.amdhsa_user_sgpr_dispatch_id 0
		.amdhsa_user_sgpr_kernarg_preload_length 0
		.amdhsa_user_sgpr_kernarg_preload_offset 0
		.amdhsa_user_sgpr_private_segment_size 0
		.amdhsa_uses_dynamic_stack 0
		.amdhsa_enable_private_segment 0
		.amdhsa_system_sgpr_workgroup_id_x 1
		.amdhsa_system_sgpr_workgroup_id_y 0
		.amdhsa_system_sgpr_workgroup_id_z 0
		.amdhsa_system_sgpr_workgroup_info 0
		.amdhsa_system_vgpr_workitem_id 0
		.amdhsa_next_free_vgpr 1
		.amdhsa_next_free_sgpr 0
		.amdhsa_accum_offset 4
		.amdhsa_reserve_vcc 0
		.amdhsa_float_round_mode_32 0
		.amdhsa_float_round_mode_16_64 0
		.amdhsa_float_denorm_mode_32 3
		.amdhsa_float_denorm_mode_16_64 3
		.amdhsa_dx10_clamp 1
		.amdhsa_ieee_mode 1
		.amdhsa_fp16_overflow 0
		.amdhsa_tg_split 0
		.amdhsa_exception_fp_ieee_invalid_op 0
		.amdhsa_exception_fp_denorm_src 0
		.amdhsa_exception_fp_ieee_div_zero 0
		.amdhsa_exception_fp_ieee_overflow 0
		.amdhsa_exception_fp_ieee_underflow 0
		.amdhsa_exception_fp_ieee_inexact 0
		.amdhsa_exception_int_div_zero 0
	.end_amdhsa_kernel
	.section	.text._ZN7rocprim17ROCPRIM_400000_NS6detail17trampoline_kernelINS0_14default_configENS1_25partition_config_selectorILNS1_17partition_subalgoE8ElNS0_10empty_typeEbEEZZNS1_14partition_implILS5_8ELb0ES3_jPlPS6_PKS6_NS0_5tupleIJS9_S6_EEENSD_IJSA_SA_EEENS0_18inequality_wrapperIZN2at6native12_GLOBAL__N_124unique_dim_cuda_templateIN3c108BFloat16EEESt5tupleIJNSH_6TensorESO_SO_EERKSO_lbbbEUlllE0_EEPmJS6_EEE10hipError_tPvRmT3_T4_T5_T6_T7_T9_mT8_P12ihipStream_tbDpT10_ENKUlT_T0_E_clISt17integral_constantIbLb1EES1E_EEDaS19_S1A_EUlS19_E_NS1_11comp_targetILNS1_3genE5ELNS1_11target_archE942ELNS1_3gpuE9ELNS1_3repE0EEENS1_30default_config_static_selectorELNS0_4arch9wavefront6targetE1EEEvT1_,"axG",@progbits,_ZN7rocprim17ROCPRIM_400000_NS6detail17trampoline_kernelINS0_14default_configENS1_25partition_config_selectorILNS1_17partition_subalgoE8ElNS0_10empty_typeEbEEZZNS1_14partition_implILS5_8ELb0ES3_jPlPS6_PKS6_NS0_5tupleIJS9_S6_EEENSD_IJSA_SA_EEENS0_18inequality_wrapperIZN2at6native12_GLOBAL__N_124unique_dim_cuda_templateIN3c108BFloat16EEESt5tupleIJNSH_6TensorESO_SO_EERKSO_lbbbEUlllE0_EEPmJS6_EEE10hipError_tPvRmT3_T4_T5_T6_T7_T9_mT8_P12ihipStream_tbDpT10_ENKUlT_T0_E_clISt17integral_constantIbLb1EES1E_EEDaS19_S1A_EUlS19_E_NS1_11comp_targetILNS1_3genE5ELNS1_11target_archE942ELNS1_3gpuE9ELNS1_3repE0EEENS1_30default_config_static_selectorELNS0_4arch9wavefront6targetE1EEEvT1_,comdat
.Lfunc_end1183:
	.size	_ZN7rocprim17ROCPRIM_400000_NS6detail17trampoline_kernelINS0_14default_configENS1_25partition_config_selectorILNS1_17partition_subalgoE8ElNS0_10empty_typeEbEEZZNS1_14partition_implILS5_8ELb0ES3_jPlPS6_PKS6_NS0_5tupleIJS9_S6_EEENSD_IJSA_SA_EEENS0_18inequality_wrapperIZN2at6native12_GLOBAL__N_124unique_dim_cuda_templateIN3c108BFloat16EEESt5tupleIJNSH_6TensorESO_SO_EERKSO_lbbbEUlllE0_EEPmJS6_EEE10hipError_tPvRmT3_T4_T5_T6_T7_T9_mT8_P12ihipStream_tbDpT10_ENKUlT_T0_E_clISt17integral_constantIbLb1EES1E_EEDaS19_S1A_EUlS19_E_NS1_11comp_targetILNS1_3genE5ELNS1_11target_archE942ELNS1_3gpuE9ELNS1_3repE0EEENS1_30default_config_static_selectorELNS0_4arch9wavefront6targetE1EEEvT1_, .Lfunc_end1183-_ZN7rocprim17ROCPRIM_400000_NS6detail17trampoline_kernelINS0_14default_configENS1_25partition_config_selectorILNS1_17partition_subalgoE8ElNS0_10empty_typeEbEEZZNS1_14partition_implILS5_8ELb0ES3_jPlPS6_PKS6_NS0_5tupleIJS9_S6_EEENSD_IJSA_SA_EEENS0_18inequality_wrapperIZN2at6native12_GLOBAL__N_124unique_dim_cuda_templateIN3c108BFloat16EEESt5tupleIJNSH_6TensorESO_SO_EERKSO_lbbbEUlllE0_EEPmJS6_EEE10hipError_tPvRmT3_T4_T5_T6_T7_T9_mT8_P12ihipStream_tbDpT10_ENKUlT_T0_E_clISt17integral_constantIbLb1EES1E_EEDaS19_S1A_EUlS19_E_NS1_11comp_targetILNS1_3genE5ELNS1_11target_archE942ELNS1_3gpuE9ELNS1_3repE0EEENS1_30default_config_static_selectorELNS0_4arch9wavefront6targetE1EEEvT1_
                                        ; -- End function
	.set _ZN7rocprim17ROCPRIM_400000_NS6detail17trampoline_kernelINS0_14default_configENS1_25partition_config_selectorILNS1_17partition_subalgoE8ElNS0_10empty_typeEbEEZZNS1_14partition_implILS5_8ELb0ES3_jPlPS6_PKS6_NS0_5tupleIJS9_S6_EEENSD_IJSA_SA_EEENS0_18inequality_wrapperIZN2at6native12_GLOBAL__N_124unique_dim_cuda_templateIN3c108BFloat16EEESt5tupleIJNSH_6TensorESO_SO_EERKSO_lbbbEUlllE0_EEPmJS6_EEE10hipError_tPvRmT3_T4_T5_T6_T7_T9_mT8_P12ihipStream_tbDpT10_ENKUlT_T0_E_clISt17integral_constantIbLb1EES1E_EEDaS19_S1A_EUlS19_E_NS1_11comp_targetILNS1_3genE5ELNS1_11target_archE942ELNS1_3gpuE9ELNS1_3repE0EEENS1_30default_config_static_selectorELNS0_4arch9wavefront6targetE1EEEvT1_.num_vgpr, 0
	.set _ZN7rocprim17ROCPRIM_400000_NS6detail17trampoline_kernelINS0_14default_configENS1_25partition_config_selectorILNS1_17partition_subalgoE8ElNS0_10empty_typeEbEEZZNS1_14partition_implILS5_8ELb0ES3_jPlPS6_PKS6_NS0_5tupleIJS9_S6_EEENSD_IJSA_SA_EEENS0_18inequality_wrapperIZN2at6native12_GLOBAL__N_124unique_dim_cuda_templateIN3c108BFloat16EEESt5tupleIJNSH_6TensorESO_SO_EERKSO_lbbbEUlllE0_EEPmJS6_EEE10hipError_tPvRmT3_T4_T5_T6_T7_T9_mT8_P12ihipStream_tbDpT10_ENKUlT_T0_E_clISt17integral_constantIbLb1EES1E_EEDaS19_S1A_EUlS19_E_NS1_11comp_targetILNS1_3genE5ELNS1_11target_archE942ELNS1_3gpuE9ELNS1_3repE0EEENS1_30default_config_static_selectorELNS0_4arch9wavefront6targetE1EEEvT1_.num_agpr, 0
	.set _ZN7rocprim17ROCPRIM_400000_NS6detail17trampoline_kernelINS0_14default_configENS1_25partition_config_selectorILNS1_17partition_subalgoE8ElNS0_10empty_typeEbEEZZNS1_14partition_implILS5_8ELb0ES3_jPlPS6_PKS6_NS0_5tupleIJS9_S6_EEENSD_IJSA_SA_EEENS0_18inequality_wrapperIZN2at6native12_GLOBAL__N_124unique_dim_cuda_templateIN3c108BFloat16EEESt5tupleIJNSH_6TensorESO_SO_EERKSO_lbbbEUlllE0_EEPmJS6_EEE10hipError_tPvRmT3_T4_T5_T6_T7_T9_mT8_P12ihipStream_tbDpT10_ENKUlT_T0_E_clISt17integral_constantIbLb1EES1E_EEDaS19_S1A_EUlS19_E_NS1_11comp_targetILNS1_3genE5ELNS1_11target_archE942ELNS1_3gpuE9ELNS1_3repE0EEENS1_30default_config_static_selectorELNS0_4arch9wavefront6targetE1EEEvT1_.numbered_sgpr, 0
	.set _ZN7rocprim17ROCPRIM_400000_NS6detail17trampoline_kernelINS0_14default_configENS1_25partition_config_selectorILNS1_17partition_subalgoE8ElNS0_10empty_typeEbEEZZNS1_14partition_implILS5_8ELb0ES3_jPlPS6_PKS6_NS0_5tupleIJS9_S6_EEENSD_IJSA_SA_EEENS0_18inequality_wrapperIZN2at6native12_GLOBAL__N_124unique_dim_cuda_templateIN3c108BFloat16EEESt5tupleIJNSH_6TensorESO_SO_EERKSO_lbbbEUlllE0_EEPmJS6_EEE10hipError_tPvRmT3_T4_T5_T6_T7_T9_mT8_P12ihipStream_tbDpT10_ENKUlT_T0_E_clISt17integral_constantIbLb1EES1E_EEDaS19_S1A_EUlS19_E_NS1_11comp_targetILNS1_3genE5ELNS1_11target_archE942ELNS1_3gpuE9ELNS1_3repE0EEENS1_30default_config_static_selectorELNS0_4arch9wavefront6targetE1EEEvT1_.num_named_barrier, 0
	.set _ZN7rocprim17ROCPRIM_400000_NS6detail17trampoline_kernelINS0_14default_configENS1_25partition_config_selectorILNS1_17partition_subalgoE8ElNS0_10empty_typeEbEEZZNS1_14partition_implILS5_8ELb0ES3_jPlPS6_PKS6_NS0_5tupleIJS9_S6_EEENSD_IJSA_SA_EEENS0_18inequality_wrapperIZN2at6native12_GLOBAL__N_124unique_dim_cuda_templateIN3c108BFloat16EEESt5tupleIJNSH_6TensorESO_SO_EERKSO_lbbbEUlllE0_EEPmJS6_EEE10hipError_tPvRmT3_T4_T5_T6_T7_T9_mT8_P12ihipStream_tbDpT10_ENKUlT_T0_E_clISt17integral_constantIbLb1EES1E_EEDaS19_S1A_EUlS19_E_NS1_11comp_targetILNS1_3genE5ELNS1_11target_archE942ELNS1_3gpuE9ELNS1_3repE0EEENS1_30default_config_static_selectorELNS0_4arch9wavefront6targetE1EEEvT1_.private_seg_size, 0
	.set _ZN7rocprim17ROCPRIM_400000_NS6detail17trampoline_kernelINS0_14default_configENS1_25partition_config_selectorILNS1_17partition_subalgoE8ElNS0_10empty_typeEbEEZZNS1_14partition_implILS5_8ELb0ES3_jPlPS6_PKS6_NS0_5tupleIJS9_S6_EEENSD_IJSA_SA_EEENS0_18inequality_wrapperIZN2at6native12_GLOBAL__N_124unique_dim_cuda_templateIN3c108BFloat16EEESt5tupleIJNSH_6TensorESO_SO_EERKSO_lbbbEUlllE0_EEPmJS6_EEE10hipError_tPvRmT3_T4_T5_T6_T7_T9_mT8_P12ihipStream_tbDpT10_ENKUlT_T0_E_clISt17integral_constantIbLb1EES1E_EEDaS19_S1A_EUlS19_E_NS1_11comp_targetILNS1_3genE5ELNS1_11target_archE942ELNS1_3gpuE9ELNS1_3repE0EEENS1_30default_config_static_selectorELNS0_4arch9wavefront6targetE1EEEvT1_.uses_vcc, 0
	.set _ZN7rocprim17ROCPRIM_400000_NS6detail17trampoline_kernelINS0_14default_configENS1_25partition_config_selectorILNS1_17partition_subalgoE8ElNS0_10empty_typeEbEEZZNS1_14partition_implILS5_8ELb0ES3_jPlPS6_PKS6_NS0_5tupleIJS9_S6_EEENSD_IJSA_SA_EEENS0_18inequality_wrapperIZN2at6native12_GLOBAL__N_124unique_dim_cuda_templateIN3c108BFloat16EEESt5tupleIJNSH_6TensorESO_SO_EERKSO_lbbbEUlllE0_EEPmJS6_EEE10hipError_tPvRmT3_T4_T5_T6_T7_T9_mT8_P12ihipStream_tbDpT10_ENKUlT_T0_E_clISt17integral_constantIbLb1EES1E_EEDaS19_S1A_EUlS19_E_NS1_11comp_targetILNS1_3genE5ELNS1_11target_archE942ELNS1_3gpuE9ELNS1_3repE0EEENS1_30default_config_static_selectorELNS0_4arch9wavefront6targetE1EEEvT1_.uses_flat_scratch, 0
	.set _ZN7rocprim17ROCPRIM_400000_NS6detail17trampoline_kernelINS0_14default_configENS1_25partition_config_selectorILNS1_17partition_subalgoE8ElNS0_10empty_typeEbEEZZNS1_14partition_implILS5_8ELb0ES3_jPlPS6_PKS6_NS0_5tupleIJS9_S6_EEENSD_IJSA_SA_EEENS0_18inequality_wrapperIZN2at6native12_GLOBAL__N_124unique_dim_cuda_templateIN3c108BFloat16EEESt5tupleIJNSH_6TensorESO_SO_EERKSO_lbbbEUlllE0_EEPmJS6_EEE10hipError_tPvRmT3_T4_T5_T6_T7_T9_mT8_P12ihipStream_tbDpT10_ENKUlT_T0_E_clISt17integral_constantIbLb1EES1E_EEDaS19_S1A_EUlS19_E_NS1_11comp_targetILNS1_3genE5ELNS1_11target_archE942ELNS1_3gpuE9ELNS1_3repE0EEENS1_30default_config_static_selectorELNS0_4arch9wavefront6targetE1EEEvT1_.has_dyn_sized_stack, 0
	.set _ZN7rocprim17ROCPRIM_400000_NS6detail17trampoline_kernelINS0_14default_configENS1_25partition_config_selectorILNS1_17partition_subalgoE8ElNS0_10empty_typeEbEEZZNS1_14partition_implILS5_8ELb0ES3_jPlPS6_PKS6_NS0_5tupleIJS9_S6_EEENSD_IJSA_SA_EEENS0_18inequality_wrapperIZN2at6native12_GLOBAL__N_124unique_dim_cuda_templateIN3c108BFloat16EEESt5tupleIJNSH_6TensorESO_SO_EERKSO_lbbbEUlllE0_EEPmJS6_EEE10hipError_tPvRmT3_T4_T5_T6_T7_T9_mT8_P12ihipStream_tbDpT10_ENKUlT_T0_E_clISt17integral_constantIbLb1EES1E_EEDaS19_S1A_EUlS19_E_NS1_11comp_targetILNS1_3genE5ELNS1_11target_archE942ELNS1_3gpuE9ELNS1_3repE0EEENS1_30default_config_static_selectorELNS0_4arch9wavefront6targetE1EEEvT1_.has_recursion, 0
	.set _ZN7rocprim17ROCPRIM_400000_NS6detail17trampoline_kernelINS0_14default_configENS1_25partition_config_selectorILNS1_17partition_subalgoE8ElNS0_10empty_typeEbEEZZNS1_14partition_implILS5_8ELb0ES3_jPlPS6_PKS6_NS0_5tupleIJS9_S6_EEENSD_IJSA_SA_EEENS0_18inequality_wrapperIZN2at6native12_GLOBAL__N_124unique_dim_cuda_templateIN3c108BFloat16EEESt5tupleIJNSH_6TensorESO_SO_EERKSO_lbbbEUlllE0_EEPmJS6_EEE10hipError_tPvRmT3_T4_T5_T6_T7_T9_mT8_P12ihipStream_tbDpT10_ENKUlT_T0_E_clISt17integral_constantIbLb1EES1E_EEDaS19_S1A_EUlS19_E_NS1_11comp_targetILNS1_3genE5ELNS1_11target_archE942ELNS1_3gpuE9ELNS1_3repE0EEENS1_30default_config_static_selectorELNS0_4arch9wavefront6targetE1EEEvT1_.has_indirect_call, 0
	.section	.AMDGPU.csdata,"",@progbits
; Kernel info:
; codeLenInByte = 0
; TotalNumSgprs: 6
; NumVgprs: 0
; NumAgprs: 0
; TotalNumVgprs: 0
; ScratchSize: 0
; MemoryBound: 0
; FloatMode: 240
; IeeeMode: 1
; LDSByteSize: 0 bytes/workgroup (compile time only)
; SGPRBlocks: 0
; VGPRBlocks: 0
; NumSGPRsForWavesPerEU: 6
; NumVGPRsForWavesPerEU: 1
; AccumOffset: 4
; Occupancy: 8
; WaveLimiterHint : 0
; COMPUTE_PGM_RSRC2:SCRATCH_EN: 0
; COMPUTE_PGM_RSRC2:USER_SGPR: 2
; COMPUTE_PGM_RSRC2:TRAP_HANDLER: 0
; COMPUTE_PGM_RSRC2:TGID_X_EN: 1
; COMPUTE_PGM_RSRC2:TGID_Y_EN: 0
; COMPUTE_PGM_RSRC2:TGID_Z_EN: 0
; COMPUTE_PGM_RSRC2:TIDIG_COMP_CNT: 0
; COMPUTE_PGM_RSRC3_GFX90A:ACCUM_OFFSET: 0
; COMPUTE_PGM_RSRC3_GFX90A:TG_SPLIT: 0
	.section	.text._ZN7rocprim17ROCPRIM_400000_NS6detail17trampoline_kernelINS0_14default_configENS1_25partition_config_selectorILNS1_17partition_subalgoE8ElNS0_10empty_typeEbEEZZNS1_14partition_implILS5_8ELb0ES3_jPlPS6_PKS6_NS0_5tupleIJS9_S6_EEENSD_IJSA_SA_EEENS0_18inequality_wrapperIZN2at6native12_GLOBAL__N_124unique_dim_cuda_templateIN3c108BFloat16EEESt5tupleIJNSH_6TensorESO_SO_EERKSO_lbbbEUlllE0_EEPmJS6_EEE10hipError_tPvRmT3_T4_T5_T6_T7_T9_mT8_P12ihipStream_tbDpT10_ENKUlT_T0_E_clISt17integral_constantIbLb1EES1E_EEDaS19_S1A_EUlS19_E_NS1_11comp_targetILNS1_3genE4ELNS1_11target_archE910ELNS1_3gpuE8ELNS1_3repE0EEENS1_30default_config_static_selectorELNS0_4arch9wavefront6targetE1EEEvT1_,"axG",@progbits,_ZN7rocprim17ROCPRIM_400000_NS6detail17trampoline_kernelINS0_14default_configENS1_25partition_config_selectorILNS1_17partition_subalgoE8ElNS0_10empty_typeEbEEZZNS1_14partition_implILS5_8ELb0ES3_jPlPS6_PKS6_NS0_5tupleIJS9_S6_EEENSD_IJSA_SA_EEENS0_18inequality_wrapperIZN2at6native12_GLOBAL__N_124unique_dim_cuda_templateIN3c108BFloat16EEESt5tupleIJNSH_6TensorESO_SO_EERKSO_lbbbEUlllE0_EEPmJS6_EEE10hipError_tPvRmT3_T4_T5_T6_T7_T9_mT8_P12ihipStream_tbDpT10_ENKUlT_T0_E_clISt17integral_constantIbLb1EES1E_EEDaS19_S1A_EUlS19_E_NS1_11comp_targetILNS1_3genE4ELNS1_11target_archE910ELNS1_3gpuE8ELNS1_3repE0EEENS1_30default_config_static_selectorELNS0_4arch9wavefront6targetE1EEEvT1_,comdat
	.globl	_ZN7rocprim17ROCPRIM_400000_NS6detail17trampoline_kernelINS0_14default_configENS1_25partition_config_selectorILNS1_17partition_subalgoE8ElNS0_10empty_typeEbEEZZNS1_14partition_implILS5_8ELb0ES3_jPlPS6_PKS6_NS0_5tupleIJS9_S6_EEENSD_IJSA_SA_EEENS0_18inequality_wrapperIZN2at6native12_GLOBAL__N_124unique_dim_cuda_templateIN3c108BFloat16EEESt5tupleIJNSH_6TensorESO_SO_EERKSO_lbbbEUlllE0_EEPmJS6_EEE10hipError_tPvRmT3_T4_T5_T6_T7_T9_mT8_P12ihipStream_tbDpT10_ENKUlT_T0_E_clISt17integral_constantIbLb1EES1E_EEDaS19_S1A_EUlS19_E_NS1_11comp_targetILNS1_3genE4ELNS1_11target_archE910ELNS1_3gpuE8ELNS1_3repE0EEENS1_30default_config_static_selectorELNS0_4arch9wavefront6targetE1EEEvT1_ ; -- Begin function _ZN7rocprim17ROCPRIM_400000_NS6detail17trampoline_kernelINS0_14default_configENS1_25partition_config_selectorILNS1_17partition_subalgoE8ElNS0_10empty_typeEbEEZZNS1_14partition_implILS5_8ELb0ES3_jPlPS6_PKS6_NS0_5tupleIJS9_S6_EEENSD_IJSA_SA_EEENS0_18inequality_wrapperIZN2at6native12_GLOBAL__N_124unique_dim_cuda_templateIN3c108BFloat16EEESt5tupleIJNSH_6TensorESO_SO_EERKSO_lbbbEUlllE0_EEPmJS6_EEE10hipError_tPvRmT3_T4_T5_T6_T7_T9_mT8_P12ihipStream_tbDpT10_ENKUlT_T0_E_clISt17integral_constantIbLb1EES1E_EEDaS19_S1A_EUlS19_E_NS1_11comp_targetILNS1_3genE4ELNS1_11target_archE910ELNS1_3gpuE8ELNS1_3repE0EEENS1_30default_config_static_selectorELNS0_4arch9wavefront6targetE1EEEvT1_
	.p2align	8
	.type	_ZN7rocprim17ROCPRIM_400000_NS6detail17trampoline_kernelINS0_14default_configENS1_25partition_config_selectorILNS1_17partition_subalgoE8ElNS0_10empty_typeEbEEZZNS1_14partition_implILS5_8ELb0ES3_jPlPS6_PKS6_NS0_5tupleIJS9_S6_EEENSD_IJSA_SA_EEENS0_18inequality_wrapperIZN2at6native12_GLOBAL__N_124unique_dim_cuda_templateIN3c108BFloat16EEESt5tupleIJNSH_6TensorESO_SO_EERKSO_lbbbEUlllE0_EEPmJS6_EEE10hipError_tPvRmT3_T4_T5_T6_T7_T9_mT8_P12ihipStream_tbDpT10_ENKUlT_T0_E_clISt17integral_constantIbLb1EES1E_EEDaS19_S1A_EUlS19_E_NS1_11comp_targetILNS1_3genE4ELNS1_11target_archE910ELNS1_3gpuE8ELNS1_3repE0EEENS1_30default_config_static_selectorELNS0_4arch9wavefront6targetE1EEEvT1_,@function
_ZN7rocprim17ROCPRIM_400000_NS6detail17trampoline_kernelINS0_14default_configENS1_25partition_config_selectorILNS1_17partition_subalgoE8ElNS0_10empty_typeEbEEZZNS1_14partition_implILS5_8ELb0ES3_jPlPS6_PKS6_NS0_5tupleIJS9_S6_EEENSD_IJSA_SA_EEENS0_18inequality_wrapperIZN2at6native12_GLOBAL__N_124unique_dim_cuda_templateIN3c108BFloat16EEESt5tupleIJNSH_6TensorESO_SO_EERKSO_lbbbEUlllE0_EEPmJS6_EEE10hipError_tPvRmT3_T4_T5_T6_T7_T9_mT8_P12ihipStream_tbDpT10_ENKUlT_T0_E_clISt17integral_constantIbLb1EES1E_EEDaS19_S1A_EUlS19_E_NS1_11comp_targetILNS1_3genE4ELNS1_11target_archE910ELNS1_3gpuE8ELNS1_3repE0EEENS1_30default_config_static_selectorELNS0_4arch9wavefront6targetE1EEEvT1_: ; @_ZN7rocprim17ROCPRIM_400000_NS6detail17trampoline_kernelINS0_14default_configENS1_25partition_config_selectorILNS1_17partition_subalgoE8ElNS0_10empty_typeEbEEZZNS1_14partition_implILS5_8ELb0ES3_jPlPS6_PKS6_NS0_5tupleIJS9_S6_EEENSD_IJSA_SA_EEENS0_18inequality_wrapperIZN2at6native12_GLOBAL__N_124unique_dim_cuda_templateIN3c108BFloat16EEESt5tupleIJNSH_6TensorESO_SO_EERKSO_lbbbEUlllE0_EEPmJS6_EEE10hipError_tPvRmT3_T4_T5_T6_T7_T9_mT8_P12ihipStream_tbDpT10_ENKUlT_T0_E_clISt17integral_constantIbLb1EES1E_EEDaS19_S1A_EUlS19_E_NS1_11comp_targetILNS1_3genE4ELNS1_11target_archE910ELNS1_3gpuE8ELNS1_3repE0EEENS1_30default_config_static_selectorELNS0_4arch9wavefront6targetE1EEEvT1_
; %bb.0:
	.section	.rodata,"a",@progbits
	.p2align	6, 0x0
	.amdhsa_kernel _ZN7rocprim17ROCPRIM_400000_NS6detail17trampoline_kernelINS0_14default_configENS1_25partition_config_selectorILNS1_17partition_subalgoE8ElNS0_10empty_typeEbEEZZNS1_14partition_implILS5_8ELb0ES3_jPlPS6_PKS6_NS0_5tupleIJS9_S6_EEENSD_IJSA_SA_EEENS0_18inequality_wrapperIZN2at6native12_GLOBAL__N_124unique_dim_cuda_templateIN3c108BFloat16EEESt5tupleIJNSH_6TensorESO_SO_EERKSO_lbbbEUlllE0_EEPmJS6_EEE10hipError_tPvRmT3_T4_T5_T6_T7_T9_mT8_P12ihipStream_tbDpT10_ENKUlT_T0_E_clISt17integral_constantIbLb1EES1E_EEDaS19_S1A_EUlS19_E_NS1_11comp_targetILNS1_3genE4ELNS1_11target_archE910ELNS1_3gpuE8ELNS1_3repE0EEENS1_30default_config_static_selectorELNS0_4arch9wavefront6targetE1EEEvT1_
		.amdhsa_group_segment_fixed_size 0
		.amdhsa_private_segment_fixed_size 0
		.amdhsa_kernarg_size 136
		.amdhsa_user_sgpr_count 2
		.amdhsa_user_sgpr_dispatch_ptr 0
		.amdhsa_user_sgpr_queue_ptr 0
		.amdhsa_user_sgpr_kernarg_segment_ptr 1
		.amdhsa_user_sgpr_dispatch_id 0
		.amdhsa_user_sgpr_kernarg_preload_length 0
		.amdhsa_user_sgpr_kernarg_preload_offset 0
		.amdhsa_user_sgpr_private_segment_size 0
		.amdhsa_uses_dynamic_stack 0
		.amdhsa_enable_private_segment 0
		.amdhsa_system_sgpr_workgroup_id_x 1
		.amdhsa_system_sgpr_workgroup_id_y 0
		.amdhsa_system_sgpr_workgroup_id_z 0
		.amdhsa_system_sgpr_workgroup_info 0
		.amdhsa_system_vgpr_workitem_id 0
		.amdhsa_next_free_vgpr 1
		.amdhsa_next_free_sgpr 0
		.amdhsa_accum_offset 4
		.amdhsa_reserve_vcc 0
		.amdhsa_float_round_mode_32 0
		.amdhsa_float_round_mode_16_64 0
		.amdhsa_float_denorm_mode_32 3
		.amdhsa_float_denorm_mode_16_64 3
		.amdhsa_dx10_clamp 1
		.amdhsa_ieee_mode 1
		.amdhsa_fp16_overflow 0
		.amdhsa_tg_split 0
		.amdhsa_exception_fp_ieee_invalid_op 0
		.amdhsa_exception_fp_denorm_src 0
		.amdhsa_exception_fp_ieee_div_zero 0
		.amdhsa_exception_fp_ieee_overflow 0
		.amdhsa_exception_fp_ieee_underflow 0
		.amdhsa_exception_fp_ieee_inexact 0
		.amdhsa_exception_int_div_zero 0
	.end_amdhsa_kernel
	.section	.text._ZN7rocprim17ROCPRIM_400000_NS6detail17trampoline_kernelINS0_14default_configENS1_25partition_config_selectorILNS1_17partition_subalgoE8ElNS0_10empty_typeEbEEZZNS1_14partition_implILS5_8ELb0ES3_jPlPS6_PKS6_NS0_5tupleIJS9_S6_EEENSD_IJSA_SA_EEENS0_18inequality_wrapperIZN2at6native12_GLOBAL__N_124unique_dim_cuda_templateIN3c108BFloat16EEESt5tupleIJNSH_6TensorESO_SO_EERKSO_lbbbEUlllE0_EEPmJS6_EEE10hipError_tPvRmT3_T4_T5_T6_T7_T9_mT8_P12ihipStream_tbDpT10_ENKUlT_T0_E_clISt17integral_constantIbLb1EES1E_EEDaS19_S1A_EUlS19_E_NS1_11comp_targetILNS1_3genE4ELNS1_11target_archE910ELNS1_3gpuE8ELNS1_3repE0EEENS1_30default_config_static_selectorELNS0_4arch9wavefront6targetE1EEEvT1_,"axG",@progbits,_ZN7rocprim17ROCPRIM_400000_NS6detail17trampoline_kernelINS0_14default_configENS1_25partition_config_selectorILNS1_17partition_subalgoE8ElNS0_10empty_typeEbEEZZNS1_14partition_implILS5_8ELb0ES3_jPlPS6_PKS6_NS0_5tupleIJS9_S6_EEENSD_IJSA_SA_EEENS0_18inequality_wrapperIZN2at6native12_GLOBAL__N_124unique_dim_cuda_templateIN3c108BFloat16EEESt5tupleIJNSH_6TensorESO_SO_EERKSO_lbbbEUlllE0_EEPmJS6_EEE10hipError_tPvRmT3_T4_T5_T6_T7_T9_mT8_P12ihipStream_tbDpT10_ENKUlT_T0_E_clISt17integral_constantIbLb1EES1E_EEDaS19_S1A_EUlS19_E_NS1_11comp_targetILNS1_3genE4ELNS1_11target_archE910ELNS1_3gpuE8ELNS1_3repE0EEENS1_30default_config_static_selectorELNS0_4arch9wavefront6targetE1EEEvT1_,comdat
.Lfunc_end1184:
	.size	_ZN7rocprim17ROCPRIM_400000_NS6detail17trampoline_kernelINS0_14default_configENS1_25partition_config_selectorILNS1_17partition_subalgoE8ElNS0_10empty_typeEbEEZZNS1_14partition_implILS5_8ELb0ES3_jPlPS6_PKS6_NS0_5tupleIJS9_S6_EEENSD_IJSA_SA_EEENS0_18inequality_wrapperIZN2at6native12_GLOBAL__N_124unique_dim_cuda_templateIN3c108BFloat16EEESt5tupleIJNSH_6TensorESO_SO_EERKSO_lbbbEUlllE0_EEPmJS6_EEE10hipError_tPvRmT3_T4_T5_T6_T7_T9_mT8_P12ihipStream_tbDpT10_ENKUlT_T0_E_clISt17integral_constantIbLb1EES1E_EEDaS19_S1A_EUlS19_E_NS1_11comp_targetILNS1_3genE4ELNS1_11target_archE910ELNS1_3gpuE8ELNS1_3repE0EEENS1_30default_config_static_selectorELNS0_4arch9wavefront6targetE1EEEvT1_, .Lfunc_end1184-_ZN7rocprim17ROCPRIM_400000_NS6detail17trampoline_kernelINS0_14default_configENS1_25partition_config_selectorILNS1_17partition_subalgoE8ElNS0_10empty_typeEbEEZZNS1_14partition_implILS5_8ELb0ES3_jPlPS6_PKS6_NS0_5tupleIJS9_S6_EEENSD_IJSA_SA_EEENS0_18inequality_wrapperIZN2at6native12_GLOBAL__N_124unique_dim_cuda_templateIN3c108BFloat16EEESt5tupleIJNSH_6TensorESO_SO_EERKSO_lbbbEUlllE0_EEPmJS6_EEE10hipError_tPvRmT3_T4_T5_T6_T7_T9_mT8_P12ihipStream_tbDpT10_ENKUlT_T0_E_clISt17integral_constantIbLb1EES1E_EEDaS19_S1A_EUlS19_E_NS1_11comp_targetILNS1_3genE4ELNS1_11target_archE910ELNS1_3gpuE8ELNS1_3repE0EEENS1_30default_config_static_selectorELNS0_4arch9wavefront6targetE1EEEvT1_
                                        ; -- End function
	.set _ZN7rocprim17ROCPRIM_400000_NS6detail17trampoline_kernelINS0_14default_configENS1_25partition_config_selectorILNS1_17partition_subalgoE8ElNS0_10empty_typeEbEEZZNS1_14partition_implILS5_8ELb0ES3_jPlPS6_PKS6_NS0_5tupleIJS9_S6_EEENSD_IJSA_SA_EEENS0_18inequality_wrapperIZN2at6native12_GLOBAL__N_124unique_dim_cuda_templateIN3c108BFloat16EEESt5tupleIJNSH_6TensorESO_SO_EERKSO_lbbbEUlllE0_EEPmJS6_EEE10hipError_tPvRmT3_T4_T5_T6_T7_T9_mT8_P12ihipStream_tbDpT10_ENKUlT_T0_E_clISt17integral_constantIbLb1EES1E_EEDaS19_S1A_EUlS19_E_NS1_11comp_targetILNS1_3genE4ELNS1_11target_archE910ELNS1_3gpuE8ELNS1_3repE0EEENS1_30default_config_static_selectorELNS0_4arch9wavefront6targetE1EEEvT1_.num_vgpr, 0
	.set _ZN7rocprim17ROCPRIM_400000_NS6detail17trampoline_kernelINS0_14default_configENS1_25partition_config_selectorILNS1_17partition_subalgoE8ElNS0_10empty_typeEbEEZZNS1_14partition_implILS5_8ELb0ES3_jPlPS6_PKS6_NS0_5tupleIJS9_S6_EEENSD_IJSA_SA_EEENS0_18inequality_wrapperIZN2at6native12_GLOBAL__N_124unique_dim_cuda_templateIN3c108BFloat16EEESt5tupleIJNSH_6TensorESO_SO_EERKSO_lbbbEUlllE0_EEPmJS6_EEE10hipError_tPvRmT3_T4_T5_T6_T7_T9_mT8_P12ihipStream_tbDpT10_ENKUlT_T0_E_clISt17integral_constantIbLb1EES1E_EEDaS19_S1A_EUlS19_E_NS1_11comp_targetILNS1_3genE4ELNS1_11target_archE910ELNS1_3gpuE8ELNS1_3repE0EEENS1_30default_config_static_selectorELNS0_4arch9wavefront6targetE1EEEvT1_.num_agpr, 0
	.set _ZN7rocprim17ROCPRIM_400000_NS6detail17trampoline_kernelINS0_14default_configENS1_25partition_config_selectorILNS1_17partition_subalgoE8ElNS0_10empty_typeEbEEZZNS1_14partition_implILS5_8ELb0ES3_jPlPS6_PKS6_NS0_5tupleIJS9_S6_EEENSD_IJSA_SA_EEENS0_18inequality_wrapperIZN2at6native12_GLOBAL__N_124unique_dim_cuda_templateIN3c108BFloat16EEESt5tupleIJNSH_6TensorESO_SO_EERKSO_lbbbEUlllE0_EEPmJS6_EEE10hipError_tPvRmT3_T4_T5_T6_T7_T9_mT8_P12ihipStream_tbDpT10_ENKUlT_T0_E_clISt17integral_constantIbLb1EES1E_EEDaS19_S1A_EUlS19_E_NS1_11comp_targetILNS1_3genE4ELNS1_11target_archE910ELNS1_3gpuE8ELNS1_3repE0EEENS1_30default_config_static_selectorELNS0_4arch9wavefront6targetE1EEEvT1_.numbered_sgpr, 0
	.set _ZN7rocprim17ROCPRIM_400000_NS6detail17trampoline_kernelINS0_14default_configENS1_25partition_config_selectorILNS1_17partition_subalgoE8ElNS0_10empty_typeEbEEZZNS1_14partition_implILS5_8ELb0ES3_jPlPS6_PKS6_NS0_5tupleIJS9_S6_EEENSD_IJSA_SA_EEENS0_18inequality_wrapperIZN2at6native12_GLOBAL__N_124unique_dim_cuda_templateIN3c108BFloat16EEESt5tupleIJNSH_6TensorESO_SO_EERKSO_lbbbEUlllE0_EEPmJS6_EEE10hipError_tPvRmT3_T4_T5_T6_T7_T9_mT8_P12ihipStream_tbDpT10_ENKUlT_T0_E_clISt17integral_constantIbLb1EES1E_EEDaS19_S1A_EUlS19_E_NS1_11comp_targetILNS1_3genE4ELNS1_11target_archE910ELNS1_3gpuE8ELNS1_3repE0EEENS1_30default_config_static_selectorELNS0_4arch9wavefront6targetE1EEEvT1_.num_named_barrier, 0
	.set _ZN7rocprim17ROCPRIM_400000_NS6detail17trampoline_kernelINS0_14default_configENS1_25partition_config_selectorILNS1_17partition_subalgoE8ElNS0_10empty_typeEbEEZZNS1_14partition_implILS5_8ELb0ES3_jPlPS6_PKS6_NS0_5tupleIJS9_S6_EEENSD_IJSA_SA_EEENS0_18inequality_wrapperIZN2at6native12_GLOBAL__N_124unique_dim_cuda_templateIN3c108BFloat16EEESt5tupleIJNSH_6TensorESO_SO_EERKSO_lbbbEUlllE0_EEPmJS6_EEE10hipError_tPvRmT3_T4_T5_T6_T7_T9_mT8_P12ihipStream_tbDpT10_ENKUlT_T0_E_clISt17integral_constantIbLb1EES1E_EEDaS19_S1A_EUlS19_E_NS1_11comp_targetILNS1_3genE4ELNS1_11target_archE910ELNS1_3gpuE8ELNS1_3repE0EEENS1_30default_config_static_selectorELNS0_4arch9wavefront6targetE1EEEvT1_.private_seg_size, 0
	.set _ZN7rocprim17ROCPRIM_400000_NS6detail17trampoline_kernelINS0_14default_configENS1_25partition_config_selectorILNS1_17partition_subalgoE8ElNS0_10empty_typeEbEEZZNS1_14partition_implILS5_8ELb0ES3_jPlPS6_PKS6_NS0_5tupleIJS9_S6_EEENSD_IJSA_SA_EEENS0_18inequality_wrapperIZN2at6native12_GLOBAL__N_124unique_dim_cuda_templateIN3c108BFloat16EEESt5tupleIJNSH_6TensorESO_SO_EERKSO_lbbbEUlllE0_EEPmJS6_EEE10hipError_tPvRmT3_T4_T5_T6_T7_T9_mT8_P12ihipStream_tbDpT10_ENKUlT_T0_E_clISt17integral_constantIbLb1EES1E_EEDaS19_S1A_EUlS19_E_NS1_11comp_targetILNS1_3genE4ELNS1_11target_archE910ELNS1_3gpuE8ELNS1_3repE0EEENS1_30default_config_static_selectorELNS0_4arch9wavefront6targetE1EEEvT1_.uses_vcc, 0
	.set _ZN7rocprim17ROCPRIM_400000_NS6detail17trampoline_kernelINS0_14default_configENS1_25partition_config_selectorILNS1_17partition_subalgoE8ElNS0_10empty_typeEbEEZZNS1_14partition_implILS5_8ELb0ES3_jPlPS6_PKS6_NS0_5tupleIJS9_S6_EEENSD_IJSA_SA_EEENS0_18inequality_wrapperIZN2at6native12_GLOBAL__N_124unique_dim_cuda_templateIN3c108BFloat16EEESt5tupleIJNSH_6TensorESO_SO_EERKSO_lbbbEUlllE0_EEPmJS6_EEE10hipError_tPvRmT3_T4_T5_T6_T7_T9_mT8_P12ihipStream_tbDpT10_ENKUlT_T0_E_clISt17integral_constantIbLb1EES1E_EEDaS19_S1A_EUlS19_E_NS1_11comp_targetILNS1_3genE4ELNS1_11target_archE910ELNS1_3gpuE8ELNS1_3repE0EEENS1_30default_config_static_selectorELNS0_4arch9wavefront6targetE1EEEvT1_.uses_flat_scratch, 0
	.set _ZN7rocprim17ROCPRIM_400000_NS6detail17trampoline_kernelINS0_14default_configENS1_25partition_config_selectorILNS1_17partition_subalgoE8ElNS0_10empty_typeEbEEZZNS1_14partition_implILS5_8ELb0ES3_jPlPS6_PKS6_NS0_5tupleIJS9_S6_EEENSD_IJSA_SA_EEENS0_18inequality_wrapperIZN2at6native12_GLOBAL__N_124unique_dim_cuda_templateIN3c108BFloat16EEESt5tupleIJNSH_6TensorESO_SO_EERKSO_lbbbEUlllE0_EEPmJS6_EEE10hipError_tPvRmT3_T4_T5_T6_T7_T9_mT8_P12ihipStream_tbDpT10_ENKUlT_T0_E_clISt17integral_constantIbLb1EES1E_EEDaS19_S1A_EUlS19_E_NS1_11comp_targetILNS1_3genE4ELNS1_11target_archE910ELNS1_3gpuE8ELNS1_3repE0EEENS1_30default_config_static_selectorELNS0_4arch9wavefront6targetE1EEEvT1_.has_dyn_sized_stack, 0
	.set _ZN7rocprim17ROCPRIM_400000_NS6detail17trampoline_kernelINS0_14default_configENS1_25partition_config_selectorILNS1_17partition_subalgoE8ElNS0_10empty_typeEbEEZZNS1_14partition_implILS5_8ELb0ES3_jPlPS6_PKS6_NS0_5tupleIJS9_S6_EEENSD_IJSA_SA_EEENS0_18inequality_wrapperIZN2at6native12_GLOBAL__N_124unique_dim_cuda_templateIN3c108BFloat16EEESt5tupleIJNSH_6TensorESO_SO_EERKSO_lbbbEUlllE0_EEPmJS6_EEE10hipError_tPvRmT3_T4_T5_T6_T7_T9_mT8_P12ihipStream_tbDpT10_ENKUlT_T0_E_clISt17integral_constantIbLb1EES1E_EEDaS19_S1A_EUlS19_E_NS1_11comp_targetILNS1_3genE4ELNS1_11target_archE910ELNS1_3gpuE8ELNS1_3repE0EEENS1_30default_config_static_selectorELNS0_4arch9wavefront6targetE1EEEvT1_.has_recursion, 0
	.set _ZN7rocprim17ROCPRIM_400000_NS6detail17trampoline_kernelINS0_14default_configENS1_25partition_config_selectorILNS1_17partition_subalgoE8ElNS0_10empty_typeEbEEZZNS1_14partition_implILS5_8ELb0ES3_jPlPS6_PKS6_NS0_5tupleIJS9_S6_EEENSD_IJSA_SA_EEENS0_18inequality_wrapperIZN2at6native12_GLOBAL__N_124unique_dim_cuda_templateIN3c108BFloat16EEESt5tupleIJNSH_6TensorESO_SO_EERKSO_lbbbEUlllE0_EEPmJS6_EEE10hipError_tPvRmT3_T4_T5_T6_T7_T9_mT8_P12ihipStream_tbDpT10_ENKUlT_T0_E_clISt17integral_constantIbLb1EES1E_EEDaS19_S1A_EUlS19_E_NS1_11comp_targetILNS1_3genE4ELNS1_11target_archE910ELNS1_3gpuE8ELNS1_3repE0EEENS1_30default_config_static_selectorELNS0_4arch9wavefront6targetE1EEEvT1_.has_indirect_call, 0
	.section	.AMDGPU.csdata,"",@progbits
; Kernel info:
; codeLenInByte = 0
; TotalNumSgprs: 6
; NumVgprs: 0
; NumAgprs: 0
; TotalNumVgprs: 0
; ScratchSize: 0
; MemoryBound: 0
; FloatMode: 240
; IeeeMode: 1
; LDSByteSize: 0 bytes/workgroup (compile time only)
; SGPRBlocks: 0
; VGPRBlocks: 0
; NumSGPRsForWavesPerEU: 6
; NumVGPRsForWavesPerEU: 1
; AccumOffset: 4
; Occupancy: 8
; WaveLimiterHint : 0
; COMPUTE_PGM_RSRC2:SCRATCH_EN: 0
; COMPUTE_PGM_RSRC2:USER_SGPR: 2
; COMPUTE_PGM_RSRC2:TRAP_HANDLER: 0
; COMPUTE_PGM_RSRC2:TGID_X_EN: 1
; COMPUTE_PGM_RSRC2:TGID_Y_EN: 0
; COMPUTE_PGM_RSRC2:TGID_Z_EN: 0
; COMPUTE_PGM_RSRC2:TIDIG_COMP_CNT: 0
; COMPUTE_PGM_RSRC3_GFX90A:ACCUM_OFFSET: 0
; COMPUTE_PGM_RSRC3_GFX90A:TG_SPLIT: 0
	.section	.text._ZN7rocprim17ROCPRIM_400000_NS6detail17trampoline_kernelINS0_14default_configENS1_25partition_config_selectorILNS1_17partition_subalgoE8ElNS0_10empty_typeEbEEZZNS1_14partition_implILS5_8ELb0ES3_jPlPS6_PKS6_NS0_5tupleIJS9_S6_EEENSD_IJSA_SA_EEENS0_18inequality_wrapperIZN2at6native12_GLOBAL__N_124unique_dim_cuda_templateIN3c108BFloat16EEESt5tupleIJNSH_6TensorESO_SO_EERKSO_lbbbEUlllE0_EEPmJS6_EEE10hipError_tPvRmT3_T4_T5_T6_T7_T9_mT8_P12ihipStream_tbDpT10_ENKUlT_T0_E_clISt17integral_constantIbLb1EES1E_EEDaS19_S1A_EUlS19_E_NS1_11comp_targetILNS1_3genE3ELNS1_11target_archE908ELNS1_3gpuE7ELNS1_3repE0EEENS1_30default_config_static_selectorELNS0_4arch9wavefront6targetE1EEEvT1_,"axG",@progbits,_ZN7rocprim17ROCPRIM_400000_NS6detail17trampoline_kernelINS0_14default_configENS1_25partition_config_selectorILNS1_17partition_subalgoE8ElNS0_10empty_typeEbEEZZNS1_14partition_implILS5_8ELb0ES3_jPlPS6_PKS6_NS0_5tupleIJS9_S6_EEENSD_IJSA_SA_EEENS0_18inequality_wrapperIZN2at6native12_GLOBAL__N_124unique_dim_cuda_templateIN3c108BFloat16EEESt5tupleIJNSH_6TensorESO_SO_EERKSO_lbbbEUlllE0_EEPmJS6_EEE10hipError_tPvRmT3_T4_T5_T6_T7_T9_mT8_P12ihipStream_tbDpT10_ENKUlT_T0_E_clISt17integral_constantIbLb1EES1E_EEDaS19_S1A_EUlS19_E_NS1_11comp_targetILNS1_3genE3ELNS1_11target_archE908ELNS1_3gpuE7ELNS1_3repE0EEENS1_30default_config_static_selectorELNS0_4arch9wavefront6targetE1EEEvT1_,comdat
	.globl	_ZN7rocprim17ROCPRIM_400000_NS6detail17trampoline_kernelINS0_14default_configENS1_25partition_config_selectorILNS1_17partition_subalgoE8ElNS0_10empty_typeEbEEZZNS1_14partition_implILS5_8ELb0ES3_jPlPS6_PKS6_NS0_5tupleIJS9_S6_EEENSD_IJSA_SA_EEENS0_18inequality_wrapperIZN2at6native12_GLOBAL__N_124unique_dim_cuda_templateIN3c108BFloat16EEESt5tupleIJNSH_6TensorESO_SO_EERKSO_lbbbEUlllE0_EEPmJS6_EEE10hipError_tPvRmT3_T4_T5_T6_T7_T9_mT8_P12ihipStream_tbDpT10_ENKUlT_T0_E_clISt17integral_constantIbLb1EES1E_EEDaS19_S1A_EUlS19_E_NS1_11comp_targetILNS1_3genE3ELNS1_11target_archE908ELNS1_3gpuE7ELNS1_3repE0EEENS1_30default_config_static_selectorELNS0_4arch9wavefront6targetE1EEEvT1_ ; -- Begin function _ZN7rocprim17ROCPRIM_400000_NS6detail17trampoline_kernelINS0_14default_configENS1_25partition_config_selectorILNS1_17partition_subalgoE8ElNS0_10empty_typeEbEEZZNS1_14partition_implILS5_8ELb0ES3_jPlPS6_PKS6_NS0_5tupleIJS9_S6_EEENSD_IJSA_SA_EEENS0_18inequality_wrapperIZN2at6native12_GLOBAL__N_124unique_dim_cuda_templateIN3c108BFloat16EEESt5tupleIJNSH_6TensorESO_SO_EERKSO_lbbbEUlllE0_EEPmJS6_EEE10hipError_tPvRmT3_T4_T5_T6_T7_T9_mT8_P12ihipStream_tbDpT10_ENKUlT_T0_E_clISt17integral_constantIbLb1EES1E_EEDaS19_S1A_EUlS19_E_NS1_11comp_targetILNS1_3genE3ELNS1_11target_archE908ELNS1_3gpuE7ELNS1_3repE0EEENS1_30default_config_static_selectorELNS0_4arch9wavefront6targetE1EEEvT1_
	.p2align	8
	.type	_ZN7rocprim17ROCPRIM_400000_NS6detail17trampoline_kernelINS0_14default_configENS1_25partition_config_selectorILNS1_17partition_subalgoE8ElNS0_10empty_typeEbEEZZNS1_14partition_implILS5_8ELb0ES3_jPlPS6_PKS6_NS0_5tupleIJS9_S6_EEENSD_IJSA_SA_EEENS0_18inequality_wrapperIZN2at6native12_GLOBAL__N_124unique_dim_cuda_templateIN3c108BFloat16EEESt5tupleIJNSH_6TensorESO_SO_EERKSO_lbbbEUlllE0_EEPmJS6_EEE10hipError_tPvRmT3_T4_T5_T6_T7_T9_mT8_P12ihipStream_tbDpT10_ENKUlT_T0_E_clISt17integral_constantIbLb1EES1E_EEDaS19_S1A_EUlS19_E_NS1_11comp_targetILNS1_3genE3ELNS1_11target_archE908ELNS1_3gpuE7ELNS1_3repE0EEENS1_30default_config_static_selectorELNS0_4arch9wavefront6targetE1EEEvT1_,@function
_ZN7rocprim17ROCPRIM_400000_NS6detail17trampoline_kernelINS0_14default_configENS1_25partition_config_selectorILNS1_17partition_subalgoE8ElNS0_10empty_typeEbEEZZNS1_14partition_implILS5_8ELb0ES3_jPlPS6_PKS6_NS0_5tupleIJS9_S6_EEENSD_IJSA_SA_EEENS0_18inequality_wrapperIZN2at6native12_GLOBAL__N_124unique_dim_cuda_templateIN3c108BFloat16EEESt5tupleIJNSH_6TensorESO_SO_EERKSO_lbbbEUlllE0_EEPmJS6_EEE10hipError_tPvRmT3_T4_T5_T6_T7_T9_mT8_P12ihipStream_tbDpT10_ENKUlT_T0_E_clISt17integral_constantIbLb1EES1E_EEDaS19_S1A_EUlS19_E_NS1_11comp_targetILNS1_3genE3ELNS1_11target_archE908ELNS1_3gpuE7ELNS1_3repE0EEENS1_30default_config_static_selectorELNS0_4arch9wavefront6targetE1EEEvT1_: ; @_ZN7rocprim17ROCPRIM_400000_NS6detail17trampoline_kernelINS0_14default_configENS1_25partition_config_selectorILNS1_17partition_subalgoE8ElNS0_10empty_typeEbEEZZNS1_14partition_implILS5_8ELb0ES3_jPlPS6_PKS6_NS0_5tupleIJS9_S6_EEENSD_IJSA_SA_EEENS0_18inequality_wrapperIZN2at6native12_GLOBAL__N_124unique_dim_cuda_templateIN3c108BFloat16EEESt5tupleIJNSH_6TensorESO_SO_EERKSO_lbbbEUlllE0_EEPmJS6_EEE10hipError_tPvRmT3_T4_T5_T6_T7_T9_mT8_P12ihipStream_tbDpT10_ENKUlT_T0_E_clISt17integral_constantIbLb1EES1E_EEDaS19_S1A_EUlS19_E_NS1_11comp_targetILNS1_3genE3ELNS1_11target_archE908ELNS1_3gpuE7ELNS1_3repE0EEENS1_30default_config_static_selectorELNS0_4arch9wavefront6targetE1EEEvT1_
; %bb.0:
	.section	.rodata,"a",@progbits
	.p2align	6, 0x0
	.amdhsa_kernel _ZN7rocprim17ROCPRIM_400000_NS6detail17trampoline_kernelINS0_14default_configENS1_25partition_config_selectorILNS1_17partition_subalgoE8ElNS0_10empty_typeEbEEZZNS1_14partition_implILS5_8ELb0ES3_jPlPS6_PKS6_NS0_5tupleIJS9_S6_EEENSD_IJSA_SA_EEENS0_18inequality_wrapperIZN2at6native12_GLOBAL__N_124unique_dim_cuda_templateIN3c108BFloat16EEESt5tupleIJNSH_6TensorESO_SO_EERKSO_lbbbEUlllE0_EEPmJS6_EEE10hipError_tPvRmT3_T4_T5_T6_T7_T9_mT8_P12ihipStream_tbDpT10_ENKUlT_T0_E_clISt17integral_constantIbLb1EES1E_EEDaS19_S1A_EUlS19_E_NS1_11comp_targetILNS1_3genE3ELNS1_11target_archE908ELNS1_3gpuE7ELNS1_3repE0EEENS1_30default_config_static_selectorELNS0_4arch9wavefront6targetE1EEEvT1_
		.amdhsa_group_segment_fixed_size 0
		.amdhsa_private_segment_fixed_size 0
		.amdhsa_kernarg_size 136
		.amdhsa_user_sgpr_count 2
		.amdhsa_user_sgpr_dispatch_ptr 0
		.amdhsa_user_sgpr_queue_ptr 0
		.amdhsa_user_sgpr_kernarg_segment_ptr 1
		.amdhsa_user_sgpr_dispatch_id 0
		.amdhsa_user_sgpr_kernarg_preload_length 0
		.amdhsa_user_sgpr_kernarg_preload_offset 0
		.amdhsa_user_sgpr_private_segment_size 0
		.amdhsa_uses_dynamic_stack 0
		.amdhsa_enable_private_segment 0
		.amdhsa_system_sgpr_workgroup_id_x 1
		.amdhsa_system_sgpr_workgroup_id_y 0
		.amdhsa_system_sgpr_workgroup_id_z 0
		.amdhsa_system_sgpr_workgroup_info 0
		.amdhsa_system_vgpr_workitem_id 0
		.amdhsa_next_free_vgpr 1
		.amdhsa_next_free_sgpr 0
		.amdhsa_accum_offset 4
		.amdhsa_reserve_vcc 0
		.amdhsa_float_round_mode_32 0
		.amdhsa_float_round_mode_16_64 0
		.amdhsa_float_denorm_mode_32 3
		.amdhsa_float_denorm_mode_16_64 3
		.amdhsa_dx10_clamp 1
		.amdhsa_ieee_mode 1
		.amdhsa_fp16_overflow 0
		.amdhsa_tg_split 0
		.amdhsa_exception_fp_ieee_invalid_op 0
		.amdhsa_exception_fp_denorm_src 0
		.amdhsa_exception_fp_ieee_div_zero 0
		.amdhsa_exception_fp_ieee_overflow 0
		.amdhsa_exception_fp_ieee_underflow 0
		.amdhsa_exception_fp_ieee_inexact 0
		.amdhsa_exception_int_div_zero 0
	.end_amdhsa_kernel
	.section	.text._ZN7rocprim17ROCPRIM_400000_NS6detail17trampoline_kernelINS0_14default_configENS1_25partition_config_selectorILNS1_17partition_subalgoE8ElNS0_10empty_typeEbEEZZNS1_14partition_implILS5_8ELb0ES3_jPlPS6_PKS6_NS0_5tupleIJS9_S6_EEENSD_IJSA_SA_EEENS0_18inequality_wrapperIZN2at6native12_GLOBAL__N_124unique_dim_cuda_templateIN3c108BFloat16EEESt5tupleIJNSH_6TensorESO_SO_EERKSO_lbbbEUlllE0_EEPmJS6_EEE10hipError_tPvRmT3_T4_T5_T6_T7_T9_mT8_P12ihipStream_tbDpT10_ENKUlT_T0_E_clISt17integral_constantIbLb1EES1E_EEDaS19_S1A_EUlS19_E_NS1_11comp_targetILNS1_3genE3ELNS1_11target_archE908ELNS1_3gpuE7ELNS1_3repE0EEENS1_30default_config_static_selectorELNS0_4arch9wavefront6targetE1EEEvT1_,"axG",@progbits,_ZN7rocprim17ROCPRIM_400000_NS6detail17trampoline_kernelINS0_14default_configENS1_25partition_config_selectorILNS1_17partition_subalgoE8ElNS0_10empty_typeEbEEZZNS1_14partition_implILS5_8ELb0ES3_jPlPS6_PKS6_NS0_5tupleIJS9_S6_EEENSD_IJSA_SA_EEENS0_18inequality_wrapperIZN2at6native12_GLOBAL__N_124unique_dim_cuda_templateIN3c108BFloat16EEESt5tupleIJNSH_6TensorESO_SO_EERKSO_lbbbEUlllE0_EEPmJS6_EEE10hipError_tPvRmT3_T4_T5_T6_T7_T9_mT8_P12ihipStream_tbDpT10_ENKUlT_T0_E_clISt17integral_constantIbLb1EES1E_EEDaS19_S1A_EUlS19_E_NS1_11comp_targetILNS1_3genE3ELNS1_11target_archE908ELNS1_3gpuE7ELNS1_3repE0EEENS1_30default_config_static_selectorELNS0_4arch9wavefront6targetE1EEEvT1_,comdat
.Lfunc_end1185:
	.size	_ZN7rocprim17ROCPRIM_400000_NS6detail17trampoline_kernelINS0_14default_configENS1_25partition_config_selectorILNS1_17partition_subalgoE8ElNS0_10empty_typeEbEEZZNS1_14partition_implILS5_8ELb0ES3_jPlPS6_PKS6_NS0_5tupleIJS9_S6_EEENSD_IJSA_SA_EEENS0_18inequality_wrapperIZN2at6native12_GLOBAL__N_124unique_dim_cuda_templateIN3c108BFloat16EEESt5tupleIJNSH_6TensorESO_SO_EERKSO_lbbbEUlllE0_EEPmJS6_EEE10hipError_tPvRmT3_T4_T5_T6_T7_T9_mT8_P12ihipStream_tbDpT10_ENKUlT_T0_E_clISt17integral_constantIbLb1EES1E_EEDaS19_S1A_EUlS19_E_NS1_11comp_targetILNS1_3genE3ELNS1_11target_archE908ELNS1_3gpuE7ELNS1_3repE0EEENS1_30default_config_static_selectorELNS0_4arch9wavefront6targetE1EEEvT1_, .Lfunc_end1185-_ZN7rocprim17ROCPRIM_400000_NS6detail17trampoline_kernelINS0_14default_configENS1_25partition_config_selectorILNS1_17partition_subalgoE8ElNS0_10empty_typeEbEEZZNS1_14partition_implILS5_8ELb0ES3_jPlPS6_PKS6_NS0_5tupleIJS9_S6_EEENSD_IJSA_SA_EEENS0_18inequality_wrapperIZN2at6native12_GLOBAL__N_124unique_dim_cuda_templateIN3c108BFloat16EEESt5tupleIJNSH_6TensorESO_SO_EERKSO_lbbbEUlllE0_EEPmJS6_EEE10hipError_tPvRmT3_T4_T5_T6_T7_T9_mT8_P12ihipStream_tbDpT10_ENKUlT_T0_E_clISt17integral_constantIbLb1EES1E_EEDaS19_S1A_EUlS19_E_NS1_11comp_targetILNS1_3genE3ELNS1_11target_archE908ELNS1_3gpuE7ELNS1_3repE0EEENS1_30default_config_static_selectorELNS0_4arch9wavefront6targetE1EEEvT1_
                                        ; -- End function
	.set _ZN7rocprim17ROCPRIM_400000_NS6detail17trampoline_kernelINS0_14default_configENS1_25partition_config_selectorILNS1_17partition_subalgoE8ElNS0_10empty_typeEbEEZZNS1_14partition_implILS5_8ELb0ES3_jPlPS6_PKS6_NS0_5tupleIJS9_S6_EEENSD_IJSA_SA_EEENS0_18inequality_wrapperIZN2at6native12_GLOBAL__N_124unique_dim_cuda_templateIN3c108BFloat16EEESt5tupleIJNSH_6TensorESO_SO_EERKSO_lbbbEUlllE0_EEPmJS6_EEE10hipError_tPvRmT3_T4_T5_T6_T7_T9_mT8_P12ihipStream_tbDpT10_ENKUlT_T0_E_clISt17integral_constantIbLb1EES1E_EEDaS19_S1A_EUlS19_E_NS1_11comp_targetILNS1_3genE3ELNS1_11target_archE908ELNS1_3gpuE7ELNS1_3repE0EEENS1_30default_config_static_selectorELNS0_4arch9wavefront6targetE1EEEvT1_.num_vgpr, 0
	.set _ZN7rocprim17ROCPRIM_400000_NS6detail17trampoline_kernelINS0_14default_configENS1_25partition_config_selectorILNS1_17partition_subalgoE8ElNS0_10empty_typeEbEEZZNS1_14partition_implILS5_8ELb0ES3_jPlPS6_PKS6_NS0_5tupleIJS9_S6_EEENSD_IJSA_SA_EEENS0_18inequality_wrapperIZN2at6native12_GLOBAL__N_124unique_dim_cuda_templateIN3c108BFloat16EEESt5tupleIJNSH_6TensorESO_SO_EERKSO_lbbbEUlllE0_EEPmJS6_EEE10hipError_tPvRmT3_T4_T5_T6_T7_T9_mT8_P12ihipStream_tbDpT10_ENKUlT_T0_E_clISt17integral_constantIbLb1EES1E_EEDaS19_S1A_EUlS19_E_NS1_11comp_targetILNS1_3genE3ELNS1_11target_archE908ELNS1_3gpuE7ELNS1_3repE0EEENS1_30default_config_static_selectorELNS0_4arch9wavefront6targetE1EEEvT1_.num_agpr, 0
	.set _ZN7rocprim17ROCPRIM_400000_NS6detail17trampoline_kernelINS0_14default_configENS1_25partition_config_selectorILNS1_17partition_subalgoE8ElNS0_10empty_typeEbEEZZNS1_14partition_implILS5_8ELb0ES3_jPlPS6_PKS6_NS0_5tupleIJS9_S6_EEENSD_IJSA_SA_EEENS0_18inequality_wrapperIZN2at6native12_GLOBAL__N_124unique_dim_cuda_templateIN3c108BFloat16EEESt5tupleIJNSH_6TensorESO_SO_EERKSO_lbbbEUlllE0_EEPmJS6_EEE10hipError_tPvRmT3_T4_T5_T6_T7_T9_mT8_P12ihipStream_tbDpT10_ENKUlT_T0_E_clISt17integral_constantIbLb1EES1E_EEDaS19_S1A_EUlS19_E_NS1_11comp_targetILNS1_3genE3ELNS1_11target_archE908ELNS1_3gpuE7ELNS1_3repE0EEENS1_30default_config_static_selectorELNS0_4arch9wavefront6targetE1EEEvT1_.numbered_sgpr, 0
	.set _ZN7rocprim17ROCPRIM_400000_NS6detail17trampoline_kernelINS0_14default_configENS1_25partition_config_selectorILNS1_17partition_subalgoE8ElNS0_10empty_typeEbEEZZNS1_14partition_implILS5_8ELb0ES3_jPlPS6_PKS6_NS0_5tupleIJS9_S6_EEENSD_IJSA_SA_EEENS0_18inequality_wrapperIZN2at6native12_GLOBAL__N_124unique_dim_cuda_templateIN3c108BFloat16EEESt5tupleIJNSH_6TensorESO_SO_EERKSO_lbbbEUlllE0_EEPmJS6_EEE10hipError_tPvRmT3_T4_T5_T6_T7_T9_mT8_P12ihipStream_tbDpT10_ENKUlT_T0_E_clISt17integral_constantIbLb1EES1E_EEDaS19_S1A_EUlS19_E_NS1_11comp_targetILNS1_3genE3ELNS1_11target_archE908ELNS1_3gpuE7ELNS1_3repE0EEENS1_30default_config_static_selectorELNS0_4arch9wavefront6targetE1EEEvT1_.num_named_barrier, 0
	.set _ZN7rocprim17ROCPRIM_400000_NS6detail17trampoline_kernelINS0_14default_configENS1_25partition_config_selectorILNS1_17partition_subalgoE8ElNS0_10empty_typeEbEEZZNS1_14partition_implILS5_8ELb0ES3_jPlPS6_PKS6_NS0_5tupleIJS9_S6_EEENSD_IJSA_SA_EEENS0_18inequality_wrapperIZN2at6native12_GLOBAL__N_124unique_dim_cuda_templateIN3c108BFloat16EEESt5tupleIJNSH_6TensorESO_SO_EERKSO_lbbbEUlllE0_EEPmJS6_EEE10hipError_tPvRmT3_T4_T5_T6_T7_T9_mT8_P12ihipStream_tbDpT10_ENKUlT_T0_E_clISt17integral_constantIbLb1EES1E_EEDaS19_S1A_EUlS19_E_NS1_11comp_targetILNS1_3genE3ELNS1_11target_archE908ELNS1_3gpuE7ELNS1_3repE0EEENS1_30default_config_static_selectorELNS0_4arch9wavefront6targetE1EEEvT1_.private_seg_size, 0
	.set _ZN7rocprim17ROCPRIM_400000_NS6detail17trampoline_kernelINS0_14default_configENS1_25partition_config_selectorILNS1_17partition_subalgoE8ElNS0_10empty_typeEbEEZZNS1_14partition_implILS5_8ELb0ES3_jPlPS6_PKS6_NS0_5tupleIJS9_S6_EEENSD_IJSA_SA_EEENS0_18inequality_wrapperIZN2at6native12_GLOBAL__N_124unique_dim_cuda_templateIN3c108BFloat16EEESt5tupleIJNSH_6TensorESO_SO_EERKSO_lbbbEUlllE0_EEPmJS6_EEE10hipError_tPvRmT3_T4_T5_T6_T7_T9_mT8_P12ihipStream_tbDpT10_ENKUlT_T0_E_clISt17integral_constantIbLb1EES1E_EEDaS19_S1A_EUlS19_E_NS1_11comp_targetILNS1_3genE3ELNS1_11target_archE908ELNS1_3gpuE7ELNS1_3repE0EEENS1_30default_config_static_selectorELNS0_4arch9wavefront6targetE1EEEvT1_.uses_vcc, 0
	.set _ZN7rocprim17ROCPRIM_400000_NS6detail17trampoline_kernelINS0_14default_configENS1_25partition_config_selectorILNS1_17partition_subalgoE8ElNS0_10empty_typeEbEEZZNS1_14partition_implILS5_8ELb0ES3_jPlPS6_PKS6_NS0_5tupleIJS9_S6_EEENSD_IJSA_SA_EEENS0_18inequality_wrapperIZN2at6native12_GLOBAL__N_124unique_dim_cuda_templateIN3c108BFloat16EEESt5tupleIJNSH_6TensorESO_SO_EERKSO_lbbbEUlllE0_EEPmJS6_EEE10hipError_tPvRmT3_T4_T5_T6_T7_T9_mT8_P12ihipStream_tbDpT10_ENKUlT_T0_E_clISt17integral_constantIbLb1EES1E_EEDaS19_S1A_EUlS19_E_NS1_11comp_targetILNS1_3genE3ELNS1_11target_archE908ELNS1_3gpuE7ELNS1_3repE0EEENS1_30default_config_static_selectorELNS0_4arch9wavefront6targetE1EEEvT1_.uses_flat_scratch, 0
	.set _ZN7rocprim17ROCPRIM_400000_NS6detail17trampoline_kernelINS0_14default_configENS1_25partition_config_selectorILNS1_17partition_subalgoE8ElNS0_10empty_typeEbEEZZNS1_14partition_implILS5_8ELb0ES3_jPlPS6_PKS6_NS0_5tupleIJS9_S6_EEENSD_IJSA_SA_EEENS0_18inequality_wrapperIZN2at6native12_GLOBAL__N_124unique_dim_cuda_templateIN3c108BFloat16EEESt5tupleIJNSH_6TensorESO_SO_EERKSO_lbbbEUlllE0_EEPmJS6_EEE10hipError_tPvRmT3_T4_T5_T6_T7_T9_mT8_P12ihipStream_tbDpT10_ENKUlT_T0_E_clISt17integral_constantIbLb1EES1E_EEDaS19_S1A_EUlS19_E_NS1_11comp_targetILNS1_3genE3ELNS1_11target_archE908ELNS1_3gpuE7ELNS1_3repE0EEENS1_30default_config_static_selectorELNS0_4arch9wavefront6targetE1EEEvT1_.has_dyn_sized_stack, 0
	.set _ZN7rocprim17ROCPRIM_400000_NS6detail17trampoline_kernelINS0_14default_configENS1_25partition_config_selectorILNS1_17partition_subalgoE8ElNS0_10empty_typeEbEEZZNS1_14partition_implILS5_8ELb0ES3_jPlPS6_PKS6_NS0_5tupleIJS9_S6_EEENSD_IJSA_SA_EEENS0_18inequality_wrapperIZN2at6native12_GLOBAL__N_124unique_dim_cuda_templateIN3c108BFloat16EEESt5tupleIJNSH_6TensorESO_SO_EERKSO_lbbbEUlllE0_EEPmJS6_EEE10hipError_tPvRmT3_T4_T5_T6_T7_T9_mT8_P12ihipStream_tbDpT10_ENKUlT_T0_E_clISt17integral_constantIbLb1EES1E_EEDaS19_S1A_EUlS19_E_NS1_11comp_targetILNS1_3genE3ELNS1_11target_archE908ELNS1_3gpuE7ELNS1_3repE0EEENS1_30default_config_static_selectorELNS0_4arch9wavefront6targetE1EEEvT1_.has_recursion, 0
	.set _ZN7rocprim17ROCPRIM_400000_NS6detail17trampoline_kernelINS0_14default_configENS1_25partition_config_selectorILNS1_17partition_subalgoE8ElNS0_10empty_typeEbEEZZNS1_14partition_implILS5_8ELb0ES3_jPlPS6_PKS6_NS0_5tupleIJS9_S6_EEENSD_IJSA_SA_EEENS0_18inequality_wrapperIZN2at6native12_GLOBAL__N_124unique_dim_cuda_templateIN3c108BFloat16EEESt5tupleIJNSH_6TensorESO_SO_EERKSO_lbbbEUlllE0_EEPmJS6_EEE10hipError_tPvRmT3_T4_T5_T6_T7_T9_mT8_P12ihipStream_tbDpT10_ENKUlT_T0_E_clISt17integral_constantIbLb1EES1E_EEDaS19_S1A_EUlS19_E_NS1_11comp_targetILNS1_3genE3ELNS1_11target_archE908ELNS1_3gpuE7ELNS1_3repE0EEENS1_30default_config_static_selectorELNS0_4arch9wavefront6targetE1EEEvT1_.has_indirect_call, 0
	.section	.AMDGPU.csdata,"",@progbits
; Kernel info:
; codeLenInByte = 0
; TotalNumSgprs: 6
; NumVgprs: 0
; NumAgprs: 0
; TotalNumVgprs: 0
; ScratchSize: 0
; MemoryBound: 0
; FloatMode: 240
; IeeeMode: 1
; LDSByteSize: 0 bytes/workgroup (compile time only)
; SGPRBlocks: 0
; VGPRBlocks: 0
; NumSGPRsForWavesPerEU: 6
; NumVGPRsForWavesPerEU: 1
; AccumOffset: 4
; Occupancy: 8
; WaveLimiterHint : 0
; COMPUTE_PGM_RSRC2:SCRATCH_EN: 0
; COMPUTE_PGM_RSRC2:USER_SGPR: 2
; COMPUTE_PGM_RSRC2:TRAP_HANDLER: 0
; COMPUTE_PGM_RSRC2:TGID_X_EN: 1
; COMPUTE_PGM_RSRC2:TGID_Y_EN: 0
; COMPUTE_PGM_RSRC2:TGID_Z_EN: 0
; COMPUTE_PGM_RSRC2:TIDIG_COMP_CNT: 0
; COMPUTE_PGM_RSRC3_GFX90A:ACCUM_OFFSET: 0
; COMPUTE_PGM_RSRC3_GFX90A:TG_SPLIT: 0
	.section	.text._ZN7rocprim17ROCPRIM_400000_NS6detail17trampoline_kernelINS0_14default_configENS1_25partition_config_selectorILNS1_17partition_subalgoE8ElNS0_10empty_typeEbEEZZNS1_14partition_implILS5_8ELb0ES3_jPlPS6_PKS6_NS0_5tupleIJS9_S6_EEENSD_IJSA_SA_EEENS0_18inequality_wrapperIZN2at6native12_GLOBAL__N_124unique_dim_cuda_templateIN3c108BFloat16EEESt5tupleIJNSH_6TensorESO_SO_EERKSO_lbbbEUlllE0_EEPmJS6_EEE10hipError_tPvRmT3_T4_T5_T6_T7_T9_mT8_P12ihipStream_tbDpT10_ENKUlT_T0_E_clISt17integral_constantIbLb1EES1E_EEDaS19_S1A_EUlS19_E_NS1_11comp_targetILNS1_3genE2ELNS1_11target_archE906ELNS1_3gpuE6ELNS1_3repE0EEENS1_30default_config_static_selectorELNS0_4arch9wavefront6targetE1EEEvT1_,"axG",@progbits,_ZN7rocprim17ROCPRIM_400000_NS6detail17trampoline_kernelINS0_14default_configENS1_25partition_config_selectorILNS1_17partition_subalgoE8ElNS0_10empty_typeEbEEZZNS1_14partition_implILS5_8ELb0ES3_jPlPS6_PKS6_NS0_5tupleIJS9_S6_EEENSD_IJSA_SA_EEENS0_18inequality_wrapperIZN2at6native12_GLOBAL__N_124unique_dim_cuda_templateIN3c108BFloat16EEESt5tupleIJNSH_6TensorESO_SO_EERKSO_lbbbEUlllE0_EEPmJS6_EEE10hipError_tPvRmT3_T4_T5_T6_T7_T9_mT8_P12ihipStream_tbDpT10_ENKUlT_T0_E_clISt17integral_constantIbLb1EES1E_EEDaS19_S1A_EUlS19_E_NS1_11comp_targetILNS1_3genE2ELNS1_11target_archE906ELNS1_3gpuE6ELNS1_3repE0EEENS1_30default_config_static_selectorELNS0_4arch9wavefront6targetE1EEEvT1_,comdat
	.globl	_ZN7rocprim17ROCPRIM_400000_NS6detail17trampoline_kernelINS0_14default_configENS1_25partition_config_selectorILNS1_17partition_subalgoE8ElNS0_10empty_typeEbEEZZNS1_14partition_implILS5_8ELb0ES3_jPlPS6_PKS6_NS0_5tupleIJS9_S6_EEENSD_IJSA_SA_EEENS0_18inequality_wrapperIZN2at6native12_GLOBAL__N_124unique_dim_cuda_templateIN3c108BFloat16EEESt5tupleIJNSH_6TensorESO_SO_EERKSO_lbbbEUlllE0_EEPmJS6_EEE10hipError_tPvRmT3_T4_T5_T6_T7_T9_mT8_P12ihipStream_tbDpT10_ENKUlT_T0_E_clISt17integral_constantIbLb1EES1E_EEDaS19_S1A_EUlS19_E_NS1_11comp_targetILNS1_3genE2ELNS1_11target_archE906ELNS1_3gpuE6ELNS1_3repE0EEENS1_30default_config_static_selectorELNS0_4arch9wavefront6targetE1EEEvT1_ ; -- Begin function _ZN7rocprim17ROCPRIM_400000_NS6detail17trampoline_kernelINS0_14default_configENS1_25partition_config_selectorILNS1_17partition_subalgoE8ElNS0_10empty_typeEbEEZZNS1_14partition_implILS5_8ELb0ES3_jPlPS6_PKS6_NS0_5tupleIJS9_S6_EEENSD_IJSA_SA_EEENS0_18inequality_wrapperIZN2at6native12_GLOBAL__N_124unique_dim_cuda_templateIN3c108BFloat16EEESt5tupleIJNSH_6TensorESO_SO_EERKSO_lbbbEUlllE0_EEPmJS6_EEE10hipError_tPvRmT3_T4_T5_T6_T7_T9_mT8_P12ihipStream_tbDpT10_ENKUlT_T0_E_clISt17integral_constantIbLb1EES1E_EEDaS19_S1A_EUlS19_E_NS1_11comp_targetILNS1_3genE2ELNS1_11target_archE906ELNS1_3gpuE6ELNS1_3repE0EEENS1_30default_config_static_selectorELNS0_4arch9wavefront6targetE1EEEvT1_
	.p2align	8
	.type	_ZN7rocprim17ROCPRIM_400000_NS6detail17trampoline_kernelINS0_14default_configENS1_25partition_config_selectorILNS1_17partition_subalgoE8ElNS0_10empty_typeEbEEZZNS1_14partition_implILS5_8ELb0ES3_jPlPS6_PKS6_NS0_5tupleIJS9_S6_EEENSD_IJSA_SA_EEENS0_18inequality_wrapperIZN2at6native12_GLOBAL__N_124unique_dim_cuda_templateIN3c108BFloat16EEESt5tupleIJNSH_6TensorESO_SO_EERKSO_lbbbEUlllE0_EEPmJS6_EEE10hipError_tPvRmT3_T4_T5_T6_T7_T9_mT8_P12ihipStream_tbDpT10_ENKUlT_T0_E_clISt17integral_constantIbLb1EES1E_EEDaS19_S1A_EUlS19_E_NS1_11comp_targetILNS1_3genE2ELNS1_11target_archE906ELNS1_3gpuE6ELNS1_3repE0EEENS1_30default_config_static_selectorELNS0_4arch9wavefront6targetE1EEEvT1_,@function
_ZN7rocprim17ROCPRIM_400000_NS6detail17trampoline_kernelINS0_14default_configENS1_25partition_config_selectorILNS1_17partition_subalgoE8ElNS0_10empty_typeEbEEZZNS1_14partition_implILS5_8ELb0ES3_jPlPS6_PKS6_NS0_5tupleIJS9_S6_EEENSD_IJSA_SA_EEENS0_18inequality_wrapperIZN2at6native12_GLOBAL__N_124unique_dim_cuda_templateIN3c108BFloat16EEESt5tupleIJNSH_6TensorESO_SO_EERKSO_lbbbEUlllE0_EEPmJS6_EEE10hipError_tPvRmT3_T4_T5_T6_T7_T9_mT8_P12ihipStream_tbDpT10_ENKUlT_T0_E_clISt17integral_constantIbLb1EES1E_EEDaS19_S1A_EUlS19_E_NS1_11comp_targetILNS1_3genE2ELNS1_11target_archE906ELNS1_3gpuE6ELNS1_3repE0EEENS1_30default_config_static_selectorELNS0_4arch9wavefront6targetE1EEEvT1_: ; @_ZN7rocprim17ROCPRIM_400000_NS6detail17trampoline_kernelINS0_14default_configENS1_25partition_config_selectorILNS1_17partition_subalgoE8ElNS0_10empty_typeEbEEZZNS1_14partition_implILS5_8ELb0ES3_jPlPS6_PKS6_NS0_5tupleIJS9_S6_EEENSD_IJSA_SA_EEENS0_18inequality_wrapperIZN2at6native12_GLOBAL__N_124unique_dim_cuda_templateIN3c108BFloat16EEESt5tupleIJNSH_6TensorESO_SO_EERKSO_lbbbEUlllE0_EEPmJS6_EEE10hipError_tPvRmT3_T4_T5_T6_T7_T9_mT8_P12ihipStream_tbDpT10_ENKUlT_T0_E_clISt17integral_constantIbLb1EES1E_EEDaS19_S1A_EUlS19_E_NS1_11comp_targetILNS1_3genE2ELNS1_11target_archE906ELNS1_3gpuE6ELNS1_3repE0EEENS1_30default_config_static_selectorELNS0_4arch9wavefront6targetE1EEEvT1_
; %bb.0:
	.section	.rodata,"a",@progbits
	.p2align	6, 0x0
	.amdhsa_kernel _ZN7rocprim17ROCPRIM_400000_NS6detail17trampoline_kernelINS0_14default_configENS1_25partition_config_selectorILNS1_17partition_subalgoE8ElNS0_10empty_typeEbEEZZNS1_14partition_implILS5_8ELb0ES3_jPlPS6_PKS6_NS0_5tupleIJS9_S6_EEENSD_IJSA_SA_EEENS0_18inequality_wrapperIZN2at6native12_GLOBAL__N_124unique_dim_cuda_templateIN3c108BFloat16EEESt5tupleIJNSH_6TensorESO_SO_EERKSO_lbbbEUlllE0_EEPmJS6_EEE10hipError_tPvRmT3_T4_T5_T6_T7_T9_mT8_P12ihipStream_tbDpT10_ENKUlT_T0_E_clISt17integral_constantIbLb1EES1E_EEDaS19_S1A_EUlS19_E_NS1_11comp_targetILNS1_3genE2ELNS1_11target_archE906ELNS1_3gpuE6ELNS1_3repE0EEENS1_30default_config_static_selectorELNS0_4arch9wavefront6targetE1EEEvT1_
		.amdhsa_group_segment_fixed_size 0
		.amdhsa_private_segment_fixed_size 0
		.amdhsa_kernarg_size 136
		.amdhsa_user_sgpr_count 2
		.amdhsa_user_sgpr_dispatch_ptr 0
		.amdhsa_user_sgpr_queue_ptr 0
		.amdhsa_user_sgpr_kernarg_segment_ptr 1
		.amdhsa_user_sgpr_dispatch_id 0
		.amdhsa_user_sgpr_kernarg_preload_length 0
		.amdhsa_user_sgpr_kernarg_preload_offset 0
		.amdhsa_user_sgpr_private_segment_size 0
		.amdhsa_uses_dynamic_stack 0
		.amdhsa_enable_private_segment 0
		.amdhsa_system_sgpr_workgroup_id_x 1
		.amdhsa_system_sgpr_workgroup_id_y 0
		.amdhsa_system_sgpr_workgroup_id_z 0
		.amdhsa_system_sgpr_workgroup_info 0
		.amdhsa_system_vgpr_workitem_id 0
		.amdhsa_next_free_vgpr 1
		.amdhsa_next_free_sgpr 0
		.amdhsa_accum_offset 4
		.amdhsa_reserve_vcc 0
		.amdhsa_float_round_mode_32 0
		.amdhsa_float_round_mode_16_64 0
		.amdhsa_float_denorm_mode_32 3
		.amdhsa_float_denorm_mode_16_64 3
		.amdhsa_dx10_clamp 1
		.amdhsa_ieee_mode 1
		.amdhsa_fp16_overflow 0
		.amdhsa_tg_split 0
		.amdhsa_exception_fp_ieee_invalid_op 0
		.amdhsa_exception_fp_denorm_src 0
		.amdhsa_exception_fp_ieee_div_zero 0
		.amdhsa_exception_fp_ieee_overflow 0
		.amdhsa_exception_fp_ieee_underflow 0
		.amdhsa_exception_fp_ieee_inexact 0
		.amdhsa_exception_int_div_zero 0
	.end_amdhsa_kernel
	.section	.text._ZN7rocprim17ROCPRIM_400000_NS6detail17trampoline_kernelINS0_14default_configENS1_25partition_config_selectorILNS1_17partition_subalgoE8ElNS0_10empty_typeEbEEZZNS1_14partition_implILS5_8ELb0ES3_jPlPS6_PKS6_NS0_5tupleIJS9_S6_EEENSD_IJSA_SA_EEENS0_18inequality_wrapperIZN2at6native12_GLOBAL__N_124unique_dim_cuda_templateIN3c108BFloat16EEESt5tupleIJNSH_6TensorESO_SO_EERKSO_lbbbEUlllE0_EEPmJS6_EEE10hipError_tPvRmT3_T4_T5_T6_T7_T9_mT8_P12ihipStream_tbDpT10_ENKUlT_T0_E_clISt17integral_constantIbLb1EES1E_EEDaS19_S1A_EUlS19_E_NS1_11comp_targetILNS1_3genE2ELNS1_11target_archE906ELNS1_3gpuE6ELNS1_3repE0EEENS1_30default_config_static_selectorELNS0_4arch9wavefront6targetE1EEEvT1_,"axG",@progbits,_ZN7rocprim17ROCPRIM_400000_NS6detail17trampoline_kernelINS0_14default_configENS1_25partition_config_selectorILNS1_17partition_subalgoE8ElNS0_10empty_typeEbEEZZNS1_14partition_implILS5_8ELb0ES3_jPlPS6_PKS6_NS0_5tupleIJS9_S6_EEENSD_IJSA_SA_EEENS0_18inequality_wrapperIZN2at6native12_GLOBAL__N_124unique_dim_cuda_templateIN3c108BFloat16EEESt5tupleIJNSH_6TensorESO_SO_EERKSO_lbbbEUlllE0_EEPmJS6_EEE10hipError_tPvRmT3_T4_T5_T6_T7_T9_mT8_P12ihipStream_tbDpT10_ENKUlT_T0_E_clISt17integral_constantIbLb1EES1E_EEDaS19_S1A_EUlS19_E_NS1_11comp_targetILNS1_3genE2ELNS1_11target_archE906ELNS1_3gpuE6ELNS1_3repE0EEENS1_30default_config_static_selectorELNS0_4arch9wavefront6targetE1EEEvT1_,comdat
.Lfunc_end1186:
	.size	_ZN7rocprim17ROCPRIM_400000_NS6detail17trampoline_kernelINS0_14default_configENS1_25partition_config_selectorILNS1_17partition_subalgoE8ElNS0_10empty_typeEbEEZZNS1_14partition_implILS5_8ELb0ES3_jPlPS6_PKS6_NS0_5tupleIJS9_S6_EEENSD_IJSA_SA_EEENS0_18inequality_wrapperIZN2at6native12_GLOBAL__N_124unique_dim_cuda_templateIN3c108BFloat16EEESt5tupleIJNSH_6TensorESO_SO_EERKSO_lbbbEUlllE0_EEPmJS6_EEE10hipError_tPvRmT3_T4_T5_T6_T7_T9_mT8_P12ihipStream_tbDpT10_ENKUlT_T0_E_clISt17integral_constantIbLb1EES1E_EEDaS19_S1A_EUlS19_E_NS1_11comp_targetILNS1_3genE2ELNS1_11target_archE906ELNS1_3gpuE6ELNS1_3repE0EEENS1_30default_config_static_selectorELNS0_4arch9wavefront6targetE1EEEvT1_, .Lfunc_end1186-_ZN7rocprim17ROCPRIM_400000_NS6detail17trampoline_kernelINS0_14default_configENS1_25partition_config_selectorILNS1_17partition_subalgoE8ElNS0_10empty_typeEbEEZZNS1_14partition_implILS5_8ELb0ES3_jPlPS6_PKS6_NS0_5tupleIJS9_S6_EEENSD_IJSA_SA_EEENS0_18inequality_wrapperIZN2at6native12_GLOBAL__N_124unique_dim_cuda_templateIN3c108BFloat16EEESt5tupleIJNSH_6TensorESO_SO_EERKSO_lbbbEUlllE0_EEPmJS6_EEE10hipError_tPvRmT3_T4_T5_T6_T7_T9_mT8_P12ihipStream_tbDpT10_ENKUlT_T0_E_clISt17integral_constantIbLb1EES1E_EEDaS19_S1A_EUlS19_E_NS1_11comp_targetILNS1_3genE2ELNS1_11target_archE906ELNS1_3gpuE6ELNS1_3repE0EEENS1_30default_config_static_selectorELNS0_4arch9wavefront6targetE1EEEvT1_
                                        ; -- End function
	.set _ZN7rocprim17ROCPRIM_400000_NS6detail17trampoline_kernelINS0_14default_configENS1_25partition_config_selectorILNS1_17partition_subalgoE8ElNS0_10empty_typeEbEEZZNS1_14partition_implILS5_8ELb0ES3_jPlPS6_PKS6_NS0_5tupleIJS9_S6_EEENSD_IJSA_SA_EEENS0_18inequality_wrapperIZN2at6native12_GLOBAL__N_124unique_dim_cuda_templateIN3c108BFloat16EEESt5tupleIJNSH_6TensorESO_SO_EERKSO_lbbbEUlllE0_EEPmJS6_EEE10hipError_tPvRmT3_T4_T5_T6_T7_T9_mT8_P12ihipStream_tbDpT10_ENKUlT_T0_E_clISt17integral_constantIbLb1EES1E_EEDaS19_S1A_EUlS19_E_NS1_11comp_targetILNS1_3genE2ELNS1_11target_archE906ELNS1_3gpuE6ELNS1_3repE0EEENS1_30default_config_static_selectorELNS0_4arch9wavefront6targetE1EEEvT1_.num_vgpr, 0
	.set _ZN7rocprim17ROCPRIM_400000_NS6detail17trampoline_kernelINS0_14default_configENS1_25partition_config_selectorILNS1_17partition_subalgoE8ElNS0_10empty_typeEbEEZZNS1_14partition_implILS5_8ELb0ES3_jPlPS6_PKS6_NS0_5tupleIJS9_S6_EEENSD_IJSA_SA_EEENS0_18inequality_wrapperIZN2at6native12_GLOBAL__N_124unique_dim_cuda_templateIN3c108BFloat16EEESt5tupleIJNSH_6TensorESO_SO_EERKSO_lbbbEUlllE0_EEPmJS6_EEE10hipError_tPvRmT3_T4_T5_T6_T7_T9_mT8_P12ihipStream_tbDpT10_ENKUlT_T0_E_clISt17integral_constantIbLb1EES1E_EEDaS19_S1A_EUlS19_E_NS1_11comp_targetILNS1_3genE2ELNS1_11target_archE906ELNS1_3gpuE6ELNS1_3repE0EEENS1_30default_config_static_selectorELNS0_4arch9wavefront6targetE1EEEvT1_.num_agpr, 0
	.set _ZN7rocprim17ROCPRIM_400000_NS6detail17trampoline_kernelINS0_14default_configENS1_25partition_config_selectorILNS1_17partition_subalgoE8ElNS0_10empty_typeEbEEZZNS1_14partition_implILS5_8ELb0ES3_jPlPS6_PKS6_NS0_5tupleIJS9_S6_EEENSD_IJSA_SA_EEENS0_18inequality_wrapperIZN2at6native12_GLOBAL__N_124unique_dim_cuda_templateIN3c108BFloat16EEESt5tupleIJNSH_6TensorESO_SO_EERKSO_lbbbEUlllE0_EEPmJS6_EEE10hipError_tPvRmT3_T4_T5_T6_T7_T9_mT8_P12ihipStream_tbDpT10_ENKUlT_T0_E_clISt17integral_constantIbLb1EES1E_EEDaS19_S1A_EUlS19_E_NS1_11comp_targetILNS1_3genE2ELNS1_11target_archE906ELNS1_3gpuE6ELNS1_3repE0EEENS1_30default_config_static_selectorELNS0_4arch9wavefront6targetE1EEEvT1_.numbered_sgpr, 0
	.set _ZN7rocprim17ROCPRIM_400000_NS6detail17trampoline_kernelINS0_14default_configENS1_25partition_config_selectorILNS1_17partition_subalgoE8ElNS0_10empty_typeEbEEZZNS1_14partition_implILS5_8ELb0ES3_jPlPS6_PKS6_NS0_5tupleIJS9_S6_EEENSD_IJSA_SA_EEENS0_18inequality_wrapperIZN2at6native12_GLOBAL__N_124unique_dim_cuda_templateIN3c108BFloat16EEESt5tupleIJNSH_6TensorESO_SO_EERKSO_lbbbEUlllE0_EEPmJS6_EEE10hipError_tPvRmT3_T4_T5_T6_T7_T9_mT8_P12ihipStream_tbDpT10_ENKUlT_T0_E_clISt17integral_constantIbLb1EES1E_EEDaS19_S1A_EUlS19_E_NS1_11comp_targetILNS1_3genE2ELNS1_11target_archE906ELNS1_3gpuE6ELNS1_3repE0EEENS1_30default_config_static_selectorELNS0_4arch9wavefront6targetE1EEEvT1_.num_named_barrier, 0
	.set _ZN7rocprim17ROCPRIM_400000_NS6detail17trampoline_kernelINS0_14default_configENS1_25partition_config_selectorILNS1_17partition_subalgoE8ElNS0_10empty_typeEbEEZZNS1_14partition_implILS5_8ELb0ES3_jPlPS6_PKS6_NS0_5tupleIJS9_S6_EEENSD_IJSA_SA_EEENS0_18inequality_wrapperIZN2at6native12_GLOBAL__N_124unique_dim_cuda_templateIN3c108BFloat16EEESt5tupleIJNSH_6TensorESO_SO_EERKSO_lbbbEUlllE0_EEPmJS6_EEE10hipError_tPvRmT3_T4_T5_T6_T7_T9_mT8_P12ihipStream_tbDpT10_ENKUlT_T0_E_clISt17integral_constantIbLb1EES1E_EEDaS19_S1A_EUlS19_E_NS1_11comp_targetILNS1_3genE2ELNS1_11target_archE906ELNS1_3gpuE6ELNS1_3repE0EEENS1_30default_config_static_selectorELNS0_4arch9wavefront6targetE1EEEvT1_.private_seg_size, 0
	.set _ZN7rocprim17ROCPRIM_400000_NS6detail17trampoline_kernelINS0_14default_configENS1_25partition_config_selectorILNS1_17partition_subalgoE8ElNS0_10empty_typeEbEEZZNS1_14partition_implILS5_8ELb0ES3_jPlPS6_PKS6_NS0_5tupleIJS9_S6_EEENSD_IJSA_SA_EEENS0_18inequality_wrapperIZN2at6native12_GLOBAL__N_124unique_dim_cuda_templateIN3c108BFloat16EEESt5tupleIJNSH_6TensorESO_SO_EERKSO_lbbbEUlllE0_EEPmJS6_EEE10hipError_tPvRmT3_T4_T5_T6_T7_T9_mT8_P12ihipStream_tbDpT10_ENKUlT_T0_E_clISt17integral_constantIbLb1EES1E_EEDaS19_S1A_EUlS19_E_NS1_11comp_targetILNS1_3genE2ELNS1_11target_archE906ELNS1_3gpuE6ELNS1_3repE0EEENS1_30default_config_static_selectorELNS0_4arch9wavefront6targetE1EEEvT1_.uses_vcc, 0
	.set _ZN7rocprim17ROCPRIM_400000_NS6detail17trampoline_kernelINS0_14default_configENS1_25partition_config_selectorILNS1_17partition_subalgoE8ElNS0_10empty_typeEbEEZZNS1_14partition_implILS5_8ELb0ES3_jPlPS6_PKS6_NS0_5tupleIJS9_S6_EEENSD_IJSA_SA_EEENS0_18inequality_wrapperIZN2at6native12_GLOBAL__N_124unique_dim_cuda_templateIN3c108BFloat16EEESt5tupleIJNSH_6TensorESO_SO_EERKSO_lbbbEUlllE0_EEPmJS6_EEE10hipError_tPvRmT3_T4_T5_T6_T7_T9_mT8_P12ihipStream_tbDpT10_ENKUlT_T0_E_clISt17integral_constantIbLb1EES1E_EEDaS19_S1A_EUlS19_E_NS1_11comp_targetILNS1_3genE2ELNS1_11target_archE906ELNS1_3gpuE6ELNS1_3repE0EEENS1_30default_config_static_selectorELNS0_4arch9wavefront6targetE1EEEvT1_.uses_flat_scratch, 0
	.set _ZN7rocprim17ROCPRIM_400000_NS6detail17trampoline_kernelINS0_14default_configENS1_25partition_config_selectorILNS1_17partition_subalgoE8ElNS0_10empty_typeEbEEZZNS1_14partition_implILS5_8ELb0ES3_jPlPS6_PKS6_NS0_5tupleIJS9_S6_EEENSD_IJSA_SA_EEENS0_18inequality_wrapperIZN2at6native12_GLOBAL__N_124unique_dim_cuda_templateIN3c108BFloat16EEESt5tupleIJNSH_6TensorESO_SO_EERKSO_lbbbEUlllE0_EEPmJS6_EEE10hipError_tPvRmT3_T4_T5_T6_T7_T9_mT8_P12ihipStream_tbDpT10_ENKUlT_T0_E_clISt17integral_constantIbLb1EES1E_EEDaS19_S1A_EUlS19_E_NS1_11comp_targetILNS1_3genE2ELNS1_11target_archE906ELNS1_3gpuE6ELNS1_3repE0EEENS1_30default_config_static_selectorELNS0_4arch9wavefront6targetE1EEEvT1_.has_dyn_sized_stack, 0
	.set _ZN7rocprim17ROCPRIM_400000_NS6detail17trampoline_kernelINS0_14default_configENS1_25partition_config_selectorILNS1_17partition_subalgoE8ElNS0_10empty_typeEbEEZZNS1_14partition_implILS5_8ELb0ES3_jPlPS6_PKS6_NS0_5tupleIJS9_S6_EEENSD_IJSA_SA_EEENS0_18inequality_wrapperIZN2at6native12_GLOBAL__N_124unique_dim_cuda_templateIN3c108BFloat16EEESt5tupleIJNSH_6TensorESO_SO_EERKSO_lbbbEUlllE0_EEPmJS6_EEE10hipError_tPvRmT3_T4_T5_T6_T7_T9_mT8_P12ihipStream_tbDpT10_ENKUlT_T0_E_clISt17integral_constantIbLb1EES1E_EEDaS19_S1A_EUlS19_E_NS1_11comp_targetILNS1_3genE2ELNS1_11target_archE906ELNS1_3gpuE6ELNS1_3repE0EEENS1_30default_config_static_selectorELNS0_4arch9wavefront6targetE1EEEvT1_.has_recursion, 0
	.set _ZN7rocprim17ROCPRIM_400000_NS6detail17trampoline_kernelINS0_14default_configENS1_25partition_config_selectorILNS1_17partition_subalgoE8ElNS0_10empty_typeEbEEZZNS1_14partition_implILS5_8ELb0ES3_jPlPS6_PKS6_NS0_5tupleIJS9_S6_EEENSD_IJSA_SA_EEENS0_18inequality_wrapperIZN2at6native12_GLOBAL__N_124unique_dim_cuda_templateIN3c108BFloat16EEESt5tupleIJNSH_6TensorESO_SO_EERKSO_lbbbEUlllE0_EEPmJS6_EEE10hipError_tPvRmT3_T4_T5_T6_T7_T9_mT8_P12ihipStream_tbDpT10_ENKUlT_T0_E_clISt17integral_constantIbLb1EES1E_EEDaS19_S1A_EUlS19_E_NS1_11comp_targetILNS1_3genE2ELNS1_11target_archE906ELNS1_3gpuE6ELNS1_3repE0EEENS1_30default_config_static_selectorELNS0_4arch9wavefront6targetE1EEEvT1_.has_indirect_call, 0
	.section	.AMDGPU.csdata,"",@progbits
; Kernel info:
; codeLenInByte = 0
; TotalNumSgprs: 6
; NumVgprs: 0
; NumAgprs: 0
; TotalNumVgprs: 0
; ScratchSize: 0
; MemoryBound: 0
; FloatMode: 240
; IeeeMode: 1
; LDSByteSize: 0 bytes/workgroup (compile time only)
; SGPRBlocks: 0
; VGPRBlocks: 0
; NumSGPRsForWavesPerEU: 6
; NumVGPRsForWavesPerEU: 1
; AccumOffset: 4
; Occupancy: 8
; WaveLimiterHint : 0
; COMPUTE_PGM_RSRC2:SCRATCH_EN: 0
; COMPUTE_PGM_RSRC2:USER_SGPR: 2
; COMPUTE_PGM_RSRC2:TRAP_HANDLER: 0
; COMPUTE_PGM_RSRC2:TGID_X_EN: 1
; COMPUTE_PGM_RSRC2:TGID_Y_EN: 0
; COMPUTE_PGM_RSRC2:TGID_Z_EN: 0
; COMPUTE_PGM_RSRC2:TIDIG_COMP_CNT: 0
; COMPUTE_PGM_RSRC3_GFX90A:ACCUM_OFFSET: 0
; COMPUTE_PGM_RSRC3_GFX90A:TG_SPLIT: 0
	.section	.text._ZN7rocprim17ROCPRIM_400000_NS6detail17trampoline_kernelINS0_14default_configENS1_25partition_config_selectorILNS1_17partition_subalgoE8ElNS0_10empty_typeEbEEZZNS1_14partition_implILS5_8ELb0ES3_jPlPS6_PKS6_NS0_5tupleIJS9_S6_EEENSD_IJSA_SA_EEENS0_18inequality_wrapperIZN2at6native12_GLOBAL__N_124unique_dim_cuda_templateIN3c108BFloat16EEESt5tupleIJNSH_6TensorESO_SO_EERKSO_lbbbEUlllE0_EEPmJS6_EEE10hipError_tPvRmT3_T4_T5_T6_T7_T9_mT8_P12ihipStream_tbDpT10_ENKUlT_T0_E_clISt17integral_constantIbLb1EES1E_EEDaS19_S1A_EUlS19_E_NS1_11comp_targetILNS1_3genE10ELNS1_11target_archE1200ELNS1_3gpuE4ELNS1_3repE0EEENS1_30default_config_static_selectorELNS0_4arch9wavefront6targetE1EEEvT1_,"axG",@progbits,_ZN7rocprim17ROCPRIM_400000_NS6detail17trampoline_kernelINS0_14default_configENS1_25partition_config_selectorILNS1_17partition_subalgoE8ElNS0_10empty_typeEbEEZZNS1_14partition_implILS5_8ELb0ES3_jPlPS6_PKS6_NS0_5tupleIJS9_S6_EEENSD_IJSA_SA_EEENS0_18inequality_wrapperIZN2at6native12_GLOBAL__N_124unique_dim_cuda_templateIN3c108BFloat16EEESt5tupleIJNSH_6TensorESO_SO_EERKSO_lbbbEUlllE0_EEPmJS6_EEE10hipError_tPvRmT3_T4_T5_T6_T7_T9_mT8_P12ihipStream_tbDpT10_ENKUlT_T0_E_clISt17integral_constantIbLb1EES1E_EEDaS19_S1A_EUlS19_E_NS1_11comp_targetILNS1_3genE10ELNS1_11target_archE1200ELNS1_3gpuE4ELNS1_3repE0EEENS1_30default_config_static_selectorELNS0_4arch9wavefront6targetE1EEEvT1_,comdat
	.globl	_ZN7rocprim17ROCPRIM_400000_NS6detail17trampoline_kernelINS0_14default_configENS1_25partition_config_selectorILNS1_17partition_subalgoE8ElNS0_10empty_typeEbEEZZNS1_14partition_implILS5_8ELb0ES3_jPlPS6_PKS6_NS0_5tupleIJS9_S6_EEENSD_IJSA_SA_EEENS0_18inequality_wrapperIZN2at6native12_GLOBAL__N_124unique_dim_cuda_templateIN3c108BFloat16EEESt5tupleIJNSH_6TensorESO_SO_EERKSO_lbbbEUlllE0_EEPmJS6_EEE10hipError_tPvRmT3_T4_T5_T6_T7_T9_mT8_P12ihipStream_tbDpT10_ENKUlT_T0_E_clISt17integral_constantIbLb1EES1E_EEDaS19_S1A_EUlS19_E_NS1_11comp_targetILNS1_3genE10ELNS1_11target_archE1200ELNS1_3gpuE4ELNS1_3repE0EEENS1_30default_config_static_selectorELNS0_4arch9wavefront6targetE1EEEvT1_ ; -- Begin function _ZN7rocprim17ROCPRIM_400000_NS6detail17trampoline_kernelINS0_14default_configENS1_25partition_config_selectorILNS1_17partition_subalgoE8ElNS0_10empty_typeEbEEZZNS1_14partition_implILS5_8ELb0ES3_jPlPS6_PKS6_NS0_5tupleIJS9_S6_EEENSD_IJSA_SA_EEENS0_18inequality_wrapperIZN2at6native12_GLOBAL__N_124unique_dim_cuda_templateIN3c108BFloat16EEESt5tupleIJNSH_6TensorESO_SO_EERKSO_lbbbEUlllE0_EEPmJS6_EEE10hipError_tPvRmT3_T4_T5_T6_T7_T9_mT8_P12ihipStream_tbDpT10_ENKUlT_T0_E_clISt17integral_constantIbLb1EES1E_EEDaS19_S1A_EUlS19_E_NS1_11comp_targetILNS1_3genE10ELNS1_11target_archE1200ELNS1_3gpuE4ELNS1_3repE0EEENS1_30default_config_static_selectorELNS0_4arch9wavefront6targetE1EEEvT1_
	.p2align	8
	.type	_ZN7rocprim17ROCPRIM_400000_NS6detail17trampoline_kernelINS0_14default_configENS1_25partition_config_selectorILNS1_17partition_subalgoE8ElNS0_10empty_typeEbEEZZNS1_14partition_implILS5_8ELb0ES3_jPlPS6_PKS6_NS0_5tupleIJS9_S6_EEENSD_IJSA_SA_EEENS0_18inequality_wrapperIZN2at6native12_GLOBAL__N_124unique_dim_cuda_templateIN3c108BFloat16EEESt5tupleIJNSH_6TensorESO_SO_EERKSO_lbbbEUlllE0_EEPmJS6_EEE10hipError_tPvRmT3_T4_T5_T6_T7_T9_mT8_P12ihipStream_tbDpT10_ENKUlT_T0_E_clISt17integral_constantIbLb1EES1E_EEDaS19_S1A_EUlS19_E_NS1_11comp_targetILNS1_3genE10ELNS1_11target_archE1200ELNS1_3gpuE4ELNS1_3repE0EEENS1_30default_config_static_selectorELNS0_4arch9wavefront6targetE1EEEvT1_,@function
_ZN7rocprim17ROCPRIM_400000_NS6detail17trampoline_kernelINS0_14default_configENS1_25partition_config_selectorILNS1_17partition_subalgoE8ElNS0_10empty_typeEbEEZZNS1_14partition_implILS5_8ELb0ES3_jPlPS6_PKS6_NS0_5tupleIJS9_S6_EEENSD_IJSA_SA_EEENS0_18inequality_wrapperIZN2at6native12_GLOBAL__N_124unique_dim_cuda_templateIN3c108BFloat16EEESt5tupleIJNSH_6TensorESO_SO_EERKSO_lbbbEUlllE0_EEPmJS6_EEE10hipError_tPvRmT3_T4_T5_T6_T7_T9_mT8_P12ihipStream_tbDpT10_ENKUlT_T0_E_clISt17integral_constantIbLb1EES1E_EEDaS19_S1A_EUlS19_E_NS1_11comp_targetILNS1_3genE10ELNS1_11target_archE1200ELNS1_3gpuE4ELNS1_3repE0EEENS1_30default_config_static_selectorELNS0_4arch9wavefront6targetE1EEEvT1_: ; @_ZN7rocprim17ROCPRIM_400000_NS6detail17trampoline_kernelINS0_14default_configENS1_25partition_config_selectorILNS1_17partition_subalgoE8ElNS0_10empty_typeEbEEZZNS1_14partition_implILS5_8ELb0ES3_jPlPS6_PKS6_NS0_5tupleIJS9_S6_EEENSD_IJSA_SA_EEENS0_18inequality_wrapperIZN2at6native12_GLOBAL__N_124unique_dim_cuda_templateIN3c108BFloat16EEESt5tupleIJNSH_6TensorESO_SO_EERKSO_lbbbEUlllE0_EEPmJS6_EEE10hipError_tPvRmT3_T4_T5_T6_T7_T9_mT8_P12ihipStream_tbDpT10_ENKUlT_T0_E_clISt17integral_constantIbLb1EES1E_EEDaS19_S1A_EUlS19_E_NS1_11comp_targetILNS1_3genE10ELNS1_11target_archE1200ELNS1_3gpuE4ELNS1_3repE0EEENS1_30default_config_static_selectorELNS0_4arch9wavefront6targetE1EEEvT1_
; %bb.0:
	.section	.rodata,"a",@progbits
	.p2align	6, 0x0
	.amdhsa_kernel _ZN7rocprim17ROCPRIM_400000_NS6detail17trampoline_kernelINS0_14default_configENS1_25partition_config_selectorILNS1_17partition_subalgoE8ElNS0_10empty_typeEbEEZZNS1_14partition_implILS5_8ELb0ES3_jPlPS6_PKS6_NS0_5tupleIJS9_S6_EEENSD_IJSA_SA_EEENS0_18inequality_wrapperIZN2at6native12_GLOBAL__N_124unique_dim_cuda_templateIN3c108BFloat16EEESt5tupleIJNSH_6TensorESO_SO_EERKSO_lbbbEUlllE0_EEPmJS6_EEE10hipError_tPvRmT3_T4_T5_T6_T7_T9_mT8_P12ihipStream_tbDpT10_ENKUlT_T0_E_clISt17integral_constantIbLb1EES1E_EEDaS19_S1A_EUlS19_E_NS1_11comp_targetILNS1_3genE10ELNS1_11target_archE1200ELNS1_3gpuE4ELNS1_3repE0EEENS1_30default_config_static_selectorELNS0_4arch9wavefront6targetE1EEEvT1_
		.amdhsa_group_segment_fixed_size 0
		.amdhsa_private_segment_fixed_size 0
		.amdhsa_kernarg_size 136
		.amdhsa_user_sgpr_count 2
		.amdhsa_user_sgpr_dispatch_ptr 0
		.amdhsa_user_sgpr_queue_ptr 0
		.amdhsa_user_sgpr_kernarg_segment_ptr 1
		.amdhsa_user_sgpr_dispatch_id 0
		.amdhsa_user_sgpr_kernarg_preload_length 0
		.amdhsa_user_sgpr_kernarg_preload_offset 0
		.amdhsa_user_sgpr_private_segment_size 0
		.amdhsa_uses_dynamic_stack 0
		.amdhsa_enable_private_segment 0
		.amdhsa_system_sgpr_workgroup_id_x 1
		.amdhsa_system_sgpr_workgroup_id_y 0
		.amdhsa_system_sgpr_workgroup_id_z 0
		.amdhsa_system_sgpr_workgroup_info 0
		.amdhsa_system_vgpr_workitem_id 0
		.amdhsa_next_free_vgpr 1
		.amdhsa_next_free_sgpr 0
		.amdhsa_accum_offset 4
		.amdhsa_reserve_vcc 0
		.amdhsa_float_round_mode_32 0
		.amdhsa_float_round_mode_16_64 0
		.amdhsa_float_denorm_mode_32 3
		.amdhsa_float_denorm_mode_16_64 3
		.amdhsa_dx10_clamp 1
		.amdhsa_ieee_mode 1
		.amdhsa_fp16_overflow 0
		.amdhsa_tg_split 0
		.amdhsa_exception_fp_ieee_invalid_op 0
		.amdhsa_exception_fp_denorm_src 0
		.amdhsa_exception_fp_ieee_div_zero 0
		.amdhsa_exception_fp_ieee_overflow 0
		.amdhsa_exception_fp_ieee_underflow 0
		.amdhsa_exception_fp_ieee_inexact 0
		.amdhsa_exception_int_div_zero 0
	.end_amdhsa_kernel
	.section	.text._ZN7rocprim17ROCPRIM_400000_NS6detail17trampoline_kernelINS0_14default_configENS1_25partition_config_selectorILNS1_17partition_subalgoE8ElNS0_10empty_typeEbEEZZNS1_14partition_implILS5_8ELb0ES3_jPlPS6_PKS6_NS0_5tupleIJS9_S6_EEENSD_IJSA_SA_EEENS0_18inequality_wrapperIZN2at6native12_GLOBAL__N_124unique_dim_cuda_templateIN3c108BFloat16EEESt5tupleIJNSH_6TensorESO_SO_EERKSO_lbbbEUlllE0_EEPmJS6_EEE10hipError_tPvRmT3_T4_T5_T6_T7_T9_mT8_P12ihipStream_tbDpT10_ENKUlT_T0_E_clISt17integral_constantIbLb1EES1E_EEDaS19_S1A_EUlS19_E_NS1_11comp_targetILNS1_3genE10ELNS1_11target_archE1200ELNS1_3gpuE4ELNS1_3repE0EEENS1_30default_config_static_selectorELNS0_4arch9wavefront6targetE1EEEvT1_,"axG",@progbits,_ZN7rocprim17ROCPRIM_400000_NS6detail17trampoline_kernelINS0_14default_configENS1_25partition_config_selectorILNS1_17partition_subalgoE8ElNS0_10empty_typeEbEEZZNS1_14partition_implILS5_8ELb0ES3_jPlPS6_PKS6_NS0_5tupleIJS9_S6_EEENSD_IJSA_SA_EEENS0_18inequality_wrapperIZN2at6native12_GLOBAL__N_124unique_dim_cuda_templateIN3c108BFloat16EEESt5tupleIJNSH_6TensorESO_SO_EERKSO_lbbbEUlllE0_EEPmJS6_EEE10hipError_tPvRmT3_T4_T5_T6_T7_T9_mT8_P12ihipStream_tbDpT10_ENKUlT_T0_E_clISt17integral_constantIbLb1EES1E_EEDaS19_S1A_EUlS19_E_NS1_11comp_targetILNS1_3genE10ELNS1_11target_archE1200ELNS1_3gpuE4ELNS1_3repE0EEENS1_30default_config_static_selectorELNS0_4arch9wavefront6targetE1EEEvT1_,comdat
.Lfunc_end1187:
	.size	_ZN7rocprim17ROCPRIM_400000_NS6detail17trampoline_kernelINS0_14default_configENS1_25partition_config_selectorILNS1_17partition_subalgoE8ElNS0_10empty_typeEbEEZZNS1_14partition_implILS5_8ELb0ES3_jPlPS6_PKS6_NS0_5tupleIJS9_S6_EEENSD_IJSA_SA_EEENS0_18inequality_wrapperIZN2at6native12_GLOBAL__N_124unique_dim_cuda_templateIN3c108BFloat16EEESt5tupleIJNSH_6TensorESO_SO_EERKSO_lbbbEUlllE0_EEPmJS6_EEE10hipError_tPvRmT3_T4_T5_T6_T7_T9_mT8_P12ihipStream_tbDpT10_ENKUlT_T0_E_clISt17integral_constantIbLb1EES1E_EEDaS19_S1A_EUlS19_E_NS1_11comp_targetILNS1_3genE10ELNS1_11target_archE1200ELNS1_3gpuE4ELNS1_3repE0EEENS1_30default_config_static_selectorELNS0_4arch9wavefront6targetE1EEEvT1_, .Lfunc_end1187-_ZN7rocprim17ROCPRIM_400000_NS6detail17trampoline_kernelINS0_14default_configENS1_25partition_config_selectorILNS1_17partition_subalgoE8ElNS0_10empty_typeEbEEZZNS1_14partition_implILS5_8ELb0ES3_jPlPS6_PKS6_NS0_5tupleIJS9_S6_EEENSD_IJSA_SA_EEENS0_18inequality_wrapperIZN2at6native12_GLOBAL__N_124unique_dim_cuda_templateIN3c108BFloat16EEESt5tupleIJNSH_6TensorESO_SO_EERKSO_lbbbEUlllE0_EEPmJS6_EEE10hipError_tPvRmT3_T4_T5_T6_T7_T9_mT8_P12ihipStream_tbDpT10_ENKUlT_T0_E_clISt17integral_constantIbLb1EES1E_EEDaS19_S1A_EUlS19_E_NS1_11comp_targetILNS1_3genE10ELNS1_11target_archE1200ELNS1_3gpuE4ELNS1_3repE0EEENS1_30default_config_static_selectorELNS0_4arch9wavefront6targetE1EEEvT1_
                                        ; -- End function
	.set _ZN7rocprim17ROCPRIM_400000_NS6detail17trampoline_kernelINS0_14default_configENS1_25partition_config_selectorILNS1_17partition_subalgoE8ElNS0_10empty_typeEbEEZZNS1_14partition_implILS5_8ELb0ES3_jPlPS6_PKS6_NS0_5tupleIJS9_S6_EEENSD_IJSA_SA_EEENS0_18inequality_wrapperIZN2at6native12_GLOBAL__N_124unique_dim_cuda_templateIN3c108BFloat16EEESt5tupleIJNSH_6TensorESO_SO_EERKSO_lbbbEUlllE0_EEPmJS6_EEE10hipError_tPvRmT3_T4_T5_T6_T7_T9_mT8_P12ihipStream_tbDpT10_ENKUlT_T0_E_clISt17integral_constantIbLb1EES1E_EEDaS19_S1A_EUlS19_E_NS1_11comp_targetILNS1_3genE10ELNS1_11target_archE1200ELNS1_3gpuE4ELNS1_3repE0EEENS1_30default_config_static_selectorELNS0_4arch9wavefront6targetE1EEEvT1_.num_vgpr, 0
	.set _ZN7rocprim17ROCPRIM_400000_NS6detail17trampoline_kernelINS0_14default_configENS1_25partition_config_selectorILNS1_17partition_subalgoE8ElNS0_10empty_typeEbEEZZNS1_14partition_implILS5_8ELb0ES3_jPlPS6_PKS6_NS0_5tupleIJS9_S6_EEENSD_IJSA_SA_EEENS0_18inequality_wrapperIZN2at6native12_GLOBAL__N_124unique_dim_cuda_templateIN3c108BFloat16EEESt5tupleIJNSH_6TensorESO_SO_EERKSO_lbbbEUlllE0_EEPmJS6_EEE10hipError_tPvRmT3_T4_T5_T6_T7_T9_mT8_P12ihipStream_tbDpT10_ENKUlT_T0_E_clISt17integral_constantIbLb1EES1E_EEDaS19_S1A_EUlS19_E_NS1_11comp_targetILNS1_3genE10ELNS1_11target_archE1200ELNS1_3gpuE4ELNS1_3repE0EEENS1_30default_config_static_selectorELNS0_4arch9wavefront6targetE1EEEvT1_.num_agpr, 0
	.set _ZN7rocprim17ROCPRIM_400000_NS6detail17trampoline_kernelINS0_14default_configENS1_25partition_config_selectorILNS1_17partition_subalgoE8ElNS0_10empty_typeEbEEZZNS1_14partition_implILS5_8ELb0ES3_jPlPS6_PKS6_NS0_5tupleIJS9_S6_EEENSD_IJSA_SA_EEENS0_18inequality_wrapperIZN2at6native12_GLOBAL__N_124unique_dim_cuda_templateIN3c108BFloat16EEESt5tupleIJNSH_6TensorESO_SO_EERKSO_lbbbEUlllE0_EEPmJS6_EEE10hipError_tPvRmT3_T4_T5_T6_T7_T9_mT8_P12ihipStream_tbDpT10_ENKUlT_T0_E_clISt17integral_constantIbLb1EES1E_EEDaS19_S1A_EUlS19_E_NS1_11comp_targetILNS1_3genE10ELNS1_11target_archE1200ELNS1_3gpuE4ELNS1_3repE0EEENS1_30default_config_static_selectorELNS0_4arch9wavefront6targetE1EEEvT1_.numbered_sgpr, 0
	.set _ZN7rocprim17ROCPRIM_400000_NS6detail17trampoline_kernelINS0_14default_configENS1_25partition_config_selectorILNS1_17partition_subalgoE8ElNS0_10empty_typeEbEEZZNS1_14partition_implILS5_8ELb0ES3_jPlPS6_PKS6_NS0_5tupleIJS9_S6_EEENSD_IJSA_SA_EEENS0_18inequality_wrapperIZN2at6native12_GLOBAL__N_124unique_dim_cuda_templateIN3c108BFloat16EEESt5tupleIJNSH_6TensorESO_SO_EERKSO_lbbbEUlllE0_EEPmJS6_EEE10hipError_tPvRmT3_T4_T5_T6_T7_T9_mT8_P12ihipStream_tbDpT10_ENKUlT_T0_E_clISt17integral_constantIbLb1EES1E_EEDaS19_S1A_EUlS19_E_NS1_11comp_targetILNS1_3genE10ELNS1_11target_archE1200ELNS1_3gpuE4ELNS1_3repE0EEENS1_30default_config_static_selectorELNS0_4arch9wavefront6targetE1EEEvT1_.num_named_barrier, 0
	.set _ZN7rocprim17ROCPRIM_400000_NS6detail17trampoline_kernelINS0_14default_configENS1_25partition_config_selectorILNS1_17partition_subalgoE8ElNS0_10empty_typeEbEEZZNS1_14partition_implILS5_8ELb0ES3_jPlPS6_PKS6_NS0_5tupleIJS9_S6_EEENSD_IJSA_SA_EEENS0_18inequality_wrapperIZN2at6native12_GLOBAL__N_124unique_dim_cuda_templateIN3c108BFloat16EEESt5tupleIJNSH_6TensorESO_SO_EERKSO_lbbbEUlllE0_EEPmJS6_EEE10hipError_tPvRmT3_T4_T5_T6_T7_T9_mT8_P12ihipStream_tbDpT10_ENKUlT_T0_E_clISt17integral_constantIbLb1EES1E_EEDaS19_S1A_EUlS19_E_NS1_11comp_targetILNS1_3genE10ELNS1_11target_archE1200ELNS1_3gpuE4ELNS1_3repE0EEENS1_30default_config_static_selectorELNS0_4arch9wavefront6targetE1EEEvT1_.private_seg_size, 0
	.set _ZN7rocprim17ROCPRIM_400000_NS6detail17trampoline_kernelINS0_14default_configENS1_25partition_config_selectorILNS1_17partition_subalgoE8ElNS0_10empty_typeEbEEZZNS1_14partition_implILS5_8ELb0ES3_jPlPS6_PKS6_NS0_5tupleIJS9_S6_EEENSD_IJSA_SA_EEENS0_18inequality_wrapperIZN2at6native12_GLOBAL__N_124unique_dim_cuda_templateIN3c108BFloat16EEESt5tupleIJNSH_6TensorESO_SO_EERKSO_lbbbEUlllE0_EEPmJS6_EEE10hipError_tPvRmT3_T4_T5_T6_T7_T9_mT8_P12ihipStream_tbDpT10_ENKUlT_T0_E_clISt17integral_constantIbLb1EES1E_EEDaS19_S1A_EUlS19_E_NS1_11comp_targetILNS1_3genE10ELNS1_11target_archE1200ELNS1_3gpuE4ELNS1_3repE0EEENS1_30default_config_static_selectorELNS0_4arch9wavefront6targetE1EEEvT1_.uses_vcc, 0
	.set _ZN7rocprim17ROCPRIM_400000_NS6detail17trampoline_kernelINS0_14default_configENS1_25partition_config_selectorILNS1_17partition_subalgoE8ElNS0_10empty_typeEbEEZZNS1_14partition_implILS5_8ELb0ES3_jPlPS6_PKS6_NS0_5tupleIJS9_S6_EEENSD_IJSA_SA_EEENS0_18inequality_wrapperIZN2at6native12_GLOBAL__N_124unique_dim_cuda_templateIN3c108BFloat16EEESt5tupleIJNSH_6TensorESO_SO_EERKSO_lbbbEUlllE0_EEPmJS6_EEE10hipError_tPvRmT3_T4_T5_T6_T7_T9_mT8_P12ihipStream_tbDpT10_ENKUlT_T0_E_clISt17integral_constantIbLb1EES1E_EEDaS19_S1A_EUlS19_E_NS1_11comp_targetILNS1_3genE10ELNS1_11target_archE1200ELNS1_3gpuE4ELNS1_3repE0EEENS1_30default_config_static_selectorELNS0_4arch9wavefront6targetE1EEEvT1_.uses_flat_scratch, 0
	.set _ZN7rocprim17ROCPRIM_400000_NS6detail17trampoline_kernelINS0_14default_configENS1_25partition_config_selectorILNS1_17partition_subalgoE8ElNS0_10empty_typeEbEEZZNS1_14partition_implILS5_8ELb0ES3_jPlPS6_PKS6_NS0_5tupleIJS9_S6_EEENSD_IJSA_SA_EEENS0_18inequality_wrapperIZN2at6native12_GLOBAL__N_124unique_dim_cuda_templateIN3c108BFloat16EEESt5tupleIJNSH_6TensorESO_SO_EERKSO_lbbbEUlllE0_EEPmJS6_EEE10hipError_tPvRmT3_T4_T5_T6_T7_T9_mT8_P12ihipStream_tbDpT10_ENKUlT_T0_E_clISt17integral_constantIbLb1EES1E_EEDaS19_S1A_EUlS19_E_NS1_11comp_targetILNS1_3genE10ELNS1_11target_archE1200ELNS1_3gpuE4ELNS1_3repE0EEENS1_30default_config_static_selectorELNS0_4arch9wavefront6targetE1EEEvT1_.has_dyn_sized_stack, 0
	.set _ZN7rocprim17ROCPRIM_400000_NS6detail17trampoline_kernelINS0_14default_configENS1_25partition_config_selectorILNS1_17partition_subalgoE8ElNS0_10empty_typeEbEEZZNS1_14partition_implILS5_8ELb0ES3_jPlPS6_PKS6_NS0_5tupleIJS9_S6_EEENSD_IJSA_SA_EEENS0_18inequality_wrapperIZN2at6native12_GLOBAL__N_124unique_dim_cuda_templateIN3c108BFloat16EEESt5tupleIJNSH_6TensorESO_SO_EERKSO_lbbbEUlllE0_EEPmJS6_EEE10hipError_tPvRmT3_T4_T5_T6_T7_T9_mT8_P12ihipStream_tbDpT10_ENKUlT_T0_E_clISt17integral_constantIbLb1EES1E_EEDaS19_S1A_EUlS19_E_NS1_11comp_targetILNS1_3genE10ELNS1_11target_archE1200ELNS1_3gpuE4ELNS1_3repE0EEENS1_30default_config_static_selectorELNS0_4arch9wavefront6targetE1EEEvT1_.has_recursion, 0
	.set _ZN7rocprim17ROCPRIM_400000_NS6detail17trampoline_kernelINS0_14default_configENS1_25partition_config_selectorILNS1_17partition_subalgoE8ElNS0_10empty_typeEbEEZZNS1_14partition_implILS5_8ELb0ES3_jPlPS6_PKS6_NS0_5tupleIJS9_S6_EEENSD_IJSA_SA_EEENS0_18inequality_wrapperIZN2at6native12_GLOBAL__N_124unique_dim_cuda_templateIN3c108BFloat16EEESt5tupleIJNSH_6TensorESO_SO_EERKSO_lbbbEUlllE0_EEPmJS6_EEE10hipError_tPvRmT3_T4_T5_T6_T7_T9_mT8_P12ihipStream_tbDpT10_ENKUlT_T0_E_clISt17integral_constantIbLb1EES1E_EEDaS19_S1A_EUlS19_E_NS1_11comp_targetILNS1_3genE10ELNS1_11target_archE1200ELNS1_3gpuE4ELNS1_3repE0EEENS1_30default_config_static_selectorELNS0_4arch9wavefront6targetE1EEEvT1_.has_indirect_call, 0
	.section	.AMDGPU.csdata,"",@progbits
; Kernel info:
; codeLenInByte = 0
; TotalNumSgprs: 6
; NumVgprs: 0
; NumAgprs: 0
; TotalNumVgprs: 0
; ScratchSize: 0
; MemoryBound: 0
; FloatMode: 240
; IeeeMode: 1
; LDSByteSize: 0 bytes/workgroup (compile time only)
; SGPRBlocks: 0
; VGPRBlocks: 0
; NumSGPRsForWavesPerEU: 6
; NumVGPRsForWavesPerEU: 1
; AccumOffset: 4
; Occupancy: 8
; WaveLimiterHint : 0
; COMPUTE_PGM_RSRC2:SCRATCH_EN: 0
; COMPUTE_PGM_RSRC2:USER_SGPR: 2
; COMPUTE_PGM_RSRC2:TRAP_HANDLER: 0
; COMPUTE_PGM_RSRC2:TGID_X_EN: 1
; COMPUTE_PGM_RSRC2:TGID_Y_EN: 0
; COMPUTE_PGM_RSRC2:TGID_Z_EN: 0
; COMPUTE_PGM_RSRC2:TIDIG_COMP_CNT: 0
; COMPUTE_PGM_RSRC3_GFX90A:ACCUM_OFFSET: 0
; COMPUTE_PGM_RSRC3_GFX90A:TG_SPLIT: 0
	.section	.text._ZN7rocprim17ROCPRIM_400000_NS6detail17trampoline_kernelINS0_14default_configENS1_25partition_config_selectorILNS1_17partition_subalgoE8ElNS0_10empty_typeEbEEZZNS1_14partition_implILS5_8ELb0ES3_jPlPS6_PKS6_NS0_5tupleIJS9_S6_EEENSD_IJSA_SA_EEENS0_18inequality_wrapperIZN2at6native12_GLOBAL__N_124unique_dim_cuda_templateIN3c108BFloat16EEESt5tupleIJNSH_6TensorESO_SO_EERKSO_lbbbEUlllE0_EEPmJS6_EEE10hipError_tPvRmT3_T4_T5_T6_T7_T9_mT8_P12ihipStream_tbDpT10_ENKUlT_T0_E_clISt17integral_constantIbLb1EES1E_EEDaS19_S1A_EUlS19_E_NS1_11comp_targetILNS1_3genE9ELNS1_11target_archE1100ELNS1_3gpuE3ELNS1_3repE0EEENS1_30default_config_static_selectorELNS0_4arch9wavefront6targetE1EEEvT1_,"axG",@progbits,_ZN7rocprim17ROCPRIM_400000_NS6detail17trampoline_kernelINS0_14default_configENS1_25partition_config_selectorILNS1_17partition_subalgoE8ElNS0_10empty_typeEbEEZZNS1_14partition_implILS5_8ELb0ES3_jPlPS6_PKS6_NS0_5tupleIJS9_S6_EEENSD_IJSA_SA_EEENS0_18inequality_wrapperIZN2at6native12_GLOBAL__N_124unique_dim_cuda_templateIN3c108BFloat16EEESt5tupleIJNSH_6TensorESO_SO_EERKSO_lbbbEUlllE0_EEPmJS6_EEE10hipError_tPvRmT3_T4_T5_T6_T7_T9_mT8_P12ihipStream_tbDpT10_ENKUlT_T0_E_clISt17integral_constantIbLb1EES1E_EEDaS19_S1A_EUlS19_E_NS1_11comp_targetILNS1_3genE9ELNS1_11target_archE1100ELNS1_3gpuE3ELNS1_3repE0EEENS1_30default_config_static_selectorELNS0_4arch9wavefront6targetE1EEEvT1_,comdat
	.globl	_ZN7rocprim17ROCPRIM_400000_NS6detail17trampoline_kernelINS0_14default_configENS1_25partition_config_selectorILNS1_17partition_subalgoE8ElNS0_10empty_typeEbEEZZNS1_14partition_implILS5_8ELb0ES3_jPlPS6_PKS6_NS0_5tupleIJS9_S6_EEENSD_IJSA_SA_EEENS0_18inequality_wrapperIZN2at6native12_GLOBAL__N_124unique_dim_cuda_templateIN3c108BFloat16EEESt5tupleIJNSH_6TensorESO_SO_EERKSO_lbbbEUlllE0_EEPmJS6_EEE10hipError_tPvRmT3_T4_T5_T6_T7_T9_mT8_P12ihipStream_tbDpT10_ENKUlT_T0_E_clISt17integral_constantIbLb1EES1E_EEDaS19_S1A_EUlS19_E_NS1_11comp_targetILNS1_3genE9ELNS1_11target_archE1100ELNS1_3gpuE3ELNS1_3repE0EEENS1_30default_config_static_selectorELNS0_4arch9wavefront6targetE1EEEvT1_ ; -- Begin function _ZN7rocprim17ROCPRIM_400000_NS6detail17trampoline_kernelINS0_14default_configENS1_25partition_config_selectorILNS1_17partition_subalgoE8ElNS0_10empty_typeEbEEZZNS1_14partition_implILS5_8ELb0ES3_jPlPS6_PKS6_NS0_5tupleIJS9_S6_EEENSD_IJSA_SA_EEENS0_18inequality_wrapperIZN2at6native12_GLOBAL__N_124unique_dim_cuda_templateIN3c108BFloat16EEESt5tupleIJNSH_6TensorESO_SO_EERKSO_lbbbEUlllE0_EEPmJS6_EEE10hipError_tPvRmT3_T4_T5_T6_T7_T9_mT8_P12ihipStream_tbDpT10_ENKUlT_T0_E_clISt17integral_constantIbLb1EES1E_EEDaS19_S1A_EUlS19_E_NS1_11comp_targetILNS1_3genE9ELNS1_11target_archE1100ELNS1_3gpuE3ELNS1_3repE0EEENS1_30default_config_static_selectorELNS0_4arch9wavefront6targetE1EEEvT1_
	.p2align	8
	.type	_ZN7rocprim17ROCPRIM_400000_NS6detail17trampoline_kernelINS0_14default_configENS1_25partition_config_selectorILNS1_17partition_subalgoE8ElNS0_10empty_typeEbEEZZNS1_14partition_implILS5_8ELb0ES3_jPlPS6_PKS6_NS0_5tupleIJS9_S6_EEENSD_IJSA_SA_EEENS0_18inequality_wrapperIZN2at6native12_GLOBAL__N_124unique_dim_cuda_templateIN3c108BFloat16EEESt5tupleIJNSH_6TensorESO_SO_EERKSO_lbbbEUlllE0_EEPmJS6_EEE10hipError_tPvRmT3_T4_T5_T6_T7_T9_mT8_P12ihipStream_tbDpT10_ENKUlT_T0_E_clISt17integral_constantIbLb1EES1E_EEDaS19_S1A_EUlS19_E_NS1_11comp_targetILNS1_3genE9ELNS1_11target_archE1100ELNS1_3gpuE3ELNS1_3repE0EEENS1_30default_config_static_selectorELNS0_4arch9wavefront6targetE1EEEvT1_,@function
_ZN7rocprim17ROCPRIM_400000_NS6detail17trampoline_kernelINS0_14default_configENS1_25partition_config_selectorILNS1_17partition_subalgoE8ElNS0_10empty_typeEbEEZZNS1_14partition_implILS5_8ELb0ES3_jPlPS6_PKS6_NS0_5tupleIJS9_S6_EEENSD_IJSA_SA_EEENS0_18inequality_wrapperIZN2at6native12_GLOBAL__N_124unique_dim_cuda_templateIN3c108BFloat16EEESt5tupleIJNSH_6TensorESO_SO_EERKSO_lbbbEUlllE0_EEPmJS6_EEE10hipError_tPvRmT3_T4_T5_T6_T7_T9_mT8_P12ihipStream_tbDpT10_ENKUlT_T0_E_clISt17integral_constantIbLb1EES1E_EEDaS19_S1A_EUlS19_E_NS1_11comp_targetILNS1_3genE9ELNS1_11target_archE1100ELNS1_3gpuE3ELNS1_3repE0EEENS1_30default_config_static_selectorELNS0_4arch9wavefront6targetE1EEEvT1_: ; @_ZN7rocprim17ROCPRIM_400000_NS6detail17trampoline_kernelINS0_14default_configENS1_25partition_config_selectorILNS1_17partition_subalgoE8ElNS0_10empty_typeEbEEZZNS1_14partition_implILS5_8ELb0ES3_jPlPS6_PKS6_NS0_5tupleIJS9_S6_EEENSD_IJSA_SA_EEENS0_18inequality_wrapperIZN2at6native12_GLOBAL__N_124unique_dim_cuda_templateIN3c108BFloat16EEESt5tupleIJNSH_6TensorESO_SO_EERKSO_lbbbEUlllE0_EEPmJS6_EEE10hipError_tPvRmT3_T4_T5_T6_T7_T9_mT8_P12ihipStream_tbDpT10_ENKUlT_T0_E_clISt17integral_constantIbLb1EES1E_EEDaS19_S1A_EUlS19_E_NS1_11comp_targetILNS1_3genE9ELNS1_11target_archE1100ELNS1_3gpuE3ELNS1_3repE0EEENS1_30default_config_static_selectorELNS0_4arch9wavefront6targetE1EEEvT1_
; %bb.0:
	.section	.rodata,"a",@progbits
	.p2align	6, 0x0
	.amdhsa_kernel _ZN7rocprim17ROCPRIM_400000_NS6detail17trampoline_kernelINS0_14default_configENS1_25partition_config_selectorILNS1_17partition_subalgoE8ElNS0_10empty_typeEbEEZZNS1_14partition_implILS5_8ELb0ES3_jPlPS6_PKS6_NS0_5tupleIJS9_S6_EEENSD_IJSA_SA_EEENS0_18inequality_wrapperIZN2at6native12_GLOBAL__N_124unique_dim_cuda_templateIN3c108BFloat16EEESt5tupleIJNSH_6TensorESO_SO_EERKSO_lbbbEUlllE0_EEPmJS6_EEE10hipError_tPvRmT3_T4_T5_T6_T7_T9_mT8_P12ihipStream_tbDpT10_ENKUlT_T0_E_clISt17integral_constantIbLb1EES1E_EEDaS19_S1A_EUlS19_E_NS1_11comp_targetILNS1_3genE9ELNS1_11target_archE1100ELNS1_3gpuE3ELNS1_3repE0EEENS1_30default_config_static_selectorELNS0_4arch9wavefront6targetE1EEEvT1_
		.amdhsa_group_segment_fixed_size 0
		.amdhsa_private_segment_fixed_size 0
		.amdhsa_kernarg_size 136
		.amdhsa_user_sgpr_count 2
		.amdhsa_user_sgpr_dispatch_ptr 0
		.amdhsa_user_sgpr_queue_ptr 0
		.amdhsa_user_sgpr_kernarg_segment_ptr 1
		.amdhsa_user_sgpr_dispatch_id 0
		.amdhsa_user_sgpr_kernarg_preload_length 0
		.amdhsa_user_sgpr_kernarg_preload_offset 0
		.amdhsa_user_sgpr_private_segment_size 0
		.amdhsa_uses_dynamic_stack 0
		.amdhsa_enable_private_segment 0
		.amdhsa_system_sgpr_workgroup_id_x 1
		.amdhsa_system_sgpr_workgroup_id_y 0
		.amdhsa_system_sgpr_workgroup_id_z 0
		.amdhsa_system_sgpr_workgroup_info 0
		.amdhsa_system_vgpr_workitem_id 0
		.amdhsa_next_free_vgpr 1
		.amdhsa_next_free_sgpr 0
		.amdhsa_accum_offset 4
		.amdhsa_reserve_vcc 0
		.amdhsa_float_round_mode_32 0
		.amdhsa_float_round_mode_16_64 0
		.amdhsa_float_denorm_mode_32 3
		.amdhsa_float_denorm_mode_16_64 3
		.amdhsa_dx10_clamp 1
		.amdhsa_ieee_mode 1
		.amdhsa_fp16_overflow 0
		.amdhsa_tg_split 0
		.amdhsa_exception_fp_ieee_invalid_op 0
		.amdhsa_exception_fp_denorm_src 0
		.amdhsa_exception_fp_ieee_div_zero 0
		.amdhsa_exception_fp_ieee_overflow 0
		.amdhsa_exception_fp_ieee_underflow 0
		.amdhsa_exception_fp_ieee_inexact 0
		.amdhsa_exception_int_div_zero 0
	.end_amdhsa_kernel
	.section	.text._ZN7rocprim17ROCPRIM_400000_NS6detail17trampoline_kernelINS0_14default_configENS1_25partition_config_selectorILNS1_17partition_subalgoE8ElNS0_10empty_typeEbEEZZNS1_14partition_implILS5_8ELb0ES3_jPlPS6_PKS6_NS0_5tupleIJS9_S6_EEENSD_IJSA_SA_EEENS0_18inequality_wrapperIZN2at6native12_GLOBAL__N_124unique_dim_cuda_templateIN3c108BFloat16EEESt5tupleIJNSH_6TensorESO_SO_EERKSO_lbbbEUlllE0_EEPmJS6_EEE10hipError_tPvRmT3_T4_T5_T6_T7_T9_mT8_P12ihipStream_tbDpT10_ENKUlT_T0_E_clISt17integral_constantIbLb1EES1E_EEDaS19_S1A_EUlS19_E_NS1_11comp_targetILNS1_3genE9ELNS1_11target_archE1100ELNS1_3gpuE3ELNS1_3repE0EEENS1_30default_config_static_selectorELNS0_4arch9wavefront6targetE1EEEvT1_,"axG",@progbits,_ZN7rocprim17ROCPRIM_400000_NS6detail17trampoline_kernelINS0_14default_configENS1_25partition_config_selectorILNS1_17partition_subalgoE8ElNS0_10empty_typeEbEEZZNS1_14partition_implILS5_8ELb0ES3_jPlPS6_PKS6_NS0_5tupleIJS9_S6_EEENSD_IJSA_SA_EEENS0_18inequality_wrapperIZN2at6native12_GLOBAL__N_124unique_dim_cuda_templateIN3c108BFloat16EEESt5tupleIJNSH_6TensorESO_SO_EERKSO_lbbbEUlllE0_EEPmJS6_EEE10hipError_tPvRmT3_T4_T5_T6_T7_T9_mT8_P12ihipStream_tbDpT10_ENKUlT_T0_E_clISt17integral_constantIbLb1EES1E_EEDaS19_S1A_EUlS19_E_NS1_11comp_targetILNS1_3genE9ELNS1_11target_archE1100ELNS1_3gpuE3ELNS1_3repE0EEENS1_30default_config_static_selectorELNS0_4arch9wavefront6targetE1EEEvT1_,comdat
.Lfunc_end1188:
	.size	_ZN7rocprim17ROCPRIM_400000_NS6detail17trampoline_kernelINS0_14default_configENS1_25partition_config_selectorILNS1_17partition_subalgoE8ElNS0_10empty_typeEbEEZZNS1_14partition_implILS5_8ELb0ES3_jPlPS6_PKS6_NS0_5tupleIJS9_S6_EEENSD_IJSA_SA_EEENS0_18inequality_wrapperIZN2at6native12_GLOBAL__N_124unique_dim_cuda_templateIN3c108BFloat16EEESt5tupleIJNSH_6TensorESO_SO_EERKSO_lbbbEUlllE0_EEPmJS6_EEE10hipError_tPvRmT3_T4_T5_T6_T7_T9_mT8_P12ihipStream_tbDpT10_ENKUlT_T0_E_clISt17integral_constantIbLb1EES1E_EEDaS19_S1A_EUlS19_E_NS1_11comp_targetILNS1_3genE9ELNS1_11target_archE1100ELNS1_3gpuE3ELNS1_3repE0EEENS1_30default_config_static_selectorELNS0_4arch9wavefront6targetE1EEEvT1_, .Lfunc_end1188-_ZN7rocprim17ROCPRIM_400000_NS6detail17trampoline_kernelINS0_14default_configENS1_25partition_config_selectorILNS1_17partition_subalgoE8ElNS0_10empty_typeEbEEZZNS1_14partition_implILS5_8ELb0ES3_jPlPS6_PKS6_NS0_5tupleIJS9_S6_EEENSD_IJSA_SA_EEENS0_18inequality_wrapperIZN2at6native12_GLOBAL__N_124unique_dim_cuda_templateIN3c108BFloat16EEESt5tupleIJNSH_6TensorESO_SO_EERKSO_lbbbEUlllE0_EEPmJS6_EEE10hipError_tPvRmT3_T4_T5_T6_T7_T9_mT8_P12ihipStream_tbDpT10_ENKUlT_T0_E_clISt17integral_constantIbLb1EES1E_EEDaS19_S1A_EUlS19_E_NS1_11comp_targetILNS1_3genE9ELNS1_11target_archE1100ELNS1_3gpuE3ELNS1_3repE0EEENS1_30default_config_static_selectorELNS0_4arch9wavefront6targetE1EEEvT1_
                                        ; -- End function
	.set _ZN7rocprim17ROCPRIM_400000_NS6detail17trampoline_kernelINS0_14default_configENS1_25partition_config_selectorILNS1_17partition_subalgoE8ElNS0_10empty_typeEbEEZZNS1_14partition_implILS5_8ELb0ES3_jPlPS6_PKS6_NS0_5tupleIJS9_S6_EEENSD_IJSA_SA_EEENS0_18inequality_wrapperIZN2at6native12_GLOBAL__N_124unique_dim_cuda_templateIN3c108BFloat16EEESt5tupleIJNSH_6TensorESO_SO_EERKSO_lbbbEUlllE0_EEPmJS6_EEE10hipError_tPvRmT3_T4_T5_T6_T7_T9_mT8_P12ihipStream_tbDpT10_ENKUlT_T0_E_clISt17integral_constantIbLb1EES1E_EEDaS19_S1A_EUlS19_E_NS1_11comp_targetILNS1_3genE9ELNS1_11target_archE1100ELNS1_3gpuE3ELNS1_3repE0EEENS1_30default_config_static_selectorELNS0_4arch9wavefront6targetE1EEEvT1_.num_vgpr, 0
	.set _ZN7rocprim17ROCPRIM_400000_NS6detail17trampoline_kernelINS0_14default_configENS1_25partition_config_selectorILNS1_17partition_subalgoE8ElNS0_10empty_typeEbEEZZNS1_14partition_implILS5_8ELb0ES3_jPlPS6_PKS6_NS0_5tupleIJS9_S6_EEENSD_IJSA_SA_EEENS0_18inequality_wrapperIZN2at6native12_GLOBAL__N_124unique_dim_cuda_templateIN3c108BFloat16EEESt5tupleIJNSH_6TensorESO_SO_EERKSO_lbbbEUlllE0_EEPmJS6_EEE10hipError_tPvRmT3_T4_T5_T6_T7_T9_mT8_P12ihipStream_tbDpT10_ENKUlT_T0_E_clISt17integral_constantIbLb1EES1E_EEDaS19_S1A_EUlS19_E_NS1_11comp_targetILNS1_3genE9ELNS1_11target_archE1100ELNS1_3gpuE3ELNS1_3repE0EEENS1_30default_config_static_selectorELNS0_4arch9wavefront6targetE1EEEvT1_.num_agpr, 0
	.set _ZN7rocprim17ROCPRIM_400000_NS6detail17trampoline_kernelINS0_14default_configENS1_25partition_config_selectorILNS1_17partition_subalgoE8ElNS0_10empty_typeEbEEZZNS1_14partition_implILS5_8ELb0ES3_jPlPS6_PKS6_NS0_5tupleIJS9_S6_EEENSD_IJSA_SA_EEENS0_18inequality_wrapperIZN2at6native12_GLOBAL__N_124unique_dim_cuda_templateIN3c108BFloat16EEESt5tupleIJNSH_6TensorESO_SO_EERKSO_lbbbEUlllE0_EEPmJS6_EEE10hipError_tPvRmT3_T4_T5_T6_T7_T9_mT8_P12ihipStream_tbDpT10_ENKUlT_T0_E_clISt17integral_constantIbLb1EES1E_EEDaS19_S1A_EUlS19_E_NS1_11comp_targetILNS1_3genE9ELNS1_11target_archE1100ELNS1_3gpuE3ELNS1_3repE0EEENS1_30default_config_static_selectorELNS0_4arch9wavefront6targetE1EEEvT1_.numbered_sgpr, 0
	.set _ZN7rocprim17ROCPRIM_400000_NS6detail17trampoline_kernelINS0_14default_configENS1_25partition_config_selectorILNS1_17partition_subalgoE8ElNS0_10empty_typeEbEEZZNS1_14partition_implILS5_8ELb0ES3_jPlPS6_PKS6_NS0_5tupleIJS9_S6_EEENSD_IJSA_SA_EEENS0_18inequality_wrapperIZN2at6native12_GLOBAL__N_124unique_dim_cuda_templateIN3c108BFloat16EEESt5tupleIJNSH_6TensorESO_SO_EERKSO_lbbbEUlllE0_EEPmJS6_EEE10hipError_tPvRmT3_T4_T5_T6_T7_T9_mT8_P12ihipStream_tbDpT10_ENKUlT_T0_E_clISt17integral_constantIbLb1EES1E_EEDaS19_S1A_EUlS19_E_NS1_11comp_targetILNS1_3genE9ELNS1_11target_archE1100ELNS1_3gpuE3ELNS1_3repE0EEENS1_30default_config_static_selectorELNS0_4arch9wavefront6targetE1EEEvT1_.num_named_barrier, 0
	.set _ZN7rocprim17ROCPRIM_400000_NS6detail17trampoline_kernelINS0_14default_configENS1_25partition_config_selectorILNS1_17partition_subalgoE8ElNS0_10empty_typeEbEEZZNS1_14partition_implILS5_8ELb0ES3_jPlPS6_PKS6_NS0_5tupleIJS9_S6_EEENSD_IJSA_SA_EEENS0_18inequality_wrapperIZN2at6native12_GLOBAL__N_124unique_dim_cuda_templateIN3c108BFloat16EEESt5tupleIJNSH_6TensorESO_SO_EERKSO_lbbbEUlllE0_EEPmJS6_EEE10hipError_tPvRmT3_T4_T5_T6_T7_T9_mT8_P12ihipStream_tbDpT10_ENKUlT_T0_E_clISt17integral_constantIbLb1EES1E_EEDaS19_S1A_EUlS19_E_NS1_11comp_targetILNS1_3genE9ELNS1_11target_archE1100ELNS1_3gpuE3ELNS1_3repE0EEENS1_30default_config_static_selectorELNS0_4arch9wavefront6targetE1EEEvT1_.private_seg_size, 0
	.set _ZN7rocprim17ROCPRIM_400000_NS6detail17trampoline_kernelINS0_14default_configENS1_25partition_config_selectorILNS1_17partition_subalgoE8ElNS0_10empty_typeEbEEZZNS1_14partition_implILS5_8ELb0ES3_jPlPS6_PKS6_NS0_5tupleIJS9_S6_EEENSD_IJSA_SA_EEENS0_18inequality_wrapperIZN2at6native12_GLOBAL__N_124unique_dim_cuda_templateIN3c108BFloat16EEESt5tupleIJNSH_6TensorESO_SO_EERKSO_lbbbEUlllE0_EEPmJS6_EEE10hipError_tPvRmT3_T4_T5_T6_T7_T9_mT8_P12ihipStream_tbDpT10_ENKUlT_T0_E_clISt17integral_constantIbLb1EES1E_EEDaS19_S1A_EUlS19_E_NS1_11comp_targetILNS1_3genE9ELNS1_11target_archE1100ELNS1_3gpuE3ELNS1_3repE0EEENS1_30default_config_static_selectorELNS0_4arch9wavefront6targetE1EEEvT1_.uses_vcc, 0
	.set _ZN7rocprim17ROCPRIM_400000_NS6detail17trampoline_kernelINS0_14default_configENS1_25partition_config_selectorILNS1_17partition_subalgoE8ElNS0_10empty_typeEbEEZZNS1_14partition_implILS5_8ELb0ES3_jPlPS6_PKS6_NS0_5tupleIJS9_S6_EEENSD_IJSA_SA_EEENS0_18inequality_wrapperIZN2at6native12_GLOBAL__N_124unique_dim_cuda_templateIN3c108BFloat16EEESt5tupleIJNSH_6TensorESO_SO_EERKSO_lbbbEUlllE0_EEPmJS6_EEE10hipError_tPvRmT3_T4_T5_T6_T7_T9_mT8_P12ihipStream_tbDpT10_ENKUlT_T0_E_clISt17integral_constantIbLb1EES1E_EEDaS19_S1A_EUlS19_E_NS1_11comp_targetILNS1_3genE9ELNS1_11target_archE1100ELNS1_3gpuE3ELNS1_3repE0EEENS1_30default_config_static_selectorELNS0_4arch9wavefront6targetE1EEEvT1_.uses_flat_scratch, 0
	.set _ZN7rocprim17ROCPRIM_400000_NS6detail17trampoline_kernelINS0_14default_configENS1_25partition_config_selectorILNS1_17partition_subalgoE8ElNS0_10empty_typeEbEEZZNS1_14partition_implILS5_8ELb0ES3_jPlPS6_PKS6_NS0_5tupleIJS9_S6_EEENSD_IJSA_SA_EEENS0_18inequality_wrapperIZN2at6native12_GLOBAL__N_124unique_dim_cuda_templateIN3c108BFloat16EEESt5tupleIJNSH_6TensorESO_SO_EERKSO_lbbbEUlllE0_EEPmJS6_EEE10hipError_tPvRmT3_T4_T5_T6_T7_T9_mT8_P12ihipStream_tbDpT10_ENKUlT_T0_E_clISt17integral_constantIbLb1EES1E_EEDaS19_S1A_EUlS19_E_NS1_11comp_targetILNS1_3genE9ELNS1_11target_archE1100ELNS1_3gpuE3ELNS1_3repE0EEENS1_30default_config_static_selectorELNS0_4arch9wavefront6targetE1EEEvT1_.has_dyn_sized_stack, 0
	.set _ZN7rocprim17ROCPRIM_400000_NS6detail17trampoline_kernelINS0_14default_configENS1_25partition_config_selectorILNS1_17partition_subalgoE8ElNS0_10empty_typeEbEEZZNS1_14partition_implILS5_8ELb0ES3_jPlPS6_PKS6_NS0_5tupleIJS9_S6_EEENSD_IJSA_SA_EEENS0_18inequality_wrapperIZN2at6native12_GLOBAL__N_124unique_dim_cuda_templateIN3c108BFloat16EEESt5tupleIJNSH_6TensorESO_SO_EERKSO_lbbbEUlllE0_EEPmJS6_EEE10hipError_tPvRmT3_T4_T5_T6_T7_T9_mT8_P12ihipStream_tbDpT10_ENKUlT_T0_E_clISt17integral_constantIbLb1EES1E_EEDaS19_S1A_EUlS19_E_NS1_11comp_targetILNS1_3genE9ELNS1_11target_archE1100ELNS1_3gpuE3ELNS1_3repE0EEENS1_30default_config_static_selectorELNS0_4arch9wavefront6targetE1EEEvT1_.has_recursion, 0
	.set _ZN7rocprim17ROCPRIM_400000_NS6detail17trampoline_kernelINS0_14default_configENS1_25partition_config_selectorILNS1_17partition_subalgoE8ElNS0_10empty_typeEbEEZZNS1_14partition_implILS5_8ELb0ES3_jPlPS6_PKS6_NS0_5tupleIJS9_S6_EEENSD_IJSA_SA_EEENS0_18inequality_wrapperIZN2at6native12_GLOBAL__N_124unique_dim_cuda_templateIN3c108BFloat16EEESt5tupleIJNSH_6TensorESO_SO_EERKSO_lbbbEUlllE0_EEPmJS6_EEE10hipError_tPvRmT3_T4_T5_T6_T7_T9_mT8_P12ihipStream_tbDpT10_ENKUlT_T0_E_clISt17integral_constantIbLb1EES1E_EEDaS19_S1A_EUlS19_E_NS1_11comp_targetILNS1_3genE9ELNS1_11target_archE1100ELNS1_3gpuE3ELNS1_3repE0EEENS1_30default_config_static_selectorELNS0_4arch9wavefront6targetE1EEEvT1_.has_indirect_call, 0
	.section	.AMDGPU.csdata,"",@progbits
; Kernel info:
; codeLenInByte = 0
; TotalNumSgprs: 6
; NumVgprs: 0
; NumAgprs: 0
; TotalNumVgprs: 0
; ScratchSize: 0
; MemoryBound: 0
; FloatMode: 240
; IeeeMode: 1
; LDSByteSize: 0 bytes/workgroup (compile time only)
; SGPRBlocks: 0
; VGPRBlocks: 0
; NumSGPRsForWavesPerEU: 6
; NumVGPRsForWavesPerEU: 1
; AccumOffset: 4
; Occupancy: 8
; WaveLimiterHint : 0
; COMPUTE_PGM_RSRC2:SCRATCH_EN: 0
; COMPUTE_PGM_RSRC2:USER_SGPR: 2
; COMPUTE_PGM_RSRC2:TRAP_HANDLER: 0
; COMPUTE_PGM_RSRC2:TGID_X_EN: 1
; COMPUTE_PGM_RSRC2:TGID_Y_EN: 0
; COMPUTE_PGM_RSRC2:TGID_Z_EN: 0
; COMPUTE_PGM_RSRC2:TIDIG_COMP_CNT: 0
; COMPUTE_PGM_RSRC3_GFX90A:ACCUM_OFFSET: 0
; COMPUTE_PGM_RSRC3_GFX90A:TG_SPLIT: 0
	.section	.text._ZN7rocprim17ROCPRIM_400000_NS6detail17trampoline_kernelINS0_14default_configENS1_25partition_config_selectorILNS1_17partition_subalgoE8ElNS0_10empty_typeEbEEZZNS1_14partition_implILS5_8ELb0ES3_jPlPS6_PKS6_NS0_5tupleIJS9_S6_EEENSD_IJSA_SA_EEENS0_18inequality_wrapperIZN2at6native12_GLOBAL__N_124unique_dim_cuda_templateIN3c108BFloat16EEESt5tupleIJNSH_6TensorESO_SO_EERKSO_lbbbEUlllE0_EEPmJS6_EEE10hipError_tPvRmT3_T4_T5_T6_T7_T9_mT8_P12ihipStream_tbDpT10_ENKUlT_T0_E_clISt17integral_constantIbLb1EES1E_EEDaS19_S1A_EUlS19_E_NS1_11comp_targetILNS1_3genE8ELNS1_11target_archE1030ELNS1_3gpuE2ELNS1_3repE0EEENS1_30default_config_static_selectorELNS0_4arch9wavefront6targetE1EEEvT1_,"axG",@progbits,_ZN7rocprim17ROCPRIM_400000_NS6detail17trampoline_kernelINS0_14default_configENS1_25partition_config_selectorILNS1_17partition_subalgoE8ElNS0_10empty_typeEbEEZZNS1_14partition_implILS5_8ELb0ES3_jPlPS6_PKS6_NS0_5tupleIJS9_S6_EEENSD_IJSA_SA_EEENS0_18inequality_wrapperIZN2at6native12_GLOBAL__N_124unique_dim_cuda_templateIN3c108BFloat16EEESt5tupleIJNSH_6TensorESO_SO_EERKSO_lbbbEUlllE0_EEPmJS6_EEE10hipError_tPvRmT3_T4_T5_T6_T7_T9_mT8_P12ihipStream_tbDpT10_ENKUlT_T0_E_clISt17integral_constantIbLb1EES1E_EEDaS19_S1A_EUlS19_E_NS1_11comp_targetILNS1_3genE8ELNS1_11target_archE1030ELNS1_3gpuE2ELNS1_3repE0EEENS1_30default_config_static_selectorELNS0_4arch9wavefront6targetE1EEEvT1_,comdat
	.globl	_ZN7rocprim17ROCPRIM_400000_NS6detail17trampoline_kernelINS0_14default_configENS1_25partition_config_selectorILNS1_17partition_subalgoE8ElNS0_10empty_typeEbEEZZNS1_14partition_implILS5_8ELb0ES3_jPlPS6_PKS6_NS0_5tupleIJS9_S6_EEENSD_IJSA_SA_EEENS0_18inequality_wrapperIZN2at6native12_GLOBAL__N_124unique_dim_cuda_templateIN3c108BFloat16EEESt5tupleIJNSH_6TensorESO_SO_EERKSO_lbbbEUlllE0_EEPmJS6_EEE10hipError_tPvRmT3_T4_T5_T6_T7_T9_mT8_P12ihipStream_tbDpT10_ENKUlT_T0_E_clISt17integral_constantIbLb1EES1E_EEDaS19_S1A_EUlS19_E_NS1_11comp_targetILNS1_3genE8ELNS1_11target_archE1030ELNS1_3gpuE2ELNS1_3repE0EEENS1_30default_config_static_selectorELNS0_4arch9wavefront6targetE1EEEvT1_ ; -- Begin function _ZN7rocprim17ROCPRIM_400000_NS6detail17trampoline_kernelINS0_14default_configENS1_25partition_config_selectorILNS1_17partition_subalgoE8ElNS0_10empty_typeEbEEZZNS1_14partition_implILS5_8ELb0ES3_jPlPS6_PKS6_NS0_5tupleIJS9_S6_EEENSD_IJSA_SA_EEENS0_18inequality_wrapperIZN2at6native12_GLOBAL__N_124unique_dim_cuda_templateIN3c108BFloat16EEESt5tupleIJNSH_6TensorESO_SO_EERKSO_lbbbEUlllE0_EEPmJS6_EEE10hipError_tPvRmT3_T4_T5_T6_T7_T9_mT8_P12ihipStream_tbDpT10_ENKUlT_T0_E_clISt17integral_constantIbLb1EES1E_EEDaS19_S1A_EUlS19_E_NS1_11comp_targetILNS1_3genE8ELNS1_11target_archE1030ELNS1_3gpuE2ELNS1_3repE0EEENS1_30default_config_static_selectorELNS0_4arch9wavefront6targetE1EEEvT1_
	.p2align	8
	.type	_ZN7rocprim17ROCPRIM_400000_NS6detail17trampoline_kernelINS0_14default_configENS1_25partition_config_selectorILNS1_17partition_subalgoE8ElNS0_10empty_typeEbEEZZNS1_14partition_implILS5_8ELb0ES3_jPlPS6_PKS6_NS0_5tupleIJS9_S6_EEENSD_IJSA_SA_EEENS0_18inequality_wrapperIZN2at6native12_GLOBAL__N_124unique_dim_cuda_templateIN3c108BFloat16EEESt5tupleIJNSH_6TensorESO_SO_EERKSO_lbbbEUlllE0_EEPmJS6_EEE10hipError_tPvRmT3_T4_T5_T6_T7_T9_mT8_P12ihipStream_tbDpT10_ENKUlT_T0_E_clISt17integral_constantIbLb1EES1E_EEDaS19_S1A_EUlS19_E_NS1_11comp_targetILNS1_3genE8ELNS1_11target_archE1030ELNS1_3gpuE2ELNS1_3repE0EEENS1_30default_config_static_selectorELNS0_4arch9wavefront6targetE1EEEvT1_,@function
_ZN7rocprim17ROCPRIM_400000_NS6detail17trampoline_kernelINS0_14default_configENS1_25partition_config_selectorILNS1_17partition_subalgoE8ElNS0_10empty_typeEbEEZZNS1_14partition_implILS5_8ELb0ES3_jPlPS6_PKS6_NS0_5tupleIJS9_S6_EEENSD_IJSA_SA_EEENS0_18inequality_wrapperIZN2at6native12_GLOBAL__N_124unique_dim_cuda_templateIN3c108BFloat16EEESt5tupleIJNSH_6TensorESO_SO_EERKSO_lbbbEUlllE0_EEPmJS6_EEE10hipError_tPvRmT3_T4_T5_T6_T7_T9_mT8_P12ihipStream_tbDpT10_ENKUlT_T0_E_clISt17integral_constantIbLb1EES1E_EEDaS19_S1A_EUlS19_E_NS1_11comp_targetILNS1_3genE8ELNS1_11target_archE1030ELNS1_3gpuE2ELNS1_3repE0EEENS1_30default_config_static_selectorELNS0_4arch9wavefront6targetE1EEEvT1_: ; @_ZN7rocprim17ROCPRIM_400000_NS6detail17trampoline_kernelINS0_14default_configENS1_25partition_config_selectorILNS1_17partition_subalgoE8ElNS0_10empty_typeEbEEZZNS1_14partition_implILS5_8ELb0ES3_jPlPS6_PKS6_NS0_5tupleIJS9_S6_EEENSD_IJSA_SA_EEENS0_18inequality_wrapperIZN2at6native12_GLOBAL__N_124unique_dim_cuda_templateIN3c108BFloat16EEESt5tupleIJNSH_6TensorESO_SO_EERKSO_lbbbEUlllE0_EEPmJS6_EEE10hipError_tPvRmT3_T4_T5_T6_T7_T9_mT8_P12ihipStream_tbDpT10_ENKUlT_T0_E_clISt17integral_constantIbLb1EES1E_EEDaS19_S1A_EUlS19_E_NS1_11comp_targetILNS1_3genE8ELNS1_11target_archE1030ELNS1_3gpuE2ELNS1_3repE0EEENS1_30default_config_static_selectorELNS0_4arch9wavefront6targetE1EEEvT1_
; %bb.0:
	.section	.rodata,"a",@progbits
	.p2align	6, 0x0
	.amdhsa_kernel _ZN7rocprim17ROCPRIM_400000_NS6detail17trampoline_kernelINS0_14default_configENS1_25partition_config_selectorILNS1_17partition_subalgoE8ElNS0_10empty_typeEbEEZZNS1_14partition_implILS5_8ELb0ES3_jPlPS6_PKS6_NS0_5tupleIJS9_S6_EEENSD_IJSA_SA_EEENS0_18inequality_wrapperIZN2at6native12_GLOBAL__N_124unique_dim_cuda_templateIN3c108BFloat16EEESt5tupleIJNSH_6TensorESO_SO_EERKSO_lbbbEUlllE0_EEPmJS6_EEE10hipError_tPvRmT3_T4_T5_T6_T7_T9_mT8_P12ihipStream_tbDpT10_ENKUlT_T0_E_clISt17integral_constantIbLb1EES1E_EEDaS19_S1A_EUlS19_E_NS1_11comp_targetILNS1_3genE8ELNS1_11target_archE1030ELNS1_3gpuE2ELNS1_3repE0EEENS1_30default_config_static_selectorELNS0_4arch9wavefront6targetE1EEEvT1_
		.amdhsa_group_segment_fixed_size 0
		.amdhsa_private_segment_fixed_size 0
		.amdhsa_kernarg_size 136
		.amdhsa_user_sgpr_count 2
		.amdhsa_user_sgpr_dispatch_ptr 0
		.amdhsa_user_sgpr_queue_ptr 0
		.amdhsa_user_sgpr_kernarg_segment_ptr 1
		.amdhsa_user_sgpr_dispatch_id 0
		.amdhsa_user_sgpr_kernarg_preload_length 0
		.amdhsa_user_sgpr_kernarg_preload_offset 0
		.amdhsa_user_sgpr_private_segment_size 0
		.amdhsa_uses_dynamic_stack 0
		.amdhsa_enable_private_segment 0
		.amdhsa_system_sgpr_workgroup_id_x 1
		.amdhsa_system_sgpr_workgroup_id_y 0
		.amdhsa_system_sgpr_workgroup_id_z 0
		.amdhsa_system_sgpr_workgroup_info 0
		.amdhsa_system_vgpr_workitem_id 0
		.amdhsa_next_free_vgpr 1
		.amdhsa_next_free_sgpr 0
		.amdhsa_accum_offset 4
		.amdhsa_reserve_vcc 0
		.amdhsa_float_round_mode_32 0
		.amdhsa_float_round_mode_16_64 0
		.amdhsa_float_denorm_mode_32 3
		.amdhsa_float_denorm_mode_16_64 3
		.amdhsa_dx10_clamp 1
		.amdhsa_ieee_mode 1
		.amdhsa_fp16_overflow 0
		.amdhsa_tg_split 0
		.amdhsa_exception_fp_ieee_invalid_op 0
		.amdhsa_exception_fp_denorm_src 0
		.amdhsa_exception_fp_ieee_div_zero 0
		.amdhsa_exception_fp_ieee_overflow 0
		.amdhsa_exception_fp_ieee_underflow 0
		.amdhsa_exception_fp_ieee_inexact 0
		.amdhsa_exception_int_div_zero 0
	.end_amdhsa_kernel
	.section	.text._ZN7rocprim17ROCPRIM_400000_NS6detail17trampoline_kernelINS0_14default_configENS1_25partition_config_selectorILNS1_17partition_subalgoE8ElNS0_10empty_typeEbEEZZNS1_14partition_implILS5_8ELb0ES3_jPlPS6_PKS6_NS0_5tupleIJS9_S6_EEENSD_IJSA_SA_EEENS0_18inequality_wrapperIZN2at6native12_GLOBAL__N_124unique_dim_cuda_templateIN3c108BFloat16EEESt5tupleIJNSH_6TensorESO_SO_EERKSO_lbbbEUlllE0_EEPmJS6_EEE10hipError_tPvRmT3_T4_T5_T6_T7_T9_mT8_P12ihipStream_tbDpT10_ENKUlT_T0_E_clISt17integral_constantIbLb1EES1E_EEDaS19_S1A_EUlS19_E_NS1_11comp_targetILNS1_3genE8ELNS1_11target_archE1030ELNS1_3gpuE2ELNS1_3repE0EEENS1_30default_config_static_selectorELNS0_4arch9wavefront6targetE1EEEvT1_,"axG",@progbits,_ZN7rocprim17ROCPRIM_400000_NS6detail17trampoline_kernelINS0_14default_configENS1_25partition_config_selectorILNS1_17partition_subalgoE8ElNS0_10empty_typeEbEEZZNS1_14partition_implILS5_8ELb0ES3_jPlPS6_PKS6_NS0_5tupleIJS9_S6_EEENSD_IJSA_SA_EEENS0_18inequality_wrapperIZN2at6native12_GLOBAL__N_124unique_dim_cuda_templateIN3c108BFloat16EEESt5tupleIJNSH_6TensorESO_SO_EERKSO_lbbbEUlllE0_EEPmJS6_EEE10hipError_tPvRmT3_T4_T5_T6_T7_T9_mT8_P12ihipStream_tbDpT10_ENKUlT_T0_E_clISt17integral_constantIbLb1EES1E_EEDaS19_S1A_EUlS19_E_NS1_11comp_targetILNS1_3genE8ELNS1_11target_archE1030ELNS1_3gpuE2ELNS1_3repE0EEENS1_30default_config_static_selectorELNS0_4arch9wavefront6targetE1EEEvT1_,comdat
.Lfunc_end1189:
	.size	_ZN7rocprim17ROCPRIM_400000_NS6detail17trampoline_kernelINS0_14default_configENS1_25partition_config_selectorILNS1_17partition_subalgoE8ElNS0_10empty_typeEbEEZZNS1_14partition_implILS5_8ELb0ES3_jPlPS6_PKS6_NS0_5tupleIJS9_S6_EEENSD_IJSA_SA_EEENS0_18inequality_wrapperIZN2at6native12_GLOBAL__N_124unique_dim_cuda_templateIN3c108BFloat16EEESt5tupleIJNSH_6TensorESO_SO_EERKSO_lbbbEUlllE0_EEPmJS6_EEE10hipError_tPvRmT3_T4_T5_T6_T7_T9_mT8_P12ihipStream_tbDpT10_ENKUlT_T0_E_clISt17integral_constantIbLb1EES1E_EEDaS19_S1A_EUlS19_E_NS1_11comp_targetILNS1_3genE8ELNS1_11target_archE1030ELNS1_3gpuE2ELNS1_3repE0EEENS1_30default_config_static_selectorELNS0_4arch9wavefront6targetE1EEEvT1_, .Lfunc_end1189-_ZN7rocprim17ROCPRIM_400000_NS6detail17trampoline_kernelINS0_14default_configENS1_25partition_config_selectorILNS1_17partition_subalgoE8ElNS0_10empty_typeEbEEZZNS1_14partition_implILS5_8ELb0ES3_jPlPS6_PKS6_NS0_5tupleIJS9_S6_EEENSD_IJSA_SA_EEENS0_18inequality_wrapperIZN2at6native12_GLOBAL__N_124unique_dim_cuda_templateIN3c108BFloat16EEESt5tupleIJNSH_6TensorESO_SO_EERKSO_lbbbEUlllE0_EEPmJS6_EEE10hipError_tPvRmT3_T4_T5_T6_T7_T9_mT8_P12ihipStream_tbDpT10_ENKUlT_T0_E_clISt17integral_constantIbLb1EES1E_EEDaS19_S1A_EUlS19_E_NS1_11comp_targetILNS1_3genE8ELNS1_11target_archE1030ELNS1_3gpuE2ELNS1_3repE0EEENS1_30default_config_static_selectorELNS0_4arch9wavefront6targetE1EEEvT1_
                                        ; -- End function
	.set _ZN7rocprim17ROCPRIM_400000_NS6detail17trampoline_kernelINS0_14default_configENS1_25partition_config_selectorILNS1_17partition_subalgoE8ElNS0_10empty_typeEbEEZZNS1_14partition_implILS5_8ELb0ES3_jPlPS6_PKS6_NS0_5tupleIJS9_S6_EEENSD_IJSA_SA_EEENS0_18inequality_wrapperIZN2at6native12_GLOBAL__N_124unique_dim_cuda_templateIN3c108BFloat16EEESt5tupleIJNSH_6TensorESO_SO_EERKSO_lbbbEUlllE0_EEPmJS6_EEE10hipError_tPvRmT3_T4_T5_T6_T7_T9_mT8_P12ihipStream_tbDpT10_ENKUlT_T0_E_clISt17integral_constantIbLb1EES1E_EEDaS19_S1A_EUlS19_E_NS1_11comp_targetILNS1_3genE8ELNS1_11target_archE1030ELNS1_3gpuE2ELNS1_3repE0EEENS1_30default_config_static_selectorELNS0_4arch9wavefront6targetE1EEEvT1_.num_vgpr, 0
	.set _ZN7rocprim17ROCPRIM_400000_NS6detail17trampoline_kernelINS0_14default_configENS1_25partition_config_selectorILNS1_17partition_subalgoE8ElNS0_10empty_typeEbEEZZNS1_14partition_implILS5_8ELb0ES3_jPlPS6_PKS6_NS0_5tupleIJS9_S6_EEENSD_IJSA_SA_EEENS0_18inequality_wrapperIZN2at6native12_GLOBAL__N_124unique_dim_cuda_templateIN3c108BFloat16EEESt5tupleIJNSH_6TensorESO_SO_EERKSO_lbbbEUlllE0_EEPmJS6_EEE10hipError_tPvRmT3_T4_T5_T6_T7_T9_mT8_P12ihipStream_tbDpT10_ENKUlT_T0_E_clISt17integral_constantIbLb1EES1E_EEDaS19_S1A_EUlS19_E_NS1_11comp_targetILNS1_3genE8ELNS1_11target_archE1030ELNS1_3gpuE2ELNS1_3repE0EEENS1_30default_config_static_selectorELNS0_4arch9wavefront6targetE1EEEvT1_.num_agpr, 0
	.set _ZN7rocprim17ROCPRIM_400000_NS6detail17trampoline_kernelINS0_14default_configENS1_25partition_config_selectorILNS1_17partition_subalgoE8ElNS0_10empty_typeEbEEZZNS1_14partition_implILS5_8ELb0ES3_jPlPS6_PKS6_NS0_5tupleIJS9_S6_EEENSD_IJSA_SA_EEENS0_18inequality_wrapperIZN2at6native12_GLOBAL__N_124unique_dim_cuda_templateIN3c108BFloat16EEESt5tupleIJNSH_6TensorESO_SO_EERKSO_lbbbEUlllE0_EEPmJS6_EEE10hipError_tPvRmT3_T4_T5_T6_T7_T9_mT8_P12ihipStream_tbDpT10_ENKUlT_T0_E_clISt17integral_constantIbLb1EES1E_EEDaS19_S1A_EUlS19_E_NS1_11comp_targetILNS1_3genE8ELNS1_11target_archE1030ELNS1_3gpuE2ELNS1_3repE0EEENS1_30default_config_static_selectorELNS0_4arch9wavefront6targetE1EEEvT1_.numbered_sgpr, 0
	.set _ZN7rocprim17ROCPRIM_400000_NS6detail17trampoline_kernelINS0_14default_configENS1_25partition_config_selectorILNS1_17partition_subalgoE8ElNS0_10empty_typeEbEEZZNS1_14partition_implILS5_8ELb0ES3_jPlPS6_PKS6_NS0_5tupleIJS9_S6_EEENSD_IJSA_SA_EEENS0_18inequality_wrapperIZN2at6native12_GLOBAL__N_124unique_dim_cuda_templateIN3c108BFloat16EEESt5tupleIJNSH_6TensorESO_SO_EERKSO_lbbbEUlllE0_EEPmJS6_EEE10hipError_tPvRmT3_T4_T5_T6_T7_T9_mT8_P12ihipStream_tbDpT10_ENKUlT_T0_E_clISt17integral_constantIbLb1EES1E_EEDaS19_S1A_EUlS19_E_NS1_11comp_targetILNS1_3genE8ELNS1_11target_archE1030ELNS1_3gpuE2ELNS1_3repE0EEENS1_30default_config_static_selectorELNS0_4arch9wavefront6targetE1EEEvT1_.num_named_barrier, 0
	.set _ZN7rocprim17ROCPRIM_400000_NS6detail17trampoline_kernelINS0_14default_configENS1_25partition_config_selectorILNS1_17partition_subalgoE8ElNS0_10empty_typeEbEEZZNS1_14partition_implILS5_8ELb0ES3_jPlPS6_PKS6_NS0_5tupleIJS9_S6_EEENSD_IJSA_SA_EEENS0_18inequality_wrapperIZN2at6native12_GLOBAL__N_124unique_dim_cuda_templateIN3c108BFloat16EEESt5tupleIJNSH_6TensorESO_SO_EERKSO_lbbbEUlllE0_EEPmJS6_EEE10hipError_tPvRmT3_T4_T5_T6_T7_T9_mT8_P12ihipStream_tbDpT10_ENKUlT_T0_E_clISt17integral_constantIbLb1EES1E_EEDaS19_S1A_EUlS19_E_NS1_11comp_targetILNS1_3genE8ELNS1_11target_archE1030ELNS1_3gpuE2ELNS1_3repE0EEENS1_30default_config_static_selectorELNS0_4arch9wavefront6targetE1EEEvT1_.private_seg_size, 0
	.set _ZN7rocprim17ROCPRIM_400000_NS6detail17trampoline_kernelINS0_14default_configENS1_25partition_config_selectorILNS1_17partition_subalgoE8ElNS0_10empty_typeEbEEZZNS1_14partition_implILS5_8ELb0ES3_jPlPS6_PKS6_NS0_5tupleIJS9_S6_EEENSD_IJSA_SA_EEENS0_18inequality_wrapperIZN2at6native12_GLOBAL__N_124unique_dim_cuda_templateIN3c108BFloat16EEESt5tupleIJNSH_6TensorESO_SO_EERKSO_lbbbEUlllE0_EEPmJS6_EEE10hipError_tPvRmT3_T4_T5_T6_T7_T9_mT8_P12ihipStream_tbDpT10_ENKUlT_T0_E_clISt17integral_constantIbLb1EES1E_EEDaS19_S1A_EUlS19_E_NS1_11comp_targetILNS1_3genE8ELNS1_11target_archE1030ELNS1_3gpuE2ELNS1_3repE0EEENS1_30default_config_static_selectorELNS0_4arch9wavefront6targetE1EEEvT1_.uses_vcc, 0
	.set _ZN7rocprim17ROCPRIM_400000_NS6detail17trampoline_kernelINS0_14default_configENS1_25partition_config_selectorILNS1_17partition_subalgoE8ElNS0_10empty_typeEbEEZZNS1_14partition_implILS5_8ELb0ES3_jPlPS6_PKS6_NS0_5tupleIJS9_S6_EEENSD_IJSA_SA_EEENS0_18inequality_wrapperIZN2at6native12_GLOBAL__N_124unique_dim_cuda_templateIN3c108BFloat16EEESt5tupleIJNSH_6TensorESO_SO_EERKSO_lbbbEUlllE0_EEPmJS6_EEE10hipError_tPvRmT3_T4_T5_T6_T7_T9_mT8_P12ihipStream_tbDpT10_ENKUlT_T0_E_clISt17integral_constantIbLb1EES1E_EEDaS19_S1A_EUlS19_E_NS1_11comp_targetILNS1_3genE8ELNS1_11target_archE1030ELNS1_3gpuE2ELNS1_3repE0EEENS1_30default_config_static_selectorELNS0_4arch9wavefront6targetE1EEEvT1_.uses_flat_scratch, 0
	.set _ZN7rocprim17ROCPRIM_400000_NS6detail17trampoline_kernelINS0_14default_configENS1_25partition_config_selectorILNS1_17partition_subalgoE8ElNS0_10empty_typeEbEEZZNS1_14partition_implILS5_8ELb0ES3_jPlPS6_PKS6_NS0_5tupleIJS9_S6_EEENSD_IJSA_SA_EEENS0_18inequality_wrapperIZN2at6native12_GLOBAL__N_124unique_dim_cuda_templateIN3c108BFloat16EEESt5tupleIJNSH_6TensorESO_SO_EERKSO_lbbbEUlllE0_EEPmJS6_EEE10hipError_tPvRmT3_T4_T5_T6_T7_T9_mT8_P12ihipStream_tbDpT10_ENKUlT_T0_E_clISt17integral_constantIbLb1EES1E_EEDaS19_S1A_EUlS19_E_NS1_11comp_targetILNS1_3genE8ELNS1_11target_archE1030ELNS1_3gpuE2ELNS1_3repE0EEENS1_30default_config_static_selectorELNS0_4arch9wavefront6targetE1EEEvT1_.has_dyn_sized_stack, 0
	.set _ZN7rocprim17ROCPRIM_400000_NS6detail17trampoline_kernelINS0_14default_configENS1_25partition_config_selectorILNS1_17partition_subalgoE8ElNS0_10empty_typeEbEEZZNS1_14partition_implILS5_8ELb0ES3_jPlPS6_PKS6_NS0_5tupleIJS9_S6_EEENSD_IJSA_SA_EEENS0_18inequality_wrapperIZN2at6native12_GLOBAL__N_124unique_dim_cuda_templateIN3c108BFloat16EEESt5tupleIJNSH_6TensorESO_SO_EERKSO_lbbbEUlllE0_EEPmJS6_EEE10hipError_tPvRmT3_T4_T5_T6_T7_T9_mT8_P12ihipStream_tbDpT10_ENKUlT_T0_E_clISt17integral_constantIbLb1EES1E_EEDaS19_S1A_EUlS19_E_NS1_11comp_targetILNS1_3genE8ELNS1_11target_archE1030ELNS1_3gpuE2ELNS1_3repE0EEENS1_30default_config_static_selectorELNS0_4arch9wavefront6targetE1EEEvT1_.has_recursion, 0
	.set _ZN7rocprim17ROCPRIM_400000_NS6detail17trampoline_kernelINS0_14default_configENS1_25partition_config_selectorILNS1_17partition_subalgoE8ElNS0_10empty_typeEbEEZZNS1_14partition_implILS5_8ELb0ES3_jPlPS6_PKS6_NS0_5tupleIJS9_S6_EEENSD_IJSA_SA_EEENS0_18inequality_wrapperIZN2at6native12_GLOBAL__N_124unique_dim_cuda_templateIN3c108BFloat16EEESt5tupleIJNSH_6TensorESO_SO_EERKSO_lbbbEUlllE0_EEPmJS6_EEE10hipError_tPvRmT3_T4_T5_T6_T7_T9_mT8_P12ihipStream_tbDpT10_ENKUlT_T0_E_clISt17integral_constantIbLb1EES1E_EEDaS19_S1A_EUlS19_E_NS1_11comp_targetILNS1_3genE8ELNS1_11target_archE1030ELNS1_3gpuE2ELNS1_3repE0EEENS1_30default_config_static_selectorELNS0_4arch9wavefront6targetE1EEEvT1_.has_indirect_call, 0
	.section	.AMDGPU.csdata,"",@progbits
; Kernel info:
; codeLenInByte = 0
; TotalNumSgprs: 6
; NumVgprs: 0
; NumAgprs: 0
; TotalNumVgprs: 0
; ScratchSize: 0
; MemoryBound: 0
; FloatMode: 240
; IeeeMode: 1
; LDSByteSize: 0 bytes/workgroup (compile time only)
; SGPRBlocks: 0
; VGPRBlocks: 0
; NumSGPRsForWavesPerEU: 6
; NumVGPRsForWavesPerEU: 1
; AccumOffset: 4
; Occupancy: 8
; WaveLimiterHint : 0
; COMPUTE_PGM_RSRC2:SCRATCH_EN: 0
; COMPUTE_PGM_RSRC2:USER_SGPR: 2
; COMPUTE_PGM_RSRC2:TRAP_HANDLER: 0
; COMPUTE_PGM_RSRC2:TGID_X_EN: 1
; COMPUTE_PGM_RSRC2:TGID_Y_EN: 0
; COMPUTE_PGM_RSRC2:TGID_Z_EN: 0
; COMPUTE_PGM_RSRC2:TIDIG_COMP_CNT: 0
; COMPUTE_PGM_RSRC3_GFX90A:ACCUM_OFFSET: 0
; COMPUTE_PGM_RSRC3_GFX90A:TG_SPLIT: 0
	.section	.text._ZN7rocprim17ROCPRIM_400000_NS6detail17trampoline_kernelINS0_14default_configENS1_25partition_config_selectorILNS1_17partition_subalgoE8ElNS0_10empty_typeEbEEZZNS1_14partition_implILS5_8ELb0ES3_jPlPS6_PKS6_NS0_5tupleIJS9_S6_EEENSD_IJSA_SA_EEENS0_18inequality_wrapperIZN2at6native12_GLOBAL__N_124unique_dim_cuda_templateIN3c108BFloat16EEESt5tupleIJNSH_6TensorESO_SO_EERKSO_lbbbEUlllE0_EEPmJS6_EEE10hipError_tPvRmT3_T4_T5_T6_T7_T9_mT8_P12ihipStream_tbDpT10_ENKUlT_T0_E_clISt17integral_constantIbLb1EES1D_IbLb0EEEEDaS19_S1A_EUlS19_E_NS1_11comp_targetILNS1_3genE0ELNS1_11target_archE4294967295ELNS1_3gpuE0ELNS1_3repE0EEENS1_30default_config_static_selectorELNS0_4arch9wavefront6targetE1EEEvT1_,"axG",@progbits,_ZN7rocprim17ROCPRIM_400000_NS6detail17trampoline_kernelINS0_14default_configENS1_25partition_config_selectorILNS1_17partition_subalgoE8ElNS0_10empty_typeEbEEZZNS1_14partition_implILS5_8ELb0ES3_jPlPS6_PKS6_NS0_5tupleIJS9_S6_EEENSD_IJSA_SA_EEENS0_18inequality_wrapperIZN2at6native12_GLOBAL__N_124unique_dim_cuda_templateIN3c108BFloat16EEESt5tupleIJNSH_6TensorESO_SO_EERKSO_lbbbEUlllE0_EEPmJS6_EEE10hipError_tPvRmT3_T4_T5_T6_T7_T9_mT8_P12ihipStream_tbDpT10_ENKUlT_T0_E_clISt17integral_constantIbLb1EES1D_IbLb0EEEEDaS19_S1A_EUlS19_E_NS1_11comp_targetILNS1_3genE0ELNS1_11target_archE4294967295ELNS1_3gpuE0ELNS1_3repE0EEENS1_30default_config_static_selectorELNS0_4arch9wavefront6targetE1EEEvT1_,comdat
	.globl	_ZN7rocprim17ROCPRIM_400000_NS6detail17trampoline_kernelINS0_14default_configENS1_25partition_config_selectorILNS1_17partition_subalgoE8ElNS0_10empty_typeEbEEZZNS1_14partition_implILS5_8ELb0ES3_jPlPS6_PKS6_NS0_5tupleIJS9_S6_EEENSD_IJSA_SA_EEENS0_18inequality_wrapperIZN2at6native12_GLOBAL__N_124unique_dim_cuda_templateIN3c108BFloat16EEESt5tupleIJNSH_6TensorESO_SO_EERKSO_lbbbEUlllE0_EEPmJS6_EEE10hipError_tPvRmT3_T4_T5_T6_T7_T9_mT8_P12ihipStream_tbDpT10_ENKUlT_T0_E_clISt17integral_constantIbLb1EES1D_IbLb0EEEEDaS19_S1A_EUlS19_E_NS1_11comp_targetILNS1_3genE0ELNS1_11target_archE4294967295ELNS1_3gpuE0ELNS1_3repE0EEENS1_30default_config_static_selectorELNS0_4arch9wavefront6targetE1EEEvT1_ ; -- Begin function _ZN7rocprim17ROCPRIM_400000_NS6detail17trampoline_kernelINS0_14default_configENS1_25partition_config_selectorILNS1_17partition_subalgoE8ElNS0_10empty_typeEbEEZZNS1_14partition_implILS5_8ELb0ES3_jPlPS6_PKS6_NS0_5tupleIJS9_S6_EEENSD_IJSA_SA_EEENS0_18inequality_wrapperIZN2at6native12_GLOBAL__N_124unique_dim_cuda_templateIN3c108BFloat16EEESt5tupleIJNSH_6TensorESO_SO_EERKSO_lbbbEUlllE0_EEPmJS6_EEE10hipError_tPvRmT3_T4_T5_T6_T7_T9_mT8_P12ihipStream_tbDpT10_ENKUlT_T0_E_clISt17integral_constantIbLb1EES1D_IbLb0EEEEDaS19_S1A_EUlS19_E_NS1_11comp_targetILNS1_3genE0ELNS1_11target_archE4294967295ELNS1_3gpuE0ELNS1_3repE0EEENS1_30default_config_static_selectorELNS0_4arch9wavefront6targetE1EEEvT1_
	.p2align	8
	.type	_ZN7rocprim17ROCPRIM_400000_NS6detail17trampoline_kernelINS0_14default_configENS1_25partition_config_selectorILNS1_17partition_subalgoE8ElNS0_10empty_typeEbEEZZNS1_14partition_implILS5_8ELb0ES3_jPlPS6_PKS6_NS0_5tupleIJS9_S6_EEENSD_IJSA_SA_EEENS0_18inequality_wrapperIZN2at6native12_GLOBAL__N_124unique_dim_cuda_templateIN3c108BFloat16EEESt5tupleIJNSH_6TensorESO_SO_EERKSO_lbbbEUlllE0_EEPmJS6_EEE10hipError_tPvRmT3_T4_T5_T6_T7_T9_mT8_P12ihipStream_tbDpT10_ENKUlT_T0_E_clISt17integral_constantIbLb1EES1D_IbLb0EEEEDaS19_S1A_EUlS19_E_NS1_11comp_targetILNS1_3genE0ELNS1_11target_archE4294967295ELNS1_3gpuE0ELNS1_3repE0EEENS1_30default_config_static_selectorELNS0_4arch9wavefront6targetE1EEEvT1_,@function
_ZN7rocprim17ROCPRIM_400000_NS6detail17trampoline_kernelINS0_14default_configENS1_25partition_config_selectorILNS1_17partition_subalgoE8ElNS0_10empty_typeEbEEZZNS1_14partition_implILS5_8ELb0ES3_jPlPS6_PKS6_NS0_5tupleIJS9_S6_EEENSD_IJSA_SA_EEENS0_18inequality_wrapperIZN2at6native12_GLOBAL__N_124unique_dim_cuda_templateIN3c108BFloat16EEESt5tupleIJNSH_6TensorESO_SO_EERKSO_lbbbEUlllE0_EEPmJS6_EEE10hipError_tPvRmT3_T4_T5_T6_T7_T9_mT8_P12ihipStream_tbDpT10_ENKUlT_T0_E_clISt17integral_constantIbLb1EES1D_IbLb0EEEEDaS19_S1A_EUlS19_E_NS1_11comp_targetILNS1_3genE0ELNS1_11target_archE4294967295ELNS1_3gpuE0ELNS1_3repE0EEENS1_30default_config_static_selectorELNS0_4arch9wavefront6targetE1EEEvT1_: ; @_ZN7rocprim17ROCPRIM_400000_NS6detail17trampoline_kernelINS0_14default_configENS1_25partition_config_selectorILNS1_17partition_subalgoE8ElNS0_10empty_typeEbEEZZNS1_14partition_implILS5_8ELb0ES3_jPlPS6_PKS6_NS0_5tupleIJS9_S6_EEENSD_IJSA_SA_EEENS0_18inequality_wrapperIZN2at6native12_GLOBAL__N_124unique_dim_cuda_templateIN3c108BFloat16EEESt5tupleIJNSH_6TensorESO_SO_EERKSO_lbbbEUlllE0_EEPmJS6_EEE10hipError_tPvRmT3_T4_T5_T6_T7_T9_mT8_P12ihipStream_tbDpT10_ENKUlT_T0_E_clISt17integral_constantIbLb1EES1D_IbLb0EEEEDaS19_S1A_EUlS19_E_NS1_11comp_targetILNS1_3genE0ELNS1_11target_archE4294967295ELNS1_3gpuE0ELNS1_3repE0EEENS1_30default_config_static_selectorELNS0_4arch9wavefront6targetE1EEEvT1_
; %bb.0:
	s_endpgm
	.section	.rodata,"a",@progbits
	.p2align	6, 0x0
	.amdhsa_kernel _ZN7rocprim17ROCPRIM_400000_NS6detail17trampoline_kernelINS0_14default_configENS1_25partition_config_selectorILNS1_17partition_subalgoE8ElNS0_10empty_typeEbEEZZNS1_14partition_implILS5_8ELb0ES3_jPlPS6_PKS6_NS0_5tupleIJS9_S6_EEENSD_IJSA_SA_EEENS0_18inequality_wrapperIZN2at6native12_GLOBAL__N_124unique_dim_cuda_templateIN3c108BFloat16EEESt5tupleIJNSH_6TensorESO_SO_EERKSO_lbbbEUlllE0_EEPmJS6_EEE10hipError_tPvRmT3_T4_T5_T6_T7_T9_mT8_P12ihipStream_tbDpT10_ENKUlT_T0_E_clISt17integral_constantIbLb1EES1D_IbLb0EEEEDaS19_S1A_EUlS19_E_NS1_11comp_targetILNS1_3genE0ELNS1_11target_archE4294967295ELNS1_3gpuE0ELNS1_3repE0EEENS1_30default_config_static_selectorELNS0_4arch9wavefront6targetE1EEEvT1_
		.amdhsa_group_segment_fixed_size 0
		.amdhsa_private_segment_fixed_size 0
		.amdhsa_kernarg_size 120
		.amdhsa_user_sgpr_count 2
		.amdhsa_user_sgpr_dispatch_ptr 0
		.amdhsa_user_sgpr_queue_ptr 0
		.amdhsa_user_sgpr_kernarg_segment_ptr 1
		.amdhsa_user_sgpr_dispatch_id 0
		.amdhsa_user_sgpr_kernarg_preload_length 0
		.amdhsa_user_sgpr_kernarg_preload_offset 0
		.amdhsa_user_sgpr_private_segment_size 0
		.amdhsa_uses_dynamic_stack 0
		.amdhsa_enable_private_segment 0
		.amdhsa_system_sgpr_workgroup_id_x 1
		.amdhsa_system_sgpr_workgroup_id_y 0
		.amdhsa_system_sgpr_workgroup_id_z 0
		.amdhsa_system_sgpr_workgroup_info 0
		.amdhsa_system_vgpr_workitem_id 0
		.amdhsa_next_free_vgpr 1
		.amdhsa_next_free_sgpr 0
		.amdhsa_accum_offset 4
		.amdhsa_reserve_vcc 0
		.amdhsa_float_round_mode_32 0
		.amdhsa_float_round_mode_16_64 0
		.amdhsa_float_denorm_mode_32 3
		.amdhsa_float_denorm_mode_16_64 3
		.amdhsa_dx10_clamp 1
		.amdhsa_ieee_mode 1
		.amdhsa_fp16_overflow 0
		.amdhsa_tg_split 0
		.amdhsa_exception_fp_ieee_invalid_op 0
		.amdhsa_exception_fp_denorm_src 0
		.amdhsa_exception_fp_ieee_div_zero 0
		.amdhsa_exception_fp_ieee_overflow 0
		.amdhsa_exception_fp_ieee_underflow 0
		.amdhsa_exception_fp_ieee_inexact 0
		.amdhsa_exception_int_div_zero 0
	.end_amdhsa_kernel
	.section	.text._ZN7rocprim17ROCPRIM_400000_NS6detail17trampoline_kernelINS0_14default_configENS1_25partition_config_selectorILNS1_17partition_subalgoE8ElNS0_10empty_typeEbEEZZNS1_14partition_implILS5_8ELb0ES3_jPlPS6_PKS6_NS0_5tupleIJS9_S6_EEENSD_IJSA_SA_EEENS0_18inequality_wrapperIZN2at6native12_GLOBAL__N_124unique_dim_cuda_templateIN3c108BFloat16EEESt5tupleIJNSH_6TensorESO_SO_EERKSO_lbbbEUlllE0_EEPmJS6_EEE10hipError_tPvRmT3_T4_T5_T6_T7_T9_mT8_P12ihipStream_tbDpT10_ENKUlT_T0_E_clISt17integral_constantIbLb1EES1D_IbLb0EEEEDaS19_S1A_EUlS19_E_NS1_11comp_targetILNS1_3genE0ELNS1_11target_archE4294967295ELNS1_3gpuE0ELNS1_3repE0EEENS1_30default_config_static_selectorELNS0_4arch9wavefront6targetE1EEEvT1_,"axG",@progbits,_ZN7rocprim17ROCPRIM_400000_NS6detail17trampoline_kernelINS0_14default_configENS1_25partition_config_selectorILNS1_17partition_subalgoE8ElNS0_10empty_typeEbEEZZNS1_14partition_implILS5_8ELb0ES3_jPlPS6_PKS6_NS0_5tupleIJS9_S6_EEENSD_IJSA_SA_EEENS0_18inequality_wrapperIZN2at6native12_GLOBAL__N_124unique_dim_cuda_templateIN3c108BFloat16EEESt5tupleIJNSH_6TensorESO_SO_EERKSO_lbbbEUlllE0_EEPmJS6_EEE10hipError_tPvRmT3_T4_T5_T6_T7_T9_mT8_P12ihipStream_tbDpT10_ENKUlT_T0_E_clISt17integral_constantIbLb1EES1D_IbLb0EEEEDaS19_S1A_EUlS19_E_NS1_11comp_targetILNS1_3genE0ELNS1_11target_archE4294967295ELNS1_3gpuE0ELNS1_3repE0EEENS1_30default_config_static_selectorELNS0_4arch9wavefront6targetE1EEEvT1_,comdat
.Lfunc_end1190:
	.size	_ZN7rocprim17ROCPRIM_400000_NS6detail17trampoline_kernelINS0_14default_configENS1_25partition_config_selectorILNS1_17partition_subalgoE8ElNS0_10empty_typeEbEEZZNS1_14partition_implILS5_8ELb0ES3_jPlPS6_PKS6_NS0_5tupleIJS9_S6_EEENSD_IJSA_SA_EEENS0_18inequality_wrapperIZN2at6native12_GLOBAL__N_124unique_dim_cuda_templateIN3c108BFloat16EEESt5tupleIJNSH_6TensorESO_SO_EERKSO_lbbbEUlllE0_EEPmJS6_EEE10hipError_tPvRmT3_T4_T5_T6_T7_T9_mT8_P12ihipStream_tbDpT10_ENKUlT_T0_E_clISt17integral_constantIbLb1EES1D_IbLb0EEEEDaS19_S1A_EUlS19_E_NS1_11comp_targetILNS1_3genE0ELNS1_11target_archE4294967295ELNS1_3gpuE0ELNS1_3repE0EEENS1_30default_config_static_selectorELNS0_4arch9wavefront6targetE1EEEvT1_, .Lfunc_end1190-_ZN7rocprim17ROCPRIM_400000_NS6detail17trampoline_kernelINS0_14default_configENS1_25partition_config_selectorILNS1_17partition_subalgoE8ElNS0_10empty_typeEbEEZZNS1_14partition_implILS5_8ELb0ES3_jPlPS6_PKS6_NS0_5tupleIJS9_S6_EEENSD_IJSA_SA_EEENS0_18inequality_wrapperIZN2at6native12_GLOBAL__N_124unique_dim_cuda_templateIN3c108BFloat16EEESt5tupleIJNSH_6TensorESO_SO_EERKSO_lbbbEUlllE0_EEPmJS6_EEE10hipError_tPvRmT3_T4_T5_T6_T7_T9_mT8_P12ihipStream_tbDpT10_ENKUlT_T0_E_clISt17integral_constantIbLb1EES1D_IbLb0EEEEDaS19_S1A_EUlS19_E_NS1_11comp_targetILNS1_3genE0ELNS1_11target_archE4294967295ELNS1_3gpuE0ELNS1_3repE0EEENS1_30default_config_static_selectorELNS0_4arch9wavefront6targetE1EEEvT1_
                                        ; -- End function
	.set _ZN7rocprim17ROCPRIM_400000_NS6detail17trampoline_kernelINS0_14default_configENS1_25partition_config_selectorILNS1_17partition_subalgoE8ElNS0_10empty_typeEbEEZZNS1_14partition_implILS5_8ELb0ES3_jPlPS6_PKS6_NS0_5tupleIJS9_S6_EEENSD_IJSA_SA_EEENS0_18inequality_wrapperIZN2at6native12_GLOBAL__N_124unique_dim_cuda_templateIN3c108BFloat16EEESt5tupleIJNSH_6TensorESO_SO_EERKSO_lbbbEUlllE0_EEPmJS6_EEE10hipError_tPvRmT3_T4_T5_T6_T7_T9_mT8_P12ihipStream_tbDpT10_ENKUlT_T0_E_clISt17integral_constantIbLb1EES1D_IbLb0EEEEDaS19_S1A_EUlS19_E_NS1_11comp_targetILNS1_3genE0ELNS1_11target_archE4294967295ELNS1_3gpuE0ELNS1_3repE0EEENS1_30default_config_static_selectorELNS0_4arch9wavefront6targetE1EEEvT1_.num_vgpr, 0
	.set _ZN7rocprim17ROCPRIM_400000_NS6detail17trampoline_kernelINS0_14default_configENS1_25partition_config_selectorILNS1_17partition_subalgoE8ElNS0_10empty_typeEbEEZZNS1_14partition_implILS5_8ELb0ES3_jPlPS6_PKS6_NS0_5tupleIJS9_S6_EEENSD_IJSA_SA_EEENS0_18inequality_wrapperIZN2at6native12_GLOBAL__N_124unique_dim_cuda_templateIN3c108BFloat16EEESt5tupleIJNSH_6TensorESO_SO_EERKSO_lbbbEUlllE0_EEPmJS6_EEE10hipError_tPvRmT3_T4_T5_T6_T7_T9_mT8_P12ihipStream_tbDpT10_ENKUlT_T0_E_clISt17integral_constantIbLb1EES1D_IbLb0EEEEDaS19_S1A_EUlS19_E_NS1_11comp_targetILNS1_3genE0ELNS1_11target_archE4294967295ELNS1_3gpuE0ELNS1_3repE0EEENS1_30default_config_static_selectorELNS0_4arch9wavefront6targetE1EEEvT1_.num_agpr, 0
	.set _ZN7rocprim17ROCPRIM_400000_NS6detail17trampoline_kernelINS0_14default_configENS1_25partition_config_selectorILNS1_17partition_subalgoE8ElNS0_10empty_typeEbEEZZNS1_14partition_implILS5_8ELb0ES3_jPlPS6_PKS6_NS0_5tupleIJS9_S6_EEENSD_IJSA_SA_EEENS0_18inequality_wrapperIZN2at6native12_GLOBAL__N_124unique_dim_cuda_templateIN3c108BFloat16EEESt5tupleIJNSH_6TensorESO_SO_EERKSO_lbbbEUlllE0_EEPmJS6_EEE10hipError_tPvRmT3_T4_T5_T6_T7_T9_mT8_P12ihipStream_tbDpT10_ENKUlT_T0_E_clISt17integral_constantIbLb1EES1D_IbLb0EEEEDaS19_S1A_EUlS19_E_NS1_11comp_targetILNS1_3genE0ELNS1_11target_archE4294967295ELNS1_3gpuE0ELNS1_3repE0EEENS1_30default_config_static_selectorELNS0_4arch9wavefront6targetE1EEEvT1_.numbered_sgpr, 0
	.set _ZN7rocprim17ROCPRIM_400000_NS6detail17trampoline_kernelINS0_14default_configENS1_25partition_config_selectorILNS1_17partition_subalgoE8ElNS0_10empty_typeEbEEZZNS1_14partition_implILS5_8ELb0ES3_jPlPS6_PKS6_NS0_5tupleIJS9_S6_EEENSD_IJSA_SA_EEENS0_18inequality_wrapperIZN2at6native12_GLOBAL__N_124unique_dim_cuda_templateIN3c108BFloat16EEESt5tupleIJNSH_6TensorESO_SO_EERKSO_lbbbEUlllE0_EEPmJS6_EEE10hipError_tPvRmT3_T4_T5_T6_T7_T9_mT8_P12ihipStream_tbDpT10_ENKUlT_T0_E_clISt17integral_constantIbLb1EES1D_IbLb0EEEEDaS19_S1A_EUlS19_E_NS1_11comp_targetILNS1_3genE0ELNS1_11target_archE4294967295ELNS1_3gpuE0ELNS1_3repE0EEENS1_30default_config_static_selectorELNS0_4arch9wavefront6targetE1EEEvT1_.num_named_barrier, 0
	.set _ZN7rocprim17ROCPRIM_400000_NS6detail17trampoline_kernelINS0_14default_configENS1_25partition_config_selectorILNS1_17partition_subalgoE8ElNS0_10empty_typeEbEEZZNS1_14partition_implILS5_8ELb0ES3_jPlPS6_PKS6_NS0_5tupleIJS9_S6_EEENSD_IJSA_SA_EEENS0_18inequality_wrapperIZN2at6native12_GLOBAL__N_124unique_dim_cuda_templateIN3c108BFloat16EEESt5tupleIJNSH_6TensorESO_SO_EERKSO_lbbbEUlllE0_EEPmJS6_EEE10hipError_tPvRmT3_T4_T5_T6_T7_T9_mT8_P12ihipStream_tbDpT10_ENKUlT_T0_E_clISt17integral_constantIbLb1EES1D_IbLb0EEEEDaS19_S1A_EUlS19_E_NS1_11comp_targetILNS1_3genE0ELNS1_11target_archE4294967295ELNS1_3gpuE0ELNS1_3repE0EEENS1_30default_config_static_selectorELNS0_4arch9wavefront6targetE1EEEvT1_.private_seg_size, 0
	.set _ZN7rocprim17ROCPRIM_400000_NS6detail17trampoline_kernelINS0_14default_configENS1_25partition_config_selectorILNS1_17partition_subalgoE8ElNS0_10empty_typeEbEEZZNS1_14partition_implILS5_8ELb0ES3_jPlPS6_PKS6_NS0_5tupleIJS9_S6_EEENSD_IJSA_SA_EEENS0_18inequality_wrapperIZN2at6native12_GLOBAL__N_124unique_dim_cuda_templateIN3c108BFloat16EEESt5tupleIJNSH_6TensorESO_SO_EERKSO_lbbbEUlllE0_EEPmJS6_EEE10hipError_tPvRmT3_T4_T5_T6_T7_T9_mT8_P12ihipStream_tbDpT10_ENKUlT_T0_E_clISt17integral_constantIbLb1EES1D_IbLb0EEEEDaS19_S1A_EUlS19_E_NS1_11comp_targetILNS1_3genE0ELNS1_11target_archE4294967295ELNS1_3gpuE0ELNS1_3repE0EEENS1_30default_config_static_selectorELNS0_4arch9wavefront6targetE1EEEvT1_.uses_vcc, 0
	.set _ZN7rocprim17ROCPRIM_400000_NS6detail17trampoline_kernelINS0_14default_configENS1_25partition_config_selectorILNS1_17partition_subalgoE8ElNS0_10empty_typeEbEEZZNS1_14partition_implILS5_8ELb0ES3_jPlPS6_PKS6_NS0_5tupleIJS9_S6_EEENSD_IJSA_SA_EEENS0_18inequality_wrapperIZN2at6native12_GLOBAL__N_124unique_dim_cuda_templateIN3c108BFloat16EEESt5tupleIJNSH_6TensorESO_SO_EERKSO_lbbbEUlllE0_EEPmJS6_EEE10hipError_tPvRmT3_T4_T5_T6_T7_T9_mT8_P12ihipStream_tbDpT10_ENKUlT_T0_E_clISt17integral_constantIbLb1EES1D_IbLb0EEEEDaS19_S1A_EUlS19_E_NS1_11comp_targetILNS1_3genE0ELNS1_11target_archE4294967295ELNS1_3gpuE0ELNS1_3repE0EEENS1_30default_config_static_selectorELNS0_4arch9wavefront6targetE1EEEvT1_.uses_flat_scratch, 0
	.set _ZN7rocprim17ROCPRIM_400000_NS6detail17trampoline_kernelINS0_14default_configENS1_25partition_config_selectorILNS1_17partition_subalgoE8ElNS0_10empty_typeEbEEZZNS1_14partition_implILS5_8ELb0ES3_jPlPS6_PKS6_NS0_5tupleIJS9_S6_EEENSD_IJSA_SA_EEENS0_18inequality_wrapperIZN2at6native12_GLOBAL__N_124unique_dim_cuda_templateIN3c108BFloat16EEESt5tupleIJNSH_6TensorESO_SO_EERKSO_lbbbEUlllE0_EEPmJS6_EEE10hipError_tPvRmT3_T4_T5_T6_T7_T9_mT8_P12ihipStream_tbDpT10_ENKUlT_T0_E_clISt17integral_constantIbLb1EES1D_IbLb0EEEEDaS19_S1A_EUlS19_E_NS1_11comp_targetILNS1_3genE0ELNS1_11target_archE4294967295ELNS1_3gpuE0ELNS1_3repE0EEENS1_30default_config_static_selectorELNS0_4arch9wavefront6targetE1EEEvT1_.has_dyn_sized_stack, 0
	.set _ZN7rocprim17ROCPRIM_400000_NS6detail17trampoline_kernelINS0_14default_configENS1_25partition_config_selectorILNS1_17partition_subalgoE8ElNS0_10empty_typeEbEEZZNS1_14partition_implILS5_8ELb0ES3_jPlPS6_PKS6_NS0_5tupleIJS9_S6_EEENSD_IJSA_SA_EEENS0_18inequality_wrapperIZN2at6native12_GLOBAL__N_124unique_dim_cuda_templateIN3c108BFloat16EEESt5tupleIJNSH_6TensorESO_SO_EERKSO_lbbbEUlllE0_EEPmJS6_EEE10hipError_tPvRmT3_T4_T5_T6_T7_T9_mT8_P12ihipStream_tbDpT10_ENKUlT_T0_E_clISt17integral_constantIbLb1EES1D_IbLb0EEEEDaS19_S1A_EUlS19_E_NS1_11comp_targetILNS1_3genE0ELNS1_11target_archE4294967295ELNS1_3gpuE0ELNS1_3repE0EEENS1_30default_config_static_selectorELNS0_4arch9wavefront6targetE1EEEvT1_.has_recursion, 0
	.set _ZN7rocprim17ROCPRIM_400000_NS6detail17trampoline_kernelINS0_14default_configENS1_25partition_config_selectorILNS1_17partition_subalgoE8ElNS0_10empty_typeEbEEZZNS1_14partition_implILS5_8ELb0ES3_jPlPS6_PKS6_NS0_5tupleIJS9_S6_EEENSD_IJSA_SA_EEENS0_18inequality_wrapperIZN2at6native12_GLOBAL__N_124unique_dim_cuda_templateIN3c108BFloat16EEESt5tupleIJNSH_6TensorESO_SO_EERKSO_lbbbEUlllE0_EEPmJS6_EEE10hipError_tPvRmT3_T4_T5_T6_T7_T9_mT8_P12ihipStream_tbDpT10_ENKUlT_T0_E_clISt17integral_constantIbLb1EES1D_IbLb0EEEEDaS19_S1A_EUlS19_E_NS1_11comp_targetILNS1_3genE0ELNS1_11target_archE4294967295ELNS1_3gpuE0ELNS1_3repE0EEENS1_30default_config_static_selectorELNS0_4arch9wavefront6targetE1EEEvT1_.has_indirect_call, 0
	.section	.AMDGPU.csdata,"",@progbits
; Kernel info:
; codeLenInByte = 4
; TotalNumSgprs: 6
; NumVgprs: 0
; NumAgprs: 0
; TotalNumVgprs: 0
; ScratchSize: 0
; MemoryBound: 0
; FloatMode: 240
; IeeeMode: 1
; LDSByteSize: 0 bytes/workgroup (compile time only)
; SGPRBlocks: 0
; VGPRBlocks: 0
; NumSGPRsForWavesPerEU: 6
; NumVGPRsForWavesPerEU: 1
; AccumOffset: 4
; Occupancy: 8
; WaveLimiterHint : 0
; COMPUTE_PGM_RSRC2:SCRATCH_EN: 0
; COMPUTE_PGM_RSRC2:USER_SGPR: 2
; COMPUTE_PGM_RSRC2:TRAP_HANDLER: 0
; COMPUTE_PGM_RSRC2:TGID_X_EN: 1
; COMPUTE_PGM_RSRC2:TGID_Y_EN: 0
; COMPUTE_PGM_RSRC2:TGID_Z_EN: 0
; COMPUTE_PGM_RSRC2:TIDIG_COMP_CNT: 0
; COMPUTE_PGM_RSRC3_GFX90A:ACCUM_OFFSET: 0
; COMPUTE_PGM_RSRC3_GFX90A:TG_SPLIT: 0
	.section	.text._ZN7rocprim17ROCPRIM_400000_NS6detail17trampoline_kernelINS0_14default_configENS1_25partition_config_selectorILNS1_17partition_subalgoE8ElNS0_10empty_typeEbEEZZNS1_14partition_implILS5_8ELb0ES3_jPlPS6_PKS6_NS0_5tupleIJS9_S6_EEENSD_IJSA_SA_EEENS0_18inequality_wrapperIZN2at6native12_GLOBAL__N_124unique_dim_cuda_templateIN3c108BFloat16EEESt5tupleIJNSH_6TensorESO_SO_EERKSO_lbbbEUlllE0_EEPmJS6_EEE10hipError_tPvRmT3_T4_T5_T6_T7_T9_mT8_P12ihipStream_tbDpT10_ENKUlT_T0_E_clISt17integral_constantIbLb1EES1D_IbLb0EEEEDaS19_S1A_EUlS19_E_NS1_11comp_targetILNS1_3genE5ELNS1_11target_archE942ELNS1_3gpuE9ELNS1_3repE0EEENS1_30default_config_static_selectorELNS0_4arch9wavefront6targetE1EEEvT1_,"axG",@progbits,_ZN7rocprim17ROCPRIM_400000_NS6detail17trampoline_kernelINS0_14default_configENS1_25partition_config_selectorILNS1_17partition_subalgoE8ElNS0_10empty_typeEbEEZZNS1_14partition_implILS5_8ELb0ES3_jPlPS6_PKS6_NS0_5tupleIJS9_S6_EEENSD_IJSA_SA_EEENS0_18inequality_wrapperIZN2at6native12_GLOBAL__N_124unique_dim_cuda_templateIN3c108BFloat16EEESt5tupleIJNSH_6TensorESO_SO_EERKSO_lbbbEUlllE0_EEPmJS6_EEE10hipError_tPvRmT3_T4_T5_T6_T7_T9_mT8_P12ihipStream_tbDpT10_ENKUlT_T0_E_clISt17integral_constantIbLb1EES1D_IbLb0EEEEDaS19_S1A_EUlS19_E_NS1_11comp_targetILNS1_3genE5ELNS1_11target_archE942ELNS1_3gpuE9ELNS1_3repE0EEENS1_30default_config_static_selectorELNS0_4arch9wavefront6targetE1EEEvT1_,comdat
	.globl	_ZN7rocprim17ROCPRIM_400000_NS6detail17trampoline_kernelINS0_14default_configENS1_25partition_config_selectorILNS1_17partition_subalgoE8ElNS0_10empty_typeEbEEZZNS1_14partition_implILS5_8ELb0ES3_jPlPS6_PKS6_NS0_5tupleIJS9_S6_EEENSD_IJSA_SA_EEENS0_18inequality_wrapperIZN2at6native12_GLOBAL__N_124unique_dim_cuda_templateIN3c108BFloat16EEESt5tupleIJNSH_6TensorESO_SO_EERKSO_lbbbEUlllE0_EEPmJS6_EEE10hipError_tPvRmT3_T4_T5_T6_T7_T9_mT8_P12ihipStream_tbDpT10_ENKUlT_T0_E_clISt17integral_constantIbLb1EES1D_IbLb0EEEEDaS19_S1A_EUlS19_E_NS1_11comp_targetILNS1_3genE5ELNS1_11target_archE942ELNS1_3gpuE9ELNS1_3repE0EEENS1_30default_config_static_selectorELNS0_4arch9wavefront6targetE1EEEvT1_ ; -- Begin function _ZN7rocprim17ROCPRIM_400000_NS6detail17trampoline_kernelINS0_14default_configENS1_25partition_config_selectorILNS1_17partition_subalgoE8ElNS0_10empty_typeEbEEZZNS1_14partition_implILS5_8ELb0ES3_jPlPS6_PKS6_NS0_5tupleIJS9_S6_EEENSD_IJSA_SA_EEENS0_18inequality_wrapperIZN2at6native12_GLOBAL__N_124unique_dim_cuda_templateIN3c108BFloat16EEESt5tupleIJNSH_6TensorESO_SO_EERKSO_lbbbEUlllE0_EEPmJS6_EEE10hipError_tPvRmT3_T4_T5_T6_T7_T9_mT8_P12ihipStream_tbDpT10_ENKUlT_T0_E_clISt17integral_constantIbLb1EES1D_IbLb0EEEEDaS19_S1A_EUlS19_E_NS1_11comp_targetILNS1_3genE5ELNS1_11target_archE942ELNS1_3gpuE9ELNS1_3repE0EEENS1_30default_config_static_selectorELNS0_4arch9wavefront6targetE1EEEvT1_
	.p2align	8
	.type	_ZN7rocprim17ROCPRIM_400000_NS6detail17trampoline_kernelINS0_14default_configENS1_25partition_config_selectorILNS1_17partition_subalgoE8ElNS0_10empty_typeEbEEZZNS1_14partition_implILS5_8ELb0ES3_jPlPS6_PKS6_NS0_5tupleIJS9_S6_EEENSD_IJSA_SA_EEENS0_18inequality_wrapperIZN2at6native12_GLOBAL__N_124unique_dim_cuda_templateIN3c108BFloat16EEESt5tupleIJNSH_6TensorESO_SO_EERKSO_lbbbEUlllE0_EEPmJS6_EEE10hipError_tPvRmT3_T4_T5_T6_T7_T9_mT8_P12ihipStream_tbDpT10_ENKUlT_T0_E_clISt17integral_constantIbLb1EES1D_IbLb0EEEEDaS19_S1A_EUlS19_E_NS1_11comp_targetILNS1_3genE5ELNS1_11target_archE942ELNS1_3gpuE9ELNS1_3repE0EEENS1_30default_config_static_selectorELNS0_4arch9wavefront6targetE1EEEvT1_,@function
_ZN7rocprim17ROCPRIM_400000_NS6detail17trampoline_kernelINS0_14default_configENS1_25partition_config_selectorILNS1_17partition_subalgoE8ElNS0_10empty_typeEbEEZZNS1_14partition_implILS5_8ELb0ES3_jPlPS6_PKS6_NS0_5tupleIJS9_S6_EEENSD_IJSA_SA_EEENS0_18inequality_wrapperIZN2at6native12_GLOBAL__N_124unique_dim_cuda_templateIN3c108BFloat16EEESt5tupleIJNSH_6TensorESO_SO_EERKSO_lbbbEUlllE0_EEPmJS6_EEE10hipError_tPvRmT3_T4_T5_T6_T7_T9_mT8_P12ihipStream_tbDpT10_ENKUlT_T0_E_clISt17integral_constantIbLb1EES1D_IbLb0EEEEDaS19_S1A_EUlS19_E_NS1_11comp_targetILNS1_3genE5ELNS1_11target_archE942ELNS1_3gpuE9ELNS1_3repE0EEENS1_30default_config_static_selectorELNS0_4arch9wavefront6targetE1EEEvT1_: ; @_ZN7rocprim17ROCPRIM_400000_NS6detail17trampoline_kernelINS0_14default_configENS1_25partition_config_selectorILNS1_17partition_subalgoE8ElNS0_10empty_typeEbEEZZNS1_14partition_implILS5_8ELb0ES3_jPlPS6_PKS6_NS0_5tupleIJS9_S6_EEENSD_IJSA_SA_EEENS0_18inequality_wrapperIZN2at6native12_GLOBAL__N_124unique_dim_cuda_templateIN3c108BFloat16EEESt5tupleIJNSH_6TensorESO_SO_EERKSO_lbbbEUlllE0_EEPmJS6_EEE10hipError_tPvRmT3_T4_T5_T6_T7_T9_mT8_P12ihipStream_tbDpT10_ENKUlT_T0_E_clISt17integral_constantIbLb1EES1D_IbLb0EEEEDaS19_S1A_EUlS19_E_NS1_11comp_targetILNS1_3genE5ELNS1_11target_archE942ELNS1_3gpuE9ELNS1_3repE0EEENS1_30default_config_static_selectorELNS0_4arch9wavefront6targetE1EEEvT1_
; %bb.0:
	.section	.rodata,"a",@progbits
	.p2align	6, 0x0
	.amdhsa_kernel _ZN7rocprim17ROCPRIM_400000_NS6detail17trampoline_kernelINS0_14default_configENS1_25partition_config_selectorILNS1_17partition_subalgoE8ElNS0_10empty_typeEbEEZZNS1_14partition_implILS5_8ELb0ES3_jPlPS6_PKS6_NS0_5tupleIJS9_S6_EEENSD_IJSA_SA_EEENS0_18inequality_wrapperIZN2at6native12_GLOBAL__N_124unique_dim_cuda_templateIN3c108BFloat16EEESt5tupleIJNSH_6TensorESO_SO_EERKSO_lbbbEUlllE0_EEPmJS6_EEE10hipError_tPvRmT3_T4_T5_T6_T7_T9_mT8_P12ihipStream_tbDpT10_ENKUlT_T0_E_clISt17integral_constantIbLb1EES1D_IbLb0EEEEDaS19_S1A_EUlS19_E_NS1_11comp_targetILNS1_3genE5ELNS1_11target_archE942ELNS1_3gpuE9ELNS1_3repE0EEENS1_30default_config_static_selectorELNS0_4arch9wavefront6targetE1EEEvT1_
		.amdhsa_group_segment_fixed_size 0
		.amdhsa_private_segment_fixed_size 0
		.amdhsa_kernarg_size 120
		.amdhsa_user_sgpr_count 2
		.amdhsa_user_sgpr_dispatch_ptr 0
		.amdhsa_user_sgpr_queue_ptr 0
		.amdhsa_user_sgpr_kernarg_segment_ptr 1
		.amdhsa_user_sgpr_dispatch_id 0
		.amdhsa_user_sgpr_kernarg_preload_length 0
		.amdhsa_user_sgpr_kernarg_preload_offset 0
		.amdhsa_user_sgpr_private_segment_size 0
		.amdhsa_uses_dynamic_stack 0
		.amdhsa_enable_private_segment 0
		.amdhsa_system_sgpr_workgroup_id_x 1
		.amdhsa_system_sgpr_workgroup_id_y 0
		.amdhsa_system_sgpr_workgroup_id_z 0
		.amdhsa_system_sgpr_workgroup_info 0
		.amdhsa_system_vgpr_workitem_id 0
		.amdhsa_next_free_vgpr 1
		.amdhsa_next_free_sgpr 0
		.amdhsa_accum_offset 4
		.amdhsa_reserve_vcc 0
		.amdhsa_float_round_mode_32 0
		.amdhsa_float_round_mode_16_64 0
		.amdhsa_float_denorm_mode_32 3
		.amdhsa_float_denorm_mode_16_64 3
		.amdhsa_dx10_clamp 1
		.amdhsa_ieee_mode 1
		.amdhsa_fp16_overflow 0
		.amdhsa_tg_split 0
		.amdhsa_exception_fp_ieee_invalid_op 0
		.amdhsa_exception_fp_denorm_src 0
		.amdhsa_exception_fp_ieee_div_zero 0
		.amdhsa_exception_fp_ieee_overflow 0
		.amdhsa_exception_fp_ieee_underflow 0
		.amdhsa_exception_fp_ieee_inexact 0
		.amdhsa_exception_int_div_zero 0
	.end_amdhsa_kernel
	.section	.text._ZN7rocprim17ROCPRIM_400000_NS6detail17trampoline_kernelINS0_14default_configENS1_25partition_config_selectorILNS1_17partition_subalgoE8ElNS0_10empty_typeEbEEZZNS1_14partition_implILS5_8ELb0ES3_jPlPS6_PKS6_NS0_5tupleIJS9_S6_EEENSD_IJSA_SA_EEENS0_18inequality_wrapperIZN2at6native12_GLOBAL__N_124unique_dim_cuda_templateIN3c108BFloat16EEESt5tupleIJNSH_6TensorESO_SO_EERKSO_lbbbEUlllE0_EEPmJS6_EEE10hipError_tPvRmT3_T4_T5_T6_T7_T9_mT8_P12ihipStream_tbDpT10_ENKUlT_T0_E_clISt17integral_constantIbLb1EES1D_IbLb0EEEEDaS19_S1A_EUlS19_E_NS1_11comp_targetILNS1_3genE5ELNS1_11target_archE942ELNS1_3gpuE9ELNS1_3repE0EEENS1_30default_config_static_selectorELNS0_4arch9wavefront6targetE1EEEvT1_,"axG",@progbits,_ZN7rocprim17ROCPRIM_400000_NS6detail17trampoline_kernelINS0_14default_configENS1_25partition_config_selectorILNS1_17partition_subalgoE8ElNS0_10empty_typeEbEEZZNS1_14partition_implILS5_8ELb0ES3_jPlPS6_PKS6_NS0_5tupleIJS9_S6_EEENSD_IJSA_SA_EEENS0_18inequality_wrapperIZN2at6native12_GLOBAL__N_124unique_dim_cuda_templateIN3c108BFloat16EEESt5tupleIJNSH_6TensorESO_SO_EERKSO_lbbbEUlllE0_EEPmJS6_EEE10hipError_tPvRmT3_T4_T5_T6_T7_T9_mT8_P12ihipStream_tbDpT10_ENKUlT_T0_E_clISt17integral_constantIbLb1EES1D_IbLb0EEEEDaS19_S1A_EUlS19_E_NS1_11comp_targetILNS1_3genE5ELNS1_11target_archE942ELNS1_3gpuE9ELNS1_3repE0EEENS1_30default_config_static_selectorELNS0_4arch9wavefront6targetE1EEEvT1_,comdat
.Lfunc_end1191:
	.size	_ZN7rocprim17ROCPRIM_400000_NS6detail17trampoline_kernelINS0_14default_configENS1_25partition_config_selectorILNS1_17partition_subalgoE8ElNS0_10empty_typeEbEEZZNS1_14partition_implILS5_8ELb0ES3_jPlPS6_PKS6_NS0_5tupleIJS9_S6_EEENSD_IJSA_SA_EEENS0_18inequality_wrapperIZN2at6native12_GLOBAL__N_124unique_dim_cuda_templateIN3c108BFloat16EEESt5tupleIJNSH_6TensorESO_SO_EERKSO_lbbbEUlllE0_EEPmJS6_EEE10hipError_tPvRmT3_T4_T5_T6_T7_T9_mT8_P12ihipStream_tbDpT10_ENKUlT_T0_E_clISt17integral_constantIbLb1EES1D_IbLb0EEEEDaS19_S1A_EUlS19_E_NS1_11comp_targetILNS1_3genE5ELNS1_11target_archE942ELNS1_3gpuE9ELNS1_3repE0EEENS1_30default_config_static_selectorELNS0_4arch9wavefront6targetE1EEEvT1_, .Lfunc_end1191-_ZN7rocprim17ROCPRIM_400000_NS6detail17trampoline_kernelINS0_14default_configENS1_25partition_config_selectorILNS1_17partition_subalgoE8ElNS0_10empty_typeEbEEZZNS1_14partition_implILS5_8ELb0ES3_jPlPS6_PKS6_NS0_5tupleIJS9_S6_EEENSD_IJSA_SA_EEENS0_18inequality_wrapperIZN2at6native12_GLOBAL__N_124unique_dim_cuda_templateIN3c108BFloat16EEESt5tupleIJNSH_6TensorESO_SO_EERKSO_lbbbEUlllE0_EEPmJS6_EEE10hipError_tPvRmT3_T4_T5_T6_T7_T9_mT8_P12ihipStream_tbDpT10_ENKUlT_T0_E_clISt17integral_constantIbLb1EES1D_IbLb0EEEEDaS19_S1A_EUlS19_E_NS1_11comp_targetILNS1_3genE5ELNS1_11target_archE942ELNS1_3gpuE9ELNS1_3repE0EEENS1_30default_config_static_selectorELNS0_4arch9wavefront6targetE1EEEvT1_
                                        ; -- End function
	.set _ZN7rocprim17ROCPRIM_400000_NS6detail17trampoline_kernelINS0_14default_configENS1_25partition_config_selectorILNS1_17partition_subalgoE8ElNS0_10empty_typeEbEEZZNS1_14partition_implILS5_8ELb0ES3_jPlPS6_PKS6_NS0_5tupleIJS9_S6_EEENSD_IJSA_SA_EEENS0_18inequality_wrapperIZN2at6native12_GLOBAL__N_124unique_dim_cuda_templateIN3c108BFloat16EEESt5tupleIJNSH_6TensorESO_SO_EERKSO_lbbbEUlllE0_EEPmJS6_EEE10hipError_tPvRmT3_T4_T5_T6_T7_T9_mT8_P12ihipStream_tbDpT10_ENKUlT_T0_E_clISt17integral_constantIbLb1EES1D_IbLb0EEEEDaS19_S1A_EUlS19_E_NS1_11comp_targetILNS1_3genE5ELNS1_11target_archE942ELNS1_3gpuE9ELNS1_3repE0EEENS1_30default_config_static_selectorELNS0_4arch9wavefront6targetE1EEEvT1_.num_vgpr, 0
	.set _ZN7rocprim17ROCPRIM_400000_NS6detail17trampoline_kernelINS0_14default_configENS1_25partition_config_selectorILNS1_17partition_subalgoE8ElNS0_10empty_typeEbEEZZNS1_14partition_implILS5_8ELb0ES3_jPlPS6_PKS6_NS0_5tupleIJS9_S6_EEENSD_IJSA_SA_EEENS0_18inequality_wrapperIZN2at6native12_GLOBAL__N_124unique_dim_cuda_templateIN3c108BFloat16EEESt5tupleIJNSH_6TensorESO_SO_EERKSO_lbbbEUlllE0_EEPmJS6_EEE10hipError_tPvRmT3_T4_T5_T6_T7_T9_mT8_P12ihipStream_tbDpT10_ENKUlT_T0_E_clISt17integral_constantIbLb1EES1D_IbLb0EEEEDaS19_S1A_EUlS19_E_NS1_11comp_targetILNS1_3genE5ELNS1_11target_archE942ELNS1_3gpuE9ELNS1_3repE0EEENS1_30default_config_static_selectorELNS0_4arch9wavefront6targetE1EEEvT1_.num_agpr, 0
	.set _ZN7rocprim17ROCPRIM_400000_NS6detail17trampoline_kernelINS0_14default_configENS1_25partition_config_selectorILNS1_17partition_subalgoE8ElNS0_10empty_typeEbEEZZNS1_14partition_implILS5_8ELb0ES3_jPlPS6_PKS6_NS0_5tupleIJS9_S6_EEENSD_IJSA_SA_EEENS0_18inequality_wrapperIZN2at6native12_GLOBAL__N_124unique_dim_cuda_templateIN3c108BFloat16EEESt5tupleIJNSH_6TensorESO_SO_EERKSO_lbbbEUlllE0_EEPmJS6_EEE10hipError_tPvRmT3_T4_T5_T6_T7_T9_mT8_P12ihipStream_tbDpT10_ENKUlT_T0_E_clISt17integral_constantIbLb1EES1D_IbLb0EEEEDaS19_S1A_EUlS19_E_NS1_11comp_targetILNS1_3genE5ELNS1_11target_archE942ELNS1_3gpuE9ELNS1_3repE0EEENS1_30default_config_static_selectorELNS0_4arch9wavefront6targetE1EEEvT1_.numbered_sgpr, 0
	.set _ZN7rocprim17ROCPRIM_400000_NS6detail17trampoline_kernelINS0_14default_configENS1_25partition_config_selectorILNS1_17partition_subalgoE8ElNS0_10empty_typeEbEEZZNS1_14partition_implILS5_8ELb0ES3_jPlPS6_PKS6_NS0_5tupleIJS9_S6_EEENSD_IJSA_SA_EEENS0_18inequality_wrapperIZN2at6native12_GLOBAL__N_124unique_dim_cuda_templateIN3c108BFloat16EEESt5tupleIJNSH_6TensorESO_SO_EERKSO_lbbbEUlllE0_EEPmJS6_EEE10hipError_tPvRmT3_T4_T5_T6_T7_T9_mT8_P12ihipStream_tbDpT10_ENKUlT_T0_E_clISt17integral_constantIbLb1EES1D_IbLb0EEEEDaS19_S1A_EUlS19_E_NS1_11comp_targetILNS1_3genE5ELNS1_11target_archE942ELNS1_3gpuE9ELNS1_3repE0EEENS1_30default_config_static_selectorELNS0_4arch9wavefront6targetE1EEEvT1_.num_named_barrier, 0
	.set _ZN7rocprim17ROCPRIM_400000_NS6detail17trampoline_kernelINS0_14default_configENS1_25partition_config_selectorILNS1_17partition_subalgoE8ElNS0_10empty_typeEbEEZZNS1_14partition_implILS5_8ELb0ES3_jPlPS6_PKS6_NS0_5tupleIJS9_S6_EEENSD_IJSA_SA_EEENS0_18inequality_wrapperIZN2at6native12_GLOBAL__N_124unique_dim_cuda_templateIN3c108BFloat16EEESt5tupleIJNSH_6TensorESO_SO_EERKSO_lbbbEUlllE0_EEPmJS6_EEE10hipError_tPvRmT3_T4_T5_T6_T7_T9_mT8_P12ihipStream_tbDpT10_ENKUlT_T0_E_clISt17integral_constantIbLb1EES1D_IbLb0EEEEDaS19_S1A_EUlS19_E_NS1_11comp_targetILNS1_3genE5ELNS1_11target_archE942ELNS1_3gpuE9ELNS1_3repE0EEENS1_30default_config_static_selectorELNS0_4arch9wavefront6targetE1EEEvT1_.private_seg_size, 0
	.set _ZN7rocprim17ROCPRIM_400000_NS6detail17trampoline_kernelINS0_14default_configENS1_25partition_config_selectorILNS1_17partition_subalgoE8ElNS0_10empty_typeEbEEZZNS1_14partition_implILS5_8ELb0ES3_jPlPS6_PKS6_NS0_5tupleIJS9_S6_EEENSD_IJSA_SA_EEENS0_18inequality_wrapperIZN2at6native12_GLOBAL__N_124unique_dim_cuda_templateIN3c108BFloat16EEESt5tupleIJNSH_6TensorESO_SO_EERKSO_lbbbEUlllE0_EEPmJS6_EEE10hipError_tPvRmT3_T4_T5_T6_T7_T9_mT8_P12ihipStream_tbDpT10_ENKUlT_T0_E_clISt17integral_constantIbLb1EES1D_IbLb0EEEEDaS19_S1A_EUlS19_E_NS1_11comp_targetILNS1_3genE5ELNS1_11target_archE942ELNS1_3gpuE9ELNS1_3repE0EEENS1_30default_config_static_selectorELNS0_4arch9wavefront6targetE1EEEvT1_.uses_vcc, 0
	.set _ZN7rocprim17ROCPRIM_400000_NS6detail17trampoline_kernelINS0_14default_configENS1_25partition_config_selectorILNS1_17partition_subalgoE8ElNS0_10empty_typeEbEEZZNS1_14partition_implILS5_8ELb0ES3_jPlPS6_PKS6_NS0_5tupleIJS9_S6_EEENSD_IJSA_SA_EEENS0_18inequality_wrapperIZN2at6native12_GLOBAL__N_124unique_dim_cuda_templateIN3c108BFloat16EEESt5tupleIJNSH_6TensorESO_SO_EERKSO_lbbbEUlllE0_EEPmJS6_EEE10hipError_tPvRmT3_T4_T5_T6_T7_T9_mT8_P12ihipStream_tbDpT10_ENKUlT_T0_E_clISt17integral_constantIbLb1EES1D_IbLb0EEEEDaS19_S1A_EUlS19_E_NS1_11comp_targetILNS1_3genE5ELNS1_11target_archE942ELNS1_3gpuE9ELNS1_3repE0EEENS1_30default_config_static_selectorELNS0_4arch9wavefront6targetE1EEEvT1_.uses_flat_scratch, 0
	.set _ZN7rocprim17ROCPRIM_400000_NS6detail17trampoline_kernelINS0_14default_configENS1_25partition_config_selectorILNS1_17partition_subalgoE8ElNS0_10empty_typeEbEEZZNS1_14partition_implILS5_8ELb0ES3_jPlPS6_PKS6_NS0_5tupleIJS9_S6_EEENSD_IJSA_SA_EEENS0_18inequality_wrapperIZN2at6native12_GLOBAL__N_124unique_dim_cuda_templateIN3c108BFloat16EEESt5tupleIJNSH_6TensorESO_SO_EERKSO_lbbbEUlllE0_EEPmJS6_EEE10hipError_tPvRmT3_T4_T5_T6_T7_T9_mT8_P12ihipStream_tbDpT10_ENKUlT_T0_E_clISt17integral_constantIbLb1EES1D_IbLb0EEEEDaS19_S1A_EUlS19_E_NS1_11comp_targetILNS1_3genE5ELNS1_11target_archE942ELNS1_3gpuE9ELNS1_3repE0EEENS1_30default_config_static_selectorELNS0_4arch9wavefront6targetE1EEEvT1_.has_dyn_sized_stack, 0
	.set _ZN7rocprim17ROCPRIM_400000_NS6detail17trampoline_kernelINS0_14default_configENS1_25partition_config_selectorILNS1_17partition_subalgoE8ElNS0_10empty_typeEbEEZZNS1_14partition_implILS5_8ELb0ES3_jPlPS6_PKS6_NS0_5tupleIJS9_S6_EEENSD_IJSA_SA_EEENS0_18inequality_wrapperIZN2at6native12_GLOBAL__N_124unique_dim_cuda_templateIN3c108BFloat16EEESt5tupleIJNSH_6TensorESO_SO_EERKSO_lbbbEUlllE0_EEPmJS6_EEE10hipError_tPvRmT3_T4_T5_T6_T7_T9_mT8_P12ihipStream_tbDpT10_ENKUlT_T0_E_clISt17integral_constantIbLb1EES1D_IbLb0EEEEDaS19_S1A_EUlS19_E_NS1_11comp_targetILNS1_3genE5ELNS1_11target_archE942ELNS1_3gpuE9ELNS1_3repE0EEENS1_30default_config_static_selectorELNS0_4arch9wavefront6targetE1EEEvT1_.has_recursion, 0
	.set _ZN7rocprim17ROCPRIM_400000_NS6detail17trampoline_kernelINS0_14default_configENS1_25partition_config_selectorILNS1_17partition_subalgoE8ElNS0_10empty_typeEbEEZZNS1_14partition_implILS5_8ELb0ES3_jPlPS6_PKS6_NS0_5tupleIJS9_S6_EEENSD_IJSA_SA_EEENS0_18inequality_wrapperIZN2at6native12_GLOBAL__N_124unique_dim_cuda_templateIN3c108BFloat16EEESt5tupleIJNSH_6TensorESO_SO_EERKSO_lbbbEUlllE0_EEPmJS6_EEE10hipError_tPvRmT3_T4_T5_T6_T7_T9_mT8_P12ihipStream_tbDpT10_ENKUlT_T0_E_clISt17integral_constantIbLb1EES1D_IbLb0EEEEDaS19_S1A_EUlS19_E_NS1_11comp_targetILNS1_3genE5ELNS1_11target_archE942ELNS1_3gpuE9ELNS1_3repE0EEENS1_30default_config_static_selectorELNS0_4arch9wavefront6targetE1EEEvT1_.has_indirect_call, 0
	.section	.AMDGPU.csdata,"",@progbits
; Kernel info:
; codeLenInByte = 0
; TotalNumSgprs: 6
; NumVgprs: 0
; NumAgprs: 0
; TotalNumVgprs: 0
; ScratchSize: 0
; MemoryBound: 0
; FloatMode: 240
; IeeeMode: 1
; LDSByteSize: 0 bytes/workgroup (compile time only)
; SGPRBlocks: 0
; VGPRBlocks: 0
; NumSGPRsForWavesPerEU: 6
; NumVGPRsForWavesPerEU: 1
; AccumOffset: 4
; Occupancy: 8
; WaveLimiterHint : 0
; COMPUTE_PGM_RSRC2:SCRATCH_EN: 0
; COMPUTE_PGM_RSRC2:USER_SGPR: 2
; COMPUTE_PGM_RSRC2:TRAP_HANDLER: 0
; COMPUTE_PGM_RSRC2:TGID_X_EN: 1
; COMPUTE_PGM_RSRC2:TGID_Y_EN: 0
; COMPUTE_PGM_RSRC2:TGID_Z_EN: 0
; COMPUTE_PGM_RSRC2:TIDIG_COMP_CNT: 0
; COMPUTE_PGM_RSRC3_GFX90A:ACCUM_OFFSET: 0
; COMPUTE_PGM_RSRC3_GFX90A:TG_SPLIT: 0
	.section	.text._ZN7rocprim17ROCPRIM_400000_NS6detail17trampoline_kernelINS0_14default_configENS1_25partition_config_selectorILNS1_17partition_subalgoE8ElNS0_10empty_typeEbEEZZNS1_14partition_implILS5_8ELb0ES3_jPlPS6_PKS6_NS0_5tupleIJS9_S6_EEENSD_IJSA_SA_EEENS0_18inequality_wrapperIZN2at6native12_GLOBAL__N_124unique_dim_cuda_templateIN3c108BFloat16EEESt5tupleIJNSH_6TensorESO_SO_EERKSO_lbbbEUlllE0_EEPmJS6_EEE10hipError_tPvRmT3_T4_T5_T6_T7_T9_mT8_P12ihipStream_tbDpT10_ENKUlT_T0_E_clISt17integral_constantIbLb1EES1D_IbLb0EEEEDaS19_S1A_EUlS19_E_NS1_11comp_targetILNS1_3genE4ELNS1_11target_archE910ELNS1_3gpuE8ELNS1_3repE0EEENS1_30default_config_static_selectorELNS0_4arch9wavefront6targetE1EEEvT1_,"axG",@progbits,_ZN7rocprim17ROCPRIM_400000_NS6detail17trampoline_kernelINS0_14default_configENS1_25partition_config_selectorILNS1_17partition_subalgoE8ElNS0_10empty_typeEbEEZZNS1_14partition_implILS5_8ELb0ES3_jPlPS6_PKS6_NS0_5tupleIJS9_S6_EEENSD_IJSA_SA_EEENS0_18inequality_wrapperIZN2at6native12_GLOBAL__N_124unique_dim_cuda_templateIN3c108BFloat16EEESt5tupleIJNSH_6TensorESO_SO_EERKSO_lbbbEUlllE0_EEPmJS6_EEE10hipError_tPvRmT3_T4_T5_T6_T7_T9_mT8_P12ihipStream_tbDpT10_ENKUlT_T0_E_clISt17integral_constantIbLb1EES1D_IbLb0EEEEDaS19_S1A_EUlS19_E_NS1_11comp_targetILNS1_3genE4ELNS1_11target_archE910ELNS1_3gpuE8ELNS1_3repE0EEENS1_30default_config_static_selectorELNS0_4arch9wavefront6targetE1EEEvT1_,comdat
	.globl	_ZN7rocprim17ROCPRIM_400000_NS6detail17trampoline_kernelINS0_14default_configENS1_25partition_config_selectorILNS1_17partition_subalgoE8ElNS0_10empty_typeEbEEZZNS1_14partition_implILS5_8ELb0ES3_jPlPS6_PKS6_NS0_5tupleIJS9_S6_EEENSD_IJSA_SA_EEENS0_18inequality_wrapperIZN2at6native12_GLOBAL__N_124unique_dim_cuda_templateIN3c108BFloat16EEESt5tupleIJNSH_6TensorESO_SO_EERKSO_lbbbEUlllE0_EEPmJS6_EEE10hipError_tPvRmT3_T4_T5_T6_T7_T9_mT8_P12ihipStream_tbDpT10_ENKUlT_T0_E_clISt17integral_constantIbLb1EES1D_IbLb0EEEEDaS19_S1A_EUlS19_E_NS1_11comp_targetILNS1_3genE4ELNS1_11target_archE910ELNS1_3gpuE8ELNS1_3repE0EEENS1_30default_config_static_selectorELNS0_4arch9wavefront6targetE1EEEvT1_ ; -- Begin function _ZN7rocprim17ROCPRIM_400000_NS6detail17trampoline_kernelINS0_14default_configENS1_25partition_config_selectorILNS1_17partition_subalgoE8ElNS0_10empty_typeEbEEZZNS1_14partition_implILS5_8ELb0ES3_jPlPS6_PKS6_NS0_5tupleIJS9_S6_EEENSD_IJSA_SA_EEENS0_18inequality_wrapperIZN2at6native12_GLOBAL__N_124unique_dim_cuda_templateIN3c108BFloat16EEESt5tupleIJNSH_6TensorESO_SO_EERKSO_lbbbEUlllE0_EEPmJS6_EEE10hipError_tPvRmT3_T4_T5_T6_T7_T9_mT8_P12ihipStream_tbDpT10_ENKUlT_T0_E_clISt17integral_constantIbLb1EES1D_IbLb0EEEEDaS19_S1A_EUlS19_E_NS1_11comp_targetILNS1_3genE4ELNS1_11target_archE910ELNS1_3gpuE8ELNS1_3repE0EEENS1_30default_config_static_selectorELNS0_4arch9wavefront6targetE1EEEvT1_
	.p2align	8
	.type	_ZN7rocprim17ROCPRIM_400000_NS6detail17trampoline_kernelINS0_14default_configENS1_25partition_config_selectorILNS1_17partition_subalgoE8ElNS0_10empty_typeEbEEZZNS1_14partition_implILS5_8ELb0ES3_jPlPS6_PKS6_NS0_5tupleIJS9_S6_EEENSD_IJSA_SA_EEENS0_18inequality_wrapperIZN2at6native12_GLOBAL__N_124unique_dim_cuda_templateIN3c108BFloat16EEESt5tupleIJNSH_6TensorESO_SO_EERKSO_lbbbEUlllE0_EEPmJS6_EEE10hipError_tPvRmT3_T4_T5_T6_T7_T9_mT8_P12ihipStream_tbDpT10_ENKUlT_T0_E_clISt17integral_constantIbLb1EES1D_IbLb0EEEEDaS19_S1A_EUlS19_E_NS1_11comp_targetILNS1_3genE4ELNS1_11target_archE910ELNS1_3gpuE8ELNS1_3repE0EEENS1_30default_config_static_selectorELNS0_4arch9wavefront6targetE1EEEvT1_,@function
_ZN7rocprim17ROCPRIM_400000_NS6detail17trampoline_kernelINS0_14default_configENS1_25partition_config_selectorILNS1_17partition_subalgoE8ElNS0_10empty_typeEbEEZZNS1_14partition_implILS5_8ELb0ES3_jPlPS6_PKS6_NS0_5tupleIJS9_S6_EEENSD_IJSA_SA_EEENS0_18inequality_wrapperIZN2at6native12_GLOBAL__N_124unique_dim_cuda_templateIN3c108BFloat16EEESt5tupleIJNSH_6TensorESO_SO_EERKSO_lbbbEUlllE0_EEPmJS6_EEE10hipError_tPvRmT3_T4_T5_T6_T7_T9_mT8_P12ihipStream_tbDpT10_ENKUlT_T0_E_clISt17integral_constantIbLb1EES1D_IbLb0EEEEDaS19_S1A_EUlS19_E_NS1_11comp_targetILNS1_3genE4ELNS1_11target_archE910ELNS1_3gpuE8ELNS1_3repE0EEENS1_30default_config_static_selectorELNS0_4arch9wavefront6targetE1EEEvT1_: ; @_ZN7rocprim17ROCPRIM_400000_NS6detail17trampoline_kernelINS0_14default_configENS1_25partition_config_selectorILNS1_17partition_subalgoE8ElNS0_10empty_typeEbEEZZNS1_14partition_implILS5_8ELb0ES3_jPlPS6_PKS6_NS0_5tupleIJS9_S6_EEENSD_IJSA_SA_EEENS0_18inequality_wrapperIZN2at6native12_GLOBAL__N_124unique_dim_cuda_templateIN3c108BFloat16EEESt5tupleIJNSH_6TensorESO_SO_EERKSO_lbbbEUlllE0_EEPmJS6_EEE10hipError_tPvRmT3_T4_T5_T6_T7_T9_mT8_P12ihipStream_tbDpT10_ENKUlT_T0_E_clISt17integral_constantIbLb1EES1D_IbLb0EEEEDaS19_S1A_EUlS19_E_NS1_11comp_targetILNS1_3genE4ELNS1_11target_archE910ELNS1_3gpuE8ELNS1_3repE0EEENS1_30default_config_static_selectorELNS0_4arch9wavefront6targetE1EEEvT1_
; %bb.0:
	.section	.rodata,"a",@progbits
	.p2align	6, 0x0
	.amdhsa_kernel _ZN7rocprim17ROCPRIM_400000_NS6detail17trampoline_kernelINS0_14default_configENS1_25partition_config_selectorILNS1_17partition_subalgoE8ElNS0_10empty_typeEbEEZZNS1_14partition_implILS5_8ELb0ES3_jPlPS6_PKS6_NS0_5tupleIJS9_S6_EEENSD_IJSA_SA_EEENS0_18inequality_wrapperIZN2at6native12_GLOBAL__N_124unique_dim_cuda_templateIN3c108BFloat16EEESt5tupleIJNSH_6TensorESO_SO_EERKSO_lbbbEUlllE0_EEPmJS6_EEE10hipError_tPvRmT3_T4_T5_T6_T7_T9_mT8_P12ihipStream_tbDpT10_ENKUlT_T0_E_clISt17integral_constantIbLb1EES1D_IbLb0EEEEDaS19_S1A_EUlS19_E_NS1_11comp_targetILNS1_3genE4ELNS1_11target_archE910ELNS1_3gpuE8ELNS1_3repE0EEENS1_30default_config_static_selectorELNS0_4arch9wavefront6targetE1EEEvT1_
		.amdhsa_group_segment_fixed_size 0
		.amdhsa_private_segment_fixed_size 0
		.amdhsa_kernarg_size 120
		.amdhsa_user_sgpr_count 2
		.amdhsa_user_sgpr_dispatch_ptr 0
		.amdhsa_user_sgpr_queue_ptr 0
		.amdhsa_user_sgpr_kernarg_segment_ptr 1
		.amdhsa_user_sgpr_dispatch_id 0
		.amdhsa_user_sgpr_kernarg_preload_length 0
		.amdhsa_user_sgpr_kernarg_preload_offset 0
		.amdhsa_user_sgpr_private_segment_size 0
		.amdhsa_uses_dynamic_stack 0
		.amdhsa_enable_private_segment 0
		.amdhsa_system_sgpr_workgroup_id_x 1
		.amdhsa_system_sgpr_workgroup_id_y 0
		.amdhsa_system_sgpr_workgroup_id_z 0
		.amdhsa_system_sgpr_workgroup_info 0
		.amdhsa_system_vgpr_workitem_id 0
		.amdhsa_next_free_vgpr 1
		.amdhsa_next_free_sgpr 0
		.amdhsa_accum_offset 4
		.amdhsa_reserve_vcc 0
		.amdhsa_float_round_mode_32 0
		.amdhsa_float_round_mode_16_64 0
		.amdhsa_float_denorm_mode_32 3
		.amdhsa_float_denorm_mode_16_64 3
		.amdhsa_dx10_clamp 1
		.amdhsa_ieee_mode 1
		.amdhsa_fp16_overflow 0
		.amdhsa_tg_split 0
		.amdhsa_exception_fp_ieee_invalid_op 0
		.amdhsa_exception_fp_denorm_src 0
		.amdhsa_exception_fp_ieee_div_zero 0
		.amdhsa_exception_fp_ieee_overflow 0
		.amdhsa_exception_fp_ieee_underflow 0
		.amdhsa_exception_fp_ieee_inexact 0
		.amdhsa_exception_int_div_zero 0
	.end_amdhsa_kernel
	.section	.text._ZN7rocprim17ROCPRIM_400000_NS6detail17trampoline_kernelINS0_14default_configENS1_25partition_config_selectorILNS1_17partition_subalgoE8ElNS0_10empty_typeEbEEZZNS1_14partition_implILS5_8ELb0ES3_jPlPS6_PKS6_NS0_5tupleIJS9_S6_EEENSD_IJSA_SA_EEENS0_18inequality_wrapperIZN2at6native12_GLOBAL__N_124unique_dim_cuda_templateIN3c108BFloat16EEESt5tupleIJNSH_6TensorESO_SO_EERKSO_lbbbEUlllE0_EEPmJS6_EEE10hipError_tPvRmT3_T4_T5_T6_T7_T9_mT8_P12ihipStream_tbDpT10_ENKUlT_T0_E_clISt17integral_constantIbLb1EES1D_IbLb0EEEEDaS19_S1A_EUlS19_E_NS1_11comp_targetILNS1_3genE4ELNS1_11target_archE910ELNS1_3gpuE8ELNS1_3repE0EEENS1_30default_config_static_selectorELNS0_4arch9wavefront6targetE1EEEvT1_,"axG",@progbits,_ZN7rocprim17ROCPRIM_400000_NS6detail17trampoline_kernelINS0_14default_configENS1_25partition_config_selectorILNS1_17partition_subalgoE8ElNS0_10empty_typeEbEEZZNS1_14partition_implILS5_8ELb0ES3_jPlPS6_PKS6_NS0_5tupleIJS9_S6_EEENSD_IJSA_SA_EEENS0_18inequality_wrapperIZN2at6native12_GLOBAL__N_124unique_dim_cuda_templateIN3c108BFloat16EEESt5tupleIJNSH_6TensorESO_SO_EERKSO_lbbbEUlllE0_EEPmJS6_EEE10hipError_tPvRmT3_T4_T5_T6_T7_T9_mT8_P12ihipStream_tbDpT10_ENKUlT_T0_E_clISt17integral_constantIbLb1EES1D_IbLb0EEEEDaS19_S1A_EUlS19_E_NS1_11comp_targetILNS1_3genE4ELNS1_11target_archE910ELNS1_3gpuE8ELNS1_3repE0EEENS1_30default_config_static_selectorELNS0_4arch9wavefront6targetE1EEEvT1_,comdat
.Lfunc_end1192:
	.size	_ZN7rocprim17ROCPRIM_400000_NS6detail17trampoline_kernelINS0_14default_configENS1_25partition_config_selectorILNS1_17partition_subalgoE8ElNS0_10empty_typeEbEEZZNS1_14partition_implILS5_8ELb0ES3_jPlPS6_PKS6_NS0_5tupleIJS9_S6_EEENSD_IJSA_SA_EEENS0_18inequality_wrapperIZN2at6native12_GLOBAL__N_124unique_dim_cuda_templateIN3c108BFloat16EEESt5tupleIJNSH_6TensorESO_SO_EERKSO_lbbbEUlllE0_EEPmJS6_EEE10hipError_tPvRmT3_T4_T5_T6_T7_T9_mT8_P12ihipStream_tbDpT10_ENKUlT_T0_E_clISt17integral_constantIbLb1EES1D_IbLb0EEEEDaS19_S1A_EUlS19_E_NS1_11comp_targetILNS1_3genE4ELNS1_11target_archE910ELNS1_3gpuE8ELNS1_3repE0EEENS1_30default_config_static_selectorELNS0_4arch9wavefront6targetE1EEEvT1_, .Lfunc_end1192-_ZN7rocprim17ROCPRIM_400000_NS6detail17trampoline_kernelINS0_14default_configENS1_25partition_config_selectorILNS1_17partition_subalgoE8ElNS0_10empty_typeEbEEZZNS1_14partition_implILS5_8ELb0ES3_jPlPS6_PKS6_NS0_5tupleIJS9_S6_EEENSD_IJSA_SA_EEENS0_18inequality_wrapperIZN2at6native12_GLOBAL__N_124unique_dim_cuda_templateIN3c108BFloat16EEESt5tupleIJNSH_6TensorESO_SO_EERKSO_lbbbEUlllE0_EEPmJS6_EEE10hipError_tPvRmT3_T4_T5_T6_T7_T9_mT8_P12ihipStream_tbDpT10_ENKUlT_T0_E_clISt17integral_constantIbLb1EES1D_IbLb0EEEEDaS19_S1A_EUlS19_E_NS1_11comp_targetILNS1_3genE4ELNS1_11target_archE910ELNS1_3gpuE8ELNS1_3repE0EEENS1_30default_config_static_selectorELNS0_4arch9wavefront6targetE1EEEvT1_
                                        ; -- End function
	.set _ZN7rocprim17ROCPRIM_400000_NS6detail17trampoline_kernelINS0_14default_configENS1_25partition_config_selectorILNS1_17partition_subalgoE8ElNS0_10empty_typeEbEEZZNS1_14partition_implILS5_8ELb0ES3_jPlPS6_PKS6_NS0_5tupleIJS9_S6_EEENSD_IJSA_SA_EEENS0_18inequality_wrapperIZN2at6native12_GLOBAL__N_124unique_dim_cuda_templateIN3c108BFloat16EEESt5tupleIJNSH_6TensorESO_SO_EERKSO_lbbbEUlllE0_EEPmJS6_EEE10hipError_tPvRmT3_T4_T5_T6_T7_T9_mT8_P12ihipStream_tbDpT10_ENKUlT_T0_E_clISt17integral_constantIbLb1EES1D_IbLb0EEEEDaS19_S1A_EUlS19_E_NS1_11comp_targetILNS1_3genE4ELNS1_11target_archE910ELNS1_3gpuE8ELNS1_3repE0EEENS1_30default_config_static_selectorELNS0_4arch9wavefront6targetE1EEEvT1_.num_vgpr, 0
	.set _ZN7rocprim17ROCPRIM_400000_NS6detail17trampoline_kernelINS0_14default_configENS1_25partition_config_selectorILNS1_17partition_subalgoE8ElNS0_10empty_typeEbEEZZNS1_14partition_implILS5_8ELb0ES3_jPlPS6_PKS6_NS0_5tupleIJS9_S6_EEENSD_IJSA_SA_EEENS0_18inequality_wrapperIZN2at6native12_GLOBAL__N_124unique_dim_cuda_templateIN3c108BFloat16EEESt5tupleIJNSH_6TensorESO_SO_EERKSO_lbbbEUlllE0_EEPmJS6_EEE10hipError_tPvRmT3_T4_T5_T6_T7_T9_mT8_P12ihipStream_tbDpT10_ENKUlT_T0_E_clISt17integral_constantIbLb1EES1D_IbLb0EEEEDaS19_S1A_EUlS19_E_NS1_11comp_targetILNS1_3genE4ELNS1_11target_archE910ELNS1_3gpuE8ELNS1_3repE0EEENS1_30default_config_static_selectorELNS0_4arch9wavefront6targetE1EEEvT1_.num_agpr, 0
	.set _ZN7rocprim17ROCPRIM_400000_NS6detail17trampoline_kernelINS0_14default_configENS1_25partition_config_selectorILNS1_17partition_subalgoE8ElNS0_10empty_typeEbEEZZNS1_14partition_implILS5_8ELb0ES3_jPlPS6_PKS6_NS0_5tupleIJS9_S6_EEENSD_IJSA_SA_EEENS0_18inequality_wrapperIZN2at6native12_GLOBAL__N_124unique_dim_cuda_templateIN3c108BFloat16EEESt5tupleIJNSH_6TensorESO_SO_EERKSO_lbbbEUlllE0_EEPmJS6_EEE10hipError_tPvRmT3_T4_T5_T6_T7_T9_mT8_P12ihipStream_tbDpT10_ENKUlT_T0_E_clISt17integral_constantIbLb1EES1D_IbLb0EEEEDaS19_S1A_EUlS19_E_NS1_11comp_targetILNS1_3genE4ELNS1_11target_archE910ELNS1_3gpuE8ELNS1_3repE0EEENS1_30default_config_static_selectorELNS0_4arch9wavefront6targetE1EEEvT1_.numbered_sgpr, 0
	.set _ZN7rocprim17ROCPRIM_400000_NS6detail17trampoline_kernelINS0_14default_configENS1_25partition_config_selectorILNS1_17partition_subalgoE8ElNS0_10empty_typeEbEEZZNS1_14partition_implILS5_8ELb0ES3_jPlPS6_PKS6_NS0_5tupleIJS9_S6_EEENSD_IJSA_SA_EEENS0_18inequality_wrapperIZN2at6native12_GLOBAL__N_124unique_dim_cuda_templateIN3c108BFloat16EEESt5tupleIJNSH_6TensorESO_SO_EERKSO_lbbbEUlllE0_EEPmJS6_EEE10hipError_tPvRmT3_T4_T5_T6_T7_T9_mT8_P12ihipStream_tbDpT10_ENKUlT_T0_E_clISt17integral_constantIbLb1EES1D_IbLb0EEEEDaS19_S1A_EUlS19_E_NS1_11comp_targetILNS1_3genE4ELNS1_11target_archE910ELNS1_3gpuE8ELNS1_3repE0EEENS1_30default_config_static_selectorELNS0_4arch9wavefront6targetE1EEEvT1_.num_named_barrier, 0
	.set _ZN7rocprim17ROCPRIM_400000_NS6detail17trampoline_kernelINS0_14default_configENS1_25partition_config_selectorILNS1_17partition_subalgoE8ElNS0_10empty_typeEbEEZZNS1_14partition_implILS5_8ELb0ES3_jPlPS6_PKS6_NS0_5tupleIJS9_S6_EEENSD_IJSA_SA_EEENS0_18inequality_wrapperIZN2at6native12_GLOBAL__N_124unique_dim_cuda_templateIN3c108BFloat16EEESt5tupleIJNSH_6TensorESO_SO_EERKSO_lbbbEUlllE0_EEPmJS6_EEE10hipError_tPvRmT3_T4_T5_T6_T7_T9_mT8_P12ihipStream_tbDpT10_ENKUlT_T0_E_clISt17integral_constantIbLb1EES1D_IbLb0EEEEDaS19_S1A_EUlS19_E_NS1_11comp_targetILNS1_3genE4ELNS1_11target_archE910ELNS1_3gpuE8ELNS1_3repE0EEENS1_30default_config_static_selectorELNS0_4arch9wavefront6targetE1EEEvT1_.private_seg_size, 0
	.set _ZN7rocprim17ROCPRIM_400000_NS6detail17trampoline_kernelINS0_14default_configENS1_25partition_config_selectorILNS1_17partition_subalgoE8ElNS0_10empty_typeEbEEZZNS1_14partition_implILS5_8ELb0ES3_jPlPS6_PKS6_NS0_5tupleIJS9_S6_EEENSD_IJSA_SA_EEENS0_18inequality_wrapperIZN2at6native12_GLOBAL__N_124unique_dim_cuda_templateIN3c108BFloat16EEESt5tupleIJNSH_6TensorESO_SO_EERKSO_lbbbEUlllE0_EEPmJS6_EEE10hipError_tPvRmT3_T4_T5_T6_T7_T9_mT8_P12ihipStream_tbDpT10_ENKUlT_T0_E_clISt17integral_constantIbLb1EES1D_IbLb0EEEEDaS19_S1A_EUlS19_E_NS1_11comp_targetILNS1_3genE4ELNS1_11target_archE910ELNS1_3gpuE8ELNS1_3repE0EEENS1_30default_config_static_selectorELNS0_4arch9wavefront6targetE1EEEvT1_.uses_vcc, 0
	.set _ZN7rocprim17ROCPRIM_400000_NS6detail17trampoline_kernelINS0_14default_configENS1_25partition_config_selectorILNS1_17partition_subalgoE8ElNS0_10empty_typeEbEEZZNS1_14partition_implILS5_8ELb0ES3_jPlPS6_PKS6_NS0_5tupleIJS9_S6_EEENSD_IJSA_SA_EEENS0_18inequality_wrapperIZN2at6native12_GLOBAL__N_124unique_dim_cuda_templateIN3c108BFloat16EEESt5tupleIJNSH_6TensorESO_SO_EERKSO_lbbbEUlllE0_EEPmJS6_EEE10hipError_tPvRmT3_T4_T5_T6_T7_T9_mT8_P12ihipStream_tbDpT10_ENKUlT_T0_E_clISt17integral_constantIbLb1EES1D_IbLb0EEEEDaS19_S1A_EUlS19_E_NS1_11comp_targetILNS1_3genE4ELNS1_11target_archE910ELNS1_3gpuE8ELNS1_3repE0EEENS1_30default_config_static_selectorELNS0_4arch9wavefront6targetE1EEEvT1_.uses_flat_scratch, 0
	.set _ZN7rocprim17ROCPRIM_400000_NS6detail17trampoline_kernelINS0_14default_configENS1_25partition_config_selectorILNS1_17partition_subalgoE8ElNS0_10empty_typeEbEEZZNS1_14partition_implILS5_8ELb0ES3_jPlPS6_PKS6_NS0_5tupleIJS9_S6_EEENSD_IJSA_SA_EEENS0_18inequality_wrapperIZN2at6native12_GLOBAL__N_124unique_dim_cuda_templateIN3c108BFloat16EEESt5tupleIJNSH_6TensorESO_SO_EERKSO_lbbbEUlllE0_EEPmJS6_EEE10hipError_tPvRmT3_T4_T5_T6_T7_T9_mT8_P12ihipStream_tbDpT10_ENKUlT_T0_E_clISt17integral_constantIbLb1EES1D_IbLb0EEEEDaS19_S1A_EUlS19_E_NS1_11comp_targetILNS1_3genE4ELNS1_11target_archE910ELNS1_3gpuE8ELNS1_3repE0EEENS1_30default_config_static_selectorELNS0_4arch9wavefront6targetE1EEEvT1_.has_dyn_sized_stack, 0
	.set _ZN7rocprim17ROCPRIM_400000_NS6detail17trampoline_kernelINS0_14default_configENS1_25partition_config_selectorILNS1_17partition_subalgoE8ElNS0_10empty_typeEbEEZZNS1_14partition_implILS5_8ELb0ES3_jPlPS6_PKS6_NS0_5tupleIJS9_S6_EEENSD_IJSA_SA_EEENS0_18inequality_wrapperIZN2at6native12_GLOBAL__N_124unique_dim_cuda_templateIN3c108BFloat16EEESt5tupleIJNSH_6TensorESO_SO_EERKSO_lbbbEUlllE0_EEPmJS6_EEE10hipError_tPvRmT3_T4_T5_T6_T7_T9_mT8_P12ihipStream_tbDpT10_ENKUlT_T0_E_clISt17integral_constantIbLb1EES1D_IbLb0EEEEDaS19_S1A_EUlS19_E_NS1_11comp_targetILNS1_3genE4ELNS1_11target_archE910ELNS1_3gpuE8ELNS1_3repE0EEENS1_30default_config_static_selectorELNS0_4arch9wavefront6targetE1EEEvT1_.has_recursion, 0
	.set _ZN7rocprim17ROCPRIM_400000_NS6detail17trampoline_kernelINS0_14default_configENS1_25partition_config_selectorILNS1_17partition_subalgoE8ElNS0_10empty_typeEbEEZZNS1_14partition_implILS5_8ELb0ES3_jPlPS6_PKS6_NS0_5tupleIJS9_S6_EEENSD_IJSA_SA_EEENS0_18inequality_wrapperIZN2at6native12_GLOBAL__N_124unique_dim_cuda_templateIN3c108BFloat16EEESt5tupleIJNSH_6TensorESO_SO_EERKSO_lbbbEUlllE0_EEPmJS6_EEE10hipError_tPvRmT3_T4_T5_T6_T7_T9_mT8_P12ihipStream_tbDpT10_ENKUlT_T0_E_clISt17integral_constantIbLb1EES1D_IbLb0EEEEDaS19_S1A_EUlS19_E_NS1_11comp_targetILNS1_3genE4ELNS1_11target_archE910ELNS1_3gpuE8ELNS1_3repE0EEENS1_30default_config_static_selectorELNS0_4arch9wavefront6targetE1EEEvT1_.has_indirect_call, 0
	.section	.AMDGPU.csdata,"",@progbits
; Kernel info:
; codeLenInByte = 0
; TotalNumSgprs: 6
; NumVgprs: 0
; NumAgprs: 0
; TotalNumVgprs: 0
; ScratchSize: 0
; MemoryBound: 0
; FloatMode: 240
; IeeeMode: 1
; LDSByteSize: 0 bytes/workgroup (compile time only)
; SGPRBlocks: 0
; VGPRBlocks: 0
; NumSGPRsForWavesPerEU: 6
; NumVGPRsForWavesPerEU: 1
; AccumOffset: 4
; Occupancy: 8
; WaveLimiterHint : 0
; COMPUTE_PGM_RSRC2:SCRATCH_EN: 0
; COMPUTE_PGM_RSRC2:USER_SGPR: 2
; COMPUTE_PGM_RSRC2:TRAP_HANDLER: 0
; COMPUTE_PGM_RSRC2:TGID_X_EN: 1
; COMPUTE_PGM_RSRC2:TGID_Y_EN: 0
; COMPUTE_PGM_RSRC2:TGID_Z_EN: 0
; COMPUTE_PGM_RSRC2:TIDIG_COMP_CNT: 0
; COMPUTE_PGM_RSRC3_GFX90A:ACCUM_OFFSET: 0
; COMPUTE_PGM_RSRC3_GFX90A:TG_SPLIT: 0
	.section	.text._ZN7rocprim17ROCPRIM_400000_NS6detail17trampoline_kernelINS0_14default_configENS1_25partition_config_selectorILNS1_17partition_subalgoE8ElNS0_10empty_typeEbEEZZNS1_14partition_implILS5_8ELb0ES3_jPlPS6_PKS6_NS0_5tupleIJS9_S6_EEENSD_IJSA_SA_EEENS0_18inequality_wrapperIZN2at6native12_GLOBAL__N_124unique_dim_cuda_templateIN3c108BFloat16EEESt5tupleIJNSH_6TensorESO_SO_EERKSO_lbbbEUlllE0_EEPmJS6_EEE10hipError_tPvRmT3_T4_T5_T6_T7_T9_mT8_P12ihipStream_tbDpT10_ENKUlT_T0_E_clISt17integral_constantIbLb1EES1D_IbLb0EEEEDaS19_S1A_EUlS19_E_NS1_11comp_targetILNS1_3genE3ELNS1_11target_archE908ELNS1_3gpuE7ELNS1_3repE0EEENS1_30default_config_static_selectorELNS0_4arch9wavefront6targetE1EEEvT1_,"axG",@progbits,_ZN7rocprim17ROCPRIM_400000_NS6detail17trampoline_kernelINS0_14default_configENS1_25partition_config_selectorILNS1_17partition_subalgoE8ElNS0_10empty_typeEbEEZZNS1_14partition_implILS5_8ELb0ES3_jPlPS6_PKS6_NS0_5tupleIJS9_S6_EEENSD_IJSA_SA_EEENS0_18inequality_wrapperIZN2at6native12_GLOBAL__N_124unique_dim_cuda_templateIN3c108BFloat16EEESt5tupleIJNSH_6TensorESO_SO_EERKSO_lbbbEUlllE0_EEPmJS6_EEE10hipError_tPvRmT3_T4_T5_T6_T7_T9_mT8_P12ihipStream_tbDpT10_ENKUlT_T0_E_clISt17integral_constantIbLb1EES1D_IbLb0EEEEDaS19_S1A_EUlS19_E_NS1_11comp_targetILNS1_3genE3ELNS1_11target_archE908ELNS1_3gpuE7ELNS1_3repE0EEENS1_30default_config_static_selectorELNS0_4arch9wavefront6targetE1EEEvT1_,comdat
	.globl	_ZN7rocprim17ROCPRIM_400000_NS6detail17trampoline_kernelINS0_14default_configENS1_25partition_config_selectorILNS1_17partition_subalgoE8ElNS0_10empty_typeEbEEZZNS1_14partition_implILS5_8ELb0ES3_jPlPS6_PKS6_NS0_5tupleIJS9_S6_EEENSD_IJSA_SA_EEENS0_18inequality_wrapperIZN2at6native12_GLOBAL__N_124unique_dim_cuda_templateIN3c108BFloat16EEESt5tupleIJNSH_6TensorESO_SO_EERKSO_lbbbEUlllE0_EEPmJS6_EEE10hipError_tPvRmT3_T4_T5_T6_T7_T9_mT8_P12ihipStream_tbDpT10_ENKUlT_T0_E_clISt17integral_constantIbLb1EES1D_IbLb0EEEEDaS19_S1A_EUlS19_E_NS1_11comp_targetILNS1_3genE3ELNS1_11target_archE908ELNS1_3gpuE7ELNS1_3repE0EEENS1_30default_config_static_selectorELNS0_4arch9wavefront6targetE1EEEvT1_ ; -- Begin function _ZN7rocprim17ROCPRIM_400000_NS6detail17trampoline_kernelINS0_14default_configENS1_25partition_config_selectorILNS1_17partition_subalgoE8ElNS0_10empty_typeEbEEZZNS1_14partition_implILS5_8ELb0ES3_jPlPS6_PKS6_NS0_5tupleIJS9_S6_EEENSD_IJSA_SA_EEENS0_18inequality_wrapperIZN2at6native12_GLOBAL__N_124unique_dim_cuda_templateIN3c108BFloat16EEESt5tupleIJNSH_6TensorESO_SO_EERKSO_lbbbEUlllE0_EEPmJS6_EEE10hipError_tPvRmT3_T4_T5_T6_T7_T9_mT8_P12ihipStream_tbDpT10_ENKUlT_T0_E_clISt17integral_constantIbLb1EES1D_IbLb0EEEEDaS19_S1A_EUlS19_E_NS1_11comp_targetILNS1_3genE3ELNS1_11target_archE908ELNS1_3gpuE7ELNS1_3repE0EEENS1_30default_config_static_selectorELNS0_4arch9wavefront6targetE1EEEvT1_
	.p2align	8
	.type	_ZN7rocprim17ROCPRIM_400000_NS6detail17trampoline_kernelINS0_14default_configENS1_25partition_config_selectorILNS1_17partition_subalgoE8ElNS0_10empty_typeEbEEZZNS1_14partition_implILS5_8ELb0ES3_jPlPS6_PKS6_NS0_5tupleIJS9_S6_EEENSD_IJSA_SA_EEENS0_18inequality_wrapperIZN2at6native12_GLOBAL__N_124unique_dim_cuda_templateIN3c108BFloat16EEESt5tupleIJNSH_6TensorESO_SO_EERKSO_lbbbEUlllE0_EEPmJS6_EEE10hipError_tPvRmT3_T4_T5_T6_T7_T9_mT8_P12ihipStream_tbDpT10_ENKUlT_T0_E_clISt17integral_constantIbLb1EES1D_IbLb0EEEEDaS19_S1A_EUlS19_E_NS1_11comp_targetILNS1_3genE3ELNS1_11target_archE908ELNS1_3gpuE7ELNS1_3repE0EEENS1_30default_config_static_selectorELNS0_4arch9wavefront6targetE1EEEvT1_,@function
_ZN7rocprim17ROCPRIM_400000_NS6detail17trampoline_kernelINS0_14default_configENS1_25partition_config_selectorILNS1_17partition_subalgoE8ElNS0_10empty_typeEbEEZZNS1_14partition_implILS5_8ELb0ES3_jPlPS6_PKS6_NS0_5tupleIJS9_S6_EEENSD_IJSA_SA_EEENS0_18inequality_wrapperIZN2at6native12_GLOBAL__N_124unique_dim_cuda_templateIN3c108BFloat16EEESt5tupleIJNSH_6TensorESO_SO_EERKSO_lbbbEUlllE0_EEPmJS6_EEE10hipError_tPvRmT3_T4_T5_T6_T7_T9_mT8_P12ihipStream_tbDpT10_ENKUlT_T0_E_clISt17integral_constantIbLb1EES1D_IbLb0EEEEDaS19_S1A_EUlS19_E_NS1_11comp_targetILNS1_3genE3ELNS1_11target_archE908ELNS1_3gpuE7ELNS1_3repE0EEENS1_30default_config_static_selectorELNS0_4arch9wavefront6targetE1EEEvT1_: ; @_ZN7rocprim17ROCPRIM_400000_NS6detail17trampoline_kernelINS0_14default_configENS1_25partition_config_selectorILNS1_17partition_subalgoE8ElNS0_10empty_typeEbEEZZNS1_14partition_implILS5_8ELb0ES3_jPlPS6_PKS6_NS0_5tupleIJS9_S6_EEENSD_IJSA_SA_EEENS0_18inequality_wrapperIZN2at6native12_GLOBAL__N_124unique_dim_cuda_templateIN3c108BFloat16EEESt5tupleIJNSH_6TensorESO_SO_EERKSO_lbbbEUlllE0_EEPmJS6_EEE10hipError_tPvRmT3_T4_T5_T6_T7_T9_mT8_P12ihipStream_tbDpT10_ENKUlT_T0_E_clISt17integral_constantIbLb1EES1D_IbLb0EEEEDaS19_S1A_EUlS19_E_NS1_11comp_targetILNS1_3genE3ELNS1_11target_archE908ELNS1_3gpuE7ELNS1_3repE0EEENS1_30default_config_static_selectorELNS0_4arch9wavefront6targetE1EEEvT1_
; %bb.0:
	.section	.rodata,"a",@progbits
	.p2align	6, 0x0
	.amdhsa_kernel _ZN7rocprim17ROCPRIM_400000_NS6detail17trampoline_kernelINS0_14default_configENS1_25partition_config_selectorILNS1_17partition_subalgoE8ElNS0_10empty_typeEbEEZZNS1_14partition_implILS5_8ELb0ES3_jPlPS6_PKS6_NS0_5tupleIJS9_S6_EEENSD_IJSA_SA_EEENS0_18inequality_wrapperIZN2at6native12_GLOBAL__N_124unique_dim_cuda_templateIN3c108BFloat16EEESt5tupleIJNSH_6TensorESO_SO_EERKSO_lbbbEUlllE0_EEPmJS6_EEE10hipError_tPvRmT3_T4_T5_T6_T7_T9_mT8_P12ihipStream_tbDpT10_ENKUlT_T0_E_clISt17integral_constantIbLb1EES1D_IbLb0EEEEDaS19_S1A_EUlS19_E_NS1_11comp_targetILNS1_3genE3ELNS1_11target_archE908ELNS1_3gpuE7ELNS1_3repE0EEENS1_30default_config_static_selectorELNS0_4arch9wavefront6targetE1EEEvT1_
		.amdhsa_group_segment_fixed_size 0
		.amdhsa_private_segment_fixed_size 0
		.amdhsa_kernarg_size 120
		.amdhsa_user_sgpr_count 2
		.amdhsa_user_sgpr_dispatch_ptr 0
		.amdhsa_user_sgpr_queue_ptr 0
		.amdhsa_user_sgpr_kernarg_segment_ptr 1
		.amdhsa_user_sgpr_dispatch_id 0
		.amdhsa_user_sgpr_kernarg_preload_length 0
		.amdhsa_user_sgpr_kernarg_preload_offset 0
		.amdhsa_user_sgpr_private_segment_size 0
		.amdhsa_uses_dynamic_stack 0
		.amdhsa_enable_private_segment 0
		.amdhsa_system_sgpr_workgroup_id_x 1
		.amdhsa_system_sgpr_workgroup_id_y 0
		.amdhsa_system_sgpr_workgroup_id_z 0
		.amdhsa_system_sgpr_workgroup_info 0
		.amdhsa_system_vgpr_workitem_id 0
		.amdhsa_next_free_vgpr 1
		.amdhsa_next_free_sgpr 0
		.amdhsa_accum_offset 4
		.amdhsa_reserve_vcc 0
		.amdhsa_float_round_mode_32 0
		.amdhsa_float_round_mode_16_64 0
		.amdhsa_float_denorm_mode_32 3
		.amdhsa_float_denorm_mode_16_64 3
		.amdhsa_dx10_clamp 1
		.amdhsa_ieee_mode 1
		.amdhsa_fp16_overflow 0
		.amdhsa_tg_split 0
		.amdhsa_exception_fp_ieee_invalid_op 0
		.amdhsa_exception_fp_denorm_src 0
		.amdhsa_exception_fp_ieee_div_zero 0
		.amdhsa_exception_fp_ieee_overflow 0
		.amdhsa_exception_fp_ieee_underflow 0
		.amdhsa_exception_fp_ieee_inexact 0
		.amdhsa_exception_int_div_zero 0
	.end_amdhsa_kernel
	.section	.text._ZN7rocprim17ROCPRIM_400000_NS6detail17trampoline_kernelINS0_14default_configENS1_25partition_config_selectorILNS1_17partition_subalgoE8ElNS0_10empty_typeEbEEZZNS1_14partition_implILS5_8ELb0ES3_jPlPS6_PKS6_NS0_5tupleIJS9_S6_EEENSD_IJSA_SA_EEENS0_18inequality_wrapperIZN2at6native12_GLOBAL__N_124unique_dim_cuda_templateIN3c108BFloat16EEESt5tupleIJNSH_6TensorESO_SO_EERKSO_lbbbEUlllE0_EEPmJS6_EEE10hipError_tPvRmT3_T4_T5_T6_T7_T9_mT8_P12ihipStream_tbDpT10_ENKUlT_T0_E_clISt17integral_constantIbLb1EES1D_IbLb0EEEEDaS19_S1A_EUlS19_E_NS1_11comp_targetILNS1_3genE3ELNS1_11target_archE908ELNS1_3gpuE7ELNS1_3repE0EEENS1_30default_config_static_selectorELNS0_4arch9wavefront6targetE1EEEvT1_,"axG",@progbits,_ZN7rocprim17ROCPRIM_400000_NS6detail17trampoline_kernelINS0_14default_configENS1_25partition_config_selectorILNS1_17partition_subalgoE8ElNS0_10empty_typeEbEEZZNS1_14partition_implILS5_8ELb0ES3_jPlPS6_PKS6_NS0_5tupleIJS9_S6_EEENSD_IJSA_SA_EEENS0_18inequality_wrapperIZN2at6native12_GLOBAL__N_124unique_dim_cuda_templateIN3c108BFloat16EEESt5tupleIJNSH_6TensorESO_SO_EERKSO_lbbbEUlllE0_EEPmJS6_EEE10hipError_tPvRmT3_T4_T5_T6_T7_T9_mT8_P12ihipStream_tbDpT10_ENKUlT_T0_E_clISt17integral_constantIbLb1EES1D_IbLb0EEEEDaS19_S1A_EUlS19_E_NS1_11comp_targetILNS1_3genE3ELNS1_11target_archE908ELNS1_3gpuE7ELNS1_3repE0EEENS1_30default_config_static_selectorELNS0_4arch9wavefront6targetE1EEEvT1_,comdat
.Lfunc_end1193:
	.size	_ZN7rocprim17ROCPRIM_400000_NS6detail17trampoline_kernelINS0_14default_configENS1_25partition_config_selectorILNS1_17partition_subalgoE8ElNS0_10empty_typeEbEEZZNS1_14partition_implILS5_8ELb0ES3_jPlPS6_PKS6_NS0_5tupleIJS9_S6_EEENSD_IJSA_SA_EEENS0_18inequality_wrapperIZN2at6native12_GLOBAL__N_124unique_dim_cuda_templateIN3c108BFloat16EEESt5tupleIJNSH_6TensorESO_SO_EERKSO_lbbbEUlllE0_EEPmJS6_EEE10hipError_tPvRmT3_T4_T5_T6_T7_T9_mT8_P12ihipStream_tbDpT10_ENKUlT_T0_E_clISt17integral_constantIbLb1EES1D_IbLb0EEEEDaS19_S1A_EUlS19_E_NS1_11comp_targetILNS1_3genE3ELNS1_11target_archE908ELNS1_3gpuE7ELNS1_3repE0EEENS1_30default_config_static_selectorELNS0_4arch9wavefront6targetE1EEEvT1_, .Lfunc_end1193-_ZN7rocprim17ROCPRIM_400000_NS6detail17trampoline_kernelINS0_14default_configENS1_25partition_config_selectorILNS1_17partition_subalgoE8ElNS0_10empty_typeEbEEZZNS1_14partition_implILS5_8ELb0ES3_jPlPS6_PKS6_NS0_5tupleIJS9_S6_EEENSD_IJSA_SA_EEENS0_18inequality_wrapperIZN2at6native12_GLOBAL__N_124unique_dim_cuda_templateIN3c108BFloat16EEESt5tupleIJNSH_6TensorESO_SO_EERKSO_lbbbEUlllE0_EEPmJS6_EEE10hipError_tPvRmT3_T4_T5_T6_T7_T9_mT8_P12ihipStream_tbDpT10_ENKUlT_T0_E_clISt17integral_constantIbLb1EES1D_IbLb0EEEEDaS19_S1A_EUlS19_E_NS1_11comp_targetILNS1_3genE3ELNS1_11target_archE908ELNS1_3gpuE7ELNS1_3repE0EEENS1_30default_config_static_selectorELNS0_4arch9wavefront6targetE1EEEvT1_
                                        ; -- End function
	.set _ZN7rocprim17ROCPRIM_400000_NS6detail17trampoline_kernelINS0_14default_configENS1_25partition_config_selectorILNS1_17partition_subalgoE8ElNS0_10empty_typeEbEEZZNS1_14partition_implILS5_8ELb0ES3_jPlPS6_PKS6_NS0_5tupleIJS9_S6_EEENSD_IJSA_SA_EEENS0_18inequality_wrapperIZN2at6native12_GLOBAL__N_124unique_dim_cuda_templateIN3c108BFloat16EEESt5tupleIJNSH_6TensorESO_SO_EERKSO_lbbbEUlllE0_EEPmJS6_EEE10hipError_tPvRmT3_T4_T5_T6_T7_T9_mT8_P12ihipStream_tbDpT10_ENKUlT_T0_E_clISt17integral_constantIbLb1EES1D_IbLb0EEEEDaS19_S1A_EUlS19_E_NS1_11comp_targetILNS1_3genE3ELNS1_11target_archE908ELNS1_3gpuE7ELNS1_3repE0EEENS1_30default_config_static_selectorELNS0_4arch9wavefront6targetE1EEEvT1_.num_vgpr, 0
	.set _ZN7rocprim17ROCPRIM_400000_NS6detail17trampoline_kernelINS0_14default_configENS1_25partition_config_selectorILNS1_17partition_subalgoE8ElNS0_10empty_typeEbEEZZNS1_14partition_implILS5_8ELb0ES3_jPlPS6_PKS6_NS0_5tupleIJS9_S6_EEENSD_IJSA_SA_EEENS0_18inequality_wrapperIZN2at6native12_GLOBAL__N_124unique_dim_cuda_templateIN3c108BFloat16EEESt5tupleIJNSH_6TensorESO_SO_EERKSO_lbbbEUlllE0_EEPmJS6_EEE10hipError_tPvRmT3_T4_T5_T6_T7_T9_mT8_P12ihipStream_tbDpT10_ENKUlT_T0_E_clISt17integral_constantIbLb1EES1D_IbLb0EEEEDaS19_S1A_EUlS19_E_NS1_11comp_targetILNS1_3genE3ELNS1_11target_archE908ELNS1_3gpuE7ELNS1_3repE0EEENS1_30default_config_static_selectorELNS0_4arch9wavefront6targetE1EEEvT1_.num_agpr, 0
	.set _ZN7rocprim17ROCPRIM_400000_NS6detail17trampoline_kernelINS0_14default_configENS1_25partition_config_selectorILNS1_17partition_subalgoE8ElNS0_10empty_typeEbEEZZNS1_14partition_implILS5_8ELb0ES3_jPlPS6_PKS6_NS0_5tupleIJS9_S6_EEENSD_IJSA_SA_EEENS0_18inequality_wrapperIZN2at6native12_GLOBAL__N_124unique_dim_cuda_templateIN3c108BFloat16EEESt5tupleIJNSH_6TensorESO_SO_EERKSO_lbbbEUlllE0_EEPmJS6_EEE10hipError_tPvRmT3_T4_T5_T6_T7_T9_mT8_P12ihipStream_tbDpT10_ENKUlT_T0_E_clISt17integral_constantIbLb1EES1D_IbLb0EEEEDaS19_S1A_EUlS19_E_NS1_11comp_targetILNS1_3genE3ELNS1_11target_archE908ELNS1_3gpuE7ELNS1_3repE0EEENS1_30default_config_static_selectorELNS0_4arch9wavefront6targetE1EEEvT1_.numbered_sgpr, 0
	.set _ZN7rocprim17ROCPRIM_400000_NS6detail17trampoline_kernelINS0_14default_configENS1_25partition_config_selectorILNS1_17partition_subalgoE8ElNS0_10empty_typeEbEEZZNS1_14partition_implILS5_8ELb0ES3_jPlPS6_PKS6_NS0_5tupleIJS9_S6_EEENSD_IJSA_SA_EEENS0_18inequality_wrapperIZN2at6native12_GLOBAL__N_124unique_dim_cuda_templateIN3c108BFloat16EEESt5tupleIJNSH_6TensorESO_SO_EERKSO_lbbbEUlllE0_EEPmJS6_EEE10hipError_tPvRmT3_T4_T5_T6_T7_T9_mT8_P12ihipStream_tbDpT10_ENKUlT_T0_E_clISt17integral_constantIbLb1EES1D_IbLb0EEEEDaS19_S1A_EUlS19_E_NS1_11comp_targetILNS1_3genE3ELNS1_11target_archE908ELNS1_3gpuE7ELNS1_3repE0EEENS1_30default_config_static_selectorELNS0_4arch9wavefront6targetE1EEEvT1_.num_named_barrier, 0
	.set _ZN7rocprim17ROCPRIM_400000_NS6detail17trampoline_kernelINS0_14default_configENS1_25partition_config_selectorILNS1_17partition_subalgoE8ElNS0_10empty_typeEbEEZZNS1_14partition_implILS5_8ELb0ES3_jPlPS6_PKS6_NS0_5tupleIJS9_S6_EEENSD_IJSA_SA_EEENS0_18inequality_wrapperIZN2at6native12_GLOBAL__N_124unique_dim_cuda_templateIN3c108BFloat16EEESt5tupleIJNSH_6TensorESO_SO_EERKSO_lbbbEUlllE0_EEPmJS6_EEE10hipError_tPvRmT3_T4_T5_T6_T7_T9_mT8_P12ihipStream_tbDpT10_ENKUlT_T0_E_clISt17integral_constantIbLb1EES1D_IbLb0EEEEDaS19_S1A_EUlS19_E_NS1_11comp_targetILNS1_3genE3ELNS1_11target_archE908ELNS1_3gpuE7ELNS1_3repE0EEENS1_30default_config_static_selectorELNS0_4arch9wavefront6targetE1EEEvT1_.private_seg_size, 0
	.set _ZN7rocprim17ROCPRIM_400000_NS6detail17trampoline_kernelINS0_14default_configENS1_25partition_config_selectorILNS1_17partition_subalgoE8ElNS0_10empty_typeEbEEZZNS1_14partition_implILS5_8ELb0ES3_jPlPS6_PKS6_NS0_5tupleIJS9_S6_EEENSD_IJSA_SA_EEENS0_18inequality_wrapperIZN2at6native12_GLOBAL__N_124unique_dim_cuda_templateIN3c108BFloat16EEESt5tupleIJNSH_6TensorESO_SO_EERKSO_lbbbEUlllE0_EEPmJS6_EEE10hipError_tPvRmT3_T4_T5_T6_T7_T9_mT8_P12ihipStream_tbDpT10_ENKUlT_T0_E_clISt17integral_constantIbLb1EES1D_IbLb0EEEEDaS19_S1A_EUlS19_E_NS1_11comp_targetILNS1_3genE3ELNS1_11target_archE908ELNS1_3gpuE7ELNS1_3repE0EEENS1_30default_config_static_selectorELNS0_4arch9wavefront6targetE1EEEvT1_.uses_vcc, 0
	.set _ZN7rocprim17ROCPRIM_400000_NS6detail17trampoline_kernelINS0_14default_configENS1_25partition_config_selectorILNS1_17partition_subalgoE8ElNS0_10empty_typeEbEEZZNS1_14partition_implILS5_8ELb0ES3_jPlPS6_PKS6_NS0_5tupleIJS9_S6_EEENSD_IJSA_SA_EEENS0_18inequality_wrapperIZN2at6native12_GLOBAL__N_124unique_dim_cuda_templateIN3c108BFloat16EEESt5tupleIJNSH_6TensorESO_SO_EERKSO_lbbbEUlllE0_EEPmJS6_EEE10hipError_tPvRmT3_T4_T5_T6_T7_T9_mT8_P12ihipStream_tbDpT10_ENKUlT_T0_E_clISt17integral_constantIbLb1EES1D_IbLb0EEEEDaS19_S1A_EUlS19_E_NS1_11comp_targetILNS1_3genE3ELNS1_11target_archE908ELNS1_3gpuE7ELNS1_3repE0EEENS1_30default_config_static_selectorELNS0_4arch9wavefront6targetE1EEEvT1_.uses_flat_scratch, 0
	.set _ZN7rocprim17ROCPRIM_400000_NS6detail17trampoline_kernelINS0_14default_configENS1_25partition_config_selectorILNS1_17partition_subalgoE8ElNS0_10empty_typeEbEEZZNS1_14partition_implILS5_8ELb0ES3_jPlPS6_PKS6_NS0_5tupleIJS9_S6_EEENSD_IJSA_SA_EEENS0_18inequality_wrapperIZN2at6native12_GLOBAL__N_124unique_dim_cuda_templateIN3c108BFloat16EEESt5tupleIJNSH_6TensorESO_SO_EERKSO_lbbbEUlllE0_EEPmJS6_EEE10hipError_tPvRmT3_T4_T5_T6_T7_T9_mT8_P12ihipStream_tbDpT10_ENKUlT_T0_E_clISt17integral_constantIbLb1EES1D_IbLb0EEEEDaS19_S1A_EUlS19_E_NS1_11comp_targetILNS1_3genE3ELNS1_11target_archE908ELNS1_3gpuE7ELNS1_3repE0EEENS1_30default_config_static_selectorELNS0_4arch9wavefront6targetE1EEEvT1_.has_dyn_sized_stack, 0
	.set _ZN7rocprim17ROCPRIM_400000_NS6detail17trampoline_kernelINS0_14default_configENS1_25partition_config_selectorILNS1_17partition_subalgoE8ElNS0_10empty_typeEbEEZZNS1_14partition_implILS5_8ELb0ES3_jPlPS6_PKS6_NS0_5tupleIJS9_S6_EEENSD_IJSA_SA_EEENS0_18inequality_wrapperIZN2at6native12_GLOBAL__N_124unique_dim_cuda_templateIN3c108BFloat16EEESt5tupleIJNSH_6TensorESO_SO_EERKSO_lbbbEUlllE0_EEPmJS6_EEE10hipError_tPvRmT3_T4_T5_T6_T7_T9_mT8_P12ihipStream_tbDpT10_ENKUlT_T0_E_clISt17integral_constantIbLb1EES1D_IbLb0EEEEDaS19_S1A_EUlS19_E_NS1_11comp_targetILNS1_3genE3ELNS1_11target_archE908ELNS1_3gpuE7ELNS1_3repE0EEENS1_30default_config_static_selectorELNS0_4arch9wavefront6targetE1EEEvT1_.has_recursion, 0
	.set _ZN7rocprim17ROCPRIM_400000_NS6detail17trampoline_kernelINS0_14default_configENS1_25partition_config_selectorILNS1_17partition_subalgoE8ElNS0_10empty_typeEbEEZZNS1_14partition_implILS5_8ELb0ES3_jPlPS6_PKS6_NS0_5tupleIJS9_S6_EEENSD_IJSA_SA_EEENS0_18inequality_wrapperIZN2at6native12_GLOBAL__N_124unique_dim_cuda_templateIN3c108BFloat16EEESt5tupleIJNSH_6TensorESO_SO_EERKSO_lbbbEUlllE0_EEPmJS6_EEE10hipError_tPvRmT3_T4_T5_T6_T7_T9_mT8_P12ihipStream_tbDpT10_ENKUlT_T0_E_clISt17integral_constantIbLb1EES1D_IbLb0EEEEDaS19_S1A_EUlS19_E_NS1_11comp_targetILNS1_3genE3ELNS1_11target_archE908ELNS1_3gpuE7ELNS1_3repE0EEENS1_30default_config_static_selectorELNS0_4arch9wavefront6targetE1EEEvT1_.has_indirect_call, 0
	.section	.AMDGPU.csdata,"",@progbits
; Kernel info:
; codeLenInByte = 0
; TotalNumSgprs: 6
; NumVgprs: 0
; NumAgprs: 0
; TotalNumVgprs: 0
; ScratchSize: 0
; MemoryBound: 0
; FloatMode: 240
; IeeeMode: 1
; LDSByteSize: 0 bytes/workgroup (compile time only)
; SGPRBlocks: 0
; VGPRBlocks: 0
; NumSGPRsForWavesPerEU: 6
; NumVGPRsForWavesPerEU: 1
; AccumOffset: 4
; Occupancy: 8
; WaveLimiterHint : 0
; COMPUTE_PGM_RSRC2:SCRATCH_EN: 0
; COMPUTE_PGM_RSRC2:USER_SGPR: 2
; COMPUTE_PGM_RSRC2:TRAP_HANDLER: 0
; COMPUTE_PGM_RSRC2:TGID_X_EN: 1
; COMPUTE_PGM_RSRC2:TGID_Y_EN: 0
; COMPUTE_PGM_RSRC2:TGID_Z_EN: 0
; COMPUTE_PGM_RSRC2:TIDIG_COMP_CNT: 0
; COMPUTE_PGM_RSRC3_GFX90A:ACCUM_OFFSET: 0
; COMPUTE_PGM_RSRC3_GFX90A:TG_SPLIT: 0
	.section	.text._ZN7rocprim17ROCPRIM_400000_NS6detail17trampoline_kernelINS0_14default_configENS1_25partition_config_selectorILNS1_17partition_subalgoE8ElNS0_10empty_typeEbEEZZNS1_14partition_implILS5_8ELb0ES3_jPlPS6_PKS6_NS0_5tupleIJS9_S6_EEENSD_IJSA_SA_EEENS0_18inequality_wrapperIZN2at6native12_GLOBAL__N_124unique_dim_cuda_templateIN3c108BFloat16EEESt5tupleIJNSH_6TensorESO_SO_EERKSO_lbbbEUlllE0_EEPmJS6_EEE10hipError_tPvRmT3_T4_T5_T6_T7_T9_mT8_P12ihipStream_tbDpT10_ENKUlT_T0_E_clISt17integral_constantIbLb1EES1D_IbLb0EEEEDaS19_S1A_EUlS19_E_NS1_11comp_targetILNS1_3genE2ELNS1_11target_archE906ELNS1_3gpuE6ELNS1_3repE0EEENS1_30default_config_static_selectorELNS0_4arch9wavefront6targetE1EEEvT1_,"axG",@progbits,_ZN7rocprim17ROCPRIM_400000_NS6detail17trampoline_kernelINS0_14default_configENS1_25partition_config_selectorILNS1_17partition_subalgoE8ElNS0_10empty_typeEbEEZZNS1_14partition_implILS5_8ELb0ES3_jPlPS6_PKS6_NS0_5tupleIJS9_S6_EEENSD_IJSA_SA_EEENS0_18inequality_wrapperIZN2at6native12_GLOBAL__N_124unique_dim_cuda_templateIN3c108BFloat16EEESt5tupleIJNSH_6TensorESO_SO_EERKSO_lbbbEUlllE0_EEPmJS6_EEE10hipError_tPvRmT3_T4_T5_T6_T7_T9_mT8_P12ihipStream_tbDpT10_ENKUlT_T0_E_clISt17integral_constantIbLb1EES1D_IbLb0EEEEDaS19_S1A_EUlS19_E_NS1_11comp_targetILNS1_3genE2ELNS1_11target_archE906ELNS1_3gpuE6ELNS1_3repE0EEENS1_30default_config_static_selectorELNS0_4arch9wavefront6targetE1EEEvT1_,comdat
	.globl	_ZN7rocprim17ROCPRIM_400000_NS6detail17trampoline_kernelINS0_14default_configENS1_25partition_config_selectorILNS1_17partition_subalgoE8ElNS0_10empty_typeEbEEZZNS1_14partition_implILS5_8ELb0ES3_jPlPS6_PKS6_NS0_5tupleIJS9_S6_EEENSD_IJSA_SA_EEENS0_18inequality_wrapperIZN2at6native12_GLOBAL__N_124unique_dim_cuda_templateIN3c108BFloat16EEESt5tupleIJNSH_6TensorESO_SO_EERKSO_lbbbEUlllE0_EEPmJS6_EEE10hipError_tPvRmT3_T4_T5_T6_T7_T9_mT8_P12ihipStream_tbDpT10_ENKUlT_T0_E_clISt17integral_constantIbLb1EES1D_IbLb0EEEEDaS19_S1A_EUlS19_E_NS1_11comp_targetILNS1_3genE2ELNS1_11target_archE906ELNS1_3gpuE6ELNS1_3repE0EEENS1_30default_config_static_selectorELNS0_4arch9wavefront6targetE1EEEvT1_ ; -- Begin function _ZN7rocprim17ROCPRIM_400000_NS6detail17trampoline_kernelINS0_14default_configENS1_25partition_config_selectorILNS1_17partition_subalgoE8ElNS0_10empty_typeEbEEZZNS1_14partition_implILS5_8ELb0ES3_jPlPS6_PKS6_NS0_5tupleIJS9_S6_EEENSD_IJSA_SA_EEENS0_18inequality_wrapperIZN2at6native12_GLOBAL__N_124unique_dim_cuda_templateIN3c108BFloat16EEESt5tupleIJNSH_6TensorESO_SO_EERKSO_lbbbEUlllE0_EEPmJS6_EEE10hipError_tPvRmT3_T4_T5_T6_T7_T9_mT8_P12ihipStream_tbDpT10_ENKUlT_T0_E_clISt17integral_constantIbLb1EES1D_IbLb0EEEEDaS19_S1A_EUlS19_E_NS1_11comp_targetILNS1_3genE2ELNS1_11target_archE906ELNS1_3gpuE6ELNS1_3repE0EEENS1_30default_config_static_selectorELNS0_4arch9wavefront6targetE1EEEvT1_
	.p2align	8
	.type	_ZN7rocprim17ROCPRIM_400000_NS6detail17trampoline_kernelINS0_14default_configENS1_25partition_config_selectorILNS1_17partition_subalgoE8ElNS0_10empty_typeEbEEZZNS1_14partition_implILS5_8ELb0ES3_jPlPS6_PKS6_NS0_5tupleIJS9_S6_EEENSD_IJSA_SA_EEENS0_18inequality_wrapperIZN2at6native12_GLOBAL__N_124unique_dim_cuda_templateIN3c108BFloat16EEESt5tupleIJNSH_6TensorESO_SO_EERKSO_lbbbEUlllE0_EEPmJS6_EEE10hipError_tPvRmT3_T4_T5_T6_T7_T9_mT8_P12ihipStream_tbDpT10_ENKUlT_T0_E_clISt17integral_constantIbLb1EES1D_IbLb0EEEEDaS19_S1A_EUlS19_E_NS1_11comp_targetILNS1_3genE2ELNS1_11target_archE906ELNS1_3gpuE6ELNS1_3repE0EEENS1_30default_config_static_selectorELNS0_4arch9wavefront6targetE1EEEvT1_,@function
_ZN7rocprim17ROCPRIM_400000_NS6detail17trampoline_kernelINS0_14default_configENS1_25partition_config_selectorILNS1_17partition_subalgoE8ElNS0_10empty_typeEbEEZZNS1_14partition_implILS5_8ELb0ES3_jPlPS6_PKS6_NS0_5tupleIJS9_S6_EEENSD_IJSA_SA_EEENS0_18inequality_wrapperIZN2at6native12_GLOBAL__N_124unique_dim_cuda_templateIN3c108BFloat16EEESt5tupleIJNSH_6TensorESO_SO_EERKSO_lbbbEUlllE0_EEPmJS6_EEE10hipError_tPvRmT3_T4_T5_T6_T7_T9_mT8_P12ihipStream_tbDpT10_ENKUlT_T0_E_clISt17integral_constantIbLb1EES1D_IbLb0EEEEDaS19_S1A_EUlS19_E_NS1_11comp_targetILNS1_3genE2ELNS1_11target_archE906ELNS1_3gpuE6ELNS1_3repE0EEENS1_30default_config_static_selectorELNS0_4arch9wavefront6targetE1EEEvT1_: ; @_ZN7rocprim17ROCPRIM_400000_NS6detail17trampoline_kernelINS0_14default_configENS1_25partition_config_selectorILNS1_17partition_subalgoE8ElNS0_10empty_typeEbEEZZNS1_14partition_implILS5_8ELb0ES3_jPlPS6_PKS6_NS0_5tupleIJS9_S6_EEENSD_IJSA_SA_EEENS0_18inequality_wrapperIZN2at6native12_GLOBAL__N_124unique_dim_cuda_templateIN3c108BFloat16EEESt5tupleIJNSH_6TensorESO_SO_EERKSO_lbbbEUlllE0_EEPmJS6_EEE10hipError_tPvRmT3_T4_T5_T6_T7_T9_mT8_P12ihipStream_tbDpT10_ENKUlT_T0_E_clISt17integral_constantIbLb1EES1D_IbLb0EEEEDaS19_S1A_EUlS19_E_NS1_11comp_targetILNS1_3genE2ELNS1_11target_archE906ELNS1_3gpuE6ELNS1_3repE0EEENS1_30default_config_static_selectorELNS0_4arch9wavefront6targetE1EEEvT1_
; %bb.0:
	.section	.rodata,"a",@progbits
	.p2align	6, 0x0
	.amdhsa_kernel _ZN7rocprim17ROCPRIM_400000_NS6detail17trampoline_kernelINS0_14default_configENS1_25partition_config_selectorILNS1_17partition_subalgoE8ElNS0_10empty_typeEbEEZZNS1_14partition_implILS5_8ELb0ES3_jPlPS6_PKS6_NS0_5tupleIJS9_S6_EEENSD_IJSA_SA_EEENS0_18inequality_wrapperIZN2at6native12_GLOBAL__N_124unique_dim_cuda_templateIN3c108BFloat16EEESt5tupleIJNSH_6TensorESO_SO_EERKSO_lbbbEUlllE0_EEPmJS6_EEE10hipError_tPvRmT3_T4_T5_T6_T7_T9_mT8_P12ihipStream_tbDpT10_ENKUlT_T0_E_clISt17integral_constantIbLb1EES1D_IbLb0EEEEDaS19_S1A_EUlS19_E_NS1_11comp_targetILNS1_3genE2ELNS1_11target_archE906ELNS1_3gpuE6ELNS1_3repE0EEENS1_30default_config_static_selectorELNS0_4arch9wavefront6targetE1EEEvT1_
		.amdhsa_group_segment_fixed_size 0
		.amdhsa_private_segment_fixed_size 0
		.amdhsa_kernarg_size 120
		.amdhsa_user_sgpr_count 2
		.amdhsa_user_sgpr_dispatch_ptr 0
		.amdhsa_user_sgpr_queue_ptr 0
		.amdhsa_user_sgpr_kernarg_segment_ptr 1
		.amdhsa_user_sgpr_dispatch_id 0
		.amdhsa_user_sgpr_kernarg_preload_length 0
		.amdhsa_user_sgpr_kernarg_preload_offset 0
		.amdhsa_user_sgpr_private_segment_size 0
		.amdhsa_uses_dynamic_stack 0
		.amdhsa_enable_private_segment 0
		.amdhsa_system_sgpr_workgroup_id_x 1
		.amdhsa_system_sgpr_workgroup_id_y 0
		.amdhsa_system_sgpr_workgroup_id_z 0
		.amdhsa_system_sgpr_workgroup_info 0
		.amdhsa_system_vgpr_workitem_id 0
		.amdhsa_next_free_vgpr 1
		.amdhsa_next_free_sgpr 0
		.amdhsa_accum_offset 4
		.amdhsa_reserve_vcc 0
		.amdhsa_float_round_mode_32 0
		.amdhsa_float_round_mode_16_64 0
		.amdhsa_float_denorm_mode_32 3
		.amdhsa_float_denorm_mode_16_64 3
		.amdhsa_dx10_clamp 1
		.amdhsa_ieee_mode 1
		.amdhsa_fp16_overflow 0
		.amdhsa_tg_split 0
		.amdhsa_exception_fp_ieee_invalid_op 0
		.amdhsa_exception_fp_denorm_src 0
		.amdhsa_exception_fp_ieee_div_zero 0
		.amdhsa_exception_fp_ieee_overflow 0
		.amdhsa_exception_fp_ieee_underflow 0
		.amdhsa_exception_fp_ieee_inexact 0
		.amdhsa_exception_int_div_zero 0
	.end_amdhsa_kernel
	.section	.text._ZN7rocprim17ROCPRIM_400000_NS6detail17trampoline_kernelINS0_14default_configENS1_25partition_config_selectorILNS1_17partition_subalgoE8ElNS0_10empty_typeEbEEZZNS1_14partition_implILS5_8ELb0ES3_jPlPS6_PKS6_NS0_5tupleIJS9_S6_EEENSD_IJSA_SA_EEENS0_18inequality_wrapperIZN2at6native12_GLOBAL__N_124unique_dim_cuda_templateIN3c108BFloat16EEESt5tupleIJNSH_6TensorESO_SO_EERKSO_lbbbEUlllE0_EEPmJS6_EEE10hipError_tPvRmT3_T4_T5_T6_T7_T9_mT8_P12ihipStream_tbDpT10_ENKUlT_T0_E_clISt17integral_constantIbLb1EES1D_IbLb0EEEEDaS19_S1A_EUlS19_E_NS1_11comp_targetILNS1_3genE2ELNS1_11target_archE906ELNS1_3gpuE6ELNS1_3repE0EEENS1_30default_config_static_selectorELNS0_4arch9wavefront6targetE1EEEvT1_,"axG",@progbits,_ZN7rocprim17ROCPRIM_400000_NS6detail17trampoline_kernelINS0_14default_configENS1_25partition_config_selectorILNS1_17partition_subalgoE8ElNS0_10empty_typeEbEEZZNS1_14partition_implILS5_8ELb0ES3_jPlPS6_PKS6_NS0_5tupleIJS9_S6_EEENSD_IJSA_SA_EEENS0_18inequality_wrapperIZN2at6native12_GLOBAL__N_124unique_dim_cuda_templateIN3c108BFloat16EEESt5tupleIJNSH_6TensorESO_SO_EERKSO_lbbbEUlllE0_EEPmJS6_EEE10hipError_tPvRmT3_T4_T5_T6_T7_T9_mT8_P12ihipStream_tbDpT10_ENKUlT_T0_E_clISt17integral_constantIbLb1EES1D_IbLb0EEEEDaS19_S1A_EUlS19_E_NS1_11comp_targetILNS1_3genE2ELNS1_11target_archE906ELNS1_3gpuE6ELNS1_3repE0EEENS1_30default_config_static_selectorELNS0_4arch9wavefront6targetE1EEEvT1_,comdat
.Lfunc_end1194:
	.size	_ZN7rocprim17ROCPRIM_400000_NS6detail17trampoline_kernelINS0_14default_configENS1_25partition_config_selectorILNS1_17partition_subalgoE8ElNS0_10empty_typeEbEEZZNS1_14partition_implILS5_8ELb0ES3_jPlPS6_PKS6_NS0_5tupleIJS9_S6_EEENSD_IJSA_SA_EEENS0_18inequality_wrapperIZN2at6native12_GLOBAL__N_124unique_dim_cuda_templateIN3c108BFloat16EEESt5tupleIJNSH_6TensorESO_SO_EERKSO_lbbbEUlllE0_EEPmJS6_EEE10hipError_tPvRmT3_T4_T5_T6_T7_T9_mT8_P12ihipStream_tbDpT10_ENKUlT_T0_E_clISt17integral_constantIbLb1EES1D_IbLb0EEEEDaS19_S1A_EUlS19_E_NS1_11comp_targetILNS1_3genE2ELNS1_11target_archE906ELNS1_3gpuE6ELNS1_3repE0EEENS1_30default_config_static_selectorELNS0_4arch9wavefront6targetE1EEEvT1_, .Lfunc_end1194-_ZN7rocprim17ROCPRIM_400000_NS6detail17trampoline_kernelINS0_14default_configENS1_25partition_config_selectorILNS1_17partition_subalgoE8ElNS0_10empty_typeEbEEZZNS1_14partition_implILS5_8ELb0ES3_jPlPS6_PKS6_NS0_5tupleIJS9_S6_EEENSD_IJSA_SA_EEENS0_18inequality_wrapperIZN2at6native12_GLOBAL__N_124unique_dim_cuda_templateIN3c108BFloat16EEESt5tupleIJNSH_6TensorESO_SO_EERKSO_lbbbEUlllE0_EEPmJS6_EEE10hipError_tPvRmT3_T4_T5_T6_T7_T9_mT8_P12ihipStream_tbDpT10_ENKUlT_T0_E_clISt17integral_constantIbLb1EES1D_IbLb0EEEEDaS19_S1A_EUlS19_E_NS1_11comp_targetILNS1_3genE2ELNS1_11target_archE906ELNS1_3gpuE6ELNS1_3repE0EEENS1_30default_config_static_selectorELNS0_4arch9wavefront6targetE1EEEvT1_
                                        ; -- End function
	.set _ZN7rocprim17ROCPRIM_400000_NS6detail17trampoline_kernelINS0_14default_configENS1_25partition_config_selectorILNS1_17partition_subalgoE8ElNS0_10empty_typeEbEEZZNS1_14partition_implILS5_8ELb0ES3_jPlPS6_PKS6_NS0_5tupleIJS9_S6_EEENSD_IJSA_SA_EEENS0_18inequality_wrapperIZN2at6native12_GLOBAL__N_124unique_dim_cuda_templateIN3c108BFloat16EEESt5tupleIJNSH_6TensorESO_SO_EERKSO_lbbbEUlllE0_EEPmJS6_EEE10hipError_tPvRmT3_T4_T5_T6_T7_T9_mT8_P12ihipStream_tbDpT10_ENKUlT_T0_E_clISt17integral_constantIbLb1EES1D_IbLb0EEEEDaS19_S1A_EUlS19_E_NS1_11comp_targetILNS1_3genE2ELNS1_11target_archE906ELNS1_3gpuE6ELNS1_3repE0EEENS1_30default_config_static_selectorELNS0_4arch9wavefront6targetE1EEEvT1_.num_vgpr, 0
	.set _ZN7rocprim17ROCPRIM_400000_NS6detail17trampoline_kernelINS0_14default_configENS1_25partition_config_selectorILNS1_17partition_subalgoE8ElNS0_10empty_typeEbEEZZNS1_14partition_implILS5_8ELb0ES3_jPlPS6_PKS6_NS0_5tupleIJS9_S6_EEENSD_IJSA_SA_EEENS0_18inequality_wrapperIZN2at6native12_GLOBAL__N_124unique_dim_cuda_templateIN3c108BFloat16EEESt5tupleIJNSH_6TensorESO_SO_EERKSO_lbbbEUlllE0_EEPmJS6_EEE10hipError_tPvRmT3_T4_T5_T6_T7_T9_mT8_P12ihipStream_tbDpT10_ENKUlT_T0_E_clISt17integral_constantIbLb1EES1D_IbLb0EEEEDaS19_S1A_EUlS19_E_NS1_11comp_targetILNS1_3genE2ELNS1_11target_archE906ELNS1_3gpuE6ELNS1_3repE0EEENS1_30default_config_static_selectorELNS0_4arch9wavefront6targetE1EEEvT1_.num_agpr, 0
	.set _ZN7rocprim17ROCPRIM_400000_NS6detail17trampoline_kernelINS0_14default_configENS1_25partition_config_selectorILNS1_17partition_subalgoE8ElNS0_10empty_typeEbEEZZNS1_14partition_implILS5_8ELb0ES3_jPlPS6_PKS6_NS0_5tupleIJS9_S6_EEENSD_IJSA_SA_EEENS0_18inequality_wrapperIZN2at6native12_GLOBAL__N_124unique_dim_cuda_templateIN3c108BFloat16EEESt5tupleIJNSH_6TensorESO_SO_EERKSO_lbbbEUlllE0_EEPmJS6_EEE10hipError_tPvRmT3_T4_T5_T6_T7_T9_mT8_P12ihipStream_tbDpT10_ENKUlT_T0_E_clISt17integral_constantIbLb1EES1D_IbLb0EEEEDaS19_S1A_EUlS19_E_NS1_11comp_targetILNS1_3genE2ELNS1_11target_archE906ELNS1_3gpuE6ELNS1_3repE0EEENS1_30default_config_static_selectorELNS0_4arch9wavefront6targetE1EEEvT1_.numbered_sgpr, 0
	.set _ZN7rocprim17ROCPRIM_400000_NS6detail17trampoline_kernelINS0_14default_configENS1_25partition_config_selectorILNS1_17partition_subalgoE8ElNS0_10empty_typeEbEEZZNS1_14partition_implILS5_8ELb0ES3_jPlPS6_PKS6_NS0_5tupleIJS9_S6_EEENSD_IJSA_SA_EEENS0_18inequality_wrapperIZN2at6native12_GLOBAL__N_124unique_dim_cuda_templateIN3c108BFloat16EEESt5tupleIJNSH_6TensorESO_SO_EERKSO_lbbbEUlllE0_EEPmJS6_EEE10hipError_tPvRmT3_T4_T5_T6_T7_T9_mT8_P12ihipStream_tbDpT10_ENKUlT_T0_E_clISt17integral_constantIbLb1EES1D_IbLb0EEEEDaS19_S1A_EUlS19_E_NS1_11comp_targetILNS1_3genE2ELNS1_11target_archE906ELNS1_3gpuE6ELNS1_3repE0EEENS1_30default_config_static_selectorELNS0_4arch9wavefront6targetE1EEEvT1_.num_named_barrier, 0
	.set _ZN7rocprim17ROCPRIM_400000_NS6detail17trampoline_kernelINS0_14default_configENS1_25partition_config_selectorILNS1_17partition_subalgoE8ElNS0_10empty_typeEbEEZZNS1_14partition_implILS5_8ELb0ES3_jPlPS6_PKS6_NS0_5tupleIJS9_S6_EEENSD_IJSA_SA_EEENS0_18inequality_wrapperIZN2at6native12_GLOBAL__N_124unique_dim_cuda_templateIN3c108BFloat16EEESt5tupleIJNSH_6TensorESO_SO_EERKSO_lbbbEUlllE0_EEPmJS6_EEE10hipError_tPvRmT3_T4_T5_T6_T7_T9_mT8_P12ihipStream_tbDpT10_ENKUlT_T0_E_clISt17integral_constantIbLb1EES1D_IbLb0EEEEDaS19_S1A_EUlS19_E_NS1_11comp_targetILNS1_3genE2ELNS1_11target_archE906ELNS1_3gpuE6ELNS1_3repE0EEENS1_30default_config_static_selectorELNS0_4arch9wavefront6targetE1EEEvT1_.private_seg_size, 0
	.set _ZN7rocprim17ROCPRIM_400000_NS6detail17trampoline_kernelINS0_14default_configENS1_25partition_config_selectorILNS1_17partition_subalgoE8ElNS0_10empty_typeEbEEZZNS1_14partition_implILS5_8ELb0ES3_jPlPS6_PKS6_NS0_5tupleIJS9_S6_EEENSD_IJSA_SA_EEENS0_18inequality_wrapperIZN2at6native12_GLOBAL__N_124unique_dim_cuda_templateIN3c108BFloat16EEESt5tupleIJNSH_6TensorESO_SO_EERKSO_lbbbEUlllE0_EEPmJS6_EEE10hipError_tPvRmT3_T4_T5_T6_T7_T9_mT8_P12ihipStream_tbDpT10_ENKUlT_T0_E_clISt17integral_constantIbLb1EES1D_IbLb0EEEEDaS19_S1A_EUlS19_E_NS1_11comp_targetILNS1_3genE2ELNS1_11target_archE906ELNS1_3gpuE6ELNS1_3repE0EEENS1_30default_config_static_selectorELNS0_4arch9wavefront6targetE1EEEvT1_.uses_vcc, 0
	.set _ZN7rocprim17ROCPRIM_400000_NS6detail17trampoline_kernelINS0_14default_configENS1_25partition_config_selectorILNS1_17partition_subalgoE8ElNS0_10empty_typeEbEEZZNS1_14partition_implILS5_8ELb0ES3_jPlPS6_PKS6_NS0_5tupleIJS9_S6_EEENSD_IJSA_SA_EEENS0_18inequality_wrapperIZN2at6native12_GLOBAL__N_124unique_dim_cuda_templateIN3c108BFloat16EEESt5tupleIJNSH_6TensorESO_SO_EERKSO_lbbbEUlllE0_EEPmJS6_EEE10hipError_tPvRmT3_T4_T5_T6_T7_T9_mT8_P12ihipStream_tbDpT10_ENKUlT_T0_E_clISt17integral_constantIbLb1EES1D_IbLb0EEEEDaS19_S1A_EUlS19_E_NS1_11comp_targetILNS1_3genE2ELNS1_11target_archE906ELNS1_3gpuE6ELNS1_3repE0EEENS1_30default_config_static_selectorELNS0_4arch9wavefront6targetE1EEEvT1_.uses_flat_scratch, 0
	.set _ZN7rocprim17ROCPRIM_400000_NS6detail17trampoline_kernelINS0_14default_configENS1_25partition_config_selectorILNS1_17partition_subalgoE8ElNS0_10empty_typeEbEEZZNS1_14partition_implILS5_8ELb0ES3_jPlPS6_PKS6_NS0_5tupleIJS9_S6_EEENSD_IJSA_SA_EEENS0_18inequality_wrapperIZN2at6native12_GLOBAL__N_124unique_dim_cuda_templateIN3c108BFloat16EEESt5tupleIJNSH_6TensorESO_SO_EERKSO_lbbbEUlllE0_EEPmJS6_EEE10hipError_tPvRmT3_T4_T5_T6_T7_T9_mT8_P12ihipStream_tbDpT10_ENKUlT_T0_E_clISt17integral_constantIbLb1EES1D_IbLb0EEEEDaS19_S1A_EUlS19_E_NS1_11comp_targetILNS1_3genE2ELNS1_11target_archE906ELNS1_3gpuE6ELNS1_3repE0EEENS1_30default_config_static_selectorELNS0_4arch9wavefront6targetE1EEEvT1_.has_dyn_sized_stack, 0
	.set _ZN7rocprim17ROCPRIM_400000_NS6detail17trampoline_kernelINS0_14default_configENS1_25partition_config_selectorILNS1_17partition_subalgoE8ElNS0_10empty_typeEbEEZZNS1_14partition_implILS5_8ELb0ES3_jPlPS6_PKS6_NS0_5tupleIJS9_S6_EEENSD_IJSA_SA_EEENS0_18inequality_wrapperIZN2at6native12_GLOBAL__N_124unique_dim_cuda_templateIN3c108BFloat16EEESt5tupleIJNSH_6TensorESO_SO_EERKSO_lbbbEUlllE0_EEPmJS6_EEE10hipError_tPvRmT3_T4_T5_T6_T7_T9_mT8_P12ihipStream_tbDpT10_ENKUlT_T0_E_clISt17integral_constantIbLb1EES1D_IbLb0EEEEDaS19_S1A_EUlS19_E_NS1_11comp_targetILNS1_3genE2ELNS1_11target_archE906ELNS1_3gpuE6ELNS1_3repE0EEENS1_30default_config_static_selectorELNS0_4arch9wavefront6targetE1EEEvT1_.has_recursion, 0
	.set _ZN7rocprim17ROCPRIM_400000_NS6detail17trampoline_kernelINS0_14default_configENS1_25partition_config_selectorILNS1_17partition_subalgoE8ElNS0_10empty_typeEbEEZZNS1_14partition_implILS5_8ELb0ES3_jPlPS6_PKS6_NS0_5tupleIJS9_S6_EEENSD_IJSA_SA_EEENS0_18inequality_wrapperIZN2at6native12_GLOBAL__N_124unique_dim_cuda_templateIN3c108BFloat16EEESt5tupleIJNSH_6TensorESO_SO_EERKSO_lbbbEUlllE0_EEPmJS6_EEE10hipError_tPvRmT3_T4_T5_T6_T7_T9_mT8_P12ihipStream_tbDpT10_ENKUlT_T0_E_clISt17integral_constantIbLb1EES1D_IbLb0EEEEDaS19_S1A_EUlS19_E_NS1_11comp_targetILNS1_3genE2ELNS1_11target_archE906ELNS1_3gpuE6ELNS1_3repE0EEENS1_30default_config_static_selectorELNS0_4arch9wavefront6targetE1EEEvT1_.has_indirect_call, 0
	.section	.AMDGPU.csdata,"",@progbits
; Kernel info:
; codeLenInByte = 0
; TotalNumSgprs: 6
; NumVgprs: 0
; NumAgprs: 0
; TotalNumVgprs: 0
; ScratchSize: 0
; MemoryBound: 0
; FloatMode: 240
; IeeeMode: 1
; LDSByteSize: 0 bytes/workgroup (compile time only)
; SGPRBlocks: 0
; VGPRBlocks: 0
; NumSGPRsForWavesPerEU: 6
; NumVGPRsForWavesPerEU: 1
; AccumOffset: 4
; Occupancy: 8
; WaveLimiterHint : 0
; COMPUTE_PGM_RSRC2:SCRATCH_EN: 0
; COMPUTE_PGM_RSRC2:USER_SGPR: 2
; COMPUTE_PGM_RSRC2:TRAP_HANDLER: 0
; COMPUTE_PGM_RSRC2:TGID_X_EN: 1
; COMPUTE_PGM_RSRC2:TGID_Y_EN: 0
; COMPUTE_PGM_RSRC2:TGID_Z_EN: 0
; COMPUTE_PGM_RSRC2:TIDIG_COMP_CNT: 0
; COMPUTE_PGM_RSRC3_GFX90A:ACCUM_OFFSET: 0
; COMPUTE_PGM_RSRC3_GFX90A:TG_SPLIT: 0
	.section	.text._ZN7rocprim17ROCPRIM_400000_NS6detail17trampoline_kernelINS0_14default_configENS1_25partition_config_selectorILNS1_17partition_subalgoE8ElNS0_10empty_typeEbEEZZNS1_14partition_implILS5_8ELb0ES3_jPlPS6_PKS6_NS0_5tupleIJS9_S6_EEENSD_IJSA_SA_EEENS0_18inequality_wrapperIZN2at6native12_GLOBAL__N_124unique_dim_cuda_templateIN3c108BFloat16EEESt5tupleIJNSH_6TensorESO_SO_EERKSO_lbbbEUlllE0_EEPmJS6_EEE10hipError_tPvRmT3_T4_T5_T6_T7_T9_mT8_P12ihipStream_tbDpT10_ENKUlT_T0_E_clISt17integral_constantIbLb1EES1D_IbLb0EEEEDaS19_S1A_EUlS19_E_NS1_11comp_targetILNS1_3genE10ELNS1_11target_archE1200ELNS1_3gpuE4ELNS1_3repE0EEENS1_30default_config_static_selectorELNS0_4arch9wavefront6targetE1EEEvT1_,"axG",@progbits,_ZN7rocprim17ROCPRIM_400000_NS6detail17trampoline_kernelINS0_14default_configENS1_25partition_config_selectorILNS1_17partition_subalgoE8ElNS0_10empty_typeEbEEZZNS1_14partition_implILS5_8ELb0ES3_jPlPS6_PKS6_NS0_5tupleIJS9_S6_EEENSD_IJSA_SA_EEENS0_18inequality_wrapperIZN2at6native12_GLOBAL__N_124unique_dim_cuda_templateIN3c108BFloat16EEESt5tupleIJNSH_6TensorESO_SO_EERKSO_lbbbEUlllE0_EEPmJS6_EEE10hipError_tPvRmT3_T4_T5_T6_T7_T9_mT8_P12ihipStream_tbDpT10_ENKUlT_T0_E_clISt17integral_constantIbLb1EES1D_IbLb0EEEEDaS19_S1A_EUlS19_E_NS1_11comp_targetILNS1_3genE10ELNS1_11target_archE1200ELNS1_3gpuE4ELNS1_3repE0EEENS1_30default_config_static_selectorELNS0_4arch9wavefront6targetE1EEEvT1_,comdat
	.globl	_ZN7rocprim17ROCPRIM_400000_NS6detail17trampoline_kernelINS0_14default_configENS1_25partition_config_selectorILNS1_17partition_subalgoE8ElNS0_10empty_typeEbEEZZNS1_14partition_implILS5_8ELb0ES3_jPlPS6_PKS6_NS0_5tupleIJS9_S6_EEENSD_IJSA_SA_EEENS0_18inequality_wrapperIZN2at6native12_GLOBAL__N_124unique_dim_cuda_templateIN3c108BFloat16EEESt5tupleIJNSH_6TensorESO_SO_EERKSO_lbbbEUlllE0_EEPmJS6_EEE10hipError_tPvRmT3_T4_T5_T6_T7_T9_mT8_P12ihipStream_tbDpT10_ENKUlT_T0_E_clISt17integral_constantIbLb1EES1D_IbLb0EEEEDaS19_S1A_EUlS19_E_NS1_11comp_targetILNS1_3genE10ELNS1_11target_archE1200ELNS1_3gpuE4ELNS1_3repE0EEENS1_30default_config_static_selectorELNS0_4arch9wavefront6targetE1EEEvT1_ ; -- Begin function _ZN7rocprim17ROCPRIM_400000_NS6detail17trampoline_kernelINS0_14default_configENS1_25partition_config_selectorILNS1_17partition_subalgoE8ElNS0_10empty_typeEbEEZZNS1_14partition_implILS5_8ELb0ES3_jPlPS6_PKS6_NS0_5tupleIJS9_S6_EEENSD_IJSA_SA_EEENS0_18inequality_wrapperIZN2at6native12_GLOBAL__N_124unique_dim_cuda_templateIN3c108BFloat16EEESt5tupleIJNSH_6TensorESO_SO_EERKSO_lbbbEUlllE0_EEPmJS6_EEE10hipError_tPvRmT3_T4_T5_T6_T7_T9_mT8_P12ihipStream_tbDpT10_ENKUlT_T0_E_clISt17integral_constantIbLb1EES1D_IbLb0EEEEDaS19_S1A_EUlS19_E_NS1_11comp_targetILNS1_3genE10ELNS1_11target_archE1200ELNS1_3gpuE4ELNS1_3repE0EEENS1_30default_config_static_selectorELNS0_4arch9wavefront6targetE1EEEvT1_
	.p2align	8
	.type	_ZN7rocprim17ROCPRIM_400000_NS6detail17trampoline_kernelINS0_14default_configENS1_25partition_config_selectorILNS1_17partition_subalgoE8ElNS0_10empty_typeEbEEZZNS1_14partition_implILS5_8ELb0ES3_jPlPS6_PKS6_NS0_5tupleIJS9_S6_EEENSD_IJSA_SA_EEENS0_18inequality_wrapperIZN2at6native12_GLOBAL__N_124unique_dim_cuda_templateIN3c108BFloat16EEESt5tupleIJNSH_6TensorESO_SO_EERKSO_lbbbEUlllE0_EEPmJS6_EEE10hipError_tPvRmT3_T4_T5_T6_T7_T9_mT8_P12ihipStream_tbDpT10_ENKUlT_T0_E_clISt17integral_constantIbLb1EES1D_IbLb0EEEEDaS19_S1A_EUlS19_E_NS1_11comp_targetILNS1_3genE10ELNS1_11target_archE1200ELNS1_3gpuE4ELNS1_3repE0EEENS1_30default_config_static_selectorELNS0_4arch9wavefront6targetE1EEEvT1_,@function
_ZN7rocprim17ROCPRIM_400000_NS6detail17trampoline_kernelINS0_14default_configENS1_25partition_config_selectorILNS1_17partition_subalgoE8ElNS0_10empty_typeEbEEZZNS1_14partition_implILS5_8ELb0ES3_jPlPS6_PKS6_NS0_5tupleIJS9_S6_EEENSD_IJSA_SA_EEENS0_18inequality_wrapperIZN2at6native12_GLOBAL__N_124unique_dim_cuda_templateIN3c108BFloat16EEESt5tupleIJNSH_6TensorESO_SO_EERKSO_lbbbEUlllE0_EEPmJS6_EEE10hipError_tPvRmT3_T4_T5_T6_T7_T9_mT8_P12ihipStream_tbDpT10_ENKUlT_T0_E_clISt17integral_constantIbLb1EES1D_IbLb0EEEEDaS19_S1A_EUlS19_E_NS1_11comp_targetILNS1_3genE10ELNS1_11target_archE1200ELNS1_3gpuE4ELNS1_3repE0EEENS1_30default_config_static_selectorELNS0_4arch9wavefront6targetE1EEEvT1_: ; @_ZN7rocprim17ROCPRIM_400000_NS6detail17trampoline_kernelINS0_14default_configENS1_25partition_config_selectorILNS1_17partition_subalgoE8ElNS0_10empty_typeEbEEZZNS1_14partition_implILS5_8ELb0ES3_jPlPS6_PKS6_NS0_5tupleIJS9_S6_EEENSD_IJSA_SA_EEENS0_18inequality_wrapperIZN2at6native12_GLOBAL__N_124unique_dim_cuda_templateIN3c108BFloat16EEESt5tupleIJNSH_6TensorESO_SO_EERKSO_lbbbEUlllE0_EEPmJS6_EEE10hipError_tPvRmT3_T4_T5_T6_T7_T9_mT8_P12ihipStream_tbDpT10_ENKUlT_T0_E_clISt17integral_constantIbLb1EES1D_IbLb0EEEEDaS19_S1A_EUlS19_E_NS1_11comp_targetILNS1_3genE10ELNS1_11target_archE1200ELNS1_3gpuE4ELNS1_3repE0EEENS1_30default_config_static_selectorELNS0_4arch9wavefront6targetE1EEEvT1_
; %bb.0:
	.section	.rodata,"a",@progbits
	.p2align	6, 0x0
	.amdhsa_kernel _ZN7rocprim17ROCPRIM_400000_NS6detail17trampoline_kernelINS0_14default_configENS1_25partition_config_selectorILNS1_17partition_subalgoE8ElNS0_10empty_typeEbEEZZNS1_14partition_implILS5_8ELb0ES3_jPlPS6_PKS6_NS0_5tupleIJS9_S6_EEENSD_IJSA_SA_EEENS0_18inequality_wrapperIZN2at6native12_GLOBAL__N_124unique_dim_cuda_templateIN3c108BFloat16EEESt5tupleIJNSH_6TensorESO_SO_EERKSO_lbbbEUlllE0_EEPmJS6_EEE10hipError_tPvRmT3_T4_T5_T6_T7_T9_mT8_P12ihipStream_tbDpT10_ENKUlT_T0_E_clISt17integral_constantIbLb1EES1D_IbLb0EEEEDaS19_S1A_EUlS19_E_NS1_11comp_targetILNS1_3genE10ELNS1_11target_archE1200ELNS1_3gpuE4ELNS1_3repE0EEENS1_30default_config_static_selectorELNS0_4arch9wavefront6targetE1EEEvT1_
		.amdhsa_group_segment_fixed_size 0
		.amdhsa_private_segment_fixed_size 0
		.amdhsa_kernarg_size 120
		.amdhsa_user_sgpr_count 2
		.amdhsa_user_sgpr_dispatch_ptr 0
		.amdhsa_user_sgpr_queue_ptr 0
		.amdhsa_user_sgpr_kernarg_segment_ptr 1
		.amdhsa_user_sgpr_dispatch_id 0
		.amdhsa_user_sgpr_kernarg_preload_length 0
		.amdhsa_user_sgpr_kernarg_preload_offset 0
		.amdhsa_user_sgpr_private_segment_size 0
		.amdhsa_uses_dynamic_stack 0
		.amdhsa_enable_private_segment 0
		.amdhsa_system_sgpr_workgroup_id_x 1
		.amdhsa_system_sgpr_workgroup_id_y 0
		.amdhsa_system_sgpr_workgroup_id_z 0
		.amdhsa_system_sgpr_workgroup_info 0
		.amdhsa_system_vgpr_workitem_id 0
		.amdhsa_next_free_vgpr 1
		.amdhsa_next_free_sgpr 0
		.amdhsa_accum_offset 4
		.amdhsa_reserve_vcc 0
		.amdhsa_float_round_mode_32 0
		.amdhsa_float_round_mode_16_64 0
		.amdhsa_float_denorm_mode_32 3
		.amdhsa_float_denorm_mode_16_64 3
		.amdhsa_dx10_clamp 1
		.amdhsa_ieee_mode 1
		.amdhsa_fp16_overflow 0
		.amdhsa_tg_split 0
		.amdhsa_exception_fp_ieee_invalid_op 0
		.amdhsa_exception_fp_denorm_src 0
		.amdhsa_exception_fp_ieee_div_zero 0
		.amdhsa_exception_fp_ieee_overflow 0
		.amdhsa_exception_fp_ieee_underflow 0
		.amdhsa_exception_fp_ieee_inexact 0
		.amdhsa_exception_int_div_zero 0
	.end_amdhsa_kernel
	.section	.text._ZN7rocprim17ROCPRIM_400000_NS6detail17trampoline_kernelINS0_14default_configENS1_25partition_config_selectorILNS1_17partition_subalgoE8ElNS0_10empty_typeEbEEZZNS1_14partition_implILS5_8ELb0ES3_jPlPS6_PKS6_NS0_5tupleIJS9_S6_EEENSD_IJSA_SA_EEENS0_18inequality_wrapperIZN2at6native12_GLOBAL__N_124unique_dim_cuda_templateIN3c108BFloat16EEESt5tupleIJNSH_6TensorESO_SO_EERKSO_lbbbEUlllE0_EEPmJS6_EEE10hipError_tPvRmT3_T4_T5_T6_T7_T9_mT8_P12ihipStream_tbDpT10_ENKUlT_T0_E_clISt17integral_constantIbLb1EES1D_IbLb0EEEEDaS19_S1A_EUlS19_E_NS1_11comp_targetILNS1_3genE10ELNS1_11target_archE1200ELNS1_3gpuE4ELNS1_3repE0EEENS1_30default_config_static_selectorELNS0_4arch9wavefront6targetE1EEEvT1_,"axG",@progbits,_ZN7rocprim17ROCPRIM_400000_NS6detail17trampoline_kernelINS0_14default_configENS1_25partition_config_selectorILNS1_17partition_subalgoE8ElNS0_10empty_typeEbEEZZNS1_14partition_implILS5_8ELb0ES3_jPlPS6_PKS6_NS0_5tupleIJS9_S6_EEENSD_IJSA_SA_EEENS0_18inequality_wrapperIZN2at6native12_GLOBAL__N_124unique_dim_cuda_templateIN3c108BFloat16EEESt5tupleIJNSH_6TensorESO_SO_EERKSO_lbbbEUlllE0_EEPmJS6_EEE10hipError_tPvRmT3_T4_T5_T6_T7_T9_mT8_P12ihipStream_tbDpT10_ENKUlT_T0_E_clISt17integral_constantIbLb1EES1D_IbLb0EEEEDaS19_S1A_EUlS19_E_NS1_11comp_targetILNS1_3genE10ELNS1_11target_archE1200ELNS1_3gpuE4ELNS1_3repE0EEENS1_30default_config_static_selectorELNS0_4arch9wavefront6targetE1EEEvT1_,comdat
.Lfunc_end1195:
	.size	_ZN7rocprim17ROCPRIM_400000_NS6detail17trampoline_kernelINS0_14default_configENS1_25partition_config_selectorILNS1_17partition_subalgoE8ElNS0_10empty_typeEbEEZZNS1_14partition_implILS5_8ELb0ES3_jPlPS6_PKS6_NS0_5tupleIJS9_S6_EEENSD_IJSA_SA_EEENS0_18inequality_wrapperIZN2at6native12_GLOBAL__N_124unique_dim_cuda_templateIN3c108BFloat16EEESt5tupleIJNSH_6TensorESO_SO_EERKSO_lbbbEUlllE0_EEPmJS6_EEE10hipError_tPvRmT3_T4_T5_T6_T7_T9_mT8_P12ihipStream_tbDpT10_ENKUlT_T0_E_clISt17integral_constantIbLb1EES1D_IbLb0EEEEDaS19_S1A_EUlS19_E_NS1_11comp_targetILNS1_3genE10ELNS1_11target_archE1200ELNS1_3gpuE4ELNS1_3repE0EEENS1_30default_config_static_selectorELNS0_4arch9wavefront6targetE1EEEvT1_, .Lfunc_end1195-_ZN7rocprim17ROCPRIM_400000_NS6detail17trampoline_kernelINS0_14default_configENS1_25partition_config_selectorILNS1_17partition_subalgoE8ElNS0_10empty_typeEbEEZZNS1_14partition_implILS5_8ELb0ES3_jPlPS6_PKS6_NS0_5tupleIJS9_S6_EEENSD_IJSA_SA_EEENS0_18inequality_wrapperIZN2at6native12_GLOBAL__N_124unique_dim_cuda_templateIN3c108BFloat16EEESt5tupleIJNSH_6TensorESO_SO_EERKSO_lbbbEUlllE0_EEPmJS6_EEE10hipError_tPvRmT3_T4_T5_T6_T7_T9_mT8_P12ihipStream_tbDpT10_ENKUlT_T0_E_clISt17integral_constantIbLb1EES1D_IbLb0EEEEDaS19_S1A_EUlS19_E_NS1_11comp_targetILNS1_3genE10ELNS1_11target_archE1200ELNS1_3gpuE4ELNS1_3repE0EEENS1_30default_config_static_selectorELNS0_4arch9wavefront6targetE1EEEvT1_
                                        ; -- End function
	.set _ZN7rocprim17ROCPRIM_400000_NS6detail17trampoline_kernelINS0_14default_configENS1_25partition_config_selectorILNS1_17partition_subalgoE8ElNS0_10empty_typeEbEEZZNS1_14partition_implILS5_8ELb0ES3_jPlPS6_PKS6_NS0_5tupleIJS9_S6_EEENSD_IJSA_SA_EEENS0_18inequality_wrapperIZN2at6native12_GLOBAL__N_124unique_dim_cuda_templateIN3c108BFloat16EEESt5tupleIJNSH_6TensorESO_SO_EERKSO_lbbbEUlllE0_EEPmJS6_EEE10hipError_tPvRmT3_T4_T5_T6_T7_T9_mT8_P12ihipStream_tbDpT10_ENKUlT_T0_E_clISt17integral_constantIbLb1EES1D_IbLb0EEEEDaS19_S1A_EUlS19_E_NS1_11comp_targetILNS1_3genE10ELNS1_11target_archE1200ELNS1_3gpuE4ELNS1_3repE0EEENS1_30default_config_static_selectorELNS0_4arch9wavefront6targetE1EEEvT1_.num_vgpr, 0
	.set _ZN7rocprim17ROCPRIM_400000_NS6detail17trampoline_kernelINS0_14default_configENS1_25partition_config_selectorILNS1_17partition_subalgoE8ElNS0_10empty_typeEbEEZZNS1_14partition_implILS5_8ELb0ES3_jPlPS6_PKS6_NS0_5tupleIJS9_S6_EEENSD_IJSA_SA_EEENS0_18inequality_wrapperIZN2at6native12_GLOBAL__N_124unique_dim_cuda_templateIN3c108BFloat16EEESt5tupleIJNSH_6TensorESO_SO_EERKSO_lbbbEUlllE0_EEPmJS6_EEE10hipError_tPvRmT3_T4_T5_T6_T7_T9_mT8_P12ihipStream_tbDpT10_ENKUlT_T0_E_clISt17integral_constantIbLb1EES1D_IbLb0EEEEDaS19_S1A_EUlS19_E_NS1_11comp_targetILNS1_3genE10ELNS1_11target_archE1200ELNS1_3gpuE4ELNS1_3repE0EEENS1_30default_config_static_selectorELNS0_4arch9wavefront6targetE1EEEvT1_.num_agpr, 0
	.set _ZN7rocprim17ROCPRIM_400000_NS6detail17trampoline_kernelINS0_14default_configENS1_25partition_config_selectorILNS1_17partition_subalgoE8ElNS0_10empty_typeEbEEZZNS1_14partition_implILS5_8ELb0ES3_jPlPS6_PKS6_NS0_5tupleIJS9_S6_EEENSD_IJSA_SA_EEENS0_18inequality_wrapperIZN2at6native12_GLOBAL__N_124unique_dim_cuda_templateIN3c108BFloat16EEESt5tupleIJNSH_6TensorESO_SO_EERKSO_lbbbEUlllE0_EEPmJS6_EEE10hipError_tPvRmT3_T4_T5_T6_T7_T9_mT8_P12ihipStream_tbDpT10_ENKUlT_T0_E_clISt17integral_constantIbLb1EES1D_IbLb0EEEEDaS19_S1A_EUlS19_E_NS1_11comp_targetILNS1_3genE10ELNS1_11target_archE1200ELNS1_3gpuE4ELNS1_3repE0EEENS1_30default_config_static_selectorELNS0_4arch9wavefront6targetE1EEEvT1_.numbered_sgpr, 0
	.set _ZN7rocprim17ROCPRIM_400000_NS6detail17trampoline_kernelINS0_14default_configENS1_25partition_config_selectorILNS1_17partition_subalgoE8ElNS0_10empty_typeEbEEZZNS1_14partition_implILS5_8ELb0ES3_jPlPS6_PKS6_NS0_5tupleIJS9_S6_EEENSD_IJSA_SA_EEENS0_18inequality_wrapperIZN2at6native12_GLOBAL__N_124unique_dim_cuda_templateIN3c108BFloat16EEESt5tupleIJNSH_6TensorESO_SO_EERKSO_lbbbEUlllE0_EEPmJS6_EEE10hipError_tPvRmT3_T4_T5_T6_T7_T9_mT8_P12ihipStream_tbDpT10_ENKUlT_T0_E_clISt17integral_constantIbLb1EES1D_IbLb0EEEEDaS19_S1A_EUlS19_E_NS1_11comp_targetILNS1_3genE10ELNS1_11target_archE1200ELNS1_3gpuE4ELNS1_3repE0EEENS1_30default_config_static_selectorELNS0_4arch9wavefront6targetE1EEEvT1_.num_named_barrier, 0
	.set _ZN7rocprim17ROCPRIM_400000_NS6detail17trampoline_kernelINS0_14default_configENS1_25partition_config_selectorILNS1_17partition_subalgoE8ElNS0_10empty_typeEbEEZZNS1_14partition_implILS5_8ELb0ES3_jPlPS6_PKS6_NS0_5tupleIJS9_S6_EEENSD_IJSA_SA_EEENS0_18inequality_wrapperIZN2at6native12_GLOBAL__N_124unique_dim_cuda_templateIN3c108BFloat16EEESt5tupleIJNSH_6TensorESO_SO_EERKSO_lbbbEUlllE0_EEPmJS6_EEE10hipError_tPvRmT3_T4_T5_T6_T7_T9_mT8_P12ihipStream_tbDpT10_ENKUlT_T0_E_clISt17integral_constantIbLb1EES1D_IbLb0EEEEDaS19_S1A_EUlS19_E_NS1_11comp_targetILNS1_3genE10ELNS1_11target_archE1200ELNS1_3gpuE4ELNS1_3repE0EEENS1_30default_config_static_selectorELNS0_4arch9wavefront6targetE1EEEvT1_.private_seg_size, 0
	.set _ZN7rocprim17ROCPRIM_400000_NS6detail17trampoline_kernelINS0_14default_configENS1_25partition_config_selectorILNS1_17partition_subalgoE8ElNS0_10empty_typeEbEEZZNS1_14partition_implILS5_8ELb0ES3_jPlPS6_PKS6_NS0_5tupleIJS9_S6_EEENSD_IJSA_SA_EEENS0_18inequality_wrapperIZN2at6native12_GLOBAL__N_124unique_dim_cuda_templateIN3c108BFloat16EEESt5tupleIJNSH_6TensorESO_SO_EERKSO_lbbbEUlllE0_EEPmJS6_EEE10hipError_tPvRmT3_T4_T5_T6_T7_T9_mT8_P12ihipStream_tbDpT10_ENKUlT_T0_E_clISt17integral_constantIbLb1EES1D_IbLb0EEEEDaS19_S1A_EUlS19_E_NS1_11comp_targetILNS1_3genE10ELNS1_11target_archE1200ELNS1_3gpuE4ELNS1_3repE0EEENS1_30default_config_static_selectorELNS0_4arch9wavefront6targetE1EEEvT1_.uses_vcc, 0
	.set _ZN7rocprim17ROCPRIM_400000_NS6detail17trampoline_kernelINS0_14default_configENS1_25partition_config_selectorILNS1_17partition_subalgoE8ElNS0_10empty_typeEbEEZZNS1_14partition_implILS5_8ELb0ES3_jPlPS6_PKS6_NS0_5tupleIJS9_S6_EEENSD_IJSA_SA_EEENS0_18inequality_wrapperIZN2at6native12_GLOBAL__N_124unique_dim_cuda_templateIN3c108BFloat16EEESt5tupleIJNSH_6TensorESO_SO_EERKSO_lbbbEUlllE0_EEPmJS6_EEE10hipError_tPvRmT3_T4_T5_T6_T7_T9_mT8_P12ihipStream_tbDpT10_ENKUlT_T0_E_clISt17integral_constantIbLb1EES1D_IbLb0EEEEDaS19_S1A_EUlS19_E_NS1_11comp_targetILNS1_3genE10ELNS1_11target_archE1200ELNS1_3gpuE4ELNS1_3repE0EEENS1_30default_config_static_selectorELNS0_4arch9wavefront6targetE1EEEvT1_.uses_flat_scratch, 0
	.set _ZN7rocprim17ROCPRIM_400000_NS6detail17trampoline_kernelINS0_14default_configENS1_25partition_config_selectorILNS1_17partition_subalgoE8ElNS0_10empty_typeEbEEZZNS1_14partition_implILS5_8ELb0ES3_jPlPS6_PKS6_NS0_5tupleIJS9_S6_EEENSD_IJSA_SA_EEENS0_18inequality_wrapperIZN2at6native12_GLOBAL__N_124unique_dim_cuda_templateIN3c108BFloat16EEESt5tupleIJNSH_6TensorESO_SO_EERKSO_lbbbEUlllE0_EEPmJS6_EEE10hipError_tPvRmT3_T4_T5_T6_T7_T9_mT8_P12ihipStream_tbDpT10_ENKUlT_T0_E_clISt17integral_constantIbLb1EES1D_IbLb0EEEEDaS19_S1A_EUlS19_E_NS1_11comp_targetILNS1_3genE10ELNS1_11target_archE1200ELNS1_3gpuE4ELNS1_3repE0EEENS1_30default_config_static_selectorELNS0_4arch9wavefront6targetE1EEEvT1_.has_dyn_sized_stack, 0
	.set _ZN7rocprim17ROCPRIM_400000_NS6detail17trampoline_kernelINS0_14default_configENS1_25partition_config_selectorILNS1_17partition_subalgoE8ElNS0_10empty_typeEbEEZZNS1_14partition_implILS5_8ELb0ES3_jPlPS6_PKS6_NS0_5tupleIJS9_S6_EEENSD_IJSA_SA_EEENS0_18inequality_wrapperIZN2at6native12_GLOBAL__N_124unique_dim_cuda_templateIN3c108BFloat16EEESt5tupleIJNSH_6TensorESO_SO_EERKSO_lbbbEUlllE0_EEPmJS6_EEE10hipError_tPvRmT3_T4_T5_T6_T7_T9_mT8_P12ihipStream_tbDpT10_ENKUlT_T0_E_clISt17integral_constantIbLb1EES1D_IbLb0EEEEDaS19_S1A_EUlS19_E_NS1_11comp_targetILNS1_3genE10ELNS1_11target_archE1200ELNS1_3gpuE4ELNS1_3repE0EEENS1_30default_config_static_selectorELNS0_4arch9wavefront6targetE1EEEvT1_.has_recursion, 0
	.set _ZN7rocprim17ROCPRIM_400000_NS6detail17trampoline_kernelINS0_14default_configENS1_25partition_config_selectorILNS1_17partition_subalgoE8ElNS0_10empty_typeEbEEZZNS1_14partition_implILS5_8ELb0ES3_jPlPS6_PKS6_NS0_5tupleIJS9_S6_EEENSD_IJSA_SA_EEENS0_18inequality_wrapperIZN2at6native12_GLOBAL__N_124unique_dim_cuda_templateIN3c108BFloat16EEESt5tupleIJNSH_6TensorESO_SO_EERKSO_lbbbEUlllE0_EEPmJS6_EEE10hipError_tPvRmT3_T4_T5_T6_T7_T9_mT8_P12ihipStream_tbDpT10_ENKUlT_T0_E_clISt17integral_constantIbLb1EES1D_IbLb0EEEEDaS19_S1A_EUlS19_E_NS1_11comp_targetILNS1_3genE10ELNS1_11target_archE1200ELNS1_3gpuE4ELNS1_3repE0EEENS1_30default_config_static_selectorELNS0_4arch9wavefront6targetE1EEEvT1_.has_indirect_call, 0
	.section	.AMDGPU.csdata,"",@progbits
; Kernel info:
; codeLenInByte = 0
; TotalNumSgprs: 6
; NumVgprs: 0
; NumAgprs: 0
; TotalNumVgprs: 0
; ScratchSize: 0
; MemoryBound: 0
; FloatMode: 240
; IeeeMode: 1
; LDSByteSize: 0 bytes/workgroup (compile time only)
; SGPRBlocks: 0
; VGPRBlocks: 0
; NumSGPRsForWavesPerEU: 6
; NumVGPRsForWavesPerEU: 1
; AccumOffset: 4
; Occupancy: 8
; WaveLimiterHint : 0
; COMPUTE_PGM_RSRC2:SCRATCH_EN: 0
; COMPUTE_PGM_RSRC2:USER_SGPR: 2
; COMPUTE_PGM_RSRC2:TRAP_HANDLER: 0
; COMPUTE_PGM_RSRC2:TGID_X_EN: 1
; COMPUTE_PGM_RSRC2:TGID_Y_EN: 0
; COMPUTE_PGM_RSRC2:TGID_Z_EN: 0
; COMPUTE_PGM_RSRC2:TIDIG_COMP_CNT: 0
; COMPUTE_PGM_RSRC3_GFX90A:ACCUM_OFFSET: 0
; COMPUTE_PGM_RSRC3_GFX90A:TG_SPLIT: 0
	.section	.text._ZN7rocprim17ROCPRIM_400000_NS6detail17trampoline_kernelINS0_14default_configENS1_25partition_config_selectorILNS1_17partition_subalgoE8ElNS0_10empty_typeEbEEZZNS1_14partition_implILS5_8ELb0ES3_jPlPS6_PKS6_NS0_5tupleIJS9_S6_EEENSD_IJSA_SA_EEENS0_18inequality_wrapperIZN2at6native12_GLOBAL__N_124unique_dim_cuda_templateIN3c108BFloat16EEESt5tupleIJNSH_6TensorESO_SO_EERKSO_lbbbEUlllE0_EEPmJS6_EEE10hipError_tPvRmT3_T4_T5_T6_T7_T9_mT8_P12ihipStream_tbDpT10_ENKUlT_T0_E_clISt17integral_constantIbLb1EES1D_IbLb0EEEEDaS19_S1A_EUlS19_E_NS1_11comp_targetILNS1_3genE9ELNS1_11target_archE1100ELNS1_3gpuE3ELNS1_3repE0EEENS1_30default_config_static_selectorELNS0_4arch9wavefront6targetE1EEEvT1_,"axG",@progbits,_ZN7rocprim17ROCPRIM_400000_NS6detail17trampoline_kernelINS0_14default_configENS1_25partition_config_selectorILNS1_17partition_subalgoE8ElNS0_10empty_typeEbEEZZNS1_14partition_implILS5_8ELb0ES3_jPlPS6_PKS6_NS0_5tupleIJS9_S6_EEENSD_IJSA_SA_EEENS0_18inequality_wrapperIZN2at6native12_GLOBAL__N_124unique_dim_cuda_templateIN3c108BFloat16EEESt5tupleIJNSH_6TensorESO_SO_EERKSO_lbbbEUlllE0_EEPmJS6_EEE10hipError_tPvRmT3_T4_T5_T6_T7_T9_mT8_P12ihipStream_tbDpT10_ENKUlT_T0_E_clISt17integral_constantIbLb1EES1D_IbLb0EEEEDaS19_S1A_EUlS19_E_NS1_11comp_targetILNS1_3genE9ELNS1_11target_archE1100ELNS1_3gpuE3ELNS1_3repE0EEENS1_30default_config_static_selectorELNS0_4arch9wavefront6targetE1EEEvT1_,comdat
	.globl	_ZN7rocprim17ROCPRIM_400000_NS6detail17trampoline_kernelINS0_14default_configENS1_25partition_config_selectorILNS1_17partition_subalgoE8ElNS0_10empty_typeEbEEZZNS1_14partition_implILS5_8ELb0ES3_jPlPS6_PKS6_NS0_5tupleIJS9_S6_EEENSD_IJSA_SA_EEENS0_18inequality_wrapperIZN2at6native12_GLOBAL__N_124unique_dim_cuda_templateIN3c108BFloat16EEESt5tupleIJNSH_6TensorESO_SO_EERKSO_lbbbEUlllE0_EEPmJS6_EEE10hipError_tPvRmT3_T4_T5_T6_T7_T9_mT8_P12ihipStream_tbDpT10_ENKUlT_T0_E_clISt17integral_constantIbLb1EES1D_IbLb0EEEEDaS19_S1A_EUlS19_E_NS1_11comp_targetILNS1_3genE9ELNS1_11target_archE1100ELNS1_3gpuE3ELNS1_3repE0EEENS1_30default_config_static_selectorELNS0_4arch9wavefront6targetE1EEEvT1_ ; -- Begin function _ZN7rocprim17ROCPRIM_400000_NS6detail17trampoline_kernelINS0_14default_configENS1_25partition_config_selectorILNS1_17partition_subalgoE8ElNS0_10empty_typeEbEEZZNS1_14partition_implILS5_8ELb0ES3_jPlPS6_PKS6_NS0_5tupleIJS9_S6_EEENSD_IJSA_SA_EEENS0_18inequality_wrapperIZN2at6native12_GLOBAL__N_124unique_dim_cuda_templateIN3c108BFloat16EEESt5tupleIJNSH_6TensorESO_SO_EERKSO_lbbbEUlllE0_EEPmJS6_EEE10hipError_tPvRmT3_T4_T5_T6_T7_T9_mT8_P12ihipStream_tbDpT10_ENKUlT_T0_E_clISt17integral_constantIbLb1EES1D_IbLb0EEEEDaS19_S1A_EUlS19_E_NS1_11comp_targetILNS1_3genE9ELNS1_11target_archE1100ELNS1_3gpuE3ELNS1_3repE0EEENS1_30default_config_static_selectorELNS0_4arch9wavefront6targetE1EEEvT1_
	.p2align	8
	.type	_ZN7rocprim17ROCPRIM_400000_NS6detail17trampoline_kernelINS0_14default_configENS1_25partition_config_selectorILNS1_17partition_subalgoE8ElNS0_10empty_typeEbEEZZNS1_14partition_implILS5_8ELb0ES3_jPlPS6_PKS6_NS0_5tupleIJS9_S6_EEENSD_IJSA_SA_EEENS0_18inequality_wrapperIZN2at6native12_GLOBAL__N_124unique_dim_cuda_templateIN3c108BFloat16EEESt5tupleIJNSH_6TensorESO_SO_EERKSO_lbbbEUlllE0_EEPmJS6_EEE10hipError_tPvRmT3_T4_T5_T6_T7_T9_mT8_P12ihipStream_tbDpT10_ENKUlT_T0_E_clISt17integral_constantIbLb1EES1D_IbLb0EEEEDaS19_S1A_EUlS19_E_NS1_11comp_targetILNS1_3genE9ELNS1_11target_archE1100ELNS1_3gpuE3ELNS1_3repE0EEENS1_30default_config_static_selectorELNS0_4arch9wavefront6targetE1EEEvT1_,@function
_ZN7rocprim17ROCPRIM_400000_NS6detail17trampoline_kernelINS0_14default_configENS1_25partition_config_selectorILNS1_17partition_subalgoE8ElNS0_10empty_typeEbEEZZNS1_14partition_implILS5_8ELb0ES3_jPlPS6_PKS6_NS0_5tupleIJS9_S6_EEENSD_IJSA_SA_EEENS0_18inequality_wrapperIZN2at6native12_GLOBAL__N_124unique_dim_cuda_templateIN3c108BFloat16EEESt5tupleIJNSH_6TensorESO_SO_EERKSO_lbbbEUlllE0_EEPmJS6_EEE10hipError_tPvRmT3_T4_T5_T6_T7_T9_mT8_P12ihipStream_tbDpT10_ENKUlT_T0_E_clISt17integral_constantIbLb1EES1D_IbLb0EEEEDaS19_S1A_EUlS19_E_NS1_11comp_targetILNS1_3genE9ELNS1_11target_archE1100ELNS1_3gpuE3ELNS1_3repE0EEENS1_30default_config_static_selectorELNS0_4arch9wavefront6targetE1EEEvT1_: ; @_ZN7rocprim17ROCPRIM_400000_NS6detail17trampoline_kernelINS0_14default_configENS1_25partition_config_selectorILNS1_17partition_subalgoE8ElNS0_10empty_typeEbEEZZNS1_14partition_implILS5_8ELb0ES3_jPlPS6_PKS6_NS0_5tupleIJS9_S6_EEENSD_IJSA_SA_EEENS0_18inequality_wrapperIZN2at6native12_GLOBAL__N_124unique_dim_cuda_templateIN3c108BFloat16EEESt5tupleIJNSH_6TensorESO_SO_EERKSO_lbbbEUlllE0_EEPmJS6_EEE10hipError_tPvRmT3_T4_T5_T6_T7_T9_mT8_P12ihipStream_tbDpT10_ENKUlT_T0_E_clISt17integral_constantIbLb1EES1D_IbLb0EEEEDaS19_S1A_EUlS19_E_NS1_11comp_targetILNS1_3genE9ELNS1_11target_archE1100ELNS1_3gpuE3ELNS1_3repE0EEENS1_30default_config_static_selectorELNS0_4arch9wavefront6targetE1EEEvT1_
; %bb.0:
	.section	.rodata,"a",@progbits
	.p2align	6, 0x0
	.amdhsa_kernel _ZN7rocprim17ROCPRIM_400000_NS6detail17trampoline_kernelINS0_14default_configENS1_25partition_config_selectorILNS1_17partition_subalgoE8ElNS0_10empty_typeEbEEZZNS1_14partition_implILS5_8ELb0ES3_jPlPS6_PKS6_NS0_5tupleIJS9_S6_EEENSD_IJSA_SA_EEENS0_18inequality_wrapperIZN2at6native12_GLOBAL__N_124unique_dim_cuda_templateIN3c108BFloat16EEESt5tupleIJNSH_6TensorESO_SO_EERKSO_lbbbEUlllE0_EEPmJS6_EEE10hipError_tPvRmT3_T4_T5_T6_T7_T9_mT8_P12ihipStream_tbDpT10_ENKUlT_T0_E_clISt17integral_constantIbLb1EES1D_IbLb0EEEEDaS19_S1A_EUlS19_E_NS1_11comp_targetILNS1_3genE9ELNS1_11target_archE1100ELNS1_3gpuE3ELNS1_3repE0EEENS1_30default_config_static_selectorELNS0_4arch9wavefront6targetE1EEEvT1_
		.amdhsa_group_segment_fixed_size 0
		.amdhsa_private_segment_fixed_size 0
		.amdhsa_kernarg_size 120
		.amdhsa_user_sgpr_count 2
		.amdhsa_user_sgpr_dispatch_ptr 0
		.amdhsa_user_sgpr_queue_ptr 0
		.amdhsa_user_sgpr_kernarg_segment_ptr 1
		.amdhsa_user_sgpr_dispatch_id 0
		.amdhsa_user_sgpr_kernarg_preload_length 0
		.amdhsa_user_sgpr_kernarg_preload_offset 0
		.amdhsa_user_sgpr_private_segment_size 0
		.amdhsa_uses_dynamic_stack 0
		.amdhsa_enable_private_segment 0
		.amdhsa_system_sgpr_workgroup_id_x 1
		.amdhsa_system_sgpr_workgroup_id_y 0
		.amdhsa_system_sgpr_workgroup_id_z 0
		.amdhsa_system_sgpr_workgroup_info 0
		.amdhsa_system_vgpr_workitem_id 0
		.amdhsa_next_free_vgpr 1
		.amdhsa_next_free_sgpr 0
		.amdhsa_accum_offset 4
		.amdhsa_reserve_vcc 0
		.amdhsa_float_round_mode_32 0
		.amdhsa_float_round_mode_16_64 0
		.amdhsa_float_denorm_mode_32 3
		.amdhsa_float_denorm_mode_16_64 3
		.amdhsa_dx10_clamp 1
		.amdhsa_ieee_mode 1
		.amdhsa_fp16_overflow 0
		.amdhsa_tg_split 0
		.amdhsa_exception_fp_ieee_invalid_op 0
		.amdhsa_exception_fp_denorm_src 0
		.amdhsa_exception_fp_ieee_div_zero 0
		.amdhsa_exception_fp_ieee_overflow 0
		.amdhsa_exception_fp_ieee_underflow 0
		.amdhsa_exception_fp_ieee_inexact 0
		.amdhsa_exception_int_div_zero 0
	.end_amdhsa_kernel
	.section	.text._ZN7rocprim17ROCPRIM_400000_NS6detail17trampoline_kernelINS0_14default_configENS1_25partition_config_selectorILNS1_17partition_subalgoE8ElNS0_10empty_typeEbEEZZNS1_14partition_implILS5_8ELb0ES3_jPlPS6_PKS6_NS0_5tupleIJS9_S6_EEENSD_IJSA_SA_EEENS0_18inequality_wrapperIZN2at6native12_GLOBAL__N_124unique_dim_cuda_templateIN3c108BFloat16EEESt5tupleIJNSH_6TensorESO_SO_EERKSO_lbbbEUlllE0_EEPmJS6_EEE10hipError_tPvRmT3_T4_T5_T6_T7_T9_mT8_P12ihipStream_tbDpT10_ENKUlT_T0_E_clISt17integral_constantIbLb1EES1D_IbLb0EEEEDaS19_S1A_EUlS19_E_NS1_11comp_targetILNS1_3genE9ELNS1_11target_archE1100ELNS1_3gpuE3ELNS1_3repE0EEENS1_30default_config_static_selectorELNS0_4arch9wavefront6targetE1EEEvT1_,"axG",@progbits,_ZN7rocprim17ROCPRIM_400000_NS6detail17trampoline_kernelINS0_14default_configENS1_25partition_config_selectorILNS1_17partition_subalgoE8ElNS0_10empty_typeEbEEZZNS1_14partition_implILS5_8ELb0ES3_jPlPS6_PKS6_NS0_5tupleIJS9_S6_EEENSD_IJSA_SA_EEENS0_18inequality_wrapperIZN2at6native12_GLOBAL__N_124unique_dim_cuda_templateIN3c108BFloat16EEESt5tupleIJNSH_6TensorESO_SO_EERKSO_lbbbEUlllE0_EEPmJS6_EEE10hipError_tPvRmT3_T4_T5_T6_T7_T9_mT8_P12ihipStream_tbDpT10_ENKUlT_T0_E_clISt17integral_constantIbLb1EES1D_IbLb0EEEEDaS19_S1A_EUlS19_E_NS1_11comp_targetILNS1_3genE9ELNS1_11target_archE1100ELNS1_3gpuE3ELNS1_3repE0EEENS1_30default_config_static_selectorELNS0_4arch9wavefront6targetE1EEEvT1_,comdat
.Lfunc_end1196:
	.size	_ZN7rocprim17ROCPRIM_400000_NS6detail17trampoline_kernelINS0_14default_configENS1_25partition_config_selectorILNS1_17partition_subalgoE8ElNS0_10empty_typeEbEEZZNS1_14partition_implILS5_8ELb0ES3_jPlPS6_PKS6_NS0_5tupleIJS9_S6_EEENSD_IJSA_SA_EEENS0_18inequality_wrapperIZN2at6native12_GLOBAL__N_124unique_dim_cuda_templateIN3c108BFloat16EEESt5tupleIJNSH_6TensorESO_SO_EERKSO_lbbbEUlllE0_EEPmJS6_EEE10hipError_tPvRmT3_T4_T5_T6_T7_T9_mT8_P12ihipStream_tbDpT10_ENKUlT_T0_E_clISt17integral_constantIbLb1EES1D_IbLb0EEEEDaS19_S1A_EUlS19_E_NS1_11comp_targetILNS1_3genE9ELNS1_11target_archE1100ELNS1_3gpuE3ELNS1_3repE0EEENS1_30default_config_static_selectorELNS0_4arch9wavefront6targetE1EEEvT1_, .Lfunc_end1196-_ZN7rocprim17ROCPRIM_400000_NS6detail17trampoline_kernelINS0_14default_configENS1_25partition_config_selectorILNS1_17partition_subalgoE8ElNS0_10empty_typeEbEEZZNS1_14partition_implILS5_8ELb0ES3_jPlPS6_PKS6_NS0_5tupleIJS9_S6_EEENSD_IJSA_SA_EEENS0_18inequality_wrapperIZN2at6native12_GLOBAL__N_124unique_dim_cuda_templateIN3c108BFloat16EEESt5tupleIJNSH_6TensorESO_SO_EERKSO_lbbbEUlllE0_EEPmJS6_EEE10hipError_tPvRmT3_T4_T5_T6_T7_T9_mT8_P12ihipStream_tbDpT10_ENKUlT_T0_E_clISt17integral_constantIbLb1EES1D_IbLb0EEEEDaS19_S1A_EUlS19_E_NS1_11comp_targetILNS1_3genE9ELNS1_11target_archE1100ELNS1_3gpuE3ELNS1_3repE0EEENS1_30default_config_static_selectorELNS0_4arch9wavefront6targetE1EEEvT1_
                                        ; -- End function
	.set _ZN7rocprim17ROCPRIM_400000_NS6detail17trampoline_kernelINS0_14default_configENS1_25partition_config_selectorILNS1_17partition_subalgoE8ElNS0_10empty_typeEbEEZZNS1_14partition_implILS5_8ELb0ES3_jPlPS6_PKS6_NS0_5tupleIJS9_S6_EEENSD_IJSA_SA_EEENS0_18inequality_wrapperIZN2at6native12_GLOBAL__N_124unique_dim_cuda_templateIN3c108BFloat16EEESt5tupleIJNSH_6TensorESO_SO_EERKSO_lbbbEUlllE0_EEPmJS6_EEE10hipError_tPvRmT3_T4_T5_T6_T7_T9_mT8_P12ihipStream_tbDpT10_ENKUlT_T0_E_clISt17integral_constantIbLb1EES1D_IbLb0EEEEDaS19_S1A_EUlS19_E_NS1_11comp_targetILNS1_3genE9ELNS1_11target_archE1100ELNS1_3gpuE3ELNS1_3repE0EEENS1_30default_config_static_selectorELNS0_4arch9wavefront6targetE1EEEvT1_.num_vgpr, 0
	.set _ZN7rocprim17ROCPRIM_400000_NS6detail17trampoline_kernelINS0_14default_configENS1_25partition_config_selectorILNS1_17partition_subalgoE8ElNS0_10empty_typeEbEEZZNS1_14partition_implILS5_8ELb0ES3_jPlPS6_PKS6_NS0_5tupleIJS9_S6_EEENSD_IJSA_SA_EEENS0_18inequality_wrapperIZN2at6native12_GLOBAL__N_124unique_dim_cuda_templateIN3c108BFloat16EEESt5tupleIJNSH_6TensorESO_SO_EERKSO_lbbbEUlllE0_EEPmJS6_EEE10hipError_tPvRmT3_T4_T5_T6_T7_T9_mT8_P12ihipStream_tbDpT10_ENKUlT_T0_E_clISt17integral_constantIbLb1EES1D_IbLb0EEEEDaS19_S1A_EUlS19_E_NS1_11comp_targetILNS1_3genE9ELNS1_11target_archE1100ELNS1_3gpuE3ELNS1_3repE0EEENS1_30default_config_static_selectorELNS0_4arch9wavefront6targetE1EEEvT1_.num_agpr, 0
	.set _ZN7rocprim17ROCPRIM_400000_NS6detail17trampoline_kernelINS0_14default_configENS1_25partition_config_selectorILNS1_17partition_subalgoE8ElNS0_10empty_typeEbEEZZNS1_14partition_implILS5_8ELb0ES3_jPlPS6_PKS6_NS0_5tupleIJS9_S6_EEENSD_IJSA_SA_EEENS0_18inequality_wrapperIZN2at6native12_GLOBAL__N_124unique_dim_cuda_templateIN3c108BFloat16EEESt5tupleIJNSH_6TensorESO_SO_EERKSO_lbbbEUlllE0_EEPmJS6_EEE10hipError_tPvRmT3_T4_T5_T6_T7_T9_mT8_P12ihipStream_tbDpT10_ENKUlT_T0_E_clISt17integral_constantIbLb1EES1D_IbLb0EEEEDaS19_S1A_EUlS19_E_NS1_11comp_targetILNS1_3genE9ELNS1_11target_archE1100ELNS1_3gpuE3ELNS1_3repE0EEENS1_30default_config_static_selectorELNS0_4arch9wavefront6targetE1EEEvT1_.numbered_sgpr, 0
	.set _ZN7rocprim17ROCPRIM_400000_NS6detail17trampoline_kernelINS0_14default_configENS1_25partition_config_selectorILNS1_17partition_subalgoE8ElNS0_10empty_typeEbEEZZNS1_14partition_implILS5_8ELb0ES3_jPlPS6_PKS6_NS0_5tupleIJS9_S6_EEENSD_IJSA_SA_EEENS0_18inequality_wrapperIZN2at6native12_GLOBAL__N_124unique_dim_cuda_templateIN3c108BFloat16EEESt5tupleIJNSH_6TensorESO_SO_EERKSO_lbbbEUlllE0_EEPmJS6_EEE10hipError_tPvRmT3_T4_T5_T6_T7_T9_mT8_P12ihipStream_tbDpT10_ENKUlT_T0_E_clISt17integral_constantIbLb1EES1D_IbLb0EEEEDaS19_S1A_EUlS19_E_NS1_11comp_targetILNS1_3genE9ELNS1_11target_archE1100ELNS1_3gpuE3ELNS1_3repE0EEENS1_30default_config_static_selectorELNS0_4arch9wavefront6targetE1EEEvT1_.num_named_barrier, 0
	.set _ZN7rocprim17ROCPRIM_400000_NS6detail17trampoline_kernelINS0_14default_configENS1_25partition_config_selectorILNS1_17partition_subalgoE8ElNS0_10empty_typeEbEEZZNS1_14partition_implILS5_8ELb0ES3_jPlPS6_PKS6_NS0_5tupleIJS9_S6_EEENSD_IJSA_SA_EEENS0_18inequality_wrapperIZN2at6native12_GLOBAL__N_124unique_dim_cuda_templateIN3c108BFloat16EEESt5tupleIJNSH_6TensorESO_SO_EERKSO_lbbbEUlllE0_EEPmJS6_EEE10hipError_tPvRmT3_T4_T5_T6_T7_T9_mT8_P12ihipStream_tbDpT10_ENKUlT_T0_E_clISt17integral_constantIbLb1EES1D_IbLb0EEEEDaS19_S1A_EUlS19_E_NS1_11comp_targetILNS1_3genE9ELNS1_11target_archE1100ELNS1_3gpuE3ELNS1_3repE0EEENS1_30default_config_static_selectorELNS0_4arch9wavefront6targetE1EEEvT1_.private_seg_size, 0
	.set _ZN7rocprim17ROCPRIM_400000_NS6detail17trampoline_kernelINS0_14default_configENS1_25partition_config_selectorILNS1_17partition_subalgoE8ElNS0_10empty_typeEbEEZZNS1_14partition_implILS5_8ELb0ES3_jPlPS6_PKS6_NS0_5tupleIJS9_S6_EEENSD_IJSA_SA_EEENS0_18inequality_wrapperIZN2at6native12_GLOBAL__N_124unique_dim_cuda_templateIN3c108BFloat16EEESt5tupleIJNSH_6TensorESO_SO_EERKSO_lbbbEUlllE0_EEPmJS6_EEE10hipError_tPvRmT3_T4_T5_T6_T7_T9_mT8_P12ihipStream_tbDpT10_ENKUlT_T0_E_clISt17integral_constantIbLb1EES1D_IbLb0EEEEDaS19_S1A_EUlS19_E_NS1_11comp_targetILNS1_3genE9ELNS1_11target_archE1100ELNS1_3gpuE3ELNS1_3repE0EEENS1_30default_config_static_selectorELNS0_4arch9wavefront6targetE1EEEvT1_.uses_vcc, 0
	.set _ZN7rocprim17ROCPRIM_400000_NS6detail17trampoline_kernelINS0_14default_configENS1_25partition_config_selectorILNS1_17partition_subalgoE8ElNS0_10empty_typeEbEEZZNS1_14partition_implILS5_8ELb0ES3_jPlPS6_PKS6_NS0_5tupleIJS9_S6_EEENSD_IJSA_SA_EEENS0_18inequality_wrapperIZN2at6native12_GLOBAL__N_124unique_dim_cuda_templateIN3c108BFloat16EEESt5tupleIJNSH_6TensorESO_SO_EERKSO_lbbbEUlllE0_EEPmJS6_EEE10hipError_tPvRmT3_T4_T5_T6_T7_T9_mT8_P12ihipStream_tbDpT10_ENKUlT_T0_E_clISt17integral_constantIbLb1EES1D_IbLb0EEEEDaS19_S1A_EUlS19_E_NS1_11comp_targetILNS1_3genE9ELNS1_11target_archE1100ELNS1_3gpuE3ELNS1_3repE0EEENS1_30default_config_static_selectorELNS0_4arch9wavefront6targetE1EEEvT1_.uses_flat_scratch, 0
	.set _ZN7rocprim17ROCPRIM_400000_NS6detail17trampoline_kernelINS0_14default_configENS1_25partition_config_selectorILNS1_17partition_subalgoE8ElNS0_10empty_typeEbEEZZNS1_14partition_implILS5_8ELb0ES3_jPlPS6_PKS6_NS0_5tupleIJS9_S6_EEENSD_IJSA_SA_EEENS0_18inequality_wrapperIZN2at6native12_GLOBAL__N_124unique_dim_cuda_templateIN3c108BFloat16EEESt5tupleIJNSH_6TensorESO_SO_EERKSO_lbbbEUlllE0_EEPmJS6_EEE10hipError_tPvRmT3_T4_T5_T6_T7_T9_mT8_P12ihipStream_tbDpT10_ENKUlT_T0_E_clISt17integral_constantIbLb1EES1D_IbLb0EEEEDaS19_S1A_EUlS19_E_NS1_11comp_targetILNS1_3genE9ELNS1_11target_archE1100ELNS1_3gpuE3ELNS1_3repE0EEENS1_30default_config_static_selectorELNS0_4arch9wavefront6targetE1EEEvT1_.has_dyn_sized_stack, 0
	.set _ZN7rocprim17ROCPRIM_400000_NS6detail17trampoline_kernelINS0_14default_configENS1_25partition_config_selectorILNS1_17partition_subalgoE8ElNS0_10empty_typeEbEEZZNS1_14partition_implILS5_8ELb0ES3_jPlPS6_PKS6_NS0_5tupleIJS9_S6_EEENSD_IJSA_SA_EEENS0_18inequality_wrapperIZN2at6native12_GLOBAL__N_124unique_dim_cuda_templateIN3c108BFloat16EEESt5tupleIJNSH_6TensorESO_SO_EERKSO_lbbbEUlllE0_EEPmJS6_EEE10hipError_tPvRmT3_T4_T5_T6_T7_T9_mT8_P12ihipStream_tbDpT10_ENKUlT_T0_E_clISt17integral_constantIbLb1EES1D_IbLb0EEEEDaS19_S1A_EUlS19_E_NS1_11comp_targetILNS1_3genE9ELNS1_11target_archE1100ELNS1_3gpuE3ELNS1_3repE0EEENS1_30default_config_static_selectorELNS0_4arch9wavefront6targetE1EEEvT1_.has_recursion, 0
	.set _ZN7rocprim17ROCPRIM_400000_NS6detail17trampoline_kernelINS0_14default_configENS1_25partition_config_selectorILNS1_17partition_subalgoE8ElNS0_10empty_typeEbEEZZNS1_14partition_implILS5_8ELb0ES3_jPlPS6_PKS6_NS0_5tupleIJS9_S6_EEENSD_IJSA_SA_EEENS0_18inequality_wrapperIZN2at6native12_GLOBAL__N_124unique_dim_cuda_templateIN3c108BFloat16EEESt5tupleIJNSH_6TensorESO_SO_EERKSO_lbbbEUlllE0_EEPmJS6_EEE10hipError_tPvRmT3_T4_T5_T6_T7_T9_mT8_P12ihipStream_tbDpT10_ENKUlT_T0_E_clISt17integral_constantIbLb1EES1D_IbLb0EEEEDaS19_S1A_EUlS19_E_NS1_11comp_targetILNS1_3genE9ELNS1_11target_archE1100ELNS1_3gpuE3ELNS1_3repE0EEENS1_30default_config_static_selectorELNS0_4arch9wavefront6targetE1EEEvT1_.has_indirect_call, 0
	.section	.AMDGPU.csdata,"",@progbits
; Kernel info:
; codeLenInByte = 0
; TotalNumSgprs: 6
; NumVgprs: 0
; NumAgprs: 0
; TotalNumVgprs: 0
; ScratchSize: 0
; MemoryBound: 0
; FloatMode: 240
; IeeeMode: 1
; LDSByteSize: 0 bytes/workgroup (compile time only)
; SGPRBlocks: 0
; VGPRBlocks: 0
; NumSGPRsForWavesPerEU: 6
; NumVGPRsForWavesPerEU: 1
; AccumOffset: 4
; Occupancy: 8
; WaveLimiterHint : 0
; COMPUTE_PGM_RSRC2:SCRATCH_EN: 0
; COMPUTE_PGM_RSRC2:USER_SGPR: 2
; COMPUTE_PGM_RSRC2:TRAP_HANDLER: 0
; COMPUTE_PGM_RSRC2:TGID_X_EN: 1
; COMPUTE_PGM_RSRC2:TGID_Y_EN: 0
; COMPUTE_PGM_RSRC2:TGID_Z_EN: 0
; COMPUTE_PGM_RSRC2:TIDIG_COMP_CNT: 0
; COMPUTE_PGM_RSRC3_GFX90A:ACCUM_OFFSET: 0
; COMPUTE_PGM_RSRC3_GFX90A:TG_SPLIT: 0
	.section	.text._ZN7rocprim17ROCPRIM_400000_NS6detail17trampoline_kernelINS0_14default_configENS1_25partition_config_selectorILNS1_17partition_subalgoE8ElNS0_10empty_typeEbEEZZNS1_14partition_implILS5_8ELb0ES3_jPlPS6_PKS6_NS0_5tupleIJS9_S6_EEENSD_IJSA_SA_EEENS0_18inequality_wrapperIZN2at6native12_GLOBAL__N_124unique_dim_cuda_templateIN3c108BFloat16EEESt5tupleIJNSH_6TensorESO_SO_EERKSO_lbbbEUlllE0_EEPmJS6_EEE10hipError_tPvRmT3_T4_T5_T6_T7_T9_mT8_P12ihipStream_tbDpT10_ENKUlT_T0_E_clISt17integral_constantIbLb1EES1D_IbLb0EEEEDaS19_S1A_EUlS19_E_NS1_11comp_targetILNS1_3genE8ELNS1_11target_archE1030ELNS1_3gpuE2ELNS1_3repE0EEENS1_30default_config_static_selectorELNS0_4arch9wavefront6targetE1EEEvT1_,"axG",@progbits,_ZN7rocprim17ROCPRIM_400000_NS6detail17trampoline_kernelINS0_14default_configENS1_25partition_config_selectorILNS1_17partition_subalgoE8ElNS0_10empty_typeEbEEZZNS1_14partition_implILS5_8ELb0ES3_jPlPS6_PKS6_NS0_5tupleIJS9_S6_EEENSD_IJSA_SA_EEENS0_18inequality_wrapperIZN2at6native12_GLOBAL__N_124unique_dim_cuda_templateIN3c108BFloat16EEESt5tupleIJNSH_6TensorESO_SO_EERKSO_lbbbEUlllE0_EEPmJS6_EEE10hipError_tPvRmT3_T4_T5_T6_T7_T9_mT8_P12ihipStream_tbDpT10_ENKUlT_T0_E_clISt17integral_constantIbLb1EES1D_IbLb0EEEEDaS19_S1A_EUlS19_E_NS1_11comp_targetILNS1_3genE8ELNS1_11target_archE1030ELNS1_3gpuE2ELNS1_3repE0EEENS1_30default_config_static_selectorELNS0_4arch9wavefront6targetE1EEEvT1_,comdat
	.globl	_ZN7rocprim17ROCPRIM_400000_NS6detail17trampoline_kernelINS0_14default_configENS1_25partition_config_selectorILNS1_17partition_subalgoE8ElNS0_10empty_typeEbEEZZNS1_14partition_implILS5_8ELb0ES3_jPlPS6_PKS6_NS0_5tupleIJS9_S6_EEENSD_IJSA_SA_EEENS0_18inequality_wrapperIZN2at6native12_GLOBAL__N_124unique_dim_cuda_templateIN3c108BFloat16EEESt5tupleIJNSH_6TensorESO_SO_EERKSO_lbbbEUlllE0_EEPmJS6_EEE10hipError_tPvRmT3_T4_T5_T6_T7_T9_mT8_P12ihipStream_tbDpT10_ENKUlT_T0_E_clISt17integral_constantIbLb1EES1D_IbLb0EEEEDaS19_S1A_EUlS19_E_NS1_11comp_targetILNS1_3genE8ELNS1_11target_archE1030ELNS1_3gpuE2ELNS1_3repE0EEENS1_30default_config_static_selectorELNS0_4arch9wavefront6targetE1EEEvT1_ ; -- Begin function _ZN7rocprim17ROCPRIM_400000_NS6detail17trampoline_kernelINS0_14default_configENS1_25partition_config_selectorILNS1_17partition_subalgoE8ElNS0_10empty_typeEbEEZZNS1_14partition_implILS5_8ELb0ES3_jPlPS6_PKS6_NS0_5tupleIJS9_S6_EEENSD_IJSA_SA_EEENS0_18inequality_wrapperIZN2at6native12_GLOBAL__N_124unique_dim_cuda_templateIN3c108BFloat16EEESt5tupleIJNSH_6TensorESO_SO_EERKSO_lbbbEUlllE0_EEPmJS6_EEE10hipError_tPvRmT3_T4_T5_T6_T7_T9_mT8_P12ihipStream_tbDpT10_ENKUlT_T0_E_clISt17integral_constantIbLb1EES1D_IbLb0EEEEDaS19_S1A_EUlS19_E_NS1_11comp_targetILNS1_3genE8ELNS1_11target_archE1030ELNS1_3gpuE2ELNS1_3repE0EEENS1_30default_config_static_selectorELNS0_4arch9wavefront6targetE1EEEvT1_
	.p2align	8
	.type	_ZN7rocprim17ROCPRIM_400000_NS6detail17trampoline_kernelINS0_14default_configENS1_25partition_config_selectorILNS1_17partition_subalgoE8ElNS0_10empty_typeEbEEZZNS1_14partition_implILS5_8ELb0ES3_jPlPS6_PKS6_NS0_5tupleIJS9_S6_EEENSD_IJSA_SA_EEENS0_18inequality_wrapperIZN2at6native12_GLOBAL__N_124unique_dim_cuda_templateIN3c108BFloat16EEESt5tupleIJNSH_6TensorESO_SO_EERKSO_lbbbEUlllE0_EEPmJS6_EEE10hipError_tPvRmT3_T4_T5_T6_T7_T9_mT8_P12ihipStream_tbDpT10_ENKUlT_T0_E_clISt17integral_constantIbLb1EES1D_IbLb0EEEEDaS19_S1A_EUlS19_E_NS1_11comp_targetILNS1_3genE8ELNS1_11target_archE1030ELNS1_3gpuE2ELNS1_3repE0EEENS1_30default_config_static_selectorELNS0_4arch9wavefront6targetE1EEEvT1_,@function
_ZN7rocprim17ROCPRIM_400000_NS6detail17trampoline_kernelINS0_14default_configENS1_25partition_config_selectorILNS1_17partition_subalgoE8ElNS0_10empty_typeEbEEZZNS1_14partition_implILS5_8ELb0ES3_jPlPS6_PKS6_NS0_5tupleIJS9_S6_EEENSD_IJSA_SA_EEENS0_18inequality_wrapperIZN2at6native12_GLOBAL__N_124unique_dim_cuda_templateIN3c108BFloat16EEESt5tupleIJNSH_6TensorESO_SO_EERKSO_lbbbEUlllE0_EEPmJS6_EEE10hipError_tPvRmT3_T4_T5_T6_T7_T9_mT8_P12ihipStream_tbDpT10_ENKUlT_T0_E_clISt17integral_constantIbLb1EES1D_IbLb0EEEEDaS19_S1A_EUlS19_E_NS1_11comp_targetILNS1_3genE8ELNS1_11target_archE1030ELNS1_3gpuE2ELNS1_3repE0EEENS1_30default_config_static_selectorELNS0_4arch9wavefront6targetE1EEEvT1_: ; @_ZN7rocprim17ROCPRIM_400000_NS6detail17trampoline_kernelINS0_14default_configENS1_25partition_config_selectorILNS1_17partition_subalgoE8ElNS0_10empty_typeEbEEZZNS1_14partition_implILS5_8ELb0ES3_jPlPS6_PKS6_NS0_5tupleIJS9_S6_EEENSD_IJSA_SA_EEENS0_18inequality_wrapperIZN2at6native12_GLOBAL__N_124unique_dim_cuda_templateIN3c108BFloat16EEESt5tupleIJNSH_6TensorESO_SO_EERKSO_lbbbEUlllE0_EEPmJS6_EEE10hipError_tPvRmT3_T4_T5_T6_T7_T9_mT8_P12ihipStream_tbDpT10_ENKUlT_T0_E_clISt17integral_constantIbLb1EES1D_IbLb0EEEEDaS19_S1A_EUlS19_E_NS1_11comp_targetILNS1_3genE8ELNS1_11target_archE1030ELNS1_3gpuE2ELNS1_3repE0EEENS1_30default_config_static_selectorELNS0_4arch9wavefront6targetE1EEEvT1_
; %bb.0:
	.section	.rodata,"a",@progbits
	.p2align	6, 0x0
	.amdhsa_kernel _ZN7rocprim17ROCPRIM_400000_NS6detail17trampoline_kernelINS0_14default_configENS1_25partition_config_selectorILNS1_17partition_subalgoE8ElNS0_10empty_typeEbEEZZNS1_14partition_implILS5_8ELb0ES3_jPlPS6_PKS6_NS0_5tupleIJS9_S6_EEENSD_IJSA_SA_EEENS0_18inequality_wrapperIZN2at6native12_GLOBAL__N_124unique_dim_cuda_templateIN3c108BFloat16EEESt5tupleIJNSH_6TensorESO_SO_EERKSO_lbbbEUlllE0_EEPmJS6_EEE10hipError_tPvRmT3_T4_T5_T6_T7_T9_mT8_P12ihipStream_tbDpT10_ENKUlT_T0_E_clISt17integral_constantIbLb1EES1D_IbLb0EEEEDaS19_S1A_EUlS19_E_NS1_11comp_targetILNS1_3genE8ELNS1_11target_archE1030ELNS1_3gpuE2ELNS1_3repE0EEENS1_30default_config_static_selectorELNS0_4arch9wavefront6targetE1EEEvT1_
		.amdhsa_group_segment_fixed_size 0
		.amdhsa_private_segment_fixed_size 0
		.amdhsa_kernarg_size 120
		.amdhsa_user_sgpr_count 2
		.amdhsa_user_sgpr_dispatch_ptr 0
		.amdhsa_user_sgpr_queue_ptr 0
		.amdhsa_user_sgpr_kernarg_segment_ptr 1
		.amdhsa_user_sgpr_dispatch_id 0
		.amdhsa_user_sgpr_kernarg_preload_length 0
		.amdhsa_user_sgpr_kernarg_preload_offset 0
		.amdhsa_user_sgpr_private_segment_size 0
		.amdhsa_uses_dynamic_stack 0
		.amdhsa_enable_private_segment 0
		.amdhsa_system_sgpr_workgroup_id_x 1
		.amdhsa_system_sgpr_workgroup_id_y 0
		.amdhsa_system_sgpr_workgroup_id_z 0
		.amdhsa_system_sgpr_workgroup_info 0
		.amdhsa_system_vgpr_workitem_id 0
		.amdhsa_next_free_vgpr 1
		.amdhsa_next_free_sgpr 0
		.amdhsa_accum_offset 4
		.amdhsa_reserve_vcc 0
		.amdhsa_float_round_mode_32 0
		.amdhsa_float_round_mode_16_64 0
		.amdhsa_float_denorm_mode_32 3
		.amdhsa_float_denorm_mode_16_64 3
		.amdhsa_dx10_clamp 1
		.amdhsa_ieee_mode 1
		.amdhsa_fp16_overflow 0
		.amdhsa_tg_split 0
		.amdhsa_exception_fp_ieee_invalid_op 0
		.amdhsa_exception_fp_denorm_src 0
		.amdhsa_exception_fp_ieee_div_zero 0
		.amdhsa_exception_fp_ieee_overflow 0
		.amdhsa_exception_fp_ieee_underflow 0
		.amdhsa_exception_fp_ieee_inexact 0
		.amdhsa_exception_int_div_zero 0
	.end_amdhsa_kernel
	.section	.text._ZN7rocprim17ROCPRIM_400000_NS6detail17trampoline_kernelINS0_14default_configENS1_25partition_config_selectorILNS1_17partition_subalgoE8ElNS0_10empty_typeEbEEZZNS1_14partition_implILS5_8ELb0ES3_jPlPS6_PKS6_NS0_5tupleIJS9_S6_EEENSD_IJSA_SA_EEENS0_18inequality_wrapperIZN2at6native12_GLOBAL__N_124unique_dim_cuda_templateIN3c108BFloat16EEESt5tupleIJNSH_6TensorESO_SO_EERKSO_lbbbEUlllE0_EEPmJS6_EEE10hipError_tPvRmT3_T4_T5_T6_T7_T9_mT8_P12ihipStream_tbDpT10_ENKUlT_T0_E_clISt17integral_constantIbLb1EES1D_IbLb0EEEEDaS19_S1A_EUlS19_E_NS1_11comp_targetILNS1_3genE8ELNS1_11target_archE1030ELNS1_3gpuE2ELNS1_3repE0EEENS1_30default_config_static_selectorELNS0_4arch9wavefront6targetE1EEEvT1_,"axG",@progbits,_ZN7rocprim17ROCPRIM_400000_NS6detail17trampoline_kernelINS0_14default_configENS1_25partition_config_selectorILNS1_17partition_subalgoE8ElNS0_10empty_typeEbEEZZNS1_14partition_implILS5_8ELb0ES3_jPlPS6_PKS6_NS0_5tupleIJS9_S6_EEENSD_IJSA_SA_EEENS0_18inequality_wrapperIZN2at6native12_GLOBAL__N_124unique_dim_cuda_templateIN3c108BFloat16EEESt5tupleIJNSH_6TensorESO_SO_EERKSO_lbbbEUlllE0_EEPmJS6_EEE10hipError_tPvRmT3_T4_T5_T6_T7_T9_mT8_P12ihipStream_tbDpT10_ENKUlT_T0_E_clISt17integral_constantIbLb1EES1D_IbLb0EEEEDaS19_S1A_EUlS19_E_NS1_11comp_targetILNS1_3genE8ELNS1_11target_archE1030ELNS1_3gpuE2ELNS1_3repE0EEENS1_30default_config_static_selectorELNS0_4arch9wavefront6targetE1EEEvT1_,comdat
.Lfunc_end1197:
	.size	_ZN7rocprim17ROCPRIM_400000_NS6detail17trampoline_kernelINS0_14default_configENS1_25partition_config_selectorILNS1_17partition_subalgoE8ElNS0_10empty_typeEbEEZZNS1_14partition_implILS5_8ELb0ES3_jPlPS6_PKS6_NS0_5tupleIJS9_S6_EEENSD_IJSA_SA_EEENS0_18inequality_wrapperIZN2at6native12_GLOBAL__N_124unique_dim_cuda_templateIN3c108BFloat16EEESt5tupleIJNSH_6TensorESO_SO_EERKSO_lbbbEUlllE0_EEPmJS6_EEE10hipError_tPvRmT3_T4_T5_T6_T7_T9_mT8_P12ihipStream_tbDpT10_ENKUlT_T0_E_clISt17integral_constantIbLb1EES1D_IbLb0EEEEDaS19_S1A_EUlS19_E_NS1_11comp_targetILNS1_3genE8ELNS1_11target_archE1030ELNS1_3gpuE2ELNS1_3repE0EEENS1_30default_config_static_selectorELNS0_4arch9wavefront6targetE1EEEvT1_, .Lfunc_end1197-_ZN7rocprim17ROCPRIM_400000_NS6detail17trampoline_kernelINS0_14default_configENS1_25partition_config_selectorILNS1_17partition_subalgoE8ElNS0_10empty_typeEbEEZZNS1_14partition_implILS5_8ELb0ES3_jPlPS6_PKS6_NS0_5tupleIJS9_S6_EEENSD_IJSA_SA_EEENS0_18inequality_wrapperIZN2at6native12_GLOBAL__N_124unique_dim_cuda_templateIN3c108BFloat16EEESt5tupleIJNSH_6TensorESO_SO_EERKSO_lbbbEUlllE0_EEPmJS6_EEE10hipError_tPvRmT3_T4_T5_T6_T7_T9_mT8_P12ihipStream_tbDpT10_ENKUlT_T0_E_clISt17integral_constantIbLb1EES1D_IbLb0EEEEDaS19_S1A_EUlS19_E_NS1_11comp_targetILNS1_3genE8ELNS1_11target_archE1030ELNS1_3gpuE2ELNS1_3repE0EEENS1_30default_config_static_selectorELNS0_4arch9wavefront6targetE1EEEvT1_
                                        ; -- End function
	.set _ZN7rocprim17ROCPRIM_400000_NS6detail17trampoline_kernelINS0_14default_configENS1_25partition_config_selectorILNS1_17partition_subalgoE8ElNS0_10empty_typeEbEEZZNS1_14partition_implILS5_8ELb0ES3_jPlPS6_PKS6_NS0_5tupleIJS9_S6_EEENSD_IJSA_SA_EEENS0_18inequality_wrapperIZN2at6native12_GLOBAL__N_124unique_dim_cuda_templateIN3c108BFloat16EEESt5tupleIJNSH_6TensorESO_SO_EERKSO_lbbbEUlllE0_EEPmJS6_EEE10hipError_tPvRmT3_T4_T5_T6_T7_T9_mT8_P12ihipStream_tbDpT10_ENKUlT_T0_E_clISt17integral_constantIbLb1EES1D_IbLb0EEEEDaS19_S1A_EUlS19_E_NS1_11comp_targetILNS1_3genE8ELNS1_11target_archE1030ELNS1_3gpuE2ELNS1_3repE0EEENS1_30default_config_static_selectorELNS0_4arch9wavefront6targetE1EEEvT1_.num_vgpr, 0
	.set _ZN7rocprim17ROCPRIM_400000_NS6detail17trampoline_kernelINS0_14default_configENS1_25partition_config_selectorILNS1_17partition_subalgoE8ElNS0_10empty_typeEbEEZZNS1_14partition_implILS5_8ELb0ES3_jPlPS6_PKS6_NS0_5tupleIJS9_S6_EEENSD_IJSA_SA_EEENS0_18inequality_wrapperIZN2at6native12_GLOBAL__N_124unique_dim_cuda_templateIN3c108BFloat16EEESt5tupleIJNSH_6TensorESO_SO_EERKSO_lbbbEUlllE0_EEPmJS6_EEE10hipError_tPvRmT3_T4_T5_T6_T7_T9_mT8_P12ihipStream_tbDpT10_ENKUlT_T0_E_clISt17integral_constantIbLb1EES1D_IbLb0EEEEDaS19_S1A_EUlS19_E_NS1_11comp_targetILNS1_3genE8ELNS1_11target_archE1030ELNS1_3gpuE2ELNS1_3repE0EEENS1_30default_config_static_selectorELNS0_4arch9wavefront6targetE1EEEvT1_.num_agpr, 0
	.set _ZN7rocprim17ROCPRIM_400000_NS6detail17trampoline_kernelINS0_14default_configENS1_25partition_config_selectorILNS1_17partition_subalgoE8ElNS0_10empty_typeEbEEZZNS1_14partition_implILS5_8ELb0ES3_jPlPS6_PKS6_NS0_5tupleIJS9_S6_EEENSD_IJSA_SA_EEENS0_18inequality_wrapperIZN2at6native12_GLOBAL__N_124unique_dim_cuda_templateIN3c108BFloat16EEESt5tupleIJNSH_6TensorESO_SO_EERKSO_lbbbEUlllE0_EEPmJS6_EEE10hipError_tPvRmT3_T4_T5_T6_T7_T9_mT8_P12ihipStream_tbDpT10_ENKUlT_T0_E_clISt17integral_constantIbLb1EES1D_IbLb0EEEEDaS19_S1A_EUlS19_E_NS1_11comp_targetILNS1_3genE8ELNS1_11target_archE1030ELNS1_3gpuE2ELNS1_3repE0EEENS1_30default_config_static_selectorELNS0_4arch9wavefront6targetE1EEEvT1_.numbered_sgpr, 0
	.set _ZN7rocprim17ROCPRIM_400000_NS6detail17trampoline_kernelINS0_14default_configENS1_25partition_config_selectorILNS1_17partition_subalgoE8ElNS0_10empty_typeEbEEZZNS1_14partition_implILS5_8ELb0ES3_jPlPS6_PKS6_NS0_5tupleIJS9_S6_EEENSD_IJSA_SA_EEENS0_18inequality_wrapperIZN2at6native12_GLOBAL__N_124unique_dim_cuda_templateIN3c108BFloat16EEESt5tupleIJNSH_6TensorESO_SO_EERKSO_lbbbEUlllE0_EEPmJS6_EEE10hipError_tPvRmT3_T4_T5_T6_T7_T9_mT8_P12ihipStream_tbDpT10_ENKUlT_T0_E_clISt17integral_constantIbLb1EES1D_IbLb0EEEEDaS19_S1A_EUlS19_E_NS1_11comp_targetILNS1_3genE8ELNS1_11target_archE1030ELNS1_3gpuE2ELNS1_3repE0EEENS1_30default_config_static_selectorELNS0_4arch9wavefront6targetE1EEEvT1_.num_named_barrier, 0
	.set _ZN7rocprim17ROCPRIM_400000_NS6detail17trampoline_kernelINS0_14default_configENS1_25partition_config_selectorILNS1_17partition_subalgoE8ElNS0_10empty_typeEbEEZZNS1_14partition_implILS5_8ELb0ES3_jPlPS6_PKS6_NS0_5tupleIJS9_S6_EEENSD_IJSA_SA_EEENS0_18inequality_wrapperIZN2at6native12_GLOBAL__N_124unique_dim_cuda_templateIN3c108BFloat16EEESt5tupleIJNSH_6TensorESO_SO_EERKSO_lbbbEUlllE0_EEPmJS6_EEE10hipError_tPvRmT3_T4_T5_T6_T7_T9_mT8_P12ihipStream_tbDpT10_ENKUlT_T0_E_clISt17integral_constantIbLb1EES1D_IbLb0EEEEDaS19_S1A_EUlS19_E_NS1_11comp_targetILNS1_3genE8ELNS1_11target_archE1030ELNS1_3gpuE2ELNS1_3repE0EEENS1_30default_config_static_selectorELNS0_4arch9wavefront6targetE1EEEvT1_.private_seg_size, 0
	.set _ZN7rocprim17ROCPRIM_400000_NS6detail17trampoline_kernelINS0_14default_configENS1_25partition_config_selectorILNS1_17partition_subalgoE8ElNS0_10empty_typeEbEEZZNS1_14partition_implILS5_8ELb0ES3_jPlPS6_PKS6_NS0_5tupleIJS9_S6_EEENSD_IJSA_SA_EEENS0_18inequality_wrapperIZN2at6native12_GLOBAL__N_124unique_dim_cuda_templateIN3c108BFloat16EEESt5tupleIJNSH_6TensorESO_SO_EERKSO_lbbbEUlllE0_EEPmJS6_EEE10hipError_tPvRmT3_T4_T5_T6_T7_T9_mT8_P12ihipStream_tbDpT10_ENKUlT_T0_E_clISt17integral_constantIbLb1EES1D_IbLb0EEEEDaS19_S1A_EUlS19_E_NS1_11comp_targetILNS1_3genE8ELNS1_11target_archE1030ELNS1_3gpuE2ELNS1_3repE0EEENS1_30default_config_static_selectorELNS0_4arch9wavefront6targetE1EEEvT1_.uses_vcc, 0
	.set _ZN7rocprim17ROCPRIM_400000_NS6detail17trampoline_kernelINS0_14default_configENS1_25partition_config_selectorILNS1_17partition_subalgoE8ElNS0_10empty_typeEbEEZZNS1_14partition_implILS5_8ELb0ES3_jPlPS6_PKS6_NS0_5tupleIJS9_S6_EEENSD_IJSA_SA_EEENS0_18inequality_wrapperIZN2at6native12_GLOBAL__N_124unique_dim_cuda_templateIN3c108BFloat16EEESt5tupleIJNSH_6TensorESO_SO_EERKSO_lbbbEUlllE0_EEPmJS6_EEE10hipError_tPvRmT3_T4_T5_T6_T7_T9_mT8_P12ihipStream_tbDpT10_ENKUlT_T0_E_clISt17integral_constantIbLb1EES1D_IbLb0EEEEDaS19_S1A_EUlS19_E_NS1_11comp_targetILNS1_3genE8ELNS1_11target_archE1030ELNS1_3gpuE2ELNS1_3repE0EEENS1_30default_config_static_selectorELNS0_4arch9wavefront6targetE1EEEvT1_.uses_flat_scratch, 0
	.set _ZN7rocprim17ROCPRIM_400000_NS6detail17trampoline_kernelINS0_14default_configENS1_25partition_config_selectorILNS1_17partition_subalgoE8ElNS0_10empty_typeEbEEZZNS1_14partition_implILS5_8ELb0ES3_jPlPS6_PKS6_NS0_5tupleIJS9_S6_EEENSD_IJSA_SA_EEENS0_18inequality_wrapperIZN2at6native12_GLOBAL__N_124unique_dim_cuda_templateIN3c108BFloat16EEESt5tupleIJNSH_6TensorESO_SO_EERKSO_lbbbEUlllE0_EEPmJS6_EEE10hipError_tPvRmT3_T4_T5_T6_T7_T9_mT8_P12ihipStream_tbDpT10_ENKUlT_T0_E_clISt17integral_constantIbLb1EES1D_IbLb0EEEEDaS19_S1A_EUlS19_E_NS1_11comp_targetILNS1_3genE8ELNS1_11target_archE1030ELNS1_3gpuE2ELNS1_3repE0EEENS1_30default_config_static_selectorELNS0_4arch9wavefront6targetE1EEEvT1_.has_dyn_sized_stack, 0
	.set _ZN7rocprim17ROCPRIM_400000_NS6detail17trampoline_kernelINS0_14default_configENS1_25partition_config_selectorILNS1_17partition_subalgoE8ElNS0_10empty_typeEbEEZZNS1_14partition_implILS5_8ELb0ES3_jPlPS6_PKS6_NS0_5tupleIJS9_S6_EEENSD_IJSA_SA_EEENS0_18inequality_wrapperIZN2at6native12_GLOBAL__N_124unique_dim_cuda_templateIN3c108BFloat16EEESt5tupleIJNSH_6TensorESO_SO_EERKSO_lbbbEUlllE0_EEPmJS6_EEE10hipError_tPvRmT3_T4_T5_T6_T7_T9_mT8_P12ihipStream_tbDpT10_ENKUlT_T0_E_clISt17integral_constantIbLb1EES1D_IbLb0EEEEDaS19_S1A_EUlS19_E_NS1_11comp_targetILNS1_3genE8ELNS1_11target_archE1030ELNS1_3gpuE2ELNS1_3repE0EEENS1_30default_config_static_selectorELNS0_4arch9wavefront6targetE1EEEvT1_.has_recursion, 0
	.set _ZN7rocprim17ROCPRIM_400000_NS6detail17trampoline_kernelINS0_14default_configENS1_25partition_config_selectorILNS1_17partition_subalgoE8ElNS0_10empty_typeEbEEZZNS1_14partition_implILS5_8ELb0ES3_jPlPS6_PKS6_NS0_5tupleIJS9_S6_EEENSD_IJSA_SA_EEENS0_18inequality_wrapperIZN2at6native12_GLOBAL__N_124unique_dim_cuda_templateIN3c108BFloat16EEESt5tupleIJNSH_6TensorESO_SO_EERKSO_lbbbEUlllE0_EEPmJS6_EEE10hipError_tPvRmT3_T4_T5_T6_T7_T9_mT8_P12ihipStream_tbDpT10_ENKUlT_T0_E_clISt17integral_constantIbLb1EES1D_IbLb0EEEEDaS19_S1A_EUlS19_E_NS1_11comp_targetILNS1_3genE8ELNS1_11target_archE1030ELNS1_3gpuE2ELNS1_3repE0EEENS1_30default_config_static_selectorELNS0_4arch9wavefront6targetE1EEEvT1_.has_indirect_call, 0
	.section	.AMDGPU.csdata,"",@progbits
; Kernel info:
; codeLenInByte = 0
; TotalNumSgprs: 6
; NumVgprs: 0
; NumAgprs: 0
; TotalNumVgprs: 0
; ScratchSize: 0
; MemoryBound: 0
; FloatMode: 240
; IeeeMode: 1
; LDSByteSize: 0 bytes/workgroup (compile time only)
; SGPRBlocks: 0
; VGPRBlocks: 0
; NumSGPRsForWavesPerEU: 6
; NumVGPRsForWavesPerEU: 1
; AccumOffset: 4
; Occupancy: 8
; WaveLimiterHint : 0
; COMPUTE_PGM_RSRC2:SCRATCH_EN: 0
; COMPUTE_PGM_RSRC2:USER_SGPR: 2
; COMPUTE_PGM_RSRC2:TRAP_HANDLER: 0
; COMPUTE_PGM_RSRC2:TGID_X_EN: 1
; COMPUTE_PGM_RSRC2:TGID_Y_EN: 0
; COMPUTE_PGM_RSRC2:TGID_Z_EN: 0
; COMPUTE_PGM_RSRC2:TIDIG_COMP_CNT: 0
; COMPUTE_PGM_RSRC3_GFX90A:ACCUM_OFFSET: 0
; COMPUTE_PGM_RSRC3_GFX90A:TG_SPLIT: 0
	.section	.text._ZN7rocprim17ROCPRIM_400000_NS6detail17trampoline_kernelINS0_14default_configENS1_25partition_config_selectorILNS1_17partition_subalgoE8ElNS0_10empty_typeEbEEZZNS1_14partition_implILS5_8ELb0ES3_jPlPS6_PKS6_NS0_5tupleIJS9_S6_EEENSD_IJSA_SA_EEENS0_18inequality_wrapperIZN2at6native12_GLOBAL__N_124unique_dim_cuda_templateIN3c108BFloat16EEESt5tupleIJNSH_6TensorESO_SO_EERKSO_lbbbEUlllE0_EEPmJS6_EEE10hipError_tPvRmT3_T4_T5_T6_T7_T9_mT8_P12ihipStream_tbDpT10_ENKUlT_T0_E_clISt17integral_constantIbLb0EES1D_IbLb1EEEEDaS19_S1A_EUlS19_E_NS1_11comp_targetILNS1_3genE0ELNS1_11target_archE4294967295ELNS1_3gpuE0ELNS1_3repE0EEENS1_30default_config_static_selectorELNS0_4arch9wavefront6targetE1EEEvT1_,"axG",@progbits,_ZN7rocprim17ROCPRIM_400000_NS6detail17trampoline_kernelINS0_14default_configENS1_25partition_config_selectorILNS1_17partition_subalgoE8ElNS0_10empty_typeEbEEZZNS1_14partition_implILS5_8ELb0ES3_jPlPS6_PKS6_NS0_5tupleIJS9_S6_EEENSD_IJSA_SA_EEENS0_18inequality_wrapperIZN2at6native12_GLOBAL__N_124unique_dim_cuda_templateIN3c108BFloat16EEESt5tupleIJNSH_6TensorESO_SO_EERKSO_lbbbEUlllE0_EEPmJS6_EEE10hipError_tPvRmT3_T4_T5_T6_T7_T9_mT8_P12ihipStream_tbDpT10_ENKUlT_T0_E_clISt17integral_constantIbLb0EES1D_IbLb1EEEEDaS19_S1A_EUlS19_E_NS1_11comp_targetILNS1_3genE0ELNS1_11target_archE4294967295ELNS1_3gpuE0ELNS1_3repE0EEENS1_30default_config_static_selectorELNS0_4arch9wavefront6targetE1EEEvT1_,comdat
	.globl	_ZN7rocprim17ROCPRIM_400000_NS6detail17trampoline_kernelINS0_14default_configENS1_25partition_config_selectorILNS1_17partition_subalgoE8ElNS0_10empty_typeEbEEZZNS1_14partition_implILS5_8ELb0ES3_jPlPS6_PKS6_NS0_5tupleIJS9_S6_EEENSD_IJSA_SA_EEENS0_18inequality_wrapperIZN2at6native12_GLOBAL__N_124unique_dim_cuda_templateIN3c108BFloat16EEESt5tupleIJNSH_6TensorESO_SO_EERKSO_lbbbEUlllE0_EEPmJS6_EEE10hipError_tPvRmT3_T4_T5_T6_T7_T9_mT8_P12ihipStream_tbDpT10_ENKUlT_T0_E_clISt17integral_constantIbLb0EES1D_IbLb1EEEEDaS19_S1A_EUlS19_E_NS1_11comp_targetILNS1_3genE0ELNS1_11target_archE4294967295ELNS1_3gpuE0ELNS1_3repE0EEENS1_30default_config_static_selectorELNS0_4arch9wavefront6targetE1EEEvT1_ ; -- Begin function _ZN7rocprim17ROCPRIM_400000_NS6detail17trampoline_kernelINS0_14default_configENS1_25partition_config_selectorILNS1_17partition_subalgoE8ElNS0_10empty_typeEbEEZZNS1_14partition_implILS5_8ELb0ES3_jPlPS6_PKS6_NS0_5tupleIJS9_S6_EEENSD_IJSA_SA_EEENS0_18inequality_wrapperIZN2at6native12_GLOBAL__N_124unique_dim_cuda_templateIN3c108BFloat16EEESt5tupleIJNSH_6TensorESO_SO_EERKSO_lbbbEUlllE0_EEPmJS6_EEE10hipError_tPvRmT3_T4_T5_T6_T7_T9_mT8_P12ihipStream_tbDpT10_ENKUlT_T0_E_clISt17integral_constantIbLb0EES1D_IbLb1EEEEDaS19_S1A_EUlS19_E_NS1_11comp_targetILNS1_3genE0ELNS1_11target_archE4294967295ELNS1_3gpuE0ELNS1_3repE0EEENS1_30default_config_static_selectorELNS0_4arch9wavefront6targetE1EEEvT1_
	.p2align	8
	.type	_ZN7rocprim17ROCPRIM_400000_NS6detail17trampoline_kernelINS0_14default_configENS1_25partition_config_selectorILNS1_17partition_subalgoE8ElNS0_10empty_typeEbEEZZNS1_14partition_implILS5_8ELb0ES3_jPlPS6_PKS6_NS0_5tupleIJS9_S6_EEENSD_IJSA_SA_EEENS0_18inequality_wrapperIZN2at6native12_GLOBAL__N_124unique_dim_cuda_templateIN3c108BFloat16EEESt5tupleIJNSH_6TensorESO_SO_EERKSO_lbbbEUlllE0_EEPmJS6_EEE10hipError_tPvRmT3_T4_T5_T6_T7_T9_mT8_P12ihipStream_tbDpT10_ENKUlT_T0_E_clISt17integral_constantIbLb0EES1D_IbLb1EEEEDaS19_S1A_EUlS19_E_NS1_11comp_targetILNS1_3genE0ELNS1_11target_archE4294967295ELNS1_3gpuE0ELNS1_3repE0EEENS1_30default_config_static_selectorELNS0_4arch9wavefront6targetE1EEEvT1_,@function
_ZN7rocprim17ROCPRIM_400000_NS6detail17trampoline_kernelINS0_14default_configENS1_25partition_config_selectorILNS1_17partition_subalgoE8ElNS0_10empty_typeEbEEZZNS1_14partition_implILS5_8ELb0ES3_jPlPS6_PKS6_NS0_5tupleIJS9_S6_EEENSD_IJSA_SA_EEENS0_18inequality_wrapperIZN2at6native12_GLOBAL__N_124unique_dim_cuda_templateIN3c108BFloat16EEESt5tupleIJNSH_6TensorESO_SO_EERKSO_lbbbEUlllE0_EEPmJS6_EEE10hipError_tPvRmT3_T4_T5_T6_T7_T9_mT8_P12ihipStream_tbDpT10_ENKUlT_T0_E_clISt17integral_constantIbLb0EES1D_IbLb1EEEEDaS19_S1A_EUlS19_E_NS1_11comp_targetILNS1_3genE0ELNS1_11target_archE4294967295ELNS1_3gpuE0ELNS1_3repE0EEENS1_30default_config_static_selectorELNS0_4arch9wavefront6targetE1EEEvT1_: ; @_ZN7rocprim17ROCPRIM_400000_NS6detail17trampoline_kernelINS0_14default_configENS1_25partition_config_selectorILNS1_17partition_subalgoE8ElNS0_10empty_typeEbEEZZNS1_14partition_implILS5_8ELb0ES3_jPlPS6_PKS6_NS0_5tupleIJS9_S6_EEENSD_IJSA_SA_EEENS0_18inequality_wrapperIZN2at6native12_GLOBAL__N_124unique_dim_cuda_templateIN3c108BFloat16EEESt5tupleIJNSH_6TensorESO_SO_EERKSO_lbbbEUlllE0_EEPmJS6_EEE10hipError_tPvRmT3_T4_T5_T6_T7_T9_mT8_P12ihipStream_tbDpT10_ENKUlT_T0_E_clISt17integral_constantIbLb0EES1D_IbLb1EEEEDaS19_S1A_EUlS19_E_NS1_11comp_targetILNS1_3genE0ELNS1_11target_archE4294967295ELNS1_3gpuE0ELNS1_3repE0EEENS1_30default_config_static_selectorELNS0_4arch9wavefront6targetE1EEEvT1_
; %bb.0:
	s_load_dwordx2 s[34:35], s[0:1], 0x28
	s_load_dwordx8 s[20:27], s[0:1], 0x40
	s_load_dwordx4 s[28:31], s[0:1], 0x60
	v_cmp_ne_u32_e64 s[2:3], 0, v0
	v_cmp_eq_u32_e64 s[18:19], 0, v0
	s_and_saveexec_b64 s[4:5], s[18:19]
	s_cbranch_execz .LBB1198_4
; %bb.1:
	s_mov_b64 s[8:9], exec
	v_mbcnt_lo_u32_b32 v1, s8, 0
	v_mbcnt_hi_u32_b32 v1, s9, v1
	v_cmp_eq_u32_e32 vcc, 0, v1
                                        ; implicit-def: $vgpr2
	s_and_saveexec_b64 s[6:7], vcc
	s_cbranch_execz .LBB1198_3
; %bb.2:
	s_load_dwordx2 s[10:11], s[0:1], 0x78
	s_bcnt1_i32_b64 s8, s[8:9]
	v_mov_b32_e32 v2, 0
	v_mov_b32_e32 v3, s8
	s_waitcnt lgkmcnt(0)
	global_atomic_add v2, v2, v3, s[10:11] sc0
.LBB1198_3:
	s_or_b64 exec, exec, s[6:7]
	s_waitcnt vmcnt(0)
	v_readfirstlane_b32 s6, v2
	v_mov_b32_e32 v2, 0
	s_nop 0
	v_add_u32_e32 v1, s6, v1
	ds_write_b32 v2, v1
.LBB1198_4:
	s_or_b64 exec, exec, s[4:5]
	v_mov_b32_e32 v3, 0
	s_load_dwordx4 s[4:7], s[0:1], 0x8
	s_load_dword s8, s[0:1], 0x70
	s_waitcnt lgkmcnt(0)
	s_barrier
	ds_read_b32 v1, v3
	s_waitcnt lgkmcnt(0)
	s_barrier
	global_load_dwordx2 v[4:5], v3, s[22:23]
	s_lshl_b64 s[10:11], s[6:7], 3
	s_mul_i32 s9, s8, 0xe00
	s_add_u32 s4, s4, s10
	s_addc_u32 s5, s5, s11
	s_add_i32 s10, s8, -1
	s_add_i32 s8, s9, s6
	s_sub_i32 s50, s24, s8
	s_add_u32 s8, s6, s9
	s_addc_u32 s9, s7, 0
	v_readfirstlane_b32 s33, v1
	v_mov_b64_e32 v[6:7], s[8:9]
	s_cmp_eq_u32 s33, s10
	s_movk_i32 s12, 0xe00
	v_cmp_le_u64_e32 vcc, s[24:25], v[6:7]
	s_cselect_b64 s[24:25], -1, 0
	v_mul_lo_u32 v2, v1, s12
	s_and_b64 s[8:9], vcc, s[24:25]
	v_lshlrev_b64 v[6:7], 3, v[2:3]
	s_xor_b64 s[36:37], s[8:9], -1
	s_mov_b64 s[0:1], -1
	v_lshlrev_b32_e32 v18, 3, v0
	v_lshl_add_u64 v[20:21], s[4:5], 0, v[6:7]
	s_and_b64 vcc, exec, s[36:37]
	s_waitcnt vmcnt(0)
	v_readfirstlane_b32 s22, v4
	v_readfirstlane_b32 s23, v5
	s_cbranch_vccz .LBB1198_6
; %bb.5:
	v_lshlrev_b32_e32 v2, 3, v0
	v_lshl_add_u64 v[4:5], v[20:21], 0, v[2:3]
	v_add_co_u32_e32 v8, vcc, 0x1000, v4
	v_readfirstlane_b32 s0, v20
	s_nop 0
	v_addc_co_u32_e32 v9, vcc, 0, v5, vcc
	v_add_co_u32_e32 v10, vcc, 0x2000, v4
	v_readfirstlane_b32 s1, v21
	s_nop 0
	v_addc_co_u32_e32 v11, vcc, 0, v5, vcc
	v_add_co_u32_e32 v12, vcc, 0x3000, v4
	s_nop 1
	v_addc_co_u32_e32 v13, vcc, 0, v5, vcc
	v_add_co_u32_e32 v14, vcc, 0x4000, v4
	global_load_dwordx2 v[6:7], v2, s[0:1]
	s_nop 0
	v_addc_co_u32_e32 v15, vcc, 0, v5, vcc
	global_load_dwordx2 v[16:17], v[8:9], off
	global_load_dwordx2 v[22:23], v[10:11], off
	;; [unrolled: 1-line block ×4, first 2 shown]
	v_add_co_u32_e32 v8, vcc, 0x5000, v4
	s_mov_b64 s[0:1], 0
	s_nop 0
	v_addc_co_u32_e32 v9, vcc, 0, v5, vcc
	v_add_co_u32_e32 v4, vcc, 0x6000, v4
	s_nop 1
	v_addc_co_u32_e32 v5, vcc, 0, v5, vcc
	global_load_dwordx2 v[10:11], v[8:9], off
	global_load_dwordx2 v[12:13], v[4:5], off
	s_waitcnt vmcnt(5)
	ds_write2st64_b64 v2, v[6:7], v[16:17] offset1:8
	s_waitcnt vmcnt(3)
	ds_write2st64_b64 v2, v[22:23], v[24:25] offset0:16 offset1:24
	s_waitcnt vmcnt(1)
	ds_write2st64_b64 v2, v[26:27], v[10:11] offset0:32 offset1:40
	s_waitcnt vmcnt(0)
	ds_write_b64 v2, v[12:13] offset:24576
	s_waitcnt lgkmcnt(0)
	s_barrier
.LBB1198_6:
	s_andn2_b64 vcc, exec, s[0:1]
	s_addk_i32 s50, 0xe00
	s_cbranch_vccnz .LBB1198_22
; %bb.7:
	v_mov_b32_e32 v2, 0
	v_cmp_gt_u32_e32 vcc, s50, v0
	v_mov_b32_e32 v3, v2
	v_mov_b32_e32 v4, v2
	;; [unrolled: 1-line block ×13, first 2 shown]
	s_and_saveexec_b64 s[0:1], vcc
	s_cbranch_execz .LBB1198_9
; %bb.8:
	v_lshlrev_b32_e32 v1, 3, v0
	v_readfirstlane_b32 s4, v20
	v_readfirstlane_b32 s5, v21
	v_mov_b32_e32 v6, v2
	v_mov_b32_e32 v7, v2
	;; [unrolled: 1-line block ×5, first 2 shown]
	global_load_dwordx2 v[4:5], v1, s[4:5]
	v_mov_b32_e32 v11, v2
	v_mov_b32_e32 v12, v2
	;; [unrolled: 1-line block ×7, first 2 shown]
	s_waitcnt vmcnt(0)
	v_mov_b64_e32 v[2:3], v[4:5]
	v_mov_b64_e32 v[4:5], v[6:7]
	;; [unrolled: 1-line block ×8, first 2 shown]
.LBB1198_9:
	s_or_b64 exec, exec, s[0:1]
	v_or_b32_e32 v1, 0x200, v0
	v_cmp_gt_u32_e32 vcc, s50, v1
	s_and_saveexec_b64 s[0:1], vcc
	s_cbranch_execz .LBB1198_11
; %bb.10:
	v_lshlrev_b32_e32 v1, 3, v1
	v_readfirstlane_b32 s4, v20
	v_readfirstlane_b32 s5, v21
	s_nop 4
	global_load_dwordx2 v[4:5], v1, s[4:5]
.LBB1198_11:
	s_or_b64 exec, exec, s[0:1]
	v_or_b32_e32 v1, 0x400, v0
	v_cmp_gt_u32_e32 vcc, s50, v1
	s_and_saveexec_b64 s[0:1], vcc
	s_cbranch_execz .LBB1198_13
; %bb.12:
	v_lshlrev_b32_e32 v1, 3, v1
	v_readfirstlane_b32 s4, v20
	v_readfirstlane_b32 s5, v21
	s_nop 4
	global_load_dwordx2 v[6:7], v1, s[4:5]
.LBB1198_13:
	;; [unrolled: 12-line block ×6, first 2 shown]
	s_or_b64 exec, exec, s[0:1]
	v_lshlrev_b32_e32 v1, 3, v0
	s_waitcnt vmcnt(0)
	ds_write2st64_b64 v1, v[2:3], v[4:5] offset1:8
	ds_write2st64_b64 v1, v[6:7], v[8:9] offset0:16 offset1:24
	ds_write2st64_b64 v1, v[10:11], v[12:13] offset0:32 offset1:40
	ds_write_b64 v1, v[14:15] offset:24576
	s_waitcnt lgkmcnt(0)
	s_barrier
.LBB1198_22:
	v_mul_u32_u24_e32 v1, 7, v0
	v_lshlrev_b32_e32 v26, 3, v1
	ds_read2_b64 v[10:13], v26 offset1:1
	ds_read2_b64 v[6:9], v26 offset0:2 offset1:3
	ds_read2_b64 v[2:5], v26 offset0:4 offset1:5
	ds_read_b64 v[14:15], v26 offset:48
	s_cmp_lg_u32 s33, 0
	s_cselect_b64 s[16:17], -1, 0
	s_cmp_lg_u64 s[6:7], 0
	s_cselect_b64 s[0:1], -1, 0
	s_or_b64 s[0:1], s[0:1], s[16:17]
	s_mov_b64 s[10:11], 0
	s_and_b64 vcc, exec, s[0:1]
	v_cmp_gt_i64_e64 s[4:5], s[26:27], 0
	s_waitcnt lgkmcnt(0)
	s_barrier
	s_cbranch_vccz .LBB1198_38
; %bb.23:
	global_load_dwordx2 v[20:21], v[20:21], off offset:-8
	v_cndmask_b32_e64 v16, 0, 1, s[4:5]
	v_lshlrev_b32_e32 v27, 3, v0
	s_mov_b64 s[0:1], 0
	s_and_b64 vcc, exec, s[36:37]
	v_cmp_ne_u32_e64 s[4:5], 1, v16
	ds_write_b64 v27, v[14:15]
	s_cbranch_vccz .LBB1198_40
; %bb.24:
	s_and_b64 vcc, exec, s[4:5]
	s_cbranch_vccnz .LBB1198_41
; %bb.25:
	v_mul_lo_u32 v19, v5, s26
	v_mul_lo_u32 v22, v4, s27
	v_mad_u64_u32 v[16:17], s[0:1], v4, s26, 0
	v_add3_u32 v17, v17, v22, v19
	v_mul_lo_u32 v19, v15, s26
	v_mul_lo_u32 v24, v14, s27
	v_mad_u64_u32 v[22:23], s[0:1], v14, s26, 0
	s_add_u32 s10, s26, -1
	v_lshl_add_u64 v[16:17], v[16:17], 1, s[28:29]
	v_add3_u32 v23, v23, v24, v19
	s_addc_u32 s11, s27, -1
	v_lshl_add_u64 v[22:23], v[22:23], 1, s[28:29]
	s_mov_b64 s[12:13], 0
	s_mov_b64 s[14:15], s[10:11]
	v_mov_b64_e32 v[24:25], v[16:17]
                                        ; implicit-def: $sgpr6_sgpr7
.LBB1198_26:                            ; =>This Inner Loop Header: Depth=1
	global_load_ushort v19, v[22:23], off
	global_load_ushort v28, v[24:25], off
	s_add_u32 s0, s14, -1
	s_addc_u32 s1, s15, -1
	s_cmp_eq_u64 s[14:15], 0
	s_mov_b64 s[14:15], s[0:1]
	s_cselect_b64 s[38:39], -1, 0
	v_lshl_add_u64 v[24:25], v[24:25], 0, 2
	v_lshl_add_u64 v[22:23], v[22:23], 0, 2
	s_waitcnt vmcnt(1)
	v_lshlrev_b32_e32 v19, 16, v19
	s_waitcnt vmcnt(0)
	v_lshlrev_b32_e32 v28, 16, v28
	v_cmp_neq_f32_e64 s[0:1], v28, v19
	s_or_b64 s[0:1], s[0:1], s[38:39]
	s_and_b64 s[0:1], exec, s[0:1]
	v_cmp_eq_f32_e32 vcc, v28, v19
	s_or_b64 s[12:13], s[0:1], s[12:13]
	s_andn2_b64 s[0:1], s[6:7], exec
	s_and_b64 s[6:7], vcc, exec
	s_or_b64 s[6:7], s[0:1], s[6:7]
	s_andn2_b64 exec, exec, s[12:13]
	s_cbranch_execnz .LBB1198_26
; %bb.27:
	s_or_b64 exec, exec, s[12:13]
	v_mul_lo_u32 v19, v3, s26
	v_mul_lo_u32 v24, v2, s27
	v_mad_u64_u32 v[22:23], s[0:1], v2, s26, 0
	v_add3_u32 v23, v23, v24, v19
	v_lshl_add_u64 v[22:23], v[22:23], 1, s[28:29]
	s_mov_b64 s[14:15], 0
	s_mov_b64 s[38:39], s[10:11]
	v_mov_b64_e32 v[24:25], v[22:23]
                                        ; implicit-def: $sgpr12_sgpr13
.LBB1198_28:                            ; =>This Inner Loop Header: Depth=1
	global_load_ushort v19, v[16:17], off
	global_load_ushort v28, v[24:25], off
	s_add_u32 s0, s38, -1
	s_addc_u32 s1, s39, -1
	s_cmp_eq_u64 s[38:39], 0
	s_mov_b64 s[38:39], s[0:1]
	s_cselect_b64 s[40:41], -1, 0
	v_lshl_add_u64 v[24:25], v[24:25], 0, 2
	v_lshl_add_u64 v[16:17], v[16:17], 0, 2
	s_waitcnt vmcnt(1)
	v_lshlrev_b32_e32 v19, 16, v19
	s_waitcnt vmcnt(0)
	v_lshlrev_b32_e32 v28, 16, v28
	v_cmp_neq_f32_e64 s[0:1], v28, v19
	s_or_b64 s[0:1], s[0:1], s[40:41]
	s_and_b64 s[0:1], exec, s[0:1]
	v_cmp_eq_f32_e32 vcc, v28, v19
	s_or_b64 s[14:15], s[0:1], s[14:15]
	s_andn2_b64 s[0:1], s[12:13], exec
	s_and_b64 s[12:13], vcc, exec
	s_or_b64 s[12:13], s[0:1], s[12:13]
	s_andn2_b64 exec, exec, s[14:15]
	s_cbranch_execnz .LBB1198_28
; %bb.29:
	s_or_b64 exec, exec, s[14:15]
	v_mul_lo_u32 v19, v9, s26
	v_mul_lo_u32 v24, v8, s27
	v_mad_u64_u32 v[16:17], s[0:1], v8, s26, 0
	v_add3_u32 v17, v17, v24, v19
	v_lshl_add_u64 v[16:17], v[16:17], 1, s[28:29]
	s_mov_b64 s[38:39], 0
	s_mov_b64 s[40:41], s[10:11]
	v_mov_b64_e32 v[24:25], v[16:17]
                                        ; implicit-def: $sgpr14_sgpr15
.LBB1198_30:                            ; =>This Inner Loop Header: Depth=1
	global_load_ushort v19, v[22:23], off
	global_load_ushort v28, v[24:25], off
	s_add_u32 s0, s40, -1
	s_addc_u32 s1, s41, -1
	s_cmp_eq_u64 s[40:41], 0
	s_mov_b64 s[40:41], s[0:1]
	s_cselect_b64 s[42:43], -1, 0
	v_lshl_add_u64 v[24:25], v[24:25], 0, 2
	v_lshl_add_u64 v[22:23], v[22:23], 0, 2
	s_waitcnt vmcnt(1)
	v_lshlrev_b32_e32 v19, 16, v19
	s_waitcnt vmcnt(0)
	v_lshlrev_b32_e32 v28, 16, v28
	v_cmp_neq_f32_e64 s[0:1], v28, v19
	s_or_b64 s[0:1], s[0:1], s[42:43]
	s_and_b64 s[0:1], exec, s[0:1]
	v_cmp_eq_f32_e32 vcc, v28, v19
	s_or_b64 s[38:39], s[0:1], s[38:39]
	s_andn2_b64 s[0:1], s[14:15], exec
	s_and_b64 s[14:15], vcc, exec
	s_or_b64 s[14:15], s[0:1], s[14:15]
	s_andn2_b64 exec, exec, s[38:39]
	s_cbranch_execnz .LBB1198_30
; %bb.31:
	s_or_b64 exec, exec, s[38:39]
	v_mul_lo_u32 v19, v7, s26
	v_mul_lo_u32 v24, v6, s27
	v_mad_u64_u32 v[22:23], s[0:1], v6, s26, 0
	v_add3_u32 v23, v23, v24, v19
	v_lshl_add_u64 v[22:23], v[22:23], 1, s[28:29]
	s_mov_b64 s[40:41], 0
	s_mov_b64 s[42:43], s[10:11]
	v_mov_b64_e32 v[24:25], v[22:23]
                                        ; implicit-def: $sgpr38_sgpr39
.LBB1198_32:                            ; =>This Inner Loop Header: Depth=1
	global_load_ushort v19, v[16:17], off
	global_load_ushort v28, v[24:25], off
	s_add_u32 s0, s42, -1
	s_addc_u32 s1, s43, -1
	s_cmp_eq_u64 s[42:43], 0
	s_mov_b64 s[42:43], s[0:1]
	s_cselect_b64 s[44:45], -1, 0
	v_lshl_add_u64 v[24:25], v[24:25], 0, 2
	v_lshl_add_u64 v[16:17], v[16:17], 0, 2
	s_waitcnt vmcnt(1)
	v_lshlrev_b32_e32 v19, 16, v19
	s_waitcnt vmcnt(0)
	v_lshlrev_b32_e32 v28, 16, v28
	v_cmp_neq_f32_e64 s[0:1], v28, v19
	s_or_b64 s[0:1], s[0:1], s[44:45]
	s_and_b64 s[0:1], exec, s[0:1]
	v_cmp_eq_f32_e32 vcc, v28, v19
	s_or_b64 s[40:41], s[0:1], s[40:41]
	s_andn2_b64 s[0:1], s[38:39], exec
	s_and_b64 s[38:39], vcc, exec
	s_or_b64 s[38:39], s[0:1], s[38:39]
	s_andn2_b64 exec, exec, s[40:41]
	s_cbranch_execnz .LBB1198_32
; %bb.33:
	s_or_b64 exec, exec, s[40:41]
	v_mul_lo_u32 v19, v13, s26
	v_mul_lo_u32 v24, v12, s27
	v_mad_u64_u32 v[16:17], s[0:1], v12, s26, 0
	v_add3_u32 v17, v17, v24, v19
	v_lshl_add_u64 v[16:17], v[16:17], 1, s[28:29]
	s_mov_b64 s[42:43], 0
	s_mov_b64 s[44:45], s[10:11]
	v_mov_b64_e32 v[24:25], v[16:17]
                                        ; implicit-def: $sgpr40_sgpr41
.LBB1198_34:                            ; =>This Inner Loop Header: Depth=1
	global_load_ushort v19, v[22:23], off
	global_load_ushort v28, v[24:25], off
	s_add_u32 s0, s44, -1
	s_addc_u32 s1, s45, -1
	s_cmp_eq_u64 s[44:45], 0
	s_mov_b64 s[44:45], s[0:1]
	s_cselect_b64 s[46:47], -1, 0
	v_lshl_add_u64 v[24:25], v[24:25], 0, 2
	v_lshl_add_u64 v[22:23], v[22:23], 0, 2
	s_waitcnt vmcnt(1)
	v_lshlrev_b32_e32 v19, 16, v19
	s_waitcnt vmcnt(0)
	v_lshlrev_b32_e32 v28, 16, v28
	v_cmp_neq_f32_e64 s[0:1], v28, v19
	s_or_b64 s[0:1], s[0:1], s[46:47]
	s_and_b64 s[0:1], exec, s[0:1]
	v_cmp_eq_f32_e32 vcc, v28, v19
	s_or_b64 s[42:43], s[0:1], s[42:43]
	s_andn2_b64 s[0:1], s[40:41], exec
	s_and_b64 s[40:41], vcc, exec
	s_or_b64 s[40:41], s[0:1], s[40:41]
	s_andn2_b64 exec, exec, s[42:43]
	s_cbranch_execnz .LBB1198_34
; %bb.35:
	s_or_b64 exec, exec, s[42:43]
	v_mul_lo_u32 v19, v11, s26
	v_mul_lo_u32 v24, v10, s27
	v_mad_u64_u32 v[22:23], s[0:1], v10, s26, 0
	v_add3_u32 v23, v23, v24, v19
	v_lshl_add_u64 v[22:23], v[22:23], 1, s[28:29]
	s_mov_b64 s[44:45], 0
                                        ; implicit-def: $sgpr42_sgpr43
.LBB1198_36:                            ; =>This Inner Loop Header: Depth=1
	global_load_ushort v19, v[16:17], off
	global_load_ushort v24, v[22:23], off
	s_add_u32 s0, s10, -1
	s_addc_u32 s1, s11, -1
	s_cmp_eq_u64 s[10:11], 0
	s_mov_b64 s[10:11], s[0:1]
	s_cselect_b64 s[46:47], -1, 0
	v_lshl_add_u64 v[22:23], v[22:23], 0, 2
	v_lshl_add_u64 v[16:17], v[16:17], 0, 2
	s_waitcnt vmcnt(1)
	v_lshlrev_b32_e32 v19, 16, v19
	s_waitcnt vmcnt(0)
	v_lshlrev_b32_e32 v24, 16, v24
	v_cmp_neq_f32_e64 s[0:1], v24, v19
	s_or_b64 s[0:1], s[0:1], s[46:47]
	s_and_b64 s[0:1], exec, s[0:1]
	v_cmp_eq_f32_e32 vcc, v24, v19
	s_or_b64 s[44:45], s[0:1], s[44:45]
	s_andn2_b64 s[0:1], s[42:43], exec
	s_and_b64 s[42:43], vcc, exec
	s_or_b64 s[42:43], s[0:1], s[42:43]
	s_andn2_b64 exec, exec, s[44:45]
	s_cbranch_execnz .LBB1198_36
; %bb.37:
	s_or_b64 exec, exec, s[44:45]
	s_xor_b64 s[0:1], s[12:13], -1
	v_cndmask_b32_e64 v40, 0, 1, s[0:1]
	s_xor_b64 s[0:1], s[38:39], -1
	v_cndmask_b32_e64 v16, 0, 1, s[0:1]
	v_lshlrev_b16_e32 v16, 8, v16
	s_xor_b64 s[0:1], s[6:7], -1
	v_lshrrev_b32_e32 v16, 8, v16
	v_mov_b32_e32 v22, 1
	s_xor_b64 s[6:7], s[40:41], -1
	v_cndmask_b32_e64 v19, 0, 1, s[0:1]
	s_xor_b64 s[0:1], s[14:15], -1
	v_and_b32_sdwa v16, v16, v22 dst_sel:BYTE_1 dst_unused:UNUSED_PAD src0_sel:DWORD src1_sel:DWORD
	v_cndmask_b32_e64 v22, 0, 1, s[6:7]
	v_cndmask_b32_e64 v17, 0, 1, s[0:1]
	s_xor_b64 s[0:1], s[42:43], -1
	v_or_b32_sdwa v24, v22, v16 dst_sel:WORD_1 dst_unused:UNUSED_PAD src0_sel:DWORD src1_sel:DWORD
	s_branch .LBB1198_42
.LBB1198_38:
                                        ; implicit-def: $sgpr0_sgpr1
                                        ; implicit-def: $vgpr19
                                        ; implicit-def: $vgpr40
                                        ; implicit-def: $vgpr17
                                        ; implicit-def: $vgpr22
	s_branch .LBB1198_95
.LBB1198_39:
                                        ; implicit-def: $vgpr42
                                        ; implicit-def: $vgpr41
                                        ; implicit-def: $vgpr20
	s_branch .LBB1198_164
.LBB1198_40:
                                        ; implicit-def: $sgpr0_sgpr1
                                        ; implicit-def: $vgpr19
                                        ; implicit-def: $vgpr40
                                        ; implicit-def: $vgpr17
                                        ; implicit-def: $vgpr22
	s_cbranch_execnz .LBB1198_49
	s_branch .LBB1198_94
.LBB1198_41:
	v_mov_b32_e32 v24, 0
	v_mov_b32_e32 v19, 0
	;; [unrolled: 1-line block ×4, first 2 shown]
.LBB1198_42:
	s_waitcnt vmcnt(0)
	v_mov_b64_e32 v[22:23], v[20:21]
	s_waitcnt lgkmcnt(0)
	s_barrier
	s_and_saveexec_b64 s[6:7], s[2:3]
; %bb.43:
	v_add_u32_e32 v16, -8, v27
	ds_read_b64 v[22:23], v16
; %bb.44:
	s_or_b64 exec, exec, s[6:7]
	v_cndmask_b32_e64 v25, 0, 1, s[0:1]
	v_lshrrev_b32_e32 v16, 16, v24
	s_mov_b32 s0, 0xc0c0304
	v_perm_b32 v16, v16, v24, s0
	v_lshlrev_b16_e32 v25, 8, v25
	s_movk_i32 s0, 0xff
	v_bitop3_b16 v24, v24, v25, s0 bitop3:0xec
	v_and_b32_e32 v28, 0xffff, v24
	s_mov_b64 s[6:7], 0
	s_and_b64 vcc, exec, s[4:5]
	s_mov_b64 s[0:1], 0
	s_cbranch_vccnz .LBB1198_48
; %bb.45:
	s_waitcnt lgkmcnt(0)
	v_mul_lo_u32 v24, v23, s26
	v_mul_lo_u32 v25, v22, s27
	v_mad_u64_u32 v[22:23], s[0:1], v22, s26, 0
	v_add3_u32 v23, v23, v25, v24
	v_mul_lo_u32 v29, v11, s26
	v_mul_lo_u32 v30, v10, s27
	v_mad_u64_u32 v[24:25], s[0:1], v10, s26, 0
	v_add3_u32 v25, v25, v30, v29
	s_add_u32 s14, s26, -1
	v_lshl_add_u64 v[22:23], v[22:23], 1, s[28:29]
	v_lshl_add_u64 v[24:25], v[24:25], 1, s[28:29]
	s_addc_u32 s15, s27, -1
	s_mov_b64 s[10:11], 0
                                        ; implicit-def: $sgpr12_sgpr13
.LBB1198_46:                            ; =>This Inner Loop Header: Depth=1
	global_load_ushort v29, v[24:25], off
	global_load_ushort v30, v[22:23], off
	s_add_u32 s0, s14, -1
	s_addc_u32 s1, s15, -1
	s_cmp_eq_u64 s[14:15], 0
	s_mov_b64 s[14:15], s[0:1]
	s_cselect_b64 s[38:39], -1, 0
	v_lshl_add_u64 v[22:23], v[22:23], 0, 2
	v_lshl_add_u64 v[24:25], v[24:25], 0, 2
	s_waitcnt vmcnt(1)
	v_lshlrev_b32_e32 v29, 16, v29
	s_waitcnt vmcnt(0)
	v_lshlrev_b32_e32 v30, 16, v30
	v_cmp_neq_f32_e64 s[0:1], v30, v29
	s_or_b64 s[0:1], s[0:1], s[38:39]
	s_and_b64 s[0:1], exec, s[0:1]
	v_cmp_eq_f32_e32 vcc, v30, v29
	s_or_b64 s[10:11], s[0:1], s[10:11]
	s_andn2_b64 s[0:1], s[12:13], exec
	s_and_b64 s[12:13], vcc, exec
	s_or_b64 s[12:13], s[0:1], s[12:13]
	s_andn2_b64 exec, exec, s[10:11]
	s_cbranch_execnz .LBB1198_46
; %bb.47:
	s_or_b64 exec, exec, s[10:11]
	s_xor_b64 s[0:1], s[12:13], -1
.LBB1198_48:
	s_waitcnt lgkmcnt(0)
	v_lshl_or_b32 v22, v16, 16, v28
	s_and_b64 vcc, exec, s[6:7]
	s_cbranch_vccz .LBB1198_94
.LBB1198_49:
	v_add_u32_e32 v16, 6, v1
	v_cmp_gt_u32_e32 vcc, s50, v16
	s_mov_b64 s[10:11], 0
	s_mov_b64 s[6:7], 0
	s_and_saveexec_b64 s[12:13], vcc
	s_cbranch_execz .LBB1198_55
; %bb.50:
	s_and_b64 vcc, exec, s[4:5]
	s_mov_b64 s[0:1], 0
	s_cbranch_vccnz .LBB1198_54
; %bb.51:
	v_mul_lo_u32 v19, v5, s26
	v_mul_lo_u32 v22, v4, s27
	v_mad_u64_u32 v[16:17], s[0:1], v4, s26, 0
	v_add3_u32 v17, v17, v22, v19
	v_mul_lo_u32 v19, v15, s26
	v_mul_lo_u32 v24, v14, s27
	v_mad_u64_u32 v[22:23], s[0:1], v14, s26, 0
	v_add3_u32 v23, v23, v24, v19
	s_add_u32 s38, s26, -1
	v_lshl_add_u64 v[16:17], v[16:17], 1, s[28:29]
	v_lshl_add_u64 v[22:23], v[22:23], 1, s[28:29]
	s_addc_u32 s39, s27, -1
                                        ; implicit-def: $sgpr14_sgpr15
.LBB1198_52:                            ; =>This Inner Loop Header: Depth=1
	global_load_ushort v19, v[22:23], off
	global_load_ushort v24, v[16:17], off
	s_add_u32 s0, s38, -1
	s_addc_u32 s1, s39, -1
	s_cmp_eq_u64 s[38:39], 0
	s_mov_b64 s[38:39], s[0:1]
	s_cselect_b64 s[40:41], -1, 0
	v_lshl_add_u64 v[16:17], v[16:17], 0, 2
	v_lshl_add_u64 v[22:23], v[22:23], 0, 2
	s_waitcnt vmcnt(1)
	v_lshlrev_b32_e32 v19, 16, v19
	s_waitcnt vmcnt(0)
	v_lshlrev_b32_e32 v24, 16, v24
	v_cmp_neq_f32_e64 s[0:1], v24, v19
	s_or_b64 s[0:1], s[0:1], s[40:41]
	s_and_b64 s[0:1], exec, s[0:1]
	v_cmp_eq_f32_e32 vcc, v24, v19
	s_or_b64 s[6:7], s[0:1], s[6:7]
	s_andn2_b64 s[0:1], s[14:15], exec
	s_and_b64 s[14:15], vcc, exec
	s_or_b64 s[14:15], s[0:1], s[14:15]
	s_andn2_b64 exec, exec, s[6:7]
	s_cbranch_execnz .LBB1198_52
; %bb.53:
	s_or_b64 exec, exec, s[6:7]
	s_xor_b64 s[0:1], s[14:15], -1
.LBB1198_54:
	s_and_b64 s[6:7], s[0:1], exec
.LBB1198_55:
	s_or_b64 exec, exec, s[12:13]
	v_add_u32_e32 v16, 5, v1
	v_cmp_gt_u32_e32 vcc, s50, v16
	s_and_saveexec_b64 s[12:13], vcc
	s_cbranch_execz .LBB1198_61
; %bb.56:
	s_and_b64 vcc, exec, s[4:5]
	s_mov_b64 s[0:1], 0
	s_cbranch_vccnz .LBB1198_60
; %bb.57:
	v_mul_lo_u32 v19, v3, s26
	v_mul_lo_u32 v22, v2, s27
	v_mad_u64_u32 v[16:17], s[0:1], v2, s26, 0
	v_add3_u32 v17, v17, v22, v19
	v_mul_lo_u32 v19, v5, s26
	v_mul_lo_u32 v24, v4, s27
	v_mad_u64_u32 v[22:23], s[0:1], v4, s26, 0
	v_add3_u32 v23, v23, v24, v19
	s_add_u32 s38, s26, -1
	v_lshl_add_u64 v[16:17], v[16:17], 1, s[28:29]
	v_lshl_add_u64 v[22:23], v[22:23], 1, s[28:29]
	s_addc_u32 s39, s27, -1
	s_mov_b64 s[10:11], 0
                                        ; implicit-def: $sgpr14_sgpr15
.LBB1198_58:                            ; =>This Inner Loop Header: Depth=1
	global_load_ushort v19, v[22:23], off
	global_load_ushort v24, v[16:17], off
	s_add_u32 s0, s38, -1
	s_addc_u32 s1, s39, -1
	s_cmp_eq_u64 s[38:39], 0
	s_mov_b64 s[38:39], s[0:1]
	s_cselect_b64 s[40:41], -1, 0
	v_lshl_add_u64 v[16:17], v[16:17], 0, 2
	v_lshl_add_u64 v[22:23], v[22:23], 0, 2
	s_waitcnt vmcnt(1)
	v_lshlrev_b32_e32 v19, 16, v19
	s_waitcnt vmcnt(0)
	v_lshlrev_b32_e32 v24, 16, v24
	v_cmp_neq_f32_e64 s[0:1], v24, v19
	s_or_b64 s[0:1], s[0:1], s[40:41]
	s_and_b64 s[0:1], exec, s[0:1]
	v_cmp_eq_f32_e32 vcc, v24, v19
	s_or_b64 s[10:11], s[0:1], s[10:11]
	s_andn2_b64 s[0:1], s[14:15], exec
	s_and_b64 s[14:15], vcc, exec
	s_or_b64 s[14:15], s[0:1], s[14:15]
	s_andn2_b64 exec, exec, s[10:11]
	s_cbranch_execnz .LBB1198_58
; %bb.59:
	s_or_b64 exec, exec, s[10:11]
	s_xor_b64 s[0:1], s[14:15], -1
.LBB1198_60:
	s_and_b64 s[10:11], s[0:1], exec
.LBB1198_61:
	s_or_b64 exec, exec, s[12:13]
	v_add_u32_e32 v16, 4, v1
	v_cmp_gt_u32_e32 vcc, s50, v16
	s_mov_b64 s[14:15], 0
	s_mov_b64 s[12:13], 0
	s_and_saveexec_b64 s[38:39], vcc
	s_cbranch_execz .LBB1198_67
; %bb.62:
	s_and_b64 vcc, exec, s[4:5]
	s_mov_b64 s[0:1], 0
	s_cbranch_vccnz .LBB1198_66
; %bb.63:
	v_mul_lo_u32 v19, v9, s26
	v_mul_lo_u32 v22, v8, s27
	v_mad_u64_u32 v[16:17], s[0:1], v8, s26, 0
	v_add3_u32 v17, v17, v22, v19
	v_mul_lo_u32 v19, v3, s26
	v_mul_lo_u32 v24, v2, s27
	v_mad_u64_u32 v[22:23], s[0:1], v2, s26, 0
	v_add3_u32 v23, v23, v24, v19
	s_add_u32 s42, s26, -1
	v_lshl_add_u64 v[16:17], v[16:17], 1, s[28:29]
	v_lshl_add_u64 v[22:23], v[22:23], 1, s[28:29]
	s_addc_u32 s43, s27, -1
                                        ; implicit-def: $sgpr40_sgpr41
.LBB1198_64:                            ; =>This Inner Loop Header: Depth=1
	global_load_ushort v19, v[22:23], off
	global_load_ushort v24, v[16:17], off
	s_add_u32 s0, s42, -1
	s_addc_u32 s1, s43, -1
	s_cmp_eq_u64 s[42:43], 0
	s_mov_b64 s[42:43], s[0:1]
	s_cselect_b64 s[44:45], -1, 0
	v_lshl_add_u64 v[16:17], v[16:17], 0, 2
	v_lshl_add_u64 v[22:23], v[22:23], 0, 2
	s_waitcnt vmcnt(1)
	v_lshlrev_b32_e32 v19, 16, v19
	s_waitcnt vmcnt(0)
	v_lshlrev_b32_e32 v24, 16, v24
	v_cmp_neq_f32_e64 s[0:1], v24, v19
	s_or_b64 s[0:1], s[0:1], s[44:45]
	s_and_b64 s[0:1], exec, s[0:1]
	v_cmp_eq_f32_e32 vcc, v24, v19
	s_or_b64 s[12:13], s[0:1], s[12:13]
	s_andn2_b64 s[0:1], s[40:41], exec
	s_and_b64 s[40:41], vcc, exec
	s_or_b64 s[40:41], s[0:1], s[40:41]
	s_andn2_b64 exec, exec, s[12:13]
	s_cbranch_execnz .LBB1198_64
; %bb.65:
	s_or_b64 exec, exec, s[12:13]
	s_xor_b64 s[0:1], s[40:41], -1
.LBB1198_66:
	s_and_b64 s[12:13], s[0:1], exec
.LBB1198_67:
	s_or_b64 exec, exec, s[38:39]
	v_add_u32_e32 v16, 3, v1
	v_cmp_gt_u32_e32 vcc, s50, v16
	s_and_saveexec_b64 s[38:39], vcc
	s_cbranch_execz .LBB1198_73
; %bb.68:
	s_and_b64 vcc, exec, s[4:5]
	s_mov_b64 s[0:1], 0
	s_cbranch_vccnz .LBB1198_72
; %bb.69:
	v_mul_lo_u32 v19, v7, s26
	v_mul_lo_u32 v22, v6, s27
	v_mad_u64_u32 v[16:17], s[0:1], v6, s26, 0
	v_add3_u32 v17, v17, v22, v19
	v_mul_lo_u32 v19, v9, s26
	v_mul_lo_u32 v24, v8, s27
	v_mad_u64_u32 v[22:23], s[0:1], v8, s26, 0
	v_add3_u32 v23, v23, v24, v19
	s_add_u32 s42, s26, -1
	v_lshl_add_u64 v[16:17], v[16:17], 1, s[28:29]
	v_lshl_add_u64 v[22:23], v[22:23], 1, s[28:29]
	s_addc_u32 s43, s27, -1
	s_mov_b64 s[14:15], 0
                                        ; implicit-def: $sgpr40_sgpr41
.LBB1198_70:                            ; =>This Inner Loop Header: Depth=1
	global_load_ushort v19, v[22:23], off
	global_load_ushort v24, v[16:17], off
	s_add_u32 s0, s42, -1
	s_addc_u32 s1, s43, -1
	s_cmp_eq_u64 s[42:43], 0
	s_mov_b64 s[42:43], s[0:1]
	s_cselect_b64 s[44:45], -1, 0
	v_lshl_add_u64 v[16:17], v[16:17], 0, 2
	v_lshl_add_u64 v[22:23], v[22:23], 0, 2
	s_waitcnt vmcnt(1)
	v_lshlrev_b32_e32 v19, 16, v19
	s_waitcnt vmcnt(0)
	v_lshlrev_b32_e32 v24, 16, v24
	v_cmp_neq_f32_e64 s[0:1], v24, v19
	s_or_b64 s[0:1], s[0:1], s[44:45]
	s_and_b64 s[0:1], exec, s[0:1]
	v_cmp_eq_f32_e32 vcc, v24, v19
	s_or_b64 s[14:15], s[0:1], s[14:15]
	s_andn2_b64 s[0:1], s[40:41], exec
	s_and_b64 s[40:41], vcc, exec
	s_or_b64 s[40:41], s[0:1], s[40:41]
	s_andn2_b64 exec, exec, s[14:15]
	s_cbranch_execnz .LBB1198_70
; %bb.71:
	s_or_b64 exec, exec, s[14:15]
	s_xor_b64 s[0:1], s[40:41], -1
.LBB1198_72:
	s_and_b64 s[14:15], s[0:1], exec
.LBB1198_73:
	s_or_b64 exec, exec, s[38:39]
	v_add_u32_e32 v16, 2, v1
	v_cmp_gt_u32_e32 vcc, s50, v16
	s_mov_b64 s[38:39], 0
	s_mov_b64 s[40:41], 0
	s_and_saveexec_b64 s[42:43], vcc
	s_cbranch_execz .LBB1198_79
; %bb.74:
	s_and_b64 vcc, exec, s[4:5]
	s_mov_b64 s[0:1], 0
	s_cbranch_vccnz .LBB1198_78
; %bb.75:
	v_mul_lo_u32 v19, v13, s26
	v_mul_lo_u32 v22, v12, s27
	v_mad_u64_u32 v[16:17], s[0:1], v12, s26, 0
	v_add3_u32 v17, v17, v22, v19
	v_mul_lo_u32 v19, v7, s26
	v_mul_lo_u32 v24, v6, s27
	v_mad_u64_u32 v[22:23], s[0:1], v6, s26, 0
	v_add3_u32 v23, v23, v24, v19
	s_add_u32 s46, s26, -1
	v_lshl_add_u64 v[16:17], v[16:17], 1, s[28:29]
	v_lshl_add_u64 v[22:23], v[22:23], 1, s[28:29]
	s_addc_u32 s47, s27, -1
                                        ; implicit-def: $sgpr44_sgpr45
.LBB1198_76:                            ; =>This Inner Loop Header: Depth=1
	global_load_ushort v19, v[22:23], off
	global_load_ushort v24, v[16:17], off
	s_add_u32 s0, s46, -1
	s_addc_u32 s1, s47, -1
	s_cmp_eq_u64 s[46:47], 0
	s_mov_b64 s[46:47], s[0:1]
	s_cselect_b64 s[48:49], -1, 0
	v_lshl_add_u64 v[16:17], v[16:17], 0, 2
	v_lshl_add_u64 v[22:23], v[22:23], 0, 2
	s_waitcnt vmcnt(1)
	v_lshlrev_b32_e32 v19, 16, v19
	s_waitcnt vmcnt(0)
	v_lshlrev_b32_e32 v24, 16, v24
	v_cmp_neq_f32_e64 s[0:1], v24, v19
	s_or_b64 s[0:1], s[0:1], s[48:49]
	s_and_b64 s[0:1], exec, s[0:1]
	v_cmp_eq_f32_e32 vcc, v24, v19
	s_or_b64 s[40:41], s[0:1], s[40:41]
	s_andn2_b64 s[0:1], s[44:45], exec
	s_and_b64 s[44:45], vcc, exec
	s_or_b64 s[44:45], s[0:1], s[44:45]
	s_andn2_b64 exec, exec, s[40:41]
	s_cbranch_execnz .LBB1198_76
; %bb.77:
	s_or_b64 exec, exec, s[40:41]
	s_xor_b64 s[0:1], s[44:45], -1
.LBB1198_78:
	s_and_b64 s[40:41], s[0:1], exec
.LBB1198_79:
	s_or_b64 exec, exec, s[42:43]
	v_add_u32_e32 v16, 1, v1
	v_cmp_gt_u32_e32 vcc, s50, v16
	s_and_saveexec_b64 s[42:43], vcc
	s_cbranch_execz .LBB1198_85
; %bb.80:
	s_and_b64 vcc, exec, s[4:5]
	s_mov_b64 s[0:1], 0
	s_cbranch_vccnz .LBB1198_84
; %bb.81:
	v_mul_lo_u32 v19, v11, s26
	v_mul_lo_u32 v22, v10, s27
	v_mad_u64_u32 v[16:17], s[0:1], v10, s26, 0
	v_add3_u32 v17, v17, v22, v19
	v_mul_lo_u32 v19, v13, s26
	v_mul_lo_u32 v24, v12, s27
	v_mad_u64_u32 v[22:23], s[0:1], v12, s26, 0
	v_add3_u32 v23, v23, v24, v19
	s_add_u32 s46, s26, -1
	v_lshl_add_u64 v[16:17], v[16:17], 1, s[28:29]
	v_lshl_add_u64 v[22:23], v[22:23], 1, s[28:29]
	s_addc_u32 s47, s27, -1
	s_mov_b64 s[38:39], 0
                                        ; implicit-def: $sgpr44_sgpr45
.LBB1198_82:                            ; =>This Inner Loop Header: Depth=1
	global_load_ushort v19, v[22:23], off
	global_load_ushort v24, v[16:17], off
	s_add_u32 s0, s46, -1
	s_addc_u32 s1, s47, -1
	s_cmp_eq_u64 s[46:47], 0
	s_mov_b64 s[46:47], s[0:1]
	s_cselect_b64 s[48:49], -1, 0
	v_lshl_add_u64 v[16:17], v[16:17], 0, 2
	v_lshl_add_u64 v[22:23], v[22:23], 0, 2
	s_waitcnt vmcnt(1)
	v_lshlrev_b32_e32 v19, 16, v19
	s_waitcnt vmcnt(0)
	v_lshlrev_b32_e32 v24, 16, v24
	v_cmp_neq_f32_e64 s[0:1], v24, v19
	s_or_b64 s[0:1], s[0:1], s[48:49]
	s_and_b64 s[0:1], exec, s[0:1]
	v_cmp_eq_f32_e32 vcc, v24, v19
	s_or_b64 s[38:39], s[0:1], s[38:39]
	s_andn2_b64 s[0:1], s[44:45], exec
	s_and_b64 s[44:45], vcc, exec
	s_or_b64 s[44:45], s[0:1], s[44:45]
	s_andn2_b64 exec, exec, s[38:39]
	s_cbranch_execnz .LBB1198_82
; %bb.83:
	s_or_b64 exec, exec, s[38:39]
	s_xor_b64 s[0:1], s[44:45], -1
.LBB1198_84:
	s_and_b64 s[38:39], s[0:1], exec
.LBB1198_85:
	s_or_b64 exec, exec, s[42:43]
	s_waitcnt lgkmcnt(0)
	s_barrier
	s_and_saveexec_b64 s[0:1], s[2:3]
	s_cbranch_execz .LBB1198_87
; %bb.86:
	v_add_u32_e32 v16, -8, v27
	s_waitcnt vmcnt(0)
	ds_read_b64 v[20:21], v16
.LBB1198_87:
	s_or_b64 exec, exec, s[0:1]
	v_cndmask_b32_e64 v17, 0, 1, s[14:15]
	v_cndmask_b32_e64 v16, 0, 1, s[40:41]
	;; [unrolled: 1-line block ×3, first 2 shown]
	v_lshlrev_b16_e32 v17, 8, v17
	v_cmp_gt_u32_e32 vcc, s50, v1
	v_lshlrev_b16_e32 v22, 8, v19
	v_or_b32_sdwa v23, v16, v17 dst_sel:WORD_1 dst_unused:UNUSED_PAD src0_sel:DWORD src1_sel:DWORD
	s_mov_b64 s[0:1], 0
	s_and_saveexec_b64 s[14:15], vcc
	s_cbranch_execz .LBB1198_93
; %bb.88:
	s_and_b64 vcc, exec, s[4:5]
	s_cbranch_vccnz .LBB1198_92
; %bb.89:
	s_waitcnt vmcnt(0) lgkmcnt(0)
	v_mul_lo_u32 v19, v21, s26
	v_mul_lo_u32 v21, v20, s27
	v_mad_u64_u32 v[16:17], s[0:1], v20, s26, 0
	v_add3_u32 v17, v17, v21, v19
	v_mul_lo_u32 v19, v11, s26
	v_mul_lo_u32 v24, v10, s27
	v_mad_u64_u32 v[20:21], s[0:1], v10, s26, 0
	v_add3_u32 v21, v21, v24, v19
	s_add_u32 s40, s26, -1
	v_lshl_add_u64 v[16:17], v[16:17], 1, s[28:29]
	v_lshl_add_u64 v[20:21], v[20:21], 1, s[28:29]
	s_addc_u32 s41, s27, -1
	s_mov_b64 s[4:5], 0
                                        ; implicit-def: $sgpr38_sgpr39
.LBB1198_90:                            ; =>This Inner Loop Header: Depth=1
	global_load_ushort v19, v[20:21], off
	global_load_ushort v24, v[16:17], off
	s_add_u32 s0, s40, -1
	s_addc_u32 s1, s41, -1
	s_cmp_eq_u64 s[40:41], 0
	s_mov_b64 s[40:41], s[0:1]
	s_cselect_b64 s[42:43], -1, 0
	v_lshl_add_u64 v[16:17], v[16:17], 0, 2
	v_lshl_add_u64 v[20:21], v[20:21], 0, 2
	s_waitcnt vmcnt(1)
	v_lshlrev_b32_e32 v19, 16, v19
	s_waitcnt vmcnt(0)
	v_lshlrev_b32_e32 v24, 16, v24
	v_cmp_neq_f32_e64 s[0:1], v24, v19
	s_or_b64 s[0:1], s[0:1], s[42:43]
	s_and_b64 s[0:1], exec, s[0:1]
	v_cmp_eq_f32_e32 vcc, v24, v19
	s_or_b64 s[4:5], s[0:1], s[4:5]
	s_andn2_b64 s[0:1], s[38:39], exec
	s_and_b64 s[38:39], vcc, exec
	s_or_b64 s[38:39], s[0:1], s[38:39]
	s_andn2_b64 exec, exec, s[4:5]
	s_cbranch_execnz .LBB1198_90
; %bb.91:
	s_or_b64 exec, exec, s[4:5]
	s_xor_b64 s[0:1], s[38:39], -1
.LBB1198_92:
	s_and_b64 s[0:1], s[0:1], exec
.LBB1198_93:
	s_or_b64 exec, exec, s[14:15]
	v_cndmask_b32_e64 v17, 0, 1, s[12:13]
	v_cndmask_b32_e64 v40, 0, 1, s[10:11]
	;; [unrolled: 1-line block ×3, first 2 shown]
	v_or_b32_e32 v22, v22, v23
.LBB1198_94:
	s_mov_b64 s[10:11], -1
	s_cbranch_execnz .LBB1198_39
.LBB1198_95:
	s_movk_i32 s0, 0xffd0
	v_mad_i32_i24 v26, v0, s0, v26
	s_mov_b64 s[0:1], 0
	v_cmp_gt_i64_e64 s[6:7], s[26:27], 0
	s_and_b64 vcc, exec, s[36:37]
	ds_write_b64 v26, v[14:15]
	s_cbranch_vccz .LBB1198_110
; %bb.96:
	v_cndmask_b32_e64 v16, 0, 1, s[6:7]
	v_cmp_ne_u32_e64 s[4:5], 1, v16
	s_andn2_b64 vcc, exec, s[6:7]
	s_cbranch_vccnz .LBB1198_111
; %bb.97:
	v_mul_lo_u32 v19, v5, s26
	s_waitcnt vmcnt(0) lgkmcnt(1)
	v_mul_lo_u32 v20, v4, s27
	v_mad_u64_u32 v[16:17], s[0:1], v4, s26, 0
	v_add3_u32 v17, v17, v20, v19
	v_mul_lo_u32 v19, v15, s26
	v_mul_lo_u32 v22, v14, s27
	v_mad_u64_u32 v[20:21], s[0:1], v14, s26, 0
	s_add_u32 s14, s26, -1
	v_lshl_add_u64 v[16:17], v[16:17], 1, s[28:29]
	v_add3_u32 v21, v21, v22, v19
	s_addc_u32 s15, s27, -1
	v_lshl_add_u64 v[20:21], v[20:21], 1, s[28:29]
	s_mov_b64 s[38:39], 0
	s_mov_b64 s[40:41], s[14:15]
	v_mov_b64_e32 v[22:23], v[16:17]
                                        ; implicit-def: $sgpr12_sgpr13
.LBB1198_98:                            ; =>This Inner Loop Header: Depth=1
	global_load_ushort v19, v[20:21], off
	global_load_ushort v24, v[22:23], off
	s_add_u32 s0, s40, -1
	s_addc_u32 s1, s41, -1
	s_cmp_eq_u64 s[40:41], 0
	s_mov_b64 s[40:41], s[0:1]
	s_cselect_b64 s[42:43], -1, 0
	v_lshl_add_u64 v[22:23], v[22:23], 0, 2
	v_lshl_add_u64 v[20:21], v[20:21], 0, 2
	s_waitcnt vmcnt(1)
	v_lshlrev_b32_e32 v19, 16, v19
	s_waitcnt vmcnt(0)
	v_lshlrev_b32_e32 v24, 16, v24
	v_cmp_neq_f32_e64 s[0:1], v24, v19
	s_or_b64 s[0:1], s[0:1], s[42:43]
	s_and_b64 s[0:1], exec, s[0:1]
	v_cmp_eq_f32_e32 vcc, v24, v19
	s_or_b64 s[38:39], s[0:1], s[38:39]
	s_andn2_b64 s[0:1], s[12:13], exec
	s_and_b64 s[12:13], vcc, exec
	s_or_b64 s[12:13], s[0:1], s[12:13]
	s_andn2_b64 exec, exec, s[38:39]
	s_cbranch_execnz .LBB1198_98
; %bb.99:
	s_or_b64 exec, exec, s[38:39]
	v_mul_lo_u32 v19, v3, s26
	v_mul_lo_u32 v22, v2, s27
	v_mad_u64_u32 v[20:21], s[0:1], v2, s26, 0
	v_add3_u32 v21, v21, v22, v19
	v_lshl_add_u64 v[20:21], v[20:21], 1, s[28:29]
	s_mov_b64 s[40:41], 0
	s_mov_b64 s[42:43], s[14:15]
	v_mov_b64_e32 v[22:23], v[20:21]
                                        ; implicit-def: $sgpr38_sgpr39
.LBB1198_100:                           ; =>This Inner Loop Header: Depth=1
	global_load_ushort v19, v[16:17], off
	global_load_ushort v24, v[22:23], off
	s_add_u32 s0, s42, -1
	s_addc_u32 s1, s43, -1
	s_cmp_eq_u64 s[42:43], 0
	s_mov_b64 s[42:43], s[0:1]
	s_cselect_b64 s[44:45], -1, 0
	v_lshl_add_u64 v[22:23], v[22:23], 0, 2
	v_lshl_add_u64 v[16:17], v[16:17], 0, 2
	s_waitcnt vmcnt(1)
	v_lshlrev_b32_e32 v19, 16, v19
	s_waitcnt vmcnt(0)
	v_lshlrev_b32_e32 v24, 16, v24
	v_cmp_neq_f32_e64 s[0:1], v24, v19
	s_or_b64 s[0:1], s[0:1], s[44:45]
	s_and_b64 s[0:1], exec, s[0:1]
	v_cmp_eq_f32_e32 vcc, v24, v19
	s_or_b64 s[40:41], s[0:1], s[40:41]
	s_andn2_b64 s[0:1], s[38:39], exec
	s_and_b64 s[38:39], vcc, exec
	s_or_b64 s[38:39], s[0:1], s[38:39]
	s_andn2_b64 exec, exec, s[40:41]
	s_cbranch_execnz .LBB1198_100
; %bb.101:
	s_or_b64 exec, exec, s[40:41]
	v_mul_lo_u32 v19, v9, s26
	v_mul_lo_u32 v22, v8, s27
	v_mad_u64_u32 v[16:17], s[0:1], v8, s26, 0
	v_add3_u32 v17, v17, v22, v19
	v_lshl_add_u64 v[16:17], v[16:17], 1, s[28:29]
	s_mov_b64 s[42:43], 0
	s_mov_b64 s[44:45], s[14:15]
	v_mov_b64_e32 v[22:23], v[16:17]
                                        ; implicit-def: $sgpr40_sgpr41
.LBB1198_102:                           ; =>This Inner Loop Header: Depth=1
	global_load_ushort v19, v[20:21], off
	global_load_ushort v24, v[22:23], off
	s_add_u32 s0, s44, -1
	s_addc_u32 s1, s45, -1
	s_cmp_eq_u64 s[44:45], 0
	s_mov_b64 s[44:45], s[0:1]
	s_cselect_b64 s[46:47], -1, 0
	v_lshl_add_u64 v[22:23], v[22:23], 0, 2
	v_lshl_add_u64 v[20:21], v[20:21], 0, 2
	s_waitcnt vmcnt(1)
	v_lshlrev_b32_e32 v19, 16, v19
	s_waitcnt vmcnt(0)
	v_lshlrev_b32_e32 v24, 16, v24
	v_cmp_neq_f32_e64 s[0:1], v24, v19
	s_or_b64 s[0:1], s[0:1], s[46:47]
	s_and_b64 s[0:1], exec, s[0:1]
	v_cmp_eq_f32_e32 vcc, v24, v19
	s_or_b64 s[42:43], s[0:1], s[42:43]
	s_andn2_b64 s[0:1], s[40:41], exec
	s_and_b64 s[40:41], vcc, exec
	s_or_b64 s[40:41], s[0:1], s[40:41]
	s_andn2_b64 exec, exec, s[42:43]
	s_cbranch_execnz .LBB1198_102
; %bb.103:
	s_or_b64 exec, exec, s[42:43]
	v_mul_lo_u32 v19, v7, s26
	v_mul_lo_u32 v22, v6, s27
	v_mad_u64_u32 v[20:21], s[0:1], v6, s26, 0
	v_add3_u32 v21, v21, v22, v19
	v_lshl_add_u64 v[20:21], v[20:21], 1, s[28:29]
	s_mov_b64 s[44:45], 0
	s_mov_b64 s[46:47], s[14:15]
	v_mov_b64_e32 v[22:23], v[20:21]
                                        ; implicit-def: $sgpr42_sgpr43
.LBB1198_104:                           ; =>This Inner Loop Header: Depth=1
	global_load_ushort v19, v[16:17], off
	global_load_ushort v24, v[22:23], off
	s_add_u32 s0, s46, -1
	s_addc_u32 s1, s47, -1
	s_cmp_eq_u64 s[46:47], 0
	s_mov_b64 s[46:47], s[0:1]
	s_cselect_b64 s[48:49], -1, 0
	v_lshl_add_u64 v[22:23], v[22:23], 0, 2
	v_lshl_add_u64 v[16:17], v[16:17], 0, 2
	s_waitcnt vmcnt(1)
	v_lshlrev_b32_e32 v19, 16, v19
	s_waitcnt vmcnt(0)
	v_lshlrev_b32_e32 v24, 16, v24
	v_cmp_neq_f32_e64 s[0:1], v24, v19
	s_or_b64 s[0:1], s[0:1], s[48:49]
	s_and_b64 s[0:1], exec, s[0:1]
	v_cmp_eq_f32_e32 vcc, v24, v19
	s_or_b64 s[44:45], s[0:1], s[44:45]
	s_andn2_b64 s[0:1], s[42:43], exec
	s_and_b64 s[42:43], vcc, exec
	s_or_b64 s[42:43], s[0:1], s[42:43]
	s_andn2_b64 exec, exec, s[44:45]
	s_cbranch_execnz .LBB1198_104
; %bb.105:
	s_or_b64 exec, exec, s[44:45]
	v_mul_lo_u32 v19, v13, s26
	v_mul_lo_u32 v22, v12, s27
	v_mad_u64_u32 v[16:17], s[0:1], v12, s26, 0
	v_add3_u32 v17, v17, v22, v19
	v_lshl_add_u64 v[16:17], v[16:17], 1, s[28:29]
	s_mov_b64 s[46:47], 0
	s_mov_b64 s[48:49], s[14:15]
	v_mov_b64_e32 v[22:23], v[16:17]
                                        ; implicit-def: $sgpr44_sgpr45
.LBB1198_106:                           ; =>This Inner Loop Header: Depth=1
	global_load_ushort v19, v[20:21], off
	global_load_ushort v24, v[22:23], off
	s_add_u32 s0, s48, -1
	s_addc_u32 s1, s49, -1
	s_cmp_eq_u64 s[48:49], 0
	s_mov_b64 s[48:49], s[0:1]
	s_cselect_b64 s[52:53], -1, 0
	v_lshl_add_u64 v[22:23], v[22:23], 0, 2
	v_lshl_add_u64 v[20:21], v[20:21], 0, 2
	s_waitcnt vmcnt(1)
	v_lshlrev_b32_e32 v19, 16, v19
	s_waitcnt vmcnt(0)
	v_lshlrev_b32_e32 v24, 16, v24
	v_cmp_neq_f32_e64 s[0:1], v24, v19
	s_or_b64 s[0:1], s[0:1], s[52:53]
	s_and_b64 s[0:1], exec, s[0:1]
	v_cmp_eq_f32_e32 vcc, v24, v19
	s_or_b64 s[46:47], s[0:1], s[46:47]
	s_andn2_b64 s[0:1], s[44:45], exec
	s_and_b64 s[44:45], vcc, exec
	s_or_b64 s[44:45], s[0:1], s[44:45]
	s_andn2_b64 exec, exec, s[46:47]
	s_cbranch_execnz .LBB1198_106
; %bb.107:
	s_or_b64 exec, exec, s[46:47]
	v_mul_lo_u32 v19, v11, s26
	v_mul_lo_u32 v22, v10, s27
	v_mad_u64_u32 v[20:21], s[0:1], v10, s26, 0
	v_add3_u32 v21, v21, v22, v19
	v_lshl_add_u64 v[20:21], v[20:21], 1, s[28:29]
	s_mov_b64 s[48:49], 0
                                        ; implicit-def: $sgpr46_sgpr47
.LBB1198_108:                           ; =>This Inner Loop Header: Depth=1
	global_load_ushort v19, v[16:17], off
	global_load_ushort v22, v[20:21], off
	s_add_u32 s0, s14, -1
	s_addc_u32 s1, s15, -1
	s_cmp_eq_u64 s[14:15], 0
	s_mov_b64 s[14:15], s[0:1]
	s_cselect_b64 s[52:53], -1, 0
	v_lshl_add_u64 v[20:21], v[20:21], 0, 2
	v_lshl_add_u64 v[16:17], v[16:17], 0, 2
	s_waitcnt vmcnt(1)
	v_lshlrev_b32_e32 v19, 16, v19
	s_waitcnt vmcnt(0)
	v_lshlrev_b32_e32 v22, 16, v22
	v_cmp_neq_f32_e64 s[0:1], v22, v19
	s_or_b64 s[0:1], s[0:1], s[52:53]
	s_and_b64 s[0:1], exec, s[0:1]
	v_cmp_eq_f32_e32 vcc, v22, v19
	s_or_b64 s[48:49], s[0:1], s[48:49]
	s_andn2_b64 s[0:1], s[46:47], exec
	s_and_b64 s[46:47], vcc, exec
	s_or_b64 s[46:47], s[0:1], s[46:47]
	s_andn2_b64 exec, exec, s[48:49]
	s_cbranch_execnz .LBB1198_108
; %bb.109:
	s_or_b64 exec, exec, s[48:49]
	s_xor_b64 s[0:1], s[38:39], -1
	v_cndmask_b32_e64 v40, 0, 1, s[0:1]
	s_xor_b64 s[0:1], s[42:43], -1
	v_cndmask_b32_e64 v16, 0, 1, s[0:1]
	v_lshlrev_b16_e32 v16, 8, v16
	s_xor_b64 s[0:1], s[12:13], -1
	v_lshrrev_b32_e32 v16, 8, v16
	v_mov_b32_e32 v20, 1
	s_xor_b64 s[12:13], s[44:45], -1
	v_cndmask_b32_e64 v19, 0, 1, s[0:1]
	s_xor_b64 s[0:1], s[40:41], -1
	v_and_b32_sdwa v16, v16, v20 dst_sel:BYTE_1 dst_unused:UNUSED_PAD src0_sel:DWORD src1_sel:DWORD
	v_cndmask_b32_e64 v20, 0, 1, s[12:13]
	v_cndmask_b32_e64 v17, 0, 1, s[0:1]
	s_xor_b64 s[0:1], s[46:47], -1
	v_or_b32_sdwa v16, v20, v16 dst_sel:WORD_1 dst_unused:UNUSED_PAD src0_sel:DWORD src1_sel:DWORD
	s_branch .LBB1198_112
.LBB1198_110:
                                        ; implicit-def: $sgpr0_sgpr1
                                        ; implicit-def: $vgpr19
                                        ; implicit-def: $vgpr40
                                        ; implicit-def: $vgpr17
                                        ; implicit-def: $vgpr22
                                        ; implicit-def: $vgpr42
                                        ; implicit-def: $vgpr41
                                        ; implicit-def: $vgpr20
	s_cbranch_execnz .LBB1198_119
	s_branch .LBB1198_164
.LBB1198_111:
	v_mov_b32_e32 v16, 0
	v_mov_b32_e32 v19, 0
	;; [unrolled: 1-line block ×4, first 2 shown]
.LBB1198_112:
	v_lshrrev_b32_e32 v41, 16, v16
	s_waitcnt vmcnt(0) lgkmcnt(1)
	v_lshrrev_b32_e32 v20, 24, v16
	v_cndmask_b32_e64 v42, 0, 1, s[0:1]
	v_mov_b32_e32 v16, 1
	s_waitcnt lgkmcnt(0)
	s_barrier
                                        ; implicit-def: $sgpr0_sgpr1
                                        ; implicit-def: $vgpr22
	s_and_saveexec_b64 s[12:13], s[2:3]
	s_xor_b64 s[12:13], exec, s[12:13]
	s_cbranch_execz .LBB1198_118
; %bb.113:
	v_lshlrev_b16_e32 v21, 8, v20
	s_movk_i32 s0, 0xff
	v_bitop3_b16 v21, v41, v21, s0 bitop3:0xec
	v_lshlrev_b16_e32 v22, 8, v42
	v_lshlrev_b32_e32 v21, 16, v21
	v_or_b32_e32 v22, 1, v22
	v_or_b32_sdwa v21, v22, v21 dst_sel:DWORD dst_unused:UNUSED_PAD src0_sel:WORD_0 src1_sel:DWORD
	s_mov_b32 s40, 0x3020104
	s_and_b64 vcc, exec, s[4:5]
	s_mov_b64 s[0:1], 0
	s_cbranch_vccnz .LBB1198_117
; %bb.114:
	v_add_u32_e32 v22, -8, v26
	ds_read_b64 v[22:23], v22
	v_mul_lo_u32 v27, v11, s26
	v_mul_lo_u32 v28, v10, s27
	s_add_u32 s38, s26, -1
	s_addc_u32 s39, s27, -1
	s_waitcnt lgkmcnt(0)
	v_mul_lo_u32 v24, v23, s26
	v_mul_lo_u32 v25, v22, s27
	v_mad_u64_u32 v[22:23], s[0:1], v22, s26, 0
	v_add3_u32 v23, v23, v25, v24
	v_mad_u64_u32 v[24:25], s[0:1], v10, s26, 0
	v_add3_u32 v25, v25, v28, v27
	v_lshl_add_u64 v[22:23], v[22:23], 1, s[28:29]
	v_lshl_add_u64 v[24:25], v[24:25], 1, s[28:29]
	s_mov_b64 s[4:5], 0
                                        ; implicit-def: $sgpr14_sgpr15
.LBB1198_115:                           ; =>This Inner Loop Header: Depth=1
	global_load_ushort v27, v[24:25], off
	global_load_ushort v28, v[22:23], off
	s_add_u32 s0, s38, -1
	s_addc_u32 s1, s39, -1
	s_cmp_eq_u64 s[38:39], 0
	s_mov_b64 s[38:39], s[0:1]
	s_cselect_b64 s[42:43], -1, 0
	v_lshl_add_u64 v[22:23], v[22:23], 0, 2
	v_lshl_add_u64 v[24:25], v[24:25], 0, 2
	s_waitcnt vmcnt(1)
	v_lshlrev_b32_e32 v27, 16, v27
	s_waitcnt vmcnt(0)
	v_lshlrev_b32_e32 v28, 16, v28
	v_cmp_neq_f32_e64 s[0:1], v28, v27
	s_or_b64 s[0:1], s[0:1], s[42:43]
	s_and_b64 s[0:1], exec, s[0:1]
	v_cmp_eq_f32_e32 vcc, v28, v27
	s_or_b64 s[4:5], s[0:1], s[4:5]
	s_andn2_b64 s[0:1], s[14:15], exec
	s_and_b64 s[14:15], vcc, exec
	s_or_b64 s[14:15], s[0:1], s[14:15]
	s_andn2_b64 exec, exec, s[4:5]
	s_cbranch_execnz .LBB1198_115
; %bb.116:
	s_or_b64 exec, exec, s[4:5]
	s_xor_b64 s[0:1], s[14:15], -1
.LBB1198_117:
	v_perm_b32 v22, v21, v21, s40
	s_or_b64 s[10:11], s[10:11], exec
.LBB1198_118:
	s_or_b64 exec, exec, s[12:13]
	s_branch .LBB1198_164
.LBB1198_119:
	v_add_u32_e32 v16, 6, v1
	v_cmp_gt_u32_e32 vcc, s50, v16
	s_mov_b64 s[12:13], 0
	s_mov_b64 s[4:5], 0
	s_and_saveexec_b64 s[14:15], vcc
	s_cbranch_execz .LBB1198_125
; %bb.120:
	s_andn2_b64 vcc, exec, s[6:7]
	s_mov_b64 s[0:1], 0
	s_cbranch_vccnz .LBB1198_124
; %bb.121:
	v_mul_lo_u32 v19, v5, s26
	s_waitcnt vmcnt(0) lgkmcnt(1)
	v_mul_lo_u32 v20, v4, s27
	v_mad_u64_u32 v[16:17], s[0:1], v4, s26, 0
	v_add3_u32 v17, v17, v20, v19
	v_mul_lo_u32 v19, v15, s26
	v_mul_lo_u32 v22, v14, s27
	v_mad_u64_u32 v[20:21], s[0:1], v14, s26, 0
	v_add3_u32 v21, v21, v22, v19
	s_add_u32 s40, s26, -1
	v_lshl_add_u64 v[16:17], v[16:17], 1, s[28:29]
	v_lshl_add_u64 v[20:21], v[20:21], 1, s[28:29]
	s_addc_u32 s41, s27, -1
                                        ; implicit-def: $sgpr38_sgpr39
.LBB1198_122:                           ; =>This Inner Loop Header: Depth=1
	global_load_ushort v19, v[20:21], off
	global_load_ushort v22, v[16:17], off
	s_add_u32 s0, s40, -1
	s_addc_u32 s1, s41, -1
	s_cmp_eq_u64 s[40:41], 0
	s_mov_b64 s[40:41], s[0:1]
	s_cselect_b64 s[42:43], -1, 0
	v_lshl_add_u64 v[16:17], v[16:17], 0, 2
	v_lshl_add_u64 v[20:21], v[20:21], 0, 2
	s_waitcnt vmcnt(1)
	v_lshlrev_b32_e32 v19, 16, v19
	s_waitcnt vmcnt(0)
	v_lshlrev_b32_e32 v22, 16, v22
	v_cmp_neq_f32_e64 s[0:1], v22, v19
	s_or_b64 s[0:1], s[0:1], s[42:43]
	s_and_b64 s[0:1], exec, s[0:1]
	v_cmp_eq_f32_e32 vcc, v22, v19
	s_or_b64 s[4:5], s[0:1], s[4:5]
	s_andn2_b64 s[0:1], s[38:39], exec
	s_and_b64 s[38:39], vcc, exec
	s_or_b64 s[38:39], s[0:1], s[38:39]
	s_andn2_b64 exec, exec, s[4:5]
	s_cbranch_execnz .LBB1198_122
; %bb.123:
	s_or_b64 exec, exec, s[4:5]
	s_xor_b64 s[0:1], s[38:39], -1
.LBB1198_124:
	s_and_b64 s[4:5], s[0:1], exec
.LBB1198_125:
	s_or_b64 exec, exec, s[14:15]
	v_add_u32_e32 v16, 5, v1
	v_cmp_gt_u32_e32 vcc, s50, v16
	s_and_saveexec_b64 s[14:15], vcc
	s_cbranch_execz .LBB1198_131
; %bb.126:
	s_andn2_b64 vcc, exec, s[6:7]
	s_mov_b64 s[0:1], 0
	s_cbranch_vccnz .LBB1198_130
; %bb.127:
	v_mul_lo_u32 v19, v3, s26
	s_waitcnt vmcnt(0) lgkmcnt(1)
	v_mul_lo_u32 v20, v2, s27
	v_mad_u64_u32 v[16:17], s[0:1], v2, s26, 0
	v_add3_u32 v17, v17, v20, v19
	v_mul_lo_u32 v19, v5, s26
	v_mul_lo_u32 v22, v4, s27
	v_mad_u64_u32 v[20:21], s[0:1], v4, s26, 0
	v_add3_u32 v21, v21, v22, v19
	s_add_u32 s40, s26, -1
	v_lshl_add_u64 v[16:17], v[16:17], 1, s[28:29]
	v_lshl_add_u64 v[20:21], v[20:21], 1, s[28:29]
	s_addc_u32 s41, s27, -1
	s_mov_b64 s[12:13], 0
                                        ; implicit-def: $sgpr38_sgpr39
.LBB1198_128:                           ; =>This Inner Loop Header: Depth=1
	global_load_ushort v19, v[20:21], off
	global_load_ushort v22, v[16:17], off
	s_add_u32 s0, s40, -1
	s_addc_u32 s1, s41, -1
	s_cmp_eq_u64 s[40:41], 0
	s_mov_b64 s[40:41], s[0:1]
	s_cselect_b64 s[42:43], -1, 0
	v_lshl_add_u64 v[16:17], v[16:17], 0, 2
	v_lshl_add_u64 v[20:21], v[20:21], 0, 2
	s_waitcnt vmcnt(1)
	v_lshlrev_b32_e32 v19, 16, v19
	s_waitcnt vmcnt(0)
	v_lshlrev_b32_e32 v22, 16, v22
	v_cmp_neq_f32_e64 s[0:1], v22, v19
	s_or_b64 s[0:1], s[0:1], s[42:43]
	s_and_b64 s[0:1], exec, s[0:1]
	v_cmp_eq_f32_e32 vcc, v22, v19
	s_or_b64 s[12:13], s[0:1], s[12:13]
	s_andn2_b64 s[0:1], s[38:39], exec
	s_and_b64 s[38:39], vcc, exec
	s_or_b64 s[38:39], s[0:1], s[38:39]
	s_andn2_b64 exec, exec, s[12:13]
	s_cbranch_execnz .LBB1198_128
; %bb.129:
	s_or_b64 exec, exec, s[12:13]
	s_xor_b64 s[0:1], s[38:39], -1
.LBB1198_130:
	s_and_b64 s[12:13], s[0:1], exec
.LBB1198_131:
	s_or_b64 exec, exec, s[14:15]
	v_add_u32_e32 v16, 4, v1
	v_cmp_gt_u32_e32 vcc, s50, v16
	s_mov_b64 s[14:15], 0
	s_mov_b64 s[38:39], 0
	s_and_saveexec_b64 s[40:41], vcc
	s_cbranch_execz .LBB1198_137
; %bb.132:
	s_andn2_b64 vcc, exec, s[6:7]
	s_mov_b64 s[0:1], 0
	s_cbranch_vccnz .LBB1198_136
; %bb.133:
	v_mul_lo_u32 v19, v9, s26
	s_waitcnt vmcnt(0) lgkmcnt(1)
	v_mul_lo_u32 v20, v8, s27
	v_mad_u64_u32 v[16:17], s[0:1], v8, s26, 0
	v_add3_u32 v17, v17, v20, v19
	v_mul_lo_u32 v19, v3, s26
	v_mul_lo_u32 v22, v2, s27
	v_mad_u64_u32 v[20:21], s[0:1], v2, s26, 0
	v_add3_u32 v21, v21, v22, v19
	s_add_u32 s44, s26, -1
	v_lshl_add_u64 v[16:17], v[16:17], 1, s[28:29]
	v_lshl_add_u64 v[20:21], v[20:21], 1, s[28:29]
	s_addc_u32 s45, s27, -1
                                        ; implicit-def: $sgpr42_sgpr43
.LBB1198_134:                           ; =>This Inner Loop Header: Depth=1
	global_load_ushort v19, v[20:21], off
	global_load_ushort v22, v[16:17], off
	s_add_u32 s0, s44, -1
	s_addc_u32 s1, s45, -1
	s_cmp_eq_u64 s[44:45], 0
	s_mov_b64 s[44:45], s[0:1]
	s_cselect_b64 s[46:47], -1, 0
	v_lshl_add_u64 v[16:17], v[16:17], 0, 2
	v_lshl_add_u64 v[20:21], v[20:21], 0, 2
	s_waitcnt vmcnt(1)
	v_lshlrev_b32_e32 v19, 16, v19
	s_waitcnt vmcnt(0)
	v_lshlrev_b32_e32 v22, 16, v22
	v_cmp_neq_f32_e64 s[0:1], v22, v19
	s_or_b64 s[0:1], s[0:1], s[46:47]
	s_and_b64 s[0:1], exec, s[0:1]
	v_cmp_eq_f32_e32 vcc, v22, v19
	s_or_b64 s[38:39], s[0:1], s[38:39]
	s_andn2_b64 s[0:1], s[42:43], exec
	s_and_b64 s[42:43], vcc, exec
	s_or_b64 s[42:43], s[0:1], s[42:43]
	s_andn2_b64 exec, exec, s[38:39]
	s_cbranch_execnz .LBB1198_134
; %bb.135:
	s_or_b64 exec, exec, s[38:39]
	s_xor_b64 s[0:1], s[42:43], -1
.LBB1198_136:
	s_and_b64 s[38:39], s[0:1], exec
.LBB1198_137:
	s_or_b64 exec, exec, s[40:41]
	v_add_u32_e32 v16, 3, v1
	v_cmp_gt_u32_e32 vcc, s50, v16
	s_and_saveexec_b64 s[40:41], vcc
	s_cbranch_execz .LBB1198_143
; %bb.138:
	s_andn2_b64 vcc, exec, s[6:7]
	s_mov_b64 s[0:1], 0
	s_cbranch_vccnz .LBB1198_142
; %bb.139:
	v_mul_lo_u32 v19, v7, s26
	s_waitcnt vmcnt(0) lgkmcnt(1)
	v_mul_lo_u32 v20, v6, s27
	v_mad_u64_u32 v[16:17], s[0:1], v6, s26, 0
	v_add3_u32 v17, v17, v20, v19
	v_mul_lo_u32 v19, v9, s26
	v_mul_lo_u32 v22, v8, s27
	v_mad_u64_u32 v[20:21], s[0:1], v8, s26, 0
	v_add3_u32 v21, v21, v22, v19
	s_add_u32 s44, s26, -1
	v_lshl_add_u64 v[16:17], v[16:17], 1, s[28:29]
	v_lshl_add_u64 v[20:21], v[20:21], 1, s[28:29]
	s_addc_u32 s45, s27, -1
	s_mov_b64 s[14:15], 0
                                        ; implicit-def: $sgpr42_sgpr43
.LBB1198_140:                           ; =>This Inner Loop Header: Depth=1
	global_load_ushort v19, v[20:21], off
	global_load_ushort v22, v[16:17], off
	s_add_u32 s0, s44, -1
	s_addc_u32 s1, s45, -1
	s_cmp_eq_u64 s[44:45], 0
	s_mov_b64 s[44:45], s[0:1]
	s_cselect_b64 s[46:47], -1, 0
	v_lshl_add_u64 v[16:17], v[16:17], 0, 2
	v_lshl_add_u64 v[20:21], v[20:21], 0, 2
	s_waitcnt vmcnt(1)
	v_lshlrev_b32_e32 v19, 16, v19
	s_waitcnt vmcnt(0)
	v_lshlrev_b32_e32 v22, 16, v22
	v_cmp_neq_f32_e64 s[0:1], v22, v19
	s_or_b64 s[0:1], s[0:1], s[46:47]
	s_and_b64 s[0:1], exec, s[0:1]
	v_cmp_eq_f32_e32 vcc, v22, v19
	s_or_b64 s[14:15], s[0:1], s[14:15]
	s_andn2_b64 s[0:1], s[42:43], exec
	s_and_b64 s[42:43], vcc, exec
	s_or_b64 s[42:43], s[0:1], s[42:43]
	s_andn2_b64 exec, exec, s[14:15]
	s_cbranch_execnz .LBB1198_140
; %bb.141:
	s_or_b64 exec, exec, s[14:15]
	s_xor_b64 s[0:1], s[42:43], -1
.LBB1198_142:
	s_and_b64 s[14:15], s[0:1], exec
.LBB1198_143:
	s_or_b64 exec, exec, s[40:41]
	v_add_u32_e32 v16, 2, v1
	v_cmp_gt_u32_e32 vcc, s50, v16
	s_mov_b64 s[40:41], 0
	s_mov_b64 s[42:43], 0
	s_and_saveexec_b64 s[44:45], vcc
	s_cbranch_execz .LBB1198_149
; %bb.144:
	s_andn2_b64 vcc, exec, s[6:7]
	s_mov_b64 s[0:1], 0
	s_cbranch_vccnz .LBB1198_148
; %bb.145:
	v_mul_lo_u32 v19, v13, s26
	s_waitcnt vmcnt(0) lgkmcnt(1)
	v_mul_lo_u32 v20, v12, s27
	v_mad_u64_u32 v[16:17], s[0:1], v12, s26, 0
	v_add3_u32 v17, v17, v20, v19
	v_mul_lo_u32 v19, v7, s26
	v_mul_lo_u32 v22, v6, s27
	v_mad_u64_u32 v[20:21], s[0:1], v6, s26, 0
	v_add3_u32 v21, v21, v22, v19
	s_add_u32 s48, s26, -1
	v_lshl_add_u64 v[16:17], v[16:17], 1, s[28:29]
	v_lshl_add_u64 v[20:21], v[20:21], 1, s[28:29]
	s_addc_u32 s49, s27, -1
                                        ; implicit-def: $sgpr46_sgpr47
.LBB1198_146:                           ; =>This Inner Loop Header: Depth=1
	global_load_ushort v19, v[20:21], off
	global_load_ushort v22, v[16:17], off
	s_add_u32 s0, s48, -1
	s_addc_u32 s1, s49, -1
	s_cmp_eq_u64 s[48:49], 0
	s_mov_b64 s[48:49], s[0:1]
	s_cselect_b64 s[52:53], -1, 0
	v_lshl_add_u64 v[16:17], v[16:17], 0, 2
	v_lshl_add_u64 v[20:21], v[20:21], 0, 2
	s_waitcnt vmcnt(1)
	v_lshlrev_b32_e32 v19, 16, v19
	s_waitcnt vmcnt(0)
	v_lshlrev_b32_e32 v22, 16, v22
	v_cmp_neq_f32_e64 s[0:1], v22, v19
	s_or_b64 s[0:1], s[0:1], s[52:53]
	s_and_b64 s[0:1], exec, s[0:1]
	v_cmp_eq_f32_e32 vcc, v22, v19
	s_or_b64 s[42:43], s[0:1], s[42:43]
	s_andn2_b64 s[0:1], s[46:47], exec
	s_and_b64 s[46:47], vcc, exec
	s_or_b64 s[46:47], s[0:1], s[46:47]
	s_andn2_b64 exec, exec, s[42:43]
	s_cbranch_execnz .LBB1198_146
; %bb.147:
	s_or_b64 exec, exec, s[42:43]
	s_xor_b64 s[0:1], s[46:47], -1
.LBB1198_148:
	s_and_b64 s[42:43], s[0:1], exec
.LBB1198_149:
	s_or_b64 exec, exec, s[44:45]
	v_add_u32_e32 v16, 1, v1
	v_cmp_gt_u32_e32 vcc, s50, v16
	s_and_saveexec_b64 s[44:45], vcc
	s_cbranch_execz .LBB1198_155
; %bb.150:
	s_andn2_b64 vcc, exec, s[6:7]
	s_mov_b64 s[0:1], 0
	s_cbranch_vccnz .LBB1198_154
; %bb.151:
	v_mul_lo_u32 v19, v11, s26
	s_waitcnt vmcnt(0) lgkmcnt(1)
	v_mul_lo_u32 v20, v10, s27
	v_mad_u64_u32 v[16:17], s[0:1], v10, s26, 0
	v_add3_u32 v17, v17, v20, v19
	v_mul_lo_u32 v19, v13, s26
	v_mul_lo_u32 v22, v12, s27
	v_mad_u64_u32 v[20:21], s[0:1], v12, s26, 0
	v_add3_u32 v21, v21, v22, v19
	s_add_u32 s48, s26, -1
	v_lshl_add_u64 v[16:17], v[16:17], 1, s[28:29]
	v_lshl_add_u64 v[20:21], v[20:21], 1, s[28:29]
	s_addc_u32 s49, s27, -1
	s_mov_b64 s[40:41], 0
                                        ; implicit-def: $sgpr46_sgpr47
.LBB1198_152:                           ; =>This Inner Loop Header: Depth=1
	global_load_ushort v19, v[20:21], off
	global_load_ushort v22, v[16:17], off
	s_add_u32 s0, s48, -1
	s_addc_u32 s1, s49, -1
	s_cmp_eq_u64 s[48:49], 0
	s_mov_b64 s[48:49], s[0:1]
	s_cselect_b64 s[52:53], -1, 0
	v_lshl_add_u64 v[16:17], v[16:17], 0, 2
	v_lshl_add_u64 v[20:21], v[20:21], 0, 2
	s_waitcnt vmcnt(1)
	v_lshlrev_b32_e32 v19, 16, v19
	s_waitcnt vmcnt(0)
	v_lshlrev_b32_e32 v22, 16, v22
	v_cmp_neq_f32_e64 s[0:1], v22, v19
	s_or_b64 s[0:1], s[0:1], s[52:53]
	s_and_b64 s[0:1], exec, s[0:1]
	v_cmp_eq_f32_e32 vcc, v22, v19
	s_or_b64 s[40:41], s[0:1], s[40:41]
	s_andn2_b64 s[0:1], s[46:47], exec
	s_and_b64 s[46:47], vcc, exec
	s_or_b64 s[46:47], s[0:1], s[46:47]
	s_andn2_b64 exec, exec, s[40:41]
	s_cbranch_execnz .LBB1198_152
; %bb.153:
	s_or_b64 exec, exec, s[40:41]
	s_xor_b64 s[0:1], s[46:47], -1
.LBB1198_154:
	s_and_b64 s[40:41], s[0:1], exec
.LBB1198_155:
	s_or_b64 exec, exec, s[44:45]
	v_cndmask_b32_e64 v17, 0, 1, s[38:39]
	v_cndmask_b32_e64 v40, 0, 1, s[12:13]
	;; [unrolled: 1-line block ×4, first 2 shown]
	s_waitcnt vmcnt(0) lgkmcnt(1)
	v_cndmask_b32_e64 v20, 0, 1, s[14:15]
	v_cndmask_b32_e64 v42, 0, 1, s[40:41]
	v_mov_b32_e32 v16, 1
	s_waitcnt lgkmcnt(0)
	s_barrier
                                        ; implicit-def: $sgpr0_sgpr1
                                        ; implicit-def: $vgpr22
	s_and_saveexec_b64 s[4:5], s[2:3]
	s_cbranch_execz .LBB1198_163
; %bb.156:
	v_lshlrev_b16_e32 v21, 8, v42
	v_lshlrev_b16_e32 v22, 8, v20
	v_or_b32_e32 v21, 1, v21
	v_or_b32_sdwa v22, v41, v22 dst_sel:WORD_1 dst_unused:UNUSED_PAD src0_sel:DWORD src1_sel:DWORD
	v_cmp_gt_u32_e32 vcc, s50, v1
	v_or_b32_sdwa v21, v21, v22 dst_sel:DWORD dst_unused:UNUSED_PAD src0_sel:WORD_0 src1_sel:DWORD
	s_mov_b32 s38, 0x3020104
	s_mov_b64 s[0:1], 0
	s_and_saveexec_b64 s[2:3], vcc
	s_cbranch_execz .LBB1198_162
; %bb.157:
	s_andn2_b64 vcc, exec, s[6:7]
	s_cbranch_vccnz .LBB1198_161
; %bb.158:
	v_add_u32_e32 v22, -8, v26
	ds_read_b64 v[22:23], v22
	v_mul_lo_u32 v26, v11, s26
	v_mul_lo_u32 v27, v10, s27
	s_add_u32 s14, s26, -1
	s_addc_u32 s15, s27, -1
	s_waitcnt lgkmcnt(0)
	v_mul_lo_u32 v24, v23, s26
	v_mul_lo_u32 v25, v22, s27
	v_mad_u64_u32 v[22:23], s[0:1], v22, s26, 0
	v_add3_u32 v23, v23, v25, v24
	v_mad_u64_u32 v[24:25], s[0:1], v10, s26, 0
	v_add3_u32 v25, v25, v27, v26
	v_lshl_add_u64 v[22:23], v[22:23], 1, s[28:29]
	v_lshl_add_u64 v[24:25], v[24:25], 1, s[28:29]
	s_mov_b64 s[6:7], 0
                                        ; implicit-def: $sgpr12_sgpr13
.LBB1198_159:                           ; =>This Inner Loop Header: Depth=1
	global_load_ushort v26, v[24:25], off
	global_load_ushort v27, v[22:23], off
	s_add_u32 s0, s14, -1
	s_addc_u32 s1, s15, -1
	s_cmp_eq_u64 s[14:15], 0
	s_mov_b64 s[14:15], s[0:1]
	s_cselect_b64 s[26:27], -1, 0
	v_lshl_add_u64 v[22:23], v[22:23], 0, 2
	v_lshl_add_u64 v[24:25], v[24:25], 0, 2
	s_waitcnt vmcnt(1)
	v_lshlrev_b32_e32 v26, 16, v26
	s_waitcnt vmcnt(0)
	v_lshlrev_b32_e32 v27, 16, v27
	v_cmp_neq_f32_e64 s[0:1], v27, v26
	s_or_b64 s[0:1], s[0:1], s[26:27]
	s_and_b64 s[0:1], exec, s[0:1]
	v_cmp_eq_f32_e32 vcc, v27, v26
	s_or_b64 s[6:7], s[0:1], s[6:7]
	s_andn2_b64 s[0:1], s[12:13], exec
	s_and_b64 s[12:13], vcc, exec
	s_or_b64 s[12:13], s[0:1], s[12:13]
	s_andn2_b64 exec, exec, s[6:7]
	s_cbranch_execnz .LBB1198_159
; %bb.160:
	s_or_b64 exec, exec, s[6:7]
	s_xor_b64 s[0:1], s[12:13], -1
.LBB1198_161:
	s_and_b64 s[0:1], s[0:1], exec
.LBB1198_162:
	s_or_b64 exec, exec, s[2:3]
	v_perm_b32 v22, v21, v21, s38
	s_or_b64 s[10:11], s[10:11], exec
.LBB1198_163:
	s_or_b64 exec, exec, s[4:5]
.LBB1198_164:
	s_and_saveexec_b64 s[2:3], s[10:11]
	s_cbranch_execz .LBB1198_166
; %bb.165:
	s_waitcnt vmcnt(0) lgkmcnt(0)
	v_lshrrev_b32_e32 v20, 24, v22
	v_lshrrev_b32_e32 v41, 16, v22
	;; [unrolled: 1-line block ×3, first 2 shown]
	v_cndmask_b32_e64 v16, 0, 1, s[0:1]
.LBB1198_166:
	s_or_b64 exec, exec, s[2:3]
	s_andn2_b64 vcc, exec, s[8:9]
	s_cbranch_vccnz .LBB1198_170
; %bb.167:
	s_mov_b32 s0, 0xc0c0004
	s_waitcnt vmcnt(0) lgkmcnt(0)
	v_perm_b32 v20, v41, v20, s0
	v_perm_b32 v16, v16, v42, s0
	v_lshlrev_b32_e32 v20, 16, v20
	v_or_b32_e32 v16, v16, v20
	v_cmp_gt_u32_e32 vcc, s50, v1
	v_add_u32_e32 v22, 1, v1
	v_perm_b32 v17, v17, v40, s0
	v_cndmask_b32_e32 v20, v20, v16, vcc
	v_and_b32_e32 v20, 0xffff00ff, v20
	v_cmp_gt_u32_e32 vcc, s50, v22
	v_add_u32_e32 v22, 2, v1
	s_mov_b32 s0, 0x40c0100
	v_cndmask_b32_e32 v20, v20, v16, vcc
	v_lshrrev_b32_e32 v23, 24, v20
	v_and_b32_e32 v19, 0xff, v19
	v_perm_b32 v20, v23, v20, s0
	v_cmp_gt_u32_e32 vcc, s50, v22
	v_lshlrev_b32_e32 v19, 16, v19
	v_add_u32_e32 v22, 3, v1
	v_cndmask_b32_e32 v20, v20, v16, vcc
	s_mov_b32 s0, 0xffff00
	v_or_b32_e32 v21, v17, v19
	v_and_b32_e32 v20, 0xffffff, v20
	v_cmp_gt_u32_e32 vcc, s50, v22
	v_bitop3_b32 v17, v17, s0, v19 bitop3:0xc8
	v_add_u32_e32 v19, 4, v1
	v_cndmask_b32_e32 v20, v20, v16, vcc
	v_cmp_gt_u32_e32 vcc, s50, v19
	v_add_u32_e32 v19, 5, v1
	v_cmp_gt_u32_e64 s[0:1], s50, v19
	v_cndmask_b32_e32 v17, v17, v21, vcc
	v_and_b32_e32 v17, 0xffff00ff, v17
	s_or_b64 vcc, s[0:1], vcc
	v_cndmask_b32_e64 v17, v17, v21, s[0:1]
	v_cndmask_b32_e32 v16, v20, v16, vcc
	v_add_u32_e32 v1, 6, v1
	v_lshrrev_b32_e32 v41, 16, v16
	v_lshrrev_b32_e32 v42, 8, v16
	v_lshrrev_b64 v[20:21], 24, v[16:17]
	v_lshrrev_b32_e32 v19, 16, v17
	v_lshrrev_b32_e32 v40, 8, v17
	v_cmp_le_u32_e32 vcc, s50, v1
	s_and_saveexec_b64 s[0:1], vcc
; %bb.168:
	v_mov_b32_e32 v19, 0
; %bb.169:
	s_or_b64 exec, exec, s[0:1]
.LBB1198_170:
	v_and_b32_e32 v1, 0xff, v16
	s_waitcnt vmcnt(0) lgkmcnt(0)
	v_and_b32_e32 v21, 0xff, v42
	v_and_b32_e32 v33, 0xff, v41
	;; [unrolled: 1-line block ×4, first 2 shown]
	v_add3_u32 v23, v21, v1, v33
	v_and_b32_e32 v39, 0xff, v40
	v_and_b32_e32 v22, 0xff, v19
	v_add3_u32 v23, v23, v35, v37
	v_add3_u32 v45, v23, v39, v22
	v_mbcnt_lo_u32_b32 v22, -1, 0
	v_mbcnt_hi_u32_b32 v43, -1, v22
	v_and_b32_e32 v22, 15, v43
	v_cmp_eq_u32_e64 s[14:15], 0, v22
	v_cmp_lt_u32_e64 s[12:13], 1, v22
	v_cmp_lt_u32_e64 s[10:11], 3, v22
	;; [unrolled: 1-line block ×3, first 2 shown]
	v_and_b32_e32 v22, 16, v43
	v_cmp_eq_u32_e64 s[6:7], 0, v22
	v_or_b32_e32 v22, 63, v0
	v_cmp_lt_u32_e64 s[2:3], 31, v43
	v_lshrrev_b32_e32 v44, 6, v0
	v_cmp_eq_u32_e64 s[4:5], v0, v22
	s_and_b64 vcc, exec, s[16:17]
	s_barrier
	s_cbranch_vccz .LBB1198_192
; %bb.171:
	v_mov_b32_dpp v22, v45 row_shr:1 row_mask:0xf bank_mask:0xf
	v_cndmask_b32_e64 v22, v22, 0, s[14:15]
	v_add_u32_e32 v22, v22, v45
	s_nop 1
	v_mov_b32_dpp v23, v22 row_shr:2 row_mask:0xf bank_mask:0xf
	v_cndmask_b32_e64 v23, 0, v23, s[12:13]
	v_add_u32_e32 v22, v22, v23
	s_nop 1
	;; [unrolled: 4-line block ×4, first 2 shown]
	v_mov_b32_dpp v23, v22 row_bcast:15 row_mask:0xf bank_mask:0xf
	v_cndmask_b32_e64 v23, v23, 0, s[6:7]
	v_add_u32_e32 v22, v22, v23
	s_nop 1
	v_mov_b32_dpp v23, v22 row_bcast:31 row_mask:0xf bank_mask:0xf
	v_cndmask_b32_e64 v23, 0, v23, s[2:3]
	v_add_u32_e32 v22, v22, v23
	s_and_saveexec_b64 s[0:1], s[4:5]
; %bb.172:
	v_lshlrev_b32_e32 v23, 2, v44
	ds_write_b32 v23, v22
; %bb.173:
	s_or_b64 exec, exec, s[0:1]
	v_cmp_gt_u32_e32 vcc, 8, v0
	s_waitcnt lgkmcnt(0)
	s_barrier
	s_and_saveexec_b64 s[0:1], vcc
	s_cbranch_execz .LBB1198_175
; %bb.174:
	v_lshlrev_b32_e32 v23, 2, v0
	ds_read_b32 v24, v23
	v_and_b32_e32 v25, 7, v43
	v_cmp_ne_u32_e32 vcc, 0, v25
	s_waitcnt lgkmcnt(0)
	v_mov_b32_dpp v26, v24 row_shr:1 row_mask:0xf bank_mask:0xf
	v_cndmask_b32_e32 v26, 0, v26, vcc
	v_add_u32_e32 v24, v26, v24
	v_cmp_lt_u32_e32 vcc, 1, v25
	s_nop 0
	v_mov_b32_dpp v26, v24 row_shr:2 row_mask:0xf bank_mask:0xf
	v_cndmask_b32_e32 v26, 0, v26, vcc
	v_add_u32_e32 v24, v24, v26
	v_cmp_lt_u32_e32 vcc, 3, v25
	s_nop 0
	v_mov_b32_dpp v26, v24 row_shr:4 row_mask:0xf bank_mask:0xf
	v_cndmask_b32_e32 v25, 0, v26, vcc
	v_add_u32_e32 v24, v24, v25
	ds_write_b32 v23, v24
.LBB1198_175:
	s_or_b64 exec, exec, s[0:1]
	v_cmp_gt_u32_e32 vcc, 64, v0
	v_cmp_lt_u32_e64 s[0:1], 63, v0
	s_waitcnt lgkmcnt(0)
	s_barrier
                                        ; implicit-def: $vgpr32
	s_and_saveexec_b64 s[16:17], s[0:1]
	s_cbranch_execz .LBB1198_177
; %bb.176:
	v_lshl_add_u32 v23, v44, 2, -4
	ds_read_b32 v32, v23
	s_waitcnt lgkmcnt(0)
	v_add_u32_e32 v22, v32, v22
.LBB1198_177:
	s_or_b64 exec, exec, s[16:17]
	v_subrev_co_u32_e64 v23, s[16:17], 1, v43
	v_and_b32_e32 v24, 64, v43
	v_cmp_lt_i32_e64 s[0:1], v23, v24
	s_nop 1
	v_cndmask_b32_e64 v23, v23, v43, s[0:1]
	v_lshlrev_b32_e32 v23, 2, v23
	ds_bpermute_b32 v34, v23, v22
	s_and_saveexec_b64 s[0:1], vcc
	s_cbranch_execz .LBB1198_197
; %bb.178:
	v_mov_b32_e32 v29, 0
	ds_read_b32 v22, v29 offset:28
	s_and_saveexec_b64 s[26:27], s[16:17]
	s_cbranch_execz .LBB1198_180
; %bb.179:
	s_add_i32 s28, s33, 64
	s_mov_b32 s29, 0
	s_lshl_b64 s[28:29], s[28:29], 3
	s_add_u32 s28, s30, s28
	v_mov_b32_e32 v23, 1
	s_addc_u32 s29, s31, s29
	s_waitcnt lgkmcnt(0)
	global_store_dwordx2 v29, v[22:23], s[28:29] sc1
.LBB1198_180:
	s_or_b64 exec, exec, s[26:27]
	v_xad_u32 v24, v43, -1, s33
	v_add_u32_e32 v28, 64, v24
	v_lshl_add_u64 v[30:31], v[28:29], 3, s[30:31]
	global_load_dwordx2 v[26:27], v[30:31], off sc1
	s_waitcnt vmcnt(0)
	v_cmp_eq_u16_sdwa s[28:29], v27, v29 src0_sel:BYTE_0 src1_sel:DWORD
	s_and_saveexec_b64 s[26:27], s[28:29]
	s_cbranch_execz .LBB1198_184
; %bb.181:
	s_mov_b64 s[28:29], 0
	v_mov_b32_e32 v23, 0
.LBB1198_182:                           ; =>This Inner Loop Header: Depth=1
	global_load_dwordx2 v[26:27], v[30:31], off sc1
	s_waitcnt vmcnt(0)
	v_cmp_ne_u16_sdwa s[38:39], v27, v23 src0_sel:BYTE_0 src1_sel:DWORD
	s_or_b64 s[28:29], s[38:39], s[28:29]
	s_andn2_b64 exec, exec, s[28:29]
	s_cbranch_execnz .LBB1198_182
; %bb.183:
	s_or_b64 exec, exec, s[28:29]
.LBB1198_184:
	s_or_b64 exec, exec, s[26:27]
	v_and_b32_e32 v38, 63, v43
	v_mov_b32_e32 v36, 2
	v_cmp_ne_u32_e32 vcc, 63, v38
	v_cmp_eq_u16_sdwa s[26:27], v27, v36 src0_sel:BYTE_0 src1_sel:DWORD
	v_lshlrev_b64 v[28:29], v43, -1
	v_addc_co_u32_e32 v30, vcc, 0, v43, vcc
	v_and_b32_e32 v23, s27, v29
	v_lshlrev_b32_e32 v46, 2, v30
	v_or_b32_e32 v23, 0x80000000, v23
	ds_bpermute_b32 v30, v46, v26
	v_and_b32_e32 v25, s26, v28
	v_ffbl_b32_e32 v23, v23
	v_add_u32_e32 v23, 32, v23
	v_ffbl_b32_e32 v25, v25
	v_min_u32_e32 v23, v25, v23
	v_cmp_lt_u32_e32 vcc, v38, v23
	v_add_u32_e32 v48, 2, v38
	v_add_u32_e32 v50, 4, v38
	s_waitcnt lgkmcnt(0)
	v_cndmask_b32_e32 v25, 0, v30, vcc
	v_cmp_gt_u32_e32 vcc, 62, v38
	v_add_u32_e32 v25, v25, v26
	v_add_u32_e32 v52, 8, v38
	v_cndmask_b32_e64 v26, 0, 2, vcc
	v_add_lshl_u32 v47, v26, v43, 2
	ds_bpermute_b32 v26, v47, v25
	v_cmp_le_u32_e32 vcc, v48, v23
	v_add_u32_e32 v54, 16, v38
	v_add_u32_e32 v56, 32, v38
	s_waitcnt lgkmcnt(0)
	v_cndmask_b32_e32 v26, 0, v26, vcc
	v_cmp_gt_u32_e32 vcc, 60, v38
	v_add_u32_e32 v25, v25, v26
	s_nop 0
	v_cndmask_b32_e64 v26, 0, 4, vcc
	v_add_lshl_u32 v49, v26, v43, 2
	ds_bpermute_b32 v26, v49, v25
	v_cmp_le_u32_e32 vcc, v50, v23
	s_waitcnt lgkmcnt(0)
	s_nop 0
	v_cndmask_b32_e32 v26, 0, v26, vcc
	v_cmp_gt_u32_e32 vcc, 56, v38
	v_add_u32_e32 v25, v25, v26
	s_nop 0
	v_cndmask_b32_e64 v26, 0, 8, vcc
	v_add_lshl_u32 v51, v26, v43, 2
	ds_bpermute_b32 v26, v51, v25
	v_cmp_le_u32_e32 vcc, v52, v23
	s_waitcnt lgkmcnt(0)
	s_nop 0
	;; [unrolled: 10-line block ×3, first 2 shown]
	v_cndmask_b32_e32 v26, 0, v26, vcc
	v_add_u32_e32 v25, v25, v26
	v_mov_b32_e32 v26, 0x80
	v_lshl_or_b32 v55, v43, 2, v26
	ds_bpermute_b32 v26, v55, v25
	v_cmp_le_u32_e32 vcc, v56, v23
	s_waitcnt lgkmcnt(0)
	s_nop 0
	v_cndmask_b32_e32 v23, 0, v26, vcc
	v_add_u32_e32 v26, v25, v23
	v_mov_b32_e32 v25, 0
	s_branch .LBB1198_187
.LBB1198_185:                           ;   in Loop: Header=BB1198_187 Depth=1
	s_or_b64 exec, exec, s[26:27]
	v_cmp_eq_u16_sdwa s[26:27], v27, v36 src0_sel:BYTE_0 src1_sel:DWORD
	ds_bpermute_b32 v57, v46, v26
	v_subrev_u32_e32 v24, 64, v24
	v_and_b32_e32 v30, s27, v29
	v_or_b32_e32 v30, 0x80000000, v30
	v_and_b32_e32 v31, s26, v28
	v_ffbl_b32_e32 v30, v30
	v_add_u32_e32 v30, 32, v30
	v_ffbl_b32_e32 v31, v31
	v_min_u32_e32 v30, v31, v30
	v_cmp_lt_u32_e32 vcc, v38, v30
	s_mov_b64 s[26:27], 0
	s_waitcnt lgkmcnt(0)
	v_cndmask_b32_e32 v31, 0, v57, vcc
	v_add_u32_e32 v26, v31, v26
	ds_bpermute_b32 v31, v47, v26
	v_cmp_le_u32_e32 vcc, v48, v30
	s_waitcnt lgkmcnt(0)
	s_nop 0
	v_cndmask_b32_e32 v31, 0, v31, vcc
	v_add_u32_e32 v26, v26, v31
	ds_bpermute_b32 v31, v49, v26
	v_cmp_le_u32_e32 vcc, v50, v30
	s_waitcnt lgkmcnt(0)
	s_nop 0
	;; [unrolled: 6-line block ×5, first 2 shown]
	v_cndmask_b32_e32 v30, 0, v31, vcc
	v_add3_u32 v26, v30, v23, v26
.LBB1198_186:                           ;   in Loop: Header=BB1198_187 Depth=1
	s_and_b64 vcc, exec, s[26:27]
	s_cbranch_vccnz .LBB1198_193
.LBB1198_187:                           ; =>This Loop Header: Depth=1
                                        ;     Child Loop BB1198_190 Depth 2
	v_cmp_ne_u16_sdwa s[26:27], v27, v36 src0_sel:BYTE_0 src1_sel:DWORD
	v_mov_b32_e32 v23, v26
	s_cmp_lg_u64 s[26:27], exec
	s_mov_b64 s[26:27], -1
                                        ; implicit-def: $vgpr26
                                        ; implicit-def: $vgpr27
	s_cbranch_scc1 .LBB1198_186
; %bb.188:                              ;   in Loop: Header=BB1198_187 Depth=1
	v_lshl_add_u64 v[30:31], v[24:25], 3, s[30:31]
	global_load_dwordx2 v[26:27], v[30:31], off sc1
	s_waitcnt vmcnt(0)
	v_cmp_eq_u16_sdwa s[28:29], v27, v25 src0_sel:BYTE_0 src1_sel:DWORD
	s_and_saveexec_b64 s[26:27], s[28:29]
	s_cbranch_execz .LBB1198_185
; %bb.189:                              ;   in Loop: Header=BB1198_187 Depth=1
	s_mov_b64 s[28:29], 0
.LBB1198_190:                           ;   Parent Loop BB1198_187 Depth=1
                                        ; =>  This Inner Loop Header: Depth=2
	global_load_dwordx2 v[26:27], v[30:31], off sc1
	s_waitcnt vmcnt(0)
	v_cmp_ne_u16_sdwa s[38:39], v27, v25 src0_sel:BYTE_0 src1_sel:DWORD
	s_or_b64 s[28:29], s[38:39], s[28:29]
	s_andn2_b64 exec, exec, s[28:29]
	s_cbranch_execnz .LBB1198_190
; %bb.191:                              ;   in Loop: Header=BB1198_187 Depth=1
	s_or_b64 exec, exec, s[28:29]
	s_branch .LBB1198_185
.LBB1198_192:
                                        ; implicit-def: $vgpr26
                                        ; implicit-def: $vgpr28
                                        ; implicit-def: $vgpr30
                                        ; implicit-def: $vgpr32
                                        ; implicit-def: $vgpr34
                                        ; implicit-def: $vgpr36
                                        ; implicit-def: $vgpr38
                                        ; implicit-def: $vgpr24
                                        ; implicit-def: $vgpr22
	s_cbranch_execnz .LBB1198_198
	s_branch .LBB1198_207
.LBB1198_193:
	s_and_saveexec_b64 s[26:27], s[16:17]
	s_cbranch_execz .LBB1198_195
; %bb.194:
	s_add_i32 s28, s33, 64
	s_mov_b32 s29, 0
	s_lshl_b64 s[28:29], s[28:29], 3
	s_add_u32 s28, s30, s28
	v_add_u32_e32 v24, v23, v22
	v_mov_b32_e32 v25, 2
	s_addc_u32 s29, s31, s29
	v_mov_b32_e32 v26, 0
	global_store_dwordx2 v26, v[24:25], s[28:29] sc1
	ds_write_b64 v26, v[22:23] offset:28672
.LBB1198_195:
	s_or_b64 exec, exec, s[26:27]
	s_and_b64 exec, exec, s[18:19]
; %bb.196:
	v_mov_b32_e32 v22, 0
	ds_write_b32 v22, v23 offset:28
.LBB1198_197:
	s_or_b64 exec, exec, s[0:1]
	v_mov_b32_e32 v22, 0
	s_waitcnt lgkmcnt(0)
	s_barrier
	ds_read_b32 v23, v22 offset:28
	v_cndmask_b32_e64 v24, v34, v32, s[16:17]
	v_cndmask_b32_e64 v24, v24, 0, s[18:19]
	s_waitcnt lgkmcnt(0)
	s_barrier
	v_add_u32_e32 v38, v23, v24
	v_add_u32_e32 v36, v38, v1
	ds_read_b64 v[22:23], v22 offset:28672
	v_add_u32_e32 v34, v36, v21
	v_add_u32_e32 v32, v34, v33
	;; [unrolled: 1-line block ×5, first 2 shown]
	s_waitcnt lgkmcnt(0)
	v_mov_b32_e32 v24, v23
	s_branch .LBB1198_207
.LBB1198_198:
	v_mov_b32_dpp v22, v45 row_shr:1 row_mask:0xf bank_mask:0xf
	v_cndmask_b32_e64 v22, v22, 0, s[14:15]
	v_add_u32_e32 v22, v22, v45
	s_nop 1
	v_mov_b32_dpp v23, v22 row_shr:2 row_mask:0xf bank_mask:0xf
	v_cndmask_b32_e64 v23, 0, v23, s[12:13]
	v_add_u32_e32 v22, v22, v23
	s_nop 1
	;; [unrolled: 4-line block ×4, first 2 shown]
	v_mov_b32_dpp v23, v22 row_bcast:15 row_mask:0xf bank_mask:0xf
	v_cndmask_b32_e64 v23, v23, 0, s[6:7]
	v_add_u32_e32 v22, v22, v23
	s_nop 1
	v_mov_b32_dpp v23, v22 row_bcast:31 row_mask:0xf bank_mask:0xf
	v_cndmask_b32_e64 v23, 0, v23, s[2:3]
	v_add_u32_e32 v22, v22, v23
	s_and_saveexec_b64 s[0:1], s[4:5]
; %bb.199:
	v_lshlrev_b32_e32 v23, 2, v44
	ds_write_b32 v23, v22
; %bb.200:
	s_or_b64 exec, exec, s[0:1]
	v_cmp_gt_u32_e32 vcc, 8, v0
	s_waitcnt lgkmcnt(0)
	s_barrier
	s_and_saveexec_b64 s[0:1], vcc
	s_cbranch_execz .LBB1198_202
; %bb.201:
	v_lshlrev_b32_e32 v23, 2, v0
	ds_read_b32 v24, v23
	v_and_b32_e32 v25, 7, v43
	v_cmp_ne_u32_e32 vcc, 0, v25
	s_waitcnt lgkmcnt(0)
	v_mov_b32_dpp v26, v24 row_shr:1 row_mask:0xf bank_mask:0xf
	v_cndmask_b32_e32 v26, 0, v26, vcc
	v_add_u32_e32 v24, v26, v24
	v_cmp_lt_u32_e32 vcc, 1, v25
	s_nop 0
	v_mov_b32_dpp v26, v24 row_shr:2 row_mask:0xf bank_mask:0xf
	v_cndmask_b32_e32 v26, 0, v26, vcc
	v_add_u32_e32 v24, v24, v26
	v_cmp_lt_u32_e32 vcc, 3, v25
	s_nop 0
	v_mov_b32_dpp v26, v24 row_shr:4 row_mask:0xf bank_mask:0xf
	v_cndmask_b32_e32 v25, 0, v26, vcc
	v_add_u32_e32 v24, v24, v25
	ds_write_b32 v23, v24
.LBB1198_202:
	s_or_b64 exec, exec, s[0:1]
	v_cmp_lt_u32_e32 vcc, 63, v0
	v_mov_b32_e32 v23, 0
	v_mov_b32_e32 v24, 0
	s_waitcnt lgkmcnt(0)
	s_barrier
	s_and_saveexec_b64 s[0:1], vcc
; %bb.203:
	v_lshl_add_u32 v24, v44, 2, -4
	ds_read_b32 v24, v24
; %bb.204:
	s_or_b64 exec, exec, s[0:1]
	v_subrev_co_u32_e32 v25, vcc, 1, v43
	v_and_b32_e32 v26, 64, v43
	v_cmp_lt_i32_e64 s[0:1], v25, v26
	s_waitcnt lgkmcnt(0)
	v_add_u32_e32 v22, v24, v22
	v_cndmask_b32_e64 v25, v25, v43, s[0:1]
	v_lshlrev_b32_e32 v25, 2, v25
	ds_bpermute_b32 v25, v25, v22
	ds_read_b32 v22, v23 offset:28
	s_and_saveexec_b64 s[0:1], s[18:19]
	s_cbranch_execz .LBB1198_206
; %bb.205:
	v_mov_b32_e32 v26, 0
	v_mov_b32_e32 v23, 2
	s_waitcnt lgkmcnt(0)
	global_store_dwordx2 v26, v[22:23], s[30:31] offset:512 sc1
.LBB1198_206:
	s_or_b64 exec, exec, s[0:1]
	s_waitcnt lgkmcnt(1)
	v_cndmask_b32_e32 v23, v25, v24, vcc
	v_cndmask_b32_e64 v38, v23, 0, s[18:19]
	v_add_u32_e32 v36, v38, v1
	v_add_u32_e32 v34, v36, v21
	;; [unrolled: 1-line block ×6, first 2 shown]
	s_waitcnt lgkmcnt(0)
	s_barrier
	v_mov_b32_e32 v24, 0
.LBB1198_207:
	s_movk_i32 s0, 0x201
	v_cmp_gt_u32_e32 vcc, s0, v22
	v_and_b32_e32 v1, 1, v16
	s_mov_b64 s[2:3], -1
	v_cmp_eq_u32_e64 s[0:1], 1, v1
	s_cbranch_vccnz .LBB1198_211
; %bb.208:
	s_and_b64 vcc, exec, s[2:3]
	s_cbranch_vccnz .LBB1198_226
.LBB1198_209:
	s_and_b64 s[0:1], s[18:19], s[24:25]
	s_and_saveexec_b64 s[2:3], s[0:1]
	s_cbranch_execnz .LBB1198_243
.LBB1198_210:
	s_endpgm
.LBB1198_211:
	v_add_u32_e32 v16, v24, v22
	v_cmp_lt_u32_e32 vcc, v38, v16
	s_or_b64 s[2:3], s[36:37], vcc
	s_and_b64 s[2:3], s[2:3], s[0:1]
	s_and_saveexec_b64 s[0:1], s[2:3]
	s_cbranch_execz .LBB1198_213
; %bb.212:
	s_lshl_b64 s[2:3], s[22:23], 3
	s_add_u32 s2, s34, s2
	s_addc_u32 s3, s35, s3
	v_mov_b32_e32 v39, 0
	v_lshl_add_u64 v[44:45], v[38:39], 3, s[2:3]
	global_store_dwordx2 v[44:45], v[10:11], off
.LBB1198_213:
	s_or_b64 exec, exec, s[0:1]
	v_cmp_lt_u32_e32 vcc, v36, v16
	v_and_b32_e32 v21, 1, v42
	s_or_b64 s[0:1], s[36:37], vcc
	v_cmp_eq_u32_e32 vcc, 1, v21
	s_and_b64 s[2:3], s[0:1], vcc
	s_and_saveexec_b64 s[0:1], s[2:3]
	s_cbranch_execz .LBB1198_215
; %bb.214:
	s_lshl_b64 s[2:3], s[22:23], 3
	s_add_u32 s2, s34, s2
	s_addc_u32 s3, s35, s3
	v_mov_b32_e32 v37, 0
	v_lshl_add_u64 v[44:45], v[36:37], 3, s[2:3]
	global_store_dwordx2 v[44:45], v[12:13], off
.LBB1198_215:
	s_or_b64 exec, exec, s[0:1]
	v_cmp_lt_u32_e32 vcc, v34, v16
	v_and_b32_e32 v21, 1, v41
	s_or_b64 s[0:1], s[36:37], vcc
	v_cmp_eq_u32_e32 vcc, 1, v21
	s_and_b64 s[2:3], s[0:1], vcc
	;; [unrolled: 16-line block ×6, first 2 shown]
	s_and_saveexec_b64 s[0:1], s[2:3]
	s_cbranch_execz .LBB1198_225
; %bb.224:
	s_lshl_b64 s[2:3], s[22:23], 3
	s_add_u32 s2, s34, s2
	s_addc_u32 s3, s35, s3
	v_mov_b32_e32 v27, 0
	v_lshl_add_u64 v[44:45], v[26:27], 3, s[2:3]
	global_store_dwordx2 v[44:45], v[14:15], off
.LBB1198_225:
	s_or_b64 exec, exec, s[0:1]
	s_branch .LBB1198_209
.LBB1198_226:
	v_cmp_eq_u32_e32 vcc, 1, v1
	s_and_saveexec_b64 s[0:1], vcc
; %bb.227:
	v_sub_u32_e32 v1, v38, v24
	v_lshlrev_b32_e32 v1, 3, v1
	ds_write_b64 v1, v[10:11]
; %bb.228:
	s_or_b64 exec, exec, s[0:1]
	v_and_b32_e32 v1, 1, v42
	v_cmp_eq_u32_e32 vcc, 1, v1
	s_and_saveexec_b64 s[0:1], vcc
; %bb.229:
	v_sub_u32_e32 v1, v36, v24
	v_lshlrev_b32_e32 v1, 3, v1
	ds_write_b64 v1, v[12:13]
; %bb.230:
	s_or_b64 exec, exec, s[0:1]
	v_and_b32_e32 v1, 1, v41
	v_cmp_eq_u32_e32 vcc, 1, v1
	s_and_saveexec_b64 s[0:1], vcc
; %bb.231:
	v_sub_u32_e32 v1, v34, v24
	v_lshlrev_b32_e32 v1, 3, v1
	ds_write_b64 v1, v[6:7]
; %bb.232:
	s_or_b64 exec, exec, s[0:1]
	v_and_b32_e32 v1, 1, v20
	v_cmp_eq_u32_e32 vcc, 1, v1
	s_and_saveexec_b64 s[0:1], vcc
; %bb.233:
	v_sub_u32_e32 v1, v32, v24
	v_lshlrev_b32_e32 v1, 3, v1
	ds_write_b64 v1, v[8:9]
; %bb.234:
	s_or_b64 exec, exec, s[0:1]
	v_and_b32_e32 v1, 1, v17
	v_cmp_eq_u32_e32 vcc, 1, v1
	s_and_saveexec_b64 s[0:1], vcc
; %bb.235:
	v_sub_u32_e32 v1, v30, v24
	v_lshlrev_b32_e32 v1, 3, v1
	ds_write_b64 v1, v[2:3]
; %bb.236:
	s_or_b64 exec, exec, s[0:1]
	v_and_b32_e32 v1, 1, v40
	v_cmp_eq_u32_e32 vcc, 1, v1
	s_and_saveexec_b64 s[0:1], vcc
; %bb.237:
	v_sub_u32_e32 v1, v28, v24
	v_lshlrev_b32_e32 v1, 3, v1
	ds_write_b64 v1, v[4:5]
; %bb.238:
	s_or_b64 exec, exec, s[0:1]
	v_and_b32_e32 v1, 1, v19
	v_cmp_eq_u32_e32 vcc, 1, v1
	s_and_saveexec_b64 s[0:1], vcc
; %bb.239:
	v_sub_u32_e32 v1, v26, v24
	v_lshlrev_b32_e32 v1, 3, v1
	ds_write_b64 v1, v[14:15]
; %bb.240:
	s_or_b64 exec, exec, s[0:1]
	v_mov_b32_e32 v25, 0
	s_lshl_b64 s[0:1], s[22:23], 3
	v_lshlrev_b64 v[2:3], 3, v[24:25]
	v_lshl_add_u64 v[2:3], s[0:1], 0, v[2:3]
	v_mov_b32_e32 v19, v25
	v_lshl_add_u64 v[2:3], s[34:35], 0, v[2:3]
	v_lshl_add_u64 v[2:3], v[2:3], 0, v[18:19]
	s_mov_b64 s[0:1], 0
	s_mov_b64 s[2:3], 0x1000
	s_waitcnt lgkmcnt(0)
	s_barrier
.LBB1198_241:                           ; =>This Inner Loop Header: Depth=1
	ds_read_b64 v[4:5], v18
	v_add_u32_e32 v0, 0x200, v0
	v_cmp_ge_u32_e32 vcc, v0, v22
	v_add_u32_e32 v18, 0x1000, v18
	s_or_b64 s[0:1], vcc, s[0:1]
	s_waitcnt lgkmcnt(0)
	global_store_dwordx2 v[2:3], v[4:5], off
	v_lshl_add_u64 v[2:3], v[2:3], 0, s[2:3]
	s_andn2_b64 exec, exec, s[0:1]
	s_cbranch_execnz .LBB1198_241
; %bb.242:
	s_or_b64 exec, exec, s[0:1]
	s_and_b64 s[0:1], s[18:19], s[24:25]
	s_and_saveexec_b64 s[2:3], s[0:1]
	s_cbranch_execz .LBB1198_210
.LBB1198_243:
	v_mov_b32_e32 v23, 0
	v_lshl_add_u64 v[0:1], s[22:23], 0, v[22:23]
	v_mov_b32_e32 v25, v23
	v_lshl_add_u64 v[0:1], v[0:1], 0, v[24:25]
	global_store_dwordx2 v23, v[0:1], s[20:21]
	s_endpgm
	.section	.rodata,"a",@progbits
	.p2align	6, 0x0
	.amdhsa_kernel _ZN7rocprim17ROCPRIM_400000_NS6detail17trampoline_kernelINS0_14default_configENS1_25partition_config_selectorILNS1_17partition_subalgoE8ElNS0_10empty_typeEbEEZZNS1_14partition_implILS5_8ELb0ES3_jPlPS6_PKS6_NS0_5tupleIJS9_S6_EEENSD_IJSA_SA_EEENS0_18inequality_wrapperIZN2at6native12_GLOBAL__N_124unique_dim_cuda_templateIN3c108BFloat16EEESt5tupleIJNSH_6TensorESO_SO_EERKSO_lbbbEUlllE0_EEPmJS6_EEE10hipError_tPvRmT3_T4_T5_T6_T7_T9_mT8_P12ihipStream_tbDpT10_ENKUlT_T0_E_clISt17integral_constantIbLb0EES1D_IbLb1EEEEDaS19_S1A_EUlS19_E_NS1_11comp_targetILNS1_3genE0ELNS1_11target_archE4294967295ELNS1_3gpuE0ELNS1_3repE0EEENS1_30default_config_static_selectorELNS0_4arch9wavefront6targetE1EEEvT1_
		.amdhsa_group_segment_fixed_size 28680
		.amdhsa_private_segment_fixed_size 0
		.amdhsa_kernarg_size 136
		.amdhsa_user_sgpr_count 2
		.amdhsa_user_sgpr_dispatch_ptr 0
		.amdhsa_user_sgpr_queue_ptr 0
		.amdhsa_user_sgpr_kernarg_segment_ptr 1
		.amdhsa_user_sgpr_dispatch_id 0
		.amdhsa_user_sgpr_kernarg_preload_length 0
		.amdhsa_user_sgpr_kernarg_preload_offset 0
		.amdhsa_user_sgpr_private_segment_size 0
		.amdhsa_uses_dynamic_stack 0
		.amdhsa_enable_private_segment 0
		.amdhsa_system_sgpr_workgroup_id_x 1
		.amdhsa_system_sgpr_workgroup_id_y 0
		.amdhsa_system_sgpr_workgroup_id_z 0
		.amdhsa_system_sgpr_workgroup_info 0
		.amdhsa_system_vgpr_workitem_id 0
		.amdhsa_next_free_vgpr 58
		.amdhsa_next_free_sgpr 54
		.amdhsa_accum_offset 60
		.amdhsa_reserve_vcc 1
		.amdhsa_float_round_mode_32 0
		.amdhsa_float_round_mode_16_64 0
		.amdhsa_float_denorm_mode_32 3
		.amdhsa_float_denorm_mode_16_64 3
		.amdhsa_dx10_clamp 1
		.amdhsa_ieee_mode 1
		.amdhsa_fp16_overflow 0
		.amdhsa_tg_split 0
		.amdhsa_exception_fp_ieee_invalid_op 0
		.amdhsa_exception_fp_denorm_src 0
		.amdhsa_exception_fp_ieee_div_zero 0
		.amdhsa_exception_fp_ieee_overflow 0
		.amdhsa_exception_fp_ieee_underflow 0
		.amdhsa_exception_fp_ieee_inexact 0
		.amdhsa_exception_int_div_zero 0
	.end_amdhsa_kernel
	.section	.text._ZN7rocprim17ROCPRIM_400000_NS6detail17trampoline_kernelINS0_14default_configENS1_25partition_config_selectorILNS1_17partition_subalgoE8ElNS0_10empty_typeEbEEZZNS1_14partition_implILS5_8ELb0ES3_jPlPS6_PKS6_NS0_5tupleIJS9_S6_EEENSD_IJSA_SA_EEENS0_18inequality_wrapperIZN2at6native12_GLOBAL__N_124unique_dim_cuda_templateIN3c108BFloat16EEESt5tupleIJNSH_6TensorESO_SO_EERKSO_lbbbEUlllE0_EEPmJS6_EEE10hipError_tPvRmT3_T4_T5_T6_T7_T9_mT8_P12ihipStream_tbDpT10_ENKUlT_T0_E_clISt17integral_constantIbLb0EES1D_IbLb1EEEEDaS19_S1A_EUlS19_E_NS1_11comp_targetILNS1_3genE0ELNS1_11target_archE4294967295ELNS1_3gpuE0ELNS1_3repE0EEENS1_30default_config_static_selectorELNS0_4arch9wavefront6targetE1EEEvT1_,"axG",@progbits,_ZN7rocprim17ROCPRIM_400000_NS6detail17trampoline_kernelINS0_14default_configENS1_25partition_config_selectorILNS1_17partition_subalgoE8ElNS0_10empty_typeEbEEZZNS1_14partition_implILS5_8ELb0ES3_jPlPS6_PKS6_NS0_5tupleIJS9_S6_EEENSD_IJSA_SA_EEENS0_18inequality_wrapperIZN2at6native12_GLOBAL__N_124unique_dim_cuda_templateIN3c108BFloat16EEESt5tupleIJNSH_6TensorESO_SO_EERKSO_lbbbEUlllE0_EEPmJS6_EEE10hipError_tPvRmT3_T4_T5_T6_T7_T9_mT8_P12ihipStream_tbDpT10_ENKUlT_T0_E_clISt17integral_constantIbLb0EES1D_IbLb1EEEEDaS19_S1A_EUlS19_E_NS1_11comp_targetILNS1_3genE0ELNS1_11target_archE4294967295ELNS1_3gpuE0ELNS1_3repE0EEENS1_30default_config_static_selectorELNS0_4arch9wavefront6targetE1EEEvT1_,comdat
.Lfunc_end1198:
	.size	_ZN7rocprim17ROCPRIM_400000_NS6detail17trampoline_kernelINS0_14default_configENS1_25partition_config_selectorILNS1_17partition_subalgoE8ElNS0_10empty_typeEbEEZZNS1_14partition_implILS5_8ELb0ES3_jPlPS6_PKS6_NS0_5tupleIJS9_S6_EEENSD_IJSA_SA_EEENS0_18inequality_wrapperIZN2at6native12_GLOBAL__N_124unique_dim_cuda_templateIN3c108BFloat16EEESt5tupleIJNSH_6TensorESO_SO_EERKSO_lbbbEUlllE0_EEPmJS6_EEE10hipError_tPvRmT3_T4_T5_T6_T7_T9_mT8_P12ihipStream_tbDpT10_ENKUlT_T0_E_clISt17integral_constantIbLb0EES1D_IbLb1EEEEDaS19_S1A_EUlS19_E_NS1_11comp_targetILNS1_3genE0ELNS1_11target_archE4294967295ELNS1_3gpuE0ELNS1_3repE0EEENS1_30default_config_static_selectorELNS0_4arch9wavefront6targetE1EEEvT1_, .Lfunc_end1198-_ZN7rocprim17ROCPRIM_400000_NS6detail17trampoline_kernelINS0_14default_configENS1_25partition_config_selectorILNS1_17partition_subalgoE8ElNS0_10empty_typeEbEEZZNS1_14partition_implILS5_8ELb0ES3_jPlPS6_PKS6_NS0_5tupleIJS9_S6_EEENSD_IJSA_SA_EEENS0_18inequality_wrapperIZN2at6native12_GLOBAL__N_124unique_dim_cuda_templateIN3c108BFloat16EEESt5tupleIJNSH_6TensorESO_SO_EERKSO_lbbbEUlllE0_EEPmJS6_EEE10hipError_tPvRmT3_T4_T5_T6_T7_T9_mT8_P12ihipStream_tbDpT10_ENKUlT_T0_E_clISt17integral_constantIbLb0EES1D_IbLb1EEEEDaS19_S1A_EUlS19_E_NS1_11comp_targetILNS1_3genE0ELNS1_11target_archE4294967295ELNS1_3gpuE0ELNS1_3repE0EEENS1_30default_config_static_selectorELNS0_4arch9wavefront6targetE1EEEvT1_
                                        ; -- End function
	.set _ZN7rocprim17ROCPRIM_400000_NS6detail17trampoline_kernelINS0_14default_configENS1_25partition_config_selectorILNS1_17partition_subalgoE8ElNS0_10empty_typeEbEEZZNS1_14partition_implILS5_8ELb0ES3_jPlPS6_PKS6_NS0_5tupleIJS9_S6_EEENSD_IJSA_SA_EEENS0_18inequality_wrapperIZN2at6native12_GLOBAL__N_124unique_dim_cuda_templateIN3c108BFloat16EEESt5tupleIJNSH_6TensorESO_SO_EERKSO_lbbbEUlllE0_EEPmJS6_EEE10hipError_tPvRmT3_T4_T5_T6_T7_T9_mT8_P12ihipStream_tbDpT10_ENKUlT_T0_E_clISt17integral_constantIbLb0EES1D_IbLb1EEEEDaS19_S1A_EUlS19_E_NS1_11comp_targetILNS1_3genE0ELNS1_11target_archE4294967295ELNS1_3gpuE0ELNS1_3repE0EEENS1_30default_config_static_selectorELNS0_4arch9wavefront6targetE1EEEvT1_.num_vgpr, 58
	.set _ZN7rocprim17ROCPRIM_400000_NS6detail17trampoline_kernelINS0_14default_configENS1_25partition_config_selectorILNS1_17partition_subalgoE8ElNS0_10empty_typeEbEEZZNS1_14partition_implILS5_8ELb0ES3_jPlPS6_PKS6_NS0_5tupleIJS9_S6_EEENSD_IJSA_SA_EEENS0_18inequality_wrapperIZN2at6native12_GLOBAL__N_124unique_dim_cuda_templateIN3c108BFloat16EEESt5tupleIJNSH_6TensorESO_SO_EERKSO_lbbbEUlllE0_EEPmJS6_EEE10hipError_tPvRmT3_T4_T5_T6_T7_T9_mT8_P12ihipStream_tbDpT10_ENKUlT_T0_E_clISt17integral_constantIbLb0EES1D_IbLb1EEEEDaS19_S1A_EUlS19_E_NS1_11comp_targetILNS1_3genE0ELNS1_11target_archE4294967295ELNS1_3gpuE0ELNS1_3repE0EEENS1_30default_config_static_selectorELNS0_4arch9wavefront6targetE1EEEvT1_.num_agpr, 0
	.set _ZN7rocprim17ROCPRIM_400000_NS6detail17trampoline_kernelINS0_14default_configENS1_25partition_config_selectorILNS1_17partition_subalgoE8ElNS0_10empty_typeEbEEZZNS1_14partition_implILS5_8ELb0ES3_jPlPS6_PKS6_NS0_5tupleIJS9_S6_EEENSD_IJSA_SA_EEENS0_18inequality_wrapperIZN2at6native12_GLOBAL__N_124unique_dim_cuda_templateIN3c108BFloat16EEESt5tupleIJNSH_6TensorESO_SO_EERKSO_lbbbEUlllE0_EEPmJS6_EEE10hipError_tPvRmT3_T4_T5_T6_T7_T9_mT8_P12ihipStream_tbDpT10_ENKUlT_T0_E_clISt17integral_constantIbLb0EES1D_IbLb1EEEEDaS19_S1A_EUlS19_E_NS1_11comp_targetILNS1_3genE0ELNS1_11target_archE4294967295ELNS1_3gpuE0ELNS1_3repE0EEENS1_30default_config_static_selectorELNS0_4arch9wavefront6targetE1EEEvT1_.numbered_sgpr, 54
	.set _ZN7rocprim17ROCPRIM_400000_NS6detail17trampoline_kernelINS0_14default_configENS1_25partition_config_selectorILNS1_17partition_subalgoE8ElNS0_10empty_typeEbEEZZNS1_14partition_implILS5_8ELb0ES3_jPlPS6_PKS6_NS0_5tupleIJS9_S6_EEENSD_IJSA_SA_EEENS0_18inequality_wrapperIZN2at6native12_GLOBAL__N_124unique_dim_cuda_templateIN3c108BFloat16EEESt5tupleIJNSH_6TensorESO_SO_EERKSO_lbbbEUlllE0_EEPmJS6_EEE10hipError_tPvRmT3_T4_T5_T6_T7_T9_mT8_P12ihipStream_tbDpT10_ENKUlT_T0_E_clISt17integral_constantIbLb0EES1D_IbLb1EEEEDaS19_S1A_EUlS19_E_NS1_11comp_targetILNS1_3genE0ELNS1_11target_archE4294967295ELNS1_3gpuE0ELNS1_3repE0EEENS1_30default_config_static_selectorELNS0_4arch9wavefront6targetE1EEEvT1_.num_named_barrier, 0
	.set _ZN7rocprim17ROCPRIM_400000_NS6detail17trampoline_kernelINS0_14default_configENS1_25partition_config_selectorILNS1_17partition_subalgoE8ElNS0_10empty_typeEbEEZZNS1_14partition_implILS5_8ELb0ES3_jPlPS6_PKS6_NS0_5tupleIJS9_S6_EEENSD_IJSA_SA_EEENS0_18inequality_wrapperIZN2at6native12_GLOBAL__N_124unique_dim_cuda_templateIN3c108BFloat16EEESt5tupleIJNSH_6TensorESO_SO_EERKSO_lbbbEUlllE0_EEPmJS6_EEE10hipError_tPvRmT3_T4_T5_T6_T7_T9_mT8_P12ihipStream_tbDpT10_ENKUlT_T0_E_clISt17integral_constantIbLb0EES1D_IbLb1EEEEDaS19_S1A_EUlS19_E_NS1_11comp_targetILNS1_3genE0ELNS1_11target_archE4294967295ELNS1_3gpuE0ELNS1_3repE0EEENS1_30default_config_static_selectorELNS0_4arch9wavefront6targetE1EEEvT1_.private_seg_size, 0
	.set _ZN7rocprim17ROCPRIM_400000_NS6detail17trampoline_kernelINS0_14default_configENS1_25partition_config_selectorILNS1_17partition_subalgoE8ElNS0_10empty_typeEbEEZZNS1_14partition_implILS5_8ELb0ES3_jPlPS6_PKS6_NS0_5tupleIJS9_S6_EEENSD_IJSA_SA_EEENS0_18inequality_wrapperIZN2at6native12_GLOBAL__N_124unique_dim_cuda_templateIN3c108BFloat16EEESt5tupleIJNSH_6TensorESO_SO_EERKSO_lbbbEUlllE0_EEPmJS6_EEE10hipError_tPvRmT3_T4_T5_T6_T7_T9_mT8_P12ihipStream_tbDpT10_ENKUlT_T0_E_clISt17integral_constantIbLb0EES1D_IbLb1EEEEDaS19_S1A_EUlS19_E_NS1_11comp_targetILNS1_3genE0ELNS1_11target_archE4294967295ELNS1_3gpuE0ELNS1_3repE0EEENS1_30default_config_static_selectorELNS0_4arch9wavefront6targetE1EEEvT1_.uses_vcc, 1
	.set _ZN7rocprim17ROCPRIM_400000_NS6detail17trampoline_kernelINS0_14default_configENS1_25partition_config_selectorILNS1_17partition_subalgoE8ElNS0_10empty_typeEbEEZZNS1_14partition_implILS5_8ELb0ES3_jPlPS6_PKS6_NS0_5tupleIJS9_S6_EEENSD_IJSA_SA_EEENS0_18inequality_wrapperIZN2at6native12_GLOBAL__N_124unique_dim_cuda_templateIN3c108BFloat16EEESt5tupleIJNSH_6TensorESO_SO_EERKSO_lbbbEUlllE0_EEPmJS6_EEE10hipError_tPvRmT3_T4_T5_T6_T7_T9_mT8_P12ihipStream_tbDpT10_ENKUlT_T0_E_clISt17integral_constantIbLb0EES1D_IbLb1EEEEDaS19_S1A_EUlS19_E_NS1_11comp_targetILNS1_3genE0ELNS1_11target_archE4294967295ELNS1_3gpuE0ELNS1_3repE0EEENS1_30default_config_static_selectorELNS0_4arch9wavefront6targetE1EEEvT1_.uses_flat_scratch, 0
	.set _ZN7rocprim17ROCPRIM_400000_NS6detail17trampoline_kernelINS0_14default_configENS1_25partition_config_selectorILNS1_17partition_subalgoE8ElNS0_10empty_typeEbEEZZNS1_14partition_implILS5_8ELb0ES3_jPlPS6_PKS6_NS0_5tupleIJS9_S6_EEENSD_IJSA_SA_EEENS0_18inequality_wrapperIZN2at6native12_GLOBAL__N_124unique_dim_cuda_templateIN3c108BFloat16EEESt5tupleIJNSH_6TensorESO_SO_EERKSO_lbbbEUlllE0_EEPmJS6_EEE10hipError_tPvRmT3_T4_T5_T6_T7_T9_mT8_P12ihipStream_tbDpT10_ENKUlT_T0_E_clISt17integral_constantIbLb0EES1D_IbLb1EEEEDaS19_S1A_EUlS19_E_NS1_11comp_targetILNS1_3genE0ELNS1_11target_archE4294967295ELNS1_3gpuE0ELNS1_3repE0EEENS1_30default_config_static_selectorELNS0_4arch9wavefront6targetE1EEEvT1_.has_dyn_sized_stack, 0
	.set _ZN7rocprim17ROCPRIM_400000_NS6detail17trampoline_kernelINS0_14default_configENS1_25partition_config_selectorILNS1_17partition_subalgoE8ElNS0_10empty_typeEbEEZZNS1_14partition_implILS5_8ELb0ES3_jPlPS6_PKS6_NS0_5tupleIJS9_S6_EEENSD_IJSA_SA_EEENS0_18inequality_wrapperIZN2at6native12_GLOBAL__N_124unique_dim_cuda_templateIN3c108BFloat16EEESt5tupleIJNSH_6TensorESO_SO_EERKSO_lbbbEUlllE0_EEPmJS6_EEE10hipError_tPvRmT3_T4_T5_T6_T7_T9_mT8_P12ihipStream_tbDpT10_ENKUlT_T0_E_clISt17integral_constantIbLb0EES1D_IbLb1EEEEDaS19_S1A_EUlS19_E_NS1_11comp_targetILNS1_3genE0ELNS1_11target_archE4294967295ELNS1_3gpuE0ELNS1_3repE0EEENS1_30default_config_static_selectorELNS0_4arch9wavefront6targetE1EEEvT1_.has_recursion, 0
	.set _ZN7rocprim17ROCPRIM_400000_NS6detail17trampoline_kernelINS0_14default_configENS1_25partition_config_selectorILNS1_17partition_subalgoE8ElNS0_10empty_typeEbEEZZNS1_14partition_implILS5_8ELb0ES3_jPlPS6_PKS6_NS0_5tupleIJS9_S6_EEENSD_IJSA_SA_EEENS0_18inequality_wrapperIZN2at6native12_GLOBAL__N_124unique_dim_cuda_templateIN3c108BFloat16EEESt5tupleIJNSH_6TensorESO_SO_EERKSO_lbbbEUlllE0_EEPmJS6_EEE10hipError_tPvRmT3_T4_T5_T6_T7_T9_mT8_P12ihipStream_tbDpT10_ENKUlT_T0_E_clISt17integral_constantIbLb0EES1D_IbLb1EEEEDaS19_S1A_EUlS19_E_NS1_11comp_targetILNS1_3genE0ELNS1_11target_archE4294967295ELNS1_3gpuE0ELNS1_3repE0EEENS1_30default_config_static_selectorELNS0_4arch9wavefront6targetE1EEEvT1_.has_indirect_call, 0
	.section	.AMDGPU.csdata,"",@progbits
; Kernel info:
; codeLenInByte = 11344
; TotalNumSgprs: 60
; NumVgprs: 58
; NumAgprs: 0
; TotalNumVgprs: 58
; ScratchSize: 0
; MemoryBound: 0
; FloatMode: 240
; IeeeMode: 1
; LDSByteSize: 28680 bytes/workgroup (compile time only)
; SGPRBlocks: 7
; VGPRBlocks: 7
; NumSGPRsForWavesPerEU: 60
; NumVGPRsForWavesPerEU: 58
; AccumOffset: 60
; Occupancy: 8
; WaveLimiterHint : 1
; COMPUTE_PGM_RSRC2:SCRATCH_EN: 0
; COMPUTE_PGM_RSRC2:USER_SGPR: 2
; COMPUTE_PGM_RSRC2:TRAP_HANDLER: 0
; COMPUTE_PGM_RSRC2:TGID_X_EN: 1
; COMPUTE_PGM_RSRC2:TGID_Y_EN: 0
; COMPUTE_PGM_RSRC2:TGID_Z_EN: 0
; COMPUTE_PGM_RSRC2:TIDIG_COMP_CNT: 0
; COMPUTE_PGM_RSRC3_GFX90A:ACCUM_OFFSET: 14
; COMPUTE_PGM_RSRC3_GFX90A:TG_SPLIT: 0
	.section	.text._ZN7rocprim17ROCPRIM_400000_NS6detail17trampoline_kernelINS0_14default_configENS1_25partition_config_selectorILNS1_17partition_subalgoE8ElNS0_10empty_typeEbEEZZNS1_14partition_implILS5_8ELb0ES3_jPlPS6_PKS6_NS0_5tupleIJS9_S6_EEENSD_IJSA_SA_EEENS0_18inequality_wrapperIZN2at6native12_GLOBAL__N_124unique_dim_cuda_templateIN3c108BFloat16EEESt5tupleIJNSH_6TensorESO_SO_EERKSO_lbbbEUlllE0_EEPmJS6_EEE10hipError_tPvRmT3_T4_T5_T6_T7_T9_mT8_P12ihipStream_tbDpT10_ENKUlT_T0_E_clISt17integral_constantIbLb0EES1D_IbLb1EEEEDaS19_S1A_EUlS19_E_NS1_11comp_targetILNS1_3genE5ELNS1_11target_archE942ELNS1_3gpuE9ELNS1_3repE0EEENS1_30default_config_static_selectorELNS0_4arch9wavefront6targetE1EEEvT1_,"axG",@progbits,_ZN7rocprim17ROCPRIM_400000_NS6detail17trampoline_kernelINS0_14default_configENS1_25partition_config_selectorILNS1_17partition_subalgoE8ElNS0_10empty_typeEbEEZZNS1_14partition_implILS5_8ELb0ES3_jPlPS6_PKS6_NS0_5tupleIJS9_S6_EEENSD_IJSA_SA_EEENS0_18inequality_wrapperIZN2at6native12_GLOBAL__N_124unique_dim_cuda_templateIN3c108BFloat16EEESt5tupleIJNSH_6TensorESO_SO_EERKSO_lbbbEUlllE0_EEPmJS6_EEE10hipError_tPvRmT3_T4_T5_T6_T7_T9_mT8_P12ihipStream_tbDpT10_ENKUlT_T0_E_clISt17integral_constantIbLb0EES1D_IbLb1EEEEDaS19_S1A_EUlS19_E_NS1_11comp_targetILNS1_3genE5ELNS1_11target_archE942ELNS1_3gpuE9ELNS1_3repE0EEENS1_30default_config_static_selectorELNS0_4arch9wavefront6targetE1EEEvT1_,comdat
	.globl	_ZN7rocprim17ROCPRIM_400000_NS6detail17trampoline_kernelINS0_14default_configENS1_25partition_config_selectorILNS1_17partition_subalgoE8ElNS0_10empty_typeEbEEZZNS1_14partition_implILS5_8ELb0ES3_jPlPS6_PKS6_NS0_5tupleIJS9_S6_EEENSD_IJSA_SA_EEENS0_18inequality_wrapperIZN2at6native12_GLOBAL__N_124unique_dim_cuda_templateIN3c108BFloat16EEESt5tupleIJNSH_6TensorESO_SO_EERKSO_lbbbEUlllE0_EEPmJS6_EEE10hipError_tPvRmT3_T4_T5_T6_T7_T9_mT8_P12ihipStream_tbDpT10_ENKUlT_T0_E_clISt17integral_constantIbLb0EES1D_IbLb1EEEEDaS19_S1A_EUlS19_E_NS1_11comp_targetILNS1_3genE5ELNS1_11target_archE942ELNS1_3gpuE9ELNS1_3repE0EEENS1_30default_config_static_selectorELNS0_4arch9wavefront6targetE1EEEvT1_ ; -- Begin function _ZN7rocprim17ROCPRIM_400000_NS6detail17trampoline_kernelINS0_14default_configENS1_25partition_config_selectorILNS1_17partition_subalgoE8ElNS0_10empty_typeEbEEZZNS1_14partition_implILS5_8ELb0ES3_jPlPS6_PKS6_NS0_5tupleIJS9_S6_EEENSD_IJSA_SA_EEENS0_18inequality_wrapperIZN2at6native12_GLOBAL__N_124unique_dim_cuda_templateIN3c108BFloat16EEESt5tupleIJNSH_6TensorESO_SO_EERKSO_lbbbEUlllE0_EEPmJS6_EEE10hipError_tPvRmT3_T4_T5_T6_T7_T9_mT8_P12ihipStream_tbDpT10_ENKUlT_T0_E_clISt17integral_constantIbLb0EES1D_IbLb1EEEEDaS19_S1A_EUlS19_E_NS1_11comp_targetILNS1_3genE5ELNS1_11target_archE942ELNS1_3gpuE9ELNS1_3repE0EEENS1_30default_config_static_selectorELNS0_4arch9wavefront6targetE1EEEvT1_
	.p2align	8
	.type	_ZN7rocprim17ROCPRIM_400000_NS6detail17trampoline_kernelINS0_14default_configENS1_25partition_config_selectorILNS1_17partition_subalgoE8ElNS0_10empty_typeEbEEZZNS1_14partition_implILS5_8ELb0ES3_jPlPS6_PKS6_NS0_5tupleIJS9_S6_EEENSD_IJSA_SA_EEENS0_18inequality_wrapperIZN2at6native12_GLOBAL__N_124unique_dim_cuda_templateIN3c108BFloat16EEESt5tupleIJNSH_6TensorESO_SO_EERKSO_lbbbEUlllE0_EEPmJS6_EEE10hipError_tPvRmT3_T4_T5_T6_T7_T9_mT8_P12ihipStream_tbDpT10_ENKUlT_T0_E_clISt17integral_constantIbLb0EES1D_IbLb1EEEEDaS19_S1A_EUlS19_E_NS1_11comp_targetILNS1_3genE5ELNS1_11target_archE942ELNS1_3gpuE9ELNS1_3repE0EEENS1_30default_config_static_selectorELNS0_4arch9wavefront6targetE1EEEvT1_,@function
_ZN7rocprim17ROCPRIM_400000_NS6detail17trampoline_kernelINS0_14default_configENS1_25partition_config_selectorILNS1_17partition_subalgoE8ElNS0_10empty_typeEbEEZZNS1_14partition_implILS5_8ELb0ES3_jPlPS6_PKS6_NS0_5tupleIJS9_S6_EEENSD_IJSA_SA_EEENS0_18inequality_wrapperIZN2at6native12_GLOBAL__N_124unique_dim_cuda_templateIN3c108BFloat16EEESt5tupleIJNSH_6TensorESO_SO_EERKSO_lbbbEUlllE0_EEPmJS6_EEE10hipError_tPvRmT3_T4_T5_T6_T7_T9_mT8_P12ihipStream_tbDpT10_ENKUlT_T0_E_clISt17integral_constantIbLb0EES1D_IbLb1EEEEDaS19_S1A_EUlS19_E_NS1_11comp_targetILNS1_3genE5ELNS1_11target_archE942ELNS1_3gpuE9ELNS1_3repE0EEENS1_30default_config_static_selectorELNS0_4arch9wavefront6targetE1EEEvT1_: ; @_ZN7rocprim17ROCPRIM_400000_NS6detail17trampoline_kernelINS0_14default_configENS1_25partition_config_selectorILNS1_17partition_subalgoE8ElNS0_10empty_typeEbEEZZNS1_14partition_implILS5_8ELb0ES3_jPlPS6_PKS6_NS0_5tupleIJS9_S6_EEENSD_IJSA_SA_EEENS0_18inequality_wrapperIZN2at6native12_GLOBAL__N_124unique_dim_cuda_templateIN3c108BFloat16EEESt5tupleIJNSH_6TensorESO_SO_EERKSO_lbbbEUlllE0_EEPmJS6_EEE10hipError_tPvRmT3_T4_T5_T6_T7_T9_mT8_P12ihipStream_tbDpT10_ENKUlT_T0_E_clISt17integral_constantIbLb0EES1D_IbLb1EEEEDaS19_S1A_EUlS19_E_NS1_11comp_targetILNS1_3genE5ELNS1_11target_archE942ELNS1_3gpuE9ELNS1_3repE0EEENS1_30default_config_static_selectorELNS0_4arch9wavefront6targetE1EEEvT1_
; %bb.0:
	.section	.rodata,"a",@progbits
	.p2align	6, 0x0
	.amdhsa_kernel _ZN7rocprim17ROCPRIM_400000_NS6detail17trampoline_kernelINS0_14default_configENS1_25partition_config_selectorILNS1_17partition_subalgoE8ElNS0_10empty_typeEbEEZZNS1_14partition_implILS5_8ELb0ES3_jPlPS6_PKS6_NS0_5tupleIJS9_S6_EEENSD_IJSA_SA_EEENS0_18inequality_wrapperIZN2at6native12_GLOBAL__N_124unique_dim_cuda_templateIN3c108BFloat16EEESt5tupleIJNSH_6TensorESO_SO_EERKSO_lbbbEUlllE0_EEPmJS6_EEE10hipError_tPvRmT3_T4_T5_T6_T7_T9_mT8_P12ihipStream_tbDpT10_ENKUlT_T0_E_clISt17integral_constantIbLb0EES1D_IbLb1EEEEDaS19_S1A_EUlS19_E_NS1_11comp_targetILNS1_3genE5ELNS1_11target_archE942ELNS1_3gpuE9ELNS1_3repE0EEENS1_30default_config_static_selectorELNS0_4arch9wavefront6targetE1EEEvT1_
		.amdhsa_group_segment_fixed_size 0
		.amdhsa_private_segment_fixed_size 0
		.amdhsa_kernarg_size 136
		.amdhsa_user_sgpr_count 2
		.amdhsa_user_sgpr_dispatch_ptr 0
		.amdhsa_user_sgpr_queue_ptr 0
		.amdhsa_user_sgpr_kernarg_segment_ptr 1
		.amdhsa_user_sgpr_dispatch_id 0
		.amdhsa_user_sgpr_kernarg_preload_length 0
		.amdhsa_user_sgpr_kernarg_preload_offset 0
		.amdhsa_user_sgpr_private_segment_size 0
		.amdhsa_uses_dynamic_stack 0
		.amdhsa_enable_private_segment 0
		.amdhsa_system_sgpr_workgroup_id_x 1
		.amdhsa_system_sgpr_workgroup_id_y 0
		.amdhsa_system_sgpr_workgroup_id_z 0
		.amdhsa_system_sgpr_workgroup_info 0
		.amdhsa_system_vgpr_workitem_id 0
		.amdhsa_next_free_vgpr 1
		.amdhsa_next_free_sgpr 0
		.amdhsa_accum_offset 4
		.amdhsa_reserve_vcc 0
		.amdhsa_float_round_mode_32 0
		.amdhsa_float_round_mode_16_64 0
		.amdhsa_float_denorm_mode_32 3
		.amdhsa_float_denorm_mode_16_64 3
		.amdhsa_dx10_clamp 1
		.amdhsa_ieee_mode 1
		.amdhsa_fp16_overflow 0
		.amdhsa_tg_split 0
		.amdhsa_exception_fp_ieee_invalid_op 0
		.amdhsa_exception_fp_denorm_src 0
		.amdhsa_exception_fp_ieee_div_zero 0
		.amdhsa_exception_fp_ieee_overflow 0
		.amdhsa_exception_fp_ieee_underflow 0
		.amdhsa_exception_fp_ieee_inexact 0
		.amdhsa_exception_int_div_zero 0
	.end_amdhsa_kernel
	.section	.text._ZN7rocprim17ROCPRIM_400000_NS6detail17trampoline_kernelINS0_14default_configENS1_25partition_config_selectorILNS1_17partition_subalgoE8ElNS0_10empty_typeEbEEZZNS1_14partition_implILS5_8ELb0ES3_jPlPS6_PKS6_NS0_5tupleIJS9_S6_EEENSD_IJSA_SA_EEENS0_18inequality_wrapperIZN2at6native12_GLOBAL__N_124unique_dim_cuda_templateIN3c108BFloat16EEESt5tupleIJNSH_6TensorESO_SO_EERKSO_lbbbEUlllE0_EEPmJS6_EEE10hipError_tPvRmT3_T4_T5_T6_T7_T9_mT8_P12ihipStream_tbDpT10_ENKUlT_T0_E_clISt17integral_constantIbLb0EES1D_IbLb1EEEEDaS19_S1A_EUlS19_E_NS1_11comp_targetILNS1_3genE5ELNS1_11target_archE942ELNS1_3gpuE9ELNS1_3repE0EEENS1_30default_config_static_selectorELNS0_4arch9wavefront6targetE1EEEvT1_,"axG",@progbits,_ZN7rocprim17ROCPRIM_400000_NS6detail17trampoline_kernelINS0_14default_configENS1_25partition_config_selectorILNS1_17partition_subalgoE8ElNS0_10empty_typeEbEEZZNS1_14partition_implILS5_8ELb0ES3_jPlPS6_PKS6_NS0_5tupleIJS9_S6_EEENSD_IJSA_SA_EEENS0_18inequality_wrapperIZN2at6native12_GLOBAL__N_124unique_dim_cuda_templateIN3c108BFloat16EEESt5tupleIJNSH_6TensorESO_SO_EERKSO_lbbbEUlllE0_EEPmJS6_EEE10hipError_tPvRmT3_T4_T5_T6_T7_T9_mT8_P12ihipStream_tbDpT10_ENKUlT_T0_E_clISt17integral_constantIbLb0EES1D_IbLb1EEEEDaS19_S1A_EUlS19_E_NS1_11comp_targetILNS1_3genE5ELNS1_11target_archE942ELNS1_3gpuE9ELNS1_3repE0EEENS1_30default_config_static_selectorELNS0_4arch9wavefront6targetE1EEEvT1_,comdat
.Lfunc_end1199:
	.size	_ZN7rocprim17ROCPRIM_400000_NS6detail17trampoline_kernelINS0_14default_configENS1_25partition_config_selectorILNS1_17partition_subalgoE8ElNS0_10empty_typeEbEEZZNS1_14partition_implILS5_8ELb0ES3_jPlPS6_PKS6_NS0_5tupleIJS9_S6_EEENSD_IJSA_SA_EEENS0_18inequality_wrapperIZN2at6native12_GLOBAL__N_124unique_dim_cuda_templateIN3c108BFloat16EEESt5tupleIJNSH_6TensorESO_SO_EERKSO_lbbbEUlllE0_EEPmJS6_EEE10hipError_tPvRmT3_T4_T5_T6_T7_T9_mT8_P12ihipStream_tbDpT10_ENKUlT_T0_E_clISt17integral_constantIbLb0EES1D_IbLb1EEEEDaS19_S1A_EUlS19_E_NS1_11comp_targetILNS1_3genE5ELNS1_11target_archE942ELNS1_3gpuE9ELNS1_3repE0EEENS1_30default_config_static_selectorELNS0_4arch9wavefront6targetE1EEEvT1_, .Lfunc_end1199-_ZN7rocprim17ROCPRIM_400000_NS6detail17trampoline_kernelINS0_14default_configENS1_25partition_config_selectorILNS1_17partition_subalgoE8ElNS0_10empty_typeEbEEZZNS1_14partition_implILS5_8ELb0ES3_jPlPS6_PKS6_NS0_5tupleIJS9_S6_EEENSD_IJSA_SA_EEENS0_18inequality_wrapperIZN2at6native12_GLOBAL__N_124unique_dim_cuda_templateIN3c108BFloat16EEESt5tupleIJNSH_6TensorESO_SO_EERKSO_lbbbEUlllE0_EEPmJS6_EEE10hipError_tPvRmT3_T4_T5_T6_T7_T9_mT8_P12ihipStream_tbDpT10_ENKUlT_T0_E_clISt17integral_constantIbLb0EES1D_IbLb1EEEEDaS19_S1A_EUlS19_E_NS1_11comp_targetILNS1_3genE5ELNS1_11target_archE942ELNS1_3gpuE9ELNS1_3repE0EEENS1_30default_config_static_selectorELNS0_4arch9wavefront6targetE1EEEvT1_
                                        ; -- End function
	.set _ZN7rocprim17ROCPRIM_400000_NS6detail17trampoline_kernelINS0_14default_configENS1_25partition_config_selectorILNS1_17partition_subalgoE8ElNS0_10empty_typeEbEEZZNS1_14partition_implILS5_8ELb0ES3_jPlPS6_PKS6_NS0_5tupleIJS9_S6_EEENSD_IJSA_SA_EEENS0_18inequality_wrapperIZN2at6native12_GLOBAL__N_124unique_dim_cuda_templateIN3c108BFloat16EEESt5tupleIJNSH_6TensorESO_SO_EERKSO_lbbbEUlllE0_EEPmJS6_EEE10hipError_tPvRmT3_T4_T5_T6_T7_T9_mT8_P12ihipStream_tbDpT10_ENKUlT_T0_E_clISt17integral_constantIbLb0EES1D_IbLb1EEEEDaS19_S1A_EUlS19_E_NS1_11comp_targetILNS1_3genE5ELNS1_11target_archE942ELNS1_3gpuE9ELNS1_3repE0EEENS1_30default_config_static_selectorELNS0_4arch9wavefront6targetE1EEEvT1_.num_vgpr, 0
	.set _ZN7rocprim17ROCPRIM_400000_NS6detail17trampoline_kernelINS0_14default_configENS1_25partition_config_selectorILNS1_17partition_subalgoE8ElNS0_10empty_typeEbEEZZNS1_14partition_implILS5_8ELb0ES3_jPlPS6_PKS6_NS0_5tupleIJS9_S6_EEENSD_IJSA_SA_EEENS0_18inequality_wrapperIZN2at6native12_GLOBAL__N_124unique_dim_cuda_templateIN3c108BFloat16EEESt5tupleIJNSH_6TensorESO_SO_EERKSO_lbbbEUlllE0_EEPmJS6_EEE10hipError_tPvRmT3_T4_T5_T6_T7_T9_mT8_P12ihipStream_tbDpT10_ENKUlT_T0_E_clISt17integral_constantIbLb0EES1D_IbLb1EEEEDaS19_S1A_EUlS19_E_NS1_11comp_targetILNS1_3genE5ELNS1_11target_archE942ELNS1_3gpuE9ELNS1_3repE0EEENS1_30default_config_static_selectorELNS0_4arch9wavefront6targetE1EEEvT1_.num_agpr, 0
	.set _ZN7rocprim17ROCPRIM_400000_NS6detail17trampoline_kernelINS0_14default_configENS1_25partition_config_selectorILNS1_17partition_subalgoE8ElNS0_10empty_typeEbEEZZNS1_14partition_implILS5_8ELb0ES3_jPlPS6_PKS6_NS0_5tupleIJS9_S6_EEENSD_IJSA_SA_EEENS0_18inequality_wrapperIZN2at6native12_GLOBAL__N_124unique_dim_cuda_templateIN3c108BFloat16EEESt5tupleIJNSH_6TensorESO_SO_EERKSO_lbbbEUlllE0_EEPmJS6_EEE10hipError_tPvRmT3_T4_T5_T6_T7_T9_mT8_P12ihipStream_tbDpT10_ENKUlT_T0_E_clISt17integral_constantIbLb0EES1D_IbLb1EEEEDaS19_S1A_EUlS19_E_NS1_11comp_targetILNS1_3genE5ELNS1_11target_archE942ELNS1_3gpuE9ELNS1_3repE0EEENS1_30default_config_static_selectorELNS0_4arch9wavefront6targetE1EEEvT1_.numbered_sgpr, 0
	.set _ZN7rocprim17ROCPRIM_400000_NS6detail17trampoline_kernelINS0_14default_configENS1_25partition_config_selectorILNS1_17partition_subalgoE8ElNS0_10empty_typeEbEEZZNS1_14partition_implILS5_8ELb0ES3_jPlPS6_PKS6_NS0_5tupleIJS9_S6_EEENSD_IJSA_SA_EEENS0_18inequality_wrapperIZN2at6native12_GLOBAL__N_124unique_dim_cuda_templateIN3c108BFloat16EEESt5tupleIJNSH_6TensorESO_SO_EERKSO_lbbbEUlllE0_EEPmJS6_EEE10hipError_tPvRmT3_T4_T5_T6_T7_T9_mT8_P12ihipStream_tbDpT10_ENKUlT_T0_E_clISt17integral_constantIbLb0EES1D_IbLb1EEEEDaS19_S1A_EUlS19_E_NS1_11comp_targetILNS1_3genE5ELNS1_11target_archE942ELNS1_3gpuE9ELNS1_3repE0EEENS1_30default_config_static_selectorELNS0_4arch9wavefront6targetE1EEEvT1_.num_named_barrier, 0
	.set _ZN7rocprim17ROCPRIM_400000_NS6detail17trampoline_kernelINS0_14default_configENS1_25partition_config_selectorILNS1_17partition_subalgoE8ElNS0_10empty_typeEbEEZZNS1_14partition_implILS5_8ELb0ES3_jPlPS6_PKS6_NS0_5tupleIJS9_S6_EEENSD_IJSA_SA_EEENS0_18inequality_wrapperIZN2at6native12_GLOBAL__N_124unique_dim_cuda_templateIN3c108BFloat16EEESt5tupleIJNSH_6TensorESO_SO_EERKSO_lbbbEUlllE0_EEPmJS6_EEE10hipError_tPvRmT3_T4_T5_T6_T7_T9_mT8_P12ihipStream_tbDpT10_ENKUlT_T0_E_clISt17integral_constantIbLb0EES1D_IbLb1EEEEDaS19_S1A_EUlS19_E_NS1_11comp_targetILNS1_3genE5ELNS1_11target_archE942ELNS1_3gpuE9ELNS1_3repE0EEENS1_30default_config_static_selectorELNS0_4arch9wavefront6targetE1EEEvT1_.private_seg_size, 0
	.set _ZN7rocprim17ROCPRIM_400000_NS6detail17trampoline_kernelINS0_14default_configENS1_25partition_config_selectorILNS1_17partition_subalgoE8ElNS0_10empty_typeEbEEZZNS1_14partition_implILS5_8ELb0ES3_jPlPS6_PKS6_NS0_5tupleIJS9_S6_EEENSD_IJSA_SA_EEENS0_18inequality_wrapperIZN2at6native12_GLOBAL__N_124unique_dim_cuda_templateIN3c108BFloat16EEESt5tupleIJNSH_6TensorESO_SO_EERKSO_lbbbEUlllE0_EEPmJS6_EEE10hipError_tPvRmT3_T4_T5_T6_T7_T9_mT8_P12ihipStream_tbDpT10_ENKUlT_T0_E_clISt17integral_constantIbLb0EES1D_IbLb1EEEEDaS19_S1A_EUlS19_E_NS1_11comp_targetILNS1_3genE5ELNS1_11target_archE942ELNS1_3gpuE9ELNS1_3repE0EEENS1_30default_config_static_selectorELNS0_4arch9wavefront6targetE1EEEvT1_.uses_vcc, 0
	.set _ZN7rocprim17ROCPRIM_400000_NS6detail17trampoline_kernelINS0_14default_configENS1_25partition_config_selectorILNS1_17partition_subalgoE8ElNS0_10empty_typeEbEEZZNS1_14partition_implILS5_8ELb0ES3_jPlPS6_PKS6_NS0_5tupleIJS9_S6_EEENSD_IJSA_SA_EEENS0_18inequality_wrapperIZN2at6native12_GLOBAL__N_124unique_dim_cuda_templateIN3c108BFloat16EEESt5tupleIJNSH_6TensorESO_SO_EERKSO_lbbbEUlllE0_EEPmJS6_EEE10hipError_tPvRmT3_T4_T5_T6_T7_T9_mT8_P12ihipStream_tbDpT10_ENKUlT_T0_E_clISt17integral_constantIbLb0EES1D_IbLb1EEEEDaS19_S1A_EUlS19_E_NS1_11comp_targetILNS1_3genE5ELNS1_11target_archE942ELNS1_3gpuE9ELNS1_3repE0EEENS1_30default_config_static_selectorELNS0_4arch9wavefront6targetE1EEEvT1_.uses_flat_scratch, 0
	.set _ZN7rocprim17ROCPRIM_400000_NS6detail17trampoline_kernelINS0_14default_configENS1_25partition_config_selectorILNS1_17partition_subalgoE8ElNS0_10empty_typeEbEEZZNS1_14partition_implILS5_8ELb0ES3_jPlPS6_PKS6_NS0_5tupleIJS9_S6_EEENSD_IJSA_SA_EEENS0_18inequality_wrapperIZN2at6native12_GLOBAL__N_124unique_dim_cuda_templateIN3c108BFloat16EEESt5tupleIJNSH_6TensorESO_SO_EERKSO_lbbbEUlllE0_EEPmJS6_EEE10hipError_tPvRmT3_T4_T5_T6_T7_T9_mT8_P12ihipStream_tbDpT10_ENKUlT_T0_E_clISt17integral_constantIbLb0EES1D_IbLb1EEEEDaS19_S1A_EUlS19_E_NS1_11comp_targetILNS1_3genE5ELNS1_11target_archE942ELNS1_3gpuE9ELNS1_3repE0EEENS1_30default_config_static_selectorELNS0_4arch9wavefront6targetE1EEEvT1_.has_dyn_sized_stack, 0
	.set _ZN7rocprim17ROCPRIM_400000_NS6detail17trampoline_kernelINS0_14default_configENS1_25partition_config_selectorILNS1_17partition_subalgoE8ElNS0_10empty_typeEbEEZZNS1_14partition_implILS5_8ELb0ES3_jPlPS6_PKS6_NS0_5tupleIJS9_S6_EEENSD_IJSA_SA_EEENS0_18inequality_wrapperIZN2at6native12_GLOBAL__N_124unique_dim_cuda_templateIN3c108BFloat16EEESt5tupleIJNSH_6TensorESO_SO_EERKSO_lbbbEUlllE0_EEPmJS6_EEE10hipError_tPvRmT3_T4_T5_T6_T7_T9_mT8_P12ihipStream_tbDpT10_ENKUlT_T0_E_clISt17integral_constantIbLb0EES1D_IbLb1EEEEDaS19_S1A_EUlS19_E_NS1_11comp_targetILNS1_3genE5ELNS1_11target_archE942ELNS1_3gpuE9ELNS1_3repE0EEENS1_30default_config_static_selectorELNS0_4arch9wavefront6targetE1EEEvT1_.has_recursion, 0
	.set _ZN7rocprim17ROCPRIM_400000_NS6detail17trampoline_kernelINS0_14default_configENS1_25partition_config_selectorILNS1_17partition_subalgoE8ElNS0_10empty_typeEbEEZZNS1_14partition_implILS5_8ELb0ES3_jPlPS6_PKS6_NS0_5tupleIJS9_S6_EEENSD_IJSA_SA_EEENS0_18inequality_wrapperIZN2at6native12_GLOBAL__N_124unique_dim_cuda_templateIN3c108BFloat16EEESt5tupleIJNSH_6TensorESO_SO_EERKSO_lbbbEUlllE0_EEPmJS6_EEE10hipError_tPvRmT3_T4_T5_T6_T7_T9_mT8_P12ihipStream_tbDpT10_ENKUlT_T0_E_clISt17integral_constantIbLb0EES1D_IbLb1EEEEDaS19_S1A_EUlS19_E_NS1_11comp_targetILNS1_3genE5ELNS1_11target_archE942ELNS1_3gpuE9ELNS1_3repE0EEENS1_30default_config_static_selectorELNS0_4arch9wavefront6targetE1EEEvT1_.has_indirect_call, 0
	.section	.AMDGPU.csdata,"",@progbits
; Kernel info:
; codeLenInByte = 0
; TotalNumSgprs: 6
; NumVgprs: 0
; NumAgprs: 0
; TotalNumVgprs: 0
; ScratchSize: 0
; MemoryBound: 0
; FloatMode: 240
; IeeeMode: 1
; LDSByteSize: 0 bytes/workgroup (compile time only)
; SGPRBlocks: 0
; VGPRBlocks: 0
; NumSGPRsForWavesPerEU: 6
; NumVGPRsForWavesPerEU: 1
; AccumOffset: 4
; Occupancy: 8
; WaveLimiterHint : 0
; COMPUTE_PGM_RSRC2:SCRATCH_EN: 0
; COMPUTE_PGM_RSRC2:USER_SGPR: 2
; COMPUTE_PGM_RSRC2:TRAP_HANDLER: 0
; COMPUTE_PGM_RSRC2:TGID_X_EN: 1
; COMPUTE_PGM_RSRC2:TGID_Y_EN: 0
; COMPUTE_PGM_RSRC2:TGID_Z_EN: 0
; COMPUTE_PGM_RSRC2:TIDIG_COMP_CNT: 0
; COMPUTE_PGM_RSRC3_GFX90A:ACCUM_OFFSET: 0
; COMPUTE_PGM_RSRC3_GFX90A:TG_SPLIT: 0
	.section	.text._ZN7rocprim17ROCPRIM_400000_NS6detail17trampoline_kernelINS0_14default_configENS1_25partition_config_selectorILNS1_17partition_subalgoE8ElNS0_10empty_typeEbEEZZNS1_14partition_implILS5_8ELb0ES3_jPlPS6_PKS6_NS0_5tupleIJS9_S6_EEENSD_IJSA_SA_EEENS0_18inequality_wrapperIZN2at6native12_GLOBAL__N_124unique_dim_cuda_templateIN3c108BFloat16EEESt5tupleIJNSH_6TensorESO_SO_EERKSO_lbbbEUlllE0_EEPmJS6_EEE10hipError_tPvRmT3_T4_T5_T6_T7_T9_mT8_P12ihipStream_tbDpT10_ENKUlT_T0_E_clISt17integral_constantIbLb0EES1D_IbLb1EEEEDaS19_S1A_EUlS19_E_NS1_11comp_targetILNS1_3genE4ELNS1_11target_archE910ELNS1_3gpuE8ELNS1_3repE0EEENS1_30default_config_static_selectorELNS0_4arch9wavefront6targetE1EEEvT1_,"axG",@progbits,_ZN7rocprim17ROCPRIM_400000_NS6detail17trampoline_kernelINS0_14default_configENS1_25partition_config_selectorILNS1_17partition_subalgoE8ElNS0_10empty_typeEbEEZZNS1_14partition_implILS5_8ELb0ES3_jPlPS6_PKS6_NS0_5tupleIJS9_S6_EEENSD_IJSA_SA_EEENS0_18inequality_wrapperIZN2at6native12_GLOBAL__N_124unique_dim_cuda_templateIN3c108BFloat16EEESt5tupleIJNSH_6TensorESO_SO_EERKSO_lbbbEUlllE0_EEPmJS6_EEE10hipError_tPvRmT3_T4_T5_T6_T7_T9_mT8_P12ihipStream_tbDpT10_ENKUlT_T0_E_clISt17integral_constantIbLb0EES1D_IbLb1EEEEDaS19_S1A_EUlS19_E_NS1_11comp_targetILNS1_3genE4ELNS1_11target_archE910ELNS1_3gpuE8ELNS1_3repE0EEENS1_30default_config_static_selectorELNS0_4arch9wavefront6targetE1EEEvT1_,comdat
	.globl	_ZN7rocprim17ROCPRIM_400000_NS6detail17trampoline_kernelINS0_14default_configENS1_25partition_config_selectorILNS1_17partition_subalgoE8ElNS0_10empty_typeEbEEZZNS1_14partition_implILS5_8ELb0ES3_jPlPS6_PKS6_NS0_5tupleIJS9_S6_EEENSD_IJSA_SA_EEENS0_18inequality_wrapperIZN2at6native12_GLOBAL__N_124unique_dim_cuda_templateIN3c108BFloat16EEESt5tupleIJNSH_6TensorESO_SO_EERKSO_lbbbEUlllE0_EEPmJS6_EEE10hipError_tPvRmT3_T4_T5_T6_T7_T9_mT8_P12ihipStream_tbDpT10_ENKUlT_T0_E_clISt17integral_constantIbLb0EES1D_IbLb1EEEEDaS19_S1A_EUlS19_E_NS1_11comp_targetILNS1_3genE4ELNS1_11target_archE910ELNS1_3gpuE8ELNS1_3repE0EEENS1_30default_config_static_selectorELNS0_4arch9wavefront6targetE1EEEvT1_ ; -- Begin function _ZN7rocprim17ROCPRIM_400000_NS6detail17trampoline_kernelINS0_14default_configENS1_25partition_config_selectorILNS1_17partition_subalgoE8ElNS0_10empty_typeEbEEZZNS1_14partition_implILS5_8ELb0ES3_jPlPS6_PKS6_NS0_5tupleIJS9_S6_EEENSD_IJSA_SA_EEENS0_18inequality_wrapperIZN2at6native12_GLOBAL__N_124unique_dim_cuda_templateIN3c108BFloat16EEESt5tupleIJNSH_6TensorESO_SO_EERKSO_lbbbEUlllE0_EEPmJS6_EEE10hipError_tPvRmT3_T4_T5_T6_T7_T9_mT8_P12ihipStream_tbDpT10_ENKUlT_T0_E_clISt17integral_constantIbLb0EES1D_IbLb1EEEEDaS19_S1A_EUlS19_E_NS1_11comp_targetILNS1_3genE4ELNS1_11target_archE910ELNS1_3gpuE8ELNS1_3repE0EEENS1_30default_config_static_selectorELNS0_4arch9wavefront6targetE1EEEvT1_
	.p2align	8
	.type	_ZN7rocprim17ROCPRIM_400000_NS6detail17trampoline_kernelINS0_14default_configENS1_25partition_config_selectorILNS1_17partition_subalgoE8ElNS0_10empty_typeEbEEZZNS1_14partition_implILS5_8ELb0ES3_jPlPS6_PKS6_NS0_5tupleIJS9_S6_EEENSD_IJSA_SA_EEENS0_18inequality_wrapperIZN2at6native12_GLOBAL__N_124unique_dim_cuda_templateIN3c108BFloat16EEESt5tupleIJNSH_6TensorESO_SO_EERKSO_lbbbEUlllE0_EEPmJS6_EEE10hipError_tPvRmT3_T4_T5_T6_T7_T9_mT8_P12ihipStream_tbDpT10_ENKUlT_T0_E_clISt17integral_constantIbLb0EES1D_IbLb1EEEEDaS19_S1A_EUlS19_E_NS1_11comp_targetILNS1_3genE4ELNS1_11target_archE910ELNS1_3gpuE8ELNS1_3repE0EEENS1_30default_config_static_selectorELNS0_4arch9wavefront6targetE1EEEvT1_,@function
_ZN7rocprim17ROCPRIM_400000_NS6detail17trampoline_kernelINS0_14default_configENS1_25partition_config_selectorILNS1_17partition_subalgoE8ElNS0_10empty_typeEbEEZZNS1_14partition_implILS5_8ELb0ES3_jPlPS6_PKS6_NS0_5tupleIJS9_S6_EEENSD_IJSA_SA_EEENS0_18inequality_wrapperIZN2at6native12_GLOBAL__N_124unique_dim_cuda_templateIN3c108BFloat16EEESt5tupleIJNSH_6TensorESO_SO_EERKSO_lbbbEUlllE0_EEPmJS6_EEE10hipError_tPvRmT3_T4_T5_T6_T7_T9_mT8_P12ihipStream_tbDpT10_ENKUlT_T0_E_clISt17integral_constantIbLb0EES1D_IbLb1EEEEDaS19_S1A_EUlS19_E_NS1_11comp_targetILNS1_3genE4ELNS1_11target_archE910ELNS1_3gpuE8ELNS1_3repE0EEENS1_30default_config_static_selectorELNS0_4arch9wavefront6targetE1EEEvT1_: ; @_ZN7rocprim17ROCPRIM_400000_NS6detail17trampoline_kernelINS0_14default_configENS1_25partition_config_selectorILNS1_17partition_subalgoE8ElNS0_10empty_typeEbEEZZNS1_14partition_implILS5_8ELb0ES3_jPlPS6_PKS6_NS0_5tupleIJS9_S6_EEENSD_IJSA_SA_EEENS0_18inequality_wrapperIZN2at6native12_GLOBAL__N_124unique_dim_cuda_templateIN3c108BFloat16EEESt5tupleIJNSH_6TensorESO_SO_EERKSO_lbbbEUlllE0_EEPmJS6_EEE10hipError_tPvRmT3_T4_T5_T6_T7_T9_mT8_P12ihipStream_tbDpT10_ENKUlT_T0_E_clISt17integral_constantIbLb0EES1D_IbLb1EEEEDaS19_S1A_EUlS19_E_NS1_11comp_targetILNS1_3genE4ELNS1_11target_archE910ELNS1_3gpuE8ELNS1_3repE0EEENS1_30default_config_static_selectorELNS0_4arch9wavefront6targetE1EEEvT1_
; %bb.0:
	.section	.rodata,"a",@progbits
	.p2align	6, 0x0
	.amdhsa_kernel _ZN7rocprim17ROCPRIM_400000_NS6detail17trampoline_kernelINS0_14default_configENS1_25partition_config_selectorILNS1_17partition_subalgoE8ElNS0_10empty_typeEbEEZZNS1_14partition_implILS5_8ELb0ES3_jPlPS6_PKS6_NS0_5tupleIJS9_S6_EEENSD_IJSA_SA_EEENS0_18inequality_wrapperIZN2at6native12_GLOBAL__N_124unique_dim_cuda_templateIN3c108BFloat16EEESt5tupleIJNSH_6TensorESO_SO_EERKSO_lbbbEUlllE0_EEPmJS6_EEE10hipError_tPvRmT3_T4_T5_T6_T7_T9_mT8_P12ihipStream_tbDpT10_ENKUlT_T0_E_clISt17integral_constantIbLb0EES1D_IbLb1EEEEDaS19_S1A_EUlS19_E_NS1_11comp_targetILNS1_3genE4ELNS1_11target_archE910ELNS1_3gpuE8ELNS1_3repE0EEENS1_30default_config_static_selectorELNS0_4arch9wavefront6targetE1EEEvT1_
		.amdhsa_group_segment_fixed_size 0
		.amdhsa_private_segment_fixed_size 0
		.amdhsa_kernarg_size 136
		.amdhsa_user_sgpr_count 2
		.amdhsa_user_sgpr_dispatch_ptr 0
		.amdhsa_user_sgpr_queue_ptr 0
		.amdhsa_user_sgpr_kernarg_segment_ptr 1
		.amdhsa_user_sgpr_dispatch_id 0
		.amdhsa_user_sgpr_kernarg_preload_length 0
		.amdhsa_user_sgpr_kernarg_preload_offset 0
		.amdhsa_user_sgpr_private_segment_size 0
		.amdhsa_uses_dynamic_stack 0
		.amdhsa_enable_private_segment 0
		.amdhsa_system_sgpr_workgroup_id_x 1
		.amdhsa_system_sgpr_workgroup_id_y 0
		.amdhsa_system_sgpr_workgroup_id_z 0
		.amdhsa_system_sgpr_workgroup_info 0
		.amdhsa_system_vgpr_workitem_id 0
		.amdhsa_next_free_vgpr 1
		.amdhsa_next_free_sgpr 0
		.amdhsa_accum_offset 4
		.amdhsa_reserve_vcc 0
		.amdhsa_float_round_mode_32 0
		.amdhsa_float_round_mode_16_64 0
		.amdhsa_float_denorm_mode_32 3
		.amdhsa_float_denorm_mode_16_64 3
		.amdhsa_dx10_clamp 1
		.amdhsa_ieee_mode 1
		.amdhsa_fp16_overflow 0
		.amdhsa_tg_split 0
		.amdhsa_exception_fp_ieee_invalid_op 0
		.amdhsa_exception_fp_denorm_src 0
		.amdhsa_exception_fp_ieee_div_zero 0
		.amdhsa_exception_fp_ieee_overflow 0
		.amdhsa_exception_fp_ieee_underflow 0
		.amdhsa_exception_fp_ieee_inexact 0
		.amdhsa_exception_int_div_zero 0
	.end_amdhsa_kernel
	.section	.text._ZN7rocprim17ROCPRIM_400000_NS6detail17trampoline_kernelINS0_14default_configENS1_25partition_config_selectorILNS1_17partition_subalgoE8ElNS0_10empty_typeEbEEZZNS1_14partition_implILS5_8ELb0ES3_jPlPS6_PKS6_NS0_5tupleIJS9_S6_EEENSD_IJSA_SA_EEENS0_18inequality_wrapperIZN2at6native12_GLOBAL__N_124unique_dim_cuda_templateIN3c108BFloat16EEESt5tupleIJNSH_6TensorESO_SO_EERKSO_lbbbEUlllE0_EEPmJS6_EEE10hipError_tPvRmT3_T4_T5_T6_T7_T9_mT8_P12ihipStream_tbDpT10_ENKUlT_T0_E_clISt17integral_constantIbLb0EES1D_IbLb1EEEEDaS19_S1A_EUlS19_E_NS1_11comp_targetILNS1_3genE4ELNS1_11target_archE910ELNS1_3gpuE8ELNS1_3repE0EEENS1_30default_config_static_selectorELNS0_4arch9wavefront6targetE1EEEvT1_,"axG",@progbits,_ZN7rocprim17ROCPRIM_400000_NS6detail17trampoline_kernelINS0_14default_configENS1_25partition_config_selectorILNS1_17partition_subalgoE8ElNS0_10empty_typeEbEEZZNS1_14partition_implILS5_8ELb0ES3_jPlPS6_PKS6_NS0_5tupleIJS9_S6_EEENSD_IJSA_SA_EEENS0_18inequality_wrapperIZN2at6native12_GLOBAL__N_124unique_dim_cuda_templateIN3c108BFloat16EEESt5tupleIJNSH_6TensorESO_SO_EERKSO_lbbbEUlllE0_EEPmJS6_EEE10hipError_tPvRmT3_T4_T5_T6_T7_T9_mT8_P12ihipStream_tbDpT10_ENKUlT_T0_E_clISt17integral_constantIbLb0EES1D_IbLb1EEEEDaS19_S1A_EUlS19_E_NS1_11comp_targetILNS1_3genE4ELNS1_11target_archE910ELNS1_3gpuE8ELNS1_3repE0EEENS1_30default_config_static_selectorELNS0_4arch9wavefront6targetE1EEEvT1_,comdat
.Lfunc_end1200:
	.size	_ZN7rocprim17ROCPRIM_400000_NS6detail17trampoline_kernelINS0_14default_configENS1_25partition_config_selectorILNS1_17partition_subalgoE8ElNS0_10empty_typeEbEEZZNS1_14partition_implILS5_8ELb0ES3_jPlPS6_PKS6_NS0_5tupleIJS9_S6_EEENSD_IJSA_SA_EEENS0_18inequality_wrapperIZN2at6native12_GLOBAL__N_124unique_dim_cuda_templateIN3c108BFloat16EEESt5tupleIJNSH_6TensorESO_SO_EERKSO_lbbbEUlllE0_EEPmJS6_EEE10hipError_tPvRmT3_T4_T5_T6_T7_T9_mT8_P12ihipStream_tbDpT10_ENKUlT_T0_E_clISt17integral_constantIbLb0EES1D_IbLb1EEEEDaS19_S1A_EUlS19_E_NS1_11comp_targetILNS1_3genE4ELNS1_11target_archE910ELNS1_3gpuE8ELNS1_3repE0EEENS1_30default_config_static_selectorELNS0_4arch9wavefront6targetE1EEEvT1_, .Lfunc_end1200-_ZN7rocprim17ROCPRIM_400000_NS6detail17trampoline_kernelINS0_14default_configENS1_25partition_config_selectorILNS1_17partition_subalgoE8ElNS0_10empty_typeEbEEZZNS1_14partition_implILS5_8ELb0ES3_jPlPS6_PKS6_NS0_5tupleIJS9_S6_EEENSD_IJSA_SA_EEENS0_18inequality_wrapperIZN2at6native12_GLOBAL__N_124unique_dim_cuda_templateIN3c108BFloat16EEESt5tupleIJNSH_6TensorESO_SO_EERKSO_lbbbEUlllE0_EEPmJS6_EEE10hipError_tPvRmT3_T4_T5_T6_T7_T9_mT8_P12ihipStream_tbDpT10_ENKUlT_T0_E_clISt17integral_constantIbLb0EES1D_IbLb1EEEEDaS19_S1A_EUlS19_E_NS1_11comp_targetILNS1_3genE4ELNS1_11target_archE910ELNS1_3gpuE8ELNS1_3repE0EEENS1_30default_config_static_selectorELNS0_4arch9wavefront6targetE1EEEvT1_
                                        ; -- End function
	.set _ZN7rocprim17ROCPRIM_400000_NS6detail17trampoline_kernelINS0_14default_configENS1_25partition_config_selectorILNS1_17partition_subalgoE8ElNS0_10empty_typeEbEEZZNS1_14partition_implILS5_8ELb0ES3_jPlPS6_PKS6_NS0_5tupleIJS9_S6_EEENSD_IJSA_SA_EEENS0_18inequality_wrapperIZN2at6native12_GLOBAL__N_124unique_dim_cuda_templateIN3c108BFloat16EEESt5tupleIJNSH_6TensorESO_SO_EERKSO_lbbbEUlllE0_EEPmJS6_EEE10hipError_tPvRmT3_T4_T5_T6_T7_T9_mT8_P12ihipStream_tbDpT10_ENKUlT_T0_E_clISt17integral_constantIbLb0EES1D_IbLb1EEEEDaS19_S1A_EUlS19_E_NS1_11comp_targetILNS1_3genE4ELNS1_11target_archE910ELNS1_3gpuE8ELNS1_3repE0EEENS1_30default_config_static_selectorELNS0_4arch9wavefront6targetE1EEEvT1_.num_vgpr, 0
	.set _ZN7rocprim17ROCPRIM_400000_NS6detail17trampoline_kernelINS0_14default_configENS1_25partition_config_selectorILNS1_17partition_subalgoE8ElNS0_10empty_typeEbEEZZNS1_14partition_implILS5_8ELb0ES3_jPlPS6_PKS6_NS0_5tupleIJS9_S6_EEENSD_IJSA_SA_EEENS0_18inequality_wrapperIZN2at6native12_GLOBAL__N_124unique_dim_cuda_templateIN3c108BFloat16EEESt5tupleIJNSH_6TensorESO_SO_EERKSO_lbbbEUlllE0_EEPmJS6_EEE10hipError_tPvRmT3_T4_T5_T6_T7_T9_mT8_P12ihipStream_tbDpT10_ENKUlT_T0_E_clISt17integral_constantIbLb0EES1D_IbLb1EEEEDaS19_S1A_EUlS19_E_NS1_11comp_targetILNS1_3genE4ELNS1_11target_archE910ELNS1_3gpuE8ELNS1_3repE0EEENS1_30default_config_static_selectorELNS0_4arch9wavefront6targetE1EEEvT1_.num_agpr, 0
	.set _ZN7rocprim17ROCPRIM_400000_NS6detail17trampoline_kernelINS0_14default_configENS1_25partition_config_selectorILNS1_17partition_subalgoE8ElNS0_10empty_typeEbEEZZNS1_14partition_implILS5_8ELb0ES3_jPlPS6_PKS6_NS0_5tupleIJS9_S6_EEENSD_IJSA_SA_EEENS0_18inequality_wrapperIZN2at6native12_GLOBAL__N_124unique_dim_cuda_templateIN3c108BFloat16EEESt5tupleIJNSH_6TensorESO_SO_EERKSO_lbbbEUlllE0_EEPmJS6_EEE10hipError_tPvRmT3_T4_T5_T6_T7_T9_mT8_P12ihipStream_tbDpT10_ENKUlT_T0_E_clISt17integral_constantIbLb0EES1D_IbLb1EEEEDaS19_S1A_EUlS19_E_NS1_11comp_targetILNS1_3genE4ELNS1_11target_archE910ELNS1_3gpuE8ELNS1_3repE0EEENS1_30default_config_static_selectorELNS0_4arch9wavefront6targetE1EEEvT1_.numbered_sgpr, 0
	.set _ZN7rocprim17ROCPRIM_400000_NS6detail17trampoline_kernelINS0_14default_configENS1_25partition_config_selectorILNS1_17partition_subalgoE8ElNS0_10empty_typeEbEEZZNS1_14partition_implILS5_8ELb0ES3_jPlPS6_PKS6_NS0_5tupleIJS9_S6_EEENSD_IJSA_SA_EEENS0_18inequality_wrapperIZN2at6native12_GLOBAL__N_124unique_dim_cuda_templateIN3c108BFloat16EEESt5tupleIJNSH_6TensorESO_SO_EERKSO_lbbbEUlllE0_EEPmJS6_EEE10hipError_tPvRmT3_T4_T5_T6_T7_T9_mT8_P12ihipStream_tbDpT10_ENKUlT_T0_E_clISt17integral_constantIbLb0EES1D_IbLb1EEEEDaS19_S1A_EUlS19_E_NS1_11comp_targetILNS1_3genE4ELNS1_11target_archE910ELNS1_3gpuE8ELNS1_3repE0EEENS1_30default_config_static_selectorELNS0_4arch9wavefront6targetE1EEEvT1_.num_named_barrier, 0
	.set _ZN7rocprim17ROCPRIM_400000_NS6detail17trampoline_kernelINS0_14default_configENS1_25partition_config_selectorILNS1_17partition_subalgoE8ElNS0_10empty_typeEbEEZZNS1_14partition_implILS5_8ELb0ES3_jPlPS6_PKS6_NS0_5tupleIJS9_S6_EEENSD_IJSA_SA_EEENS0_18inequality_wrapperIZN2at6native12_GLOBAL__N_124unique_dim_cuda_templateIN3c108BFloat16EEESt5tupleIJNSH_6TensorESO_SO_EERKSO_lbbbEUlllE0_EEPmJS6_EEE10hipError_tPvRmT3_T4_T5_T6_T7_T9_mT8_P12ihipStream_tbDpT10_ENKUlT_T0_E_clISt17integral_constantIbLb0EES1D_IbLb1EEEEDaS19_S1A_EUlS19_E_NS1_11comp_targetILNS1_3genE4ELNS1_11target_archE910ELNS1_3gpuE8ELNS1_3repE0EEENS1_30default_config_static_selectorELNS0_4arch9wavefront6targetE1EEEvT1_.private_seg_size, 0
	.set _ZN7rocprim17ROCPRIM_400000_NS6detail17trampoline_kernelINS0_14default_configENS1_25partition_config_selectorILNS1_17partition_subalgoE8ElNS0_10empty_typeEbEEZZNS1_14partition_implILS5_8ELb0ES3_jPlPS6_PKS6_NS0_5tupleIJS9_S6_EEENSD_IJSA_SA_EEENS0_18inequality_wrapperIZN2at6native12_GLOBAL__N_124unique_dim_cuda_templateIN3c108BFloat16EEESt5tupleIJNSH_6TensorESO_SO_EERKSO_lbbbEUlllE0_EEPmJS6_EEE10hipError_tPvRmT3_T4_T5_T6_T7_T9_mT8_P12ihipStream_tbDpT10_ENKUlT_T0_E_clISt17integral_constantIbLb0EES1D_IbLb1EEEEDaS19_S1A_EUlS19_E_NS1_11comp_targetILNS1_3genE4ELNS1_11target_archE910ELNS1_3gpuE8ELNS1_3repE0EEENS1_30default_config_static_selectorELNS0_4arch9wavefront6targetE1EEEvT1_.uses_vcc, 0
	.set _ZN7rocprim17ROCPRIM_400000_NS6detail17trampoline_kernelINS0_14default_configENS1_25partition_config_selectorILNS1_17partition_subalgoE8ElNS0_10empty_typeEbEEZZNS1_14partition_implILS5_8ELb0ES3_jPlPS6_PKS6_NS0_5tupleIJS9_S6_EEENSD_IJSA_SA_EEENS0_18inequality_wrapperIZN2at6native12_GLOBAL__N_124unique_dim_cuda_templateIN3c108BFloat16EEESt5tupleIJNSH_6TensorESO_SO_EERKSO_lbbbEUlllE0_EEPmJS6_EEE10hipError_tPvRmT3_T4_T5_T6_T7_T9_mT8_P12ihipStream_tbDpT10_ENKUlT_T0_E_clISt17integral_constantIbLb0EES1D_IbLb1EEEEDaS19_S1A_EUlS19_E_NS1_11comp_targetILNS1_3genE4ELNS1_11target_archE910ELNS1_3gpuE8ELNS1_3repE0EEENS1_30default_config_static_selectorELNS0_4arch9wavefront6targetE1EEEvT1_.uses_flat_scratch, 0
	.set _ZN7rocprim17ROCPRIM_400000_NS6detail17trampoline_kernelINS0_14default_configENS1_25partition_config_selectorILNS1_17partition_subalgoE8ElNS0_10empty_typeEbEEZZNS1_14partition_implILS5_8ELb0ES3_jPlPS6_PKS6_NS0_5tupleIJS9_S6_EEENSD_IJSA_SA_EEENS0_18inequality_wrapperIZN2at6native12_GLOBAL__N_124unique_dim_cuda_templateIN3c108BFloat16EEESt5tupleIJNSH_6TensorESO_SO_EERKSO_lbbbEUlllE0_EEPmJS6_EEE10hipError_tPvRmT3_T4_T5_T6_T7_T9_mT8_P12ihipStream_tbDpT10_ENKUlT_T0_E_clISt17integral_constantIbLb0EES1D_IbLb1EEEEDaS19_S1A_EUlS19_E_NS1_11comp_targetILNS1_3genE4ELNS1_11target_archE910ELNS1_3gpuE8ELNS1_3repE0EEENS1_30default_config_static_selectorELNS0_4arch9wavefront6targetE1EEEvT1_.has_dyn_sized_stack, 0
	.set _ZN7rocprim17ROCPRIM_400000_NS6detail17trampoline_kernelINS0_14default_configENS1_25partition_config_selectorILNS1_17partition_subalgoE8ElNS0_10empty_typeEbEEZZNS1_14partition_implILS5_8ELb0ES3_jPlPS6_PKS6_NS0_5tupleIJS9_S6_EEENSD_IJSA_SA_EEENS0_18inequality_wrapperIZN2at6native12_GLOBAL__N_124unique_dim_cuda_templateIN3c108BFloat16EEESt5tupleIJNSH_6TensorESO_SO_EERKSO_lbbbEUlllE0_EEPmJS6_EEE10hipError_tPvRmT3_T4_T5_T6_T7_T9_mT8_P12ihipStream_tbDpT10_ENKUlT_T0_E_clISt17integral_constantIbLb0EES1D_IbLb1EEEEDaS19_S1A_EUlS19_E_NS1_11comp_targetILNS1_3genE4ELNS1_11target_archE910ELNS1_3gpuE8ELNS1_3repE0EEENS1_30default_config_static_selectorELNS0_4arch9wavefront6targetE1EEEvT1_.has_recursion, 0
	.set _ZN7rocprim17ROCPRIM_400000_NS6detail17trampoline_kernelINS0_14default_configENS1_25partition_config_selectorILNS1_17partition_subalgoE8ElNS0_10empty_typeEbEEZZNS1_14partition_implILS5_8ELb0ES3_jPlPS6_PKS6_NS0_5tupleIJS9_S6_EEENSD_IJSA_SA_EEENS0_18inequality_wrapperIZN2at6native12_GLOBAL__N_124unique_dim_cuda_templateIN3c108BFloat16EEESt5tupleIJNSH_6TensorESO_SO_EERKSO_lbbbEUlllE0_EEPmJS6_EEE10hipError_tPvRmT3_T4_T5_T6_T7_T9_mT8_P12ihipStream_tbDpT10_ENKUlT_T0_E_clISt17integral_constantIbLb0EES1D_IbLb1EEEEDaS19_S1A_EUlS19_E_NS1_11comp_targetILNS1_3genE4ELNS1_11target_archE910ELNS1_3gpuE8ELNS1_3repE0EEENS1_30default_config_static_selectorELNS0_4arch9wavefront6targetE1EEEvT1_.has_indirect_call, 0
	.section	.AMDGPU.csdata,"",@progbits
; Kernel info:
; codeLenInByte = 0
; TotalNumSgprs: 6
; NumVgprs: 0
; NumAgprs: 0
; TotalNumVgprs: 0
; ScratchSize: 0
; MemoryBound: 0
; FloatMode: 240
; IeeeMode: 1
; LDSByteSize: 0 bytes/workgroup (compile time only)
; SGPRBlocks: 0
; VGPRBlocks: 0
; NumSGPRsForWavesPerEU: 6
; NumVGPRsForWavesPerEU: 1
; AccumOffset: 4
; Occupancy: 8
; WaveLimiterHint : 0
; COMPUTE_PGM_RSRC2:SCRATCH_EN: 0
; COMPUTE_PGM_RSRC2:USER_SGPR: 2
; COMPUTE_PGM_RSRC2:TRAP_HANDLER: 0
; COMPUTE_PGM_RSRC2:TGID_X_EN: 1
; COMPUTE_PGM_RSRC2:TGID_Y_EN: 0
; COMPUTE_PGM_RSRC2:TGID_Z_EN: 0
; COMPUTE_PGM_RSRC2:TIDIG_COMP_CNT: 0
; COMPUTE_PGM_RSRC3_GFX90A:ACCUM_OFFSET: 0
; COMPUTE_PGM_RSRC3_GFX90A:TG_SPLIT: 0
	.section	.text._ZN7rocprim17ROCPRIM_400000_NS6detail17trampoline_kernelINS0_14default_configENS1_25partition_config_selectorILNS1_17partition_subalgoE8ElNS0_10empty_typeEbEEZZNS1_14partition_implILS5_8ELb0ES3_jPlPS6_PKS6_NS0_5tupleIJS9_S6_EEENSD_IJSA_SA_EEENS0_18inequality_wrapperIZN2at6native12_GLOBAL__N_124unique_dim_cuda_templateIN3c108BFloat16EEESt5tupleIJNSH_6TensorESO_SO_EERKSO_lbbbEUlllE0_EEPmJS6_EEE10hipError_tPvRmT3_T4_T5_T6_T7_T9_mT8_P12ihipStream_tbDpT10_ENKUlT_T0_E_clISt17integral_constantIbLb0EES1D_IbLb1EEEEDaS19_S1A_EUlS19_E_NS1_11comp_targetILNS1_3genE3ELNS1_11target_archE908ELNS1_3gpuE7ELNS1_3repE0EEENS1_30default_config_static_selectorELNS0_4arch9wavefront6targetE1EEEvT1_,"axG",@progbits,_ZN7rocprim17ROCPRIM_400000_NS6detail17trampoline_kernelINS0_14default_configENS1_25partition_config_selectorILNS1_17partition_subalgoE8ElNS0_10empty_typeEbEEZZNS1_14partition_implILS5_8ELb0ES3_jPlPS6_PKS6_NS0_5tupleIJS9_S6_EEENSD_IJSA_SA_EEENS0_18inequality_wrapperIZN2at6native12_GLOBAL__N_124unique_dim_cuda_templateIN3c108BFloat16EEESt5tupleIJNSH_6TensorESO_SO_EERKSO_lbbbEUlllE0_EEPmJS6_EEE10hipError_tPvRmT3_T4_T5_T6_T7_T9_mT8_P12ihipStream_tbDpT10_ENKUlT_T0_E_clISt17integral_constantIbLb0EES1D_IbLb1EEEEDaS19_S1A_EUlS19_E_NS1_11comp_targetILNS1_3genE3ELNS1_11target_archE908ELNS1_3gpuE7ELNS1_3repE0EEENS1_30default_config_static_selectorELNS0_4arch9wavefront6targetE1EEEvT1_,comdat
	.globl	_ZN7rocprim17ROCPRIM_400000_NS6detail17trampoline_kernelINS0_14default_configENS1_25partition_config_selectorILNS1_17partition_subalgoE8ElNS0_10empty_typeEbEEZZNS1_14partition_implILS5_8ELb0ES3_jPlPS6_PKS6_NS0_5tupleIJS9_S6_EEENSD_IJSA_SA_EEENS0_18inequality_wrapperIZN2at6native12_GLOBAL__N_124unique_dim_cuda_templateIN3c108BFloat16EEESt5tupleIJNSH_6TensorESO_SO_EERKSO_lbbbEUlllE0_EEPmJS6_EEE10hipError_tPvRmT3_T4_T5_T6_T7_T9_mT8_P12ihipStream_tbDpT10_ENKUlT_T0_E_clISt17integral_constantIbLb0EES1D_IbLb1EEEEDaS19_S1A_EUlS19_E_NS1_11comp_targetILNS1_3genE3ELNS1_11target_archE908ELNS1_3gpuE7ELNS1_3repE0EEENS1_30default_config_static_selectorELNS0_4arch9wavefront6targetE1EEEvT1_ ; -- Begin function _ZN7rocprim17ROCPRIM_400000_NS6detail17trampoline_kernelINS0_14default_configENS1_25partition_config_selectorILNS1_17partition_subalgoE8ElNS0_10empty_typeEbEEZZNS1_14partition_implILS5_8ELb0ES3_jPlPS6_PKS6_NS0_5tupleIJS9_S6_EEENSD_IJSA_SA_EEENS0_18inequality_wrapperIZN2at6native12_GLOBAL__N_124unique_dim_cuda_templateIN3c108BFloat16EEESt5tupleIJNSH_6TensorESO_SO_EERKSO_lbbbEUlllE0_EEPmJS6_EEE10hipError_tPvRmT3_T4_T5_T6_T7_T9_mT8_P12ihipStream_tbDpT10_ENKUlT_T0_E_clISt17integral_constantIbLb0EES1D_IbLb1EEEEDaS19_S1A_EUlS19_E_NS1_11comp_targetILNS1_3genE3ELNS1_11target_archE908ELNS1_3gpuE7ELNS1_3repE0EEENS1_30default_config_static_selectorELNS0_4arch9wavefront6targetE1EEEvT1_
	.p2align	8
	.type	_ZN7rocprim17ROCPRIM_400000_NS6detail17trampoline_kernelINS0_14default_configENS1_25partition_config_selectorILNS1_17partition_subalgoE8ElNS0_10empty_typeEbEEZZNS1_14partition_implILS5_8ELb0ES3_jPlPS6_PKS6_NS0_5tupleIJS9_S6_EEENSD_IJSA_SA_EEENS0_18inequality_wrapperIZN2at6native12_GLOBAL__N_124unique_dim_cuda_templateIN3c108BFloat16EEESt5tupleIJNSH_6TensorESO_SO_EERKSO_lbbbEUlllE0_EEPmJS6_EEE10hipError_tPvRmT3_T4_T5_T6_T7_T9_mT8_P12ihipStream_tbDpT10_ENKUlT_T0_E_clISt17integral_constantIbLb0EES1D_IbLb1EEEEDaS19_S1A_EUlS19_E_NS1_11comp_targetILNS1_3genE3ELNS1_11target_archE908ELNS1_3gpuE7ELNS1_3repE0EEENS1_30default_config_static_selectorELNS0_4arch9wavefront6targetE1EEEvT1_,@function
_ZN7rocprim17ROCPRIM_400000_NS6detail17trampoline_kernelINS0_14default_configENS1_25partition_config_selectorILNS1_17partition_subalgoE8ElNS0_10empty_typeEbEEZZNS1_14partition_implILS5_8ELb0ES3_jPlPS6_PKS6_NS0_5tupleIJS9_S6_EEENSD_IJSA_SA_EEENS0_18inequality_wrapperIZN2at6native12_GLOBAL__N_124unique_dim_cuda_templateIN3c108BFloat16EEESt5tupleIJNSH_6TensorESO_SO_EERKSO_lbbbEUlllE0_EEPmJS6_EEE10hipError_tPvRmT3_T4_T5_T6_T7_T9_mT8_P12ihipStream_tbDpT10_ENKUlT_T0_E_clISt17integral_constantIbLb0EES1D_IbLb1EEEEDaS19_S1A_EUlS19_E_NS1_11comp_targetILNS1_3genE3ELNS1_11target_archE908ELNS1_3gpuE7ELNS1_3repE0EEENS1_30default_config_static_selectorELNS0_4arch9wavefront6targetE1EEEvT1_: ; @_ZN7rocprim17ROCPRIM_400000_NS6detail17trampoline_kernelINS0_14default_configENS1_25partition_config_selectorILNS1_17partition_subalgoE8ElNS0_10empty_typeEbEEZZNS1_14partition_implILS5_8ELb0ES3_jPlPS6_PKS6_NS0_5tupleIJS9_S6_EEENSD_IJSA_SA_EEENS0_18inequality_wrapperIZN2at6native12_GLOBAL__N_124unique_dim_cuda_templateIN3c108BFloat16EEESt5tupleIJNSH_6TensorESO_SO_EERKSO_lbbbEUlllE0_EEPmJS6_EEE10hipError_tPvRmT3_T4_T5_T6_T7_T9_mT8_P12ihipStream_tbDpT10_ENKUlT_T0_E_clISt17integral_constantIbLb0EES1D_IbLb1EEEEDaS19_S1A_EUlS19_E_NS1_11comp_targetILNS1_3genE3ELNS1_11target_archE908ELNS1_3gpuE7ELNS1_3repE0EEENS1_30default_config_static_selectorELNS0_4arch9wavefront6targetE1EEEvT1_
; %bb.0:
	.section	.rodata,"a",@progbits
	.p2align	6, 0x0
	.amdhsa_kernel _ZN7rocprim17ROCPRIM_400000_NS6detail17trampoline_kernelINS0_14default_configENS1_25partition_config_selectorILNS1_17partition_subalgoE8ElNS0_10empty_typeEbEEZZNS1_14partition_implILS5_8ELb0ES3_jPlPS6_PKS6_NS0_5tupleIJS9_S6_EEENSD_IJSA_SA_EEENS0_18inequality_wrapperIZN2at6native12_GLOBAL__N_124unique_dim_cuda_templateIN3c108BFloat16EEESt5tupleIJNSH_6TensorESO_SO_EERKSO_lbbbEUlllE0_EEPmJS6_EEE10hipError_tPvRmT3_T4_T5_T6_T7_T9_mT8_P12ihipStream_tbDpT10_ENKUlT_T0_E_clISt17integral_constantIbLb0EES1D_IbLb1EEEEDaS19_S1A_EUlS19_E_NS1_11comp_targetILNS1_3genE3ELNS1_11target_archE908ELNS1_3gpuE7ELNS1_3repE0EEENS1_30default_config_static_selectorELNS0_4arch9wavefront6targetE1EEEvT1_
		.amdhsa_group_segment_fixed_size 0
		.amdhsa_private_segment_fixed_size 0
		.amdhsa_kernarg_size 136
		.amdhsa_user_sgpr_count 2
		.amdhsa_user_sgpr_dispatch_ptr 0
		.amdhsa_user_sgpr_queue_ptr 0
		.amdhsa_user_sgpr_kernarg_segment_ptr 1
		.amdhsa_user_sgpr_dispatch_id 0
		.amdhsa_user_sgpr_kernarg_preload_length 0
		.amdhsa_user_sgpr_kernarg_preload_offset 0
		.amdhsa_user_sgpr_private_segment_size 0
		.amdhsa_uses_dynamic_stack 0
		.amdhsa_enable_private_segment 0
		.amdhsa_system_sgpr_workgroup_id_x 1
		.amdhsa_system_sgpr_workgroup_id_y 0
		.amdhsa_system_sgpr_workgroup_id_z 0
		.amdhsa_system_sgpr_workgroup_info 0
		.amdhsa_system_vgpr_workitem_id 0
		.amdhsa_next_free_vgpr 1
		.amdhsa_next_free_sgpr 0
		.amdhsa_accum_offset 4
		.amdhsa_reserve_vcc 0
		.amdhsa_float_round_mode_32 0
		.amdhsa_float_round_mode_16_64 0
		.amdhsa_float_denorm_mode_32 3
		.amdhsa_float_denorm_mode_16_64 3
		.amdhsa_dx10_clamp 1
		.amdhsa_ieee_mode 1
		.amdhsa_fp16_overflow 0
		.amdhsa_tg_split 0
		.amdhsa_exception_fp_ieee_invalid_op 0
		.amdhsa_exception_fp_denorm_src 0
		.amdhsa_exception_fp_ieee_div_zero 0
		.amdhsa_exception_fp_ieee_overflow 0
		.amdhsa_exception_fp_ieee_underflow 0
		.amdhsa_exception_fp_ieee_inexact 0
		.amdhsa_exception_int_div_zero 0
	.end_amdhsa_kernel
	.section	.text._ZN7rocprim17ROCPRIM_400000_NS6detail17trampoline_kernelINS0_14default_configENS1_25partition_config_selectorILNS1_17partition_subalgoE8ElNS0_10empty_typeEbEEZZNS1_14partition_implILS5_8ELb0ES3_jPlPS6_PKS6_NS0_5tupleIJS9_S6_EEENSD_IJSA_SA_EEENS0_18inequality_wrapperIZN2at6native12_GLOBAL__N_124unique_dim_cuda_templateIN3c108BFloat16EEESt5tupleIJNSH_6TensorESO_SO_EERKSO_lbbbEUlllE0_EEPmJS6_EEE10hipError_tPvRmT3_T4_T5_T6_T7_T9_mT8_P12ihipStream_tbDpT10_ENKUlT_T0_E_clISt17integral_constantIbLb0EES1D_IbLb1EEEEDaS19_S1A_EUlS19_E_NS1_11comp_targetILNS1_3genE3ELNS1_11target_archE908ELNS1_3gpuE7ELNS1_3repE0EEENS1_30default_config_static_selectorELNS0_4arch9wavefront6targetE1EEEvT1_,"axG",@progbits,_ZN7rocprim17ROCPRIM_400000_NS6detail17trampoline_kernelINS0_14default_configENS1_25partition_config_selectorILNS1_17partition_subalgoE8ElNS0_10empty_typeEbEEZZNS1_14partition_implILS5_8ELb0ES3_jPlPS6_PKS6_NS0_5tupleIJS9_S6_EEENSD_IJSA_SA_EEENS0_18inequality_wrapperIZN2at6native12_GLOBAL__N_124unique_dim_cuda_templateIN3c108BFloat16EEESt5tupleIJNSH_6TensorESO_SO_EERKSO_lbbbEUlllE0_EEPmJS6_EEE10hipError_tPvRmT3_T4_T5_T6_T7_T9_mT8_P12ihipStream_tbDpT10_ENKUlT_T0_E_clISt17integral_constantIbLb0EES1D_IbLb1EEEEDaS19_S1A_EUlS19_E_NS1_11comp_targetILNS1_3genE3ELNS1_11target_archE908ELNS1_3gpuE7ELNS1_3repE0EEENS1_30default_config_static_selectorELNS0_4arch9wavefront6targetE1EEEvT1_,comdat
.Lfunc_end1201:
	.size	_ZN7rocprim17ROCPRIM_400000_NS6detail17trampoline_kernelINS0_14default_configENS1_25partition_config_selectorILNS1_17partition_subalgoE8ElNS0_10empty_typeEbEEZZNS1_14partition_implILS5_8ELb0ES3_jPlPS6_PKS6_NS0_5tupleIJS9_S6_EEENSD_IJSA_SA_EEENS0_18inequality_wrapperIZN2at6native12_GLOBAL__N_124unique_dim_cuda_templateIN3c108BFloat16EEESt5tupleIJNSH_6TensorESO_SO_EERKSO_lbbbEUlllE0_EEPmJS6_EEE10hipError_tPvRmT3_T4_T5_T6_T7_T9_mT8_P12ihipStream_tbDpT10_ENKUlT_T0_E_clISt17integral_constantIbLb0EES1D_IbLb1EEEEDaS19_S1A_EUlS19_E_NS1_11comp_targetILNS1_3genE3ELNS1_11target_archE908ELNS1_3gpuE7ELNS1_3repE0EEENS1_30default_config_static_selectorELNS0_4arch9wavefront6targetE1EEEvT1_, .Lfunc_end1201-_ZN7rocprim17ROCPRIM_400000_NS6detail17trampoline_kernelINS0_14default_configENS1_25partition_config_selectorILNS1_17partition_subalgoE8ElNS0_10empty_typeEbEEZZNS1_14partition_implILS5_8ELb0ES3_jPlPS6_PKS6_NS0_5tupleIJS9_S6_EEENSD_IJSA_SA_EEENS0_18inequality_wrapperIZN2at6native12_GLOBAL__N_124unique_dim_cuda_templateIN3c108BFloat16EEESt5tupleIJNSH_6TensorESO_SO_EERKSO_lbbbEUlllE0_EEPmJS6_EEE10hipError_tPvRmT3_T4_T5_T6_T7_T9_mT8_P12ihipStream_tbDpT10_ENKUlT_T0_E_clISt17integral_constantIbLb0EES1D_IbLb1EEEEDaS19_S1A_EUlS19_E_NS1_11comp_targetILNS1_3genE3ELNS1_11target_archE908ELNS1_3gpuE7ELNS1_3repE0EEENS1_30default_config_static_selectorELNS0_4arch9wavefront6targetE1EEEvT1_
                                        ; -- End function
	.set _ZN7rocprim17ROCPRIM_400000_NS6detail17trampoline_kernelINS0_14default_configENS1_25partition_config_selectorILNS1_17partition_subalgoE8ElNS0_10empty_typeEbEEZZNS1_14partition_implILS5_8ELb0ES3_jPlPS6_PKS6_NS0_5tupleIJS9_S6_EEENSD_IJSA_SA_EEENS0_18inequality_wrapperIZN2at6native12_GLOBAL__N_124unique_dim_cuda_templateIN3c108BFloat16EEESt5tupleIJNSH_6TensorESO_SO_EERKSO_lbbbEUlllE0_EEPmJS6_EEE10hipError_tPvRmT3_T4_T5_T6_T7_T9_mT8_P12ihipStream_tbDpT10_ENKUlT_T0_E_clISt17integral_constantIbLb0EES1D_IbLb1EEEEDaS19_S1A_EUlS19_E_NS1_11comp_targetILNS1_3genE3ELNS1_11target_archE908ELNS1_3gpuE7ELNS1_3repE0EEENS1_30default_config_static_selectorELNS0_4arch9wavefront6targetE1EEEvT1_.num_vgpr, 0
	.set _ZN7rocprim17ROCPRIM_400000_NS6detail17trampoline_kernelINS0_14default_configENS1_25partition_config_selectorILNS1_17partition_subalgoE8ElNS0_10empty_typeEbEEZZNS1_14partition_implILS5_8ELb0ES3_jPlPS6_PKS6_NS0_5tupleIJS9_S6_EEENSD_IJSA_SA_EEENS0_18inequality_wrapperIZN2at6native12_GLOBAL__N_124unique_dim_cuda_templateIN3c108BFloat16EEESt5tupleIJNSH_6TensorESO_SO_EERKSO_lbbbEUlllE0_EEPmJS6_EEE10hipError_tPvRmT3_T4_T5_T6_T7_T9_mT8_P12ihipStream_tbDpT10_ENKUlT_T0_E_clISt17integral_constantIbLb0EES1D_IbLb1EEEEDaS19_S1A_EUlS19_E_NS1_11comp_targetILNS1_3genE3ELNS1_11target_archE908ELNS1_3gpuE7ELNS1_3repE0EEENS1_30default_config_static_selectorELNS0_4arch9wavefront6targetE1EEEvT1_.num_agpr, 0
	.set _ZN7rocprim17ROCPRIM_400000_NS6detail17trampoline_kernelINS0_14default_configENS1_25partition_config_selectorILNS1_17partition_subalgoE8ElNS0_10empty_typeEbEEZZNS1_14partition_implILS5_8ELb0ES3_jPlPS6_PKS6_NS0_5tupleIJS9_S6_EEENSD_IJSA_SA_EEENS0_18inequality_wrapperIZN2at6native12_GLOBAL__N_124unique_dim_cuda_templateIN3c108BFloat16EEESt5tupleIJNSH_6TensorESO_SO_EERKSO_lbbbEUlllE0_EEPmJS6_EEE10hipError_tPvRmT3_T4_T5_T6_T7_T9_mT8_P12ihipStream_tbDpT10_ENKUlT_T0_E_clISt17integral_constantIbLb0EES1D_IbLb1EEEEDaS19_S1A_EUlS19_E_NS1_11comp_targetILNS1_3genE3ELNS1_11target_archE908ELNS1_3gpuE7ELNS1_3repE0EEENS1_30default_config_static_selectorELNS0_4arch9wavefront6targetE1EEEvT1_.numbered_sgpr, 0
	.set _ZN7rocprim17ROCPRIM_400000_NS6detail17trampoline_kernelINS0_14default_configENS1_25partition_config_selectorILNS1_17partition_subalgoE8ElNS0_10empty_typeEbEEZZNS1_14partition_implILS5_8ELb0ES3_jPlPS6_PKS6_NS0_5tupleIJS9_S6_EEENSD_IJSA_SA_EEENS0_18inequality_wrapperIZN2at6native12_GLOBAL__N_124unique_dim_cuda_templateIN3c108BFloat16EEESt5tupleIJNSH_6TensorESO_SO_EERKSO_lbbbEUlllE0_EEPmJS6_EEE10hipError_tPvRmT3_T4_T5_T6_T7_T9_mT8_P12ihipStream_tbDpT10_ENKUlT_T0_E_clISt17integral_constantIbLb0EES1D_IbLb1EEEEDaS19_S1A_EUlS19_E_NS1_11comp_targetILNS1_3genE3ELNS1_11target_archE908ELNS1_3gpuE7ELNS1_3repE0EEENS1_30default_config_static_selectorELNS0_4arch9wavefront6targetE1EEEvT1_.num_named_barrier, 0
	.set _ZN7rocprim17ROCPRIM_400000_NS6detail17trampoline_kernelINS0_14default_configENS1_25partition_config_selectorILNS1_17partition_subalgoE8ElNS0_10empty_typeEbEEZZNS1_14partition_implILS5_8ELb0ES3_jPlPS6_PKS6_NS0_5tupleIJS9_S6_EEENSD_IJSA_SA_EEENS0_18inequality_wrapperIZN2at6native12_GLOBAL__N_124unique_dim_cuda_templateIN3c108BFloat16EEESt5tupleIJNSH_6TensorESO_SO_EERKSO_lbbbEUlllE0_EEPmJS6_EEE10hipError_tPvRmT3_T4_T5_T6_T7_T9_mT8_P12ihipStream_tbDpT10_ENKUlT_T0_E_clISt17integral_constantIbLb0EES1D_IbLb1EEEEDaS19_S1A_EUlS19_E_NS1_11comp_targetILNS1_3genE3ELNS1_11target_archE908ELNS1_3gpuE7ELNS1_3repE0EEENS1_30default_config_static_selectorELNS0_4arch9wavefront6targetE1EEEvT1_.private_seg_size, 0
	.set _ZN7rocprim17ROCPRIM_400000_NS6detail17trampoline_kernelINS0_14default_configENS1_25partition_config_selectorILNS1_17partition_subalgoE8ElNS0_10empty_typeEbEEZZNS1_14partition_implILS5_8ELb0ES3_jPlPS6_PKS6_NS0_5tupleIJS9_S6_EEENSD_IJSA_SA_EEENS0_18inequality_wrapperIZN2at6native12_GLOBAL__N_124unique_dim_cuda_templateIN3c108BFloat16EEESt5tupleIJNSH_6TensorESO_SO_EERKSO_lbbbEUlllE0_EEPmJS6_EEE10hipError_tPvRmT3_T4_T5_T6_T7_T9_mT8_P12ihipStream_tbDpT10_ENKUlT_T0_E_clISt17integral_constantIbLb0EES1D_IbLb1EEEEDaS19_S1A_EUlS19_E_NS1_11comp_targetILNS1_3genE3ELNS1_11target_archE908ELNS1_3gpuE7ELNS1_3repE0EEENS1_30default_config_static_selectorELNS0_4arch9wavefront6targetE1EEEvT1_.uses_vcc, 0
	.set _ZN7rocprim17ROCPRIM_400000_NS6detail17trampoline_kernelINS0_14default_configENS1_25partition_config_selectorILNS1_17partition_subalgoE8ElNS0_10empty_typeEbEEZZNS1_14partition_implILS5_8ELb0ES3_jPlPS6_PKS6_NS0_5tupleIJS9_S6_EEENSD_IJSA_SA_EEENS0_18inequality_wrapperIZN2at6native12_GLOBAL__N_124unique_dim_cuda_templateIN3c108BFloat16EEESt5tupleIJNSH_6TensorESO_SO_EERKSO_lbbbEUlllE0_EEPmJS6_EEE10hipError_tPvRmT3_T4_T5_T6_T7_T9_mT8_P12ihipStream_tbDpT10_ENKUlT_T0_E_clISt17integral_constantIbLb0EES1D_IbLb1EEEEDaS19_S1A_EUlS19_E_NS1_11comp_targetILNS1_3genE3ELNS1_11target_archE908ELNS1_3gpuE7ELNS1_3repE0EEENS1_30default_config_static_selectorELNS0_4arch9wavefront6targetE1EEEvT1_.uses_flat_scratch, 0
	.set _ZN7rocprim17ROCPRIM_400000_NS6detail17trampoline_kernelINS0_14default_configENS1_25partition_config_selectorILNS1_17partition_subalgoE8ElNS0_10empty_typeEbEEZZNS1_14partition_implILS5_8ELb0ES3_jPlPS6_PKS6_NS0_5tupleIJS9_S6_EEENSD_IJSA_SA_EEENS0_18inequality_wrapperIZN2at6native12_GLOBAL__N_124unique_dim_cuda_templateIN3c108BFloat16EEESt5tupleIJNSH_6TensorESO_SO_EERKSO_lbbbEUlllE0_EEPmJS6_EEE10hipError_tPvRmT3_T4_T5_T6_T7_T9_mT8_P12ihipStream_tbDpT10_ENKUlT_T0_E_clISt17integral_constantIbLb0EES1D_IbLb1EEEEDaS19_S1A_EUlS19_E_NS1_11comp_targetILNS1_3genE3ELNS1_11target_archE908ELNS1_3gpuE7ELNS1_3repE0EEENS1_30default_config_static_selectorELNS0_4arch9wavefront6targetE1EEEvT1_.has_dyn_sized_stack, 0
	.set _ZN7rocprim17ROCPRIM_400000_NS6detail17trampoline_kernelINS0_14default_configENS1_25partition_config_selectorILNS1_17partition_subalgoE8ElNS0_10empty_typeEbEEZZNS1_14partition_implILS5_8ELb0ES3_jPlPS6_PKS6_NS0_5tupleIJS9_S6_EEENSD_IJSA_SA_EEENS0_18inequality_wrapperIZN2at6native12_GLOBAL__N_124unique_dim_cuda_templateIN3c108BFloat16EEESt5tupleIJNSH_6TensorESO_SO_EERKSO_lbbbEUlllE0_EEPmJS6_EEE10hipError_tPvRmT3_T4_T5_T6_T7_T9_mT8_P12ihipStream_tbDpT10_ENKUlT_T0_E_clISt17integral_constantIbLb0EES1D_IbLb1EEEEDaS19_S1A_EUlS19_E_NS1_11comp_targetILNS1_3genE3ELNS1_11target_archE908ELNS1_3gpuE7ELNS1_3repE0EEENS1_30default_config_static_selectorELNS0_4arch9wavefront6targetE1EEEvT1_.has_recursion, 0
	.set _ZN7rocprim17ROCPRIM_400000_NS6detail17trampoline_kernelINS0_14default_configENS1_25partition_config_selectorILNS1_17partition_subalgoE8ElNS0_10empty_typeEbEEZZNS1_14partition_implILS5_8ELb0ES3_jPlPS6_PKS6_NS0_5tupleIJS9_S6_EEENSD_IJSA_SA_EEENS0_18inequality_wrapperIZN2at6native12_GLOBAL__N_124unique_dim_cuda_templateIN3c108BFloat16EEESt5tupleIJNSH_6TensorESO_SO_EERKSO_lbbbEUlllE0_EEPmJS6_EEE10hipError_tPvRmT3_T4_T5_T6_T7_T9_mT8_P12ihipStream_tbDpT10_ENKUlT_T0_E_clISt17integral_constantIbLb0EES1D_IbLb1EEEEDaS19_S1A_EUlS19_E_NS1_11comp_targetILNS1_3genE3ELNS1_11target_archE908ELNS1_3gpuE7ELNS1_3repE0EEENS1_30default_config_static_selectorELNS0_4arch9wavefront6targetE1EEEvT1_.has_indirect_call, 0
	.section	.AMDGPU.csdata,"",@progbits
; Kernel info:
; codeLenInByte = 0
; TotalNumSgprs: 6
; NumVgprs: 0
; NumAgprs: 0
; TotalNumVgprs: 0
; ScratchSize: 0
; MemoryBound: 0
; FloatMode: 240
; IeeeMode: 1
; LDSByteSize: 0 bytes/workgroup (compile time only)
; SGPRBlocks: 0
; VGPRBlocks: 0
; NumSGPRsForWavesPerEU: 6
; NumVGPRsForWavesPerEU: 1
; AccumOffset: 4
; Occupancy: 8
; WaveLimiterHint : 0
; COMPUTE_PGM_RSRC2:SCRATCH_EN: 0
; COMPUTE_PGM_RSRC2:USER_SGPR: 2
; COMPUTE_PGM_RSRC2:TRAP_HANDLER: 0
; COMPUTE_PGM_RSRC2:TGID_X_EN: 1
; COMPUTE_PGM_RSRC2:TGID_Y_EN: 0
; COMPUTE_PGM_RSRC2:TGID_Z_EN: 0
; COMPUTE_PGM_RSRC2:TIDIG_COMP_CNT: 0
; COMPUTE_PGM_RSRC3_GFX90A:ACCUM_OFFSET: 0
; COMPUTE_PGM_RSRC3_GFX90A:TG_SPLIT: 0
	.section	.text._ZN7rocprim17ROCPRIM_400000_NS6detail17trampoline_kernelINS0_14default_configENS1_25partition_config_selectorILNS1_17partition_subalgoE8ElNS0_10empty_typeEbEEZZNS1_14partition_implILS5_8ELb0ES3_jPlPS6_PKS6_NS0_5tupleIJS9_S6_EEENSD_IJSA_SA_EEENS0_18inequality_wrapperIZN2at6native12_GLOBAL__N_124unique_dim_cuda_templateIN3c108BFloat16EEESt5tupleIJNSH_6TensorESO_SO_EERKSO_lbbbEUlllE0_EEPmJS6_EEE10hipError_tPvRmT3_T4_T5_T6_T7_T9_mT8_P12ihipStream_tbDpT10_ENKUlT_T0_E_clISt17integral_constantIbLb0EES1D_IbLb1EEEEDaS19_S1A_EUlS19_E_NS1_11comp_targetILNS1_3genE2ELNS1_11target_archE906ELNS1_3gpuE6ELNS1_3repE0EEENS1_30default_config_static_selectorELNS0_4arch9wavefront6targetE1EEEvT1_,"axG",@progbits,_ZN7rocprim17ROCPRIM_400000_NS6detail17trampoline_kernelINS0_14default_configENS1_25partition_config_selectorILNS1_17partition_subalgoE8ElNS0_10empty_typeEbEEZZNS1_14partition_implILS5_8ELb0ES3_jPlPS6_PKS6_NS0_5tupleIJS9_S6_EEENSD_IJSA_SA_EEENS0_18inequality_wrapperIZN2at6native12_GLOBAL__N_124unique_dim_cuda_templateIN3c108BFloat16EEESt5tupleIJNSH_6TensorESO_SO_EERKSO_lbbbEUlllE0_EEPmJS6_EEE10hipError_tPvRmT3_T4_T5_T6_T7_T9_mT8_P12ihipStream_tbDpT10_ENKUlT_T0_E_clISt17integral_constantIbLb0EES1D_IbLb1EEEEDaS19_S1A_EUlS19_E_NS1_11comp_targetILNS1_3genE2ELNS1_11target_archE906ELNS1_3gpuE6ELNS1_3repE0EEENS1_30default_config_static_selectorELNS0_4arch9wavefront6targetE1EEEvT1_,comdat
	.globl	_ZN7rocprim17ROCPRIM_400000_NS6detail17trampoline_kernelINS0_14default_configENS1_25partition_config_selectorILNS1_17partition_subalgoE8ElNS0_10empty_typeEbEEZZNS1_14partition_implILS5_8ELb0ES3_jPlPS6_PKS6_NS0_5tupleIJS9_S6_EEENSD_IJSA_SA_EEENS0_18inequality_wrapperIZN2at6native12_GLOBAL__N_124unique_dim_cuda_templateIN3c108BFloat16EEESt5tupleIJNSH_6TensorESO_SO_EERKSO_lbbbEUlllE0_EEPmJS6_EEE10hipError_tPvRmT3_T4_T5_T6_T7_T9_mT8_P12ihipStream_tbDpT10_ENKUlT_T0_E_clISt17integral_constantIbLb0EES1D_IbLb1EEEEDaS19_S1A_EUlS19_E_NS1_11comp_targetILNS1_3genE2ELNS1_11target_archE906ELNS1_3gpuE6ELNS1_3repE0EEENS1_30default_config_static_selectorELNS0_4arch9wavefront6targetE1EEEvT1_ ; -- Begin function _ZN7rocprim17ROCPRIM_400000_NS6detail17trampoline_kernelINS0_14default_configENS1_25partition_config_selectorILNS1_17partition_subalgoE8ElNS0_10empty_typeEbEEZZNS1_14partition_implILS5_8ELb0ES3_jPlPS6_PKS6_NS0_5tupleIJS9_S6_EEENSD_IJSA_SA_EEENS0_18inequality_wrapperIZN2at6native12_GLOBAL__N_124unique_dim_cuda_templateIN3c108BFloat16EEESt5tupleIJNSH_6TensorESO_SO_EERKSO_lbbbEUlllE0_EEPmJS6_EEE10hipError_tPvRmT3_T4_T5_T6_T7_T9_mT8_P12ihipStream_tbDpT10_ENKUlT_T0_E_clISt17integral_constantIbLb0EES1D_IbLb1EEEEDaS19_S1A_EUlS19_E_NS1_11comp_targetILNS1_3genE2ELNS1_11target_archE906ELNS1_3gpuE6ELNS1_3repE0EEENS1_30default_config_static_selectorELNS0_4arch9wavefront6targetE1EEEvT1_
	.p2align	8
	.type	_ZN7rocprim17ROCPRIM_400000_NS6detail17trampoline_kernelINS0_14default_configENS1_25partition_config_selectorILNS1_17partition_subalgoE8ElNS0_10empty_typeEbEEZZNS1_14partition_implILS5_8ELb0ES3_jPlPS6_PKS6_NS0_5tupleIJS9_S6_EEENSD_IJSA_SA_EEENS0_18inequality_wrapperIZN2at6native12_GLOBAL__N_124unique_dim_cuda_templateIN3c108BFloat16EEESt5tupleIJNSH_6TensorESO_SO_EERKSO_lbbbEUlllE0_EEPmJS6_EEE10hipError_tPvRmT3_T4_T5_T6_T7_T9_mT8_P12ihipStream_tbDpT10_ENKUlT_T0_E_clISt17integral_constantIbLb0EES1D_IbLb1EEEEDaS19_S1A_EUlS19_E_NS1_11comp_targetILNS1_3genE2ELNS1_11target_archE906ELNS1_3gpuE6ELNS1_3repE0EEENS1_30default_config_static_selectorELNS0_4arch9wavefront6targetE1EEEvT1_,@function
_ZN7rocprim17ROCPRIM_400000_NS6detail17trampoline_kernelINS0_14default_configENS1_25partition_config_selectorILNS1_17partition_subalgoE8ElNS0_10empty_typeEbEEZZNS1_14partition_implILS5_8ELb0ES3_jPlPS6_PKS6_NS0_5tupleIJS9_S6_EEENSD_IJSA_SA_EEENS0_18inequality_wrapperIZN2at6native12_GLOBAL__N_124unique_dim_cuda_templateIN3c108BFloat16EEESt5tupleIJNSH_6TensorESO_SO_EERKSO_lbbbEUlllE0_EEPmJS6_EEE10hipError_tPvRmT3_T4_T5_T6_T7_T9_mT8_P12ihipStream_tbDpT10_ENKUlT_T0_E_clISt17integral_constantIbLb0EES1D_IbLb1EEEEDaS19_S1A_EUlS19_E_NS1_11comp_targetILNS1_3genE2ELNS1_11target_archE906ELNS1_3gpuE6ELNS1_3repE0EEENS1_30default_config_static_selectorELNS0_4arch9wavefront6targetE1EEEvT1_: ; @_ZN7rocprim17ROCPRIM_400000_NS6detail17trampoline_kernelINS0_14default_configENS1_25partition_config_selectorILNS1_17partition_subalgoE8ElNS0_10empty_typeEbEEZZNS1_14partition_implILS5_8ELb0ES3_jPlPS6_PKS6_NS0_5tupleIJS9_S6_EEENSD_IJSA_SA_EEENS0_18inequality_wrapperIZN2at6native12_GLOBAL__N_124unique_dim_cuda_templateIN3c108BFloat16EEESt5tupleIJNSH_6TensorESO_SO_EERKSO_lbbbEUlllE0_EEPmJS6_EEE10hipError_tPvRmT3_T4_T5_T6_T7_T9_mT8_P12ihipStream_tbDpT10_ENKUlT_T0_E_clISt17integral_constantIbLb0EES1D_IbLb1EEEEDaS19_S1A_EUlS19_E_NS1_11comp_targetILNS1_3genE2ELNS1_11target_archE906ELNS1_3gpuE6ELNS1_3repE0EEENS1_30default_config_static_selectorELNS0_4arch9wavefront6targetE1EEEvT1_
; %bb.0:
	.section	.rodata,"a",@progbits
	.p2align	6, 0x0
	.amdhsa_kernel _ZN7rocprim17ROCPRIM_400000_NS6detail17trampoline_kernelINS0_14default_configENS1_25partition_config_selectorILNS1_17partition_subalgoE8ElNS0_10empty_typeEbEEZZNS1_14partition_implILS5_8ELb0ES3_jPlPS6_PKS6_NS0_5tupleIJS9_S6_EEENSD_IJSA_SA_EEENS0_18inequality_wrapperIZN2at6native12_GLOBAL__N_124unique_dim_cuda_templateIN3c108BFloat16EEESt5tupleIJNSH_6TensorESO_SO_EERKSO_lbbbEUlllE0_EEPmJS6_EEE10hipError_tPvRmT3_T4_T5_T6_T7_T9_mT8_P12ihipStream_tbDpT10_ENKUlT_T0_E_clISt17integral_constantIbLb0EES1D_IbLb1EEEEDaS19_S1A_EUlS19_E_NS1_11comp_targetILNS1_3genE2ELNS1_11target_archE906ELNS1_3gpuE6ELNS1_3repE0EEENS1_30default_config_static_selectorELNS0_4arch9wavefront6targetE1EEEvT1_
		.amdhsa_group_segment_fixed_size 0
		.amdhsa_private_segment_fixed_size 0
		.amdhsa_kernarg_size 136
		.amdhsa_user_sgpr_count 2
		.amdhsa_user_sgpr_dispatch_ptr 0
		.amdhsa_user_sgpr_queue_ptr 0
		.amdhsa_user_sgpr_kernarg_segment_ptr 1
		.amdhsa_user_sgpr_dispatch_id 0
		.amdhsa_user_sgpr_kernarg_preload_length 0
		.amdhsa_user_sgpr_kernarg_preload_offset 0
		.amdhsa_user_sgpr_private_segment_size 0
		.amdhsa_uses_dynamic_stack 0
		.amdhsa_enable_private_segment 0
		.amdhsa_system_sgpr_workgroup_id_x 1
		.amdhsa_system_sgpr_workgroup_id_y 0
		.amdhsa_system_sgpr_workgroup_id_z 0
		.amdhsa_system_sgpr_workgroup_info 0
		.amdhsa_system_vgpr_workitem_id 0
		.amdhsa_next_free_vgpr 1
		.amdhsa_next_free_sgpr 0
		.amdhsa_accum_offset 4
		.amdhsa_reserve_vcc 0
		.amdhsa_float_round_mode_32 0
		.amdhsa_float_round_mode_16_64 0
		.amdhsa_float_denorm_mode_32 3
		.amdhsa_float_denorm_mode_16_64 3
		.amdhsa_dx10_clamp 1
		.amdhsa_ieee_mode 1
		.amdhsa_fp16_overflow 0
		.amdhsa_tg_split 0
		.amdhsa_exception_fp_ieee_invalid_op 0
		.amdhsa_exception_fp_denorm_src 0
		.amdhsa_exception_fp_ieee_div_zero 0
		.amdhsa_exception_fp_ieee_overflow 0
		.amdhsa_exception_fp_ieee_underflow 0
		.amdhsa_exception_fp_ieee_inexact 0
		.amdhsa_exception_int_div_zero 0
	.end_amdhsa_kernel
	.section	.text._ZN7rocprim17ROCPRIM_400000_NS6detail17trampoline_kernelINS0_14default_configENS1_25partition_config_selectorILNS1_17partition_subalgoE8ElNS0_10empty_typeEbEEZZNS1_14partition_implILS5_8ELb0ES3_jPlPS6_PKS6_NS0_5tupleIJS9_S6_EEENSD_IJSA_SA_EEENS0_18inequality_wrapperIZN2at6native12_GLOBAL__N_124unique_dim_cuda_templateIN3c108BFloat16EEESt5tupleIJNSH_6TensorESO_SO_EERKSO_lbbbEUlllE0_EEPmJS6_EEE10hipError_tPvRmT3_T4_T5_T6_T7_T9_mT8_P12ihipStream_tbDpT10_ENKUlT_T0_E_clISt17integral_constantIbLb0EES1D_IbLb1EEEEDaS19_S1A_EUlS19_E_NS1_11comp_targetILNS1_3genE2ELNS1_11target_archE906ELNS1_3gpuE6ELNS1_3repE0EEENS1_30default_config_static_selectorELNS0_4arch9wavefront6targetE1EEEvT1_,"axG",@progbits,_ZN7rocprim17ROCPRIM_400000_NS6detail17trampoline_kernelINS0_14default_configENS1_25partition_config_selectorILNS1_17partition_subalgoE8ElNS0_10empty_typeEbEEZZNS1_14partition_implILS5_8ELb0ES3_jPlPS6_PKS6_NS0_5tupleIJS9_S6_EEENSD_IJSA_SA_EEENS0_18inequality_wrapperIZN2at6native12_GLOBAL__N_124unique_dim_cuda_templateIN3c108BFloat16EEESt5tupleIJNSH_6TensorESO_SO_EERKSO_lbbbEUlllE0_EEPmJS6_EEE10hipError_tPvRmT3_T4_T5_T6_T7_T9_mT8_P12ihipStream_tbDpT10_ENKUlT_T0_E_clISt17integral_constantIbLb0EES1D_IbLb1EEEEDaS19_S1A_EUlS19_E_NS1_11comp_targetILNS1_3genE2ELNS1_11target_archE906ELNS1_3gpuE6ELNS1_3repE0EEENS1_30default_config_static_selectorELNS0_4arch9wavefront6targetE1EEEvT1_,comdat
.Lfunc_end1202:
	.size	_ZN7rocprim17ROCPRIM_400000_NS6detail17trampoline_kernelINS0_14default_configENS1_25partition_config_selectorILNS1_17partition_subalgoE8ElNS0_10empty_typeEbEEZZNS1_14partition_implILS5_8ELb0ES3_jPlPS6_PKS6_NS0_5tupleIJS9_S6_EEENSD_IJSA_SA_EEENS0_18inequality_wrapperIZN2at6native12_GLOBAL__N_124unique_dim_cuda_templateIN3c108BFloat16EEESt5tupleIJNSH_6TensorESO_SO_EERKSO_lbbbEUlllE0_EEPmJS6_EEE10hipError_tPvRmT3_T4_T5_T6_T7_T9_mT8_P12ihipStream_tbDpT10_ENKUlT_T0_E_clISt17integral_constantIbLb0EES1D_IbLb1EEEEDaS19_S1A_EUlS19_E_NS1_11comp_targetILNS1_3genE2ELNS1_11target_archE906ELNS1_3gpuE6ELNS1_3repE0EEENS1_30default_config_static_selectorELNS0_4arch9wavefront6targetE1EEEvT1_, .Lfunc_end1202-_ZN7rocprim17ROCPRIM_400000_NS6detail17trampoline_kernelINS0_14default_configENS1_25partition_config_selectorILNS1_17partition_subalgoE8ElNS0_10empty_typeEbEEZZNS1_14partition_implILS5_8ELb0ES3_jPlPS6_PKS6_NS0_5tupleIJS9_S6_EEENSD_IJSA_SA_EEENS0_18inequality_wrapperIZN2at6native12_GLOBAL__N_124unique_dim_cuda_templateIN3c108BFloat16EEESt5tupleIJNSH_6TensorESO_SO_EERKSO_lbbbEUlllE0_EEPmJS6_EEE10hipError_tPvRmT3_T4_T5_T6_T7_T9_mT8_P12ihipStream_tbDpT10_ENKUlT_T0_E_clISt17integral_constantIbLb0EES1D_IbLb1EEEEDaS19_S1A_EUlS19_E_NS1_11comp_targetILNS1_3genE2ELNS1_11target_archE906ELNS1_3gpuE6ELNS1_3repE0EEENS1_30default_config_static_selectorELNS0_4arch9wavefront6targetE1EEEvT1_
                                        ; -- End function
	.set _ZN7rocprim17ROCPRIM_400000_NS6detail17trampoline_kernelINS0_14default_configENS1_25partition_config_selectorILNS1_17partition_subalgoE8ElNS0_10empty_typeEbEEZZNS1_14partition_implILS5_8ELb0ES3_jPlPS6_PKS6_NS0_5tupleIJS9_S6_EEENSD_IJSA_SA_EEENS0_18inequality_wrapperIZN2at6native12_GLOBAL__N_124unique_dim_cuda_templateIN3c108BFloat16EEESt5tupleIJNSH_6TensorESO_SO_EERKSO_lbbbEUlllE0_EEPmJS6_EEE10hipError_tPvRmT3_T4_T5_T6_T7_T9_mT8_P12ihipStream_tbDpT10_ENKUlT_T0_E_clISt17integral_constantIbLb0EES1D_IbLb1EEEEDaS19_S1A_EUlS19_E_NS1_11comp_targetILNS1_3genE2ELNS1_11target_archE906ELNS1_3gpuE6ELNS1_3repE0EEENS1_30default_config_static_selectorELNS0_4arch9wavefront6targetE1EEEvT1_.num_vgpr, 0
	.set _ZN7rocprim17ROCPRIM_400000_NS6detail17trampoline_kernelINS0_14default_configENS1_25partition_config_selectorILNS1_17partition_subalgoE8ElNS0_10empty_typeEbEEZZNS1_14partition_implILS5_8ELb0ES3_jPlPS6_PKS6_NS0_5tupleIJS9_S6_EEENSD_IJSA_SA_EEENS0_18inequality_wrapperIZN2at6native12_GLOBAL__N_124unique_dim_cuda_templateIN3c108BFloat16EEESt5tupleIJNSH_6TensorESO_SO_EERKSO_lbbbEUlllE0_EEPmJS6_EEE10hipError_tPvRmT3_T4_T5_T6_T7_T9_mT8_P12ihipStream_tbDpT10_ENKUlT_T0_E_clISt17integral_constantIbLb0EES1D_IbLb1EEEEDaS19_S1A_EUlS19_E_NS1_11comp_targetILNS1_3genE2ELNS1_11target_archE906ELNS1_3gpuE6ELNS1_3repE0EEENS1_30default_config_static_selectorELNS0_4arch9wavefront6targetE1EEEvT1_.num_agpr, 0
	.set _ZN7rocprim17ROCPRIM_400000_NS6detail17trampoline_kernelINS0_14default_configENS1_25partition_config_selectorILNS1_17partition_subalgoE8ElNS0_10empty_typeEbEEZZNS1_14partition_implILS5_8ELb0ES3_jPlPS6_PKS6_NS0_5tupleIJS9_S6_EEENSD_IJSA_SA_EEENS0_18inequality_wrapperIZN2at6native12_GLOBAL__N_124unique_dim_cuda_templateIN3c108BFloat16EEESt5tupleIJNSH_6TensorESO_SO_EERKSO_lbbbEUlllE0_EEPmJS6_EEE10hipError_tPvRmT3_T4_T5_T6_T7_T9_mT8_P12ihipStream_tbDpT10_ENKUlT_T0_E_clISt17integral_constantIbLb0EES1D_IbLb1EEEEDaS19_S1A_EUlS19_E_NS1_11comp_targetILNS1_3genE2ELNS1_11target_archE906ELNS1_3gpuE6ELNS1_3repE0EEENS1_30default_config_static_selectorELNS0_4arch9wavefront6targetE1EEEvT1_.numbered_sgpr, 0
	.set _ZN7rocprim17ROCPRIM_400000_NS6detail17trampoline_kernelINS0_14default_configENS1_25partition_config_selectorILNS1_17partition_subalgoE8ElNS0_10empty_typeEbEEZZNS1_14partition_implILS5_8ELb0ES3_jPlPS6_PKS6_NS0_5tupleIJS9_S6_EEENSD_IJSA_SA_EEENS0_18inequality_wrapperIZN2at6native12_GLOBAL__N_124unique_dim_cuda_templateIN3c108BFloat16EEESt5tupleIJNSH_6TensorESO_SO_EERKSO_lbbbEUlllE0_EEPmJS6_EEE10hipError_tPvRmT3_T4_T5_T6_T7_T9_mT8_P12ihipStream_tbDpT10_ENKUlT_T0_E_clISt17integral_constantIbLb0EES1D_IbLb1EEEEDaS19_S1A_EUlS19_E_NS1_11comp_targetILNS1_3genE2ELNS1_11target_archE906ELNS1_3gpuE6ELNS1_3repE0EEENS1_30default_config_static_selectorELNS0_4arch9wavefront6targetE1EEEvT1_.num_named_barrier, 0
	.set _ZN7rocprim17ROCPRIM_400000_NS6detail17trampoline_kernelINS0_14default_configENS1_25partition_config_selectorILNS1_17partition_subalgoE8ElNS0_10empty_typeEbEEZZNS1_14partition_implILS5_8ELb0ES3_jPlPS6_PKS6_NS0_5tupleIJS9_S6_EEENSD_IJSA_SA_EEENS0_18inequality_wrapperIZN2at6native12_GLOBAL__N_124unique_dim_cuda_templateIN3c108BFloat16EEESt5tupleIJNSH_6TensorESO_SO_EERKSO_lbbbEUlllE0_EEPmJS6_EEE10hipError_tPvRmT3_T4_T5_T6_T7_T9_mT8_P12ihipStream_tbDpT10_ENKUlT_T0_E_clISt17integral_constantIbLb0EES1D_IbLb1EEEEDaS19_S1A_EUlS19_E_NS1_11comp_targetILNS1_3genE2ELNS1_11target_archE906ELNS1_3gpuE6ELNS1_3repE0EEENS1_30default_config_static_selectorELNS0_4arch9wavefront6targetE1EEEvT1_.private_seg_size, 0
	.set _ZN7rocprim17ROCPRIM_400000_NS6detail17trampoline_kernelINS0_14default_configENS1_25partition_config_selectorILNS1_17partition_subalgoE8ElNS0_10empty_typeEbEEZZNS1_14partition_implILS5_8ELb0ES3_jPlPS6_PKS6_NS0_5tupleIJS9_S6_EEENSD_IJSA_SA_EEENS0_18inequality_wrapperIZN2at6native12_GLOBAL__N_124unique_dim_cuda_templateIN3c108BFloat16EEESt5tupleIJNSH_6TensorESO_SO_EERKSO_lbbbEUlllE0_EEPmJS6_EEE10hipError_tPvRmT3_T4_T5_T6_T7_T9_mT8_P12ihipStream_tbDpT10_ENKUlT_T0_E_clISt17integral_constantIbLb0EES1D_IbLb1EEEEDaS19_S1A_EUlS19_E_NS1_11comp_targetILNS1_3genE2ELNS1_11target_archE906ELNS1_3gpuE6ELNS1_3repE0EEENS1_30default_config_static_selectorELNS0_4arch9wavefront6targetE1EEEvT1_.uses_vcc, 0
	.set _ZN7rocprim17ROCPRIM_400000_NS6detail17trampoline_kernelINS0_14default_configENS1_25partition_config_selectorILNS1_17partition_subalgoE8ElNS0_10empty_typeEbEEZZNS1_14partition_implILS5_8ELb0ES3_jPlPS6_PKS6_NS0_5tupleIJS9_S6_EEENSD_IJSA_SA_EEENS0_18inequality_wrapperIZN2at6native12_GLOBAL__N_124unique_dim_cuda_templateIN3c108BFloat16EEESt5tupleIJNSH_6TensorESO_SO_EERKSO_lbbbEUlllE0_EEPmJS6_EEE10hipError_tPvRmT3_T4_T5_T6_T7_T9_mT8_P12ihipStream_tbDpT10_ENKUlT_T0_E_clISt17integral_constantIbLb0EES1D_IbLb1EEEEDaS19_S1A_EUlS19_E_NS1_11comp_targetILNS1_3genE2ELNS1_11target_archE906ELNS1_3gpuE6ELNS1_3repE0EEENS1_30default_config_static_selectorELNS0_4arch9wavefront6targetE1EEEvT1_.uses_flat_scratch, 0
	.set _ZN7rocprim17ROCPRIM_400000_NS6detail17trampoline_kernelINS0_14default_configENS1_25partition_config_selectorILNS1_17partition_subalgoE8ElNS0_10empty_typeEbEEZZNS1_14partition_implILS5_8ELb0ES3_jPlPS6_PKS6_NS0_5tupleIJS9_S6_EEENSD_IJSA_SA_EEENS0_18inequality_wrapperIZN2at6native12_GLOBAL__N_124unique_dim_cuda_templateIN3c108BFloat16EEESt5tupleIJNSH_6TensorESO_SO_EERKSO_lbbbEUlllE0_EEPmJS6_EEE10hipError_tPvRmT3_T4_T5_T6_T7_T9_mT8_P12ihipStream_tbDpT10_ENKUlT_T0_E_clISt17integral_constantIbLb0EES1D_IbLb1EEEEDaS19_S1A_EUlS19_E_NS1_11comp_targetILNS1_3genE2ELNS1_11target_archE906ELNS1_3gpuE6ELNS1_3repE0EEENS1_30default_config_static_selectorELNS0_4arch9wavefront6targetE1EEEvT1_.has_dyn_sized_stack, 0
	.set _ZN7rocprim17ROCPRIM_400000_NS6detail17trampoline_kernelINS0_14default_configENS1_25partition_config_selectorILNS1_17partition_subalgoE8ElNS0_10empty_typeEbEEZZNS1_14partition_implILS5_8ELb0ES3_jPlPS6_PKS6_NS0_5tupleIJS9_S6_EEENSD_IJSA_SA_EEENS0_18inequality_wrapperIZN2at6native12_GLOBAL__N_124unique_dim_cuda_templateIN3c108BFloat16EEESt5tupleIJNSH_6TensorESO_SO_EERKSO_lbbbEUlllE0_EEPmJS6_EEE10hipError_tPvRmT3_T4_T5_T6_T7_T9_mT8_P12ihipStream_tbDpT10_ENKUlT_T0_E_clISt17integral_constantIbLb0EES1D_IbLb1EEEEDaS19_S1A_EUlS19_E_NS1_11comp_targetILNS1_3genE2ELNS1_11target_archE906ELNS1_3gpuE6ELNS1_3repE0EEENS1_30default_config_static_selectorELNS0_4arch9wavefront6targetE1EEEvT1_.has_recursion, 0
	.set _ZN7rocprim17ROCPRIM_400000_NS6detail17trampoline_kernelINS0_14default_configENS1_25partition_config_selectorILNS1_17partition_subalgoE8ElNS0_10empty_typeEbEEZZNS1_14partition_implILS5_8ELb0ES3_jPlPS6_PKS6_NS0_5tupleIJS9_S6_EEENSD_IJSA_SA_EEENS0_18inequality_wrapperIZN2at6native12_GLOBAL__N_124unique_dim_cuda_templateIN3c108BFloat16EEESt5tupleIJNSH_6TensorESO_SO_EERKSO_lbbbEUlllE0_EEPmJS6_EEE10hipError_tPvRmT3_T4_T5_T6_T7_T9_mT8_P12ihipStream_tbDpT10_ENKUlT_T0_E_clISt17integral_constantIbLb0EES1D_IbLb1EEEEDaS19_S1A_EUlS19_E_NS1_11comp_targetILNS1_3genE2ELNS1_11target_archE906ELNS1_3gpuE6ELNS1_3repE0EEENS1_30default_config_static_selectorELNS0_4arch9wavefront6targetE1EEEvT1_.has_indirect_call, 0
	.section	.AMDGPU.csdata,"",@progbits
; Kernel info:
; codeLenInByte = 0
; TotalNumSgprs: 6
; NumVgprs: 0
; NumAgprs: 0
; TotalNumVgprs: 0
; ScratchSize: 0
; MemoryBound: 0
; FloatMode: 240
; IeeeMode: 1
; LDSByteSize: 0 bytes/workgroup (compile time only)
; SGPRBlocks: 0
; VGPRBlocks: 0
; NumSGPRsForWavesPerEU: 6
; NumVGPRsForWavesPerEU: 1
; AccumOffset: 4
; Occupancy: 8
; WaveLimiterHint : 0
; COMPUTE_PGM_RSRC2:SCRATCH_EN: 0
; COMPUTE_PGM_RSRC2:USER_SGPR: 2
; COMPUTE_PGM_RSRC2:TRAP_HANDLER: 0
; COMPUTE_PGM_RSRC2:TGID_X_EN: 1
; COMPUTE_PGM_RSRC2:TGID_Y_EN: 0
; COMPUTE_PGM_RSRC2:TGID_Z_EN: 0
; COMPUTE_PGM_RSRC2:TIDIG_COMP_CNT: 0
; COMPUTE_PGM_RSRC3_GFX90A:ACCUM_OFFSET: 0
; COMPUTE_PGM_RSRC3_GFX90A:TG_SPLIT: 0
	.section	.text._ZN7rocprim17ROCPRIM_400000_NS6detail17trampoline_kernelINS0_14default_configENS1_25partition_config_selectorILNS1_17partition_subalgoE8ElNS0_10empty_typeEbEEZZNS1_14partition_implILS5_8ELb0ES3_jPlPS6_PKS6_NS0_5tupleIJS9_S6_EEENSD_IJSA_SA_EEENS0_18inequality_wrapperIZN2at6native12_GLOBAL__N_124unique_dim_cuda_templateIN3c108BFloat16EEESt5tupleIJNSH_6TensorESO_SO_EERKSO_lbbbEUlllE0_EEPmJS6_EEE10hipError_tPvRmT3_T4_T5_T6_T7_T9_mT8_P12ihipStream_tbDpT10_ENKUlT_T0_E_clISt17integral_constantIbLb0EES1D_IbLb1EEEEDaS19_S1A_EUlS19_E_NS1_11comp_targetILNS1_3genE10ELNS1_11target_archE1200ELNS1_3gpuE4ELNS1_3repE0EEENS1_30default_config_static_selectorELNS0_4arch9wavefront6targetE1EEEvT1_,"axG",@progbits,_ZN7rocprim17ROCPRIM_400000_NS6detail17trampoline_kernelINS0_14default_configENS1_25partition_config_selectorILNS1_17partition_subalgoE8ElNS0_10empty_typeEbEEZZNS1_14partition_implILS5_8ELb0ES3_jPlPS6_PKS6_NS0_5tupleIJS9_S6_EEENSD_IJSA_SA_EEENS0_18inequality_wrapperIZN2at6native12_GLOBAL__N_124unique_dim_cuda_templateIN3c108BFloat16EEESt5tupleIJNSH_6TensorESO_SO_EERKSO_lbbbEUlllE0_EEPmJS6_EEE10hipError_tPvRmT3_T4_T5_T6_T7_T9_mT8_P12ihipStream_tbDpT10_ENKUlT_T0_E_clISt17integral_constantIbLb0EES1D_IbLb1EEEEDaS19_S1A_EUlS19_E_NS1_11comp_targetILNS1_3genE10ELNS1_11target_archE1200ELNS1_3gpuE4ELNS1_3repE0EEENS1_30default_config_static_selectorELNS0_4arch9wavefront6targetE1EEEvT1_,comdat
	.globl	_ZN7rocprim17ROCPRIM_400000_NS6detail17trampoline_kernelINS0_14default_configENS1_25partition_config_selectorILNS1_17partition_subalgoE8ElNS0_10empty_typeEbEEZZNS1_14partition_implILS5_8ELb0ES3_jPlPS6_PKS6_NS0_5tupleIJS9_S6_EEENSD_IJSA_SA_EEENS0_18inequality_wrapperIZN2at6native12_GLOBAL__N_124unique_dim_cuda_templateIN3c108BFloat16EEESt5tupleIJNSH_6TensorESO_SO_EERKSO_lbbbEUlllE0_EEPmJS6_EEE10hipError_tPvRmT3_T4_T5_T6_T7_T9_mT8_P12ihipStream_tbDpT10_ENKUlT_T0_E_clISt17integral_constantIbLb0EES1D_IbLb1EEEEDaS19_S1A_EUlS19_E_NS1_11comp_targetILNS1_3genE10ELNS1_11target_archE1200ELNS1_3gpuE4ELNS1_3repE0EEENS1_30default_config_static_selectorELNS0_4arch9wavefront6targetE1EEEvT1_ ; -- Begin function _ZN7rocprim17ROCPRIM_400000_NS6detail17trampoline_kernelINS0_14default_configENS1_25partition_config_selectorILNS1_17partition_subalgoE8ElNS0_10empty_typeEbEEZZNS1_14partition_implILS5_8ELb0ES3_jPlPS6_PKS6_NS0_5tupleIJS9_S6_EEENSD_IJSA_SA_EEENS0_18inequality_wrapperIZN2at6native12_GLOBAL__N_124unique_dim_cuda_templateIN3c108BFloat16EEESt5tupleIJNSH_6TensorESO_SO_EERKSO_lbbbEUlllE0_EEPmJS6_EEE10hipError_tPvRmT3_T4_T5_T6_T7_T9_mT8_P12ihipStream_tbDpT10_ENKUlT_T0_E_clISt17integral_constantIbLb0EES1D_IbLb1EEEEDaS19_S1A_EUlS19_E_NS1_11comp_targetILNS1_3genE10ELNS1_11target_archE1200ELNS1_3gpuE4ELNS1_3repE0EEENS1_30default_config_static_selectorELNS0_4arch9wavefront6targetE1EEEvT1_
	.p2align	8
	.type	_ZN7rocprim17ROCPRIM_400000_NS6detail17trampoline_kernelINS0_14default_configENS1_25partition_config_selectorILNS1_17partition_subalgoE8ElNS0_10empty_typeEbEEZZNS1_14partition_implILS5_8ELb0ES3_jPlPS6_PKS6_NS0_5tupleIJS9_S6_EEENSD_IJSA_SA_EEENS0_18inequality_wrapperIZN2at6native12_GLOBAL__N_124unique_dim_cuda_templateIN3c108BFloat16EEESt5tupleIJNSH_6TensorESO_SO_EERKSO_lbbbEUlllE0_EEPmJS6_EEE10hipError_tPvRmT3_T4_T5_T6_T7_T9_mT8_P12ihipStream_tbDpT10_ENKUlT_T0_E_clISt17integral_constantIbLb0EES1D_IbLb1EEEEDaS19_S1A_EUlS19_E_NS1_11comp_targetILNS1_3genE10ELNS1_11target_archE1200ELNS1_3gpuE4ELNS1_3repE0EEENS1_30default_config_static_selectorELNS0_4arch9wavefront6targetE1EEEvT1_,@function
_ZN7rocprim17ROCPRIM_400000_NS6detail17trampoline_kernelINS0_14default_configENS1_25partition_config_selectorILNS1_17partition_subalgoE8ElNS0_10empty_typeEbEEZZNS1_14partition_implILS5_8ELb0ES3_jPlPS6_PKS6_NS0_5tupleIJS9_S6_EEENSD_IJSA_SA_EEENS0_18inequality_wrapperIZN2at6native12_GLOBAL__N_124unique_dim_cuda_templateIN3c108BFloat16EEESt5tupleIJNSH_6TensorESO_SO_EERKSO_lbbbEUlllE0_EEPmJS6_EEE10hipError_tPvRmT3_T4_T5_T6_T7_T9_mT8_P12ihipStream_tbDpT10_ENKUlT_T0_E_clISt17integral_constantIbLb0EES1D_IbLb1EEEEDaS19_S1A_EUlS19_E_NS1_11comp_targetILNS1_3genE10ELNS1_11target_archE1200ELNS1_3gpuE4ELNS1_3repE0EEENS1_30default_config_static_selectorELNS0_4arch9wavefront6targetE1EEEvT1_: ; @_ZN7rocprim17ROCPRIM_400000_NS6detail17trampoline_kernelINS0_14default_configENS1_25partition_config_selectorILNS1_17partition_subalgoE8ElNS0_10empty_typeEbEEZZNS1_14partition_implILS5_8ELb0ES3_jPlPS6_PKS6_NS0_5tupleIJS9_S6_EEENSD_IJSA_SA_EEENS0_18inequality_wrapperIZN2at6native12_GLOBAL__N_124unique_dim_cuda_templateIN3c108BFloat16EEESt5tupleIJNSH_6TensorESO_SO_EERKSO_lbbbEUlllE0_EEPmJS6_EEE10hipError_tPvRmT3_T4_T5_T6_T7_T9_mT8_P12ihipStream_tbDpT10_ENKUlT_T0_E_clISt17integral_constantIbLb0EES1D_IbLb1EEEEDaS19_S1A_EUlS19_E_NS1_11comp_targetILNS1_3genE10ELNS1_11target_archE1200ELNS1_3gpuE4ELNS1_3repE0EEENS1_30default_config_static_selectorELNS0_4arch9wavefront6targetE1EEEvT1_
; %bb.0:
	.section	.rodata,"a",@progbits
	.p2align	6, 0x0
	.amdhsa_kernel _ZN7rocprim17ROCPRIM_400000_NS6detail17trampoline_kernelINS0_14default_configENS1_25partition_config_selectorILNS1_17partition_subalgoE8ElNS0_10empty_typeEbEEZZNS1_14partition_implILS5_8ELb0ES3_jPlPS6_PKS6_NS0_5tupleIJS9_S6_EEENSD_IJSA_SA_EEENS0_18inequality_wrapperIZN2at6native12_GLOBAL__N_124unique_dim_cuda_templateIN3c108BFloat16EEESt5tupleIJNSH_6TensorESO_SO_EERKSO_lbbbEUlllE0_EEPmJS6_EEE10hipError_tPvRmT3_T4_T5_T6_T7_T9_mT8_P12ihipStream_tbDpT10_ENKUlT_T0_E_clISt17integral_constantIbLb0EES1D_IbLb1EEEEDaS19_S1A_EUlS19_E_NS1_11comp_targetILNS1_3genE10ELNS1_11target_archE1200ELNS1_3gpuE4ELNS1_3repE0EEENS1_30default_config_static_selectorELNS0_4arch9wavefront6targetE1EEEvT1_
		.amdhsa_group_segment_fixed_size 0
		.amdhsa_private_segment_fixed_size 0
		.amdhsa_kernarg_size 136
		.amdhsa_user_sgpr_count 2
		.amdhsa_user_sgpr_dispatch_ptr 0
		.amdhsa_user_sgpr_queue_ptr 0
		.amdhsa_user_sgpr_kernarg_segment_ptr 1
		.amdhsa_user_sgpr_dispatch_id 0
		.amdhsa_user_sgpr_kernarg_preload_length 0
		.amdhsa_user_sgpr_kernarg_preload_offset 0
		.amdhsa_user_sgpr_private_segment_size 0
		.amdhsa_uses_dynamic_stack 0
		.amdhsa_enable_private_segment 0
		.amdhsa_system_sgpr_workgroup_id_x 1
		.amdhsa_system_sgpr_workgroup_id_y 0
		.amdhsa_system_sgpr_workgroup_id_z 0
		.amdhsa_system_sgpr_workgroup_info 0
		.amdhsa_system_vgpr_workitem_id 0
		.amdhsa_next_free_vgpr 1
		.amdhsa_next_free_sgpr 0
		.amdhsa_accum_offset 4
		.amdhsa_reserve_vcc 0
		.amdhsa_float_round_mode_32 0
		.amdhsa_float_round_mode_16_64 0
		.amdhsa_float_denorm_mode_32 3
		.amdhsa_float_denorm_mode_16_64 3
		.amdhsa_dx10_clamp 1
		.amdhsa_ieee_mode 1
		.amdhsa_fp16_overflow 0
		.amdhsa_tg_split 0
		.amdhsa_exception_fp_ieee_invalid_op 0
		.amdhsa_exception_fp_denorm_src 0
		.amdhsa_exception_fp_ieee_div_zero 0
		.amdhsa_exception_fp_ieee_overflow 0
		.amdhsa_exception_fp_ieee_underflow 0
		.amdhsa_exception_fp_ieee_inexact 0
		.amdhsa_exception_int_div_zero 0
	.end_amdhsa_kernel
	.section	.text._ZN7rocprim17ROCPRIM_400000_NS6detail17trampoline_kernelINS0_14default_configENS1_25partition_config_selectorILNS1_17partition_subalgoE8ElNS0_10empty_typeEbEEZZNS1_14partition_implILS5_8ELb0ES3_jPlPS6_PKS6_NS0_5tupleIJS9_S6_EEENSD_IJSA_SA_EEENS0_18inequality_wrapperIZN2at6native12_GLOBAL__N_124unique_dim_cuda_templateIN3c108BFloat16EEESt5tupleIJNSH_6TensorESO_SO_EERKSO_lbbbEUlllE0_EEPmJS6_EEE10hipError_tPvRmT3_T4_T5_T6_T7_T9_mT8_P12ihipStream_tbDpT10_ENKUlT_T0_E_clISt17integral_constantIbLb0EES1D_IbLb1EEEEDaS19_S1A_EUlS19_E_NS1_11comp_targetILNS1_3genE10ELNS1_11target_archE1200ELNS1_3gpuE4ELNS1_3repE0EEENS1_30default_config_static_selectorELNS0_4arch9wavefront6targetE1EEEvT1_,"axG",@progbits,_ZN7rocprim17ROCPRIM_400000_NS6detail17trampoline_kernelINS0_14default_configENS1_25partition_config_selectorILNS1_17partition_subalgoE8ElNS0_10empty_typeEbEEZZNS1_14partition_implILS5_8ELb0ES3_jPlPS6_PKS6_NS0_5tupleIJS9_S6_EEENSD_IJSA_SA_EEENS0_18inequality_wrapperIZN2at6native12_GLOBAL__N_124unique_dim_cuda_templateIN3c108BFloat16EEESt5tupleIJNSH_6TensorESO_SO_EERKSO_lbbbEUlllE0_EEPmJS6_EEE10hipError_tPvRmT3_T4_T5_T6_T7_T9_mT8_P12ihipStream_tbDpT10_ENKUlT_T0_E_clISt17integral_constantIbLb0EES1D_IbLb1EEEEDaS19_S1A_EUlS19_E_NS1_11comp_targetILNS1_3genE10ELNS1_11target_archE1200ELNS1_3gpuE4ELNS1_3repE0EEENS1_30default_config_static_selectorELNS0_4arch9wavefront6targetE1EEEvT1_,comdat
.Lfunc_end1203:
	.size	_ZN7rocprim17ROCPRIM_400000_NS6detail17trampoline_kernelINS0_14default_configENS1_25partition_config_selectorILNS1_17partition_subalgoE8ElNS0_10empty_typeEbEEZZNS1_14partition_implILS5_8ELb0ES3_jPlPS6_PKS6_NS0_5tupleIJS9_S6_EEENSD_IJSA_SA_EEENS0_18inequality_wrapperIZN2at6native12_GLOBAL__N_124unique_dim_cuda_templateIN3c108BFloat16EEESt5tupleIJNSH_6TensorESO_SO_EERKSO_lbbbEUlllE0_EEPmJS6_EEE10hipError_tPvRmT3_T4_T5_T6_T7_T9_mT8_P12ihipStream_tbDpT10_ENKUlT_T0_E_clISt17integral_constantIbLb0EES1D_IbLb1EEEEDaS19_S1A_EUlS19_E_NS1_11comp_targetILNS1_3genE10ELNS1_11target_archE1200ELNS1_3gpuE4ELNS1_3repE0EEENS1_30default_config_static_selectorELNS0_4arch9wavefront6targetE1EEEvT1_, .Lfunc_end1203-_ZN7rocprim17ROCPRIM_400000_NS6detail17trampoline_kernelINS0_14default_configENS1_25partition_config_selectorILNS1_17partition_subalgoE8ElNS0_10empty_typeEbEEZZNS1_14partition_implILS5_8ELb0ES3_jPlPS6_PKS6_NS0_5tupleIJS9_S6_EEENSD_IJSA_SA_EEENS0_18inequality_wrapperIZN2at6native12_GLOBAL__N_124unique_dim_cuda_templateIN3c108BFloat16EEESt5tupleIJNSH_6TensorESO_SO_EERKSO_lbbbEUlllE0_EEPmJS6_EEE10hipError_tPvRmT3_T4_T5_T6_T7_T9_mT8_P12ihipStream_tbDpT10_ENKUlT_T0_E_clISt17integral_constantIbLb0EES1D_IbLb1EEEEDaS19_S1A_EUlS19_E_NS1_11comp_targetILNS1_3genE10ELNS1_11target_archE1200ELNS1_3gpuE4ELNS1_3repE0EEENS1_30default_config_static_selectorELNS0_4arch9wavefront6targetE1EEEvT1_
                                        ; -- End function
	.set _ZN7rocprim17ROCPRIM_400000_NS6detail17trampoline_kernelINS0_14default_configENS1_25partition_config_selectorILNS1_17partition_subalgoE8ElNS0_10empty_typeEbEEZZNS1_14partition_implILS5_8ELb0ES3_jPlPS6_PKS6_NS0_5tupleIJS9_S6_EEENSD_IJSA_SA_EEENS0_18inequality_wrapperIZN2at6native12_GLOBAL__N_124unique_dim_cuda_templateIN3c108BFloat16EEESt5tupleIJNSH_6TensorESO_SO_EERKSO_lbbbEUlllE0_EEPmJS6_EEE10hipError_tPvRmT3_T4_T5_T6_T7_T9_mT8_P12ihipStream_tbDpT10_ENKUlT_T0_E_clISt17integral_constantIbLb0EES1D_IbLb1EEEEDaS19_S1A_EUlS19_E_NS1_11comp_targetILNS1_3genE10ELNS1_11target_archE1200ELNS1_3gpuE4ELNS1_3repE0EEENS1_30default_config_static_selectorELNS0_4arch9wavefront6targetE1EEEvT1_.num_vgpr, 0
	.set _ZN7rocprim17ROCPRIM_400000_NS6detail17trampoline_kernelINS0_14default_configENS1_25partition_config_selectorILNS1_17partition_subalgoE8ElNS0_10empty_typeEbEEZZNS1_14partition_implILS5_8ELb0ES3_jPlPS6_PKS6_NS0_5tupleIJS9_S6_EEENSD_IJSA_SA_EEENS0_18inequality_wrapperIZN2at6native12_GLOBAL__N_124unique_dim_cuda_templateIN3c108BFloat16EEESt5tupleIJNSH_6TensorESO_SO_EERKSO_lbbbEUlllE0_EEPmJS6_EEE10hipError_tPvRmT3_T4_T5_T6_T7_T9_mT8_P12ihipStream_tbDpT10_ENKUlT_T0_E_clISt17integral_constantIbLb0EES1D_IbLb1EEEEDaS19_S1A_EUlS19_E_NS1_11comp_targetILNS1_3genE10ELNS1_11target_archE1200ELNS1_3gpuE4ELNS1_3repE0EEENS1_30default_config_static_selectorELNS0_4arch9wavefront6targetE1EEEvT1_.num_agpr, 0
	.set _ZN7rocprim17ROCPRIM_400000_NS6detail17trampoline_kernelINS0_14default_configENS1_25partition_config_selectorILNS1_17partition_subalgoE8ElNS0_10empty_typeEbEEZZNS1_14partition_implILS5_8ELb0ES3_jPlPS6_PKS6_NS0_5tupleIJS9_S6_EEENSD_IJSA_SA_EEENS0_18inequality_wrapperIZN2at6native12_GLOBAL__N_124unique_dim_cuda_templateIN3c108BFloat16EEESt5tupleIJNSH_6TensorESO_SO_EERKSO_lbbbEUlllE0_EEPmJS6_EEE10hipError_tPvRmT3_T4_T5_T6_T7_T9_mT8_P12ihipStream_tbDpT10_ENKUlT_T0_E_clISt17integral_constantIbLb0EES1D_IbLb1EEEEDaS19_S1A_EUlS19_E_NS1_11comp_targetILNS1_3genE10ELNS1_11target_archE1200ELNS1_3gpuE4ELNS1_3repE0EEENS1_30default_config_static_selectorELNS0_4arch9wavefront6targetE1EEEvT1_.numbered_sgpr, 0
	.set _ZN7rocprim17ROCPRIM_400000_NS6detail17trampoline_kernelINS0_14default_configENS1_25partition_config_selectorILNS1_17partition_subalgoE8ElNS0_10empty_typeEbEEZZNS1_14partition_implILS5_8ELb0ES3_jPlPS6_PKS6_NS0_5tupleIJS9_S6_EEENSD_IJSA_SA_EEENS0_18inequality_wrapperIZN2at6native12_GLOBAL__N_124unique_dim_cuda_templateIN3c108BFloat16EEESt5tupleIJNSH_6TensorESO_SO_EERKSO_lbbbEUlllE0_EEPmJS6_EEE10hipError_tPvRmT3_T4_T5_T6_T7_T9_mT8_P12ihipStream_tbDpT10_ENKUlT_T0_E_clISt17integral_constantIbLb0EES1D_IbLb1EEEEDaS19_S1A_EUlS19_E_NS1_11comp_targetILNS1_3genE10ELNS1_11target_archE1200ELNS1_3gpuE4ELNS1_3repE0EEENS1_30default_config_static_selectorELNS0_4arch9wavefront6targetE1EEEvT1_.num_named_barrier, 0
	.set _ZN7rocprim17ROCPRIM_400000_NS6detail17trampoline_kernelINS0_14default_configENS1_25partition_config_selectorILNS1_17partition_subalgoE8ElNS0_10empty_typeEbEEZZNS1_14partition_implILS5_8ELb0ES3_jPlPS6_PKS6_NS0_5tupleIJS9_S6_EEENSD_IJSA_SA_EEENS0_18inequality_wrapperIZN2at6native12_GLOBAL__N_124unique_dim_cuda_templateIN3c108BFloat16EEESt5tupleIJNSH_6TensorESO_SO_EERKSO_lbbbEUlllE0_EEPmJS6_EEE10hipError_tPvRmT3_T4_T5_T6_T7_T9_mT8_P12ihipStream_tbDpT10_ENKUlT_T0_E_clISt17integral_constantIbLb0EES1D_IbLb1EEEEDaS19_S1A_EUlS19_E_NS1_11comp_targetILNS1_3genE10ELNS1_11target_archE1200ELNS1_3gpuE4ELNS1_3repE0EEENS1_30default_config_static_selectorELNS0_4arch9wavefront6targetE1EEEvT1_.private_seg_size, 0
	.set _ZN7rocprim17ROCPRIM_400000_NS6detail17trampoline_kernelINS0_14default_configENS1_25partition_config_selectorILNS1_17partition_subalgoE8ElNS0_10empty_typeEbEEZZNS1_14partition_implILS5_8ELb0ES3_jPlPS6_PKS6_NS0_5tupleIJS9_S6_EEENSD_IJSA_SA_EEENS0_18inequality_wrapperIZN2at6native12_GLOBAL__N_124unique_dim_cuda_templateIN3c108BFloat16EEESt5tupleIJNSH_6TensorESO_SO_EERKSO_lbbbEUlllE0_EEPmJS6_EEE10hipError_tPvRmT3_T4_T5_T6_T7_T9_mT8_P12ihipStream_tbDpT10_ENKUlT_T0_E_clISt17integral_constantIbLb0EES1D_IbLb1EEEEDaS19_S1A_EUlS19_E_NS1_11comp_targetILNS1_3genE10ELNS1_11target_archE1200ELNS1_3gpuE4ELNS1_3repE0EEENS1_30default_config_static_selectorELNS0_4arch9wavefront6targetE1EEEvT1_.uses_vcc, 0
	.set _ZN7rocprim17ROCPRIM_400000_NS6detail17trampoline_kernelINS0_14default_configENS1_25partition_config_selectorILNS1_17partition_subalgoE8ElNS0_10empty_typeEbEEZZNS1_14partition_implILS5_8ELb0ES3_jPlPS6_PKS6_NS0_5tupleIJS9_S6_EEENSD_IJSA_SA_EEENS0_18inequality_wrapperIZN2at6native12_GLOBAL__N_124unique_dim_cuda_templateIN3c108BFloat16EEESt5tupleIJNSH_6TensorESO_SO_EERKSO_lbbbEUlllE0_EEPmJS6_EEE10hipError_tPvRmT3_T4_T5_T6_T7_T9_mT8_P12ihipStream_tbDpT10_ENKUlT_T0_E_clISt17integral_constantIbLb0EES1D_IbLb1EEEEDaS19_S1A_EUlS19_E_NS1_11comp_targetILNS1_3genE10ELNS1_11target_archE1200ELNS1_3gpuE4ELNS1_3repE0EEENS1_30default_config_static_selectorELNS0_4arch9wavefront6targetE1EEEvT1_.uses_flat_scratch, 0
	.set _ZN7rocprim17ROCPRIM_400000_NS6detail17trampoline_kernelINS0_14default_configENS1_25partition_config_selectorILNS1_17partition_subalgoE8ElNS0_10empty_typeEbEEZZNS1_14partition_implILS5_8ELb0ES3_jPlPS6_PKS6_NS0_5tupleIJS9_S6_EEENSD_IJSA_SA_EEENS0_18inequality_wrapperIZN2at6native12_GLOBAL__N_124unique_dim_cuda_templateIN3c108BFloat16EEESt5tupleIJNSH_6TensorESO_SO_EERKSO_lbbbEUlllE0_EEPmJS6_EEE10hipError_tPvRmT3_T4_T5_T6_T7_T9_mT8_P12ihipStream_tbDpT10_ENKUlT_T0_E_clISt17integral_constantIbLb0EES1D_IbLb1EEEEDaS19_S1A_EUlS19_E_NS1_11comp_targetILNS1_3genE10ELNS1_11target_archE1200ELNS1_3gpuE4ELNS1_3repE0EEENS1_30default_config_static_selectorELNS0_4arch9wavefront6targetE1EEEvT1_.has_dyn_sized_stack, 0
	.set _ZN7rocprim17ROCPRIM_400000_NS6detail17trampoline_kernelINS0_14default_configENS1_25partition_config_selectorILNS1_17partition_subalgoE8ElNS0_10empty_typeEbEEZZNS1_14partition_implILS5_8ELb0ES3_jPlPS6_PKS6_NS0_5tupleIJS9_S6_EEENSD_IJSA_SA_EEENS0_18inequality_wrapperIZN2at6native12_GLOBAL__N_124unique_dim_cuda_templateIN3c108BFloat16EEESt5tupleIJNSH_6TensorESO_SO_EERKSO_lbbbEUlllE0_EEPmJS6_EEE10hipError_tPvRmT3_T4_T5_T6_T7_T9_mT8_P12ihipStream_tbDpT10_ENKUlT_T0_E_clISt17integral_constantIbLb0EES1D_IbLb1EEEEDaS19_S1A_EUlS19_E_NS1_11comp_targetILNS1_3genE10ELNS1_11target_archE1200ELNS1_3gpuE4ELNS1_3repE0EEENS1_30default_config_static_selectorELNS0_4arch9wavefront6targetE1EEEvT1_.has_recursion, 0
	.set _ZN7rocprim17ROCPRIM_400000_NS6detail17trampoline_kernelINS0_14default_configENS1_25partition_config_selectorILNS1_17partition_subalgoE8ElNS0_10empty_typeEbEEZZNS1_14partition_implILS5_8ELb0ES3_jPlPS6_PKS6_NS0_5tupleIJS9_S6_EEENSD_IJSA_SA_EEENS0_18inequality_wrapperIZN2at6native12_GLOBAL__N_124unique_dim_cuda_templateIN3c108BFloat16EEESt5tupleIJNSH_6TensorESO_SO_EERKSO_lbbbEUlllE0_EEPmJS6_EEE10hipError_tPvRmT3_T4_T5_T6_T7_T9_mT8_P12ihipStream_tbDpT10_ENKUlT_T0_E_clISt17integral_constantIbLb0EES1D_IbLb1EEEEDaS19_S1A_EUlS19_E_NS1_11comp_targetILNS1_3genE10ELNS1_11target_archE1200ELNS1_3gpuE4ELNS1_3repE0EEENS1_30default_config_static_selectorELNS0_4arch9wavefront6targetE1EEEvT1_.has_indirect_call, 0
	.section	.AMDGPU.csdata,"",@progbits
; Kernel info:
; codeLenInByte = 0
; TotalNumSgprs: 6
; NumVgprs: 0
; NumAgprs: 0
; TotalNumVgprs: 0
; ScratchSize: 0
; MemoryBound: 0
; FloatMode: 240
; IeeeMode: 1
; LDSByteSize: 0 bytes/workgroup (compile time only)
; SGPRBlocks: 0
; VGPRBlocks: 0
; NumSGPRsForWavesPerEU: 6
; NumVGPRsForWavesPerEU: 1
; AccumOffset: 4
; Occupancy: 8
; WaveLimiterHint : 0
; COMPUTE_PGM_RSRC2:SCRATCH_EN: 0
; COMPUTE_PGM_RSRC2:USER_SGPR: 2
; COMPUTE_PGM_RSRC2:TRAP_HANDLER: 0
; COMPUTE_PGM_RSRC2:TGID_X_EN: 1
; COMPUTE_PGM_RSRC2:TGID_Y_EN: 0
; COMPUTE_PGM_RSRC2:TGID_Z_EN: 0
; COMPUTE_PGM_RSRC2:TIDIG_COMP_CNT: 0
; COMPUTE_PGM_RSRC3_GFX90A:ACCUM_OFFSET: 0
; COMPUTE_PGM_RSRC3_GFX90A:TG_SPLIT: 0
	.section	.text._ZN7rocprim17ROCPRIM_400000_NS6detail17trampoline_kernelINS0_14default_configENS1_25partition_config_selectorILNS1_17partition_subalgoE8ElNS0_10empty_typeEbEEZZNS1_14partition_implILS5_8ELb0ES3_jPlPS6_PKS6_NS0_5tupleIJS9_S6_EEENSD_IJSA_SA_EEENS0_18inequality_wrapperIZN2at6native12_GLOBAL__N_124unique_dim_cuda_templateIN3c108BFloat16EEESt5tupleIJNSH_6TensorESO_SO_EERKSO_lbbbEUlllE0_EEPmJS6_EEE10hipError_tPvRmT3_T4_T5_T6_T7_T9_mT8_P12ihipStream_tbDpT10_ENKUlT_T0_E_clISt17integral_constantIbLb0EES1D_IbLb1EEEEDaS19_S1A_EUlS19_E_NS1_11comp_targetILNS1_3genE9ELNS1_11target_archE1100ELNS1_3gpuE3ELNS1_3repE0EEENS1_30default_config_static_selectorELNS0_4arch9wavefront6targetE1EEEvT1_,"axG",@progbits,_ZN7rocprim17ROCPRIM_400000_NS6detail17trampoline_kernelINS0_14default_configENS1_25partition_config_selectorILNS1_17partition_subalgoE8ElNS0_10empty_typeEbEEZZNS1_14partition_implILS5_8ELb0ES3_jPlPS6_PKS6_NS0_5tupleIJS9_S6_EEENSD_IJSA_SA_EEENS0_18inequality_wrapperIZN2at6native12_GLOBAL__N_124unique_dim_cuda_templateIN3c108BFloat16EEESt5tupleIJNSH_6TensorESO_SO_EERKSO_lbbbEUlllE0_EEPmJS6_EEE10hipError_tPvRmT3_T4_T5_T6_T7_T9_mT8_P12ihipStream_tbDpT10_ENKUlT_T0_E_clISt17integral_constantIbLb0EES1D_IbLb1EEEEDaS19_S1A_EUlS19_E_NS1_11comp_targetILNS1_3genE9ELNS1_11target_archE1100ELNS1_3gpuE3ELNS1_3repE0EEENS1_30default_config_static_selectorELNS0_4arch9wavefront6targetE1EEEvT1_,comdat
	.globl	_ZN7rocprim17ROCPRIM_400000_NS6detail17trampoline_kernelINS0_14default_configENS1_25partition_config_selectorILNS1_17partition_subalgoE8ElNS0_10empty_typeEbEEZZNS1_14partition_implILS5_8ELb0ES3_jPlPS6_PKS6_NS0_5tupleIJS9_S6_EEENSD_IJSA_SA_EEENS0_18inequality_wrapperIZN2at6native12_GLOBAL__N_124unique_dim_cuda_templateIN3c108BFloat16EEESt5tupleIJNSH_6TensorESO_SO_EERKSO_lbbbEUlllE0_EEPmJS6_EEE10hipError_tPvRmT3_T4_T5_T6_T7_T9_mT8_P12ihipStream_tbDpT10_ENKUlT_T0_E_clISt17integral_constantIbLb0EES1D_IbLb1EEEEDaS19_S1A_EUlS19_E_NS1_11comp_targetILNS1_3genE9ELNS1_11target_archE1100ELNS1_3gpuE3ELNS1_3repE0EEENS1_30default_config_static_selectorELNS0_4arch9wavefront6targetE1EEEvT1_ ; -- Begin function _ZN7rocprim17ROCPRIM_400000_NS6detail17trampoline_kernelINS0_14default_configENS1_25partition_config_selectorILNS1_17partition_subalgoE8ElNS0_10empty_typeEbEEZZNS1_14partition_implILS5_8ELb0ES3_jPlPS6_PKS6_NS0_5tupleIJS9_S6_EEENSD_IJSA_SA_EEENS0_18inequality_wrapperIZN2at6native12_GLOBAL__N_124unique_dim_cuda_templateIN3c108BFloat16EEESt5tupleIJNSH_6TensorESO_SO_EERKSO_lbbbEUlllE0_EEPmJS6_EEE10hipError_tPvRmT3_T4_T5_T6_T7_T9_mT8_P12ihipStream_tbDpT10_ENKUlT_T0_E_clISt17integral_constantIbLb0EES1D_IbLb1EEEEDaS19_S1A_EUlS19_E_NS1_11comp_targetILNS1_3genE9ELNS1_11target_archE1100ELNS1_3gpuE3ELNS1_3repE0EEENS1_30default_config_static_selectorELNS0_4arch9wavefront6targetE1EEEvT1_
	.p2align	8
	.type	_ZN7rocprim17ROCPRIM_400000_NS6detail17trampoline_kernelINS0_14default_configENS1_25partition_config_selectorILNS1_17partition_subalgoE8ElNS0_10empty_typeEbEEZZNS1_14partition_implILS5_8ELb0ES3_jPlPS6_PKS6_NS0_5tupleIJS9_S6_EEENSD_IJSA_SA_EEENS0_18inequality_wrapperIZN2at6native12_GLOBAL__N_124unique_dim_cuda_templateIN3c108BFloat16EEESt5tupleIJNSH_6TensorESO_SO_EERKSO_lbbbEUlllE0_EEPmJS6_EEE10hipError_tPvRmT3_T4_T5_T6_T7_T9_mT8_P12ihipStream_tbDpT10_ENKUlT_T0_E_clISt17integral_constantIbLb0EES1D_IbLb1EEEEDaS19_S1A_EUlS19_E_NS1_11comp_targetILNS1_3genE9ELNS1_11target_archE1100ELNS1_3gpuE3ELNS1_3repE0EEENS1_30default_config_static_selectorELNS0_4arch9wavefront6targetE1EEEvT1_,@function
_ZN7rocprim17ROCPRIM_400000_NS6detail17trampoline_kernelINS0_14default_configENS1_25partition_config_selectorILNS1_17partition_subalgoE8ElNS0_10empty_typeEbEEZZNS1_14partition_implILS5_8ELb0ES3_jPlPS6_PKS6_NS0_5tupleIJS9_S6_EEENSD_IJSA_SA_EEENS0_18inequality_wrapperIZN2at6native12_GLOBAL__N_124unique_dim_cuda_templateIN3c108BFloat16EEESt5tupleIJNSH_6TensorESO_SO_EERKSO_lbbbEUlllE0_EEPmJS6_EEE10hipError_tPvRmT3_T4_T5_T6_T7_T9_mT8_P12ihipStream_tbDpT10_ENKUlT_T0_E_clISt17integral_constantIbLb0EES1D_IbLb1EEEEDaS19_S1A_EUlS19_E_NS1_11comp_targetILNS1_3genE9ELNS1_11target_archE1100ELNS1_3gpuE3ELNS1_3repE0EEENS1_30default_config_static_selectorELNS0_4arch9wavefront6targetE1EEEvT1_: ; @_ZN7rocprim17ROCPRIM_400000_NS6detail17trampoline_kernelINS0_14default_configENS1_25partition_config_selectorILNS1_17partition_subalgoE8ElNS0_10empty_typeEbEEZZNS1_14partition_implILS5_8ELb0ES3_jPlPS6_PKS6_NS0_5tupleIJS9_S6_EEENSD_IJSA_SA_EEENS0_18inequality_wrapperIZN2at6native12_GLOBAL__N_124unique_dim_cuda_templateIN3c108BFloat16EEESt5tupleIJNSH_6TensorESO_SO_EERKSO_lbbbEUlllE0_EEPmJS6_EEE10hipError_tPvRmT3_T4_T5_T6_T7_T9_mT8_P12ihipStream_tbDpT10_ENKUlT_T0_E_clISt17integral_constantIbLb0EES1D_IbLb1EEEEDaS19_S1A_EUlS19_E_NS1_11comp_targetILNS1_3genE9ELNS1_11target_archE1100ELNS1_3gpuE3ELNS1_3repE0EEENS1_30default_config_static_selectorELNS0_4arch9wavefront6targetE1EEEvT1_
; %bb.0:
	.section	.rodata,"a",@progbits
	.p2align	6, 0x0
	.amdhsa_kernel _ZN7rocprim17ROCPRIM_400000_NS6detail17trampoline_kernelINS0_14default_configENS1_25partition_config_selectorILNS1_17partition_subalgoE8ElNS0_10empty_typeEbEEZZNS1_14partition_implILS5_8ELb0ES3_jPlPS6_PKS6_NS0_5tupleIJS9_S6_EEENSD_IJSA_SA_EEENS0_18inequality_wrapperIZN2at6native12_GLOBAL__N_124unique_dim_cuda_templateIN3c108BFloat16EEESt5tupleIJNSH_6TensorESO_SO_EERKSO_lbbbEUlllE0_EEPmJS6_EEE10hipError_tPvRmT3_T4_T5_T6_T7_T9_mT8_P12ihipStream_tbDpT10_ENKUlT_T0_E_clISt17integral_constantIbLb0EES1D_IbLb1EEEEDaS19_S1A_EUlS19_E_NS1_11comp_targetILNS1_3genE9ELNS1_11target_archE1100ELNS1_3gpuE3ELNS1_3repE0EEENS1_30default_config_static_selectorELNS0_4arch9wavefront6targetE1EEEvT1_
		.amdhsa_group_segment_fixed_size 0
		.amdhsa_private_segment_fixed_size 0
		.amdhsa_kernarg_size 136
		.amdhsa_user_sgpr_count 2
		.amdhsa_user_sgpr_dispatch_ptr 0
		.amdhsa_user_sgpr_queue_ptr 0
		.amdhsa_user_sgpr_kernarg_segment_ptr 1
		.amdhsa_user_sgpr_dispatch_id 0
		.amdhsa_user_sgpr_kernarg_preload_length 0
		.amdhsa_user_sgpr_kernarg_preload_offset 0
		.amdhsa_user_sgpr_private_segment_size 0
		.amdhsa_uses_dynamic_stack 0
		.amdhsa_enable_private_segment 0
		.amdhsa_system_sgpr_workgroup_id_x 1
		.amdhsa_system_sgpr_workgroup_id_y 0
		.amdhsa_system_sgpr_workgroup_id_z 0
		.amdhsa_system_sgpr_workgroup_info 0
		.amdhsa_system_vgpr_workitem_id 0
		.amdhsa_next_free_vgpr 1
		.amdhsa_next_free_sgpr 0
		.amdhsa_accum_offset 4
		.amdhsa_reserve_vcc 0
		.amdhsa_float_round_mode_32 0
		.amdhsa_float_round_mode_16_64 0
		.amdhsa_float_denorm_mode_32 3
		.amdhsa_float_denorm_mode_16_64 3
		.amdhsa_dx10_clamp 1
		.amdhsa_ieee_mode 1
		.amdhsa_fp16_overflow 0
		.amdhsa_tg_split 0
		.amdhsa_exception_fp_ieee_invalid_op 0
		.amdhsa_exception_fp_denorm_src 0
		.amdhsa_exception_fp_ieee_div_zero 0
		.amdhsa_exception_fp_ieee_overflow 0
		.amdhsa_exception_fp_ieee_underflow 0
		.amdhsa_exception_fp_ieee_inexact 0
		.amdhsa_exception_int_div_zero 0
	.end_amdhsa_kernel
	.section	.text._ZN7rocprim17ROCPRIM_400000_NS6detail17trampoline_kernelINS0_14default_configENS1_25partition_config_selectorILNS1_17partition_subalgoE8ElNS0_10empty_typeEbEEZZNS1_14partition_implILS5_8ELb0ES3_jPlPS6_PKS6_NS0_5tupleIJS9_S6_EEENSD_IJSA_SA_EEENS0_18inequality_wrapperIZN2at6native12_GLOBAL__N_124unique_dim_cuda_templateIN3c108BFloat16EEESt5tupleIJNSH_6TensorESO_SO_EERKSO_lbbbEUlllE0_EEPmJS6_EEE10hipError_tPvRmT3_T4_T5_T6_T7_T9_mT8_P12ihipStream_tbDpT10_ENKUlT_T0_E_clISt17integral_constantIbLb0EES1D_IbLb1EEEEDaS19_S1A_EUlS19_E_NS1_11comp_targetILNS1_3genE9ELNS1_11target_archE1100ELNS1_3gpuE3ELNS1_3repE0EEENS1_30default_config_static_selectorELNS0_4arch9wavefront6targetE1EEEvT1_,"axG",@progbits,_ZN7rocprim17ROCPRIM_400000_NS6detail17trampoline_kernelINS0_14default_configENS1_25partition_config_selectorILNS1_17partition_subalgoE8ElNS0_10empty_typeEbEEZZNS1_14partition_implILS5_8ELb0ES3_jPlPS6_PKS6_NS0_5tupleIJS9_S6_EEENSD_IJSA_SA_EEENS0_18inequality_wrapperIZN2at6native12_GLOBAL__N_124unique_dim_cuda_templateIN3c108BFloat16EEESt5tupleIJNSH_6TensorESO_SO_EERKSO_lbbbEUlllE0_EEPmJS6_EEE10hipError_tPvRmT3_T4_T5_T6_T7_T9_mT8_P12ihipStream_tbDpT10_ENKUlT_T0_E_clISt17integral_constantIbLb0EES1D_IbLb1EEEEDaS19_S1A_EUlS19_E_NS1_11comp_targetILNS1_3genE9ELNS1_11target_archE1100ELNS1_3gpuE3ELNS1_3repE0EEENS1_30default_config_static_selectorELNS0_4arch9wavefront6targetE1EEEvT1_,comdat
.Lfunc_end1204:
	.size	_ZN7rocprim17ROCPRIM_400000_NS6detail17trampoline_kernelINS0_14default_configENS1_25partition_config_selectorILNS1_17partition_subalgoE8ElNS0_10empty_typeEbEEZZNS1_14partition_implILS5_8ELb0ES3_jPlPS6_PKS6_NS0_5tupleIJS9_S6_EEENSD_IJSA_SA_EEENS0_18inequality_wrapperIZN2at6native12_GLOBAL__N_124unique_dim_cuda_templateIN3c108BFloat16EEESt5tupleIJNSH_6TensorESO_SO_EERKSO_lbbbEUlllE0_EEPmJS6_EEE10hipError_tPvRmT3_T4_T5_T6_T7_T9_mT8_P12ihipStream_tbDpT10_ENKUlT_T0_E_clISt17integral_constantIbLb0EES1D_IbLb1EEEEDaS19_S1A_EUlS19_E_NS1_11comp_targetILNS1_3genE9ELNS1_11target_archE1100ELNS1_3gpuE3ELNS1_3repE0EEENS1_30default_config_static_selectorELNS0_4arch9wavefront6targetE1EEEvT1_, .Lfunc_end1204-_ZN7rocprim17ROCPRIM_400000_NS6detail17trampoline_kernelINS0_14default_configENS1_25partition_config_selectorILNS1_17partition_subalgoE8ElNS0_10empty_typeEbEEZZNS1_14partition_implILS5_8ELb0ES3_jPlPS6_PKS6_NS0_5tupleIJS9_S6_EEENSD_IJSA_SA_EEENS0_18inequality_wrapperIZN2at6native12_GLOBAL__N_124unique_dim_cuda_templateIN3c108BFloat16EEESt5tupleIJNSH_6TensorESO_SO_EERKSO_lbbbEUlllE0_EEPmJS6_EEE10hipError_tPvRmT3_T4_T5_T6_T7_T9_mT8_P12ihipStream_tbDpT10_ENKUlT_T0_E_clISt17integral_constantIbLb0EES1D_IbLb1EEEEDaS19_S1A_EUlS19_E_NS1_11comp_targetILNS1_3genE9ELNS1_11target_archE1100ELNS1_3gpuE3ELNS1_3repE0EEENS1_30default_config_static_selectorELNS0_4arch9wavefront6targetE1EEEvT1_
                                        ; -- End function
	.set _ZN7rocprim17ROCPRIM_400000_NS6detail17trampoline_kernelINS0_14default_configENS1_25partition_config_selectorILNS1_17partition_subalgoE8ElNS0_10empty_typeEbEEZZNS1_14partition_implILS5_8ELb0ES3_jPlPS6_PKS6_NS0_5tupleIJS9_S6_EEENSD_IJSA_SA_EEENS0_18inequality_wrapperIZN2at6native12_GLOBAL__N_124unique_dim_cuda_templateIN3c108BFloat16EEESt5tupleIJNSH_6TensorESO_SO_EERKSO_lbbbEUlllE0_EEPmJS6_EEE10hipError_tPvRmT3_T4_T5_T6_T7_T9_mT8_P12ihipStream_tbDpT10_ENKUlT_T0_E_clISt17integral_constantIbLb0EES1D_IbLb1EEEEDaS19_S1A_EUlS19_E_NS1_11comp_targetILNS1_3genE9ELNS1_11target_archE1100ELNS1_3gpuE3ELNS1_3repE0EEENS1_30default_config_static_selectorELNS0_4arch9wavefront6targetE1EEEvT1_.num_vgpr, 0
	.set _ZN7rocprim17ROCPRIM_400000_NS6detail17trampoline_kernelINS0_14default_configENS1_25partition_config_selectorILNS1_17partition_subalgoE8ElNS0_10empty_typeEbEEZZNS1_14partition_implILS5_8ELb0ES3_jPlPS6_PKS6_NS0_5tupleIJS9_S6_EEENSD_IJSA_SA_EEENS0_18inequality_wrapperIZN2at6native12_GLOBAL__N_124unique_dim_cuda_templateIN3c108BFloat16EEESt5tupleIJNSH_6TensorESO_SO_EERKSO_lbbbEUlllE0_EEPmJS6_EEE10hipError_tPvRmT3_T4_T5_T6_T7_T9_mT8_P12ihipStream_tbDpT10_ENKUlT_T0_E_clISt17integral_constantIbLb0EES1D_IbLb1EEEEDaS19_S1A_EUlS19_E_NS1_11comp_targetILNS1_3genE9ELNS1_11target_archE1100ELNS1_3gpuE3ELNS1_3repE0EEENS1_30default_config_static_selectorELNS0_4arch9wavefront6targetE1EEEvT1_.num_agpr, 0
	.set _ZN7rocprim17ROCPRIM_400000_NS6detail17trampoline_kernelINS0_14default_configENS1_25partition_config_selectorILNS1_17partition_subalgoE8ElNS0_10empty_typeEbEEZZNS1_14partition_implILS5_8ELb0ES3_jPlPS6_PKS6_NS0_5tupleIJS9_S6_EEENSD_IJSA_SA_EEENS0_18inequality_wrapperIZN2at6native12_GLOBAL__N_124unique_dim_cuda_templateIN3c108BFloat16EEESt5tupleIJNSH_6TensorESO_SO_EERKSO_lbbbEUlllE0_EEPmJS6_EEE10hipError_tPvRmT3_T4_T5_T6_T7_T9_mT8_P12ihipStream_tbDpT10_ENKUlT_T0_E_clISt17integral_constantIbLb0EES1D_IbLb1EEEEDaS19_S1A_EUlS19_E_NS1_11comp_targetILNS1_3genE9ELNS1_11target_archE1100ELNS1_3gpuE3ELNS1_3repE0EEENS1_30default_config_static_selectorELNS0_4arch9wavefront6targetE1EEEvT1_.numbered_sgpr, 0
	.set _ZN7rocprim17ROCPRIM_400000_NS6detail17trampoline_kernelINS0_14default_configENS1_25partition_config_selectorILNS1_17partition_subalgoE8ElNS0_10empty_typeEbEEZZNS1_14partition_implILS5_8ELb0ES3_jPlPS6_PKS6_NS0_5tupleIJS9_S6_EEENSD_IJSA_SA_EEENS0_18inequality_wrapperIZN2at6native12_GLOBAL__N_124unique_dim_cuda_templateIN3c108BFloat16EEESt5tupleIJNSH_6TensorESO_SO_EERKSO_lbbbEUlllE0_EEPmJS6_EEE10hipError_tPvRmT3_T4_T5_T6_T7_T9_mT8_P12ihipStream_tbDpT10_ENKUlT_T0_E_clISt17integral_constantIbLb0EES1D_IbLb1EEEEDaS19_S1A_EUlS19_E_NS1_11comp_targetILNS1_3genE9ELNS1_11target_archE1100ELNS1_3gpuE3ELNS1_3repE0EEENS1_30default_config_static_selectorELNS0_4arch9wavefront6targetE1EEEvT1_.num_named_barrier, 0
	.set _ZN7rocprim17ROCPRIM_400000_NS6detail17trampoline_kernelINS0_14default_configENS1_25partition_config_selectorILNS1_17partition_subalgoE8ElNS0_10empty_typeEbEEZZNS1_14partition_implILS5_8ELb0ES3_jPlPS6_PKS6_NS0_5tupleIJS9_S6_EEENSD_IJSA_SA_EEENS0_18inequality_wrapperIZN2at6native12_GLOBAL__N_124unique_dim_cuda_templateIN3c108BFloat16EEESt5tupleIJNSH_6TensorESO_SO_EERKSO_lbbbEUlllE0_EEPmJS6_EEE10hipError_tPvRmT3_T4_T5_T6_T7_T9_mT8_P12ihipStream_tbDpT10_ENKUlT_T0_E_clISt17integral_constantIbLb0EES1D_IbLb1EEEEDaS19_S1A_EUlS19_E_NS1_11comp_targetILNS1_3genE9ELNS1_11target_archE1100ELNS1_3gpuE3ELNS1_3repE0EEENS1_30default_config_static_selectorELNS0_4arch9wavefront6targetE1EEEvT1_.private_seg_size, 0
	.set _ZN7rocprim17ROCPRIM_400000_NS6detail17trampoline_kernelINS0_14default_configENS1_25partition_config_selectorILNS1_17partition_subalgoE8ElNS0_10empty_typeEbEEZZNS1_14partition_implILS5_8ELb0ES3_jPlPS6_PKS6_NS0_5tupleIJS9_S6_EEENSD_IJSA_SA_EEENS0_18inequality_wrapperIZN2at6native12_GLOBAL__N_124unique_dim_cuda_templateIN3c108BFloat16EEESt5tupleIJNSH_6TensorESO_SO_EERKSO_lbbbEUlllE0_EEPmJS6_EEE10hipError_tPvRmT3_T4_T5_T6_T7_T9_mT8_P12ihipStream_tbDpT10_ENKUlT_T0_E_clISt17integral_constantIbLb0EES1D_IbLb1EEEEDaS19_S1A_EUlS19_E_NS1_11comp_targetILNS1_3genE9ELNS1_11target_archE1100ELNS1_3gpuE3ELNS1_3repE0EEENS1_30default_config_static_selectorELNS0_4arch9wavefront6targetE1EEEvT1_.uses_vcc, 0
	.set _ZN7rocprim17ROCPRIM_400000_NS6detail17trampoline_kernelINS0_14default_configENS1_25partition_config_selectorILNS1_17partition_subalgoE8ElNS0_10empty_typeEbEEZZNS1_14partition_implILS5_8ELb0ES3_jPlPS6_PKS6_NS0_5tupleIJS9_S6_EEENSD_IJSA_SA_EEENS0_18inequality_wrapperIZN2at6native12_GLOBAL__N_124unique_dim_cuda_templateIN3c108BFloat16EEESt5tupleIJNSH_6TensorESO_SO_EERKSO_lbbbEUlllE0_EEPmJS6_EEE10hipError_tPvRmT3_T4_T5_T6_T7_T9_mT8_P12ihipStream_tbDpT10_ENKUlT_T0_E_clISt17integral_constantIbLb0EES1D_IbLb1EEEEDaS19_S1A_EUlS19_E_NS1_11comp_targetILNS1_3genE9ELNS1_11target_archE1100ELNS1_3gpuE3ELNS1_3repE0EEENS1_30default_config_static_selectorELNS0_4arch9wavefront6targetE1EEEvT1_.uses_flat_scratch, 0
	.set _ZN7rocprim17ROCPRIM_400000_NS6detail17trampoline_kernelINS0_14default_configENS1_25partition_config_selectorILNS1_17partition_subalgoE8ElNS0_10empty_typeEbEEZZNS1_14partition_implILS5_8ELb0ES3_jPlPS6_PKS6_NS0_5tupleIJS9_S6_EEENSD_IJSA_SA_EEENS0_18inequality_wrapperIZN2at6native12_GLOBAL__N_124unique_dim_cuda_templateIN3c108BFloat16EEESt5tupleIJNSH_6TensorESO_SO_EERKSO_lbbbEUlllE0_EEPmJS6_EEE10hipError_tPvRmT3_T4_T5_T6_T7_T9_mT8_P12ihipStream_tbDpT10_ENKUlT_T0_E_clISt17integral_constantIbLb0EES1D_IbLb1EEEEDaS19_S1A_EUlS19_E_NS1_11comp_targetILNS1_3genE9ELNS1_11target_archE1100ELNS1_3gpuE3ELNS1_3repE0EEENS1_30default_config_static_selectorELNS0_4arch9wavefront6targetE1EEEvT1_.has_dyn_sized_stack, 0
	.set _ZN7rocprim17ROCPRIM_400000_NS6detail17trampoline_kernelINS0_14default_configENS1_25partition_config_selectorILNS1_17partition_subalgoE8ElNS0_10empty_typeEbEEZZNS1_14partition_implILS5_8ELb0ES3_jPlPS6_PKS6_NS0_5tupleIJS9_S6_EEENSD_IJSA_SA_EEENS0_18inequality_wrapperIZN2at6native12_GLOBAL__N_124unique_dim_cuda_templateIN3c108BFloat16EEESt5tupleIJNSH_6TensorESO_SO_EERKSO_lbbbEUlllE0_EEPmJS6_EEE10hipError_tPvRmT3_T4_T5_T6_T7_T9_mT8_P12ihipStream_tbDpT10_ENKUlT_T0_E_clISt17integral_constantIbLb0EES1D_IbLb1EEEEDaS19_S1A_EUlS19_E_NS1_11comp_targetILNS1_3genE9ELNS1_11target_archE1100ELNS1_3gpuE3ELNS1_3repE0EEENS1_30default_config_static_selectorELNS0_4arch9wavefront6targetE1EEEvT1_.has_recursion, 0
	.set _ZN7rocprim17ROCPRIM_400000_NS6detail17trampoline_kernelINS0_14default_configENS1_25partition_config_selectorILNS1_17partition_subalgoE8ElNS0_10empty_typeEbEEZZNS1_14partition_implILS5_8ELb0ES3_jPlPS6_PKS6_NS0_5tupleIJS9_S6_EEENSD_IJSA_SA_EEENS0_18inequality_wrapperIZN2at6native12_GLOBAL__N_124unique_dim_cuda_templateIN3c108BFloat16EEESt5tupleIJNSH_6TensorESO_SO_EERKSO_lbbbEUlllE0_EEPmJS6_EEE10hipError_tPvRmT3_T4_T5_T6_T7_T9_mT8_P12ihipStream_tbDpT10_ENKUlT_T0_E_clISt17integral_constantIbLb0EES1D_IbLb1EEEEDaS19_S1A_EUlS19_E_NS1_11comp_targetILNS1_3genE9ELNS1_11target_archE1100ELNS1_3gpuE3ELNS1_3repE0EEENS1_30default_config_static_selectorELNS0_4arch9wavefront6targetE1EEEvT1_.has_indirect_call, 0
	.section	.AMDGPU.csdata,"",@progbits
; Kernel info:
; codeLenInByte = 0
; TotalNumSgprs: 6
; NumVgprs: 0
; NumAgprs: 0
; TotalNumVgprs: 0
; ScratchSize: 0
; MemoryBound: 0
; FloatMode: 240
; IeeeMode: 1
; LDSByteSize: 0 bytes/workgroup (compile time only)
; SGPRBlocks: 0
; VGPRBlocks: 0
; NumSGPRsForWavesPerEU: 6
; NumVGPRsForWavesPerEU: 1
; AccumOffset: 4
; Occupancy: 8
; WaveLimiterHint : 0
; COMPUTE_PGM_RSRC2:SCRATCH_EN: 0
; COMPUTE_PGM_RSRC2:USER_SGPR: 2
; COMPUTE_PGM_RSRC2:TRAP_HANDLER: 0
; COMPUTE_PGM_RSRC2:TGID_X_EN: 1
; COMPUTE_PGM_RSRC2:TGID_Y_EN: 0
; COMPUTE_PGM_RSRC2:TGID_Z_EN: 0
; COMPUTE_PGM_RSRC2:TIDIG_COMP_CNT: 0
; COMPUTE_PGM_RSRC3_GFX90A:ACCUM_OFFSET: 0
; COMPUTE_PGM_RSRC3_GFX90A:TG_SPLIT: 0
	.section	.text._ZN7rocprim17ROCPRIM_400000_NS6detail17trampoline_kernelINS0_14default_configENS1_25partition_config_selectorILNS1_17partition_subalgoE8ElNS0_10empty_typeEbEEZZNS1_14partition_implILS5_8ELb0ES3_jPlPS6_PKS6_NS0_5tupleIJS9_S6_EEENSD_IJSA_SA_EEENS0_18inequality_wrapperIZN2at6native12_GLOBAL__N_124unique_dim_cuda_templateIN3c108BFloat16EEESt5tupleIJNSH_6TensorESO_SO_EERKSO_lbbbEUlllE0_EEPmJS6_EEE10hipError_tPvRmT3_T4_T5_T6_T7_T9_mT8_P12ihipStream_tbDpT10_ENKUlT_T0_E_clISt17integral_constantIbLb0EES1D_IbLb1EEEEDaS19_S1A_EUlS19_E_NS1_11comp_targetILNS1_3genE8ELNS1_11target_archE1030ELNS1_3gpuE2ELNS1_3repE0EEENS1_30default_config_static_selectorELNS0_4arch9wavefront6targetE1EEEvT1_,"axG",@progbits,_ZN7rocprim17ROCPRIM_400000_NS6detail17trampoline_kernelINS0_14default_configENS1_25partition_config_selectorILNS1_17partition_subalgoE8ElNS0_10empty_typeEbEEZZNS1_14partition_implILS5_8ELb0ES3_jPlPS6_PKS6_NS0_5tupleIJS9_S6_EEENSD_IJSA_SA_EEENS0_18inequality_wrapperIZN2at6native12_GLOBAL__N_124unique_dim_cuda_templateIN3c108BFloat16EEESt5tupleIJNSH_6TensorESO_SO_EERKSO_lbbbEUlllE0_EEPmJS6_EEE10hipError_tPvRmT3_T4_T5_T6_T7_T9_mT8_P12ihipStream_tbDpT10_ENKUlT_T0_E_clISt17integral_constantIbLb0EES1D_IbLb1EEEEDaS19_S1A_EUlS19_E_NS1_11comp_targetILNS1_3genE8ELNS1_11target_archE1030ELNS1_3gpuE2ELNS1_3repE0EEENS1_30default_config_static_selectorELNS0_4arch9wavefront6targetE1EEEvT1_,comdat
	.globl	_ZN7rocprim17ROCPRIM_400000_NS6detail17trampoline_kernelINS0_14default_configENS1_25partition_config_selectorILNS1_17partition_subalgoE8ElNS0_10empty_typeEbEEZZNS1_14partition_implILS5_8ELb0ES3_jPlPS6_PKS6_NS0_5tupleIJS9_S6_EEENSD_IJSA_SA_EEENS0_18inequality_wrapperIZN2at6native12_GLOBAL__N_124unique_dim_cuda_templateIN3c108BFloat16EEESt5tupleIJNSH_6TensorESO_SO_EERKSO_lbbbEUlllE0_EEPmJS6_EEE10hipError_tPvRmT3_T4_T5_T6_T7_T9_mT8_P12ihipStream_tbDpT10_ENKUlT_T0_E_clISt17integral_constantIbLb0EES1D_IbLb1EEEEDaS19_S1A_EUlS19_E_NS1_11comp_targetILNS1_3genE8ELNS1_11target_archE1030ELNS1_3gpuE2ELNS1_3repE0EEENS1_30default_config_static_selectorELNS0_4arch9wavefront6targetE1EEEvT1_ ; -- Begin function _ZN7rocprim17ROCPRIM_400000_NS6detail17trampoline_kernelINS0_14default_configENS1_25partition_config_selectorILNS1_17partition_subalgoE8ElNS0_10empty_typeEbEEZZNS1_14partition_implILS5_8ELb0ES3_jPlPS6_PKS6_NS0_5tupleIJS9_S6_EEENSD_IJSA_SA_EEENS0_18inequality_wrapperIZN2at6native12_GLOBAL__N_124unique_dim_cuda_templateIN3c108BFloat16EEESt5tupleIJNSH_6TensorESO_SO_EERKSO_lbbbEUlllE0_EEPmJS6_EEE10hipError_tPvRmT3_T4_T5_T6_T7_T9_mT8_P12ihipStream_tbDpT10_ENKUlT_T0_E_clISt17integral_constantIbLb0EES1D_IbLb1EEEEDaS19_S1A_EUlS19_E_NS1_11comp_targetILNS1_3genE8ELNS1_11target_archE1030ELNS1_3gpuE2ELNS1_3repE0EEENS1_30default_config_static_selectorELNS0_4arch9wavefront6targetE1EEEvT1_
	.p2align	8
	.type	_ZN7rocprim17ROCPRIM_400000_NS6detail17trampoline_kernelINS0_14default_configENS1_25partition_config_selectorILNS1_17partition_subalgoE8ElNS0_10empty_typeEbEEZZNS1_14partition_implILS5_8ELb0ES3_jPlPS6_PKS6_NS0_5tupleIJS9_S6_EEENSD_IJSA_SA_EEENS0_18inequality_wrapperIZN2at6native12_GLOBAL__N_124unique_dim_cuda_templateIN3c108BFloat16EEESt5tupleIJNSH_6TensorESO_SO_EERKSO_lbbbEUlllE0_EEPmJS6_EEE10hipError_tPvRmT3_T4_T5_T6_T7_T9_mT8_P12ihipStream_tbDpT10_ENKUlT_T0_E_clISt17integral_constantIbLb0EES1D_IbLb1EEEEDaS19_S1A_EUlS19_E_NS1_11comp_targetILNS1_3genE8ELNS1_11target_archE1030ELNS1_3gpuE2ELNS1_3repE0EEENS1_30default_config_static_selectorELNS0_4arch9wavefront6targetE1EEEvT1_,@function
_ZN7rocprim17ROCPRIM_400000_NS6detail17trampoline_kernelINS0_14default_configENS1_25partition_config_selectorILNS1_17partition_subalgoE8ElNS0_10empty_typeEbEEZZNS1_14partition_implILS5_8ELb0ES3_jPlPS6_PKS6_NS0_5tupleIJS9_S6_EEENSD_IJSA_SA_EEENS0_18inequality_wrapperIZN2at6native12_GLOBAL__N_124unique_dim_cuda_templateIN3c108BFloat16EEESt5tupleIJNSH_6TensorESO_SO_EERKSO_lbbbEUlllE0_EEPmJS6_EEE10hipError_tPvRmT3_T4_T5_T6_T7_T9_mT8_P12ihipStream_tbDpT10_ENKUlT_T0_E_clISt17integral_constantIbLb0EES1D_IbLb1EEEEDaS19_S1A_EUlS19_E_NS1_11comp_targetILNS1_3genE8ELNS1_11target_archE1030ELNS1_3gpuE2ELNS1_3repE0EEENS1_30default_config_static_selectorELNS0_4arch9wavefront6targetE1EEEvT1_: ; @_ZN7rocprim17ROCPRIM_400000_NS6detail17trampoline_kernelINS0_14default_configENS1_25partition_config_selectorILNS1_17partition_subalgoE8ElNS0_10empty_typeEbEEZZNS1_14partition_implILS5_8ELb0ES3_jPlPS6_PKS6_NS0_5tupleIJS9_S6_EEENSD_IJSA_SA_EEENS0_18inequality_wrapperIZN2at6native12_GLOBAL__N_124unique_dim_cuda_templateIN3c108BFloat16EEESt5tupleIJNSH_6TensorESO_SO_EERKSO_lbbbEUlllE0_EEPmJS6_EEE10hipError_tPvRmT3_T4_T5_T6_T7_T9_mT8_P12ihipStream_tbDpT10_ENKUlT_T0_E_clISt17integral_constantIbLb0EES1D_IbLb1EEEEDaS19_S1A_EUlS19_E_NS1_11comp_targetILNS1_3genE8ELNS1_11target_archE1030ELNS1_3gpuE2ELNS1_3repE0EEENS1_30default_config_static_selectorELNS0_4arch9wavefront6targetE1EEEvT1_
; %bb.0:
	.section	.rodata,"a",@progbits
	.p2align	6, 0x0
	.amdhsa_kernel _ZN7rocprim17ROCPRIM_400000_NS6detail17trampoline_kernelINS0_14default_configENS1_25partition_config_selectorILNS1_17partition_subalgoE8ElNS0_10empty_typeEbEEZZNS1_14partition_implILS5_8ELb0ES3_jPlPS6_PKS6_NS0_5tupleIJS9_S6_EEENSD_IJSA_SA_EEENS0_18inequality_wrapperIZN2at6native12_GLOBAL__N_124unique_dim_cuda_templateIN3c108BFloat16EEESt5tupleIJNSH_6TensorESO_SO_EERKSO_lbbbEUlllE0_EEPmJS6_EEE10hipError_tPvRmT3_T4_T5_T6_T7_T9_mT8_P12ihipStream_tbDpT10_ENKUlT_T0_E_clISt17integral_constantIbLb0EES1D_IbLb1EEEEDaS19_S1A_EUlS19_E_NS1_11comp_targetILNS1_3genE8ELNS1_11target_archE1030ELNS1_3gpuE2ELNS1_3repE0EEENS1_30default_config_static_selectorELNS0_4arch9wavefront6targetE1EEEvT1_
		.amdhsa_group_segment_fixed_size 0
		.amdhsa_private_segment_fixed_size 0
		.amdhsa_kernarg_size 136
		.amdhsa_user_sgpr_count 2
		.amdhsa_user_sgpr_dispatch_ptr 0
		.amdhsa_user_sgpr_queue_ptr 0
		.amdhsa_user_sgpr_kernarg_segment_ptr 1
		.amdhsa_user_sgpr_dispatch_id 0
		.amdhsa_user_sgpr_kernarg_preload_length 0
		.amdhsa_user_sgpr_kernarg_preload_offset 0
		.amdhsa_user_sgpr_private_segment_size 0
		.amdhsa_uses_dynamic_stack 0
		.amdhsa_enable_private_segment 0
		.amdhsa_system_sgpr_workgroup_id_x 1
		.amdhsa_system_sgpr_workgroup_id_y 0
		.amdhsa_system_sgpr_workgroup_id_z 0
		.amdhsa_system_sgpr_workgroup_info 0
		.amdhsa_system_vgpr_workitem_id 0
		.amdhsa_next_free_vgpr 1
		.amdhsa_next_free_sgpr 0
		.amdhsa_accum_offset 4
		.amdhsa_reserve_vcc 0
		.amdhsa_float_round_mode_32 0
		.amdhsa_float_round_mode_16_64 0
		.amdhsa_float_denorm_mode_32 3
		.amdhsa_float_denorm_mode_16_64 3
		.amdhsa_dx10_clamp 1
		.amdhsa_ieee_mode 1
		.amdhsa_fp16_overflow 0
		.amdhsa_tg_split 0
		.amdhsa_exception_fp_ieee_invalid_op 0
		.amdhsa_exception_fp_denorm_src 0
		.amdhsa_exception_fp_ieee_div_zero 0
		.amdhsa_exception_fp_ieee_overflow 0
		.amdhsa_exception_fp_ieee_underflow 0
		.amdhsa_exception_fp_ieee_inexact 0
		.amdhsa_exception_int_div_zero 0
	.end_amdhsa_kernel
	.section	.text._ZN7rocprim17ROCPRIM_400000_NS6detail17trampoline_kernelINS0_14default_configENS1_25partition_config_selectorILNS1_17partition_subalgoE8ElNS0_10empty_typeEbEEZZNS1_14partition_implILS5_8ELb0ES3_jPlPS6_PKS6_NS0_5tupleIJS9_S6_EEENSD_IJSA_SA_EEENS0_18inequality_wrapperIZN2at6native12_GLOBAL__N_124unique_dim_cuda_templateIN3c108BFloat16EEESt5tupleIJNSH_6TensorESO_SO_EERKSO_lbbbEUlllE0_EEPmJS6_EEE10hipError_tPvRmT3_T4_T5_T6_T7_T9_mT8_P12ihipStream_tbDpT10_ENKUlT_T0_E_clISt17integral_constantIbLb0EES1D_IbLb1EEEEDaS19_S1A_EUlS19_E_NS1_11comp_targetILNS1_3genE8ELNS1_11target_archE1030ELNS1_3gpuE2ELNS1_3repE0EEENS1_30default_config_static_selectorELNS0_4arch9wavefront6targetE1EEEvT1_,"axG",@progbits,_ZN7rocprim17ROCPRIM_400000_NS6detail17trampoline_kernelINS0_14default_configENS1_25partition_config_selectorILNS1_17partition_subalgoE8ElNS0_10empty_typeEbEEZZNS1_14partition_implILS5_8ELb0ES3_jPlPS6_PKS6_NS0_5tupleIJS9_S6_EEENSD_IJSA_SA_EEENS0_18inequality_wrapperIZN2at6native12_GLOBAL__N_124unique_dim_cuda_templateIN3c108BFloat16EEESt5tupleIJNSH_6TensorESO_SO_EERKSO_lbbbEUlllE0_EEPmJS6_EEE10hipError_tPvRmT3_T4_T5_T6_T7_T9_mT8_P12ihipStream_tbDpT10_ENKUlT_T0_E_clISt17integral_constantIbLb0EES1D_IbLb1EEEEDaS19_S1A_EUlS19_E_NS1_11comp_targetILNS1_3genE8ELNS1_11target_archE1030ELNS1_3gpuE2ELNS1_3repE0EEENS1_30default_config_static_selectorELNS0_4arch9wavefront6targetE1EEEvT1_,comdat
.Lfunc_end1205:
	.size	_ZN7rocprim17ROCPRIM_400000_NS6detail17trampoline_kernelINS0_14default_configENS1_25partition_config_selectorILNS1_17partition_subalgoE8ElNS0_10empty_typeEbEEZZNS1_14partition_implILS5_8ELb0ES3_jPlPS6_PKS6_NS0_5tupleIJS9_S6_EEENSD_IJSA_SA_EEENS0_18inequality_wrapperIZN2at6native12_GLOBAL__N_124unique_dim_cuda_templateIN3c108BFloat16EEESt5tupleIJNSH_6TensorESO_SO_EERKSO_lbbbEUlllE0_EEPmJS6_EEE10hipError_tPvRmT3_T4_T5_T6_T7_T9_mT8_P12ihipStream_tbDpT10_ENKUlT_T0_E_clISt17integral_constantIbLb0EES1D_IbLb1EEEEDaS19_S1A_EUlS19_E_NS1_11comp_targetILNS1_3genE8ELNS1_11target_archE1030ELNS1_3gpuE2ELNS1_3repE0EEENS1_30default_config_static_selectorELNS0_4arch9wavefront6targetE1EEEvT1_, .Lfunc_end1205-_ZN7rocprim17ROCPRIM_400000_NS6detail17trampoline_kernelINS0_14default_configENS1_25partition_config_selectorILNS1_17partition_subalgoE8ElNS0_10empty_typeEbEEZZNS1_14partition_implILS5_8ELb0ES3_jPlPS6_PKS6_NS0_5tupleIJS9_S6_EEENSD_IJSA_SA_EEENS0_18inequality_wrapperIZN2at6native12_GLOBAL__N_124unique_dim_cuda_templateIN3c108BFloat16EEESt5tupleIJNSH_6TensorESO_SO_EERKSO_lbbbEUlllE0_EEPmJS6_EEE10hipError_tPvRmT3_T4_T5_T6_T7_T9_mT8_P12ihipStream_tbDpT10_ENKUlT_T0_E_clISt17integral_constantIbLb0EES1D_IbLb1EEEEDaS19_S1A_EUlS19_E_NS1_11comp_targetILNS1_3genE8ELNS1_11target_archE1030ELNS1_3gpuE2ELNS1_3repE0EEENS1_30default_config_static_selectorELNS0_4arch9wavefront6targetE1EEEvT1_
                                        ; -- End function
	.set _ZN7rocprim17ROCPRIM_400000_NS6detail17trampoline_kernelINS0_14default_configENS1_25partition_config_selectorILNS1_17partition_subalgoE8ElNS0_10empty_typeEbEEZZNS1_14partition_implILS5_8ELb0ES3_jPlPS6_PKS6_NS0_5tupleIJS9_S6_EEENSD_IJSA_SA_EEENS0_18inequality_wrapperIZN2at6native12_GLOBAL__N_124unique_dim_cuda_templateIN3c108BFloat16EEESt5tupleIJNSH_6TensorESO_SO_EERKSO_lbbbEUlllE0_EEPmJS6_EEE10hipError_tPvRmT3_T4_T5_T6_T7_T9_mT8_P12ihipStream_tbDpT10_ENKUlT_T0_E_clISt17integral_constantIbLb0EES1D_IbLb1EEEEDaS19_S1A_EUlS19_E_NS1_11comp_targetILNS1_3genE8ELNS1_11target_archE1030ELNS1_3gpuE2ELNS1_3repE0EEENS1_30default_config_static_selectorELNS0_4arch9wavefront6targetE1EEEvT1_.num_vgpr, 0
	.set _ZN7rocprim17ROCPRIM_400000_NS6detail17trampoline_kernelINS0_14default_configENS1_25partition_config_selectorILNS1_17partition_subalgoE8ElNS0_10empty_typeEbEEZZNS1_14partition_implILS5_8ELb0ES3_jPlPS6_PKS6_NS0_5tupleIJS9_S6_EEENSD_IJSA_SA_EEENS0_18inequality_wrapperIZN2at6native12_GLOBAL__N_124unique_dim_cuda_templateIN3c108BFloat16EEESt5tupleIJNSH_6TensorESO_SO_EERKSO_lbbbEUlllE0_EEPmJS6_EEE10hipError_tPvRmT3_T4_T5_T6_T7_T9_mT8_P12ihipStream_tbDpT10_ENKUlT_T0_E_clISt17integral_constantIbLb0EES1D_IbLb1EEEEDaS19_S1A_EUlS19_E_NS1_11comp_targetILNS1_3genE8ELNS1_11target_archE1030ELNS1_3gpuE2ELNS1_3repE0EEENS1_30default_config_static_selectorELNS0_4arch9wavefront6targetE1EEEvT1_.num_agpr, 0
	.set _ZN7rocprim17ROCPRIM_400000_NS6detail17trampoline_kernelINS0_14default_configENS1_25partition_config_selectorILNS1_17partition_subalgoE8ElNS0_10empty_typeEbEEZZNS1_14partition_implILS5_8ELb0ES3_jPlPS6_PKS6_NS0_5tupleIJS9_S6_EEENSD_IJSA_SA_EEENS0_18inequality_wrapperIZN2at6native12_GLOBAL__N_124unique_dim_cuda_templateIN3c108BFloat16EEESt5tupleIJNSH_6TensorESO_SO_EERKSO_lbbbEUlllE0_EEPmJS6_EEE10hipError_tPvRmT3_T4_T5_T6_T7_T9_mT8_P12ihipStream_tbDpT10_ENKUlT_T0_E_clISt17integral_constantIbLb0EES1D_IbLb1EEEEDaS19_S1A_EUlS19_E_NS1_11comp_targetILNS1_3genE8ELNS1_11target_archE1030ELNS1_3gpuE2ELNS1_3repE0EEENS1_30default_config_static_selectorELNS0_4arch9wavefront6targetE1EEEvT1_.numbered_sgpr, 0
	.set _ZN7rocprim17ROCPRIM_400000_NS6detail17trampoline_kernelINS0_14default_configENS1_25partition_config_selectorILNS1_17partition_subalgoE8ElNS0_10empty_typeEbEEZZNS1_14partition_implILS5_8ELb0ES3_jPlPS6_PKS6_NS0_5tupleIJS9_S6_EEENSD_IJSA_SA_EEENS0_18inequality_wrapperIZN2at6native12_GLOBAL__N_124unique_dim_cuda_templateIN3c108BFloat16EEESt5tupleIJNSH_6TensorESO_SO_EERKSO_lbbbEUlllE0_EEPmJS6_EEE10hipError_tPvRmT3_T4_T5_T6_T7_T9_mT8_P12ihipStream_tbDpT10_ENKUlT_T0_E_clISt17integral_constantIbLb0EES1D_IbLb1EEEEDaS19_S1A_EUlS19_E_NS1_11comp_targetILNS1_3genE8ELNS1_11target_archE1030ELNS1_3gpuE2ELNS1_3repE0EEENS1_30default_config_static_selectorELNS0_4arch9wavefront6targetE1EEEvT1_.num_named_barrier, 0
	.set _ZN7rocprim17ROCPRIM_400000_NS6detail17trampoline_kernelINS0_14default_configENS1_25partition_config_selectorILNS1_17partition_subalgoE8ElNS0_10empty_typeEbEEZZNS1_14partition_implILS5_8ELb0ES3_jPlPS6_PKS6_NS0_5tupleIJS9_S6_EEENSD_IJSA_SA_EEENS0_18inequality_wrapperIZN2at6native12_GLOBAL__N_124unique_dim_cuda_templateIN3c108BFloat16EEESt5tupleIJNSH_6TensorESO_SO_EERKSO_lbbbEUlllE0_EEPmJS6_EEE10hipError_tPvRmT3_T4_T5_T6_T7_T9_mT8_P12ihipStream_tbDpT10_ENKUlT_T0_E_clISt17integral_constantIbLb0EES1D_IbLb1EEEEDaS19_S1A_EUlS19_E_NS1_11comp_targetILNS1_3genE8ELNS1_11target_archE1030ELNS1_3gpuE2ELNS1_3repE0EEENS1_30default_config_static_selectorELNS0_4arch9wavefront6targetE1EEEvT1_.private_seg_size, 0
	.set _ZN7rocprim17ROCPRIM_400000_NS6detail17trampoline_kernelINS0_14default_configENS1_25partition_config_selectorILNS1_17partition_subalgoE8ElNS0_10empty_typeEbEEZZNS1_14partition_implILS5_8ELb0ES3_jPlPS6_PKS6_NS0_5tupleIJS9_S6_EEENSD_IJSA_SA_EEENS0_18inequality_wrapperIZN2at6native12_GLOBAL__N_124unique_dim_cuda_templateIN3c108BFloat16EEESt5tupleIJNSH_6TensorESO_SO_EERKSO_lbbbEUlllE0_EEPmJS6_EEE10hipError_tPvRmT3_T4_T5_T6_T7_T9_mT8_P12ihipStream_tbDpT10_ENKUlT_T0_E_clISt17integral_constantIbLb0EES1D_IbLb1EEEEDaS19_S1A_EUlS19_E_NS1_11comp_targetILNS1_3genE8ELNS1_11target_archE1030ELNS1_3gpuE2ELNS1_3repE0EEENS1_30default_config_static_selectorELNS0_4arch9wavefront6targetE1EEEvT1_.uses_vcc, 0
	.set _ZN7rocprim17ROCPRIM_400000_NS6detail17trampoline_kernelINS0_14default_configENS1_25partition_config_selectorILNS1_17partition_subalgoE8ElNS0_10empty_typeEbEEZZNS1_14partition_implILS5_8ELb0ES3_jPlPS6_PKS6_NS0_5tupleIJS9_S6_EEENSD_IJSA_SA_EEENS0_18inequality_wrapperIZN2at6native12_GLOBAL__N_124unique_dim_cuda_templateIN3c108BFloat16EEESt5tupleIJNSH_6TensorESO_SO_EERKSO_lbbbEUlllE0_EEPmJS6_EEE10hipError_tPvRmT3_T4_T5_T6_T7_T9_mT8_P12ihipStream_tbDpT10_ENKUlT_T0_E_clISt17integral_constantIbLb0EES1D_IbLb1EEEEDaS19_S1A_EUlS19_E_NS1_11comp_targetILNS1_3genE8ELNS1_11target_archE1030ELNS1_3gpuE2ELNS1_3repE0EEENS1_30default_config_static_selectorELNS0_4arch9wavefront6targetE1EEEvT1_.uses_flat_scratch, 0
	.set _ZN7rocprim17ROCPRIM_400000_NS6detail17trampoline_kernelINS0_14default_configENS1_25partition_config_selectorILNS1_17partition_subalgoE8ElNS0_10empty_typeEbEEZZNS1_14partition_implILS5_8ELb0ES3_jPlPS6_PKS6_NS0_5tupleIJS9_S6_EEENSD_IJSA_SA_EEENS0_18inequality_wrapperIZN2at6native12_GLOBAL__N_124unique_dim_cuda_templateIN3c108BFloat16EEESt5tupleIJNSH_6TensorESO_SO_EERKSO_lbbbEUlllE0_EEPmJS6_EEE10hipError_tPvRmT3_T4_T5_T6_T7_T9_mT8_P12ihipStream_tbDpT10_ENKUlT_T0_E_clISt17integral_constantIbLb0EES1D_IbLb1EEEEDaS19_S1A_EUlS19_E_NS1_11comp_targetILNS1_3genE8ELNS1_11target_archE1030ELNS1_3gpuE2ELNS1_3repE0EEENS1_30default_config_static_selectorELNS0_4arch9wavefront6targetE1EEEvT1_.has_dyn_sized_stack, 0
	.set _ZN7rocprim17ROCPRIM_400000_NS6detail17trampoline_kernelINS0_14default_configENS1_25partition_config_selectorILNS1_17partition_subalgoE8ElNS0_10empty_typeEbEEZZNS1_14partition_implILS5_8ELb0ES3_jPlPS6_PKS6_NS0_5tupleIJS9_S6_EEENSD_IJSA_SA_EEENS0_18inequality_wrapperIZN2at6native12_GLOBAL__N_124unique_dim_cuda_templateIN3c108BFloat16EEESt5tupleIJNSH_6TensorESO_SO_EERKSO_lbbbEUlllE0_EEPmJS6_EEE10hipError_tPvRmT3_T4_T5_T6_T7_T9_mT8_P12ihipStream_tbDpT10_ENKUlT_T0_E_clISt17integral_constantIbLb0EES1D_IbLb1EEEEDaS19_S1A_EUlS19_E_NS1_11comp_targetILNS1_3genE8ELNS1_11target_archE1030ELNS1_3gpuE2ELNS1_3repE0EEENS1_30default_config_static_selectorELNS0_4arch9wavefront6targetE1EEEvT1_.has_recursion, 0
	.set _ZN7rocprim17ROCPRIM_400000_NS6detail17trampoline_kernelINS0_14default_configENS1_25partition_config_selectorILNS1_17partition_subalgoE8ElNS0_10empty_typeEbEEZZNS1_14partition_implILS5_8ELb0ES3_jPlPS6_PKS6_NS0_5tupleIJS9_S6_EEENSD_IJSA_SA_EEENS0_18inequality_wrapperIZN2at6native12_GLOBAL__N_124unique_dim_cuda_templateIN3c108BFloat16EEESt5tupleIJNSH_6TensorESO_SO_EERKSO_lbbbEUlllE0_EEPmJS6_EEE10hipError_tPvRmT3_T4_T5_T6_T7_T9_mT8_P12ihipStream_tbDpT10_ENKUlT_T0_E_clISt17integral_constantIbLb0EES1D_IbLb1EEEEDaS19_S1A_EUlS19_E_NS1_11comp_targetILNS1_3genE8ELNS1_11target_archE1030ELNS1_3gpuE2ELNS1_3repE0EEENS1_30default_config_static_selectorELNS0_4arch9wavefront6targetE1EEEvT1_.has_indirect_call, 0
	.section	.AMDGPU.csdata,"",@progbits
; Kernel info:
; codeLenInByte = 0
; TotalNumSgprs: 6
; NumVgprs: 0
; NumAgprs: 0
; TotalNumVgprs: 0
; ScratchSize: 0
; MemoryBound: 0
; FloatMode: 240
; IeeeMode: 1
; LDSByteSize: 0 bytes/workgroup (compile time only)
; SGPRBlocks: 0
; VGPRBlocks: 0
; NumSGPRsForWavesPerEU: 6
; NumVGPRsForWavesPerEU: 1
; AccumOffset: 4
; Occupancy: 8
; WaveLimiterHint : 0
; COMPUTE_PGM_RSRC2:SCRATCH_EN: 0
; COMPUTE_PGM_RSRC2:USER_SGPR: 2
; COMPUTE_PGM_RSRC2:TRAP_HANDLER: 0
; COMPUTE_PGM_RSRC2:TGID_X_EN: 1
; COMPUTE_PGM_RSRC2:TGID_Y_EN: 0
; COMPUTE_PGM_RSRC2:TGID_Z_EN: 0
; COMPUTE_PGM_RSRC2:TIDIG_COMP_CNT: 0
; COMPUTE_PGM_RSRC3_GFX90A:ACCUM_OFFSET: 0
; COMPUTE_PGM_RSRC3_GFX90A:TG_SPLIT: 0
	.section	.text._ZN7rocprim17ROCPRIM_400000_NS6detail17trampoline_kernelINS0_14default_configENS1_25partition_config_selectorILNS1_17partition_subalgoE9EllbEEZZNS1_14partition_implILS5_9ELb0ES3_jPlS8_PNS0_10empty_typeENS0_5tupleIJS8_S9_EEENSB_IJS8_SA_EEENS0_18inequality_wrapperIZN2at6native12_GLOBAL__N_124unique_dim_cuda_templateIN3c108BFloat16EEESt5tupleIJNSF_6TensorESM_SM_EERKSM_lbbbEUlllE0_EEPmJS9_EEE10hipError_tPvRmT3_T4_T5_T6_T7_T9_mT8_P12ihipStream_tbDpT10_ENKUlT_T0_E_clISt17integral_constantIbLb0EES1C_EEDaS17_S18_EUlS17_E_NS1_11comp_targetILNS1_3genE0ELNS1_11target_archE4294967295ELNS1_3gpuE0ELNS1_3repE0EEENS1_30default_config_static_selectorELNS0_4arch9wavefront6targetE1EEEvT1_,"axG",@progbits,_ZN7rocprim17ROCPRIM_400000_NS6detail17trampoline_kernelINS0_14default_configENS1_25partition_config_selectorILNS1_17partition_subalgoE9EllbEEZZNS1_14partition_implILS5_9ELb0ES3_jPlS8_PNS0_10empty_typeENS0_5tupleIJS8_S9_EEENSB_IJS8_SA_EEENS0_18inequality_wrapperIZN2at6native12_GLOBAL__N_124unique_dim_cuda_templateIN3c108BFloat16EEESt5tupleIJNSF_6TensorESM_SM_EERKSM_lbbbEUlllE0_EEPmJS9_EEE10hipError_tPvRmT3_T4_T5_T6_T7_T9_mT8_P12ihipStream_tbDpT10_ENKUlT_T0_E_clISt17integral_constantIbLb0EES1C_EEDaS17_S18_EUlS17_E_NS1_11comp_targetILNS1_3genE0ELNS1_11target_archE4294967295ELNS1_3gpuE0ELNS1_3repE0EEENS1_30default_config_static_selectorELNS0_4arch9wavefront6targetE1EEEvT1_,comdat
	.globl	_ZN7rocprim17ROCPRIM_400000_NS6detail17trampoline_kernelINS0_14default_configENS1_25partition_config_selectorILNS1_17partition_subalgoE9EllbEEZZNS1_14partition_implILS5_9ELb0ES3_jPlS8_PNS0_10empty_typeENS0_5tupleIJS8_S9_EEENSB_IJS8_SA_EEENS0_18inequality_wrapperIZN2at6native12_GLOBAL__N_124unique_dim_cuda_templateIN3c108BFloat16EEESt5tupleIJNSF_6TensorESM_SM_EERKSM_lbbbEUlllE0_EEPmJS9_EEE10hipError_tPvRmT3_T4_T5_T6_T7_T9_mT8_P12ihipStream_tbDpT10_ENKUlT_T0_E_clISt17integral_constantIbLb0EES1C_EEDaS17_S18_EUlS17_E_NS1_11comp_targetILNS1_3genE0ELNS1_11target_archE4294967295ELNS1_3gpuE0ELNS1_3repE0EEENS1_30default_config_static_selectorELNS0_4arch9wavefront6targetE1EEEvT1_ ; -- Begin function _ZN7rocprim17ROCPRIM_400000_NS6detail17trampoline_kernelINS0_14default_configENS1_25partition_config_selectorILNS1_17partition_subalgoE9EllbEEZZNS1_14partition_implILS5_9ELb0ES3_jPlS8_PNS0_10empty_typeENS0_5tupleIJS8_S9_EEENSB_IJS8_SA_EEENS0_18inequality_wrapperIZN2at6native12_GLOBAL__N_124unique_dim_cuda_templateIN3c108BFloat16EEESt5tupleIJNSF_6TensorESM_SM_EERKSM_lbbbEUlllE0_EEPmJS9_EEE10hipError_tPvRmT3_T4_T5_T6_T7_T9_mT8_P12ihipStream_tbDpT10_ENKUlT_T0_E_clISt17integral_constantIbLb0EES1C_EEDaS17_S18_EUlS17_E_NS1_11comp_targetILNS1_3genE0ELNS1_11target_archE4294967295ELNS1_3gpuE0ELNS1_3repE0EEENS1_30default_config_static_selectorELNS0_4arch9wavefront6targetE1EEEvT1_
	.p2align	8
	.type	_ZN7rocprim17ROCPRIM_400000_NS6detail17trampoline_kernelINS0_14default_configENS1_25partition_config_selectorILNS1_17partition_subalgoE9EllbEEZZNS1_14partition_implILS5_9ELb0ES3_jPlS8_PNS0_10empty_typeENS0_5tupleIJS8_S9_EEENSB_IJS8_SA_EEENS0_18inequality_wrapperIZN2at6native12_GLOBAL__N_124unique_dim_cuda_templateIN3c108BFloat16EEESt5tupleIJNSF_6TensorESM_SM_EERKSM_lbbbEUlllE0_EEPmJS9_EEE10hipError_tPvRmT3_T4_T5_T6_T7_T9_mT8_P12ihipStream_tbDpT10_ENKUlT_T0_E_clISt17integral_constantIbLb0EES1C_EEDaS17_S18_EUlS17_E_NS1_11comp_targetILNS1_3genE0ELNS1_11target_archE4294967295ELNS1_3gpuE0ELNS1_3repE0EEENS1_30default_config_static_selectorELNS0_4arch9wavefront6targetE1EEEvT1_,@function
_ZN7rocprim17ROCPRIM_400000_NS6detail17trampoline_kernelINS0_14default_configENS1_25partition_config_selectorILNS1_17partition_subalgoE9EllbEEZZNS1_14partition_implILS5_9ELb0ES3_jPlS8_PNS0_10empty_typeENS0_5tupleIJS8_S9_EEENSB_IJS8_SA_EEENS0_18inequality_wrapperIZN2at6native12_GLOBAL__N_124unique_dim_cuda_templateIN3c108BFloat16EEESt5tupleIJNSF_6TensorESM_SM_EERKSM_lbbbEUlllE0_EEPmJS9_EEE10hipError_tPvRmT3_T4_T5_T6_T7_T9_mT8_P12ihipStream_tbDpT10_ENKUlT_T0_E_clISt17integral_constantIbLb0EES1C_EEDaS17_S18_EUlS17_E_NS1_11comp_targetILNS1_3genE0ELNS1_11target_archE4294967295ELNS1_3gpuE0ELNS1_3repE0EEENS1_30default_config_static_selectorELNS0_4arch9wavefront6targetE1EEEvT1_: ; @_ZN7rocprim17ROCPRIM_400000_NS6detail17trampoline_kernelINS0_14default_configENS1_25partition_config_selectorILNS1_17partition_subalgoE9EllbEEZZNS1_14partition_implILS5_9ELb0ES3_jPlS8_PNS0_10empty_typeENS0_5tupleIJS8_S9_EEENSB_IJS8_SA_EEENS0_18inequality_wrapperIZN2at6native12_GLOBAL__N_124unique_dim_cuda_templateIN3c108BFloat16EEESt5tupleIJNSF_6TensorESM_SM_EERKSM_lbbbEUlllE0_EEPmJS9_EEE10hipError_tPvRmT3_T4_T5_T6_T7_T9_mT8_P12ihipStream_tbDpT10_ENKUlT_T0_E_clISt17integral_constantIbLb0EES1C_EEDaS17_S18_EUlS17_E_NS1_11comp_targetILNS1_3genE0ELNS1_11target_archE4294967295ELNS1_3gpuE0ELNS1_3repE0EEENS1_30default_config_static_selectorELNS0_4arch9wavefront6targetE1EEEvT1_
; %bb.0:
	s_load_dwordx4 s[4:7], s[0:1], 0x8
	s_load_dwordx2 s[10:11], s[0:1], 0x18
	s_load_dwordx8 s[24:31], s[0:1], 0x40
	s_load_dword s3, s[0:1], 0x70
	s_mul_i32 s12, s2, 0x280
	s_waitcnt lgkmcnt(0)
	s_lshl_b64 s[14:15], s[6:7], 3
	s_add_u32 s18, s4, s14
	s_addc_u32 s19, s5, s15
	s_mul_i32 s4, s3, 0x280
	s_add_i32 s8, s3, -1
	s_add_i32 s3, s4, s6
	s_sub_i32 s3, s28, s3
	s_addk_i32 s3, 0x280
	s_add_u32 s4, s6, s4
	s_addc_u32 s5, s7, 0
	v_mov_b64_e32 v[2:3], s[4:5]
	s_cmp_eq_u32 s2, s8
	s_load_dwordx2 s[26:27], s[26:27], 0x0
	v_cmp_le_u64_e32 vcc, s[28:29], v[2:3]
	s_cselect_b64 s[28:29], -1, 0
	s_mov_b32 s13, 0
	s_and_b64 s[8:9], s[28:29], vcc
	s_xor_b64 s[34:35], s[8:9], -1
	s_lshl_b64 s[16:17], s[12:13], 3
	s_add_u32 s12, s18, s16
	s_mov_b64 s[4:5], -1
	s_addc_u32 s13, s19, s17
	s_and_b64 vcc, exec, s[34:35]
	v_lshlrev_b32_e32 v1, 3, v0
	s_cbranch_vccz .LBB1206_2
; %bb.1:
	v_lshlrev_b32_e32 v2, 3, v0
	v_mov_b32_e32 v3, 0
	v_lshl_add_u64 v[4:5], s[12:13], 0, v[2:3]
	v_add_co_u32_e32 v4, vcc, 0x1000, v4
	global_load_dwordx2 v[6:7], v2, s[12:13] offset:3072
	s_nop 0
	v_addc_co_u32_e32 v5, vcc, 0, v5, vcc
	global_load_dwordx2 v[8:9], v2, s[12:13]
	global_load_dwordx2 v[10:11], v2, s[12:13] offset:1024
	global_load_dwordx2 v[12:13], v2, s[12:13] offset:2048
	global_load_dwordx2 v[14:15], v[4:5], off
	s_mov_b64 s[4:5], 0
	s_waitcnt vmcnt(2)
	ds_write2st64_b64 v2, v[8:9], v[10:11] offset1:2
	s_waitcnt vmcnt(1)
	ds_write2st64_b64 v2, v[12:13], v[6:7] offset0:4 offset1:6
	s_waitcnt vmcnt(0)
	ds_write_b64 v2, v[14:15] offset:4096
	s_waitcnt lgkmcnt(0)
	s_barrier
.LBB1206_2:
	s_load_dwordx4 s[20:23], s[0:1], 0x60
	s_andn2_b64 vcc, exec, s[4:5]
	v_cmp_gt_u32_e64 s[4:5], s3, v0
	s_cbranch_vccnz .LBB1206_14
; %bb.3:
	v_mov_b32_e32 v2, 0
	v_mov_b32_e32 v3, v2
	;; [unrolled: 1-line block ×10, first 2 shown]
	s_and_saveexec_b64 s[18:19], s[4:5]
	s_cbranch_execz .LBB1206_5
; %bb.4:
	v_lshlrev_b32_e32 v3, 3, v0
	global_load_dwordx2 v[4:5], v3, s[12:13]
	v_mov_b32_e32 v6, v2
	v_mov_b32_e32 v7, v2
	;; [unrolled: 1-line block ×8, first 2 shown]
	s_waitcnt vmcnt(0)
	v_mov_b64_e32 v[2:3], v[4:5]
	v_mov_b64_e32 v[4:5], v[6:7]
	;; [unrolled: 1-line block ×8, first 2 shown]
.LBB1206_5:
	s_or_b64 exec, exec, s[18:19]
	v_or_b32_e32 v12, 0x80, v0
	v_cmp_gt_u32_e32 vcc, s3, v12
	s_and_saveexec_b64 s[4:5], vcc
	s_cbranch_execz .LBB1206_7
; %bb.6:
	v_lshlrev_b32_e32 v4, 3, v0
	global_load_dwordx2 v[4:5], v4, s[12:13] offset:1024
.LBB1206_7:
	s_or_b64 exec, exec, s[4:5]
	v_or_b32_e32 v12, 0x100, v0
	v_cmp_gt_u32_e32 vcc, s3, v12
	s_and_saveexec_b64 s[4:5], vcc
	s_cbranch_execz .LBB1206_9
; %bb.8:
	v_lshlrev_b32_e32 v6, 3, v0
	global_load_dwordx2 v[6:7], v6, s[12:13] offset:2048
.LBB1206_9:
	;; [unrolled: 9-line block ×3, first 2 shown]
	s_or_b64 exec, exec, s[4:5]
	v_or_b32_e32 v12, 0x200, v0
	v_cmp_gt_u32_e32 vcc, s3, v12
	s_and_saveexec_b64 s[4:5], vcc
	s_cbranch_execz .LBB1206_13
; %bb.12:
	v_lshlrev_b32_e32 v10, 3, v12
	global_load_dwordx2 v[10:11], v10, s[12:13]
.LBB1206_13:
	s_or_b64 exec, exec, s[4:5]
	v_lshlrev_b32_e32 v12, 3, v0
	s_waitcnt vmcnt(0)
	ds_write2st64_b64 v12, v[2:3], v[4:5] offset1:2
	ds_write2st64_b64 v12, v[6:7], v[8:9] offset0:4 offset1:6
	ds_write_b64 v12, v[10:11] offset:4096
	s_waitcnt lgkmcnt(0)
	s_barrier
.LBB1206_14:
	v_mul_u32_u24_e32 v22, 5, v0
	v_lshlrev_b32_e32 v20, 3, v22
	s_waitcnt lgkmcnt(0)
	ds_read2_b64 v[6:9], v20 offset1:1
	ds_read2_b64 v[2:5], v20 offset0:2 offset1:3
	ds_read_b64 v[12:13], v20 offset:32
	s_add_u32 s4, s10, s14
	s_addc_u32 s5, s11, s15
	s_add_u32 s4, s4, s16
	s_addc_u32 s5, s5, s17
	s_mov_b64 s[10:11], -1
	s_and_b64 vcc, exec, s[34:35]
	s_waitcnt lgkmcnt(0)
	s_barrier
	s_cbranch_vccz .LBB1206_16
; %bb.15:
	v_lshlrev_b32_e32 v10, 3, v0
	v_mov_b32_e32 v11, 0
	v_lshl_add_u64 v[14:15], s[4:5], 0, v[10:11]
	v_add_co_u32_e32 v14, vcc, 0x1000, v14
	global_load_dwordx2 v[16:17], v10, s[4:5] offset:3072
	s_nop 0
	v_addc_co_u32_e32 v15, vcc, 0, v15, vcc
	global_load_dwordx2 v[18:19], v10, s[4:5]
	global_load_dwordx2 v[24:25], v10, s[4:5] offset:1024
	global_load_dwordx2 v[26:27], v10, s[4:5] offset:2048
	global_load_dwordx2 v[28:29], v[14:15], off
	s_mov_b64 s[10:11], 0
	s_waitcnt vmcnt(2)
	ds_write2st64_b64 v10, v[18:19], v[24:25] offset1:2
	s_waitcnt vmcnt(1)
	ds_write2st64_b64 v10, v[26:27], v[16:17] offset0:4 offset1:6
	s_waitcnt vmcnt(0)
	ds_write_b64 v10, v[28:29] offset:4096
	s_waitcnt lgkmcnt(0)
	s_barrier
.LBB1206_16:
	s_andn2_b64 vcc, exec, s[10:11]
	s_cbranch_vccnz .LBB1206_28
; %bb.17:
	v_cmp_gt_u32_e32 vcc, s3, v0
                                        ; implicit-def: $vgpr10_vgpr11
	s_and_saveexec_b64 s[10:11], vcc
	s_cbranch_execz .LBB1206_19
; %bb.18:
	v_lshlrev_b32_e32 v10, 3, v0
	global_load_dwordx2 v[10:11], v10, s[4:5]
.LBB1206_19:
	s_or_b64 exec, exec, s[10:11]
	v_or_b32_e32 v14, 0x80, v0
	v_cmp_gt_u32_e32 vcc, s3, v14
                                        ; implicit-def: $vgpr14_vgpr15
	s_and_saveexec_b64 s[10:11], vcc
	s_cbranch_execz .LBB1206_21
; %bb.20:
	v_lshlrev_b32_e32 v14, 3, v0
	global_load_dwordx2 v[14:15], v14, s[4:5] offset:1024
.LBB1206_21:
	s_or_b64 exec, exec, s[10:11]
	v_or_b32_e32 v16, 0x100, v0
	v_cmp_gt_u32_e32 vcc, s3, v16
                                        ; implicit-def: $vgpr16_vgpr17
	s_and_saveexec_b64 s[10:11], vcc
	s_cbranch_execz .LBB1206_23
; %bb.22:
	v_lshlrev_b32_e32 v16, 3, v0
	global_load_dwordx2 v[16:17], v16, s[4:5] offset:2048
.LBB1206_23:
	s_or_b64 exec, exec, s[10:11]
	v_or_b32_e32 v18, 0x180, v0
	v_cmp_gt_u32_e32 vcc, s3, v18
                                        ; implicit-def: $vgpr18_vgpr19
	s_and_saveexec_b64 s[10:11], vcc
	s_cbranch_execz .LBB1206_25
; %bb.24:
	v_lshlrev_b32_e32 v18, 3, v0
	global_load_dwordx2 v[18:19], v18, s[4:5] offset:3072
.LBB1206_25:
	s_or_b64 exec, exec, s[10:11]
	v_or_b32_e32 v21, 0x200, v0
	v_cmp_gt_u32_e32 vcc, s3, v21
                                        ; implicit-def: $vgpr24_vgpr25
	s_and_saveexec_b64 s[10:11], vcc
	s_cbranch_execz .LBB1206_27
; %bb.26:
	v_lshlrev_b32_e32 v21, 3, v21
	global_load_dwordx2 v[24:25], v21, s[4:5]
.LBB1206_27:
	s_or_b64 exec, exec, s[10:11]
	v_lshlrev_b32_e32 v21, 5, v0
	v_sub_u32_e32 v21, v20, v21
	s_waitcnt vmcnt(0)
	ds_write2st64_b64 v21, v[10:11], v[14:15] offset1:2
	ds_write2st64_b64 v21, v[16:17], v[18:19] offset0:4 offset1:6
	ds_write_b64 v21, v[24:25] offset:4096
	s_waitcnt lgkmcnt(0)
	s_barrier
.LBB1206_28:
	ds_read_b64 v[10:11], v20 offset:32
	ds_read2_b64 v[52:55], v20 offset0:2 offset1:3
	ds_read2_b64 v[56:59], v20 offset1:1
	s_cmp_lg_u32 s2, 0
	s_cselect_b64 s[16:17], -1, 0
	s_cmp_lg_u64 s[6:7], 0
	s_cselect_b64 s[4:5], -1, 0
	s_or_b64 s[4:5], s[16:17], s[4:5]
	s_mov_b64 s[10:11], 0
	s_and_b64 vcc, exec, s[4:5]
	v_cmp_gt_i64_e64 s[4:5], s[30:31], 0
	s_waitcnt lgkmcnt(0)
	s_barrier
	s_cbranch_vccz .LBB1206_40
; %bb.29:
	s_add_u32 s6, s12, -8
	s_addc_u32 s7, s13, -1
	s_load_dwordx2 s[10:11], s[6:7], 0x0
	v_cndmask_b32_e64 v14, 0, 1, s[4:5]
	v_lshlrev_b32_e32 v21, 3, v0
	s_mov_b64 s[6:7], 0
	s_and_b64 vcc, exec, s[34:35]
	v_cmp_ne_u32_e64 s[4:5], 1, v14
	ds_write_b64 v21, v[12:13]
	s_cbranch_vccz .LBB1206_42
; %bb.30:
	s_and_b64 vcc, exec, s[4:5]
	s_cbranch_vccnz .LBB1206_43
; %bb.31:
	v_mul_lo_u32 v16, v5, s30
	v_mul_lo_u32 v17, v4, s31
	v_mad_u64_u32 v[14:15], s[6:7], v4, s30, 0
	v_add3_u32 v15, v15, v17, v16
	v_mul_lo_u32 v18, v13, s30
	v_mul_lo_u32 v19, v12, s31
	v_mad_u64_u32 v[16:17], s[6:7], v12, s30, 0
	s_add_u32 s14, s30, -1
	v_lshl_add_u64 v[14:15], v[14:15], 1, s[20:21]
	v_add3_u32 v17, v17, v19, v18
	s_addc_u32 s15, s31, -1
	v_lshl_add_u64 v[16:17], v[16:17], 1, s[20:21]
	s_mov_b64 s[18:19], 0
	s_mov_b64 s[36:37], s[14:15]
	v_mov_b64_e32 v[18:19], v[14:15]
                                        ; implicit-def: $sgpr12_sgpr13
.LBB1206_32:                            ; =>This Inner Loop Header: Depth=1
	global_load_ushort v23, v[16:17], off
	global_load_ushort v24, v[18:19], off
	s_add_u32 s6, s36, -1
	s_addc_u32 s7, s37, -1
	s_cmp_eq_u64 s[36:37], 0
	s_mov_b64 s[36:37], s[6:7]
	s_cselect_b64 s[38:39], -1, 0
	v_lshl_add_u64 v[18:19], v[18:19], 0, 2
	v_lshl_add_u64 v[16:17], v[16:17], 0, 2
	s_waitcnt vmcnt(1)
	v_lshlrev_b32_e32 v23, 16, v23
	s_waitcnt vmcnt(0)
	v_lshlrev_b32_e32 v24, 16, v24
	v_cmp_neq_f32_e64 s[6:7], v24, v23
	s_or_b64 s[6:7], s[6:7], s[38:39]
	s_and_b64 s[6:7], exec, s[6:7]
	v_cmp_eq_f32_e32 vcc, v24, v23
	s_or_b64 s[18:19], s[6:7], s[18:19]
	s_andn2_b64 s[6:7], s[12:13], exec
	s_and_b64 s[12:13], vcc, exec
	s_or_b64 s[12:13], s[6:7], s[12:13]
	s_andn2_b64 exec, exec, s[18:19]
	s_cbranch_execnz .LBB1206_32
; %bb.33:
	s_or_b64 exec, exec, s[18:19]
	v_mul_lo_u32 v18, v3, s30
	v_mul_lo_u32 v19, v2, s31
	v_mad_u64_u32 v[16:17], s[6:7], v2, s30, 0
	v_add3_u32 v17, v17, v19, v18
	v_lshl_add_u64 v[16:17], v[16:17], 1, s[20:21]
	s_mov_b64 s[36:37], 0
	s_mov_b64 s[38:39], s[14:15]
	v_mov_b64_e32 v[18:19], v[16:17]
                                        ; implicit-def: $sgpr18_sgpr19
.LBB1206_34:                            ; =>This Inner Loop Header: Depth=1
	global_load_ushort v23, v[14:15], off
	global_load_ushort v24, v[18:19], off
	s_add_u32 s6, s38, -1
	s_addc_u32 s7, s39, -1
	s_cmp_eq_u64 s[38:39], 0
	s_mov_b64 s[38:39], s[6:7]
	s_cselect_b64 s[40:41], -1, 0
	v_lshl_add_u64 v[18:19], v[18:19], 0, 2
	v_lshl_add_u64 v[14:15], v[14:15], 0, 2
	s_waitcnt vmcnt(1)
	v_lshlrev_b32_e32 v23, 16, v23
	s_waitcnt vmcnt(0)
	v_lshlrev_b32_e32 v24, 16, v24
	v_cmp_neq_f32_e64 s[6:7], v24, v23
	s_or_b64 s[6:7], s[6:7], s[40:41]
	s_and_b64 s[6:7], exec, s[6:7]
	v_cmp_eq_f32_e32 vcc, v24, v23
	s_or_b64 s[36:37], s[6:7], s[36:37]
	s_andn2_b64 s[6:7], s[18:19], exec
	s_and_b64 s[18:19], vcc, exec
	s_or_b64 s[18:19], s[6:7], s[18:19]
	s_andn2_b64 exec, exec, s[36:37]
	s_cbranch_execnz .LBB1206_34
; %bb.35:
	s_or_b64 exec, exec, s[36:37]
	v_mul_lo_u32 v18, v9, s30
	v_mul_lo_u32 v19, v8, s31
	v_mad_u64_u32 v[14:15], s[6:7], v8, s30, 0
	v_add3_u32 v15, v15, v19, v18
	v_lshl_add_u64 v[14:15], v[14:15], 1, s[20:21]
	s_mov_b64 s[38:39], 0
	s_mov_b64 s[40:41], s[14:15]
	v_mov_b64_e32 v[18:19], v[14:15]
                                        ; implicit-def: $sgpr36_sgpr37
.LBB1206_36:                            ; =>This Inner Loop Header: Depth=1
	global_load_ushort v23, v[16:17], off
	global_load_ushort v24, v[18:19], off
	s_add_u32 s6, s40, -1
	s_addc_u32 s7, s41, -1
	s_cmp_eq_u64 s[40:41], 0
	s_mov_b64 s[40:41], s[6:7]
	s_cselect_b64 s[42:43], -1, 0
	v_lshl_add_u64 v[18:19], v[18:19], 0, 2
	v_lshl_add_u64 v[16:17], v[16:17], 0, 2
	s_waitcnt vmcnt(1)
	v_lshlrev_b32_e32 v23, 16, v23
	s_waitcnt vmcnt(0)
	v_lshlrev_b32_e32 v24, 16, v24
	v_cmp_neq_f32_e64 s[6:7], v24, v23
	s_or_b64 s[6:7], s[6:7], s[42:43]
	s_and_b64 s[6:7], exec, s[6:7]
	v_cmp_eq_f32_e32 vcc, v24, v23
	s_or_b64 s[38:39], s[6:7], s[38:39]
	s_andn2_b64 s[6:7], s[36:37], exec
	s_and_b64 s[36:37], vcc, exec
	s_or_b64 s[36:37], s[6:7], s[36:37]
	s_andn2_b64 exec, exec, s[38:39]
	s_cbranch_execnz .LBB1206_36
; %bb.37:
	s_or_b64 exec, exec, s[38:39]
	v_mul_lo_u32 v18, v7, s30
	v_mul_lo_u32 v19, v6, s31
	v_mad_u64_u32 v[16:17], s[6:7], v6, s30, 0
	v_add3_u32 v17, v17, v19, v18
	v_lshl_add_u64 v[16:17], v[16:17], 1, s[20:21]
	s_mov_b64 s[40:41], 0
                                        ; implicit-def: $sgpr38_sgpr39
.LBB1206_38:                            ; =>This Inner Loop Header: Depth=1
	global_load_ushort v18, v[14:15], off
	global_load_ushort v19, v[16:17], off
	s_add_u32 s6, s14, -1
	s_addc_u32 s7, s15, -1
	s_cmp_eq_u64 s[14:15], 0
	s_mov_b64 s[14:15], s[6:7]
	s_cselect_b64 s[42:43], -1, 0
	v_lshl_add_u64 v[16:17], v[16:17], 0, 2
	v_lshl_add_u64 v[14:15], v[14:15], 0, 2
	s_waitcnt vmcnt(1)
	v_lshlrev_b32_e32 v18, 16, v18
	s_waitcnt vmcnt(0)
	v_lshlrev_b32_e32 v19, 16, v19
	v_cmp_neq_f32_e64 s[6:7], v19, v18
	s_or_b64 s[6:7], s[6:7], s[42:43]
	s_and_b64 s[6:7], exec, s[6:7]
	v_cmp_eq_f32_e32 vcc, v19, v18
	s_or_b64 s[40:41], s[6:7], s[40:41]
	s_andn2_b64 s[6:7], s[38:39], exec
	s_and_b64 s[38:39], vcc, exec
	s_or_b64 s[38:39], s[6:7], s[38:39]
	s_andn2_b64 exec, exec, s[40:41]
	s_cbranch_execnz .LBB1206_38
; %bb.39:
	s_or_b64 exec, exec, s[40:41]
	s_xor_b64 s[6:7], s[12:13], -1
	v_cndmask_b32_e64 v32, 0, 1, s[6:7]
	s_xor_b64 s[6:7], s[18:19], -1
	v_cndmask_b32_e64 v14, 0, 1, s[6:7]
	v_lshlrev_b16_e32 v14, 8, v14
	v_mov_b32_e32 v15, 8
	s_xor_b64 s[12:13], s[36:37], -1
	v_lshrrev_b32_sdwa v14, v15, v14 dst_sel:BYTE_1 dst_unused:UNUSED_PAD src0_sel:DWORD src1_sel:DWORD
	v_cndmask_b32_e64 v15, 0, 1, s[12:13]
	s_xor_b64 s[6:7], s[38:39], -1
	v_or_b32_sdwa v16, v15, v14 dst_sel:WORD_1 dst_unused:UNUSED_PAD src0_sel:DWORD src1_sel:DWORD
	s_branch .LBB1206_44
.LBB1206_40:
                                        ; implicit-def: $sgpr6_sgpr7
                                        ; implicit-def: $vgpr32
                                        ; implicit-def: $vgpr15
	s_branch .LBB1206_85
.LBB1206_41:
                                        ; implicit-def: $vgpr16
                                        ; implicit-def: $vgpr34
                                        ; implicit-def: $vgpr33
                                        ; implicit-def: $vgpr14
	s_branch .LBB1206_138
.LBB1206_42:
                                        ; implicit-def: $sgpr6_sgpr7
                                        ; implicit-def: $vgpr32
                                        ; implicit-def: $vgpr15
	s_cbranch_execnz .LBB1206_51
	s_branch .LBB1206_84
.LBB1206_43:
	v_mov_b32_e32 v16, 0
	v_mov_b32_e32 v32, 0
.LBB1206_44:
	v_cmp_ne_u32_e32 vcc, 0, v0
	s_waitcnt lgkmcnt(0)
	v_mov_b64_e32 v[14:15], s[10:11]
	s_barrier
	s_and_saveexec_b64 s[12:13], vcc
; %bb.45:
	v_add_u32_e32 v14, -8, v21
	ds_read_b64 v[14:15], v14
; %bb.46:
	s_or_b64 exec, exec, s[12:13]
	v_cndmask_b32_e64 v17, 0, 1, s[6:7]
	v_lshrrev_b32_e32 v18, 16, v16
	s_mov_b32 s6, 0xc0c0304
	v_perm_b32 v18, v18, v16, s6
	v_lshlrev_b16_e32 v17, 8, v17
	s_movk_i32 s6, 0xff
	v_bitop3_b16 v16, v16, v17, s6 bitop3:0xec
	v_and_b32_e32 v19, 0xffff, v16
	s_mov_b64 s[12:13], 0
	s_and_b64 vcc, exec, s[4:5]
	s_mov_b64 s[6:7], 0
	s_cbranch_vccnz .LBB1206_50
; %bb.47:
	s_waitcnt lgkmcnt(0)
	v_mul_lo_u32 v16, v15, s30
	v_mul_lo_u32 v17, v14, s31
	v_mad_u64_u32 v[14:15], s[6:7], v14, s30, 0
	v_add3_u32 v15, v15, v17, v16
	v_mul_lo_u32 v23, v7, s30
	v_mul_lo_u32 v24, v6, s31
	v_mad_u64_u32 v[16:17], s[6:7], v6, s30, 0
	v_add3_u32 v17, v17, v24, v23
	s_add_u32 s36, s30, -1
	v_lshl_add_u64 v[14:15], v[14:15], 1, s[20:21]
	v_lshl_add_u64 v[16:17], v[16:17], 1, s[20:21]
	s_addc_u32 s37, s31, -1
	s_mov_b64 s[14:15], 0
                                        ; implicit-def: $sgpr18_sgpr19
.LBB1206_48:                            ; =>This Inner Loop Header: Depth=1
	global_load_ushort v23, v[16:17], off
	global_load_ushort v24, v[14:15], off
	s_add_u32 s6, s36, -1
	s_addc_u32 s7, s37, -1
	s_cmp_eq_u64 s[36:37], 0
	s_mov_b64 s[36:37], s[6:7]
	s_cselect_b64 s[38:39], -1, 0
	v_lshl_add_u64 v[14:15], v[14:15], 0, 2
	v_lshl_add_u64 v[16:17], v[16:17], 0, 2
	s_waitcnt vmcnt(1)
	v_lshlrev_b32_e32 v23, 16, v23
	s_waitcnt vmcnt(0)
	v_lshlrev_b32_e32 v24, 16, v24
	v_cmp_neq_f32_e64 s[6:7], v24, v23
	s_or_b64 s[6:7], s[6:7], s[38:39]
	s_and_b64 s[6:7], exec, s[6:7]
	v_cmp_eq_f32_e32 vcc, v24, v23
	s_or_b64 s[14:15], s[6:7], s[14:15]
	s_andn2_b64 s[6:7], s[18:19], exec
	s_and_b64 s[18:19], vcc, exec
	s_or_b64 s[18:19], s[6:7], s[18:19]
	s_andn2_b64 exec, exec, s[14:15]
	s_cbranch_execnz .LBB1206_48
; %bb.49:
	s_or_b64 exec, exec, s[14:15]
	s_xor_b64 s[6:7], s[18:19], -1
.LBB1206_50:
	s_waitcnt lgkmcnt(0)
	v_lshl_or_b32 v15, v18, 16, v19
	s_and_b64 vcc, exec, s[12:13]
	s_cbranch_vccz .LBB1206_84
.LBB1206_51:
	v_add_u32_e32 v14, 4, v22
	v_cmp_gt_u32_e32 vcc, s3, v14
	s_mov_b64 s[14:15], 0
	s_mov_b64 s[12:13], 0
	s_and_saveexec_b64 s[18:19], vcc
	s_cbranch_execz .LBB1206_57
; %bb.52:
	s_and_b64 vcc, exec, s[4:5]
	s_mov_b64 s[6:7], 0
	s_cbranch_vccnz .LBB1206_56
; %bb.53:
	v_mul_lo_u32 v16, v5, s30
	v_mul_lo_u32 v17, v4, s31
	v_mad_u64_u32 v[14:15], s[6:7], v4, s30, 0
	v_add3_u32 v15, v15, v17, v16
	v_mul_lo_u32 v18, v13, s30
	v_mul_lo_u32 v19, v12, s31
	v_mad_u64_u32 v[16:17], s[6:7], v12, s30, 0
	v_add3_u32 v17, v17, v19, v18
	s_add_u32 s38, s30, -1
	v_lshl_add_u64 v[14:15], v[14:15], 1, s[20:21]
	v_lshl_add_u64 v[16:17], v[16:17], 1, s[20:21]
	s_addc_u32 s39, s31, -1
                                        ; implicit-def: $sgpr36_sgpr37
.LBB1206_54:                            ; =>This Inner Loop Header: Depth=1
	global_load_ushort v18, v[16:17], off
	global_load_ushort v19, v[14:15], off
	s_add_u32 s6, s38, -1
	s_addc_u32 s7, s39, -1
	s_cmp_eq_u64 s[38:39], 0
	s_mov_b64 s[38:39], s[6:7]
	s_cselect_b64 s[40:41], -1, 0
	v_lshl_add_u64 v[14:15], v[14:15], 0, 2
	v_lshl_add_u64 v[16:17], v[16:17], 0, 2
	s_waitcnt vmcnt(1)
	v_lshlrev_b32_e32 v18, 16, v18
	s_waitcnt vmcnt(0)
	v_lshlrev_b32_e32 v19, 16, v19
	v_cmp_neq_f32_e64 s[6:7], v19, v18
	s_or_b64 s[6:7], s[6:7], s[40:41]
	s_and_b64 s[6:7], exec, s[6:7]
	v_cmp_eq_f32_e32 vcc, v19, v18
	s_or_b64 s[12:13], s[6:7], s[12:13]
	s_andn2_b64 s[6:7], s[36:37], exec
	s_and_b64 s[36:37], vcc, exec
	s_or_b64 s[36:37], s[6:7], s[36:37]
	s_andn2_b64 exec, exec, s[12:13]
	s_cbranch_execnz .LBB1206_54
; %bb.55:
	s_or_b64 exec, exec, s[12:13]
	s_xor_b64 s[6:7], s[36:37], -1
.LBB1206_56:
	s_and_b64 s[12:13], s[6:7], exec
.LBB1206_57:
	s_or_b64 exec, exec, s[18:19]
	v_add_u32_e32 v14, 3, v22
	v_cmp_gt_u32_e32 vcc, s3, v14
	s_and_saveexec_b64 s[18:19], vcc
	s_cbranch_execz .LBB1206_63
; %bb.58:
	s_and_b64 vcc, exec, s[4:5]
	s_mov_b64 s[6:7], 0
	s_cbranch_vccnz .LBB1206_62
; %bb.59:
	v_mul_lo_u32 v16, v3, s30
	v_mul_lo_u32 v17, v2, s31
	v_mad_u64_u32 v[14:15], s[6:7], v2, s30, 0
	v_add3_u32 v15, v15, v17, v16
	v_mul_lo_u32 v18, v5, s30
	v_mul_lo_u32 v19, v4, s31
	v_mad_u64_u32 v[16:17], s[6:7], v4, s30, 0
	v_add3_u32 v17, v17, v19, v18
	s_add_u32 s38, s30, -1
	v_lshl_add_u64 v[14:15], v[14:15], 1, s[20:21]
	v_lshl_add_u64 v[16:17], v[16:17], 1, s[20:21]
	s_addc_u32 s39, s31, -1
	s_mov_b64 s[14:15], 0
                                        ; implicit-def: $sgpr36_sgpr37
.LBB1206_60:                            ; =>This Inner Loop Header: Depth=1
	global_load_ushort v18, v[16:17], off
	global_load_ushort v19, v[14:15], off
	s_add_u32 s6, s38, -1
	s_addc_u32 s7, s39, -1
	s_cmp_eq_u64 s[38:39], 0
	s_mov_b64 s[38:39], s[6:7]
	s_cselect_b64 s[40:41], -1, 0
	v_lshl_add_u64 v[14:15], v[14:15], 0, 2
	v_lshl_add_u64 v[16:17], v[16:17], 0, 2
	s_waitcnt vmcnt(1)
	v_lshlrev_b32_e32 v18, 16, v18
	s_waitcnt vmcnt(0)
	v_lshlrev_b32_e32 v19, 16, v19
	v_cmp_neq_f32_e64 s[6:7], v19, v18
	s_or_b64 s[6:7], s[6:7], s[40:41]
	s_and_b64 s[6:7], exec, s[6:7]
	v_cmp_eq_f32_e32 vcc, v19, v18
	s_or_b64 s[14:15], s[6:7], s[14:15]
	s_andn2_b64 s[6:7], s[36:37], exec
	s_and_b64 s[36:37], vcc, exec
	s_or_b64 s[36:37], s[6:7], s[36:37]
	s_andn2_b64 exec, exec, s[14:15]
	s_cbranch_execnz .LBB1206_60
; %bb.61:
	s_or_b64 exec, exec, s[14:15]
	s_xor_b64 s[6:7], s[36:37], -1
.LBB1206_62:
	s_and_b64 s[14:15], s[6:7], exec
.LBB1206_63:
	s_or_b64 exec, exec, s[18:19]
	v_add_u32_e32 v14, 2, v22
	v_cmp_gt_u32_e32 vcc, s3, v14
	s_mov_b64 s[18:19], 0
	s_mov_b64 s[36:37], 0
	s_and_saveexec_b64 s[38:39], vcc
	s_cbranch_execz .LBB1206_69
; %bb.64:
	s_and_b64 vcc, exec, s[4:5]
	s_mov_b64 s[6:7], 0
	s_cbranch_vccnz .LBB1206_68
; %bb.65:
	v_mul_lo_u32 v16, v9, s30
	v_mul_lo_u32 v17, v8, s31
	v_mad_u64_u32 v[14:15], s[6:7], v8, s30, 0
	v_add3_u32 v15, v15, v17, v16
	v_mul_lo_u32 v18, v3, s30
	v_mul_lo_u32 v19, v2, s31
	v_mad_u64_u32 v[16:17], s[6:7], v2, s30, 0
	v_add3_u32 v17, v17, v19, v18
	s_add_u32 s42, s30, -1
	v_lshl_add_u64 v[14:15], v[14:15], 1, s[20:21]
	v_lshl_add_u64 v[16:17], v[16:17], 1, s[20:21]
	s_addc_u32 s43, s31, -1
                                        ; implicit-def: $sgpr40_sgpr41
.LBB1206_66:                            ; =>This Inner Loop Header: Depth=1
	global_load_ushort v18, v[16:17], off
	global_load_ushort v19, v[14:15], off
	s_add_u32 s6, s42, -1
	s_addc_u32 s7, s43, -1
	s_cmp_eq_u64 s[42:43], 0
	s_mov_b64 s[42:43], s[6:7]
	s_cselect_b64 s[44:45], -1, 0
	v_lshl_add_u64 v[14:15], v[14:15], 0, 2
	v_lshl_add_u64 v[16:17], v[16:17], 0, 2
	s_waitcnt vmcnt(1)
	v_lshlrev_b32_e32 v18, 16, v18
	s_waitcnt vmcnt(0)
	v_lshlrev_b32_e32 v19, 16, v19
	v_cmp_neq_f32_e64 s[6:7], v19, v18
	s_or_b64 s[6:7], s[6:7], s[44:45]
	s_and_b64 s[6:7], exec, s[6:7]
	v_cmp_eq_f32_e32 vcc, v19, v18
	s_or_b64 s[36:37], s[6:7], s[36:37]
	s_andn2_b64 s[6:7], s[40:41], exec
	s_and_b64 s[40:41], vcc, exec
	s_or_b64 s[40:41], s[6:7], s[40:41]
	s_andn2_b64 exec, exec, s[36:37]
	s_cbranch_execnz .LBB1206_66
; %bb.67:
	s_or_b64 exec, exec, s[36:37]
	s_xor_b64 s[6:7], s[40:41], -1
.LBB1206_68:
	s_and_b64 s[36:37], s[6:7], exec
.LBB1206_69:
	s_or_b64 exec, exec, s[38:39]
	v_add_u32_e32 v14, 1, v22
	v_cmp_gt_u32_e32 vcc, s3, v14
	s_and_saveexec_b64 s[38:39], vcc
	s_cbranch_execz .LBB1206_75
; %bb.70:
	s_and_b64 vcc, exec, s[4:5]
	s_mov_b64 s[6:7], 0
	s_cbranch_vccnz .LBB1206_74
; %bb.71:
	v_mul_lo_u32 v16, v7, s30
	v_mul_lo_u32 v17, v6, s31
	v_mad_u64_u32 v[14:15], s[6:7], v6, s30, 0
	v_add3_u32 v15, v15, v17, v16
	v_mul_lo_u32 v18, v9, s30
	v_mul_lo_u32 v19, v8, s31
	v_mad_u64_u32 v[16:17], s[6:7], v8, s30, 0
	v_add3_u32 v17, v17, v19, v18
	s_add_u32 s42, s30, -1
	v_lshl_add_u64 v[14:15], v[14:15], 1, s[20:21]
	v_lshl_add_u64 v[16:17], v[16:17], 1, s[20:21]
	s_addc_u32 s43, s31, -1
	s_mov_b64 s[18:19], 0
                                        ; implicit-def: $sgpr40_sgpr41
.LBB1206_72:                            ; =>This Inner Loop Header: Depth=1
	global_load_ushort v18, v[16:17], off
	global_load_ushort v19, v[14:15], off
	s_add_u32 s6, s42, -1
	s_addc_u32 s7, s43, -1
	s_cmp_eq_u64 s[42:43], 0
	s_mov_b64 s[42:43], s[6:7]
	s_cselect_b64 s[44:45], -1, 0
	v_lshl_add_u64 v[14:15], v[14:15], 0, 2
	v_lshl_add_u64 v[16:17], v[16:17], 0, 2
	s_waitcnt vmcnt(1)
	v_lshlrev_b32_e32 v18, 16, v18
	s_waitcnt vmcnt(0)
	v_lshlrev_b32_e32 v19, 16, v19
	v_cmp_neq_f32_e64 s[6:7], v19, v18
	s_or_b64 s[6:7], s[6:7], s[44:45]
	s_and_b64 s[6:7], exec, s[6:7]
	v_cmp_eq_f32_e32 vcc, v19, v18
	s_or_b64 s[18:19], s[6:7], s[18:19]
	s_andn2_b64 s[6:7], s[40:41], exec
	s_and_b64 s[40:41], vcc, exec
	s_or_b64 s[40:41], s[6:7], s[40:41]
	s_andn2_b64 exec, exec, s[18:19]
	s_cbranch_execnz .LBB1206_72
; %bb.73:
	s_or_b64 exec, exec, s[18:19]
	s_xor_b64 s[6:7], s[40:41], -1
.LBB1206_74:
	s_and_b64 s[18:19], s[6:7], exec
.LBB1206_75:
	s_or_b64 exec, exec, s[38:39]
	v_cmp_ne_u32_e32 vcc, 0, v0
	s_waitcnt lgkmcnt(0)
	v_mov_b64_e32 v[14:15], s[10:11]
	s_barrier
	s_and_saveexec_b64 s[6:7], vcc
; %bb.76:
	v_add_u32_e32 v14, -8, v21
	ds_read_b64 v[14:15], v14
; %bb.77:
	s_or_b64 exec, exec, s[6:7]
	v_cndmask_b32_e64 v17, 0, 1, s[14:15]
	v_cndmask_b32_e64 v16, 0, 1, s[36:37]
	;; [unrolled: 1-line block ×3, first 2 shown]
	v_lshlrev_b16_e32 v17, 8, v17
	v_cmp_gt_u32_e32 vcc, s3, v22
	v_lshlrev_b16_e32 v18, 8, v18
	v_or_b32_sdwa v19, v16, v17 dst_sel:WORD_1 dst_unused:UNUSED_PAD src0_sel:DWORD src1_sel:DWORD
	s_mov_b64 s[6:7], 0
	s_and_saveexec_b64 s[10:11], vcc
	s_cbranch_execz .LBB1206_83
; %bb.78:
	s_and_b64 vcc, exec, s[4:5]
	s_mov_b64 s[4:5], 0
	s_cbranch_vccnz .LBB1206_82
; %bb.79:
	s_waitcnt lgkmcnt(0)
	v_mul_lo_u32 v16, v15, s30
	v_mul_lo_u32 v17, v14, s31
	v_mad_u64_u32 v[14:15], s[4:5], v14, s30, 0
	v_add3_u32 v15, v15, v17, v16
	v_mul_lo_u32 v21, v7, s30
	v_mul_lo_u32 v23, v6, s31
	v_mad_u64_u32 v[16:17], s[4:5], v6, s30, 0
	v_add3_u32 v17, v17, v23, v21
	s_add_u32 s18, s30, -1
	v_lshl_add_u64 v[14:15], v[14:15], 1, s[20:21]
	v_lshl_add_u64 v[16:17], v[16:17], 1, s[20:21]
	s_addc_u32 s19, s31, -1
                                        ; implicit-def: $sgpr14_sgpr15
.LBB1206_80:                            ; =>This Inner Loop Header: Depth=1
	global_load_ushort v21, v[16:17], off
	global_load_ushort v23, v[14:15], off
	s_add_u32 s4, s18, -1
	s_addc_u32 s5, s19, -1
	s_cmp_eq_u64 s[18:19], 0
	s_mov_b64 s[18:19], s[4:5]
	s_cselect_b64 s[36:37], -1, 0
	v_lshl_add_u64 v[14:15], v[14:15], 0, 2
	v_lshl_add_u64 v[16:17], v[16:17], 0, 2
	s_waitcnt vmcnt(1)
	v_lshlrev_b32_e32 v21, 16, v21
	s_waitcnt vmcnt(0)
	v_lshlrev_b32_e32 v23, 16, v23
	v_cmp_neq_f32_e64 s[4:5], v23, v21
	s_or_b64 s[4:5], s[4:5], s[36:37]
	s_and_b64 s[4:5], exec, s[4:5]
	v_cmp_eq_f32_e32 vcc, v23, v21
	s_or_b64 s[6:7], s[4:5], s[6:7]
	s_andn2_b64 s[4:5], s[14:15], exec
	s_and_b64 s[14:15], vcc, exec
	s_or_b64 s[14:15], s[4:5], s[14:15]
	s_andn2_b64 exec, exec, s[6:7]
	s_cbranch_execnz .LBB1206_80
; %bb.81:
	s_or_b64 exec, exec, s[6:7]
	s_xor_b64 s[4:5], s[14:15], -1
.LBB1206_82:
	s_and_b64 s[6:7], s[4:5], exec
.LBB1206_83:
	s_or_b64 exec, exec, s[10:11]
	v_cndmask_b32_e64 v32, 0, 1, s[12:13]
	s_waitcnt lgkmcnt(0)
	v_or_b32_e32 v15, v18, v19
.LBB1206_84:
	s_waitcnt lgkmcnt(0)
	s_mov_b64 s[10:11], -1
	s_cbranch_execnz .LBB1206_41
.LBB1206_85:
	v_lshlrev_b32_e32 v14, 5, v0
	v_sub_u32_e32 v23, v20, v14
	s_mov_b64 s[6:7], 0
	v_cmp_gt_i64_e64 s[12:13], s[30:31], 0
	s_and_b64 vcc, exec, s[34:35]
	ds_write_b64 v23, v[12:13]
	s_cbranch_vccz .LBB1206_96
; %bb.86:
	v_cndmask_b32_e64 v14, 0, 1, s[12:13]
	v_cmp_ne_u32_e64 s[4:5], 1, v14
	s_andn2_b64 vcc, exec, s[12:13]
	s_cbranch_vccnz .LBB1206_97
; %bb.87:
	v_mul_lo_u32 v16, v5, s30
	v_mul_lo_u32 v17, v4, s31
	v_mad_u64_u32 v[14:15], s[6:7], v4, s30, 0
	v_add3_u32 v15, v15, v17, v16
	v_mul_lo_u32 v18, v13, s30
	v_mul_lo_u32 v19, v12, s31
	v_mad_u64_u32 v[16:17], s[6:7], v12, s30, 0
	s_add_u32 s18, s30, -1
	v_lshl_add_u64 v[14:15], v[14:15], 1, s[20:21]
	v_add3_u32 v17, v17, v19, v18
	s_addc_u32 s19, s31, -1
	v_lshl_add_u64 v[16:17], v[16:17], 1, s[20:21]
	s_mov_b64 s[36:37], 0
	s_mov_b64 s[38:39], s[18:19]
	v_mov_b64_e32 v[18:19], v[14:15]
                                        ; implicit-def: $sgpr14_sgpr15
.LBB1206_88:                            ; =>This Inner Loop Header: Depth=1
	global_load_ushort v20, v[16:17], off
	global_load_ushort v21, v[18:19], off
	s_add_u32 s6, s38, -1
	s_addc_u32 s7, s39, -1
	s_cmp_eq_u64 s[38:39], 0
	s_mov_b64 s[38:39], s[6:7]
	s_cselect_b64 s[40:41], -1, 0
	v_lshl_add_u64 v[18:19], v[18:19], 0, 2
	v_lshl_add_u64 v[16:17], v[16:17], 0, 2
	s_waitcnt vmcnt(1)
	v_lshlrev_b32_e32 v20, 16, v20
	s_waitcnt vmcnt(0)
	v_lshlrev_b32_e32 v21, 16, v21
	v_cmp_neq_f32_e64 s[6:7], v21, v20
	s_or_b64 s[6:7], s[6:7], s[40:41]
	s_and_b64 s[6:7], exec, s[6:7]
	v_cmp_eq_f32_e32 vcc, v21, v20
	s_or_b64 s[36:37], s[6:7], s[36:37]
	s_andn2_b64 s[6:7], s[14:15], exec
	s_and_b64 s[14:15], vcc, exec
	s_or_b64 s[14:15], s[6:7], s[14:15]
	s_andn2_b64 exec, exec, s[36:37]
	s_cbranch_execnz .LBB1206_88
; %bb.89:
	s_or_b64 exec, exec, s[36:37]
	v_mul_lo_u32 v18, v3, s30
	v_mul_lo_u32 v19, v2, s31
	v_mad_u64_u32 v[16:17], s[6:7], v2, s30, 0
	v_add3_u32 v17, v17, v19, v18
	v_lshl_add_u64 v[16:17], v[16:17], 1, s[20:21]
	s_mov_b64 s[38:39], 0
	s_mov_b64 s[40:41], s[18:19]
	v_mov_b64_e32 v[18:19], v[16:17]
                                        ; implicit-def: $sgpr36_sgpr37
.LBB1206_90:                            ; =>This Inner Loop Header: Depth=1
	global_load_ushort v20, v[14:15], off
	global_load_ushort v21, v[18:19], off
	s_add_u32 s6, s40, -1
	s_addc_u32 s7, s41, -1
	s_cmp_eq_u64 s[40:41], 0
	s_mov_b64 s[40:41], s[6:7]
	s_cselect_b64 s[42:43], -1, 0
	v_lshl_add_u64 v[18:19], v[18:19], 0, 2
	v_lshl_add_u64 v[14:15], v[14:15], 0, 2
	s_waitcnt vmcnt(1)
	v_lshlrev_b32_e32 v20, 16, v20
	s_waitcnt vmcnt(0)
	v_lshlrev_b32_e32 v21, 16, v21
	v_cmp_neq_f32_e64 s[6:7], v21, v20
	s_or_b64 s[6:7], s[6:7], s[42:43]
	s_and_b64 s[6:7], exec, s[6:7]
	v_cmp_eq_f32_e32 vcc, v21, v20
	s_or_b64 s[38:39], s[6:7], s[38:39]
	s_andn2_b64 s[6:7], s[36:37], exec
	s_and_b64 s[36:37], vcc, exec
	s_or_b64 s[36:37], s[6:7], s[36:37]
	s_andn2_b64 exec, exec, s[38:39]
	s_cbranch_execnz .LBB1206_90
; %bb.91:
	s_or_b64 exec, exec, s[38:39]
	v_mul_lo_u32 v18, v9, s30
	v_mul_lo_u32 v19, v8, s31
	v_mad_u64_u32 v[14:15], s[6:7], v8, s30, 0
	v_add3_u32 v15, v15, v19, v18
	v_lshl_add_u64 v[14:15], v[14:15], 1, s[20:21]
	s_mov_b64 s[40:41], 0
	s_mov_b64 s[42:43], s[18:19]
	v_mov_b64_e32 v[18:19], v[14:15]
                                        ; implicit-def: $sgpr38_sgpr39
.LBB1206_92:                            ; =>This Inner Loop Header: Depth=1
	global_load_ushort v20, v[16:17], off
	global_load_ushort v21, v[18:19], off
	s_add_u32 s6, s42, -1
	s_addc_u32 s7, s43, -1
	s_cmp_eq_u64 s[42:43], 0
	s_mov_b64 s[42:43], s[6:7]
	s_cselect_b64 s[44:45], -1, 0
	v_lshl_add_u64 v[18:19], v[18:19], 0, 2
	v_lshl_add_u64 v[16:17], v[16:17], 0, 2
	s_waitcnt vmcnt(1)
	v_lshlrev_b32_e32 v20, 16, v20
	s_waitcnt vmcnt(0)
	v_lshlrev_b32_e32 v21, 16, v21
	v_cmp_neq_f32_e64 s[6:7], v21, v20
	s_or_b64 s[6:7], s[6:7], s[44:45]
	s_and_b64 s[6:7], exec, s[6:7]
	v_cmp_eq_f32_e32 vcc, v21, v20
	s_or_b64 s[40:41], s[6:7], s[40:41]
	s_andn2_b64 s[6:7], s[38:39], exec
	s_and_b64 s[38:39], vcc, exec
	s_or_b64 s[38:39], s[6:7], s[38:39]
	s_andn2_b64 exec, exec, s[40:41]
	s_cbranch_execnz .LBB1206_92
; %bb.93:
	s_or_b64 exec, exec, s[40:41]
	v_mul_lo_u32 v18, v7, s30
	v_mul_lo_u32 v19, v6, s31
	v_mad_u64_u32 v[16:17], s[6:7], v6, s30, 0
	v_add3_u32 v17, v17, v19, v18
	v_lshl_add_u64 v[16:17], v[16:17], 1, s[20:21]
	s_mov_b64 s[42:43], 0
                                        ; implicit-def: $sgpr40_sgpr41
.LBB1206_94:                            ; =>This Inner Loop Header: Depth=1
	global_load_ushort v18, v[14:15], off
	global_load_ushort v19, v[16:17], off
	s_add_u32 s6, s18, -1
	s_addc_u32 s7, s19, -1
	s_cmp_eq_u64 s[18:19], 0
	s_mov_b64 s[18:19], s[6:7]
	s_cselect_b64 s[44:45], -1, 0
	v_lshl_add_u64 v[16:17], v[16:17], 0, 2
	v_lshl_add_u64 v[14:15], v[14:15], 0, 2
	s_waitcnt vmcnt(1)
	v_lshlrev_b32_e32 v18, 16, v18
	s_waitcnt vmcnt(0)
	v_lshlrev_b32_e32 v19, 16, v19
	v_cmp_neq_f32_e64 s[6:7], v19, v18
	s_or_b64 s[6:7], s[6:7], s[44:45]
	s_and_b64 s[6:7], exec, s[6:7]
	v_cmp_eq_f32_e32 vcc, v19, v18
	s_or_b64 s[42:43], s[6:7], s[42:43]
	s_andn2_b64 s[6:7], s[40:41], exec
	s_and_b64 s[40:41], vcc, exec
	s_or_b64 s[40:41], s[6:7], s[40:41]
	s_andn2_b64 exec, exec, s[42:43]
	s_cbranch_execnz .LBB1206_94
; %bb.95:
	s_or_b64 exec, exec, s[42:43]
	s_xor_b64 s[6:7], s[14:15], -1
	v_cndmask_b32_e64 v32, 0, 1, s[6:7]
	s_xor_b64 s[6:7], s[36:37], -1
	v_cndmask_b32_e64 v14, 0, 1, s[6:7]
	v_lshlrev_b16_e32 v14, 8, v14
	v_mov_b32_e32 v15, 8
	s_xor_b64 s[14:15], s[38:39], -1
	v_lshrrev_b32_sdwa v14, v15, v14 dst_sel:BYTE_1 dst_unused:UNUSED_PAD src0_sel:DWORD src1_sel:DWORD
	v_cndmask_b32_e64 v15, 0, 1, s[14:15]
	s_xor_b64 s[6:7], s[40:41], -1
	v_or_b32_sdwa v14, v15, v14 dst_sel:WORD_1 dst_unused:UNUSED_PAD src0_sel:DWORD src1_sel:DWORD
	s_branch .LBB1206_98
.LBB1206_96:
                                        ; implicit-def: $sgpr6_sgpr7
                                        ; implicit-def: $vgpr32
                                        ; implicit-def: $vgpr15
                                        ; implicit-def: $vgpr16
                                        ; implicit-def: $vgpr34
                                        ; implicit-def: $vgpr33
                                        ; implicit-def: $vgpr14
	s_cbranch_execnz .LBB1206_105
	s_branch .LBB1206_138
.LBB1206_97:
	v_mov_b32_e32 v14, 0
	v_mov_b32_e32 v32, 0
.LBB1206_98:
	v_lshrrev_b32_e32 v33, 16, v14
	v_lshrrev_b32_e32 v14, 24, v14
	v_cndmask_b32_e64 v34, 0, 1, s[6:7]
	v_mov_b32_e32 v16, 1
	v_cmp_ne_u32_e32 vcc, 0, v0
	s_waitcnt lgkmcnt(0)
	s_barrier
                                        ; implicit-def: $sgpr6_sgpr7
                                        ; implicit-def: $vgpr15
	s_and_saveexec_b64 s[14:15], vcc
	s_xor_b64 s[14:15], exec, s[14:15]
	s_cbranch_execz .LBB1206_104
; %bb.99:
	v_lshlrev_b16_e32 v15, 8, v14
	s_movk_i32 s6, 0xff
	v_bitop3_b16 v15, v33, v15, s6 bitop3:0xec
	v_lshlrev_b16_e32 v17, 8, v34
	v_lshlrev_b32_e32 v15, 16, v15
	v_or_b32_e32 v17, 1, v17
	v_or_b32_sdwa v15, v17, v15 dst_sel:DWORD dst_unused:UNUSED_PAD src0_sel:WORD_0 src1_sel:DWORD
	s_mov_b32 s33, 0x3020104
	s_and_b64 vcc, exec, s[4:5]
	s_mov_b64 s[6:7], 0
	s_cbranch_vccnz .LBB1206_103
; %bb.100:
	v_add_u32_e32 v17, -8, v23
	ds_read_b64 v[18:19], v17
	v_mul_lo_u32 v17, v7, s30
	v_mul_lo_u32 v24, v6, s31
	s_add_u32 s36, s30, -1
	s_addc_u32 s37, s31, -1
	s_waitcnt lgkmcnt(0)
	v_mul_lo_u32 v20, v19, s30
	v_mul_lo_u32 v21, v18, s31
	v_mad_u64_u32 v[18:19], s[4:5], v18, s30, 0
	v_add3_u32 v19, v19, v21, v20
	v_mad_u64_u32 v[20:21], s[4:5], v6, s30, 0
	v_add3_u32 v21, v21, v24, v17
	v_lshl_add_u64 v[18:19], v[18:19], 1, s[20:21]
	v_lshl_add_u64 v[20:21], v[20:21], 1, s[20:21]
                                        ; implicit-def: $sgpr18_sgpr19
.LBB1206_101:                           ; =>This Inner Loop Header: Depth=1
	global_load_ushort v17, v[20:21], off
	global_load_ushort v24, v[18:19], off
	s_add_u32 s4, s36, -1
	s_addc_u32 s5, s37, -1
	s_cmp_eq_u64 s[36:37], 0
	s_mov_b64 s[36:37], s[4:5]
	s_cselect_b64 s[38:39], -1, 0
	v_lshl_add_u64 v[18:19], v[18:19], 0, 2
	v_lshl_add_u64 v[20:21], v[20:21], 0, 2
	s_waitcnt vmcnt(1)
	v_lshlrev_b32_e32 v17, 16, v17
	s_waitcnt vmcnt(0)
	v_lshlrev_b32_e32 v24, 16, v24
	v_cmp_neq_f32_e64 s[4:5], v24, v17
	s_or_b64 s[4:5], s[4:5], s[38:39]
	s_and_b64 s[4:5], exec, s[4:5]
	v_cmp_eq_f32_e32 vcc, v24, v17
	s_or_b64 s[6:7], s[4:5], s[6:7]
	s_andn2_b64 s[4:5], s[18:19], exec
	s_and_b64 s[18:19], vcc, exec
	s_or_b64 s[18:19], s[4:5], s[18:19]
	s_andn2_b64 exec, exec, s[6:7]
	s_cbranch_execnz .LBB1206_101
; %bb.102:
	s_or_b64 exec, exec, s[6:7]
	s_xor_b64 s[6:7], s[18:19], -1
.LBB1206_103:
	v_perm_b32 v15, v15, v15, s33
	s_or_b64 s[10:11], s[10:11], exec
.LBB1206_104:
	s_or_b64 exec, exec, s[14:15]
	s_branch .LBB1206_138
.LBB1206_105:
	v_add_u32_e32 v14, 4, v22
	v_cmp_gt_u32_e32 vcc, s3, v14
	s_mov_b64 s[6:7], 0
	s_mov_b64 s[14:15], 0
	s_and_saveexec_b64 s[18:19], vcc
	s_cbranch_execz .LBB1206_111
; %bb.106:
	s_andn2_b64 vcc, exec, s[12:13]
	s_mov_b64 s[4:5], 0
	s_cbranch_vccnz .LBB1206_110
; %bb.107:
	v_mul_lo_u32 v16, v5, s30
	v_mul_lo_u32 v17, v4, s31
	v_mad_u64_u32 v[14:15], s[4:5], v4, s30, 0
	v_add3_u32 v15, v15, v17, v16
	v_mul_lo_u32 v18, v13, s30
	v_mul_lo_u32 v19, v12, s31
	v_mad_u64_u32 v[16:17], s[4:5], v12, s30, 0
	v_add3_u32 v17, v17, v19, v18
	s_add_u32 s38, s30, -1
	v_lshl_add_u64 v[14:15], v[14:15], 1, s[20:21]
	v_lshl_add_u64 v[16:17], v[16:17], 1, s[20:21]
	s_addc_u32 s39, s31, -1
                                        ; implicit-def: $sgpr36_sgpr37
.LBB1206_108:                           ; =>This Inner Loop Header: Depth=1
	global_load_ushort v18, v[16:17], off
	global_load_ushort v19, v[14:15], off
	s_add_u32 s4, s38, -1
	s_addc_u32 s5, s39, -1
	s_cmp_eq_u64 s[38:39], 0
	s_mov_b64 s[38:39], s[4:5]
	s_cselect_b64 s[40:41], -1, 0
	v_lshl_add_u64 v[14:15], v[14:15], 0, 2
	v_lshl_add_u64 v[16:17], v[16:17], 0, 2
	s_waitcnt vmcnt(1)
	v_lshlrev_b32_e32 v18, 16, v18
	s_waitcnt vmcnt(0)
	v_lshlrev_b32_e32 v19, 16, v19
	v_cmp_neq_f32_e64 s[4:5], v19, v18
	s_or_b64 s[4:5], s[4:5], s[40:41]
	s_and_b64 s[4:5], exec, s[4:5]
	v_cmp_eq_f32_e32 vcc, v19, v18
	s_or_b64 s[14:15], s[4:5], s[14:15]
	s_andn2_b64 s[4:5], s[36:37], exec
	s_and_b64 s[36:37], vcc, exec
	s_or_b64 s[36:37], s[4:5], s[36:37]
	s_andn2_b64 exec, exec, s[14:15]
	s_cbranch_execnz .LBB1206_108
; %bb.109:
	s_or_b64 exec, exec, s[14:15]
	s_xor_b64 s[4:5], s[36:37], -1
.LBB1206_110:
	s_and_b64 s[14:15], s[4:5], exec
.LBB1206_111:
	s_or_b64 exec, exec, s[18:19]
	v_add_u32_e32 v14, 3, v22
	v_cmp_gt_u32_e32 vcc, s3, v14
	s_and_saveexec_b64 s[18:19], vcc
	s_cbranch_execz .LBB1206_117
; %bb.112:
	s_andn2_b64 vcc, exec, s[12:13]
	s_mov_b64 s[4:5], 0
	s_cbranch_vccnz .LBB1206_116
; %bb.113:
	v_mul_lo_u32 v16, v3, s30
	v_mul_lo_u32 v17, v2, s31
	v_mad_u64_u32 v[14:15], s[4:5], v2, s30, 0
	v_add3_u32 v15, v15, v17, v16
	v_mul_lo_u32 v18, v5, s30
	v_mul_lo_u32 v19, v4, s31
	v_mad_u64_u32 v[16:17], s[4:5], v4, s30, 0
	v_add3_u32 v17, v17, v19, v18
	s_add_u32 s38, s30, -1
	v_lshl_add_u64 v[14:15], v[14:15], 1, s[20:21]
	v_lshl_add_u64 v[16:17], v[16:17], 1, s[20:21]
	s_addc_u32 s39, s31, -1
	s_mov_b64 s[6:7], 0
                                        ; implicit-def: $sgpr36_sgpr37
.LBB1206_114:                           ; =>This Inner Loop Header: Depth=1
	global_load_ushort v18, v[16:17], off
	global_load_ushort v19, v[14:15], off
	s_add_u32 s4, s38, -1
	s_addc_u32 s5, s39, -1
	s_cmp_eq_u64 s[38:39], 0
	s_mov_b64 s[38:39], s[4:5]
	s_cselect_b64 s[40:41], -1, 0
	v_lshl_add_u64 v[14:15], v[14:15], 0, 2
	v_lshl_add_u64 v[16:17], v[16:17], 0, 2
	s_waitcnt vmcnt(1)
	v_lshlrev_b32_e32 v18, 16, v18
	s_waitcnt vmcnt(0)
	v_lshlrev_b32_e32 v19, 16, v19
	v_cmp_neq_f32_e64 s[4:5], v19, v18
	s_or_b64 s[4:5], s[4:5], s[40:41]
	s_and_b64 s[4:5], exec, s[4:5]
	v_cmp_eq_f32_e32 vcc, v19, v18
	s_or_b64 s[6:7], s[4:5], s[6:7]
	s_andn2_b64 s[4:5], s[36:37], exec
	s_and_b64 s[36:37], vcc, exec
	s_or_b64 s[36:37], s[4:5], s[36:37]
	s_andn2_b64 exec, exec, s[6:7]
	s_cbranch_execnz .LBB1206_114
; %bb.115:
	s_or_b64 exec, exec, s[6:7]
	s_xor_b64 s[4:5], s[36:37], -1
.LBB1206_116:
	s_and_b64 s[6:7], s[4:5], exec
.LBB1206_117:
	s_or_b64 exec, exec, s[18:19]
	v_add_u32_e32 v14, 2, v22
	v_cmp_gt_u32_e32 vcc, s3, v14
	s_mov_b64 s[18:19], 0
	s_mov_b64 s[36:37], 0
	s_and_saveexec_b64 s[38:39], vcc
	s_cbranch_execz .LBB1206_123
; %bb.118:
	s_andn2_b64 vcc, exec, s[12:13]
	s_mov_b64 s[4:5], 0
	s_cbranch_vccnz .LBB1206_122
; %bb.119:
	v_mul_lo_u32 v16, v9, s30
	v_mul_lo_u32 v17, v8, s31
	v_mad_u64_u32 v[14:15], s[4:5], v8, s30, 0
	v_add3_u32 v15, v15, v17, v16
	v_mul_lo_u32 v18, v3, s30
	v_mul_lo_u32 v19, v2, s31
	v_mad_u64_u32 v[16:17], s[4:5], v2, s30, 0
	v_add3_u32 v17, v17, v19, v18
	s_add_u32 s42, s30, -1
	v_lshl_add_u64 v[14:15], v[14:15], 1, s[20:21]
	v_lshl_add_u64 v[16:17], v[16:17], 1, s[20:21]
	s_addc_u32 s43, s31, -1
                                        ; implicit-def: $sgpr40_sgpr41
.LBB1206_120:                           ; =>This Inner Loop Header: Depth=1
	global_load_ushort v18, v[16:17], off
	global_load_ushort v19, v[14:15], off
	s_add_u32 s4, s42, -1
	s_addc_u32 s5, s43, -1
	s_cmp_eq_u64 s[42:43], 0
	s_mov_b64 s[42:43], s[4:5]
	s_cselect_b64 s[44:45], -1, 0
	v_lshl_add_u64 v[14:15], v[14:15], 0, 2
	v_lshl_add_u64 v[16:17], v[16:17], 0, 2
	s_waitcnt vmcnt(1)
	v_lshlrev_b32_e32 v18, 16, v18
	s_waitcnt vmcnt(0)
	v_lshlrev_b32_e32 v19, 16, v19
	v_cmp_neq_f32_e64 s[4:5], v19, v18
	s_or_b64 s[4:5], s[4:5], s[44:45]
	s_and_b64 s[4:5], exec, s[4:5]
	v_cmp_eq_f32_e32 vcc, v19, v18
	s_or_b64 s[36:37], s[4:5], s[36:37]
	s_andn2_b64 s[4:5], s[40:41], exec
	s_and_b64 s[40:41], vcc, exec
	s_or_b64 s[40:41], s[4:5], s[40:41]
	s_andn2_b64 exec, exec, s[36:37]
	s_cbranch_execnz .LBB1206_120
; %bb.121:
	s_or_b64 exec, exec, s[36:37]
	s_xor_b64 s[4:5], s[40:41], -1
.LBB1206_122:
	s_and_b64 s[36:37], s[4:5], exec
.LBB1206_123:
	s_or_b64 exec, exec, s[38:39]
	v_add_u32_e32 v14, 1, v22
	v_cmp_gt_u32_e32 vcc, s3, v14
	s_and_saveexec_b64 s[38:39], vcc
	s_cbranch_execz .LBB1206_129
; %bb.124:
	s_andn2_b64 vcc, exec, s[12:13]
	s_mov_b64 s[4:5], 0
	s_cbranch_vccnz .LBB1206_128
; %bb.125:
	v_mul_lo_u32 v16, v7, s30
	v_mul_lo_u32 v17, v6, s31
	v_mad_u64_u32 v[14:15], s[4:5], v6, s30, 0
	v_add3_u32 v15, v15, v17, v16
	v_mul_lo_u32 v18, v9, s30
	v_mul_lo_u32 v19, v8, s31
	v_mad_u64_u32 v[16:17], s[4:5], v8, s30, 0
	v_add3_u32 v17, v17, v19, v18
	s_add_u32 s42, s30, -1
	v_lshl_add_u64 v[14:15], v[14:15], 1, s[20:21]
	v_lshl_add_u64 v[16:17], v[16:17], 1, s[20:21]
	s_addc_u32 s43, s31, -1
	s_mov_b64 s[18:19], 0
                                        ; implicit-def: $sgpr40_sgpr41
.LBB1206_126:                           ; =>This Inner Loop Header: Depth=1
	global_load_ushort v18, v[16:17], off
	global_load_ushort v19, v[14:15], off
	s_add_u32 s4, s42, -1
	s_addc_u32 s5, s43, -1
	s_cmp_eq_u64 s[42:43], 0
	s_mov_b64 s[42:43], s[4:5]
	s_cselect_b64 s[44:45], -1, 0
	v_lshl_add_u64 v[14:15], v[14:15], 0, 2
	v_lshl_add_u64 v[16:17], v[16:17], 0, 2
	s_waitcnt vmcnt(1)
	v_lshlrev_b32_e32 v18, 16, v18
	s_waitcnt vmcnt(0)
	v_lshlrev_b32_e32 v19, 16, v19
	v_cmp_neq_f32_e64 s[4:5], v19, v18
	s_or_b64 s[4:5], s[4:5], s[44:45]
	s_and_b64 s[4:5], exec, s[4:5]
	v_cmp_eq_f32_e32 vcc, v19, v18
	s_or_b64 s[18:19], s[4:5], s[18:19]
	s_andn2_b64 s[4:5], s[40:41], exec
	s_and_b64 s[40:41], vcc, exec
	s_or_b64 s[40:41], s[4:5], s[40:41]
	s_andn2_b64 exec, exec, s[18:19]
	s_cbranch_execnz .LBB1206_126
; %bb.127:
	s_or_b64 exec, exec, s[18:19]
	s_xor_b64 s[4:5], s[40:41], -1
.LBB1206_128:
	s_and_b64 s[18:19], s[4:5], exec
.LBB1206_129:
	s_or_b64 exec, exec, s[38:39]
	v_cndmask_b32_e64 v32, 0, 1, s[14:15]
	v_cndmask_b32_e64 v33, 0, 1, s[36:37]
	;; [unrolled: 1-line block ×4, first 2 shown]
	v_mov_b32_e32 v16, 1
	v_cmp_ne_u32_e32 vcc, 0, v0
	s_waitcnt lgkmcnt(0)
	s_barrier
                                        ; implicit-def: $sgpr6_sgpr7
                                        ; implicit-def: $vgpr15
	s_and_saveexec_b64 s[14:15], vcc
	s_cbranch_execz .LBB1206_137
; %bb.130:
	v_lshlrev_b16_e32 v15, 8, v34
	v_lshlrev_b16_e32 v17, 8, v14
	v_or_b32_e32 v15, 1, v15
	v_or_b32_sdwa v17, v33, v17 dst_sel:WORD_1 dst_unused:UNUSED_PAD src0_sel:DWORD src1_sel:DWORD
	v_cmp_gt_u32_e32 vcc, s3, v22
	v_or_b32_sdwa v15, v15, v17 dst_sel:DWORD dst_unused:UNUSED_PAD src0_sel:WORD_0 src1_sel:DWORD
	s_mov_b32 s33, 0x3020104
	s_mov_b64 s[6:7], 0
	s_and_saveexec_b64 s[18:19], vcc
	s_cbranch_execz .LBB1206_136
; %bb.131:
	s_andn2_b64 vcc, exec, s[12:13]
	s_mov_b64 s[4:5], 0
	s_cbranch_vccnz .LBB1206_135
; %bb.132:
	v_add_u32_e32 v17, -8, v23
	ds_read_b64 v[18:19], v17
	v_mul_lo_u32 v17, v7, s30
	v_mul_lo_u32 v23, v6, s31
                                        ; implicit-def: $sgpr12_sgpr13
	s_waitcnt lgkmcnt(0)
	v_mul_lo_u32 v20, v19, s30
	v_mul_lo_u32 v21, v18, s31
	v_mad_u64_u32 v[18:19], s[4:5], v18, s30, 0
	v_add3_u32 v19, v19, v21, v20
	v_mad_u64_u32 v[20:21], s[4:5], v6, s30, 0
	v_add3_u32 v21, v21, v23, v17
	v_lshl_add_u64 v[18:19], v[18:19], 1, s[20:21]
	v_lshl_add_u64 v[20:21], v[20:21], 1, s[20:21]
	s_add_u32 s20, s30, -1
	s_addc_u32 s21, s31, -1
.LBB1206_133:                           ; =>This Inner Loop Header: Depth=1
	global_load_ushort v17, v[20:21], off
	global_load_ushort v23, v[18:19], off
	s_add_u32 s4, s20, -1
	s_addc_u32 s5, s21, -1
	s_cmp_eq_u64 s[20:21], 0
	s_mov_b64 s[20:21], s[4:5]
	s_cselect_b64 s[30:31], -1, 0
	v_lshl_add_u64 v[18:19], v[18:19], 0, 2
	v_lshl_add_u64 v[20:21], v[20:21], 0, 2
	s_waitcnt vmcnt(1)
	v_lshlrev_b32_e32 v17, 16, v17
	s_waitcnt vmcnt(0)
	v_lshlrev_b32_e32 v23, 16, v23
	v_cmp_neq_f32_e64 s[4:5], v23, v17
	s_or_b64 s[4:5], s[4:5], s[30:31]
	s_and_b64 s[4:5], exec, s[4:5]
	v_cmp_eq_f32_e32 vcc, v23, v17
	s_or_b64 s[6:7], s[4:5], s[6:7]
	s_andn2_b64 s[4:5], s[12:13], exec
	s_and_b64 s[12:13], vcc, exec
	s_or_b64 s[12:13], s[4:5], s[12:13]
	s_andn2_b64 exec, exec, s[6:7]
	s_cbranch_execnz .LBB1206_133
; %bb.134:
	s_or_b64 exec, exec, s[6:7]
	s_xor_b64 s[4:5], s[12:13], -1
.LBB1206_135:
	s_and_b64 s[6:7], s[4:5], exec
.LBB1206_136:
	s_or_b64 exec, exec, s[18:19]
	v_perm_b32 v15, v15, v15, s33
	s_or_b64 s[10:11], s[10:11], exec
.LBB1206_137:
	s_or_b64 exec, exec, s[14:15]
.LBB1206_138:
	s_and_saveexec_b64 s[4:5], s[10:11]
; %bb.139:
	v_lshrrev_b32_e32 v14, 24, v15
	v_lshrrev_b32_e32 v33, 16, v15
	;; [unrolled: 1-line block ×3, first 2 shown]
	v_cndmask_b32_e64 v16, 0, 1, s[6:7]
; %bb.140:
	s_or_b64 exec, exec, s[4:5]
	s_andn2_b64 vcc, exec, s[8:9]
	s_cbranch_vccnz .LBB1206_144
; %bb.141:
	s_mov_b32 s4, 0xc0c0004
	v_perm_b32 v14, v33, v14, s4
	v_perm_b32 v15, v16, v34, s4
	v_lshlrev_b32_e32 v14, 16, v14
	v_or_b32_e32 v15, v15, v14
	v_cmp_gt_u32_e32 vcc, s3, v22
	v_add_u32_e32 v16, 1, v22
	s_mov_b32 s4, 0x40c0100
	v_cndmask_b32_e32 v14, v14, v15, vcc
	v_and_b32_e32 v14, 0xffff00ff, v14
	v_cmp_gt_u32_e32 vcc, s3, v16
	v_add_u32_e32 v16, 2, v22
	v_and_b32_e32 v32, 0xff, v32
	v_cndmask_b32_e32 v14, v14, v15, vcc
	v_lshrrev_b32_e32 v18, 24, v14
	v_perm_b32 v14, v18, v14, s4
	v_cmp_gt_u32_e32 vcc, s3, v16
	v_add_u32_e32 v16, 3, v22
	v_and_b32_e32 v17, 0xffff, v32
	v_cndmask_b32_e32 v14, v14, v15, vcc
	v_and_b32_e32 v14, 0xffffff, v14
	v_cmp_gt_u32_e32 vcc, s3, v16
	s_nop 1
	v_cndmask_b32_e32 v16, v14, v15, vcc
	v_lshrrev_b64 v[14:15], 24, v[16:17]
	v_add_u32_e32 v15, 4, v22
	v_lshrrev_b32_e32 v33, 16, v16
	v_lshrrev_b32_e32 v34, 8, v16
	v_cmp_le_u32_e32 vcc, s3, v15
	s_and_saveexec_b64 s[4:5], vcc
; %bb.142:
	v_mov_b32_e32 v32, 0
; %bb.143:
	s_or_b64 exec, exec, s[4:5]
.LBB1206_144:
	v_and_b32_e32 v15, 0xff, v16
	v_and_b32_e32 v17, 0xff, v34
	;; [unrolled: 1-line block ×5, first 2 shown]
	v_add3_u32 v19, v17, v15, v29
	v_add3_u32 v37, v19, v31, v18
	v_mbcnt_lo_u32_b32 v18, -1, 0
	v_mbcnt_hi_u32_b32 v35, -1, v18
	v_and_b32_e32 v18, 15, v35
	v_cmp_eq_u32_e64 s[14:15], 0, v18
	v_cmp_lt_u32_e64 s[12:13], 1, v18
	v_cmp_lt_u32_e64 s[10:11], 3, v18
	;; [unrolled: 1-line block ×3, first 2 shown]
	v_and_b32_e32 v18, 16, v35
	v_cmp_eq_u32_e64 s[6:7], 0, v18
	v_or_b32_e32 v18, 63, v0
	v_cmp_lt_u32_e64 s[18:19], 31, v35
	v_lshrrev_b32_e32 v36, 6, v0
	v_cmp_eq_u32_e64 s[4:5], v0, v18
	s_and_b64 vcc, exec, s[16:17]
	s_waitcnt lgkmcnt(0)
	s_barrier
	s_cbranch_vccz .LBB1206_166
; %bb.145:
	v_mov_b32_dpp v18, v37 row_shr:1 row_mask:0xf bank_mask:0xf
	v_cndmask_b32_e64 v18, v18, 0, s[14:15]
	v_add_u32_e32 v18, v18, v37
	s_nop 1
	v_mov_b32_dpp v19, v18 row_shr:2 row_mask:0xf bank_mask:0xf
	v_cndmask_b32_e64 v19, 0, v19, s[12:13]
	v_add_u32_e32 v18, v18, v19
	s_nop 1
	v_mov_b32_dpp v19, v18 row_shr:4 row_mask:0xf bank_mask:0xf
	v_cndmask_b32_e64 v19, 0, v19, s[10:11]
	v_add_u32_e32 v18, v18, v19
	s_nop 1
	v_mov_b32_dpp v19, v18 row_shr:8 row_mask:0xf bank_mask:0xf
	v_cndmask_b32_e64 v19, 0, v19, s[8:9]
	v_add_u32_e32 v18, v18, v19
	s_nop 1
	v_mov_b32_dpp v19, v18 row_bcast:15 row_mask:0xf bank_mask:0xf
	v_cndmask_b32_e64 v19, v19, 0, s[6:7]
	v_add_u32_e32 v18, v18, v19
	s_nop 1
	v_mov_b32_dpp v19, v18 row_bcast:31 row_mask:0xf bank_mask:0xf
	v_cndmask_b32_e64 v19, 0, v19, s[18:19]
	v_add_u32_e32 v18, v18, v19
	s_and_saveexec_b64 s[16:17], s[4:5]
; %bb.146:
	v_lshlrev_b32_e32 v19, 2, v36
	ds_write_b32 v19, v18
; %bb.147:
	s_or_b64 exec, exec, s[16:17]
	v_cmp_gt_u32_e32 vcc, 2, v0
	s_waitcnt lgkmcnt(0)
	s_barrier
	s_and_saveexec_b64 s[16:17], vcc
	s_cbranch_execz .LBB1206_149
; %bb.148:
	v_lshlrev_b32_e32 v19, 2, v0
	ds_read_b32 v20, v19
	v_bfe_i32 v21, v35, 0, 1
	s_waitcnt lgkmcnt(0)
	v_mov_b32_dpp v22, v20 row_shr:1 row_mask:0xf bank_mask:0xf
	v_and_b32_e32 v21, v21, v22
	v_add_u32_e32 v20, v21, v20
	ds_write_b32 v19, v20
.LBB1206_149:
	s_or_b64 exec, exec, s[16:17]
	v_cmp_gt_u32_e32 vcc, 64, v0
	v_cmp_lt_u32_e64 s[16:17], 63, v0
	s_waitcnt lgkmcnt(0)
	s_barrier
                                        ; implicit-def: $vgpr28
	s_and_saveexec_b64 s[20:21], s[16:17]
	s_cbranch_execz .LBB1206_151
; %bb.150:
	v_lshl_add_u32 v19, v36, 2, -4
	ds_read_b32 v28, v19
	s_waitcnt lgkmcnt(0)
	v_add_u32_e32 v18, v28, v18
.LBB1206_151:
	s_or_b64 exec, exec, s[20:21]
	v_subrev_co_u32_e64 v19, s[16:17], 1, v35
	v_and_b32_e32 v20, 64, v35
	v_cmp_lt_i32_e64 s[20:21], v19, v20
	s_nop 1
	v_cndmask_b32_e64 v19, v19, v35, s[20:21]
	v_lshlrev_b32_e32 v19, 2, v19
	ds_bpermute_b32 v30, v19, v18
	s_and_saveexec_b64 s[20:21], vcc
	s_cbranch_execz .LBB1206_171
; %bb.152:
	v_mov_b32_e32 v25, 0
	ds_read_b32 v18, v25 offset:4
	s_and_saveexec_b64 s[30:31], s[16:17]
	s_cbranch_execz .LBB1206_154
; %bb.153:
	s_add_i32 s36, s2, 64
	s_mov_b32 s37, 0
	s_lshl_b64 s[36:37], s[36:37], 3
	s_add_u32 s36, s22, s36
	v_mov_b32_e32 v19, 1
	s_addc_u32 s37, s23, s37
	s_waitcnt lgkmcnt(0)
	global_store_dwordx2 v25, v[18:19], s[36:37] sc1
.LBB1206_154:
	s_or_b64 exec, exec, s[30:31]
	v_xad_u32 v20, v35, -1, s2
	v_add_u32_e32 v24, 64, v20
	v_lshl_add_u64 v[26:27], v[24:25], 3, s[22:23]
	global_load_dwordx2 v[22:23], v[26:27], off sc1
	s_waitcnt vmcnt(0)
	v_cmp_eq_u16_sdwa s[36:37], v23, v25 src0_sel:BYTE_0 src1_sel:DWORD
	s_and_saveexec_b64 s[30:31], s[36:37]
	s_cbranch_execz .LBB1206_158
; %bb.155:
	s_mov_b64 s[36:37], 0
	v_mov_b32_e32 v19, 0
.LBB1206_156:                           ; =>This Inner Loop Header: Depth=1
	global_load_dwordx2 v[22:23], v[26:27], off sc1
	s_waitcnt vmcnt(0)
	v_cmp_ne_u16_sdwa s[38:39], v23, v19 src0_sel:BYTE_0 src1_sel:DWORD
	s_or_b64 s[36:37], s[38:39], s[36:37]
	s_andn2_b64 exec, exec, s[36:37]
	s_cbranch_execnz .LBB1206_156
; %bb.157:
	s_or_b64 exec, exec, s[36:37]
.LBB1206_158:
	s_or_b64 exec, exec, s[30:31]
	v_and_b32_e32 v39, 63, v35
	v_mov_b32_e32 v38, 2
	v_cmp_ne_u32_e32 vcc, 63, v39
	v_cmp_eq_u16_sdwa s[30:31], v23, v38 src0_sel:BYTE_0 src1_sel:DWORD
	v_lshlrev_b64 v[24:25], v35, -1
	v_addc_co_u32_e32 v26, vcc, 0, v35, vcc
	v_and_b32_e32 v19, s31, v25
	v_lshlrev_b32_e32 v40, 2, v26
	v_or_b32_e32 v19, 0x80000000, v19
	ds_bpermute_b32 v26, v40, v22
	v_and_b32_e32 v21, s30, v24
	v_ffbl_b32_e32 v19, v19
	v_add_u32_e32 v19, 32, v19
	v_ffbl_b32_e32 v21, v21
	v_min_u32_e32 v19, v21, v19
	v_cmp_lt_u32_e32 vcc, v39, v19
	v_add_u32_e32 v42, 2, v39
	v_add_u32_e32 v44, 4, v39
	s_waitcnt lgkmcnt(0)
	v_cndmask_b32_e32 v21, 0, v26, vcc
	v_cmp_gt_u32_e32 vcc, 62, v39
	v_add_u32_e32 v21, v21, v22
	v_add_u32_e32 v46, 8, v39
	v_cndmask_b32_e64 v22, 0, 2, vcc
	v_add_lshl_u32 v41, v22, v35, 2
	ds_bpermute_b32 v22, v41, v21
	v_cmp_le_u32_e32 vcc, v42, v19
	v_add_u32_e32 v48, 16, v39
	v_add_u32_e32 v50, 32, v39
	s_waitcnt lgkmcnt(0)
	v_cndmask_b32_e32 v22, 0, v22, vcc
	v_cmp_gt_u32_e32 vcc, 60, v39
	v_add_u32_e32 v21, v21, v22
	s_nop 0
	v_cndmask_b32_e64 v22, 0, 4, vcc
	v_add_lshl_u32 v43, v22, v35, 2
	ds_bpermute_b32 v22, v43, v21
	v_cmp_le_u32_e32 vcc, v44, v19
	s_waitcnt lgkmcnt(0)
	s_nop 0
	v_cndmask_b32_e32 v22, 0, v22, vcc
	v_cmp_gt_u32_e32 vcc, 56, v39
	v_add_u32_e32 v21, v21, v22
	s_nop 0
	v_cndmask_b32_e64 v22, 0, 8, vcc
	v_add_lshl_u32 v45, v22, v35, 2
	ds_bpermute_b32 v22, v45, v21
	v_cmp_le_u32_e32 vcc, v46, v19
	s_waitcnt lgkmcnt(0)
	s_nop 0
	;; [unrolled: 10-line block ×3, first 2 shown]
	v_cndmask_b32_e32 v22, 0, v22, vcc
	v_add_u32_e32 v21, v21, v22
	v_mov_b32_e32 v22, 0x80
	v_lshl_or_b32 v49, v35, 2, v22
	ds_bpermute_b32 v22, v49, v21
	v_cmp_le_u32_e32 vcc, v50, v19
	s_waitcnt lgkmcnt(0)
	s_nop 0
	v_cndmask_b32_e32 v19, 0, v22, vcc
	v_add_u32_e32 v22, v21, v19
	v_mov_b32_e32 v21, 0
	s_branch .LBB1206_161
.LBB1206_159:                           ;   in Loop: Header=BB1206_161 Depth=1
	s_or_b64 exec, exec, s[30:31]
	v_cmp_eq_u16_sdwa s[30:31], v23, v38 src0_sel:BYTE_0 src1_sel:DWORD
	ds_bpermute_b32 v51, v40, v22
	v_subrev_u32_e32 v20, 64, v20
	v_and_b32_e32 v26, s31, v25
	v_or_b32_e32 v26, 0x80000000, v26
	v_and_b32_e32 v27, s30, v24
	v_ffbl_b32_e32 v26, v26
	v_add_u32_e32 v26, 32, v26
	v_ffbl_b32_e32 v27, v27
	v_min_u32_e32 v26, v27, v26
	v_cmp_lt_u32_e32 vcc, v39, v26
	s_mov_b64 s[30:31], 0
	s_waitcnt lgkmcnt(0)
	v_cndmask_b32_e32 v27, 0, v51, vcc
	v_add_u32_e32 v22, v27, v22
	ds_bpermute_b32 v27, v41, v22
	v_cmp_le_u32_e32 vcc, v42, v26
	s_waitcnt lgkmcnt(0)
	s_nop 0
	v_cndmask_b32_e32 v27, 0, v27, vcc
	v_add_u32_e32 v22, v22, v27
	ds_bpermute_b32 v27, v43, v22
	v_cmp_le_u32_e32 vcc, v44, v26
	s_waitcnt lgkmcnt(0)
	s_nop 0
	;; [unrolled: 6-line block ×5, first 2 shown]
	v_cndmask_b32_e32 v26, 0, v27, vcc
	v_add3_u32 v22, v26, v19, v22
.LBB1206_160:                           ;   in Loop: Header=BB1206_161 Depth=1
	s_and_b64 vcc, exec, s[30:31]
	s_cbranch_vccnz .LBB1206_167
.LBB1206_161:                           ; =>This Loop Header: Depth=1
                                        ;     Child Loop BB1206_164 Depth 2
	v_cmp_ne_u16_sdwa s[30:31], v23, v38 src0_sel:BYTE_0 src1_sel:DWORD
	v_mov_b32_e32 v19, v22
	s_cmp_lg_u64 s[30:31], exec
	s_mov_b64 s[30:31], -1
                                        ; implicit-def: $vgpr22
                                        ; implicit-def: $vgpr23
	s_cbranch_scc1 .LBB1206_160
; %bb.162:                              ;   in Loop: Header=BB1206_161 Depth=1
	v_lshl_add_u64 v[26:27], v[20:21], 3, s[22:23]
	global_load_dwordx2 v[22:23], v[26:27], off sc1
	s_waitcnt vmcnt(0)
	v_cmp_eq_u16_sdwa s[36:37], v23, v21 src0_sel:BYTE_0 src1_sel:DWORD
	s_and_saveexec_b64 s[30:31], s[36:37]
	s_cbranch_execz .LBB1206_159
; %bb.163:                              ;   in Loop: Header=BB1206_161 Depth=1
	s_mov_b64 s[36:37], 0
.LBB1206_164:                           ;   Parent Loop BB1206_161 Depth=1
                                        ; =>  This Inner Loop Header: Depth=2
	global_load_dwordx2 v[22:23], v[26:27], off sc1
	s_waitcnt vmcnt(0)
	v_cmp_ne_u16_sdwa s[38:39], v23, v21 src0_sel:BYTE_0 src1_sel:DWORD
	s_or_b64 s[36:37], s[38:39], s[36:37]
	s_andn2_b64 exec, exec, s[36:37]
	s_cbranch_execnz .LBB1206_164
; %bb.165:                              ;   in Loop: Header=BB1206_161 Depth=1
	s_or_b64 exec, exec, s[36:37]
	s_branch .LBB1206_159
.LBB1206_166:
                                        ; implicit-def: $vgpr22
                                        ; implicit-def: $vgpr24
                                        ; implicit-def: $vgpr26
                                        ; implicit-def: $vgpr28
                                        ; implicit-def: $vgpr30
                                        ; implicit-def: $vgpr20
                                        ; implicit-def: $vgpr18
	s_cbranch_execnz .LBB1206_172
	s_branch .LBB1206_181
.LBB1206_167:
	s_and_saveexec_b64 s[30:31], s[16:17]
	s_cbranch_execz .LBB1206_169
; %bb.168:
	s_add_i32 s2, s2, 64
	s_mov_b32 s3, 0
	s_lshl_b64 s[2:3], s[2:3], 3
	s_add_u32 s2, s22, s2
	v_add_u32_e32 v20, v19, v18
	v_mov_b32_e32 v21, 2
	s_addc_u32 s3, s23, s3
	v_mov_b32_e32 v22, 0
	global_store_dwordx2 v22, v[20:21], s[2:3] sc1
	ds_write_b64 v22, v[18:19] offset:5120
.LBB1206_169:
	s_or_b64 exec, exec, s[30:31]
	v_cmp_eq_u32_e32 vcc, 0, v0
	s_and_b64 exec, exec, vcc
; %bb.170:
	v_mov_b32_e32 v18, 0
	ds_write_b32 v18, v19 offset:4
.LBB1206_171:
	s_or_b64 exec, exec, s[20:21]
	v_mov_b32_e32 v18, 0
	s_waitcnt lgkmcnt(0)
	s_barrier
	ds_read_b32 v19, v18 offset:4
	v_cndmask_b32_e64 v20, v30, v28, s[16:17]
	v_cmp_ne_u32_e32 vcc, 0, v0
	s_waitcnt lgkmcnt(0)
	s_barrier
	v_cndmask_b32_e32 v20, 0, v20, vcc
	v_add_u32_e32 v30, v19, v20
	ds_read_b64 v[18:19], v18 offset:5120
	v_add_u32_e32 v28, v30, v15
	v_add_u32_e32 v26, v28, v17
	;; [unrolled: 1-line block ×4, first 2 shown]
	s_waitcnt lgkmcnt(0)
	v_mov_b32_e32 v20, v19
	s_branch .LBB1206_181
.LBB1206_172:
	v_mov_b32_dpp v18, v37 row_shr:1 row_mask:0xf bank_mask:0xf
	v_cndmask_b32_e64 v18, v18, 0, s[14:15]
	v_add_u32_e32 v18, v18, v37
	s_nop 1
	v_mov_b32_dpp v19, v18 row_shr:2 row_mask:0xf bank_mask:0xf
	v_cndmask_b32_e64 v19, 0, v19, s[12:13]
	v_add_u32_e32 v18, v18, v19
	s_nop 1
	v_mov_b32_dpp v19, v18 row_shr:4 row_mask:0xf bank_mask:0xf
	v_cndmask_b32_e64 v19, 0, v19, s[10:11]
	v_add_u32_e32 v18, v18, v19
	s_nop 1
	v_mov_b32_dpp v19, v18 row_shr:8 row_mask:0xf bank_mask:0xf
	v_cndmask_b32_e64 v19, 0, v19, s[8:9]
	v_add_u32_e32 v18, v18, v19
	s_nop 1
	v_mov_b32_dpp v19, v18 row_bcast:15 row_mask:0xf bank_mask:0xf
	v_cndmask_b32_e64 v19, v19, 0, s[6:7]
	v_add_u32_e32 v18, v18, v19
	s_nop 1
	v_mov_b32_dpp v19, v18 row_bcast:31 row_mask:0xf bank_mask:0xf
	v_cndmask_b32_e64 v19, 0, v19, s[18:19]
	v_add_u32_e32 v18, v18, v19
	s_and_saveexec_b64 s[2:3], s[4:5]
; %bb.173:
	v_lshlrev_b32_e32 v19, 2, v36
	ds_write_b32 v19, v18
; %bb.174:
	s_or_b64 exec, exec, s[2:3]
	v_cmp_gt_u32_e32 vcc, 2, v0
	s_waitcnt lgkmcnt(0)
	s_barrier
	s_and_saveexec_b64 s[2:3], vcc
	s_cbranch_execz .LBB1206_176
; %bb.175:
	v_lshlrev_b32_e32 v19, 2, v0
	ds_read_b32 v20, v19
	v_bfe_i32 v21, v35, 0, 1
	s_waitcnt lgkmcnt(0)
	v_mov_b32_dpp v22, v20 row_shr:1 row_mask:0xf bank_mask:0xf
	v_and_b32_e32 v21, v21, v22
	v_add_u32_e32 v20, v21, v20
	ds_write_b32 v19, v20
.LBB1206_176:
	s_or_b64 exec, exec, s[2:3]
	v_cmp_lt_u32_e32 vcc, 63, v0
	v_mov_b32_e32 v19, 0
	v_mov_b32_e32 v20, 0
	s_waitcnt lgkmcnt(0)
	s_barrier
	s_and_saveexec_b64 s[2:3], vcc
; %bb.177:
	v_lshl_add_u32 v20, v36, 2, -4
	ds_read_b32 v20, v20
; %bb.178:
	s_or_b64 exec, exec, s[2:3]
	v_subrev_co_u32_e32 v21, vcc, 1, v35
	v_and_b32_e32 v22, 64, v35
	v_cmp_lt_i32_e64 s[2:3], v21, v22
	s_waitcnt lgkmcnt(0)
	v_add_u32_e32 v18, v20, v18
	v_cndmask_b32_e64 v21, v21, v35, s[2:3]
	v_lshlrev_b32_e32 v21, 2, v21
	ds_bpermute_b32 v21, v21, v18
	ds_read_b32 v18, v19 offset:4
	v_cmp_eq_u32_e64 s[2:3], 0, v0
	s_and_saveexec_b64 s[4:5], s[2:3]
	s_cbranch_execz .LBB1206_180
; %bb.179:
	v_mov_b32_e32 v22, 0
	v_mov_b32_e32 v19, 2
	s_waitcnt lgkmcnt(0)
	global_store_dwordx2 v22, v[18:19], s[22:23] offset:512 sc1
.LBB1206_180:
	s_or_b64 exec, exec, s[4:5]
	s_waitcnt lgkmcnt(1)
	v_cndmask_b32_e32 v19, v21, v20, vcc
	v_cndmask_b32_e64 v30, v19, 0, s[2:3]
	v_add_u32_e32 v28, v30, v15
	v_add_u32_e32 v26, v28, v17
	;; [unrolled: 1-line block ×4, first 2 shown]
	s_waitcnt lgkmcnt(0)
	s_barrier
	v_mov_b32_e32 v20, 0
.LBB1206_181:
	s_load_dwordx4 s[8:11], s[0:1], 0x28
	s_movk_i32 s0, 0x81
	v_cmp_gt_u32_e64 s[0:1], s0, v18
	v_add_u32_e32 v17, v20, v18
	v_and_b32_e32 v15, 1, v16
	s_mov_b64 s[6:7], -1
	s_and_b64 vcc, exec, s[0:1]
	v_cmp_lt_u32_e64 s[2:3], v30, v17
	v_cmp_eq_u32_e64 s[4:5], 1, v15
	s_cbranch_vccz .LBB1206_193
; %bb.182:
	s_or_b64 s[2:3], s[34:35], s[2:3]
	s_and_b64 s[4:5], s[2:3], s[4:5]
	s_and_saveexec_b64 s[2:3], s[4:5]
	s_cbranch_execz .LBB1206_184
; %bb.183:
	s_lshl_b64 s[4:5], s[26:27], 3
	s_waitcnt lgkmcnt(0)
	s_add_u32 s4, s8, s4
	s_addc_u32 s5, s9, s5
	v_mov_b32_e32 v31, 0
	v_lshl_add_u64 v[36:37], v[30:31], 3, s[4:5]
	global_store_dwordx2 v[36:37], v[6:7], off
.LBB1206_184:
	s_or_b64 exec, exec, s[2:3]
	v_cmp_lt_u32_e32 vcc, v28, v17
	v_and_b32_e32 v16, 1, v34
	s_or_b64 s[2:3], s[34:35], vcc
	v_cmp_eq_u32_e32 vcc, 1, v16
	s_and_b64 s[4:5], s[2:3], vcc
	s_and_saveexec_b64 s[2:3], s[4:5]
	s_cbranch_execz .LBB1206_186
; %bb.185:
	s_lshl_b64 s[4:5], s[26:27], 3
	s_waitcnt lgkmcnt(0)
	s_add_u32 s4, s8, s4
	s_addc_u32 s5, s9, s5
	v_mov_b32_e32 v29, 0
	v_lshl_add_u64 v[36:37], v[28:29], 3, s[4:5]
	global_store_dwordx2 v[36:37], v[8:9], off
.LBB1206_186:
	s_or_b64 exec, exec, s[2:3]
	v_cmp_lt_u32_e32 vcc, v26, v17
	v_and_b32_e32 v16, 1, v33
	s_or_b64 s[2:3], s[34:35], vcc
	v_cmp_eq_u32_e32 vcc, 1, v16
	s_and_b64 s[4:5], s[2:3], vcc
	;; [unrolled: 17-line block ×4, first 2 shown]
	s_and_saveexec_b64 s[2:3], s[4:5]
	s_cbranch_execz .LBB1206_192
; %bb.191:
	s_lshl_b64 s[4:5], s[26:27], 3
	s_waitcnt lgkmcnt(0)
	s_add_u32 s4, s8, s4
	s_addc_u32 s5, s9, s5
	v_mov_b32_e32 v23, 0
	v_lshl_add_u64 v[36:37], v[22:23], 3, s[4:5]
	global_store_dwordx2 v[36:37], v[12:13], off
.LBB1206_192:
	s_or_b64 exec, exec, s[2:3]
	s_mov_b64 s[6:7], 0
.LBB1206_193:
	s_and_b64 vcc, exec, s[6:7]
	s_cbranch_vccz .LBB1206_207
; %bb.194:
	v_cmp_eq_u32_e32 vcc, 1, v15
	s_and_saveexec_b64 s[2:3], vcc
; %bb.195:
	v_sub_u32_e32 v16, v30, v20
	v_lshlrev_b32_e32 v16, 3, v16
	ds_write_b64 v16, v[6:7]
; %bb.196:
	s_or_b64 exec, exec, s[2:3]
	v_and_b32_e32 v6, 1, v34
	v_cmp_eq_u32_e32 vcc, 1, v6
	s_and_saveexec_b64 s[2:3], vcc
; %bb.197:
	v_sub_u32_e32 v6, v28, v20
	v_lshlrev_b32_e32 v6, 3, v6
	ds_write_b64 v6, v[8:9]
; %bb.198:
	s_or_b64 exec, exec, s[2:3]
	v_and_b32_e32 v6, 1, v33
	;; [unrolled: 9-line block ×4, first 2 shown]
	v_cmp_eq_u32_e32 vcc, 1, v2
	s_and_saveexec_b64 s[2:3], vcc
; %bb.203:
	v_sub_u32_e32 v2, v22, v20
	v_lshlrev_b32_e32 v2, 3, v2
	ds_write_b64 v2, v[12:13]
; %bb.204:
	s_or_b64 exec, exec, s[2:3]
	v_mov_b32_e32 v3, 0
	v_mov_b32_e32 v21, v3
	v_lshlrev_b64 v[4:5], 3, v[20:21]
	s_waitcnt lgkmcnt(0)
	v_lshl_add_u64 v[4:5], s[8:9], 0, v[4:5]
	s_lshl_b64 s[2:3], s[26:27], 3
	v_lshl_add_u64 v[4:5], v[4:5], 0, s[2:3]
	v_lshlrev_b32_e32 v6, 3, v0
	s_mov_b64 s[2:3], 0
	v_mov_b32_e32 v2, v0
	s_barrier
.LBB1206_205:                           ; =>This Inner Loop Header: Depth=1
	ds_read_b64 v[8:9], v6
	v_lshl_add_u64 v[12:13], v[2:3], 3, v[4:5]
	v_add_u32_e32 v2, 0x80, v2
	v_cmp_ge_u32_e32 vcc, v2, v18
	v_add_u32_e32 v6, 0x400, v6
	s_or_b64 s[2:3], vcc, s[2:3]
	s_waitcnt lgkmcnt(0)
	global_store_dwordx2 v[12:13], v[8:9], off
	s_andn2_b64 exec, exec, s[2:3]
	s_cbranch_execnz .LBB1206_205
; %bb.206:
	s_or_b64 exec, exec, s[2:3]
.LBB1206_207:
	s_mov_b64 s[2:3], -1
	s_and_b64 vcc, exec, s[0:1]
	s_waitcnt lgkmcnt(0)
	s_barrier
	s_cbranch_vccnz .LBB1206_211
; %bb.208:
	s_and_b64 vcc, exec, s[2:3]
	s_cbranch_vccnz .LBB1206_222
.LBB1206_209:
	v_cmp_eq_u32_e32 vcc, 0, v0
	s_and_b64 s[0:1], vcc, s[28:29]
	s_and_saveexec_b64 s[2:3], s[0:1]
	s_cbranch_execnz .LBB1206_235
.LBB1206_210:
	s_endpgm
.LBB1206_211:
	v_cmp_lt_u32_e32 vcc, v30, v17
	s_or_b64 s[0:1], s[34:35], vcc
	v_cmp_eq_u32_e32 vcc, 1, v15
	s_and_b64 s[2:3], s[0:1], vcc
	s_and_saveexec_b64 s[0:1], s[2:3]
	s_cbranch_execz .LBB1206_213
; %bb.212:
	s_lshl_b64 s[2:3], s[26:27], 3
	s_add_u32 s2, s10, s2
	s_addc_u32 s3, s11, s3
	v_mov_b32_e32 v31, 0
	v_lshl_add_u64 v[2:3], v[30:31], 3, s[2:3]
	global_store_dwordx2 v[2:3], v[56:57], off
.LBB1206_213:
	s_or_b64 exec, exec, s[0:1]
	v_cmp_lt_u32_e32 vcc, v28, v17
	v_and_b32_e32 v2, 1, v34
	s_or_b64 s[0:1], s[34:35], vcc
	v_cmp_eq_u32_e32 vcc, 1, v2
	s_and_b64 s[2:3], s[0:1], vcc
	s_and_saveexec_b64 s[0:1], s[2:3]
	s_cbranch_execz .LBB1206_215
; %bb.214:
	s_lshl_b64 s[2:3], s[26:27], 3
	s_add_u32 s2, s10, s2
	s_addc_u32 s3, s11, s3
	v_mov_b32_e32 v29, 0
	v_lshl_add_u64 v[2:3], v[28:29], 3, s[2:3]
	global_store_dwordx2 v[2:3], v[58:59], off
.LBB1206_215:
	s_or_b64 exec, exec, s[0:1]
	v_cmp_lt_u32_e32 vcc, v26, v17
	v_and_b32_e32 v2, 1, v33
	;; [unrolled: 16-line block ×4, first 2 shown]
	s_or_b64 s[0:1], s[34:35], vcc
	v_cmp_eq_u32_e32 vcc, 1, v2
	s_and_b64 s[2:3], s[0:1], vcc
	s_and_saveexec_b64 s[0:1], s[2:3]
	s_cbranch_execz .LBB1206_221
; %bb.220:
	s_lshl_b64 s[2:3], s[26:27], 3
	s_add_u32 s2, s10, s2
	s_addc_u32 s3, s11, s3
	v_mov_b32_e32 v23, 0
	v_lshl_add_u64 v[2:3], v[22:23], 3, s[2:3]
	global_store_dwordx2 v[2:3], v[10:11], off
.LBB1206_221:
	s_or_b64 exec, exec, s[0:1]
	s_branch .LBB1206_209
.LBB1206_222:
	v_cmp_eq_u32_e32 vcc, 1, v15
	s_and_saveexec_b64 s[0:1], vcc
; %bb.223:
	v_sub_u32_e32 v2, v30, v20
	v_lshlrev_b32_e32 v2, 3, v2
	ds_write_b64 v2, v[56:57]
; %bb.224:
	s_or_b64 exec, exec, s[0:1]
	v_and_b32_e32 v2, 1, v34
	v_cmp_eq_u32_e32 vcc, 1, v2
	s_and_saveexec_b64 s[0:1], vcc
; %bb.225:
	v_sub_u32_e32 v2, v28, v20
	v_lshlrev_b32_e32 v2, 3, v2
	ds_write_b64 v2, v[58:59]
; %bb.226:
	s_or_b64 exec, exec, s[0:1]
	v_and_b32_e32 v2, 1, v33
	;; [unrolled: 9-line block ×4, first 2 shown]
	v_cmp_eq_u32_e32 vcc, 1, v2
	s_and_saveexec_b64 s[0:1], vcc
; %bb.231:
	v_sub_u32_e32 v2, v22, v20
	v_lshlrev_b32_e32 v2, 3, v2
	ds_write_b64 v2, v[10:11]
; %bb.232:
	s_or_b64 exec, exec, s[0:1]
	v_mov_b32_e32 v3, 0
	v_mov_b32_e32 v21, v3
	v_lshlrev_b64 v[4:5], 3, v[20:21]
	v_lshl_add_u64 v[4:5], s[10:11], 0, v[4:5]
	s_lshl_b64 s[0:1], s[26:27], 3
	v_lshl_add_u64 v[4:5], v[4:5], 0, s[0:1]
	s_mov_b64 s[0:1], 0
	v_mov_b32_e32 v2, v0
	s_waitcnt lgkmcnt(0)
	s_barrier
.LBB1206_233:                           ; =>This Inner Loop Header: Depth=1
	ds_read_b64 v[6:7], v1
	v_lshl_add_u64 v[8:9], v[2:3], 3, v[4:5]
	v_add_u32_e32 v2, 0x80, v2
	v_cmp_ge_u32_e32 vcc, v2, v18
	v_add_u32_e32 v1, 0x400, v1
	s_or_b64 s[0:1], vcc, s[0:1]
	s_waitcnt lgkmcnt(0)
	global_store_dwordx2 v[8:9], v[6:7], off
	s_andn2_b64 exec, exec, s[0:1]
	s_cbranch_execnz .LBB1206_233
; %bb.234:
	s_or_b64 exec, exec, s[0:1]
	v_cmp_eq_u32_e32 vcc, 0, v0
	s_and_b64 s[0:1], vcc, s[28:29]
	s_and_saveexec_b64 s[2:3], s[0:1]
	s_cbranch_execz .LBB1206_210
.LBB1206_235:
	v_mov_b32_e32 v19, 0
	v_lshl_add_u64 v[0:1], s[26:27], 0, v[18:19]
	v_mov_b32_e32 v21, v19
	v_lshl_add_u64 v[0:1], v[0:1], 0, v[20:21]
	global_store_dwordx2 v19, v[0:1], s[24:25]
	s_endpgm
	.section	.rodata,"a",@progbits
	.p2align	6, 0x0
	.amdhsa_kernel _ZN7rocprim17ROCPRIM_400000_NS6detail17trampoline_kernelINS0_14default_configENS1_25partition_config_selectorILNS1_17partition_subalgoE9EllbEEZZNS1_14partition_implILS5_9ELb0ES3_jPlS8_PNS0_10empty_typeENS0_5tupleIJS8_S9_EEENSB_IJS8_SA_EEENS0_18inequality_wrapperIZN2at6native12_GLOBAL__N_124unique_dim_cuda_templateIN3c108BFloat16EEESt5tupleIJNSF_6TensorESM_SM_EERKSM_lbbbEUlllE0_EEPmJS9_EEE10hipError_tPvRmT3_T4_T5_T6_T7_T9_mT8_P12ihipStream_tbDpT10_ENKUlT_T0_E_clISt17integral_constantIbLb0EES1C_EEDaS17_S18_EUlS17_E_NS1_11comp_targetILNS1_3genE0ELNS1_11target_archE4294967295ELNS1_3gpuE0ELNS1_3repE0EEENS1_30default_config_static_selectorELNS0_4arch9wavefront6targetE1EEEvT1_
		.amdhsa_group_segment_fixed_size 5128
		.amdhsa_private_segment_fixed_size 0
		.amdhsa_kernarg_size 120
		.amdhsa_user_sgpr_count 2
		.amdhsa_user_sgpr_dispatch_ptr 0
		.amdhsa_user_sgpr_queue_ptr 0
		.amdhsa_user_sgpr_kernarg_segment_ptr 1
		.amdhsa_user_sgpr_dispatch_id 0
		.amdhsa_user_sgpr_kernarg_preload_length 0
		.amdhsa_user_sgpr_kernarg_preload_offset 0
		.amdhsa_user_sgpr_private_segment_size 0
		.amdhsa_uses_dynamic_stack 0
		.amdhsa_enable_private_segment 0
		.amdhsa_system_sgpr_workgroup_id_x 1
		.amdhsa_system_sgpr_workgroup_id_y 0
		.amdhsa_system_sgpr_workgroup_id_z 0
		.amdhsa_system_sgpr_workgroup_info 0
		.amdhsa_system_vgpr_workitem_id 0
		.amdhsa_next_free_vgpr 60
		.amdhsa_next_free_sgpr 46
		.amdhsa_accum_offset 60
		.amdhsa_reserve_vcc 1
		.amdhsa_float_round_mode_32 0
		.amdhsa_float_round_mode_16_64 0
		.amdhsa_float_denorm_mode_32 3
		.amdhsa_float_denorm_mode_16_64 3
		.amdhsa_dx10_clamp 1
		.amdhsa_ieee_mode 1
		.amdhsa_fp16_overflow 0
		.amdhsa_tg_split 0
		.amdhsa_exception_fp_ieee_invalid_op 0
		.amdhsa_exception_fp_denorm_src 0
		.amdhsa_exception_fp_ieee_div_zero 0
		.amdhsa_exception_fp_ieee_overflow 0
		.amdhsa_exception_fp_ieee_underflow 0
		.amdhsa_exception_fp_ieee_inexact 0
		.amdhsa_exception_int_div_zero 0
	.end_amdhsa_kernel
	.section	.text._ZN7rocprim17ROCPRIM_400000_NS6detail17trampoline_kernelINS0_14default_configENS1_25partition_config_selectorILNS1_17partition_subalgoE9EllbEEZZNS1_14partition_implILS5_9ELb0ES3_jPlS8_PNS0_10empty_typeENS0_5tupleIJS8_S9_EEENSB_IJS8_SA_EEENS0_18inequality_wrapperIZN2at6native12_GLOBAL__N_124unique_dim_cuda_templateIN3c108BFloat16EEESt5tupleIJNSF_6TensorESM_SM_EERKSM_lbbbEUlllE0_EEPmJS9_EEE10hipError_tPvRmT3_T4_T5_T6_T7_T9_mT8_P12ihipStream_tbDpT10_ENKUlT_T0_E_clISt17integral_constantIbLb0EES1C_EEDaS17_S18_EUlS17_E_NS1_11comp_targetILNS1_3genE0ELNS1_11target_archE4294967295ELNS1_3gpuE0ELNS1_3repE0EEENS1_30default_config_static_selectorELNS0_4arch9wavefront6targetE1EEEvT1_,"axG",@progbits,_ZN7rocprim17ROCPRIM_400000_NS6detail17trampoline_kernelINS0_14default_configENS1_25partition_config_selectorILNS1_17partition_subalgoE9EllbEEZZNS1_14partition_implILS5_9ELb0ES3_jPlS8_PNS0_10empty_typeENS0_5tupleIJS8_S9_EEENSB_IJS8_SA_EEENS0_18inequality_wrapperIZN2at6native12_GLOBAL__N_124unique_dim_cuda_templateIN3c108BFloat16EEESt5tupleIJNSF_6TensorESM_SM_EERKSM_lbbbEUlllE0_EEPmJS9_EEE10hipError_tPvRmT3_T4_T5_T6_T7_T9_mT8_P12ihipStream_tbDpT10_ENKUlT_T0_E_clISt17integral_constantIbLb0EES1C_EEDaS17_S18_EUlS17_E_NS1_11comp_targetILNS1_3genE0ELNS1_11target_archE4294967295ELNS1_3gpuE0ELNS1_3repE0EEENS1_30default_config_static_selectorELNS0_4arch9wavefront6targetE1EEEvT1_,comdat
.Lfunc_end1206:
	.size	_ZN7rocprim17ROCPRIM_400000_NS6detail17trampoline_kernelINS0_14default_configENS1_25partition_config_selectorILNS1_17partition_subalgoE9EllbEEZZNS1_14partition_implILS5_9ELb0ES3_jPlS8_PNS0_10empty_typeENS0_5tupleIJS8_S9_EEENSB_IJS8_SA_EEENS0_18inequality_wrapperIZN2at6native12_GLOBAL__N_124unique_dim_cuda_templateIN3c108BFloat16EEESt5tupleIJNSF_6TensorESM_SM_EERKSM_lbbbEUlllE0_EEPmJS9_EEE10hipError_tPvRmT3_T4_T5_T6_T7_T9_mT8_P12ihipStream_tbDpT10_ENKUlT_T0_E_clISt17integral_constantIbLb0EES1C_EEDaS17_S18_EUlS17_E_NS1_11comp_targetILNS1_3genE0ELNS1_11target_archE4294967295ELNS1_3gpuE0ELNS1_3repE0EEENS1_30default_config_static_selectorELNS0_4arch9wavefront6targetE1EEEvT1_, .Lfunc_end1206-_ZN7rocprim17ROCPRIM_400000_NS6detail17trampoline_kernelINS0_14default_configENS1_25partition_config_selectorILNS1_17partition_subalgoE9EllbEEZZNS1_14partition_implILS5_9ELb0ES3_jPlS8_PNS0_10empty_typeENS0_5tupleIJS8_S9_EEENSB_IJS8_SA_EEENS0_18inequality_wrapperIZN2at6native12_GLOBAL__N_124unique_dim_cuda_templateIN3c108BFloat16EEESt5tupleIJNSF_6TensorESM_SM_EERKSM_lbbbEUlllE0_EEPmJS9_EEE10hipError_tPvRmT3_T4_T5_T6_T7_T9_mT8_P12ihipStream_tbDpT10_ENKUlT_T0_E_clISt17integral_constantIbLb0EES1C_EEDaS17_S18_EUlS17_E_NS1_11comp_targetILNS1_3genE0ELNS1_11target_archE4294967295ELNS1_3gpuE0ELNS1_3repE0EEENS1_30default_config_static_selectorELNS0_4arch9wavefront6targetE1EEEvT1_
                                        ; -- End function
	.set _ZN7rocprim17ROCPRIM_400000_NS6detail17trampoline_kernelINS0_14default_configENS1_25partition_config_selectorILNS1_17partition_subalgoE9EllbEEZZNS1_14partition_implILS5_9ELb0ES3_jPlS8_PNS0_10empty_typeENS0_5tupleIJS8_S9_EEENSB_IJS8_SA_EEENS0_18inequality_wrapperIZN2at6native12_GLOBAL__N_124unique_dim_cuda_templateIN3c108BFloat16EEESt5tupleIJNSF_6TensorESM_SM_EERKSM_lbbbEUlllE0_EEPmJS9_EEE10hipError_tPvRmT3_T4_T5_T6_T7_T9_mT8_P12ihipStream_tbDpT10_ENKUlT_T0_E_clISt17integral_constantIbLb0EES1C_EEDaS17_S18_EUlS17_E_NS1_11comp_targetILNS1_3genE0ELNS1_11target_archE4294967295ELNS1_3gpuE0ELNS1_3repE0EEENS1_30default_config_static_selectorELNS0_4arch9wavefront6targetE1EEEvT1_.num_vgpr, 60
	.set _ZN7rocprim17ROCPRIM_400000_NS6detail17trampoline_kernelINS0_14default_configENS1_25partition_config_selectorILNS1_17partition_subalgoE9EllbEEZZNS1_14partition_implILS5_9ELb0ES3_jPlS8_PNS0_10empty_typeENS0_5tupleIJS8_S9_EEENSB_IJS8_SA_EEENS0_18inequality_wrapperIZN2at6native12_GLOBAL__N_124unique_dim_cuda_templateIN3c108BFloat16EEESt5tupleIJNSF_6TensorESM_SM_EERKSM_lbbbEUlllE0_EEPmJS9_EEE10hipError_tPvRmT3_T4_T5_T6_T7_T9_mT8_P12ihipStream_tbDpT10_ENKUlT_T0_E_clISt17integral_constantIbLb0EES1C_EEDaS17_S18_EUlS17_E_NS1_11comp_targetILNS1_3genE0ELNS1_11target_archE4294967295ELNS1_3gpuE0ELNS1_3repE0EEENS1_30default_config_static_selectorELNS0_4arch9wavefront6targetE1EEEvT1_.num_agpr, 0
	.set _ZN7rocprim17ROCPRIM_400000_NS6detail17trampoline_kernelINS0_14default_configENS1_25partition_config_selectorILNS1_17partition_subalgoE9EllbEEZZNS1_14partition_implILS5_9ELb0ES3_jPlS8_PNS0_10empty_typeENS0_5tupleIJS8_S9_EEENSB_IJS8_SA_EEENS0_18inequality_wrapperIZN2at6native12_GLOBAL__N_124unique_dim_cuda_templateIN3c108BFloat16EEESt5tupleIJNSF_6TensorESM_SM_EERKSM_lbbbEUlllE0_EEPmJS9_EEE10hipError_tPvRmT3_T4_T5_T6_T7_T9_mT8_P12ihipStream_tbDpT10_ENKUlT_T0_E_clISt17integral_constantIbLb0EES1C_EEDaS17_S18_EUlS17_E_NS1_11comp_targetILNS1_3genE0ELNS1_11target_archE4294967295ELNS1_3gpuE0ELNS1_3repE0EEENS1_30default_config_static_selectorELNS0_4arch9wavefront6targetE1EEEvT1_.numbered_sgpr, 46
	.set _ZN7rocprim17ROCPRIM_400000_NS6detail17trampoline_kernelINS0_14default_configENS1_25partition_config_selectorILNS1_17partition_subalgoE9EllbEEZZNS1_14partition_implILS5_9ELb0ES3_jPlS8_PNS0_10empty_typeENS0_5tupleIJS8_S9_EEENSB_IJS8_SA_EEENS0_18inequality_wrapperIZN2at6native12_GLOBAL__N_124unique_dim_cuda_templateIN3c108BFloat16EEESt5tupleIJNSF_6TensorESM_SM_EERKSM_lbbbEUlllE0_EEPmJS9_EEE10hipError_tPvRmT3_T4_T5_T6_T7_T9_mT8_P12ihipStream_tbDpT10_ENKUlT_T0_E_clISt17integral_constantIbLb0EES1C_EEDaS17_S18_EUlS17_E_NS1_11comp_targetILNS1_3genE0ELNS1_11target_archE4294967295ELNS1_3gpuE0ELNS1_3repE0EEENS1_30default_config_static_selectorELNS0_4arch9wavefront6targetE1EEEvT1_.num_named_barrier, 0
	.set _ZN7rocprim17ROCPRIM_400000_NS6detail17trampoline_kernelINS0_14default_configENS1_25partition_config_selectorILNS1_17partition_subalgoE9EllbEEZZNS1_14partition_implILS5_9ELb0ES3_jPlS8_PNS0_10empty_typeENS0_5tupleIJS8_S9_EEENSB_IJS8_SA_EEENS0_18inequality_wrapperIZN2at6native12_GLOBAL__N_124unique_dim_cuda_templateIN3c108BFloat16EEESt5tupleIJNSF_6TensorESM_SM_EERKSM_lbbbEUlllE0_EEPmJS9_EEE10hipError_tPvRmT3_T4_T5_T6_T7_T9_mT8_P12ihipStream_tbDpT10_ENKUlT_T0_E_clISt17integral_constantIbLb0EES1C_EEDaS17_S18_EUlS17_E_NS1_11comp_targetILNS1_3genE0ELNS1_11target_archE4294967295ELNS1_3gpuE0ELNS1_3repE0EEENS1_30default_config_static_selectorELNS0_4arch9wavefront6targetE1EEEvT1_.private_seg_size, 0
	.set _ZN7rocprim17ROCPRIM_400000_NS6detail17trampoline_kernelINS0_14default_configENS1_25partition_config_selectorILNS1_17partition_subalgoE9EllbEEZZNS1_14partition_implILS5_9ELb0ES3_jPlS8_PNS0_10empty_typeENS0_5tupleIJS8_S9_EEENSB_IJS8_SA_EEENS0_18inequality_wrapperIZN2at6native12_GLOBAL__N_124unique_dim_cuda_templateIN3c108BFloat16EEESt5tupleIJNSF_6TensorESM_SM_EERKSM_lbbbEUlllE0_EEPmJS9_EEE10hipError_tPvRmT3_T4_T5_T6_T7_T9_mT8_P12ihipStream_tbDpT10_ENKUlT_T0_E_clISt17integral_constantIbLb0EES1C_EEDaS17_S18_EUlS17_E_NS1_11comp_targetILNS1_3genE0ELNS1_11target_archE4294967295ELNS1_3gpuE0ELNS1_3repE0EEENS1_30default_config_static_selectorELNS0_4arch9wavefront6targetE1EEEvT1_.uses_vcc, 1
	.set _ZN7rocprim17ROCPRIM_400000_NS6detail17trampoline_kernelINS0_14default_configENS1_25partition_config_selectorILNS1_17partition_subalgoE9EllbEEZZNS1_14partition_implILS5_9ELb0ES3_jPlS8_PNS0_10empty_typeENS0_5tupleIJS8_S9_EEENSB_IJS8_SA_EEENS0_18inequality_wrapperIZN2at6native12_GLOBAL__N_124unique_dim_cuda_templateIN3c108BFloat16EEESt5tupleIJNSF_6TensorESM_SM_EERKSM_lbbbEUlllE0_EEPmJS9_EEE10hipError_tPvRmT3_T4_T5_T6_T7_T9_mT8_P12ihipStream_tbDpT10_ENKUlT_T0_E_clISt17integral_constantIbLb0EES1C_EEDaS17_S18_EUlS17_E_NS1_11comp_targetILNS1_3genE0ELNS1_11target_archE4294967295ELNS1_3gpuE0ELNS1_3repE0EEENS1_30default_config_static_selectorELNS0_4arch9wavefront6targetE1EEEvT1_.uses_flat_scratch, 0
	.set _ZN7rocprim17ROCPRIM_400000_NS6detail17trampoline_kernelINS0_14default_configENS1_25partition_config_selectorILNS1_17partition_subalgoE9EllbEEZZNS1_14partition_implILS5_9ELb0ES3_jPlS8_PNS0_10empty_typeENS0_5tupleIJS8_S9_EEENSB_IJS8_SA_EEENS0_18inequality_wrapperIZN2at6native12_GLOBAL__N_124unique_dim_cuda_templateIN3c108BFloat16EEESt5tupleIJNSF_6TensorESM_SM_EERKSM_lbbbEUlllE0_EEPmJS9_EEE10hipError_tPvRmT3_T4_T5_T6_T7_T9_mT8_P12ihipStream_tbDpT10_ENKUlT_T0_E_clISt17integral_constantIbLb0EES1C_EEDaS17_S18_EUlS17_E_NS1_11comp_targetILNS1_3genE0ELNS1_11target_archE4294967295ELNS1_3gpuE0ELNS1_3repE0EEENS1_30default_config_static_selectorELNS0_4arch9wavefront6targetE1EEEvT1_.has_dyn_sized_stack, 0
	.set _ZN7rocprim17ROCPRIM_400000_NS6detail17trampoline_kernelINS0_14default_configENS1_25partition_config_selectorILNS1_17partition_subalgoE9EllbEEZZNS1_14partition_implILS5_9ELb0ES3_jPlS8_PNS0_10empty_typeENS0_5tupleIJS8_S9_EEENSB_IJS8_SA_EEENS0_18inequality_wrapperIZN2at6native12_GLOBAL__N_124unique_dim_cuda_templateIN3c108BFloat16EEESt5tupleIJNSF_6TensorESM_SM_EERKSM_lbbbEUlllE0_EEPmJS9_EEE10hipError_tPvRmT3_T4_T5_T6_T7_T9_mT8_P12ihipStream_tbDpT10_ENKUlT_T0_E_clISt17integral_constantIbLb0EES1C_EEDaS17_S18_EUlS17_E_NS1_11comp_targetILNS1_3genE0ELNS1_11target_archE4294967295ELNS1_3gpuE0ELNS1_3repE0EEENS1_30default_config_static_selectorELNS0_4arch9wavefront6targetE1EEEvT1_.has_recursion, 0
	.set _ZN7rocprim17ROCPRIM_400000_NS6detail17trampoline_kernelINS0_14default_configENS1_25partition_config_selectorILNS1_17partition_subalgoE9EllbEEZZNS1_14partition_implILS5_9ELb0ES3_jPlS8_PNS0_10empty_typeENS0_5tupleIJS8_S9_EEENSB_IJS8_SA_EEENS0_18inequality_wrapperIZN2at6native12_GLOBAL__N_124unique_dim_cuda_templateIN3c108BFloat16EEESt5tupleIJNSF_6TensorESM_SM_EERKSM_lbbbEUlllE0_EEPmJS9_EEE10hipError_tPvRmT3_T4_T5_T6_T7_T9_mT8_P12ihipStream_tbDpT10_ENKUlT_T0_E_clISt17integral_constantIbLb0EES1C_EEDaS17_S18_EUlS17_E_NS1_11comp_targetILNS1_3genE0ELNS1_11target_archE4294967295ELNS1_3gpuE0ELNS1_3repE0EEENS1_30default_config_static_selectorELNS0_4arch9wavefront6targetE1EEEvT1_.has_indirect_call, 0
	.section	.AMDGPU.csdata,"",@progbits
; Kernel info:
; codeLenInByte = 9736
; TotalNumSgprs: 52
; NumVgprs: 60
; NumAgprs: 0
; TotalNumVgprs: 60
; ScratchSize: 0
; MemoryBound: 0
; FloatMode: 240
; IeeeMode: 1
; LDSByteSize: 5128 bytes/workgroup (compile time only)
; SGPRBlocks: 6
; VGPRBlocks: 7
; NumSGPRsForWavesPerEU: 52
; NumVGPRsForWavesPerEU: 60
; AccumOffset: 60
; Occupancy: 8
; WaveLimiterHint : 1
; COMPUTE_PGM_RSRC2:SCRATCH_EN: 0
; COMPUTE_PGM_RSRC2:USER_SGPR: 2
; COMPUTE_PGM_RSRC2:TRAP_HANDLER: 0
; COMPUTE_PGM_RSRC2:TGID_X_EN: 1
; COMPUTE_PGM_RSRC2:TGID_Y_EN: 0
; COMPUTE_PGM_RSRC2:TGID_Z_EN: 0
; COMPUTE_PGM_RSRC2:TIDIG_COMP_CNT: 0
; COMPUTE_PGM_RSRC3_GFX90A:ACCUM_OFFSET: 14
; COMPUTE_PGM_RSRC3_GFX90A:TG_SPLIT: 0
	.section	.text._ZN7rocprim17ROCPRIM_400000_NS6detail17trampoline_kernelINS0_14default_configENS1_25partition_config_selectorILNS1_17partition_subalgoE9EllbEEZZNS1_14partition_implILS5_9ELb0ES3_jPlS8_PNS0_10empty_typeENS0_5tupleIJS8_S9_EEENSB_IJS8_SA_EEENS0_18inequality_wrapperIZN2at6native12_GLOBAL__N_124unique_dim_cuda_templateIN3c108BFloat16EEESt5tupleIJNSF_6TensorESM_SM_EERKSM_lbbbEUlllE0_EEPmJS9_EEE10hipError_tPvRmT3_T4_T5_T6_T7_T9_mT8_P12ihipStream_tbDpT10_ENKUlT_T0_E_clISt17integral_constantIbLb0EES1C_EEDaS17_S18_EUlS17_E_NS1_11comp_targetILNS1_3genE5ELNS1_11target_archE942ELNS1_3gpuE9ELNS1_3repE0EEENS1_30default_config_static_selectorELNS0_4arch9wavefront6targetE1EEEvT1_,"axG",@progbits,_ZN7rocprim17ROCPRIM_400000_NS6detail17trampoline_kernelINS0_14default_configENS1_25partition_config_selectorILNS1_17partition_subalgoE9EllbEEZZNS1_14partition_implILS5_9ELb0ES3_jPlS8_PNS0_10empty_typeENS0_5tupleIJS8_S9_EEENSB_IJS8_SA_EEENS0_18inequality_wrapperIZN2at6native12_GLOBAL__N_124unique_dim_cuda_templateIN3c108BFloat16EEESt5tupleIJNSF_6TensorESM_SM_EERKSM_lbbbEUlllE0_EEPmJS9_EEE10hipError_tPvRmT3_T4_T5_T6_T7_T9_mT8_P12ihipStream_tbDpT10_ENKUlT_T0_E_clISt17integral_constantIbLb0EES1C_EEDaS17_S18_EUlS17_E_NS1_11comp_targetILNS1_3genE5ELNS1_11target_archE942ELNS1_3gpuE9ELNS1_3repE0EEENS1_30default_config_static_selectorELNS0_4arch9wavefront6targetE1EEEvT1_,comdat
	.globl	_ZN7rocprim17ROCPRIM_400000_NS6detail17trampoline_kernelINS0_14default_configENS1_25partition_config_selectorILNS1_17partition_subalgoE9EllbEEZZNS1_14partition_implILS5_9ELb0ES3_jPlS8_PNS0_10empty_typeENS0_5tupleIJS8_S9_EEENSB_IJS8_SA_EEENS0_18inequality_wrapperIZN2at6native12_GLOBAL__N_124unique_dim_cuda_templateIN3c108BFloat16EEESt5tupleIJNSF_6TensorESM_SM_EERKSM_lbbbEUlllE0_EEPmJS9_EEE10hipError_tPvRmT3_T4_T5_T6_T7_T9_mT8_P12ihipStream_tbDpT10_ENKUlT_T0_E_clISt17integral_constantIbLb0EES1C_EEDaS17_S18_EUlS17_E_NS1_11comp_targetILNS1_3genE5ELNS1_11target_archE942ELNS1_3gpuE9ELNS1_3repE0EEENS1_30default_config_static_selectorELNS0_4arch9wavefront6targetE1EEEvT1_ ; -- Begin function _ZN7rocprim17ROCPRIM_400000_NS6detail17trampoline_kernelINS0_14default_configENS1_25partition_config_selectorILNS1_17partition_subalgoE9EllbEEZZNS1_14partition_implILS5_9ELb0ES3_jPlS8_PNS0_10empty_typeENS0_5tupleIJS8_S9_EEENSB_IJS8_SA_EEENS0_18inequality_wrapperIZN2at6native12_GLOBAL__N_124unique_dim_cuda_templateIN3c108BFloat16EEESt5tupleIJNSF_6TensorESM_SM_EERKSM_lbbbEUlllE0_EEPmJS9_EEE10hipError_tPvRmT3_T4_T5_T6_T7_T9_mT8_P12ihipStream_tbDpT10_ENKUlT_T0_E_clISt17integral_constantIbLb0EES1C_EEDaS17_S18_EUlS17_E_NS1_11comp_targetILNS1_3genE5ELNS1_11target_archE942ELNS1_3gpuE9ELNS1_3repE0EEENS1_30default_config_static_selectorELNS0_4arch9wavefront6targetE1EEEvT1_
	.p2align	8
	.type	_ZN7rocprim17ROCPRIM_400000_NS6detail17trampoline_kernelINS0_14default_configENS1_25partition_config_selectorILNS1_17partition_subalgoE9EllbEEZZNS1_14partition_implILS5_9ELb0ES3_jPlS8_PNS0_10empty_typeENS0_5tupleIJS8_S9_EEENSB_IJS8_SA_EEENS0_18inequality_wrapperIZN2at6native12_GLOBAL__N_124unique_dim_cuda_templateIN3c108BFloat16EEESt5tupleIJNSF_6TensorESM_SM_EERKSM_lbbbEUlllE0_EEPmJS9_EEE10hipError_tPvRmT3_T4_T5_T6_T7_T9_mT8_P12ihipStream_tbDpT10_ENKUlT_T0_E_clISt17integral_constantIbLb0EES1C_EEDaS17_S18_EUlS17_E_NS1_11comp_targetILNS1_3genE5ELNS1_11target_archE942ELNS1_3gpuE9ELNS1_3repE0EEENS1_30default_config_static_selectorELNS0_4arch9wavefront6targetE1EEEvT1_,@function
_ZN7rocprim17ROCPRIM_400000_NS6detail17trampoline_kernelINS0_14default_configENS1_25partition_config_selectorILNS1_17partition_subalgoE9EllbEEZZNS1_14partition_implILS5_9ELb0ES3_jPlS8_PNS0_10empty_typeENS0_5tupleIJS8_S9_EEENSB_IJS8_SA_EEENS0_18inequality_wrapperIZN2at6native12_GLOBAL__N_124unique_dim_cuda_templateIN3c108BFloat16EEESt5tupleIJNSF_6TensorESM_SM_EERKSM_lbbbEUlllE0_EEPmJS9_EEE10hipError_tPvRmT3_T4_T5_T6_T7_T9_mT8_P12ihipStream_tbDpT10_ENKUlT_T0_E_clISt17integral_constantIbLb0EES1C_EEDaS17_S18_EUlS17_E_NS1_11comp_targetILNS1_3genE5ELNS1_11target_archE942ELNS1_3gpuE9ELNS1_3repE0EEENS1_30default_config_static_selectorELNS0_4arch9wavefront6targetE1EEEvT1_: ; @_ZN7rocprim17ROCPRIM_400000_NS6detail17trampoline_kernelINS0_14default_configENS1_25partition_config_selectorILNS1_17partition_subalgoE9EllbEEZZNS1_14partition_implILS5_9ELb0ES3_jPlS8_PNS0_10empty_typeENS0_5tupleIJS8_S9_EEENSB_IJS8_SA_EEENS0_18inequality_wrapperIZN2at6native12_GLOBAL__N_124unique_dim_cuda_templateIN3c108BFloat16EEESt5tupleIJNSF_6TensorESM_SM_EERKSM_lbbbEUlllE0_EEPmJS9_EEE10hipError_tPvRmT3_T4_T5_T6_T7_T9_mT8_P12ihipStream_tbDpT10_ENKUlT_T0_E_clISt17integral_constantIbLb0EES1C_EEDaS17_S18_EUlS17_E_NS1_11comp_targetILNS1_3genE5ELNS1_11target_archE942ELNS1_3gpuE9ELNS1_3repE0EEENS1_30default_config_static_selectorELNS0_4arch9wavefront6targetE1EEEvT1_
; %bb.0:
	.section	.rodata,"a",@progbits
	.p2align	6, 0x0
	.amdhsa_kernel _ZN7rocprim17ROCPRIM_400000_NS6detail17trampoline_kernelINS0_14default_configENS1_25partition_config_selectorILNS1_17partition_subalgoE9EllbEEZZNS1_14partition_implILS5_9ELb0ES3_jPlS8_PNS0_10empty_typeENS0_5tupleIJS8_S9_EEENSB_IJS8_SA_EEENS0_18inequality_wrapperIZN2at6native12_GLOBAL__N_124unique_dim_cuda_templateIN3c108BFloat16EEESt5tupleIJNSF_6TensorESM_SM_EERKSM_lbbbEUlllE0_EEPmJS9_EEE10hipError_tPvRmT3_T4_T5_T6_T7_T9_mT8_P12ihipStream_tbDpT10_ENKUlT_T0_E_clISt17integral_constantIbLb0EES1C_EEDaS17_S18_EUlS17_E_NS1_11comp_targetILNS1_3genE5ELNS1_11target_archE942ELNS1_3gpuE9ELNS1_3repE0EEENS1_30default_config_static_selectorELNS0_4arch9wavefront6targetE1EEEvT1_
		.amdhsa_group_segment_fixed_size 0
		.amdhsa_private_segment_fixed_size 0
		.amdhsa_kernarg_size 120
		.amdhsa_user_sgpr_count 2
		.amdhsa_user_sgpr_dispatch_ptr 0
		.amdhsa_user_sgpr_queue_ptr 0
		.amdhsa_user_sgpr_kernarg_segment_ptr 1
		.amdhsa_user_sgpr_dispatch_id 0
		.amdhsa_user_sgpr_kernarg_preload_length 0
		.amdhsa_user_sgpr_kernarg_preload_offset 0
		.amdhsa_user_sgpr_private_segment_size 0
		.amdhsa_uses_dynamic_stack 0
		.amdhsa_enable_private_segment 0
		.amdhsa_system_sgpr_workgroup_id_x 1
		.amdhsa_system_sgpr_workgroup_id_y 0
		.amdhsa_system_sgpr_workgroup_id_z 0
		.amdhsa_system_sgpr_workgroup_info 0
		.amdhsa_system_vgpr_workitem_id 0
		.amdhsa_next_free_vgpr 1
		.amdhsa_next_free_sgpr 0
		.amdhsa_accum_offset 4
		.amdhsa_reserve_vcc 0
		.amdhsa_float_round_mode_32 0
		.amdhsa_float_round_mode_16_64 0
		.amdhsa_float_denorm_mode_32 3
		.amdhsa_float_denorm_mode_16_64 3
		.amdhsa_dx10_clamp 1
		.amdhsa_ieee_mode 1
		.amdhsa_fp16_overflow 0
		.amdhsa_tg_split 0
		.amdhsa_exception_fp_ieee_invalid_op 0
		.amdhsa_exception_fp_denorm_src 0
		.amdhsa_exception_fp_ieee_div_zero 0
		.amdhsa_exception_fp_ieee_overflow 0
		.amdhsa_exception_fp_ieee_underflow 0
		.amdhsa_exception_fp_ieee_inexact 0
		.amdhsa_exception_int_div_zero 0
	.end_amdhsa_kernel
	.section	.text._ZN7rocprim17ROCPRIM_400000_NS6detail17trampoline_kernelINS0_14default_configENS1_25partition_config_selectorILNS1_17partition_subalgoE9EllbEEZZNS1_14partition_implILS5_9ELb0ES3_jPlS8_PNS0_10empty_typeENS0_5tupleIJS8_S9_EEENSB_IJS8_SA_EEENS0_18inequality_wrapperIZN2at6native12_GLOBAL__N_124unique_dim_cuda_templateIN3c108BFloat16EEESt5tupleIJNSF_6TensorESM_SM_EERKSM_lbbbEUlllE0_EEPmJS9_EEE10hipError_tPvRmT3_T4_T5_T6_T7_T9_mT8_P12ihipStream_tbDpT10_ENKUlT_T0_E_clISt17integral_constantIbLb0EES1C_EEDaS17_S18_EUlS17_E_NS1_11comp_targetILNS1_3genE5ELNS1_11target_archE942ELNS1_3gpuE9ELNS1_3repE0EEENS1_30default_config_static_selectorELNS0_4arch9wavefront6targetE1EEEvT1_,"axG",@progbits,_ZN7rocprim17ROCPRIM_400000_NS6detail17trampoline_kernelINS0_14default_configENS1_25partition_config_selectorILNS1_17partition_subalgoE9EllbEEZZNS1_14partition_implILS5_9ELb0ES3_jPlS8_PNS0_10empty_typeENS0_5tupleIJS8_S9_EEENSB_IJS8_SA_EEENS0_18inequality_wrapperIZN2at6native12_GLOBAL__N_124unique_dim_cuda_templateIN3c108BFloat16EEESt5tupleIJNSF_6TensorESM_SM_EERKSM_lbbbEUlllE0_EEPmJS9_EEE10hipError_tPvRmT3_T4_T5_T6_T7_T9_mT8_P12ihipStream_tbDpT10_ENKUlT_T0_E_clISt17integral_constantIbLb0EES1C_EEDaS17_S18_EUlS17_E_NS1_11comp_targetILNS1_3genE5ELNS1_11target_archE942ELNS1_3gpuE9ELNS1_3repE0EEENS1_30default_config_static_selectorELNS0_4arch9wavefront6targetE1EEEvT1_,comdat
.Lfunc_end1207:
	.size	_ZN7rocprim17ROCPRIM_400000_NS6detail17trampoline_kernelINS0_14default_configENS1_25partition_config_selectorILNS1_17partition_subalgoE9EllbEEZZNS1_14partition_implILS5_9ELb0ES3_jPlS8_PNS0_10empty_typeENS0_5tupleIJS8_S9_EEENSB_IJS8_SA_EEENS0_18inequality_wrapperIZN2at6native12_GLOBAL__N_124unique_dim_cuda_templateIN3c108BFloat16EEESt5tupleIJNSF_6TensorESM_SM_EERKSM_lbbbEUlllE0_EEPmJS9_EEE10hipError_tPvRmT3_T4_T5_T6_T7_T9_mT8_P12ihipStream_tbDpT10_ENKUlT_T0_E_clISt17integral_constantIbLb0EES1C_EEDaS17_S18_EUlS17_E_NS1_11comp_targetILNS1_3genE5ELNS1_11target_archE942ELNS1_3gpuE9ELNS1_3repE0EEENS1_30default_config_static_selectorELNS0_4arch9wavefront6targetE1EEEvT1_, .Lfunc_end1207-_ZN7rocprim17ROCPRIM_400000_NS6detail17trampoline_kernelINS0_14default_configENS1_25partition_config_selectorILNS1_17partition_subalgoE9EllbEEZZNS1_14partition_implILS5_9ELb0ES3_jPlS8_PNS0_10empty_typeENS0_5tupleIJS8_S9_EEENSB_IJS8_SA_EEENS0_18inequality_wrapperIZN2at6native12_GLOBAL__N_124unique_dim_cuda_templateIN3c108BFloat16EEESt5tupleIJNSF_6TensorESM_SM_EERKSM_lbbbEUlllE0_EEPmJS9_EEE10hipError_tPvRmT3_T4_T5_T6_T7_T9_mT8_P12ihipStream_tbDpT10_ENKUlT_T0_E_clISt17integral_constantIbLb0EES1C_EEDaS17_S18_EUlS17_E_NS1_11comp_targetILNS1_3genE5ELNS1_11target_archE942ELNS1_3gpuE9ELNS1_3repE0EEENS1_30default_config_static_selectorELNS0_4arch9wavefront6targetE1EEEvT1_
                                        ; -- End function
	.set _ZN7rocprim17ROCPRIM_400000_NS6detail17trampoline_kernelINS0_14default_configENS1_25partition_config_selectorILNS1_17partition_subalgoE9EllbEEZZNS1_14partition_implILS5_9ELb0ES3_jPlS8_PNS0_10empty_typeENS0_5tupleIJS8_S9_EEENSB_IJS8_SA_EEENS0_18inequality_wrapperIZN2at6native12_GLOBAL__N_124unique_dim_cuda_templateIN3c108BFloat16EEESt5tupleIJNSF_6TensorESM_SM_EERKSM_lbbbEUlllE0_EEPmJS9_EEE10hipError_tPvRmT3_T4_T5_T6_T7_T9_mT8_P12ihipStream_tbDpT10_ENKUlT_T0_E_clISt17integral_constantIbLb0EES1C_EEDaS17_S18_EUlS17_E_NS1_11comp_targetILNS1_3genE5ELNS1_11target_archE942ELNS1_3gpuE9ELNS1_3repE0EEENS1_30default_config_static_selectorELNS0_4arch9wavefront6targetE1EEEvT1_.num_vgpr, 0
	.set _ZN7rocprim17ROCPRIM_400000_NS6detail17trampoline_kernelINS0_14default_configENS1_25partition_config_selectorILNS1_17partition_subalgoE9EllbEEZZNS1_14partition_implILS5_9ELb0ES3_jPlS8_PNS0_10empty_typeENS0_5tupleIJS8_S9_EEENSB_IJS8_SA_EEENS0_18inequality_wrapperIZN2at6native12_GLOBAL__N_124unique_dim_cuda_templateIN3c108BFloat16EEESt5tupleIJNSF_6TensorESM_SM_EERKSM_lbbbEUlllE0_EEPmJS9_EEE10hipError_tPvRmT3_T4_T5_T6_T7_T9_mT8_P12ihipStream_tbDpT10_ENKUlT_T0_E_clISt17integral_constantIbLb0EES1C_EEDaS17_S18_EUlS17_E_NS1_11comp_targetILNS1_3genE5ELNS1_11target_archE942ELNS1_3gpuE9ELNS1_3repE0EEENS1_30default_config_static_selectorELNS0_4arch9wavefront6targetE1EEEvT1_.num_agpr, 0
	.set _ZN7rocprim17ROCPRIM_400000_NS6detail17trampoline_kernelINS0_14default_configENS1_25partition_config_selectorILNS1_17partition_subalgoE9EllbEEZZNS1_14partition_implILS5_9ELb0ES3_jPlS8_PNS0_10empty_typeENS0_5tupleIJS8_S9_EEENSB_IJS8_SA_EEENS0_18inequality_wrapperIZN2at6native12_GLOBAL__N_124unique_dim_cuda_templateIN3c108BFloat16EEESt5tupleIJNSF_6TensorESM_SM_EERKSM_lbbbEUlllE0_EEPmJS9_EEE10hipError_tPvRmT3_T4_T5_T6_T7_T9_mT8_P12ihipStream_tbDpT10_ENKUlT_T0_E_clISt17integral_constantIbLb0EES1C_EEDaS17_S18_EUlS17_E_NS1_11comp_targetILNS1_3genE5ELNS1_11target_archE942ELNS1_3gpuE9ELNS1_3repE0EEENS1_30default_config_static_selectorELNS0_4arch9wavefront6targetE1EEEvT1_.numbered_sgpr, 0
	.set _ZN7rocprim17ROCPRIM_400000_NS6detail17trampoline_kernelINS0_14default_configENS1_25partition_config_selectorILNS1_17partition_subalgoE9EllbEEZZNS1_14partition_implILS5_9ELb0ES3_jPlS8_PNS0_10empty_typeENS0_5tupleIJS8_S9_EEENSB_IJS8_SA_EEENS0_18inequality_wrapperIZN2at6native12_GLOBAL__N_124unique_dim_cuda_templateIN3c108BFloat16EEESt5tupleIJNSF_6TensorESM_SM_EERKSM_lbbbEUlllE0_EEPmJS9_EEE10hipError_tPvRmT3_T4_T5_T6_T7_T9_mT8_P12ihipStream_tbDpT10_ENKUlT_T0_E_clISt17integral_constantIbLb0EES1C_EEDaS17_S18_EUlS17_E_NS1_11comp_targetILNS1_3genE5ELNS1_11target_archE942ELNS1_3gpuE9ELNS1_3repE0EEENS1_30default_config_static_selectorELNS0_4arch9wavefront6targetE1EEEvT1_.num_named_barrier, 0
	.set _ZN7rocprim17ROCPRIM_400000_NS6detail17trampoline_kernelINS0_14default_configENS1_25partition_config_selectorILNS1_17partition_subalgoE9EllbEEZZNS1_14partition_implILS5_9ELb0ES3_jPlS8_PNS0_10empty_typeENS0_5tupleIJS8_S9_EEENSB_IJS8_SA_EEENS0_18inequality_wrapperIZN2at6native12_GLOBAL__N_124unique_dim_cuda_templateIN3c108BFloat16EEESt5tupleIJNSF_6TensorESM_SM_EERKSM_lbbbEUlllE0_EEPmJS9_EEE10hipError_tPvRmT3_T4_T5_T6_T7_T9_mT8_P12ihipStream_tbDpT10_ENKUlT_T0_E_clISt17integral_constantIbLb0EES1C_EEDaS17_S18_EUlS17_E_NS1_11comp_targetILNS1_3genE5ELNS1_11target_archE942ELNS1_3gpuE9ELNS1_3repE0EEENS1_30default_config_static_selectorELNS0_4arch9wavefront6targetE1EEEvT1_.private_seg_size, 0
	.set _ZN7rocprim17ROCPRIM_400000_NS6detail17trampoline_kernelINS0_14default_configENS1_25partition_config_selectorILNS1_17partition_subalgoE9EllbEEZZNS1_14partition_implILS5_9ELb0ES3_jPlS8_PNS0_10empty_typeENS0_5tupleIJS8_S9_EEENSB_IJS8_SA_EEENS0_18inequality_wrapperIZN2at6native12_GLOBAL__N_124unique_dim_cuda_templateIN3c108BFloat16EEESt5tupleIJNSF_6TensorESM_SM_EERKSM_lbbbEUlllE0_EEPmJS9_EEE10hipError_tPvRmT3_T4_T5_T6_T7_T9_mT8_P12ihipStream_tbDpT10_ENKUlT_T0_E_clISt17integral_constantIbLb0EES1C_EEDaS17_S18_EUlS17_E_NS1_11comp_targetILNS1_3genE5ELNS1_11target_archE942ELNS1_3gpuE9ELNS1_3repE0EEENS1_30default_config_static_selectorELNS0_4arch9wavefront6targetE1EEEvT1_.uses_vcc, 0
	.set _ZN7rocprim17ROCPRIM_400000_NS6detail17trampoline_kernelINS0_14default_configENS1_25partition_config_selectorILNS1_17partition_subalgoE9EllbEEZZNS1_14partition_implILS5_9ELb0ES3_jPlS8_PNS0_10empty_typeENS0_5tupleIJS8_S9_EEENSB_IJS8_SA_EEENS0_18inequality_wrapperIZN2at6native12_GLOBAL__N_124unique_dim_cuda_templateIN3c108BFloat16EEESt5tupleIJNSF_6TensorESM_SM_EERKSM_lbbbEUlllE0_EEPmJS9_EEE10hipError_tPvRmT3_T4_T5_T6_T7_T9_mT8_P12ihipStream_tbDpT10_ENKUlT_T0_E_clISt17integral_constantIbLb0EES1C_EEDaS17_S18_EUlS17_E_NS1_11comp_targetILNS1_3genE5ELNS1_11target_archE942ELNS1_3gpuE9ELNS1_3repE0EEENS1_30default_config_static_selectorELNS0_4arch9wavefront6targetE1EEEvT1_.uses_flat_scratch, 0
	.set _ZN7rocprim17ROCPRIM_400000_NS6detail17trampoline_kernelINS0_14default_configENS1_25partition_config_selectorILNS1_17partition_subalgoE9EllbEEZZNS1_14partition_implILS5_9ELb0ES3_jPlS8_PNS0_10empty_typeENS0_5tupleIJS8_S9_EEENSB_IJS8_SA_EEENS0_18inequality_wrapperIZN2at6native12_GLOBAL__N_124unique_dim_cuda_templateIN3c108BFloat16EEESt5tupleIJNSF_6TensorESM_SM_EERKSM_lbbbEUlllE0_EEPmJS9_EEE10hipError_tPvRmT3_T4_T5_T6_T7_T9_mT8_P12ihipStream_tbDpT10_ENKUlT_T0_E_clISt17integral_constantIbLb0EES1C_EEDaS17_S18_EUlS17_E_NS1_11comp_targetILNS1_3genE5ELNS1_11target_archE942ELNS1_3gpuE9ELNS1_3repE0EEENS1_30default_config_static_selectorELNS0_4arch9wavefront6targetE1EEEvT1_.has_dyn_sized_stack, 0
	.set _ZN7rocprim17ROCPRIM_400000_NS6detail17trampoline_kernelINS0_14default_configENS1_25partition_config_selectorILNS1_17partition_subalgoE9EllbEEZZNS1_14partition_implILS5_9ELb0ES3_jPlS8_PNS0_10empty_typeENS0_5tupleIJS8_S9_EEENSB_IJS8_SA_EEENS0_18inequality_wrapperIZN2at6native12_GLOBAL__N_124unique_dim_cuda_templateIN3c108BFloat16EEESt5tupleIJNSF_6TensorESM_SM_EERKSM_lbbbEUlllE0_EEPmJS9_EEE10hipError_tPvRmT3_T4_T5_T6_T7_T9_mT8_P12ihipStream_tbDpT10_ENKUlT_T0_E_clISt17integral_constantIbLb0EES1C_EEDaS17_S18_EUlS17_E_NS1_11comp_targetILNS1_3genE5ELNS1_11target_archE942ELNS1_3gpuE9ELNS1_3repE0EEENS1_30default_config_static_selectorELNS0_4arch9wavefront6targetE1EEEvT1_.has_recursion, 0
	.set _ZN7rocprim17ROCPRIM_400000_NS6detail17trampoline_kernelINS0_14default_configENS1_25partition_config_selectorILNS1_17partition_subalgoE9EllbEEZZNS1_14partition_implILS5_9ELb0ES3_jPlS8_PNS0_10empty_typeENS0_5tupleIJS8_S9_EEENSB_IJS8_SA_EEENS0_18inequality_wrapperIZN2at6native12_GLOBAL__N_124unique_dim_cuda_templateIN3c108BFloat16EEESt5tupleIJNSF_6TensorESM_SM_EERKSM_lbbbEUlllE0_EEPmJS9_EEE10hipError_tPvRmT3_T4_T5_T6_T7_T9_mT8_P12ihipStream_tbDpT10_ENKUlT_T0_E_clISt17integral_constantIbLb0EES1C_EEDaS17_S18_EUlS17_E_NS1_11comp_targetILNS1_3genE5ELNS1_11target_archE942ELNS1_3gpuE9ELNS1_3repE0EEENS1_30default_config_static_selectorELNS0_4arch9wavefront6targetE1EEEvT1_.has_indirect_call, 0
	.section	.AMDGPU.csdata,"",@progbits
; Kernel info:
; codeLenInByte = 0
; TotalNumSgprs: 6
; NumVgprs: 0
; NumAgprs: 0
; TotalNumVgprs: 0
; ScratchSize: 0
; MemoryBound: 0
; FloatMode: 240
; IeeeMode: 1
; LDSByteSize: 0 bytes/workgroup (compile time only)
; SGPRBlocks: 0
; VGPRBlocks: 0
; NumSGPRsForWavesPerEU: 6
; NumVGPRsForWavesPerEU: 1
; AccumOffset: 4
; Occupancy: 8
; WaveLimiterHint : 0
; COMPUTE_PGM_RSRC2:SCRATCH_EN: 0
; COMPUTE_PGM_RSRC2:USER_SGPR: 2
; COMPUTE_PGM_RSRC2:TRAP_HANDLER: 0
; COMPUTE_PGM_RSRC2:TGID_X_EN: 1
; COMPUTE_PGM_RSRC2:TGID_Y_EN: 0
; COMPUTE_PGM_RSRC2:TGID_Z_EN: 0
; COMPUTE_PGM_RSRC2:TIDIG_COMP_CNT: 0
; COMPUTE_PGM_RSRC3_GFX90A:ACCUM_OFFSET: 0
; COMPUTE_PGM_RSRC3_GFX90A:TG_SPLIT: 0
	.section	.text._ZN7rocprim17ROCPRIM_400000_NS6detail17trampoline_kernelINS0_14default_configENS1_25partition_config_selectorILNS1_17partition_subalgoE9EllbEEZZNS1_14partition_implILS5_9ELb0ES3_jPlS8_PNS0_10empty_typeENS0_5tupleIJS8_S9_EEENSB_IJS8_SA_EEENS0_18inequality_wrapperIZN2at6native12_GLOBAL__N_124unique_dim_cuda_templateIN3c108BFloat16EEESt5tupleIJNSF_6TensorESM_SM_EERKSM_lbbbEUlllE0_EEPmJS9_EEE10hipError_tPvRmT3_T4_T5_T6_T7_T9_mT8_P12ihipStream_tbDpT10_ENKUlT_T0_E_clISt17integral_constantIbLb0EES1C_EEDaS17_S18_EUlS17_E_NS1_11comp_targetILNS1_3genE4ELNS1_11target_archE910ELNS1_3gpuE8ELNS1_3repE0EEENS1_30default_config_static_selectorELNS0_4arch9wavefront6targetE1EEEvT1_,"axG",@progbits,_ZN7rocprim17ROCPRIM_400000_NS6detail17trampoline_kernelINS0_14default_configENS1_25partition_config_selectorILNS1_17partition_subalgoE9EllbEEZZNS1_14partition_implILS5_9ELb0ES3_jPlS8_PNS0_10empty_typeENS0_5tupleIJS8_S9_EEENSB_IJS8_SA_EEENS0_18inequality_wrapperIZN2at6native12_GLOBAL__N_124unique_dim_cuda_templateIN3c108BFloat16EEESt5tupleIJNSF_6TensorESM_SM_EERKSM_lbbbEUlllE0_EEPmJS9_EEE10hipError_tPvRmT3_T4_T5_T6_T7_T9_mT8_P12ihipStream_tbDpT10_ENKUlT_T0_E_clISt17integral_constantIbLb0EES1C_EEDaS17_S18_EUlS17_E_NS1_11comp_targetILNS1_3genE4ELNS1_11target_archE910ELNS1_3gpuE8ELNS1_3repE0EEENS1_30default_config_static_selectorELNS0_4arch9wavefront6targetE1EEEvT1_,comdat
	.globl	_ZN7rocprim17ROCPRIM_400000_NS6detail17trampoline_kernelINS0_14default_configENS1_25partition_config_selectorILNS1_17partition_subalgoE9EllbEEZZNS1_14partition_implILS5_9ELb0ES3_jPlS8_PNS0_10empty_typeENS0_5tupleIJS8_S9_EEENSB_IJS8_SA_EEENS0_18inequality_wrapperIZN2at6native12_GLOBAL__N_124unique_dim_cuda_templateIN3c108BFloat16EEESt5tupleIJNSF_6TensorESM_SM_EERKSM_lbbbEUlllE0_EEPmJS9_EEE10hipError_tPvRmT3_T4_T5_T6_T7_T9_mT8_P12ihipStream_tbDpT10_ENKUlT_T0_E_clISt17integral_constantIbLb0EES1C_EEDaS17_S18_EUlS17_E_NS1_11comp_targetILNS1_3genE4ELNS1_11target_archE910ELNS1_3gpuE8ELNS1_3repE0EEENS1_30default_config_static_selectorELNS0_4arch9wavefront6targetE1EEEvT1_ ; -- Begin function _ZN7rocprim17ROCPRIM_400000_NS6detail17trampoline_kernelINS0_14default_configENS1_25partition_config_selectorILNS1_17partition_subalgoE9EllbEEZZNS1_14partition_implILS5_9ELb0ES3_jPlS8_PNS0_10empty_typeENS0_5tupleIJS8_S9_EEENSB_IJS8_SA_EEENS0_18inequality_wrapperIZN2at6native12_GLOBAL__N_124unique_dim_cuda_templateIN3c108BFloat16EEESt5tupleIJNSF_6TensorESM_SM_EERKSM_lbbbEUlllE0_EEPmJS9_EEE10hipError_tPvRmT3_T4_T5_T6_T7_T9_mT8_P12ihipStream_tbDpT10_ENKUlT_T0_E_clISt17integral_constantIbLb0EES1C_EEDaS17_S18_EUlS17_E_NS1_11comp_targetILNS1_3genE4ELNS1_11target_archE910ELNS1_3gpuE8ELNS1_3repE0EEENS1_30default_config_static_selectorELNS0_4arch9wavefront6targetE1EEEvT1_
	.p2align	8
	.type	_ZN7rocprim17ROCPRIM_400000_NS6detail17trampoline_kernelINS0_14default_configENS1_25partition_config_selectorILNS1_17partition_subalgoE9EllbEEZZNS1_14partition_implILS5_9ELb0ES3_jPlS8_PNS0_10empty_typeENS0_5tupleIJS8_S9_EEENSB_IJS8_SA_EEENS0_18inequality_wrapperIZN2at6native12_GLOBAL__N_124unique_dim_cuda_templateIN3c108BFloat16EEESt5tupleIJNSF_6TensorESM_SM_EERKSM_lbbbEUlllE0_EEPmJS9_EEE10hipError_tPvRmT3_T4_T5_T6_T7_T9_mT8_P12ihipStream_tbDpT10_ENKUlT_T0_E_clISt17integral_constantIbLb0EES1C_EEDaS17_S18_EUlS17_E_NS1_11comp_targetILNS1_3genE4ELNS1_11target_archE910ELNS1_3gpuE8ELNS1_3repE0EEENS1_30default_config_static_selectorELNS0_4arch9wavefront6targetE1EEEvT1_,@function
_ZN7rocprim17ROCPRIM_400000_NS6detail17trampoline_kernelINS0_14default_configENS1_25partition_config_selectorILNS1_17partition_subalgoE9EllbEEZZNS1_14partition_implILS5_9ELb0ES3_jPlS8_PNS0_10empty_typeENS0_5tupleIJS8_S9_EEENSB_IJS8_SA_EEENS0_18inequality_wrapperIZN2at6native12_GLOBAL__N_124unique_dim_cuda_templateIN3c108BFloat16EEESt5tupleIJNSF_6TensorESM_SM_EERKSM_lbbbEUlllE0_EEPmJS9_EEE10hipError_tPvRmT3_T4_T5_T6_T7_T9_mT8_P12ihipStream_tbDpT10_ENKUlT_T0_E_clISt17integral_constantIbLb0EES1C_EEDaS17_S18_EUlS17_E_NS1_11comp_targetILNS1_3genE4ELNS1_11target_archE910ELNS1_3gpuE8ELNS1_3repE0EEENS1_30default_config_static_selectorELNS0_4arch9wavefront6targetE1EEEvT1_: ; @_ZN7rocprim17ROCPRIM_400000_NS6detail17trampoline_kernelINS0_14default_configENS1_25partition_config_selectorILNS1_17partition_subalgoE9EllbEEZZNS1_14partition_implILS5_9ELb0ES3_jPlS8_PNS0_10empty_typeENS0_5tupleIJS8_S9_EEENSB_IJS8_SA_EEENS0_18inequality_wrapperIZN2at6native12_GLOBAL__N_124unique_dim_cuda_templateIN3c108BFloat16EEESt5tupleIJNSF_6TensorESM_SM_EERKSM_lbbbEUlllE0_EEPmJS9_EEE10hipError_tPvRmT3_T4_T5_T6_T7_T9_mT8_P12ihipStream_tbDpT10_ENKUlT_T0_E_clISt17integral_constantIbLb0EES1C_EEDaS17_S18_EUlS17_E_NS1_11comp_targetILNS1_3genE4ELNS1_11target_archE910ELNS1_3gpuE8ELNS1_3repE0EEENS1_30default_config_static_selectorELNS0_4arch9wavefront6targetE1EEEvT1_
; %bb.0:
	.section	.rodata,"a",@progbits
	.p2align	6, 0x0
	.amdhsa_kernel _ZN7rocprim17ROCPRIM_400000_NS6detail17trampoline_kernelINS0_14default_configENS1_25partition_config_selectorILNS1_17partition_subalgoE9EllbEEZZNS1_14partition_implILS5_9ELb0ES3_jPlS8_PNS0_10empty_typeENS0_5tupleIJS8_S9_EEENSB_IJS8_SA_EEENS0_18inequality_wrapperIZN2at6native12_GLOBAL__N_124unique_dim_cuda_templateIN3c108BFloat16EEESt5tupleIJNSF_6TensorESM_SM_EERKSM_lbbbEUlllE0_EEPmJS9_EEE10hipError_tPvRmT3_T4_T5_T6_T7_T9_mT8_P12ihipStream_tbDpT10_ENKUlT_T0_E_clISt17integral_constantIbLb0EES1C_EEDaS17_S18_EUlS17_E_NS1_11comp_targetILNS1_3genE4ELNS1_11target_archE910ELNS1_3gpuE8ELNS1_3repE0EEENS1_30default_config_static_selectorELNS0_4arch9wavefront6targetE1EEEvT1_
		.amdhsa_group_segment_fixed_size 0
		.amdhsa_private_segment_fixed_size 0
		.amdhsa_kernarg_size 120
		.amdhsa_user_sgpr_count 2
		.amdhsa_user_sgpr_dispatch_ptr 0
		.amdhsa_user_sgpr_queue_ptr 0
		.amdhsa_user_sgpr_kernarg_segment_ptr 1
		.amdhsa_user_sgpr_dispatch_id 0
		.amdhsa_user_sgpr_kernarg_preload_length 0
		.amdhsa_user_sgpr_kernarg_preload_offset 0
		.amdhsa_user_sgpr_private_segment_size 0
		.amdhsa_uses_dynamic_stack 0
		.amdhsa_enable_private_segment 0
		.amdhsa_system_sgpr_workgroup_id_x 1
		.amdhsa_system_sgpr_workgroup_id_y 0
		.amdhsa_system_sgpr_workgroup_id_z 0
		.amdhsa_system_sgpr_workgroup_info 0
		.amdhsa_system_vgpr_workitem_id 0
		.amdhsa_next_free_vgpr 1
		.amdhsa_next_free_sgpr 0
		.amdhsa_accum_offset 4
		.amdhsa_reserve_vcc 0
		.amdhsa_float_round_mode_32 0
		.amdhsa_float_round_mode_16_64 0
		.amdhsa_float_denorm_mode_32 3
		.amdhsa_float_denorm_mode_16_64 3
		.amdhsa_dx10_clamp 1
		.amdhsa_ieee_mode 1
		.amdhsa_fp16_overflow 0
		.amdhsa_tg_split 0
		.amdhsa_exception_fp_ieee_invalid_op 0
		.amdhsa_exception_fp_denorm_src 0
		.amdhsa_exception_fp_ieee_div_zero 0
		.amdhsa_exception_fp_ieee_overflow 0
		.amdhsa_exception_fp_ieee_underflow 0
		.amdhsa_exception_fp_ieee_inexact 0
		.amdhsa_exception_int_div_zero 0
	.end_amdhsa_kernel
	.section	.text._ZN7rocprim17ROCPRIM_400000_NS6detail17trampoline_kernelINS0_14default_configENS1_25partition_config_selectorILNS1_17partition_subalgoE9EllbEEZZNS1_14partition_implILS5_9ELb0ES3_jPlS8_PNS0_10empty_typeENS0_5tupleIJS8_S9_EEENSB_IJS8_SA_EEENS0_18inequality_wrapperIZN2at6native12_GLOBAL__N_124unique_dim_cuda_templateIN3c108BFloat16EEESt5tupleIJNSF_6TensorESM_SM_EERKSM_lbbbEUlllE0_EEPmJS9_EEE10hipError_tPvRmT3_T4_T5_T6_T7_T9_mT8_P12ihipStream_tbDpT10_ENKUlT_T0_E_clISt17integral_constantIbLb0EES1C_EEDaS17_S18_EUlS17_E_NS1_11comp_targetILNS1_3genE4ELNS1_11target_archE910ELNS1_3gpuE8ELNS1_3repE0EEENS1_30default_config_static_selectorELNS0_4arch9wavefront6targetE1EEEvT1_,"axG",@progbits,_ZN7rocprim17ROCPRIM_400000_NS6detail17trampoline_kernelINS0_14default_configENS1_25partition_config_selectorILNS1_17partition_subalgoE9EllbEEZZNS1_14partition_implILS5_9ELb0ES3_jPlS8_PNS0_10empty_typeENS0_5tupleIJS8_S9_EEENSB_IJS8_SA_EEENS0_18inequality_wrapperIZN2at6native12_GLOBAL__N_124unique_dim_cuda_templateIN3c108BFloat16EEESt5tupleIJNSF_6TensorESM_SM_EERKSM_lbbbEUlllE0_EEPmJS9_EEE10hipError_tPvRmT3_T4_T5_T6_T7_T9_mT8_P12ihipStream_tbDpT10_ENKUlT_T0_E_clISt17integral_constantIbLb0EES1C_EEDaS17_S18_EUlS17_E_NS1_11comp_targetILNS1_3genE4ELNS1_11target_archE910ELNS1_3gpuE8ELNS1_3repE0EEENS1_30default_config_static_selectorELNS0_4arch9wavefront6targetE1EEEvT1_,comdat
.Lfunc_end1208:
	.size	_ZN7rocprim17ROCPRIM_400000_NS6detail17trampoline_kernelINS0_14default_configENS1_25partition_config_selectorILNS1_17partition_subalgoE9EllbEEZZNS1_14partition_implILS5_9ELb0ES3_jPlS8_PNS0_10empty_typeENS0_5tupleIJS8_S9_EEENSB_IJS8_SA_EEENS0_18inequality_wrapperIZN2at6native12_GLOBAL__N_124unique_dim_cuda_templateIN3c108BFloat16EEESt5tupleIJNSF_6TensorESM_SM_EERKSM_lbbbEUlllE0_EEPmJS9_EEE10hipError_tPvRmT3_T4_T5_T6_T7_T9_mT8_P12ihipStream_tbDpT10_ENKUlT_T0_E_clISt17integral_constantIbLb0EES1C_EEDaS17_S18_EUlS17_E_NS1_11comp_targetILNS1_3genE4ELNS1_11target_archE910ELNS1_3gpuE8ELNS1_3repE0EEENS1_30default_config_static_selectorELNS0_4arch9wavefront6targetE1EEEvT1_, .Lfunc_end1208-_ZN7rocprim17ROCPRIM_400000_NS6detail17trampoline_kernelINS0_14default_configENS1_25partition_config_selectorILNS1_17partition_subalgoE9EllbEEZZNS1_14partition_implILS5_9ELb0ES3_jPlS8_PNS0_10empty_typeENS0_5tupleIJS8_S9_EEENSB_IJS8_SA_EEENS0_18inequality_wrapperIZN2at6native12_GLOBAL__N_124unique_dim_cuda_templateIN3c108BFloat16EEESt5tupleIJNSF_6TensorESM_SM_EERKSM_lbbbEUlllE0_EEPmJS9_EEE10hipError_tPvRmT3_T4_T5_T6_T7_T9_mT8_P12ihipStream_tbDpT10_ENKUlT_T0_E_clISt17integral_constantIbLb0EES1C_EEDaS17_S18_EUlS17_E_NS1_11comp_targetILNS1_3genE4ELNS1_11target_archE910ELNS1_3gpuE8ELNS1_3repE0EEENS1_30default_config_static_selectorELNS0_4arch9wavefront6targetE1EEEvT1_
                                        ; -- End function
	.set _ZN7rocprim17ROCPRIM_400000_NS6detail17trampoline_kernelINS0_14default_configENS1_25partition_config_selectorILNS1_17partition_subalgoE9EllbEEZZNS1_14partition_implILS5_9ELb0ES3_jPlS8_PNS0_10empty_typeENS0_5tupleIJS8_S9_EEENSB_IJS8_SA_EEENS0_18inequality_wrapperIZN2at6native12_GLOBAL__N_124unique_dim_cuda_templateIN3c108BFloat16EEESt5tupleIJNSF_6TensorESM_SM_EERKSM_lbbbEUlllE0_EEPmJS9_EEE10hipError_tPvRmT3_T4_T5_T6_T7_T9_mT8_P12ihipStream_tbDpT10_ENKUlT_T0_E_clISt17integral_constantIbLb0EES1C_EEDaS17_S18_EUlS17_E_NS1_11comp_targetILNS1_3genE4ELNS1_11target_archE910ELNS1_3gpuE8ELNS1_3repE0EEENS1_30default_config_static_selectorELNS0_4arch9wavefront6targetE1EEEvT1_.num_vgpr, 0
	.set _ZN7rocprim17ROCPRIM_400000_NS6detail17trampoline_kernelINS0_14default_configENS1_25partition_config_selectorILNS1_17partition_subalgoE9EllbEEZZNS1_14partition_implILS5_9ELb0ES3_jPlS8_PNS0_10empty_typeENS0_5tupleIJS8_S9_EEENSB_IJS8_SA_EEENS0_18inequality_wrapperIZN2at6native12_GLOBAL__N_124unique_dim_cuda_templateIN3c108BFloat16EEESt5tupleIJNSF_6TensorESM_SM_EERKSM_lbbbEUlllE0_EEPmJS9_EEE10hipError_tPvRmT3_T4_T5_T6_T7_T9_mT8_P12ihipStream_tbDpT10_ENKUlT_T0_E_clISt17integral_constantIbLb0EES1C_EEDaS17_S18_EUlS17_E_NS1_11comp_targetILNS1_3genE4ELNS1_11target_archE910ELNS1_3gpuE8ELNS1_3repE0EEENS1_30default_config_static_selectorELNS0_4arch9wavefront6targetE1EEEvT1_.num_agpr, 0
	.set _ZN7rocprim17ROCPRIM_400000_NS6detail17trampoline_kernelINS0_14default_configENS1_25partition_config_selectorILNS1_17partition_subalgoE9EllbEEZZNS1_14partition_implILS5_9ELb0ES3_jPlS8_PNS0_10empty_typeENS0_5tupleIJS8_S9_EEENSB_IJS8_SA_EEENS0_18inequality_wrapperIZN2at6native12_GLOBAL__N_124unique_dim_cuda_templateIN3c108BFloat16EEESt5tupleIJNSF_6TensorESM_SM_EERKSM_lbbbEUlllE0_EEPmJS9_EEE10hipError_tPvRmT3_T4_T5_T6_T7_T9_mT8_P12ihipStream_tbDpT10_ENKUlT_T0_E_clISt17integral_constantIbLb0EES1C_EEDaS17_S18_EUlS17_E_NS1_11comp_targetILNS1_3genE4ELNS1_11target_archE910ELNS1_3gpuE8ELNS1_3repE0EEENS1_30default_config_static_selectorELNS0_4arch9wavefront6targetE1EEEvT1_.numbered_sgpr, 0
	.set _ZN7rocprim17ROCPRIM_400000_NS6detail17trampoline_kernelINS0_14default_configENS1_25partition_config_selectorILNS1_17partition_subalgoE9EllbEEZZNS1_14partition_implILS5_9ELb0ES3_jPlS8_PNS0_10empty_typeENS0_5tupleIJS8_S9_EEENSB_IJS8_SA_EEENS0_18inequality_wrapperIZN2at6native12_GLOBAL__N_124unique_dim_cuda_templateIN3c108BFloat16EEESt5tupleIJNSF_6TensorESM_SM_EERKSM_lbbbEUlllE0_EEPmJS9_EEE10hipError_tPvRmT3_T4_T5_T6_T7_T9_mT8_P12ihipStream_tbDpT10_ENKUlT_T0_E_clISt17integral_constantIbLb0EES1C_EEDaS17_S18_EUlS17_E_NS1_11comp_targetILNS1_3genE4ELNS1_11target_archE910ELNS1_3gpuE8ELNS1_3repE0EEENS1_30default_config_static_selectorELNS0_4arch9wavefront6targetE1EEEvT1_.num_named_barrier, 0
	.set _ZN7rocprim17ROCPRIM_400000_NS6detail17trampoline_kernelINS0_14default_configENS1_25partition_config_selectorILNS1_17partition_subalgoE9EllbEEZZNS1_14partition_implILS5_9ELb0ES3_jPlS8_PNS0_10empty_typeENS0_5tupleIJS8_S9_EEENSB_IJS8_SA_EEENS0_18inequality_wrapperIZN2at6native12_GLOBAL__N_124unique_dim_cuda_templateIN3c108BFloat16EEESt5tupleIJNSF_6TensorESM_SM_EERKSM_lbbbEUlllE0_EEPmJS9_EEE10hipError_tPvRmT3_T4_T5_T6_T7_T9_mT8_P12ihipStream_tbDpT10_ENKUlT_T0_E_clISt17integral_constantIbLb0EES1C_EEDaS17_S18_EUlS17_E_NS1_11comp_targetILNS1_3genE4ELNS1_11target_archE910ELNS1_3gpuE8ELNS1_3repE0EEENS1_30default_config_static_selectorELNS0_4arch9wavefront6targetE1EEEvT1_.private_seg_size, 0
	.set _ZN7rocprim17ROCPRIM_400000_NS6detail17trampoline_kernelINS0_14default_configENS1_25partition_config_selectorILNS1_17partition_subalgoE9EllbEEZZNS1_14partition_implILS5_9ELb0ES3_jPlS8_PNS0_10empty_typeENS0_5tupleIJS8_S9_EEENSB_IJS8_SA_EEENS0_18inequality_wrapperIZN2at6native12_GLOBAL__N_124unique_dim_cuda_templateIN3c108BFloat16EEESt5tupleIJNSF_6TensorESM_SM_EERKSM_lbbbEUlllE0_EEPmJS9_EEE10hipError_tPvRmT3_T4_T5_T6_T7_T9_mT8_P12ihipStream_tbDpT10_ENKUlT_T0_E_clISt17integral_constantIbLb0EES1C_EEDaS17_S18_EUlS17_E_NS1_11comp_targetILNS1_3genE4ELNS1_11target_archE910ELNS1_3gpuE8ELNS1_3repE0EEENS1_30default_config_static_selectorELNS0_4arch9wavefront6targetE1EEEvT1_.uses_vcc, 0
	.set _ZN7rocprim17ROCPRIM_400000_NS6detail17trampoline_kernelINS0_14default_configENS1_25partition_config_selectorILNS1_17partition_subalgoE9EllbEEZZNS1_14partition_implILS5_9ELb0ES3_jPlS8_PNS0_10empty_typeENS0_5tupleIJS8_S9_EEENSB_IJS8_SA_EEENS0_18inequality_wrapperIZN2at6native12_GLOBAL__N_124unique_dim_cuda_templateIN3c108BFloat16EEESt5tupleIJNSF_6TensorESM_SM_EERKSM_lbbbEUlllE0_EEPmJS9_EEE10hipError_tPvRmT3_T4_T5_T6_T7_T9_mT8_P12ihipStream_tbDpT10_ENKUlT_T0_E_clISt17integral_constantIbLb0EES1C_EEDaS17_S18_EUlS17_E_NS1_11comp_targetILNS1_3genE4ELNS1_11target_archE910ELNS1_3gpuE8ELNS1_3repE0EEENS1_30default_config_static_selectorELNS0_4arch9wavefront6targetE1EEEvT1_.uses_flat_scratch, 0
	.set _ZN7rocprim17ROCPRIM_400000_NS6detail17trampoline_kernelINS0_14default_configENS1_25partition_config_selectorILNS1_17partition_subalgoE9EllbEEZZNS1_14partition_implILS5_9ELb0ES3_jPlS8_PNS0_10empty_typeENS0_5tupleIJS8_S9_EEENSB_IJS8_SA_EEENS0_18inequality_wrapperIZN2at6native12_GLOBAL__N_124unique_dim_cuda_templateIN3c108BFloat16EEESt5tupleIJNSF_6TensorESM_SM_EERKSM_lbbbEUlllE0_EEPmJS9_EEE10hipError_tPvRmT3_T4_T5_T6_T7_T9_mT8_P12ihipStream_tbDpT10_ENKUlT_T0_E_clISt17integral_constantIbLb0EES1C_EEDaS17_S18_EUlS17_E_NS1_11comp_targetILNS1_3genE4ELNS1_11target_archE910ELNS1_3gpuE8ELNS1_3repE0EEENS1_30default_config_static_selectorELNS0_4arch9wavefront6targetE1EEEvT1_.has_dyn_sized_stack, 0
	.set _ZN7rocprim17ROCPRIM_400000_NS6detail17trampoline_kernelINS0_14default_configENS1_25partition_config_selectorILNS1_17partition_subalgoE9EllbEEZZNS1_14partition_implILS5_9ELb0ES3_jPlS8_PNS0_10empty_typeENS0_5tupleIJS8_S9_EEENSB_IJS8_SA_EEENS0_18inequality_wrapperIZN2at6native12_GLOBAL__N_124unique_dim_cuda_templateIN3c108BFloat16EEESt5tupleIJNSF_6TensorESM_SM_EERKSM_lbbbEUlllE0_EEPmJS9_EEE10hipError_tPvRmT3_T4_T5_T6_T7_T9_mT8_P12ihipStream_tbDpT10_ENKUlT_T0_E_clISt17integral_constantIbLb0EES1C_EEDaS17_S18_EUlS17_E_NS1_11comp_targetILNS1_3genE4ELNS1_11target_archE910ELNS1_3gpuE8ELNS1_3repE0EEENS1_30default_config_static_selectorELNS0_4arch9wavefront6targetE1EEEvT1_.has_recursion, 0
	.set _ZN7rocprim17ROCPRIM_400000_NS6detail17trampoline_kernelINS0_14default_configENS1_25partition_config_selectorILNS1_17partition_subalgoE9EllbEEZZNS1_14partition_implILS5_9ELb0ES3_jPlS8_PNS0_10empty_typeENS0_5tupleIJS8_S9_EEENSB_IJS8_SA_EEENS0_18inequality_wrapperIZN2at6native12_GLOBAL__N_124unique_dim_cuda_templateIN3c108BFloat16EEESt5tupleIJNSF_6TensorESM_SM_EERKSM_lbbbEUlllE0_EEPmJS9_EEE10hipError_tPvRmT3_T4_T5_T6_T7_T9_mT8_P12ihipStream_tbDpT10_ENKUlT_T0_E_clISt17integral_constantIbLb0EES1C_EEDaS17_S18_EUlS17_E_NS1_11comp_targetILNS1_3genE4ELNS1_11target_archE910ELNS1_3gpuE8ELNS1_3repE0EEENS1_30default_config_static_selectorELNS0_4arch9wavefront6targetE1EEEvT1_.has_indirect_call, 0
	.section	.AMDGPU.csdata,"",@progbits
; Kernel info:
; codeLenInByte = 0
; TotalNumSgprs: 6
; NumVgprs: 0
; NumAgprs: 0
; TotalNumVgprs: 0
; ScratchSize: 0
; MemoryBound: 0
; FloatMode: 240
; IeeeMode: 1
; LDSByteSize: 0 bytes/workgroup (compile time only)
; SGPRBlocks: 0
; VGPRBlocks: 0
; NumSGPRsForWavesPerEU: 6
; NumVGPRsForWavesPerEU: 1
; AccumOffset: 4
; Occupancy: 8
; WaveLimiterHint : 0
; COMPUTE_PGM_RSRC2:SCRATCH_EN: 0
; COMPUTE_PGM_RSRC2:USER_SGPR: 2
; COMPUTE_PGM_RSRC2:TRAP_HANDLER: 0
; COMPUTE_PGM_RSRC2:TGID_X_EN: 1
; COMPUTE_PGM_RSRC2:TGID_Y_EN: 0
; COMPUTE_PGM_RSRC2:TGID_Z_EN: 0
; COMPUTE_PGM_RSRC2:TIDIG_COMP_CNT: 0
; COMPUTE_PGM_RSRC3_GFX90A:ACCUM_OFFSET: 0
; COMPUTE_PGM_RSRC3_GFX90A:TG_SPLIT: 0
	.section	.text._ZN7rocprim17ROCPRIM_400000_NS6detail17trampoline_kernelINS0_14default_configENS1_25partition_config_selectorILNS1_17partition_subalgoE9EllbEEZZNS1_14partition_implILS5_9ELb0ES3_jPlS8_PNS0_10empty_typeENS0_5tupleIJS8_S9_EEENSB_IJS8_SA_EEENS0_18inequality_wrapperIZN2at6native12_GLOBAL__N_124unique_dim_cuda_templateIN3c108BFloat16EEESt5tupleIJNSF_6TensorESM_SM_EERKSM_lbbbEUlllE0_EEPmJS9_EEE10hipError_tPvRmT3_T4_T5_T6_T7_T9_mT8_P12ihipStream_tbDpT10_ENKUlT_T0_E_clISt17integral_constantIbLb0EES1C_EEDaS17_S18_EUlS17_E_NS1_11comp_targetILNS1_3genE3ELNS1_11target_archE908ELNS1_3gpuE7ELNS1_3repE0EEENS1_30default_config_static_selectorELNS0_4arch9wavefront6targetE1EEEvT1_,"axG",@progbits,_ZN7rocprim17ROCPRIM_400000_NS6detail17trampoline_kernelINS0_14default_configENS1_25partition_config_selectorILNS1_17partition_subalgoE9EllbEEZZNS1_14partition_implILS5_9ELb0ES3_jPlS8_PNS0_10empty_typeENS0_5tupleIJS8_S9_EEENSB_IJS8_SA_EEENS0_18inequality_wrapperIZN2at6native12_GLOBAL__N_124unique_dim_cuda_templateIN3c108BFloat16EEESt5tupleIJNSF_6TensorESM_SM_EERKSM_lbbbEUlllE0_EEPmJS9_EEE10hipError_tPvRmT3_T4_T5_T6_T7_T9_mT8_P12ihipStream_tbDpT10_ENKUlT_T0_E_clISt17integral_constantIbLb0EES1C_EEDaS17_S18_EUlS17_E_NS1_11comp_targetILNS1_3genE3ELNS1_11target_archE908ELNS1_3gpuE7ELNS1_3repE0EEENS1_30default_config_static_selectorELNS0_4arch9wavefront6targetE1EEEvT1_,comdat
	.globl	_ZN7rocprim17ROCPRIM_400000_NS6detail17trampoline_kernelINS0_14default_configENS1_25partition_config_selectorILNS1_17partition_subalgoE9EllbEEZZNS1_14partition_implILS5_9ELb0ES3_jPlS8_PNS0_10empty_typeENS0_5tupleIJS8_S9_EEENSB_IJS8_SA_EEENS0_18inequality_wrapperIZN2at6native12_GLOBAL__N_124unique_dim_cuda_templateIN3c108BFloat16EEESt5tupleIJNSF_6TensorESM_SM_EERKSM_lbbbEUlllE0_EEPmJS9_EEE10hipError_tPvRmT3_T4_T5_T6_T7_T9_mT8_P12ihipStream_tbDpT10_ENKUlT_T0_E_clISt17integral_constantIbLb0EES1C_EEDaS17_S18_EUlS17_E_NS1_11comp_targetILNS1_3genE3ELNS1_11target_archE908ELNS1_3gpuE7ELNS1_3repE0EEENS1_30default_config_static_selectorELNS0_4arch9wavefront6targetE1EEEvT1_ ; -- Begin function _ZN7rocprim17ROCPRIM_400000_NS6detail17trampoline_kernelINS0_14default_configENS1_25partition_config_selectorILNS1_17partition_subalgoE9EllbEEZZNS1_14partition_implILS5_9ELb0ES3_jPlS8_PNS0_10empty_typeENS0_5tupleIJS8_S9_EEENSB_IJS8_SA_EEENS0_18inequality_wrapperIZN2at6native12_GLOBAL__N_124unique_dim_cuda_templateIN3c108BFloat16EEESt5tupleIJNSF_6TensorESM_SM_EERKSM_lbbbEUlllE0_EEPmJS9_EEE10hipError_tPvRmT3_T4_T5_T6_T7_T9_mT8_P12ihipStream_tbDpT10_ENKUlT_T0_E_clISt17integral_constantIbLb0EES1C_EEDaS17_S18_EUlS17_E_NS1_11comp_targetILNS1_3genE3ELNS1_11target_archE908ELNS1_3gpuE7ELNS1_3repE0EEENS1_30default_config_static_selectorELNS0_4arch9wavefront6targetE1EEEvT1_
	.p2align	8
	.type	_ZN7rocprim17ROCPRIM_400000_NS6detail17trampoline_kernelINS0_14default_configENS1_25partition_config_selectorILNS1_17partition_subalgoE9EllbEEZZNS1_14partition_implILS5_9ELb0ES3_jPlS8_PNS0_10empty_typeENS0_5tupleIJS8_S9_EEENSB_IJS8_SA_EEENS0_18inequality_wrapperIZN2at6native12_GLOBAL__N_124unique_dim_cuda_templateIN3c108BFloat16EEESt5tupleIJNSF_6TensorESM_SM_EERKSM_lbbbEUlllE0_EEPmJS9_EEE10hipError_tPvRmT3_T4_T5_T6_T7_T9_mT8_P12ihipStream_tbDpT10_ENKUlT_T0_E_clISt17integral_constantIbLb0EES1C_EEDaS17_S18_EUlS17_E_NS1_11comp_targetILNS1_3genE3ELNS1_11target_archE908ELNS1_3gpuE7ELNS1_3repE0EEENS1_30default_config_static_selectorELNS0_4arch9wavefront6targetE1EEEvT1_,@function
_ZN7rocprim17ROCPRIM_400000_NS6detail17trampoline_kernelINS0_14default_configENS1_25partition_config_selectorILNS1_17partition_subalgoE9EllbEEZZNS1_14partition_implILS5_9ELb0ES3_jPlS8_PNS0_10empty_typeENS0_5tupleIJS8_S9_EEENSB_IJS8_SA_EEENS0_18inequality_wrapperIZN2at6native12_GLOBAL__N_124unique_dim_cuda_templateIN3c108BFloat16EEESt5tupleIJNSF_6TensorESM_SM_EERKSM_lbbbEUlllE0_EEPmJS9_EEE10hipError_tPvRmT3_T4_T5_T6_T7_T9_mT8_P12ihipStream_tbDpT10_ENKUlT_T0_E_clISt17integral_constantIbLb0EES1C_EEDaS17_S18_EUlS17_E_NS1_11comp_targetILNS1_3genE3ELNS1_11target_archE908ELNS1_3gpuE7ELNS1_3repE0EEENS1_30default_config_static_selectorELNS0_4arch9wavefront6targetE1EEEvT1_: ; @_ZN7rocprim17ROCPRIM_400000_NS6detail17trampoline_kernelINS0_14default_configENS1_25partition_config_selectorILNS1_17partition_subalgoE9EllbEEZZNS1_14partition_implILS5_9ELb0ES3_jPlS8_PNS0_10empty_typeENS0_5tupleIJS8_S9_EEENSB_IJS8_SA_EEENS0_18inequality_wrapperIZN2at6native12_GLOBAL__N_124unique_dim_cuda_templateIN3c108BFloat16EEESt5tupleIJNSF_6TensorESM_SM_EERKSM_lbbbEUlllE0_EEPmJS9_EEE10hipError_tPvRmT3_T4_T5_T6_T7_T9_mT8_P12ihipStream_tbDpT10_ENKUlT_T0_E_clISt17integral_constantIbLb0EES1C_EEDaS17_S18_EUlS17_E_NS1_11comp_targetILNS1_3genE3ELNS1_11target_archE908ELNS1_3gpuE7ELNS1_3repE0EEENS1_30default_config_static_selectorELNS0_4arch9wavefront6targetE1EEEvT1_
; %bb.0:
	.section	.rodata,"a",@progbits
	.p2align	6, 0x0
	.amdhsa_kernel _ZN7rocprim17ROCPRIM_400000_NS6detail17trampoline_kernelINS0_14default_configENS1_25partition_config_selectorILNS1_17partition_subalgoE9EllbEEZZNS1_14partition_implILS5_9ELb0ES3_jPlS8_PNS0_10empty_typeENS0_5tupleIJS8_S9_EEENSB_IJS8_SA_EEENS0_18inequality_wrapperIZN2at6native12_GLOBAL__N_124unique_dim_cuda_templateIN3c108BFloat16EEESt5tupleIJNSF_6TensorESM_SM_EERKSM_lbbbEUlllE0_EEPmJS9_EEE10hipError_tPvRmT3_T4_T5_T6_T7_T9_mT8_P12ihipStream_tbDpT10_ENKUlT_T0_E_clISt17integral_constantIbLb0EES1C_EEDaS17_S18_EUlS17_E_NS1_11comp_targetILNS1_3genE3ELNS1_11target_archE908ELNS1_3gpuE7ELNS1_3repE0EEENS1_30default_config_static_selectorELNS0_4arch9wavefront6targetE1EEEvT1_
		.amdhsa_group_segment_fixed_size 0
		.amdhsa_private_segment_fixed_size 0
		.amdhsa_kernarg_size 120
		.amdhsa_user_sgpr_count 2
		.amdhsa_user_sgpr_dispatch_ptr 0
		.amdhsa_user_sgpr_queue_ptr 0
		.amdhsa_user_sgpr_kernarg_segment_ptr 1
		.amdhsa_user_sgpr_dispatch_id 0
		.amdhsa_user_sgpr_kernarg_preload_length 0
		.amdhsa_user_sgpr_kernarg_preload_offset 0
		.amdhsa_user_sgpr_private_segment_size 0
		.amdhsa_uses_dynamic_stack 0
		.amdhsa_enable_private_segment 0
		.amdhsa_system_sgpr_workgroup_id_x 1
		.amdhsa_system_sgpr_workgroup_id_y 0
		.amdhsa_system_sgpr_workgroup_id_z 0
		.amdhsa_system_sgpr_workgroup_info 0
		.amdhsa_system_vgpr_workitem_id 0
		.amdhsa_next_free_vgpr 1
		.amdhsa_next_free_sgpr 0
		.amdhsa_accum_offset 4
		.amdhsa_reserve_vcc 0
		.amdhsa_float_round_mode_32 0
		.amdhsa_float_round_mode_16_64 0
		.amdhsa_float_denorm_mode_32 3
		.amdhsa_float_denorm_mode_16_64 3
		.amdhsa_dx10_clamp 1
		.amdhsa_ieee_mode 1
		.amdhsa_fp16_overflow 0
		.amdhsa_tg_split 0
		.amdhsa_exception_fp_ieee_invalid_op 0
		.amdhsa_exception_fp_denorm_src 0
		.amdhsa_exception_fp_ieee_div_zero 0
		.amdhsa_exception_fp_ieee_overflow 0
		.amdhsa_exception_fp_ieee_underflow 0
		.amdhsa_exception_fp_ieee_inexact 0
		.amdhsa_exception_int_div_zero 0
	.end_amdhsa_kernel
	.section	.text._ZN7rocprim17ROCPRIM_400000_NS6detail17trampoline_kernelINS0_14default_configENS1_25partition_config_selectorILNS1_17partition_subalgoE9EllbEEZZNS1_14partition_implILS5_9ELb0ES3_jPlS8_PNS0_10empty_typeENS0_5tupleIJS8_S9_EEENSB_IJS8_SA_EEENS0_18inequality_wrapperIZN2at6native12_GLOBAL__N_124unique_dim_cuda_templateIN3c108BFloat16EEESt5tupleIJNSF_6TensorESM_SM_EERKSM_lbbbEUlllE0_EEPmJS9_EEE10hipError_tPvRmT3_T4_T5_T6_T7_T9_mT8_P12ihipStream_tbDpT10_ENKUlT_T0_E_clISt17integral_constantIbLb0EES1C_EEDaS17_S18_EUlS17_E_NS1_11comp_targetILNS1_3genE3ELNS1_11target_archE908ELNS1_3gpuE7ELNS1_3repE0EEENS1_30default_config_static_selectorELNS0_4arch9wavefront6targetE1EEEvT1_,"axG",@progbits,_ZN7rocprim17ROCPRIM_400000_NS6detail17trampoline_kernelINS0_14default_configENS1_25partition_config_selectorILNS1_17partition_subalgoE9EllbEEZZNS1_14partition_implILS5_9ELb0ES3_jPlS8_PNS0_10empty_typeENS0_5tupleIJS8_S9_EEENSB_IJS8_SA_EEENS0_18inequality_wrapperIZN2at6native12_GLOBAL__N_124unique_dim_cuda_templateIN3c108BFloat16EEESt5tupleIJNSF_6TensorESM_SM_EERKSM_lbbbEUlllE0_EEPmJS9_EEE10hipError_tPvRmT3_T4_T5_T6_T7_T9_mT8_P12ihipStream_tbDpT10_ENKUlT_T0_E_clISt17integral_constantIbLb0EES1C_EEDaS17_S18_EUlS17_E_NS1_11comp_targetILNS1_3genE3ELNS1_11target_archE908ELNS1_3gpuE7ELNS1_3repE0EEENS1_30default_config_static_selectorELNS0_4arch9wavefront6targetE1EEEvT1_,comdat
.Lfunc_end1209:
	.size	_ZN7rocprim17ROCPRIM_400000_NS6detail17trampoline_kernelINS0_14default_configENS1_25partition_config_selectorILNS1_17partition_subalgoE9EllbEEZZNS1_14partition_implILS5_9ELb0ES3_jPlS8_PNS0_10empty_typeENS0_5tupleIJS8_S9_EEENSB_IJS8_SA_EEENS0_18inequality_wrapperIZN2at6native12_GLOBAL__N_124unique_dim_cuda_templateIN3c108BFloat16EEESt5tupleIJNSF_6TensorESM_SM_EERKSM_lbbbEUlllE0_EEPmJS9_EEE10hipError_tPvRmT3_T4_T5_T6_T7_T9_mT8_P12ihipStream_tbDpT10_ENKUlT_T0_E_clISt17integral_constantIbLb0EES1C_EEDaS17_S18_EUlS17_E_NS1_11comp_targetILNS1_3genE3ELNS1_11target_archE908ELNS1_3gpuE7ELNS1_3repE0EEENS1_30default_config_static_selectorELNS0_4arch9wavefront6targetE1EEEvT1_, .Lfunc_end1209-_ZN7rocprim17ROCPRIM_400000_NS6detail17trampoline_kernelINS0_14default_configENS1_25partition_config_selectorILNS1_17partition_subalgoE9EllbEEZZNS1_14partition_implILS5_9ELb0ES3_jPlS8_PNS0_10empty_typeENS0_5tupleIJS8_S9_EEENSB_IJS8_SA_EEENS0_18inequality_wrapperIZN2at6native12_GLOBAL__N_124unique_dim_cuda_templateIN3c108BFloat16EEESt5tupleIJNSF_6TensorESM_SM_EERKSM_lbbbEUlllE0_EEPmJS9_EEE10hipError_tPvRmT3_T4_T5_T6_T7_T9_mT8_P12ihipStream_tbDpT10_ENKUlT_T0_E_clISt17integral_constantIbLb0EES1C_EEDaS17_S18_EUlS17_E_NS1_11comp_targetILNS1_3genE3ELNS1_11target_archE908ELNS1_3gpuE7ELNS1_3repE0EEENS1_30default_config_static_selectorELNS0_4arch9wavefront6targetE1EEEvT1_
                                        ; -- End function
	.set _ZN7rocprim17ROCPRIM_400000_NS6detail17trampoline_kernelINS0_14default_configENS1_25partition_config_selectorILNS1_17partition_subalgoE9EllbEEZZNS1_14partition_implILS5_9ELb0ES3_jPlS8_PNS0_10empty_typeENS0_5tupleIJS8_S9_EEENSB_IJS8_SA_EEENS0_18inequality_wrapperIZN2at6native12_GLOBAL__N_124unique_dim_cuda_templateIN3c108BFloat16EEESt5tupleIJNSF_6TensorESM_SM_EERKSM_lbbbEUlllE0_EEPmJS9_EEE10hipError_tPvRmT3_T4_T5_T6_T7_T9_mT8_P12ihipStream_tbDpT10_ENKUlT_T0_E_clISt17integral_constantIbLb0EES1C_EEDaS17_S18_EUlS17_E_NS1_11comp_targetILNS1_3genE3ELNS1_11target_archE908ELNS1_3gpuE7ELNS1_3repE0EEENS1_30default_config_static_selectorELNS0_4arch9wavefront6targetE1EEEvT1_.num_vgpr, 0
	.set _ZN7rocprim17ROCPRIM_400000_NS6detail17trampoline_kernelINS0_14default_configENS1_25partition_config_selectorILNS1_17partition_subalgoE9EllbEEZZNS1_14partition_implILS5_9ELb0ES3_jPlS8_PNS0_10empty_typeENS0_5tupleIJS8_S9_EEENSB_IJS8_SA_EEENS0_18inequality_wrapperIZN2at6native12_GLOBAL__N_124unique_dim_cuda_templateIN3c108BFloat16EEESt5tupleIJNSF_6TensorESM_SM_EERKSM_lbbbEUlllE0_EEPmJS9_EEE10hipError_tPvRmT3_T4_T5_T6_T7_T9_mT8_P12ihipStream_tbDpT10_ENKUlT_T0_E_clISt17integral_constantIbLb0EES1C_EEDaS17_S18_EUlS17_E_NS1_11comp_targetILNS1_3genE3ELNS1_11target_archE908ELNS1_3gpuE7ELNS1_3repE0EEENS1_30default_config_static_selectorELNS0_4arch9wavefront6targetE1EEEvT1_.num_agpr, 0
	.set _ZN7rocprim17ROCPRIM_400000_NS6detail17trampoline_kernelINS0_14default_configENS1_25partition_config_selectorILNS1_17partition_subalgoE9EllbEEZZNS1_14partition_implILS5_9ELb0ES3_jPlS8_PNS0_10empty_typeENS0_5tupleIJS8_S9_EEENSB_IJS8_SA_EEENS0_18inequality_wrapperIZN2at6native12_GLOBAL__N_124unique_dim_cuda_templateIN3c108BFloat16EEESt5tupleIJNSF_6TensorESM_SM_EERKSM_lbbbEUlllE0_EEPmJS9_EEE10hipError_tPvRmT3_T4_T5_T6_T7_T9_mT8_P12ihipStream_tbDpT10_ENKUlT_T0_E_clISt17integral_constantIbLb0EES1C_EEDaS17_S18_EUlS17_E_NS1_11comp_targetILNS1_3genE3ELNS1_11target_archE908ELNS1_3gpuE7ELNS1_3repE0EEENS1_30default_config_static_selectorELNS0_4arch9wavefront6targetE1EEEvT1_.numbered_sgpr, 0
	.set _ZN7rocprim17ROCPRIM_400000_NS6detail17trampoline_kernelINS0_14default_configENS1_25partition_config_selectorILNS1_17partition_subalgoE9EllbEEZZNS1_14partition_implILS5_9ELb0ES3_jPlS8_PNS0_10empty_typeENS0_5tupleIJS8_S9_EEENSB_IJS8_SA_EEENS0_18inequality_wrapperIZN2at6native12_GLOBAL__N_124unique_dim_cuda_templateIN3c108BFloat16EEESt5tupleIJNSF_6TensorESM_SM_EERKSM_lbbbEUlllE0_EEPmJS9_EEE10hipError_tPvRmT3_T4_T5_T6_T7_T9_mT8_P12ihipStream_tbDpT10_ENKUlT_T0_E_clISt17integral_constantIbLb0EES1C_EEDaS17_S18_EUlS17_E_NS1_11comp_targetILNS1_3genE3ELNS1_11target_archE908ELNS1_3gpuE7ELNS1_3repE0EEENS1_30default_config_static_selectorELNS0_4arch9wavefront6targetE1EEEvT1_.num_named_barrier, 0
	.set _ZN7rocprim17ROCPRIM_400000_NS6detail17trampoline_kernelINS0_14default_configENS1_25partition_config_selectorILNS1_17partition_subalgoE9EllbEEZZNS1_14partition_implILS5_9ELb0ES3_jPlS8_PNS0_10empty_typeENS0_5tupleIJS8_S9_EEENSB_IJS8_SA_EEENS0_18inequality_wrapperIZN2at6native12_GLOBAL__N_124unique_dim_cuda_templateIN3c108BFloat16EEESt5tupleIJNSF_6TensorESM_SM_EERKSM_lbbbEUlllE0_EEPmJS9_EEE10hipError_tPvRmT3_T4_T5_T6_T7_T9_mT8_P12ihipStream_tbDpT10_ENKUlT_T0_E_clISt17integral_constantIbLb0EES1C_EEDaS17_S18_EUlS17_E_NS1_11comp_targetILNS1_3genE3ELNS1_11target_archE908ELNS1_3gpuE7ELNS1_3repE0EEENS1_30default_config_static_selectorELNS0_4arch9wavefront6targetE1EEEvT1_.private_seg_size, 0
	.set _ZN7rocprim17ROCPRIM_400000_NS6detail17trampoline_kernelINS0_14default_configENS1_25partition_config_selectorILNS1_17partition_subalgoE9EllbEEZZNS1_14partition_implILS5_9ELb0ES3_jPlS8_PNS0_10empty_typeENS0_5tupleIJS8_S9_EEENSB_IJS8_SA_EEENS0_18inequality_wrapperIZN2at6native12_GLOBAL__N_124unique_dim_cuda_templateIN3c108BFloat16EEESt5tupleIJNSF_6TensorESM_SM_EERKSM_lbbbEUlllE0_EEPmJS9_EEE10hipError_tPvRmT3_T4_T5_T6_T7_T9_mT8_P12ihipStream_tbDpT10_ENKUlT_T0_E_clISt17integral_constantIbLb0EES1C_EEDaS17_S18_EUlS17_E_NS1_11comp_targetILNS1_3genE3ELNS1_11target_archE908ELNS1_3gpuE7ELNS1_3repE0EEENS1_30default_config_static_selectorELNS0_4arch9wavefront6targetE1EEEvT1_.uses_vcc, 0
	.set _ZN7rocprim17ROCPRIM_400000_NS6detail17trampoline_kernelINS0_14default_configENS1_25partition_config_selectorILNS1_17partition_subalgoE9EllbEEZZNS1_14partition_implILS5_9ELb0ES3_jPlS8_PNS0_10empty_typeENS0_5tupleIJS8_S9_EEENSB_IJS8_SA_EEENS0_18inequality_wrapperIZN2at6native12_GLOBAL__N_124unique_dim_cuda_templateIN3c108BFloat16EEESt5tupleIJNSF_6TensorESM_SM_EERKSM_lbbbEUlllE0_EEPmJS9_EEE10hipError_tPvRmT3_T4_T5_T6_T7_T9_mT8_P12ihipStream_tbDpT10_ENKUlT_T0_E_clISt17integral_constantIbLb0EES1C_EEDaS17_S18_EUlS17_E_NS1_11comp_targetILNS1_3genE3ELNS1_11target_archE908ELNS1_3gpuE7ELNS1_3repE0EEENS1_30default_config_static_selectorELNS0_4arch9wavefront6targetE1EEEvT1_.uses_flat_scratch, 0
	.set _ZN7rocprim17ROCPRIM_400000_NS6detail17trampoline_kernelINS0_14default_configENS1_25partition_config_selectorILNS1_17partition_subalgoE9EllbEEZZNS1_14partition_implILS5_9ELb0ES3_jPlS8_PNS0_10empty_typeENS0_5tupleIJS8_S9_EEENSB_IJS8_SA_EEENS0_18inequality_wrapperIZN2at6native12_GLOBAL__N_124unique_dim_cuda_templateIN3c108BFloat16EEESt5tupleIJNSF_6TensorESM_SM_EERKSM_lbbbEUlllE0_EEPmJS9_EEE10hipError_tPvRmT3_T4_T5_T6_T7_T9_mT8_P12ihipStream_tbDpT10_ENKUlT_T0_E_clISt17integral_constantIbLb0EES1C_EEDaS17_S18_EUlS17_E_NS1_11comp_targetILNS1_3genE3ELNS1_11target_archE908ELNS1_3gpuE7ELNS1_3repE0EEENS1_30default_config_static_selectorELNS0_4arch9wavefront6targetE1EEEvT1_.has_dyn_sized_stack, 0
	.set _ZN7rocprim17ROCPRIM_400000_NS6detail17trampoline_kernelINS0_14default_configENS1_25partition_config_selectorILNS1_17partition_subalgoE9EllbEEZZNS1_14partition_implILS5_9ELb0ES3_jPlS8_PNS0_10empty_typeENS0_5tupleIJS8_S9_EEENSB_IJS8_SA_EEENS0_18inequality_wrapperIZN2at6native12_GLOBAL__N_124unique_dim_cuda_templateIN3c108BFloat16EEESt5tupleIJNSF_6TensorESM_SM_EERKSM_lbbbEUlllE0_EEPmJS9_EEE10hipError_tPvRmT3_T4_T5_T6_T7_T9_mT8_P12ihipStream_tbDpT10_ENKUlT_T0_E_clISt17integral_constantIbLb0EES1C_EEDaS17_S18_EUlS17_E_NS1_11comp_targetILNS1_3genE3ELNS1_11target_archE908ELNS1_3gpuE7ELNS1_3repE0EEENS1_30default_config_static_selectorELNS0_4arch9wavefront6targetE1EEEvT1_.has_recursion, 0
	.set _ZN7rocprim17ROCPRIM_400000_NS6detail17trampoline_kernelINS0_14default_configENS1_25partition_config_selectorILNS1_17partition_subalgoE9EllbEEZZNS1_14partition_implILS5_9ELb0ES3_jPlS8_PNS0_10empty_typeENS0_5tupleIJS8_S9_EEENSB_IJS8_SA_EEENS0_18inequality_wrapperIZN2at6native12_GLOBAL__N_124unique_dim_cuda_templateIN3c108BFloat16EEESt5tupleIJNSF_6TensorESM_SM_EERKSM_lbbbEUlllE0_EEPmJS9_EEE10hipError_tPvRmT3_T4_T5_T6_T7_T9_mT8_P12ihipStream_tbDpT10_ENKUlT_T0_E_clISt17integral_constantIbLb0EES1C_EEDaS17_S18_EUlS17_E_NS1_11comp_targetILNS1_3genE3ELNS1_11target_archE908ELNS1_3gpuE7ELNS1_3repE0EEENS1_30default_config_static_selectorELNS0_4arch9wavefront6targetE1EEEvT1_.has_indirect_call, 0
	.section	.AMDGPU.csdata,"",@progbits
; Kernel info:
; codeLenInByte = 0
; TotalNumSgprs: 6
; NumVgprs: 0
; NumAgprs: 0
; TotalNumVgprs: 0
; ScratchSize: 0
; MemoryBound: 0
; FloatMode: 240
; IeeeMode: 1
; LDSByteSize: 0 bytes/workgroup (compile time only)
; SGPRBlocks: 0
; VGPRBlocks: 0
; NumSGPRsForWavesPerEU: 6
; NumVGPRsForWavesPerEU: 1
; AccumOffset: 4
; Occupancy: 8
; WaveLimiterHint : 0
; COMPUTE_PGM_RSRC2:SCRATCH_EN: 0
; COMPUTE_PGM_RSRC2:USER_SGPR: 2
; COMPUTE_PGM_RSRC2:TRAP_HANDLER: 0
; COMPUTE_PGM_RSRC2:TGID_X_EN: 1
; COMPUTE_PGM_RSRC2:TGID_Y_EN: 0
; COMPUTE_PGM_RSRC2:TGID_Z_EN: 0
; COMPUTE_PGM_RSRC2:TIDIG_COMP_CNT: 0
; COMPUTE_PGM_RSRC3_GFX90A:ACCUM_OFFSET: 0
; COMPUTE_PGM_RSRC3_GFX90A:TG_SPLIT: 0
	.section	.text._ZN7rocprim17ROCPRIM_400000_NS6detail17trampoline_kernelINS0_14default_configENS1_25partition_config_selectorILNS1_17partition_subalgoE9EllbEEZZNS1_14partition_implILS5_9ELb0ES3_jPlS8_PNS0_10empty_typeENS0_5tupleIJS8_S9_EEENSB_IJS8_SA_EEENS0_18inequality_wrapperIZN2at6native12_GLOBAL__N_124unique_dim_cuda_templateIN3c108BFloat16EEESt5tupleIJNSF_6TensorESM_SM_EERKSM_lbbbEUlllE0_EEPmJS9_EEE10hipError_tPvRmT3_T4_T5_T6_T7_T9_mT8_P12ihipStream_tbDpT10_ENKUlT_T0_E_clISt17integral_constantIbLb0EES1C_EEDaS17_S18_EUlS17_E_NS1_11comp_targetILNS1_3genE2ELNS1_11target_archE906ELNS1_3gpuE6ELNS1_3repE0EEENS1_30default_config_static_selectorELNS0_4arch9wavefront6targetE1EEEvT1_,"axG",@progbits,_ZN7rocprim17ROCPRIM_400000_NS6detail17trampoline_kernelINS0_14default_configENS1_25partition_config_selectorILNS1_17partition_subalgoE9EllbEEZZNS1_14partition_implILS5_9ELb0ES3_jPlS8_PNS0_10empty_typeENS0_5tupleIJS8_S9_EEENSB_IJS8_SA_EEENS0_18inequality_wrapperIZN2at6native12_GLOBAL__N_124unique_dim_cuda_templateIN3c108BFloat16EEESt5tupleIJNSF_6TensorESM_SM_EERKSM_lbbbEUlllE0_EEPmJS9_EEE10hipError_tPvRmT3_T4_T5_T6_T7_T9_mT8_P12ihipStream_tbDpT10_ENKUlT_T0_E_clISt17integral_constantIbLb0EES1C_EEDaS17_S18_EUlS17_E_NS1_11comp_targetILNS1_3genE2ELNS1_11target_archE906ELNS1_3gpuE6ELNS1_3repE0EEENS1_30default_config_static_selectorELNS0_4arch9wavefront6targetE1EEEvT1_,comdat
	.globl	_ZN7rocprim17ROCPRIM_400000_NS6detail17trampoline_kernelINS0_14default_configENS1_25partition_config_selectorILNS1_17partition_subalgoE9EllbEEZZNS1_14partition_implILS5_9ELb0ES3_jPlS8_PNS0_10empty_typeENS0_5tupleIJS8_S9_EEENSB_IJS8_SA_EEENS0_18inequality_wrapperIZN2at6native12_GLOBAL__N_124unique_dim_cuda_templateIN3c108BFloat16EEESt5tupleIJNSF_6TensorESM_SM_EERKSM_lbbbEUlllE0_EEPmJS9_EEE10hipError_tPvRmT3_T4_T5_T6_T7_T9_mT8_P12ihipStream_tbDpT10_ENKUlT_T0_E_clISt17integral_constantIbLb0EES1C_EEDaS17_S18_EUlS17_E_NS1_11comp_targetILNS1_3genE2ELNS1_11target_archE906ELNS1_3gpuE6ELNS1_3repE0EEENS1_30default_config_static_selectorELNS0_4arch9wavefront6targetE1EEEvT1_ ; -- Begin function _ZN7rocprim17ROCPRIM_400000_NS6detail17trampoline_kernelINS0_14default_configENS1_25partition_config_selectorILNS1_17partition_subalgoE9EllbEEZZNS1_14partition_implILS5_9ELb0ES3_jPlS8_PNS0_10empty_typeENS0_5tupleIJS8_S9_EEENSB_IJS8_SA_EEENS0_18inequality_wrapperIZN2at6native12_GLOBAL__N_124unique_dim_cuda_templateIN3c108BFloat16EEESt5tupleIJNSF_6TensorESM_SM_EERKSM_lbbbEUlllE0_EEPmJS9_EEE10hipError_tPvRmT3_T4_T5_T6_T7_T9_mT8_P12ihipStream_tbDpT10_ENKUlT_T0_E_clISt17integral_constantIbLb0EES1C_EEDaS17_S18_EUlS17_E_NS1_11comp_targetILNS1_3genE2ELNS1_11target_archE906ELNS1_3gpuE6ELNS1_3repE0EEENS1_30default_config_static_selectorELNS0_4arch9wavefront6targetE1EEEvT1_
	.p2align	8
	.type	_ZN7rocprim17ROCPRIM_400000_NS6detail17trampoline_kernelINS0_14default_configENS1_25partition_config_selectorILNS1_17partition_subalgoE9EllbEEZZNS1_14partition_implILS5_9ELb0ES3_jPlS8_PNS0_10empty_typeENS0_5tupleIJS8_S9_EEENSB_IJS8_SA_EEENS0_18inequality_wrapperIZN2at6native12_GLOBAL__N_124unique_dim_cuda_templateIN3c108BFloat16EEESt5tupleIJNSF_6TensorESM_SM_EERKSM_lbbbEUlllE0_EEPmJS9_EEE10hipError_tPvRmT3_T4_T5_T6_T7_T9_mT8_P12ihipStream_tbDpT10_ENKUlT_T0_E_clISt17integral_constantIbLb0EES1C_EEDaS17_S18_EUlS17_E_NS1_11comp_targetILNS1_3genE2ELNS1_11target_archE906ELNS1_3gpuE6ELNS1_3repE0EEENS1_30default_config_static_selectorELNS0_4arch9wavefront6targetE1EEEvT1_,@function
_ZN7rocprim17ROCPRIM_400000_NS6detail17trampoline_kernelINS0_14default_configENS1_25partition_config_selectorILNS1_17partition_subalgoE9EllbEEZZNS1_14partition_implILS5_9ELb0ES3_jPlS8_PNS0_10empty_typeENS0_5tupleIJS8_S9_EEENSB_IJS8_SA_EEENS0_18inequality_wrapperIZN2at6native12_GLOBAL__N_124unique_dim_cuda_templateIN3c108BFloat16EEESt5tupleIJNSF_6TensorESM_SM_EERKSM_lbbbEUlllE0_EEPmJS9_EEE10hipError_tPvRmT3_T4_T5_T6_T7_T9_mT8_P12ihipStream_tbDpT10_ENKUlT_T0_E_clISt17integral_constantIbLb0EES1C_EEDaS17_S18_EUlS17_E_NS1_11comp_targetILNS1_3genE2ELNS1_11target_archE906ELNS1_3gpuE6ELNS1_3repE0EEENS1_30default_config_static_selectorELNS0_4arch9wavefront6targetE1EEEvT1_: ; @_ZN7rocprim17ROCPRIM_400000_NS6detail17trampoline_kernelINS0_14default_configENS1_25partition_config_selectorILNS1_17partition_subalgoE9EllbEEZZNS1_14partition_implILS5_9ELb0ES3_jPlS8_PNS0_10empty_typeENS0_5tupleIJS8_S9_EEENSB_IJS8_SA_EEENS0_18inequality_wrapperIZN2at6native12_GLOBAL__N_124unique_dim_cuda_templateIN3c108BFloat16EEESt5tupleIJNSF_6TensorESM_SM_EERKSM_lbbbEUlllE0_EEPmJS9_EEE10hipError_tPvRmT3_T4_T5_T6_T7_T9_mT8_P12ihipStream_tbDpT10_ENKUlT_T0_E_clISt17integral_constantIbLb0EES1C_EEDaS17_S18_EUlS17_E_NS1_11comp_targetILNS1_3genE2ELNS1_11target_archE906ELNS1_3gpuE6ELNS1_3repE0EEENS1_30default_config_static_selectorELNS0_4arch9wavefront6targetE1EEEvT1_
; %bb.0:
	.section	.rodata,"a",@progbits
	.p2align	6, 0x0
	.amdhsa_kernel _ZN7rocprim17ROCPRIM_400000_NS6detail17trampoline_kernelINS0_14default_configENS1_25partition_config_selectorILNS1_17partition_subalgoE9EllbEEZZNS1_14partition_implILS5_9ELb0ES3_jPlS8_PNS0_10empty_typeENS0_5tupleIJS8_S9_EEENSB_IJS8_SA_EEENS0_18inequality_wrapperIZN2at6native12_GLOBAL__N_124unique_dim_cuda_templateIN3c108BFloat16EEESt5tupleIJNSF_6TensorESM_SM_EERKSM_lbbbEUlllE0_EEPmJS9_EEE10hipError_tPvRmT3_T4_T5_T6_T7_T9_mT8_P12ihipStream_tbDpT10_ENKUlT_T0_E_clISt17integral_constantIbLb0EES1C_EEDaS17_S18_EUlS17_E_NS1_11comp_targetILNS1_3genE2ELNS1_11target_archE906ELNS1_3gpuE6ELNS1_3repE0EEENS1_30default_config_static_selectorELNS0_4arch9wavefront6targetE1EEEvT1_
		.amdhsa_group_segment_fixed_size 0
		.amdhsa_private_segment_fixed_size 0
		.amdhsa_kernarg_size 120
		.amdhsa_user_sgpr_count 2
		.amdhsa_user_sgpr_dispatch_ptr 0
		.amdhsa_user_sgpr_queue_ptr 0
		.amdhsa_user_sgpr_kernarg_segment_ptr 1
		.amdhsa_user_sgpr_dispatch_id 0
		.amdhsa_user_sgpr_kernarg_preload_length 0
		.amdhsa_user_sgpr_kernarg_preload_offset 0
		.amdhsa_user_sgpr_private_segment_size 0
		.amdhsa_uses_dynamic_stack 0
		.amdhsa_enable_private_segment 0
		.amdhsa_system_sgpr_workgroup_id_x 1
		.amdhsa_system_sgpr_workgroup_id_y 0
		.amdhsa_system_sgpr_workgroup_id_z 0
		.amdhsa_system_sgpr_workgroup_info 0
		.amdhsa_system_vgpr_workitem_id 0
		.amdhsa_next_free_vgpr 1
		.amdhsa_next_free_sgpr 0
		.amdhsa_accum_offset 4
		.amdhsa_reserve_vcc 0
		.amdhsa_float_round_mode_32 0
		.amdhsa_float_round_mode_16_64 0
		.amdhsa_float_denorm_mode_32 3
		.amdhsa_float_denorm_mode_16_64 3
		.amdhsa_dx10_clamp 1
		.amdhsa_ieee_mode 1
		.amdhsa_fp16_overflow 0
		.amdhsa_tg_split 0
		.amdhsa_exception_fp_ieee_invalid_op 0
		.amdhsa_exception_fp_denorm_src 0
		.amdhsa_exception_fp_ieee_div_zero 0
		.amdhsa_exception_fp_ieee_overflow 0
		.amdhsa_exception_fp_ieee_underflow 0
		.amdhsa_exception_fp_ieee_inexact 0
		.amdhsa_exception_int_div_zero 0
	.end_amdhsa_kernel
	.section	.text._ZN7rocprim17ROCPRIM_400000_NS6detail17trampoline_kernelINS0_14default_configENS1_25partition_config_selectorILNS1_17partition_subalgoE9EllbEEZZNS1_14partition_implILS5_9ELb0ES3_jPlS8_PNS0_10empty_typeENS0_5tupleIJS8_S9_EEENSB_IJS8_SA_EEENS0_18inequality_wrapperIZN2at6native12_GLOBAL__N_124unique_dim_cuda_templateIN3c108BFloat16EEESt5tupleIJNSF_6TensorESM_SM_EERKSM_lbbbEUlllE0_EEPmJS9_EEE10hipError_tPvRmT3_T4_T5_T6_T7_T9_mT8_P12ihipStream_tbDpT10_ENKUlT_T0_E_clISt17integral_constantIbLb0EES1C_EEDaS17_S18_EUlS17_E_NS1_11comp_targetILNS1_3genE2ELNS1_11target_archE906ELNS1_3gpuE6ELNS1_3repE0EEENS1_30default_config_static_selectorELNS0_4arch9wavefront6targetE1EEEvT1_,"axG",@progbits,_ZN7rocprim17ROCPRIM_400000_NS6detail17trampoline_kernelINS0_14default_configENS1_25partition_config_selectorILNS1_17partition_subalgoE9EllbEEZZNS1_14partition_implILS5_9ELb0ES3_jPlS8_PNS0_10empty_typeENS0_5tupleIJS8_S9_EEENSB_IJS8_SA_EEENS0_18inequality_wrapperIZN2at6native12_GLOBAL__N_124unique_dim_cuda_templateIN3c108BFloat16EEESt5tupleIJNSF_6TensorESM_SM_EERKSM_lbbbEUlllE0_EEPmJS9_EEE10hipError_tPvRmT3_T4_T5_T6_T7_T9_mT8_P12ihipStream_tbDpT10_ENKUlT_T0_E_clISt17integral_constantIbLb0EES1C_EEDaS17_S18_EUlS17_E_NS1_11comp_targetILNS1_3genE2ELNS1_11target_archE906ELNS1_3gpuE6ELNS1_3repE0EEENS1_30default_config_static_selectorELNS0_4arch9wavefront6targetE1EEEvT1_,comdat
.Lfunc_end1210:
	.size	_ZN7rocprim17ROCPRIM_400000_NS6detail17trampoline_kernelINS0_14default_configENS1_25partition_config_selectorILNS1_17partition_subalgoE9EllbEEZZNS1_14partition_implILS5_9ELb0ES3_jPlS8_PNS0_10empty_typeENS0_5tupleIJS8_S9_EEENSB_IJS8_SA_EEENS0_18inequality_wrapperIZN2at6native12_GLOBAL__N_124unique_dim_cuda_templateIN3c108BFloat16EEESt5tupleIJNSF_6TensorESM_SM_EERKSM_lbbbEUlllE0_EEPmJS9_EEE10hipError_tPvRmT3_T4_T5_T6_T7_T9_mT8_P12ihipStream_tbDpT10_ENKUlT_T0_E_clISt17integral_constantIbLb0EES1C_EEDaS17_S18_EUlS17_E_NS1_11comp_targetILNS1_3genE2ELNS1_11target_archE906ELNS1_3gpuE6ELNS1_3repE0EEENS1_30default_config_static_selectorELNS0_4arch9wavefront6targetE1EEEvT1_, .Lfunc_end1210-_ZN7rocprim17ROCPRIM_400000_NS6detail17trampoline_kernelINS0_14default_configENS1_25partition_config_selectorILNS1_17partition_subalgoE9EllbEEZZNS1_14partition_implILS5_9ELb0ES3_jPlS8_PNS0_10empty_typeENS0_5tupleIJS8_S9_EEENSB_IJS8_SA_EEENS0_18inequality_wrapperIZN2at6native12_GLOBAL__N_124unique_dim_cuda_templateIN3c108BFloat16EEESt5tupleIJNSF_6TensorESM_SM_EERKSM_lbbbEUlllE0_EEPmJS9_EEE10hipError_tPvRmT3_T4_T5_T6_T7_T9_mT8_P12ihipStream_tbDpT10_ENKUlT_T0_E_clISt17integral_constantIbLb0EES1C_EEDaS17_S18_EUlS17_E_NS1_11comp_targetILNS1_3genE2ELNS1_11target_archE906ELNS1_3gpuE6ELNS1_3repE0EEENS1_30default_config_static_selectorELNS0_4arch9wavefront6targetE1EEEvT1_
                                        ; -- End function
	.set _ZN7rocprim17ROCPRIM_400000_NS6detail17trampoline_kernelINS0_14default_configENS1_25partition_config_selectorILNS1_17partition_subalgoE9EllbEEZZNS1_14partition_implILS5_9ELb0ES3_jPlS8_PNS0_10empty_typeENS0_5tupleIJS8_S9_EEENSB_IJS8_SA_EEENS0_18inequality_wrapperIZN2at6native12_GLOBAL__N_124unique_dim_cuda_templateIN3c108BFloat16EEESt5tupleIJNSF_6TensorESM_SM_EERKSM_lbbbEUlllE0_EEPmJS9_EEE10hipError_tPvRmT3_T4_T5_T6_T7_T9_mT8_P12ihipStream_tbDpT10_ENKUlT_T0_E_clISt17integral_constantIbLb0EES1C_EEDaS17_S18_EUlS17_E_NS1_11comp_targetILNS1_3genE2ELNS1_11target_archE906ELNS1_3gpuE6ELNS1_3repE0EEENS1_30default_config_static_selectorELNS0_4arch9wavefront6targetE1EEEvT1_.num_vgpr, 0
	.set _ZN7rocprim17ROCPRIM_400000_NS6detail17trampoline_kernelINS0_14default_configENS1_25partition_config_selectorILNS1_17partition_subalgoE9EllbEEZZNS1_14partition_implILS5_9ELb0ES3_jPlS8_PNS0_10empty_typeENS0_5tupleIJS8_S9_EEENSB_IJS8_SA_EEENS0_18inequality_wrapperIZN2at6native12_GLOBAL__N_124unique_dim_cuda_templateIN3c108BFloat16EEESt5tupleIJNSF_6TensorESM_SM_EERKSM_lbbbEUlllE0_EEPmJS9_EEE10hipError_tPvRmT3_T4_T5_T6_T7_T9_mT8_P12ihipStream_tbDpT10_ENKUlT_T0_E_clISt17integral_constantIbLb0EES1C_EEDaS17_S18_EUlS17_E_NS1_11comp_targetILNS1_3genE2ELNS1_11target_archE906ELNS1_3gpuE6ELNS1_3repE0EEENS1_30default_config_static_selectorELNS0_4arch9wavefront6targetE1EEEvT1_.num_agpr, 0
	.set _ZN7rocprim17ROCPRIM_400000_NS6detail17trampoline_kernelINS0_14default_configENS1_25partition_config_selectorILNS1_17partition_subalgoE9EllbEEZZNS1_14partition_implILS5_9ELb0ES3_jPlS8_PNS0_10empty_typeENS0_5tupleIJS8_S9_EEENSB_IJS8_SA_EEENS0_18inequality_wrapperIZN2at6native12_GLOBAL__N_124unique_dim_cuda_templateIN3c108BFloat16EEESt5tupleIJNSF_6TensorESM_SM_EERKSM_lbbbEUlllE0_EEPmJS9_EEE10hipError_tPvRmT3_T4_T5_T6_T7_T9_mT8_P12ihipStream_tbDpT10_ENKUlT_T0_E_clISt17integral_constantIbLb0EES1C_EEDaS17_S18_EUlS17_E_NS1_11comp_targetILNS1_3genE2ELNS1_11target_archE906ELNS1_3gpuE6ELNS1_3repE0EEENS1_30default_config_static_selectorELNS0_4arch9wavefront6targetE1EEEvT1_.numbered_sgpr, 0
	.set _ZN7rocprim17ROCPRIM_400000_NS6detail17trampoline_kernelINS0_14default_configENS1_25partition_config_selectorILNS1_17partition_subalgoE9EllbEEZZNS1_14partition_implILS5_9ELb0ES3_jPlS8_PNS0_10empty_typeENS0_5tupleIJS8_S9_EEENSB_IJS8_SA_EEENS0_18inequality_wrapperIZN2at6native12_GLOBAL__N_124unique_dim_cuda_templateIN3c108BFloat16EEESt5tupleIJNSF_6TensorESM_SM_EERKSM_lbbbEUlllE0_EEPmJS9_EEE10hipError_tPvRmT3_T4_T5_T6_T7_T9_mT8_P12ihipStream_tbDpT10_ENKUlT_T0_E_clISt17integral_constantIbLb0EES1C_EEDaS17_S18_EUlS17_E_NS1_11comp_targetILNS1_3genE2ELNS1_11target_archE906ELNS1_3gpuE6ELNS1_3repE0EEENS1_30default_config_static_selectorELNS0_4arch9wavefront6targetE1EEEvT1_.num_named_barrier, 0
	.set _ZN7rocprim17ROCPRIM_400000_NS6detail17trampoline_kernelINS0_14default_configENS1_25partition_config_selectorILNS1_17partition_subalgoE9EllbEEZZNS1_14partition_implILS5_9ELb0ES3_jPlS8_PNS0_10empty_typeENS0_5tupleIJS8_S9_EEENSB_IJS8_SA_EEENS0_18inequality_wrapperIZN2at6native12_GLOBAL__N_124unique_dim_cuda_templateIN3c108BFloat16EEESt5tupleIJNSF_6TensorESM_SM_EERKSM_lbbbEUlllE0_EEPmJS9_EEE10hipError_tPvRmT3_T4_T5_T6_T7_T9_mT8_P12ihipStream_tbDpT10_ENKUlT_T0_E_clISt17integral_constantIbLb0EES1C_EEDaS17_S18_EUlS17_E_NS1_11comp_targetILNS1_3genE2ELNS1_11target_archE906ELNS1_3gpuE6ELNS1_3repE0EEENS1_30default_config_static_selectorELNS0_4arch9wavefront6targetE1EEEvT1_.private_seg_size, 0
	.set _ZN7rocprim17ROCPRIM_400000_NS6detail17trampoline_kernelINS0_14default_configENS1_25partition_config_selectorILNS1_17partition_subalgoE9EllbEEZZNS1_14partition_implILS5_9ELb0ES3_jPlS8_PNS0_10empty_typeENS0_5tupleIJS8_S9_EEENSB_IJS8_SA_EEENS0_18inequality_wrapperIZN2at6native12_GLOBAL__N_124unique_dim_cuda_templateIN3c108BFloat16EEESt5tupleIJNSF_6TensorESM_SM_EERKSM_lbbbEUlllE0_EEPmJS9_EEE10hipError_tPvRmT3_T4_T5_T6_T7_T9_mT8_P12ihipStream_tbDpT10_ENKUlT_T0_E_clISt17integral_constantIbLb0EES1C_EEDaS17_S18_EUlS17_E_NS1_11comp_targetILNS1_3genE2ELNS1_11target_archE906ELNS1_3gpuE6ELNS1_3repE0EEENS1_30default_config_static_selectorELNS0_4arch9wavefront6targetE1EEEvT1_.uses_vcc, 0
	.set _ZN7rocprim17ROCPRIM_400000_NS6detail17trampoline_kernelINS0_14default_configENS1_25partition_config_selectorILNS1_17partition_subalgoE9EllbEEZZNS1_14partition_implILS5_9ELb0ES3_jPlS8_PNS0_10empty_typeENS0_5tupleIJS8_S9_EEENSB_IJS8_SA_EEENS0_18inequality_wrapperIZN2at6native12_GLOBAL__N_124unique_dim_cuda_templateIN3c108BFloat16EEESt5tupleIJNSF_6TensorESM_SM_EERKSM_lbbbEUlllE0_EEPmJS9_EEE10hipError_tPvRmT3_T4_T5_T6_T7_T9_mT8_P12ihipStream_tbDpT10_ENKUlT_T0_E_clISt17integral_constantIbLb0EES1C_EEDaS17_S18_EUlS17_E_NS1_11comp_targetILNS1_3genE2ELNS1_11target_archE906ELNS1_3gpuE6ELNS1_3repE0EEENS1_30default_config_static_selectorELNS0_4arch9wavefront6targetE1EEEvT1_.uses_flat_scratch, 0
	.set _ZN7rocprim17ROCPRIM_400000_NS6detail17trampoline_kernelINS0_14default_configENS1_25partition_config_selectorILNS1_17partition_subalgoE9EllbEEZZNS1_14partition_implILS5_9ELb0ES3_jPlS8_PNS0_10empty_typeENS0_5tupleIJS8_S9_EEENSB_IJS8_SA_EEENS0_18inequality_wrapperIZN2at6native12_GLOBAL__N_124unique_dim_cuda_templateIN3c108BFloat16EEESt5tupleIJNSF_6TensorESM_SM_EERKSM_lbbbEUlllE0_EEPmJS9_EEE10hipError_tPvRmT3_T4_T5_T6_T7_T9_mT8_P12ihipStream_tbDpT10_ENKUlT_T0_E_clISt17integral_constantIbLb0EES1C_EEDaS17_S18_EUlS17_E_NS1_11comp_targetILNS1_3genE2ELNS1_11target_archE906ELNS1_3gpuE6ELNS1_3repE0EEENS1_30default_config_static_selectorELNS0_4arch9wavefront6targetE1EEEvT1_.has_dyn_sized_stack, 0
	.set _ZN7rocprim17ROCPRIM_400000_NS6detail17trampoline_kernelINS0_14default_configENS1_25partition_config_selectorILNS1_17partition_subalgoE9EllbEEZZNS1_14partition_implILS5_9ELb0ES3_jPlS8_PNS0_10empty_typeENS0_5tupleIJS8_S9_EEENSB_IJS8_SA_EEENS0_18inequality_wrapperIZN2at6native12_GLOBAL__N_124unique_dim_cuda_templateIN3c108BFloat16EEESt5tupleIJNSF_6TensorESM_SM_EERKSM_lbbbEUlllE0_EEPmJS9_EEE10hipError_tPvRmT3_T4_T5_T6_T7_T9_mT8_P12ihipStream_tbDpT10_ENKUlT_T0_E_clISt17integral_constantIbLb0EES1C_EEDaS17_S18_EUlS17_E_NS1_11comp_targetILNS1_3genE2ELNS1_11target_archE906ELNS1_3gpuE6ELNS1_3repE0EEENS1_30default_config_static_selectorELNS0_4arch9wavefront6targetE1EEEvT1_.has_recursion, 0
	.set _ZN7rocprim17ROCPRIM_400000_NS6detail17trampoline_kernelINS0_14default_configENS1_25partition_config_selectorILNS1_17partition_subalgoE9EllbEEZZNS1_14partition_implILS5_9ELb0ES3_jPlS8_PNS0_10empty_typeENS0_5tupleIJS8_S9_EEENSB_IJS8_SA_EEENS0_18inequality_wrapperIZN2at6native12_GLOBAL__N_124unique_dim_cuda_templateIN3c108BFloat16EEESt5tupleIJNSF_6TensorESM_SM_EERKSM_lbbbEUlllE0_EEPmJS9_EEE10hipError_tPvRmT3_T4_T5_T6_T7_T9_mT8_P12ihipStream_tbDpT10_ENKUlT_T0_E_clISt17integral_constantIbLb0EES1C_EEDaS17_S18_EUlS17_E_NS1_11comp_targetILNS1_3genE2ELNS1_11target_archE906ELNS1_3gpuE6ELNS1_3repE0EEENS1_30default_config_static_selectorELNS0_4arch9wavefront6targetE1EEEvT1_.has_indirect_call, 0
	.section	.AMDGPU.csdata,"",@progbits
; Kernel info:
; codeLenInByte = 0
; TotalNumSgprs: 6
; NumVgprs: 0
; NumAgprs: 0
; TotalNumVgprs: 0
; ScratchSize: 0
; MemoryBound: 0
; FloatMode: 240
; IeeeMode: 1
; LDSByteSize: 0 bytes/workgroup (compile time only)
; SGPRBlocks: 0
; VGPRBlocks: 0
; NumSGPRsForWavesPerEU: 6
; NumVGPRsForWavesPerEU: 1
; AccumOffset: 4
; Occupancy: 8
; WaveLimiterHint : 0
; COMPUTE_PGM_RSRC2:SCRATCH_EN: 0
; COMPUTE_PGM_RSRC2:USER_SGPR: 2
; COMPUTE_PGM_RSRC2:TRAP_HANDLER: 0
; COMPUTE_PGM_RSRC2:TGID_X_EN: 1
; COMPUTE_PGM_RSRC2:TGID_Y_EN: 0
; COMPUTE_PGM_RSRC2:TGID_Z_EN: 0
; COMPUTE_PGM_RSRC2:TIDIG_COMP_CNT: 0
; COMPUTE_PGM_RSRC3_GFX90A:ACCUM_OFFSET: 0
; COMPUTE_PGM_RSRC3_GFX90A:TG_SPLIT: 0
	.section	.text._ZN7rocprim17ROCPRIM_400000_NS6detail17trampoline_kernelINS0_14default_configENS1_25partition_config_selectorILNS1_17partition_subalgoE9EllbEEZZNS1_14partition_implILS5_9ELb0ES3_jPlS8_PNS0_10empty_typeENS0_5tupleIJS8_S9_EEENSB_IJS8_SA_EEENS0_18inequality_wrapperIZN2at6native12_GLOBAL__N_124unique_dim_cuda_templateIN3c108BFloat16EEESt5tupleIJNSF_6TensorESM_SM_EERKSM_lbbbEUlllE0_EEPmJS9_EEE10hipError_tPvRmT3_T4_T5_T6_T7_T9_mT8_P12ihipStream_tbDpT10_ENKUlT_T0_E_clISt17integral_constantIbLb0EES1C_EEDaS17_S18_EUlS17_E_NS1_11comp_targetILNS1_3genE10ELNS1_11target_archE1200ELNS1_3gpuE4ELNS1_3repE0EEENS1_30default_config_static_selectorELNS0_4arch9wavefront6targetE1EEEvT1_,"axG",@progbits,_ZN7rocprim17ROCPRIM_400000_NS6detail17trampoline_kernelINS0_14default_configENS1_25partition_config_selectorILNS1_17partition_subalgoE9EllbEEZZNS1_14partition_implILS5_9ELb0ES3_jPlS8_PNS0_10empty_typeENS0_5tupleIJS8_S9_EEENSB_IJS8_SA_EEENS0_18inequality_wrapperIZN2at6native12_GLOBAL__N_124unique_dim_cuda_templateIN3c108BFloat16EEESt5tupleIJNSF_6TensorESM_SM_EERKSM_lbbbEUlllE0_EEPmJS9_EEE10hipError_tPvRmT3_T4_T5_T6_T7_T9_mT8_P12ihipStream_tbDpT10_ENKUlT_T0_E_clISt17integral_constantIbLb0EES1C_EEDaS17_S18_EUlS17_E_NS1_11comp_targetILNS1_3genE10ELNS1_11target_archE1200ELNS1_3gpuE4ELNS1_3repE0EEENS1_30default_config_static_selectorELNS0_4arch9wavefront6targetE1EEEvT1_,comdat
	.globl	_ZN7rocprim17ROCPRIM_400000_NS6detail17trampoline_kernelINS0_14default_configENS1_25partition_config_selectorILNS1_17partition_subalgoE9EllbEEZZNS1_14partition_implILS5_9ELb0ES3_jPlS8_PNS0_10empty_typeENS0_5tupleIJS8_S9_EEENSB_IJS8_SA_EEENS0_18inequality_wrapperIZN2at6native12_GLOBAL__N_124unique_dim_cuda_templateIN3c108BFloat16EEESt5tupleIJNSF_6TensorESM_SM_EERKSM_lbbbEUlllE0_EEPmJS9_EEE10hipError_tPvRmT3_T4_T5_T6_T7_T9_mT8_P12ihipStream_tbDpT10_ENKUlT_T0_E_clISt17integral_constantIbLb0EES1C_EEDaS17_S18_EUlS17_E_NS1_11comp_targetILNS1_3genE10ELNS1_11target_archE1200ELNS1_3gpuE4ELNS1_3repE0EEENS1_30default_config_static_selectorELNS0_4arch9wavefront6targetE1EEEvT1_ ; -- Begin function _ZN7rocprim17ROCPRIM_400000_NS6detail17trampoline_kernelINS0_14default_configENS1_25partition_config_selectorILNS1_17partition_subalgoE9EllbEEZZNS1_14partition_implILS5_9ELb0ES3_jPlS8_PNS0_10empty_typeENS0_5tupleIJS8_S9_EEENSB_IJS8_SA_EEENS0_18inequality_wrapperIZN2at6native12_GLOBAL__N_124unique_dim_cuda_templateIN3c108BFloat16EEESt5tupleIJNSF_6TensorESM_SM_EERKSM_lbbbEUlllE0_EEPmJS9_EEE10hipError_tPvRmT3_T4_T5_T6_T7_T9_mT8_P12ihipStream_tbDpT10_ENKUlT_T0_E_clISt17integral_constantIbLb0EES1C_EEDaS17_S18_EUlS17_E_NS1_11comp_targetILNS1_3genE10ELNS1_11target_archE1200ELNS1_3gpuE4ELNS1_3repE0EEENS1_30default_config_static_selectorELNS0_4arch9wavefront6targetE1EEEvT1_
	.p2align	8
	.type	_ZN7rocprim17ROCPRIM_400000_NS6detail17trampoline_kernelINS0_14default_configENS1_25partition_config_selectorILNS1_17partition_subalgoE9EllbEEZZNS1_14partition_implILS5_9ELb0ES3_jPlS8_PNS0_10empty_typeENS0_5tupleIJS8_S9_EEENSB_IJS8_SA_EEENS0_18inequality_wrapperIZN2at6native12_GLOBAL__N_124unique_dim_cuda_templateIN3c108BFloat16EEESt5tupleIJNSF_6TensorESM_SM_EERKSM_lbbbEUlllE0_EEPmJS9_EEE10hipError_tPvRmT3_T4_T5_T6_T7_T9_mT8_P12ihipStream_tbDpT10_ENKUlT_T0_E_clISt17integral_constantIbLb0EES1C_EEDaS17_S18_EUlS17_E_NS1_11comp_targetILNS1_3genE10ELNS1_11target_archE1200ELNS1_3gpuE4ELNS1_3repE0EEENS1_30default_config_static_selectorELNS0_4arch9wavefront6targetE1EEEvT1_,@function
_ZN7rocprim17ROCPRIM_400000_NS6detail17trampoline_kernelINS0_14default_configENS1_25partition_config_selectorILNS1_17partition_subalgoE9EllbEEZZNS1_14partition_implILS5_9ELb0ES3_jPlS8_PNS0_10empty_typeENS0_5tupleIJS8_S9_EEENSB_IJS8_SA_EEENS0_18inequality_wrapperIZN2at6native12_GLOBAL__N_124unique_dim_cuda_templateIN3c108BFloat16EEESt5tupleIJNSF_6TensorESM_SM_EERKSM_lbbbEUlllE0_EEPmJS9_EEE10hipError_tPvRmT3_T4_T5_T6_T7_T9_mT8_P12ihipStream_tbDpT10_ENKUlT_T0_E_clISt17integral_constantIbLb0EES1C_EEDaS17_S18_EUlS17_E_NS1_11comp_targetILNS1_3genE10ELNS1_11target_archE1200ELNS1_3gpuE4ELNS1_3repE0EEENS1_30default_config_static_selectorELNS0_4arch9wavefront6targetE1EEEvT1_: ; @_ZN7rocprim17ROCPRIM_400000_NS6detail17trampoline_kernelINS0_14default_configENS1_25partition_config_selectorILNS1_17partition_subalgoE9EllbEEZZNS1_14partition_implILS5_9ELb0ES3_jPlS8_PNS0_10empty_typeENS0_5tupleIJS8_S9_EEENSB_IJS8_SA_EEENS0_18inequality_wrapperIZN2at6native12_GLOBAL__N_124unique_dim_cuda_templateIN3c108BFloat16EEESt5tupleIJNSF_6TensorESM_SM_EERKSM_lbbbEUlllE0_EEPmJS9_EEE10hipError_tPvRmT3_T4_T5_T6_T7_T9_mT8_P12ihipStream_tbDpT10_ENKUlT_T0_E_clISt17integral_constantIbLb0EES1C_EEDaS17_S18_EUlS17_E_NS1_11comp_targetILNS1_3genE10ELNS1_11target_archE1200ELNS1_3gpuE4ELNS1_3repE0EEENS1_30default_config_static_selectorELNS0_4arch9wavefront6targetE1EEEvT1_
; %bb.0:
	.section	.rodata,"a",@progbits
	.p2align	6, 0x0
	.amdhsa_kernel _ZN7rocprim17ROCPRIM_400000_NS6detail17trampoline_kernelINS0_14default_configENS1_25partition_config_selectorILNS1_17partition_subalgoE9EllbEEZZNS1_14partition_implILS5_9ELb0ES3_jPlS8_PNS0_10empty_typeENS0_5tupleIJS8_S9_EEENSB_IJS8_SA_EEENS0_18inequality_wrapperIZN2at6native12_GLOBAL__N_124unique_dim_cuda_templateIN3c108BFloat16EEESt5tupleIJNSF_6TensorESM_SM_EERKSM_lbbbEUlllE0_EEPmJS9_EEE10hipError_tPvRmT3_T4_T5_T6_T7_T9_mT8_P12ihipStream_tbDpT10_ENKUlT_T0_E_clISt17integral_constantIbLb0EES1C_EEDaS17_S18_EUlS17_E_NS1_11comp_targetILNS1_3genE10ELNS1_11target_archE1200ELNS1_3gpuE4ELNS1_3repE0EEENS1_30default_config_static_selectorELNS0_4arch9wavefront6targetE1EEEvT1_
		.amdhsa_group_segment_fixed_size 0
		.amdhsa_private_segment_fixed_size 0
		.amdhsa_kernarg_size 120
		.amdhsa_user_sgpr_count 2
		.amdhsa_user_sgpr_dispatch_ptr 0
		.amdhsa_user_sgpr_queue_ptr 0
		.amdhsa_user_sgpr_kernarg_segment_ptr 1
		.amdhsa_user_sgpr_dispatch_id 0
		.amdhsa_user_sgpr_kernarg_preload_length 0
		.amdhsa_user_sgpr_kernarg_preload_offset 0
		.amdhsa_user_sgpr_private_segment_size 0
		.amdhsa_uses_dynamic_stack 0
		.amdhsa_enable_private_segment 0
		.amdhsa_system_sgpr_workgroup_id_x 1
		.amdhsa_system_sgpr_workgroup_id_y 0
		.amdhsa_system_sgpr_workgroup_id_z 0
		.amdhsa_system_sgpr_workgroup_info 0
		.amdhsa_system_vgpr_workitem_id 0
		.amdhsa_next_free_vgpr 1
		.amdhsa_next_free_sgpr 0
		.amdhsa_accum_offset 4
		.amdhsa_reserve_vcc 0
		.amdhsa_float_round_mode_32 0
		.amdhsa_float_round_mode_16_64 0
		.amdhsa_float_denorm_mode_32 3
		.amdhsa_float_denorm_mode_16_64 3
		.amdhsa_dx10_clamp 1
		.amdhsa_ieee_mode 1
		.amdhsa_fp16_overflow 0
		.amdhsa_tg_split 0
		.amdhsa_exception_fp_ieee_invalid_op 0
		.amdhsa_exception_fp_denorm_src 0
		.amdhsa_exception_fp_ieee_div_zero 0
		.amdhsa_exception_fp_ieee_overflow 0
		.amdhsa_exception_fp_ieee_underflow 0
		.amdhsa_exception_fp_ieee_inexact 0
		.amdhsa_exception_int_div_zero 0
	.end_amdhsa_kernel
	.section	.text._ZN7rocprim17ROCPRIM_400000_NS6detail17trampoline_kernelINS0_14default_configENS1_25partition_config_selectorILNS1_17partition_subalgoE9EllbEEZZNS1_14partition_implILS5_9ELb0ES3_jPlS8_PNS0_10empty_typeENS0_5tupleIJS8_S9_EEENSB_IJS8_SA_EEENS0_18inequality_wrapperIZN2at6native12_GLOBAL__N_124unique_dim_cuda_templateIN3c108BFloat16EEESt5tupleIJNSF_6TensorESM_SM_EERKSM_lbbbEUlllE0_EEPmJS9_EEE10hipError_tPvRmT3_T4_T5_T6_T7_T9_mT8_P12ihipStream_tbDpT10_ENKUlT_T0_E_clISt17integral_constantIbLb0EES1C_EEDaS17_S18_EUlS17_E_NS1_11comp_targetILNS1_3genE10ELNS1_11target_archE1200ELNS1_3gpuE4ELNS1_3repE0EEENS1_30default_config_static_selectorELNS0_4arch9wavefront6targetE1EEEvT1_,"axG",@progbits,_ZN7rocprim17ROCPRIM_400000_NS6detail17trampoline_kernelINS0_14default_configENS1_25partition_config_selectorILNS1_17partition_subalgoE9EllbEEZZNS1_14partition_implILS5_9ELb0ES3_jPlS8_PNS0_10empty_typeENS0_5tupleIJS8_S9_EEENSB_IJS8_SA_EEENS0_18inequality_wrapperIZN2at6native12_GLOBAL__N_124unique_dim_cuda_templateIN3c108BFloat16EEESt5tupleIJNSF_6TensorESM_SM_EERKSM_lbbbEUlllE0_EEPmJS9_EEE10hipError_tPvRmT3_T4_T5_T6_T7_T9_mT8_P12ihipStream_tbDpT10_ENKUlT_T0_E_clISt17integral_constantIbLb0EES1C_EEDaS17_S18_EUlS17_E_NS1_11comp_targetILNS1_3genE10ELNS1_11target_archE1200ELNS1_3gpuE4ELNS1_3repE0EEENS1_30default_config_static_selectorELNS0_4arch9wavefront6targetE1EEEvT1_,comdat
.Lfunc_end1211:
	.size	_ZN7rocprim17ROCPRIM_400000_NS6detail17trampoline_kernelINS0_14default_configENS1_25partition_config_selectorILNS1_17partition_subalgoE9EllbEEZZNS1_14partition_implILS5_9ELb0ES3_jPlS8_PNS0_10empty_typeENS0_5tupleIJS8_S9_EEENSB_IJS8_SA_EEENS0_18inequality_wrapperIZN2at6native12_GLOBAL__N_124unique_dim_cuda_templateIN3c108BFloat16EEESt5tupleIJNSF_6TensorESM_SM_EERKSM_lbbbEUlllE0_EEPmJS9_EEE10hipError_tPvRmT3_T4_T5_T6_T7_T9_mT8_P12ihipStream_tbDpT10_ENKUlT_T0_E_clISt17integral_constantIbLb0EES1C_EEDaS17_S18_EUlS17_E_NS1_11comp_targetILNS1_3genE10ELNS1_11target_archE1200ELNS1_3gpuE4ELNS1_3repE0EEENS1_30default_config_static_selectorELNS0_4arch9wavefront6targetE1EEEvT1_, .Lfunc_end1211-_ZN7rocprim17ROCPRIM_400000_NS6detail17trampoline_kernelINS0_14default_configENS1_25partition_config_selectorILNS1_17partition_subalgoE9EllbEEZZNS1_14partition_implILS5_9ELb0ES3_jPlS8_PNS0_10empty_typeENS0_5tupleIJS8_S9_EEENSB_IJS8_SA_EEENS0_18inequality_wrapperIZN2at6native12_GLOBAL__N_124unique_dim_cuda_templateIN3c108BFloat16EEESt5tupleIJNSF_6TensorESM_SM_EERKSM_lbbbEUlllE0_EEPmJS9_EEE10hipError_tPvRmT3_T4_T5_T6_T7_T9_mT8_P12ihipStream_tbDpT10_ENKUlT_T0_E_clISt17integral_constantIbLb0EES1C_EEDaS17_S18_EUlS17_E_NS1_11comp_targetILNS1_3genE10ELNS1_11target_archE1200ELNS1_3gpuE4ELNS1_3repE0EEENS1_30default_config_static_selectorELNS0_4arch9wavefront6targetE1EEEvT1_
                                        ; -- End function
	.set _ZN7rocprim17ROCPRIM_400000_NS6detail17trampoline_kernelINS0_14default_configENS1_25partition_config_selectorILNS1_17partition_subalgoE9EllbEEZZNS1_14partition_implILS5_9ELb0ES3_jPlS8_PNS0_10empty_typeENS0_5tupleIJS8_S9_EEENSB_IJS8_SA_EEENS0_18inequality_wrapperIZN2at6native12_GLOBAL__N_124unique_dim_cuda_templateIN3c108BFloat16EEESt5tupleIJNSF_6TensorESM_SM_EERKSM_lbbbEUlllE0_EEPmJS9_EEE10hipError_tPvRmT3_T4_T5_T6_T7_T9_mT8_P12ihipStream_tbDpT10_ENKUlT_T0_E_clISt17integral_constantIbLb0EES1C_EEDaS17_S18_EUlS17_E_NS1_11comp_targetILNS1_3genE10ELNS1_11target_archE1200ELNS1_3gpuE4ELNS1_3repE0EEENS1_30default_config_static_selectorELNS0_4arch9wavefront6targetE1EEEvT1_.num_vgpr, 0
	.set _ZN7rocprim17ROCPRIM_400000_NS6detail17trampoline_kernelINS0_14default_configENS1_25partition_config_selectorILNS1_17partition_subalgoE9EllbEEZZNS1_14partition_implILS5_9ELb0ES3_jPlS8_PNS0_10empty_typeENS0_5tupleIJS8_S9_EEENSB_IJS8_SA_EEENS0_18inequality_wrapperIZN2at6native12_GLOBAL__N_124unique_dim_cuda_templateIN3c108BFloat16EEESt5tupleIJNSF_6TensorESM_SM_EERKSM_lbbbEUlllE0_EEPmJS9_EEE10hipError_tPvRmT3_T4_T5_T6_T7_T9_mT8_P12ihipStream_tbDpT10_ENKUlT_T0_E_clISt17integral_constantIbLb0EES1C_EEDaS17_S18_EUlS17_E_NS1_11comp_targetILNS1_3genE10ELNS1_11target_archE1200ELNS1_3gpuE4ELNS1_3repE0EEENS1_30default_config_static_selectorELNS0_4arch9wavefront6targetE1EEEvT1_.num_agpr, 0
	.set _ZN7rocprim17ROCPRIM_400000_NS6detail17trampoline_kernelINS0_14default_configENS1_25partition_config_selectorILNS1_17partition_subalgoE9EllbEEZZNS1_14partition_implILS5_9ELb0ES3_jPlS8_PNS0_10empty_typeENS0_5tupleIJS8_S9_EEENSB_IJS8_SA_EEENS0_18inequality_wrapperIZN2at6native12_GLOBAL__N_124unique_dim_cuda_templateIN3c108BFloat16EEESt5tupleIJNSF_6TensorESM_SM_EERKSM_lbbbEUlllE0_EEPmJS9_EEE10hipError_tPvRmT3_T4_T5_T6_T7_T9_mT8_P12ihipStream_tbDpT10_ENKUlT_T0_E_clISt17integral_constantIbLb0EES1C_EEDaS17_S18_EUlS17_E_NS1_11comp_targetILNS1_3genE10ELNS1_11target_archE1200ELNS1_3gpuE4ELNS1_3repE0EEENS1_30default_config_static_selectorELNS0_4arch9wavefront6targetE1EEEvT1_.numbered_sgpr, 0
	.set _ZN7rocprim17ROCPRIM_400000_NS6detail17trampoline_kernelINS0_14default_configENS1_25partition_config_selectorILNS1_17partition_subalgoE9EllbEEZZNS1_14partition_implILS5_9ELb0ES3_jPlS8_PNS0_10empty_typeENS0_5tupleIJS8_S9_EEENSB_IJS8_SA_EEENS0_18inequality_wrapperIZN2at6native12_GLOBAL__N_124unique_dim_cuda_templateIN3c108BFloat16EEESt5tupleIJNSF_6TensorESM_SM_EERKSM_lbbbEUlllE0_EEPmJS9_EEE10hipError_tPvRmT3_T4_T5_T6_T7_T9_mT8_P12ihipStream_tbDpT10_ENKUlT_T0_E_clISt17integral_constantIbLb0EES1C_EEDaS17_S18_EUlS17_E_NS1_11comp_targetILNS1_3genE10ELNS1_11target_archE1200ELNS1_3gpuE4ELNS1_3repE0EEENS1_30default_config_static_selectorELNS0_4arch9wavefront6targetE1EEEvT1_.num_named_barrier, 0
	.set _ZN7rocprim17ROCPRIM_400000_NS6detail17trampoline_kernelINS0_14default_configENS1_25partition_config_selectorILNS1_17partition_subalgoE9EllbEEZZNS1_14partition_implILS5_9ELb0ES3_jPlS8_PNS0_10empty_typeENS0_5tupleIJS8_S9_EEENSB_IJS8_SA_EEENS0_18inequality_wrapperIZN2at6native12_GLOBAL__N_124unique_dim_cuda_templateIN3c108BFloat16EEESt5tupleIJNSF_6TensorESM_SM_EERKSM_lbbbEUlllE0_EEPmJS9_EEE10hipError_tPvRmT3_T4_T5_T6_T7_T9_mT8_P12ihipStream_tbDpT10_ENKUlT_T0_E_clISt17integral_constantIbLb0EES1C_EEDaS17_S18_EUlS17_E_NS1_11comp_targetILNS1_3genE10ELNS1_11target_archE1200ELNS1_3gpuE4ELNS1_3repE0EEENS1_30default_config_static_selectorELNS0_4arch9wavefront6targetE1EEEvT1_.private_seg_size, 0
	.set _ZN7rocprim17ROCPRIM_400000_NS6detail17trampoline_kernelINS0_14default_configENS1_25partition_config_selectorILNS1_17partition_subalgoE9EllbEEZZNS1_14partition_implILS5_9ELb0ES3_jPlS8_PNS0_10empty_typeENS0_5tupleIJS8_S9_EEENSB_IJS8_SA_EEENS0_18inequality_wrapperIZN2at6native12_GLOBAL__N_124unique_dim_cuda_templateIN3c108BFloat16EEESt5tupleIJNSF_6TensorESM_SM_EERKSM_lbbbEUlllE0_EEPmJS9_EEE10hipError_tPvRmT3_T4_T5_T6_T7_T9_mT8_P12ihipStream_tbDpT10_ENKUlT_T0_E_clISt17integral_constantIbLb0EES1C_EEDaS17_S18_EUlS17_E_NS1_11comp_targetILNS1_3genE10ELNS1_11target_archE1200ELNS1_3gpuE4ELNS1_3repE0EEENS1_30default_config_static_selectorELNS0_4arch9wavefront6targetE1EEEvT1_.uses_vcc, 0
	.set _ZN7rocprim17ROCPRIM_400000_NS6detail17trampoline_kernelINS0_14default_configENS1_25partition_config_selectorILNS1_17partition_subalgoE9EllbEEZZNS1_14partition_implILS5_9ELb0ES3_jPlS8_PNS0_10empty_typeENS0_5tupleIJS8_S9_EEENSB_IJS8_SA_EEENS0_18inequality_wrapperIZN2at6native12_GLOBAL__N_124unique_dim_cuda_templateIN3c108BFloat16EEESt5tupleIJNSF_6TensorESM_SM_EERKSM_lbbbEUlllE0_EEPmJS9_EEE10hipError_tPvRmT3_T4_T5_T6_T7_T9_mT8_P12ihipStream_tbDpT10_ENKUlT_T0_E_clISt17integral_constantIbLb0EES1C_EEDaS17_S18_EUlS17_E_NS1_11comp_targetILNS1_3genE10ELNS1_11target_archE1200ELNS1_3gpuE4ELNS1_3repE0EEENS1_30default_config_static_selectorELNS0_4arch9wavefront6targetE1EEEvT1_.uses_flat_scratch, 0
	.set _ZN7rocprim17ROCPRIM_400000_NS6detail17trampoline_kernelINS0_14default_configENS1_25partition_config_selectorILNS1_17partition_subalgoE9EllbEEZZNS1_14partition_implILS5_9ELb0ES3_jPlS8_PNS0_10empty_typeENS0_5tupleIJS8_S9_EEENSB_IJS8_SA_EEENS0_18inequality_wrapperIZN2at6native12_GLOBAL__N_124unique_dim_cuda_templateIN3c108BFloat16EEESt5tupleIJNSF_6TensorESM_SM_EERKSM_lbbbEUlllE0_EEPmJS9_EEE10hipError_tPvRmT3_T4_T5_T6_T7_T9_mT8_P12ihipStream_tbDpT10_ENKUlT_T0_E_clISt17integral_constantIbLb0EES1C_EEDaS17_S18_EUlS17_E_NS1_11comp_targetILNS1_3genE10ELNS1_11target_archE1200ELNS1_3gpuE4ELNS1_3repE0EEENS1_30default_config_static_selectorELNS0_4arch9wavefront6targetE1EEEvT1_.has_dyn_sized_stack, 0
	.set _ZN7rocprim17ROCPRIM_400000_NS6detail17trampoline_kernelINS0_14default_configENS1_25partition_config_selectorILNS1_17partition_subalgoE9EllbEEZZNS1_14partition_implILS5_9ELb0ES3_jPlS8_PNS0_10empty_typeENS0_5tupleIJS8_S9_EEENSB_IJS8_SA_EEENS0_18inequality_wrapperIZN2at6native12_GLOBAL__N_124unique_dim_cuda_templateIN3c108BFloat16EEESt5tupleIJNSF_6TensorESM_SM_EERKSM_lbbbEUlllE0_EEPmJS9_EEE10hipError_tPvRmT3_T4_T5_T6_T7_T9_mT8_P12ihipStream_tbDpT10_ENKUlT_T0_E_clISt17integral_constantIbLb0EES1C_EEDaS17_S18_EUlS17_E_NS1_11comp_targetILNS1_3genE10ELNS1_11target_archE1200ELNS1_3gpuE4ELNS1_3repE0EEENS1_30default_config_static_selectorELNS0_4arch9wavefront6targetE1EEEvT1_.has_recursion, 0
	.set _ZN7rocprim17ROCPRIM_400000_NS6detail17trampoline_kernelINS0_14default_configENS1_25partition_config_selectorILNS1_17partition_subalgoE9EllbEEZZNS1_14partition_implILS5_9ELb0ES3_jPlS8_PNS0_10empty_typeENS0_5tupleIJS8_S9_EEENSB_IJS8_SA_EEENS0_18inequality_wrapperIZN2at6native12_GLOBAL__N_124unique_dim_cuda_templateIN3c108BFloat16EEESt5tupleIJNSF_6TensorESM_SM_EERKSM_lbbbEUlllE0_EEPmJS9_EEE10hipError_tPvRmT3_T4_T5_T6_T7_T9_mT8_P12ihipStream_tbDpT10_ENKUlT_T0_E_clISt17integral_constantIbLb0EES1C_EEDaS17_S18_EUlS17_E_NS1_11comp_targetILNS1_3genE10ELNS1_11target_archE1200ELNS1_3gpuE4ELNS1_3repE0EEENS1_30default_config_static_selectorELNS0_4arch9wavefront6targetE1EEEvT1_.has_indirect_call, 0
	.section	.AMDGPU.csdata,"",@progbits
; Kernel info:
; codeLenInByte = 0
; TotalNumSgprs: 6
; NumVgprs: 0
; NumAgprs: 0
; TotalNumVgprs: 0
; ScratchSize: 0
; MemoryBound: 0
; FloatMode: 240
; IeeeMode: 1
; LDSByteSize: 0 bytes/workgroup (compile time only)
; SGPRBlocks: 0
; VGPRBlocks: 0
; NumSGPRsForWavesPerEU: 6
; NumVGPRsForWavesPerEU: 1
; AccumOffset: 4
; Occupancy: 8
; WaveLimiterHint : 0
; COMPUTE_PGM_RSRC2:SCRATCH_EN: 0
; COMPUTE_PGM_RSRC2:USER_SGPR: 2
; COMPUTE_PGM_RSRC2:TRAP_HANDLER: 0
; COMPUTE_PGM_RSRC2:TGID_X_EN: 1
; COMPUTE_PGM_RSRC2:TGID_Y_EN: 0
; COMPUTE_PGM_RSRC2:TGID_Z_EN: 0
; COMPUTE_PGM_RSRC2:TIDIG_COMP_CNT: 0
; COMPUTE_PGM_RSRC3_GFX90A:ACCUM_OFFSET: 0
; COMPUTE_PGM_RSRC3_GFX90A:TG_SPLIT: 0
	.section	.text._ZN7rocprim17ROCPRIM_400000_NS6detail17trampoline_kernelINS0_14default_configENS1_25partition_config_selectorILNS1_17partition_subalgoE9EllbEEZZNS1_14partition_implILS5_9ELb0ES3_jPlS8_PNS0_10empty_typeENS0_5tupleIJS8_S9_EEENSB_IJS8_SA_EEENS0_18inequality_wrapperIZN2at6native12_GLOBAL__N_124unique_dim_cuda_templateIN3c108BFloat16EEESt5tupleIJNSF_6TensorESM_SM_EERKSM_lbbbEUlllE0_EEPmJS9_EEE10hipError_tPvRmT3_T4_T5_T6_T7_T9_mT8_P12ihipStream_tbDpT10_ENKUlT_T0_E_clISt17integral_constantIbLb0EES1C_EEDaS17_S18_EUlS17_E_NS1_11comp_targetILNS1_3genE9ELNS1_11target_archE1100ELNS1_3gpuE3ELNS1_3repE0EEENS1_30default_config_static_selectorELNS0_4arch9wavefront6targetE1EEEvT1_,"axG",@progbits,_ZN7rocprim17ROCPRIM_400000_NS6detail17trampoline_kernelINS0_14default_configENS1_25partition_config_selectorILNS1_17partition_subalgoE9EllbEEZZNS1_14partition_implILS5_9ELb0ES3_jPlS8_PNS0_10empty_typeENS0_5tupleIJS8_S9_EEENSB_IJS8_SA_EEENS0_18inequality_wrapperIZN2at6native12_GLOBAL__N_124unique_dim_cuda_templateIN3c108BFloat16EEESt5tupleIJNSF_6TensorESM_SM_EERKSM_lbbbEUlllE0_EEPmJS9_EEE10hipError_tPvRmT3_T4_T5_T6_T7_T9_mT8_P12ihipStream_tbDpT10_ENKUlT_T0_E_clISt17integral_constantIbLb0EES1C_EEDaS17_S18_EUlS17_E_NS1_11comp_targetILNS1_3genE9ELNS1_11target_archE1100ELNS1_3gpuE3ELNS1_3repE0EEENS1_30default_config_static_selectorELNS0_4arch9wavefront6targetE1EEEvT1_,comdat
	.globl	_ZN7rocprim17ROCPRIM_400000_NS6detail17trampoline_kernelINS0_14default_configENS1_25partition_config_selectorILNS1_17partition_subalgoE9EllbEEZZNS1_14partition_implILS5_9ELb0ES3_jPlS8_PNS0_10empty_typeENS0_5tupleIJS8_S9_EEENSB_IJS8_SA_EEENS0_18inequality_wrapperIZN2at6native12_GLOBAL__N_124unique_dim_cuda_templateIN3c108BFloat16EEESt5tupleIJNSF_6TensorESM_SM_EERKSM_lbbbEUlllE0_EEPmJS9_EEE10hipError_tPvRmT3_T4_T5_T6_T7_T9_mT8_P12ihipStream_tbDpT10_ENKUlT_T0_E_clISt17integral_constantIbLb0EES1C_EEDaS17_S18_EUlS17_E_NS1_11comp_targetILNS1_3genE9ELNS1_11target_archE1100ELNS1_3gpuE3ELNS1_3repE0EEENS1_30default_config_static_selectorELNS0_4arch9wavefront6targetE1EEEvT1_ ; -- Begin function _ZN7rocprim17ROCPRIM_400000_NS6detail17trampoline_kernelINS0_14default_configENS1_25partition_config_selectorILNS1_17partition_subalgoE9EllbEEZZNS1_14partition_implILS5_9ELb0ES3_jPlS8_PNS0_10empty_typeENS0_5tupleIJS8_S9_EEENSB_IJS8_SA_EEENS0_18inequality_wrapperIZN2at6native12_GLOBAL__N_124unique_dim_cuda_templateIN3c108BFloat16EEESt5tupleIJNSF_6TensorESM_SM_EERKSM_lbbbEUlllE0_EEPmJS9_EEE10hipError_tPvRmT3_T4_T5_T6_T7_T9_mT8_P12ihipStream_tbDpT10_ENKUlT_T0_E_clISt17integral_constantIbLb0EES1C_EEDaS17_S18_EUlS17_E_NS1_11comp_targetILNS1_3genE9ELNS1_11target_archE1100ELNS1_3gpuE3ELNS1_3repE0EEENS1_30default_config_static_selectorELNS0_4arch9wavefront6targetE1EEEvT1_
	.p2align	8
	.type	_ZN7rocprim17ROCPRIM_400000_NS6detail17trampoline_kernelINS0_14default_configENS1_25partition_config_selectorILNS1_17partition_subalgoE9EllbEEZZNS1_14partition_implILS5_9ELb0ES3_jPlS8_PNS0_10empty_typeENS0_5tupleIJS8_S9_EEENSB_IJS8_SA_EEENS0_18inequality_wrapperIZN2at6native12_GLOBAL__N_124unique_dim_cuda_templateIN3c108BFloat16EEESt5tupleIJNSF_6TensorESM_SM_EERKSM_lbbbEUlllE0_EEPmJS9_EEE10hipError_tPvRmT3_T4_T5_T6_T7_T9_mT8_P12ihipStream_tbDpT10_ENKUlT_T0_E_clISt17integral_constantIbLb0EES1C_EEDaS17_S18_EUlS17_E_NS1_11comp_targetILNS1_3genE9ELNS1_11target_archE1100ELNS1_3gpuE3ELNS1_3repE0EEENS1_30default_config_static_selectorELNS0_4arch9wavefront6targetE1EEEvT1_,@function
_ZN7rocprim17ROCPRIM_400000_NS6detail17trampoline_kernelINS0_14default_configENS1_25partition_config_selectorILNS1_17partition_subalgoE9EllbEEZZNS1_14partition_implILS5_9ELb0ES3_jPlS8_PNS0_10empty_typeENS0_5tupleIJS8_S9_EEENSB_IJS8_SA_EEENS0_18inequality_wrapperIZN2at6native12_GLOBAL__N_124unique_dim_cuda_templateIN3c108BFloat16EEESt5tupleIJNSF_6TensorESM_SM_EERKSM_lbbbEUlllE0_EEPmJS9_EEE10hipError_tPvRmT3_T4_T5_T6_T7_T9_mT8_P12ihipStream_tbDpT10_ENKUlT_T0_E_clISt17integral_constantIbLb0EES1C_EEDaS17_S18_EUlS17_E_NS1_11comp_targetILNS1_3genE9ELNS1_11target_archE1100ELNS1_3gpuE3ELNS1_3repE0EEENS1_30default_config_static_selectorELNS0_4arch9wavefront6targetE1EEEvT1_: ; @_ZN7rocprim17ROCPRIM_400000_NS6detail17trampoline_kernelINS0_14default_configENS1_25partition_config_selectorILNS1_17partition_subalgoE9EllbEEZZNS1_14partition_implILS5_9ELb0ES3_jPlS8_PNS0_10empty_typeENS0_5tupleIJS8_S9_EEENSB_IJS8_SA_EEENS0_18inequality_wrapperIZN2at6native12_GLOBAL__N_124unique_dim_cuda_templateIN3c108BFloat16EEESt5tupleIJNSF_6TensorESM_SM_EERKSM_lbbbEUlllE0_EEPmJS9_EEE10hipError_tPvRmT3_T4_T5_T6_T7_T9_mT8_P12ihipStream_tbDpT10_ENKUlT_T0_E_clISt17integral_constantIbLb0EES1C_EEDaS17_S18_EUlS17_E_NS1_11comp_targetILNS1_3genE9ELNS1_11target_archE1100ELNS1_3gpuE3ELNS1_3repE0EEENS1_30default_config_static_selectorELNS0_4arch9wavefront6targetE1EEEvT1_
; %bb.0:
	.section	.rodata,"a",@progbits
	.p2align	6, 0x0
	.amdhsa_kernel _ZN7rocprim17ROCPRIM_400000_NS6detail17trampoline_kernelINS0_14default_configENS1_25partition_config_selectorILNS1_17partition_subalgoE9EllbEEZZNS1_14partition_implILS5_9ELb0ES3_jPlS8_PNS0_10empty_typeENS0_5tupleIJS8_S9_EEENSB_IJS8_SA_EEENS0_18inequality_wrapperIZN2at6native12_GLOBAL__N_124unique_dim_cuda_templateIN3c108BFloat16EEESt5tupleIJNSF_6TensorESM_SM_EERKSM_lbbbEUlllE0_EEPmJS9_EEE10hipError_tPvRmT3_T4_T5_T6_T7_T9_mT8_P12ihipStream_tbDpT10_ENKUlT_T0_E_clISt17integral_constantIbLb0EES1C_EEDaS17_S18_EUlS17_E_NS1_11comp_targetILNS1_3genE9ELNS1_11target_archE1100ELNS1_3gpuE3ELNS1_3repE0EEENS1_30default_config_static_selectorELNS0_4arch9wavefront6targetE1EEEvT1_
		.amdhsa_group_segment_fixed_size 0
		.amdhsa_private_segment_fixed_size 0
		.amdhsa_kernarg_size 120
		.amdhsa_user_sgpr_count 2
		.amdhsa_user_sgpr_dispatch_ptr 0
		.amdhsa_user_sgpr_queue_ptr 0
		.amdhsa_user_sgpr_kernarg_segment_ptr 1
		.amdhsa_user_sgpr_dispatch_id 0
		.amdhsa_user_sgpr_kernarg_preload_length 0
		.amdhsa_user_sgpr_kernarg_preload_offset 0
		.amdhsa_user_sgpr_private_segment_size 0
		.amdhsa_uses_dynamic_stack 0
		.amdhsa_enable_private_segment 0
		.amdhsa_system_sgpr_workgroup_id_x 1
		.amdhsa_system_sgpr_workgroup_id_y 0
		.amdhsa_system_sgpr_workgroup_id_z 0
		.amdhsa_system_sgpr_workgroup_info 0
		.amdhsa_system_vgpr_workitem_id 0
		.amdhsa_next_free_vgpr 1
		.amdhsa_next_free_sgpr 0
		.amdhsa_accum_offset 4
		.amdhsa_reserve_vcc 0
		.amdhsa_float_round_mode_32 0
		.amdhsa_float_round_mode_16_64 0
		.amdhsa_float_denorm_mode_32 3
		.amdhsa_float_denorm_mode_16_64 3
		.amdhsa_dx10_clamp 1
		.amdhsa_ieee_mode 1
		.amdhsa_fp16_overflow 0
		.amdhsa_tg_split 0
		.amdhsa_exception_fp_ieee_invalid_op 0
		.amdhsa_exception_fp_denorm_src 0
		.amdhsa_exception_fp_ieee_div_zero 0
		.amdhsa_exception_fp_ieee_overflow 0
		.amdhsa_exception_fp_ieee_underflow 0
		.amdhsa_exception_fp_ieee_inexact 0
		.amdhsa_exception_int_div_zero 0
	.end_amdhsa_kernel
	.section	.text._ZN7rocprim17ROCPRIM_400000_NS6detail17trampoline_kernelINS0_14default_configENS1_25partition_config_selectorILNS1_17partition_subalgoE9EllbEEZZNS1_14partition_implILS5_9ELb0ES3_jPlS8_PNS0_10empty_typeENS0_5tupleIJS8_S9_EEENSB_IJS8_SA_EEENS0_18inequality_wrapperIZN2at6native12_GLOBAL__N_124unique_dim_cuda_templateIN3c108BFloat16EEESt5tupleIJNSF_6TensorESM_SM_EERKSM_lbbbEUlllE0_EEPmJS9_EEE10hipError_tPvRmT3_T4_T5_T6_T7_T9_mT8_P12ihipStream_tbDpT10_ENKUlT_T0_E_clISt17integral_constantIbLb0EES1C_EEDaS17_S18_EUlS17_E_NS1_11comp_targetILNS1_3genE9ELNS1_11target_archE1100ELNS1_3gpuE3ELNS1_3repE0EEENS1_30default_config_static_selectorELNS0_4arch9wavefront6targetE1EEEvT1_,"axG",@progbits,_ZN7rocprim17ROCPRIM_400000_NS6detail17trampoline_kernelINS0_14default_configENS1_25partition_config_selectorILNS1_17partition_subalgoE9EllbEEZZNS1_14partition_implILS5_9ELb0ES3_jPlS8_PNS0_10empty_typeENS0_5tupleIJS8_S9_EEENSB_IJS8_SA_EEENS0_18inequality_wrapperIZN2at6native12_GLOBAL__N_124unique_dim_cuda_templateIN3c108BFloat16EEESt5tupleIJNSF_6TensorESM_SM_EERKSM_lbbbEUlllE0_EEPmJS9_EEE10hipError_tPvRmT3_T4_T5_T6_T7_T9_mT8_P12ihipStream_tbDpT10_ENKUlT_T0_E_clISt17integral_constantIbLb0EES1C_EEDaS17_S18_EUlS17_E_NS1_11comp_targetILNS1_3genE9ELNS1_11target_archE1100ELNS1_3gpuE3ELNS1_3repE0EEENS1_30default_config_static_selectorELNS0_4arch9wavefront6targetE1EEEvT1_,comdat
.Lfunc_end1212:
	.size	_ZN7rocprim17ROCPRIM_400000_NS6detail17trampoline_kernelINS0_14default_configENS1_25partition_config_selectorILNS1_17partition_subalgoE9EllbEEZZNS1_14partition_implILS5_9ELb0ES3_jPlS8_PNS0_10empty_typeENS0_5tupleIJS8_S9_EEENSB_IJS8_SA_EEENS0_18inequality_wrapperIZN2at6native12_GLOBAL__N_124unique_dim_cuda_templateIN3c108BFloat16EEESt5tupleIJNSF_6TensorESM_SM_EERKSM_lbbbEUlllE0_EEPmJS9_EEE10hipError_tPvRmT3_T4_T5_T6_T7_T9_mT8_P12ihipStream_tbDpT10_ENKUlT_T0_E_clISt17integral_constantIbLb0EES1C_EEDaS17_S18_EUlS17_E_NS1_11comp_targetILNS1_3genE9ELNS1_11target_archE1100ELNS1_3gpuE3ELNS1_3repE0EEENS1_30default_config_static_selectorELNS0_4arch9wavefront6targetE1EEEvT1_, .Lfunc_end1212-_ZN7rocprim17ROCPRIM_400000_NS6detail17trampoline_kernelINS0_14default_configENS1_25partition_config_selectorILNS1_17partition_subalgoE9EllbEEZZNS1_14partition_implILS5_9ELb0ES3_jPlS8_PNS0_10empty_typeENS0_5tupleIJS8_S9_EEENSB_IJS8_SA_EEENS0_18inequality_wrapperIZN2at6native12_GLOBAL__N_124unique_dim_cuda_templateIN3c108BFloat16EEESt5tupleIJNSF_6TensorESM_SM_EERKSM_lbbbEUlllE0_EEPmJS9_EEE10hipError_tPvRmT3_T4_T5_T6_T7_T9_mT8_P12ihipStream_tbDpT10_ENKUlT_T0_E_clISt17integral_constantIbLb0EES1C_EEDaS17_S18_EUlS17_E_NS1_11comp_targetILNS1_3genE9ELNS1_11target_archE1100ELNS1_3gpuE3ELNS1_3repE0EEENS1_30default_config_static_selectorELNS0_4arch9wavefront6targetE1EEEvT1_
                                        ; -- End function
	.set _ZN7rocprim17ROCPRIM_400000_NS6detail17trampoline_kernelINS0_14default_configENS1_25partition_config_selectorILNS1_17partition_subalgoE9EllbEEZZNS1_14partition_implILS5_9ELb0ES3_jPlS8_PNS0_10empty_typeENS0_5tupleIJS8_S9_EEENSB_IJS8_SA_EEENS0_18inequality_wrapperIZN2at6native12_GLOBAL__N_124unique_dim_cuda_templateIN3c108BFloat16EEESt5tupleIJNSF_6TensorESM_SM_EERKSM_lbbbEUlllE0_EEPmJS9_EEE10hipError_tPvRmT3_T4_T5_T6_T7_T9_mT8_P12ihipStream_tbDpT10_ENKUlT_T0_E_clISt17integral_constantIbLb0EES1C_EEDaS17_S18_EUlS17_E_NS1_11comp_targetILNS1_3genE9ELNS1_11target_archE1100ELNS1_3gpuE3ELNS1_3repE0EEENS1_30default_config_static_selectorELNS0_4arch9wavefront6targetE1EEEvT1_.num_vgpr, 0
	.set _ZN7rocprim17ROCPRIM_400000_NS6detail17trampoline_kernelINS0_14default_configENS1_25partition_config_selectorILNS1_17partition_subalgoE9EllbEEZZNS1_14partition_implILS5_9ELb0ES3_jPlS8_PNS0_10empty_typeENS0_5tupleIJS8_S9_EEENSB_IJS8_SA_EEENS0_18inequality_wrapperIZN2at6native12_GLOBAL__N_124unique_dim_cuda_templateIN3c108BFloat16EEESt5tupleIJNSF_6TensorESM_SM_EERKSM_lbbbEUlllE0_EEPmJS9_EEE10hipError_tPvRmT3_T4_T5_T6_T7_T9_mT8_P12ihipStream_tbDpT10_ENKUlT_T0_E_clISt17integral_constantIbLb0EES1C_EEDaS17_S18_EUlS17_E_NS1_11comp_targetILNS1_3genE9ELNS1_11target_archE1100ELNS1_3gpuE3ELNS1_3repE0EEENS1_30default_config_static_selectorELNS0_4arch9wavefront6targetE1EEEvT1_.num_agpr, 0
	.set _ZN7rocprim17ROCPRIM_400000_NS6detail17trampoline_kernelINS0_14default_configENS1_25partition_config_selectorILNS1_17partition_subalgoE9EllbEEZZNS1_14partition_implILS5_9ELb0ES3_jPlS8_PNS0_10empty_typeENS0_5tupleIJS8_S9_EEENSB_IJS8_SA_EEENS0_18inequality_wrapperIZN2at6native12_GLOBAL__N_124unique_dim_cuda_templateIN3c108BFloat16EEESt5tupleIJNSF_6TensorESM_SM_EERKSM_lbbbEUlllE0_EEPmJS9_EEE10hipError_tPvRmT3_T4_T5_T6_T7_T9_mT8_P12ihipStream_tbDpT10_ENKUlT_T0_E_clISt17integral_constantIbLb0EES1C_EEDaS17_S18_EUlS17_E_NS1_11comp_targetILNS1_3genE9ELNS1_11target_archE1100ELNS1_3gpuE3ELNS1_3repE0EEENS1_30default_config_static_selectorELNS0_4arch9wavefront6targetE1EEEvT1_.numbered_sgpr, 0
	.set _ZN7rocprim17ROCPRIM_400000_NS6detail17trampoline_kernelINS0_14default_configENS1_25partition_config_selectorILNS1_17partition_subalgoE9EllbEEZZNS1_14partition_implILS5_9ELb0ES3_jPlS8_PNS0_10empty_typeENS0_5tupleIJS8_S9_EEENSB_IJS8_SA_EEENS0_18inequality_wrapperIZN2at6native12_GLOBAL__N_124unique_dim_cuda_templateIN3c108BFloat16EEESt5tupleIJNSF_6TensorESM_SM_EERKSM_lbbbEUlllE0_EEPmJS9_EEE10hipError_tPvRmT3_T4_T5_T6_T7_T9_mT8_P12ihipStream_tbDpT10_ENKUlT_T0_E_clISt17integral_constantIbLb0EES1C_EEDaS17_S18_EUlS17_E_NS1_11comp_targetILNS1_3genE9ELNS1_11target_archE1100ELNS1_3gpuE3ELNS1_3repE0EEENS1_30default_config_static_selectorELNS0_4arch9wavefront6targetE1EEEvT1_.num_named_barrier, 0
	.set _ZN7rocprim17ROCPRIM_400000_NS6detail17trampoline_kernelINS0_14default_configENS1_25partition_config_selectorILNS1_17partition_subalgoE9EllbEEZZNS1_14partition_implILS5_9ELb0ES3_jPlS8_PNS0_10empty_typeENS0_5tupleIJS8_S9_EEENSB_IJS8_SA_EEENS0_18inequality_wrapperIZN2at6native12_GLOBAL__N_124unique_dim_cuda_templateIN3c108BFloat16EEESt5tupleIJNSF_6TensorESM_SM_EERKSM_lbbbEUlllE0_EEPmJS9_EEE10hipError_tPvRmT3_T4_T5_T6_T7_T9_mT8_P12ihipStream_tbDpT10_ENKUlT_T0_E_clISt17integral_constantIbLb0EES1C_EEDaS17_S18_EUlS17_E_NS1_11comp_targetILNS1_3genE9ELNS1_11target_archE1100ELNS1_3gpuE3ELNS1_3repE0EEENS1_30default_config_static_selectorELNS0_4arch9wavefront6targetE1EEEvT1_.private_seg_size, 0
	.set _ZN7rocprim17ROCPRIM_400000_NS6detail17trampoline_kernelINS0_14default_configENS1_25partition_config_selectorILNS1_17partition_subalgoE9EllbEEZZNS1_14partition_implILS5_9ELb0ES3_jPlS8_PNS0_10empty_typeENS0_5tupleIJS8_S9_EEENSB_IJS8_SA_EEENS0_18inequality_wrapperIZN2at6native12_GLOBAL__N_124unique_dim_cuda_templateIN3c108BFloat16EEESt5tupleIJNSF_6TensorESM_SM_EERKSM_lbbbEUlllE0_EEPmJS9_EEE10hipError_tPvRmT3_T4_T5_T6_T7_T9_mT8_P12ihipStream_tbDpT10_ENKUlT_T0_E_clISt17integral_constantIbLb0EES1C_EEDaS17_S18_EUlS17_E_NS1_11comp_targetILNS1_3genE9ELNS1_11target_archE1100ELNS1_3gpuE3ELNS1_3repE0EEENS1_30default_config_static_selectorELNS0_4arch9wavefront6targetE1EEEvT1_.uses_vcc, 0
	.set _ZN7rocprim17ROCPRIM_400000_NS6detail17trampoline_kernelINS0_14default_configENS1_25partition_config_selectorILNS1_17partition_subalgoE9EllbEEZZNS1_14partition_implILS5_9ELb0ES3_jPlS8_PNS0_10empty_typeENS0_5tupleIJS8_S9_EEENSB_IJS8_SA_EEENS0_18inequality_wrapperIZN2at6native12_GLOBAL__N_124unique_dim_cuda_templateIN3c108BFloat16EEESt5tupleIJNSF_6TensorESM_SM_EERKSM_lbbbEUlllE0_EEPmJS9_EEE10hipError_tPvRmT3_T4_T5_T6_T7_T9_mT8_P12ihipStream_tbDpT10_ENKUlT_T0_E_clISt17integral_constantIbLb0EES1C_EEDaS17_S18_EUlS17_E_NS1_11comp_targetILNS1_3genE9ELNS1_11target_archE1100ELNS1_3gpuE3ELNS1_3repE0EEENS1_30default_config_static_selectorELNS0_4arch9wavefront6targetE1EEEvT1_.uses_flat_scratch, 0
	.set _ZN7rocprim17ROCPRIM_400000_NS6detail17trampoline_kernelINS0_14default_configENS1_25partition_config_selectorILNS1_17partition_subalgoE9EllbEEZZNS1_14partition_implILS5_9ELb0ES3_jPlS8_PNS0_10empty_typeENS0_5tupleIJS8_S9_EEENSB_IJS8_SA_EEENS0_18inequality_wrapperIZN2at6native12_GLOBAL__N_124unique_dim_cuda_templateIN3c108BFloat16EEESt5tupleIJNSF_6TensorESM_SM_EERKSM_lbbbEUlllE0_EEPmJS9_EEE10hipError_tPvRmT3_T4_T5_T6_T7_T9_mT8_P12ihipStream_tbDpT10_ENKUlT_T0_E_clISt17integral_constantIbLb0EES1C_EEDaS17_S18_EUlS17_E_NS1_11comp_targetILNS1_3genE9ELNS1_11target_archE1100ELNS1_3gpuE3ELNS1_3repE0EEENS1_30default_config_static_selectorELNS0_4arch9wavefront6targetE1EEEvT1_.has_dyn_sized_stack, 0
	.set _ZN7rocprim17ROCPRIM_400000_NS6detail17trampoline_kernelINS0_14default_configENS1_25partition_config_selectorILNS1_17partition_subalgoE9EllbEEZZNS1_14partition_implILS5_9ELb0ES3_jPlS8_PNS0_10empty_typeENS0_5tupleIJS8_S9_EEENSB_IJS8_SA_EEENS0_18inequality_wrapperIZN2at6native12_GLOBAL__N_124unique_dim_cuda_templateIN3c108BFloat16EEESt5tupleIJNSF_6TensorESM_SM_EERKSM_lbbbEUlllE0_EEPmJS9_EEE10hipError_tPvRmT3_T4_T5_T6_T7_T9_mT8_P12ihipStream_tbDpT10_ENKUlT_T0_E_clISt17integral_constantIbLb0EES1C_EEDaS17_S18_EUlS17_E_NS1_11comp_targetILNS1_3genE9ELNS1_11target_archE1100ELNS1_3gpuE3ELNS1_3repE0EEENS1_30default_config_static_selectorELNS0_4arch9wavefront6targetE1EEEvT1_.has_recursion, 0
	.set _ZN7rocprim17ROCPRIM_400000_NS6detail17trampoline_kernelINS0_14default_configENS1_25partition_config_selectorILNS1_17partition_subalgoE9EllbEEZZNS1_14partition_implILS5_9ELb0ES3_jPlS8_PNS0_10empty_typeENS0_5tupleIJS8_S9_EEENSB_IJS8_SA_EEENS0_18inequality_wrapperIZN2at6native12_GLOBAL__N_124unique_dim_cuda_templateIN3c108BFloat16EEESt5tupleIJNSF_6TensorESM_SM_EERKSM_lbbbEUlllE0_EEPmJS9_EEE10hipError_tPvRmT3_T4_T5_T6_T7_T9_mT8_P12ihipStream_tbDpT10_ENKUlT_T0_E_clISt17integral_constantIbLb0EES1C_EEDaS17_S18_EUlS17_E_NS1_11comp_targetILNS1_3genE9ELNS1_11target_archE1100ELNS1_3gpuE3ELNS1_3repE0EEENS1_30default_config_static_selectorELNS0_4arch9wavefront6targetE1EEEvT1_.has_indirect_call, 0
	.section	.AMDGPU.csdata,"",@progbits
; Kernel info:
; codeLenInByte = 0
; TotalNumSgprs: 6
; NumVgprs: 0
; NumAgprs: 0
; TotalNumVgprs: 0
; ScratchSize: 0
; MemoryBound: 0
; FloatMode: 240
; IeeeMode: 1
; LDSByteSize: 0 bytes/workgroup (compile time only)
; SGPRBlocks: 0
; VGPRBlocks: 0
; NumSGPRsForWavesPerEU: 6
; NumVGPRsForWavesPerEU: 1
; AccumOffset: 4
; Occupancy: 8
; WaveLimiterHint : 0
; COMPUTE_PGM_RSRC2:SCRATCH_EN: 0
; COMPUTE_PGM_RSRC2:USER_SGPR: 2
; COMPUTE_PGM_RSRC2:TRAP_HANDLER: 0
; COMPUTE_PGM_RSRC2:TGID_X_EN: 1
; COMPUTE_PGM_RSRC2:TGID_Y_EN: 0
; COMPUTE_PGM_RSRC2:TGID_Z_EN: 0
; COMPUTE_PGM_RSRC2:TIDIG_COMP_CNT: 0
; COMPUTE_PGM_RSRC3_GFX90A:ACCUM_OFFSET: 0
; COMPUTE_PGM_RSRC3_GFX90A:TG_SPLIT: 0
	.section	.text._ZN7rocprim17ROCPRIM_400000_NS6detail17trampoline_kernelINS0_14default_configENS1_25partition_config_selectorILNS1_17partition_subalgoE9EllbEEZZNS1_14partition_implILS5_9ELb0ES3_jPlS8_PNS0_10empty_typeENS0_5tupleIJS8_S9_EEENSB_IJS8_SA_EEENS0_18inequality_wrapperIZN2at6native12_GLOBAL__N_124unique_dim_cuda_templateIN3c108BFloat16EEESt5tupleIJNSF_6TensorESM_SM_EERKSM_lbbbEUlllE0_EEPmJS9_EEE10hipError_tPvRmT3_T4_T5_T6_T7_T9_mT8_P12ihipStream_tbDpT10_ENKUlT_T0_E_clISt17integral_constantIbLb0EES1C_EEDaS17_S18_EUlS17_E_NS1_11comp_targetILNS1_3genE8ELNS1_11target_archE1030ELNS1_3gpuE2ELNS1_3repE0EEENS1_30default_config_static_selectorELNS0_4arch9wavefront6targetE1EEEvT1_,"axG",@progbits,_ZN7rocprim17ROCPRIM_400000_NS6detail17trampoline_kernelINS0_14default_configENS1_25partition_config_selectorILNS1_17partition_subalgoE9EllbEEZZNS1_14partition_implILS5_9ELb0ES3_jPlS8_PNS0_10empty_typeENS0_5tupleIJS8_S9_EEENSB_IJS8_SA_EEENS0_18inequality_wrapperIZN2at6native12_GLOBAL__N_124unique_dim_cuda_templateIN3c108BFloat16EEESt5tupleIJNSF_6TensorESM_SM_EERKSM_lbbbEUlllE0_EEPmJS9_EEE10hipError_tPvRmT3_T4_T5_T6_T7_T9_mT8_P12ihipStream_tbDpT10_ENKUlT_T0_E_clISt17integral_constantIbLb0EES1C_EEDaS17_S18_EUlS17_E_NS1_11comp_targetILNS1_3genE8ELNS1_11target_archE1030ELNS1_3gpuE2ELNS1_3repE0EEENS1_30default_config_static_selectorELNS0_4arch9wavefront6targetE1EEEvT1_,comdat
	.globl	_ZN7rocprim17ROCPRIM_400000_NS6detail17trampoline_kernelINS0_14default_configENS1_25partition_config_selectorILNS1_17partition_subalgoE9EllbEEZZNS1_14partition_implILS5_9ELb0ES3_jPlS8_PNS0_10empty_typeENS0_5tupleIJS8_S9_EEENSB_IJS8_SA_EEENS0_18inequality_wrapperIZN2at6native12_GLOBAL__N_124unique_dim_cuda_templateIN3c108BFloat16EEESt5tupleIJNSF_6TensorESM_SM_EERKSM_lbbbEUlllE0_EEPmJS9_EEE10hipError_tPvRmT3_T4_T5_T6_T7_T9_mT8_P12ihipStream_tbDpT10_ENKUlT_T0_E_clISt17integral_constantIbLb0EES1C_EEDaS17_S18_EUlS17_E_NS1_11comp_targetILNS1_3genE8ELNS1_11target_archE1030ELNS1_3gpuE2ELNS1_3repE0EEENS1_30default_config_static_selectorELNS0_4arch9wavefront6targetE1EEEvT1_ ; -- Begin function _ZN7rocprim17ROCPRIM_400000_NS6detail17trampoline_kernelINS0_14default_configENS1_25partition_config_selectorILNS1_17partition_subalgoE9EllbEEZZNS1_14partition_implILS5_9ELb0ES3_jPlS8_PNS0_10empty_typeENS0_5tupleIJS8_S9_EEENSB_IJS8_SA_EEENS0_18inequality_wrapperIZN2at6native12_GLOBAL__N_124unique_dim_cuda_templateIN3c108BFloat16EEESt5tupleIJNSF_6TensorESM_SM_EERKSM_lbbbEUlllE0_EEPmJS9_EEE10hipError_tPvRmT3_T4_T5_T6_T7_T9_mT8_P12ihipStream_tbDpT10_ENKUlT_T0_E_clISt17integral_constantIbLb0EES1C_EEDaS17_S18_EUlS17_E_NS1_11comp_targetILNS1_3genE8ELNS1_11target_archE1030ELNS1_3gpuE2ELNS1_3repE0EEENS1_30default_config_static_selectorELNS0_4arch9wavefront6targetE1EEEvT1_
	.p2align	8
	.type	_ZN7rocprim17ROCPRIM_400000_NS6detail17trampoline_kernelINS0_14default_configENS1_25partition_config_selectorILNS1_17partition_subalgoE9EllbEEZZNS1_14partition_implILS5_9ELb0ES3_jPlS8_PNS0_10empty_typeENS0_5tupleIJS8_S9_EEENSB_IJS8_SA_EEENS0_18inequality_wrapperIZN2at6native12_GLOBAL__N_124unique_dim_cuda_templateIN3c108BFloat16EEESt5tupleIJNSF_6TensorESM_SM_EERKSM_lbbbEUlllE0_EEPmJS9_EEE10hipError_tPvRmT3_T4_T5_T6_T7_T9_mT8_P12ihipStream_tbDpT10_ENKUlT_T0_E_clISt17integral_constantIbLb0EES1C_EEDaS17_S18_EUlS17_E_NS1_11comp_targetILNS1_3genE8ELNS1_11target_archE1030ELNS1_3gpuE2ELNS1_3repE0EEENS1_30default_config_static_selectorELNS0_4arch9wavefront6targetE1EEEvT1_,@function
_ZN7rocprim17ROCPRIM_400000_NS6detail17trampoline_kernelINS0_14default_configENS1_25partition_config_selectorILNS1_17partition_subalgoE9EllbEEZZNS1_14partition_implILS5_9ELb0ES3_jPlS8_PNS0_10empty_typeENS0_5tupleIJS8_S9_EEENSB_IJS8_SA_EEENS0_18inequality_wrapperIZN2at6native12_GLOBAL__N_124unique_dim_cuda_templateIN3c108BFloat16EEESt5tupleIJNSF_6TensorESM_SM_EERKSM_lbbbEUlllE0_EEPmJS9_EEE10hipError_tPvRmT3_T4_T5_T6_T7_T9_mT8_P12ihipStream_tbDpT10_ENKUlT_T0_E_clISt17integral_constantIbLb0EES1C_EEDaS17_S18_EUlS17_E_NS1_11comp_targetILNS1_3genE8ELNS1_11target_archE1030ELNS1_3gpuE2ELNS1_3repE0EEENS1_30default_config_static_selectorELNS0_4arch9wavefront6targetE1EEEvT1_: ; @_ZN7rocprim17ROCPRIM_400000_NS6detail17trampoline_kernelINS0_14default_configENS1_25partition_config_selectorILNS1_17partition_subalgoE9EllbEEZZNS1_14partition_implILS5_9ELb0ES3_jPlS8_PNS0_10empty_typeENS0_5tupleIJS8_S9_EEENSB_IJS8_SA_EEENS0_18inequality_wrapperIZN2at6native12_GLOBAL__N_124unique_dim_cuda_templateIN3c108BFloat16EEESt5tupleIJNSF_6TensorESM_SM_EERKSM_lbbbEUlllE0_EEPmJS9_EEE10hipError_tPvRmT3_T4_T5_T6_T7_T9_mT8_P12ihipStream_tbDpT10_ENKUlT_T0_E_clISt17integral_constantIbLb0EES1C_EEDaS17_S18_EUlS17_E_NS1_11comp_targetILNS1_3genE8ELNS1_11target_archE1030ELNS1_3gpuE2ELNS1_3repE0EEENS1_30default_config_static_selectorELNS0_4arch9wavefront6targetE1EEEvT1_
; %bb.0:
	.section	.rodata,"a",@progbits
	.p2align	6, 0x0
	.amdhsa_kernel _ZN7rocprim17ROCPRIM_400000_NS6detail17trampoline_kernelINS0_14default_configENS1_25partition_config_selectorILNS1_17partition_subalgoE9EllbEEZZNS1_14partition_implILS5_9ELb0ES3_jPlS8_PNS0_10empty_typeENS0_5tupleIJS8_S9_EEENSB_IJS8_SA_EEENS0_18inequality_wrapperIZN2at6native12_GLOBAL__N_124unique_dim_cuda_templateIN3c108BFloat16EEESt5tupleIJNSF_6TensorESM_SM_EERKSM_lbbbEUlllE0_EEPmJS9_EEE10hipError_tPvRmT3_T4_T5_T6_T7_T9_mT8_P12ihipStream_tbDpT10_ENKUlT_T0_E_clISt17integral_constantIbLb0EES1C_EEDaS17_S18_EUlS17_E_NS1_11comp_targetILNS1_3genE8ELNS1_11target_archE1030ELNS1_3gpuE2ELNS1_3repE0EEENS1_30default_config_static_selectorELNS0_4arch9wavefront6targetE1EEEvT1_
		.amdhsa_group_segment_fixed_size 0
		.amdhsa_private_segment_fixed_size 0
		.amdhsa_kernarg_size 120
		.amdhsa_user_sgpr_count 2
		.amdhsa_user_sgpr_dispatch_ptr 0
		.amdhsa_user_sgpr_queue_ptr 0
		.amdhsa_user_sgpr_kernarg_segment_ptr 1
		.amdhsa_user_sgpr_dispatch_id 0
		.amdhsa_user_sgpr_kernarg_preload_length 0
		.amdhsa_user_sgpr_kernarg_preload_offset 0
		.amdhsa_user_sgpr_private_segment_size 0
		.amdhsa_uses_dynamic_stack 0
		.amdhsa_enable_private_segment 0
		.amdhsa_system_sgpr_workgroup_id_x 1
		.amdhsa_system_sgpr_workgroup_id_y 0
		.amdhsa_system_sgpr_workgroup_id_z 0
		.amdhsa_system_sgpr_workgroup_info 0
		.amdhsa_system_vgpr_workitem_id 0
		.amdhsa_next_free_vgpr 1
		.amdhsa_next_free_sgpr 0
		.amdhsa_accum_offset 4
		.amdhsa_reserve_vcc 0
		.amdhsa_float_round_mode_32 0
		.amdhsa_float_round_mode_16_64 0
		.amdhsa_float_denorm_mode_32 3
		.amdhsa_float_denorm_mode_16_64 3
		.amdhsa_dx10_clamp 1
		.amdhsa_ieee_mode 1
		.amdhsa_fp16_overflow 0
		.amdhsa_tg_split 0
		.amdhsa_exception_fp_ieee_invalid_op 0
		.amdhsa_exception_fp_denorm_src 0
		.amdhsa_exception_fp_ieee_div_zero 0
		.amdhsa_exception_fp_ieee_overflow 0
		.amdhsa_exception_fp_ieee_underflow 0
		.amdhsa_exception_fp_ieee_inexact 0
		.amdhsa_exception_int_div_zero 0
	.end_amdhsa_kernel
	.section	.text._ZN7rocprim17ROCPRIM_400000_NS6detail17trampoline_kernelINS0_14default_configENS1_25partition_config_selectorILNS1_17partition_subalgoE9EllbEEZZNS1_14partition_implILS5_9ELb0ES3_jPlS8_PNS0_10empty_typeENS0_5tupleIJS8_S9_EEENSB_IJS8_SA_EEENS0_18inequality_wrapperIZN2at6native12_GLOBAL__N_124unique_dim_cuda_templateIN3c108BFloat16EEESt5tupleIJNSF_6TensorESM_SM_EERKSM_lbbbEUlllE0_EEPmJS9_EEE10hipError_tPvRmT3_T4_T5_T6_T7_T9_mT8_P12ihipStream_tbDpT10_ENKUlT_T0_E_clISt17integral_constantIbLb0EES1C_EEDaS17_S18_EUlS17_E_NS1_11comp_targetILNS1_3genE8ELNS1_11target_archE1030ELNS1_3gpuE2ELNS1_3repE0EEENS1_30default_config_static_selectorELNS0_4arch9wavefront6targetE1EEEvT1_,"axG",@progbits,_ZN7rocprim17ROCPRIM_400000_NS6detail17trampoline_kernelINS0_14default_configENS1_25partition_config_selectorILNS1_17partition_subalgoE9EllbEEZZNS1_14partition_implILS5_9ELb0ES3_jPlS8_PNS0_10empty_typeENS0_5tupleIJS8_S9_EEENSB_IJS8_SA_EEENS0_18inequality_wrapperIZN2at6native12_GLOBAL__N_124unique_dim_cuda_templateIN3c108BFloat16EEESt5tupleIJNSF_6TensorESM_SM_EERKSM_lbbbEUlllE0_EEPmJS9_EEE10hipError_tPvRmT3_T4_T5_T6_T7_T9_mT8_P12ihipStream_tbDpT10_ENKUlT_T0_E_clISt17integral_constantIbLb0EES1C_EEDaS17_S18_EUlS17_E_NS1_11comp_targetILNS1_3genE8ELNS1_11target_archE1030ELNS1_3gpuE2ELNS1_3repE0EEENS1_30default_config_static_selectorELNS0_4arch9wavefront6targetE1EEEvT1_,comdat
.Lfunc_end1213:
	.size	_ZN7rocprim17ROCPRIM_400000_NS6detail17trampoline_kernelINS0_14default_configENS1_25partition_config_selectorILNS1_17partition_subalgoE9EllbEEZZNS1_14partition_implILS5_9ELb0ES3_jPlS8_PNS0_10empty_typeENS0_5tupleIJS8_S9_EEENSB_IJS8_SA_EEENS0_18inequality_wrapperIZN2at6native12_GLOBAL__N_124unique_dim_cuda_templateIN3c108BFloat16EEESt5tupleIJNSF_6TensorESM_SM_EERKSM_lbbbEUlllE0_EEPmJS9_EEE10hipError_tPvRmT3_T4_T5_T6_T7_T9_mT8_P12ihipStream_tbDpT10_ENKUlT_T0_E_clISt17integral_constantIbLb0EES1C_EEDaS17_S18_EUlS17_E_NS1_11comp_targetILNS1_3genE8ELNS1_11target_archE1030ELNS1_3gpuE2ELNS1_3repE0EEENS1_30default_config_static_selectorELNS0_4arch9wavefront6targetE1EEEvT1_, .Lfunc_end1213-_ZN7rocprim17ROCPRIM_400000_NS6detail17trampoline_kernelINS0_14default_configENS1_25partition_config_selectorILNS1_17partition_subalgoE9EllbEEZZNS1_14partition_implILS5_9ELb0ES3_jPlS8_PNS0_10empty_typeENS0_5tupleIJS8_S9_EEENSB_IJS8_SA_EEENS0_18inequality_wrapperIZN2at6native12_GLOBAL__N_124unique_dim_cuda_templateIN3c108BFloat16EEESt5tupleIJNSF_6TensorESM_SM_EERKSM_lbbbEUlllE0_EEPmJS9_EEE10hipError_tPvRmT3_T4_T5_T6_T7_T9_mT8_P12ihipStream_tbDpT10_ENKUlT_T0_E_clISt17integral_constantIbLb0EES1C_EEDaS17_S18_EUlS17_E_NS1_11comp_targetILNS1_3genE8ELNS1_11target_archE1030ELNS1_3gpuE2ELNS1_3repE0EEENS1_30default_config_static_selectorELNS0_4arch9wavefront6targetE1EEEvT1_
                                        ; -- End function
	.set _ZN7rocprim17ROCPRIM_400000_NS6detail17trampoline_kernelINS0_14default_configENS1_25partition_config_selectorILNS1_17partition_subalgoE9EllbEEZZNS1_14partition_implILS5_9ELb0ES3_jPlS8_PNS0_10empty_typeENS0_5tupleIJS8_S9_EEENSB_IJS8_SA_EEENS0_18inequality_wrapperIZN2at6native12_GLOBAL__N_124unique_dim_cuda_templateIN3c108BFloat16EEESt5tupleIJNSF_6TensorESM_SM_EERKSM_lbbbEUlllE0_EEPmJS9_EEE10hipError_tPvRmT3_T4_T5_T6_T7_T9_mT8_P12ihipStream_tbDpT10_ENKUlT_T0_E_clISt17integral_constantIbLb0EES1C_EEDaS17_S18_EUlS17_E_NS1_11comp_targetILNS1_3genE8ELNS1_11target_archE1030ELNS1_3gpuE2ELNS1_3repE0EEENS1_30default_config_static_selectorELNS0_4arch9wavefront6targetE1EEEvT1_.num_vgpr, 0
	.set _ZN7rocprim17ROCPRIM_400000_NS6detail17trampoline_kernelINS0_14default_configENS1_25partition_config_selectorILNS1_17partition_subalgoE9EllbEEZZNS1_14partition_implILS5_9ELb0ES3_jPlS8_PNS0_10empty_typeENS0_5tupleIJS8_S9_EEENSB_IJS8_SA_EEENS0_18inequality_wrapperIZN2at6native12_GLOBAL__N_124unique_dim_cuda_templateIN3c108BFloat16EEESt5tupleIJNSF_6TensorESM_SM_EERKSM_lbbbEUlllE0_EEPmJS9_EEE10hipError_tPvRmT3_T4_T5_T6_T7_T9_mT8_P12ihipStream_tbDpT10_ENKUlT_T0_E_clISt17integral_constantIbLb0EES1C_EEDaS17_S18_EUlS17_E_NS1_11comp_targetILNS1_3genE8ELNS1_11target_archE1030ELNS1_3gpuE2ELNS1_3repE0EEENS1_30default_config_static_selectorELNS0_4arch9wavefront6targetE1EEEvT1_.num_agpr, 0
	.set _ZN7rocprim17ROCPRIM_400000_NS6detail17trampoline_kernelINS0_14default_configENS1_25partition_config_selectorILNS1_17partition_subalgoE9EllbEEZZNS1_14partition_implILS5_9ELb0ES3_jPlS8_PNS0_10empty_typeENS0_5tupleIJS8_S9_EEENSB_IJS8_SA_EEENS0_18inequality_wrapperIZN2at6native12_GLOBAL__N_124unique_dim_cuda_templateIN3c108BFloat16EEESt5tupleIJNSF_6TensorESM_SM_EERKSM_lbbbEUlllE0_EEPmJS9_EEE10hipError_tPvRmT3_T4_T5_T6_T7_T9_mT8_P12ihipStream_tbDpT10_ENKUlT_T0_E_clISt17integral_constantIbLb0EES1C_EEDaS17_S18_EUlS17_E_NS1_11comp_targetILNS1_3genE8ELNS1_11target_archE1030ELNS1_3gpuE2ELNS1_3repE0EEENS1_30default_config_static_selectorELNS0_4arch9wavefront6targetE1EEEvT1_.numbered_sgpr, 0
	.set _ZN7rocprim17ROCPRIM_400000_NS6detail17trampoline_kernelINS0_14default_configENS1_25partition_config_selectorILNS1_17partition_subalgoE9EllbEEZZNS1_14partition_implILS5_9ELb0ES3_jPlS8_PNS0_10empty_typeENS0_5tupleIJS8_S9_EEENSB_IJS8_SA_EEENS0_18inequality_wrapperIZN2at6native12_GLOBAL__N_124unique_dim_cuda_templateIN3c108BFloat16EEESt5tupleIJNSF_6TensorESM_SM_EERKSM_lbbbEUlllE0_EEPmJS9_EEE10hipError_tPvRmT3_T4_T5_T6_T7_T9_mT8_P12ihipStream_tbDpT10_ENKUlT_T0_E_clISt17integral_constantIbLb0EES1C_EEDaS17_S18_EUlS17_E_NS1_11comp_targetILNS1_3genE8ELNS1_11target_archE1030ELNS1_3gpuE2ELNS1_3repE0EEENS1_30default_config_static_selectorELNS0_4arch9wavefront6targetE1EEEvT1_.num_named_barrier, 0
	.set _ZN7rocprim17ROCPRIM_400000_NS6detail17trampoline_kernelINS0_14default_configENS1_25partition_config_selectorILNS1_17partition_subalgoE9EllbEEZZNS1_14partition_implILS5_9ELb0ES3_jPlS8_PNS0_10empty_typeENS0_5tupleIJS8_S9_EEENSB_IJS8_SA_EEENS0_18inequality_wrapperIZN2at6native12_GLOBAL__N_124unique_dim_cuda_templateIN3c108BFloat16EEESt5tupleIJNSF_6TensorESM_SM_EERKSM_lbbbEUlllE0_EEPmJS9_EEE10hipError_tPvRmT3_T4_T5_T6_T7_T9_mT8_P12ihipStream_tbDpT10_ENKUlT_T0_E_clISt17integral_constantIbLb0EES1C_EEDaS17_S18_EUlS17_E_NS1_11comp_targetILNS1_3genE8ELNS1_11target_archE1030ELNS1_3gpuE2ELNS1_3repE0EEENS1_30default_config_static_selectorELNS0_4arch9wavefront6targetE1EEEvT1_.private_seg_size, 0
	.set _ZN7rocprim17ROCPRIM_400000_NS6detail17trampoline_kernelINS0_14default_configENS1_25partition_config_selectorILNS1_17partition_subalgoE9EllbEEZZNS1_14partition_implILS5_9ELb0ES3_jPlS8_PNS0_10empty_typeENS0_5tupleIJS8_S9_EEENSB_IJS8_SA_EEENS0_18inequality_wrapperIZN2at6native12_GLOBAL__N_124unique_dim_cuda_templateIN3c108BFloat16EEESt5tupleIJNSF_6TensorESM_SM_EERKSM_lbbbEUlllE0_EEPmJS9_EEE10hipError_tPvRmT3_T4_T5_T6_T7_T9_mT8_P12ihipStream_tbDpT10_ENKUlT_T0_E_clISt17integral_constantIbLb0EES1C_EEDaS17_S18_EUlS17_E_NS1_11comp_targetILNS1_3genE8ELNS1_11target_archE1030ELNS1_3gpuE2ELNS1_3repE0EEENS1_30default_config_static_selectorELNS0_4arch9wavefront6targetE1EEEvT1_.uses_vcc, 0
	.set _ZN7rocprim17ROCPRIM_400000_NS6detail17trampoline_kernelINS0_14default_configENS1_25partition_config_selectorILNS1_17partition_subalgoE9EllbEEZZNS1_14partition_implILS5_9ELb0ES3_jPlS8_PNS0_10empty_typeENS0_5tupleIJS8_S9_EEENSB_IJS8_SA_EEENS0_18inequality_wrapperIZN2at6native12_GLOBAL__N_124unique_dim_cuda_templateIN3c108BFloat16EEESt5tupleIJNSF_6TensorESM_SM_EERKSM_lbbbEUlllE0_EEPmJS9_EEE10hipError_tPvRmT3_T4_T5_T6_T7_T9_mT8_P12ihipStream_tbDpT10_ENKUlT_T0_E_clISt17integral_constantIbLb0EES1C_EEDaS17_S18_EUlS17_E_NS1_11comp_targetILNS1_3genE8ELNS1_11target_archE1030ELNS1_3gpuE2ELNS1_3repE0EEENS1_30default_config_static_selectorELNS0_4arch9wavefront6targetE1EEEvT1_.uses_flat_scratch, 0
	.set _ZN7rocprim17ROCPRIM_400000_NS6detail17trampoline_kernelINS0_14default_configENS1_25partition_config_selectorILNS1_17partition_subalgoE9EllbEEZZNS1_14partition_implILS5_9ELb0ES3_jPlS8_PNS0_10empty_typeENS0_5tupleIJS8_S9_EEENSB_IJS8_SA_EEENS0_18inequality_wrapperIZN2at6native12_GLOBAL__N_124unique_dim_cuda_templateIN3c108BFloat16EEESt5tupleIJNSF_6TensorESM_SM_EERKSM_lbbbEUlllE0_EEPmJS9_EEE10hipError_tPvRmT3_T4_T5_T6_T7_T9_mT8_P12ihipStream_tbDpT10_ENKUlT_T0_E_clISt17integral_constantIbLb0EES1C_EEDaS17_S18_EUlS17_E_NS1_11comp_targetILNS1_3genE8ELNS1_11target_archE1030ELNS1_3gpuE2ELNS1_3repE0EEENS1_30default_config_static_selectorELNS0_4arch9wavefront6targetE1EEEvT1_.has_dyn_sized_stack, 0
	.set _ZN7rocprim17ROCPRIM_400000_NS6detail17trampoline_kernelINS0_14default_configENS1_25partition_config_selectorILNS1_17partition_subalgoE9EllbEEZZNS1_14partition_implILS5_9ELb0ES3_jPlS8_PNS0_10empty_typeENS0_5tupleIJS8_S9_EEENSB_IJS8_SA_EEENS0_18inequality_wrapperIZN2at6native12_GLOBAL__N_124unique_dim_cuda_templateIN3c108BFloat16EEESt5tupleIJNSF_6TensorESM_SM_EERKSM_lbbbEUlllE0_EEPmJS9_EEE10hipError_tPvRmT3_T4_T5_T6_T7_T9_mT8_P12ihipStream_tbDpT10_ENKUlT_T0_E_clISt17integral_constantIbLb0EES1C_EEDaS17_S18_EUlS17_E_NS1_11comp_targetILNS1_3genE8ELNS1_11target_archE1030ELNS1_3gpuE2ELNS1_3repE0EEENS1_30default_config_static_selectorELNS0_4arch9wavefront6targetE1EEEvT1_.has_recursion, 0
	.set _ZN7rocprim17ROCPRIM_400000_NS6detail17trampoline_kernelINS0_14default_configENS1_25partition_config_selectorILNS1_17partition_subalgoE9EllbEEZZNS1_14partition_implILS5_9ELb0ES3_jPlS8_PNS0_10empty_typeENS0_5tupleIJS8_S9_EEENSB_IJS8_SA_EEENS0_18inequality_wrapperIZN2at6native12_GLOBAL__N_124unique_dim_cuda_templateIN3c108BFloat16EEESt5tupleIJNSF_6TensorESM_SM_EERKSM_lbbbEUlllE0_EEPmJS9_EEE10hipError_tPvRmT3_T4_T5_T6_T7_T9_mT8_P12ihipStream_tbDpT10_ENKUlT_T0_E_clISt17integral_constantIbLb0EES1C_EEDaS17_S18_EUlS17_E_NS1_11comp_targetILNS1_3genE8ELNS1_11target_archE1030ELNS1_3gpuE2ELNS1_3repE0EEENS1_30default_config_static_selectorELNS0_4arch9wavefront6targetE1EEEvT1_.has_indirect_call, 0
	.section	.AMDGPU.csdata,"",@progbits
; Kernel info:
; codeLenInByte = 0
; TotalNumSgprs: 6
; NumVgprs: 0
; NumAgprs: 0
; TotalNumVgprs: 0
; ScratchSize: 0
; MemoryBound: 0
; FloatMode: 240
; IeeeMode: 1
; LDSByteSize: 0 bytes/workgroup (compile time only)
; SGPRBlocks: 0
; VGPRBlocks: 0
; NumSGPRsForWavesPerEU: 6
; NumVGPRsForWavesPerEU: 1
; AccumOffset: 4
; Occupancy: 8
; WaveLimiterHint : 0
; COMPUTE_PGM_RSRC2:SCRATCH_EN: 0
; COMPUTE_PGM_RSRC2:USER_SGPR: 2
; COMPUTE_PGM_RSRC2:TRAP_HANDLER: 0
; COMPUTE_PGM_RSRC2:TGID_X_EN: 1
; COMPUTE_PGM_RSRC2:TGID_Y_EN: 0
; COMPUTE_PGM_RSRC2:TGID_Z_EN: 0
; COMPUTE_PGM_RSRC2:TIDIG_COMP_CNT: 0
; COMPUTE_PGM_RSRC3_GFX90A:ACCUM_OFFSET: 0
; COMPUTE_PGM_RSRC3_GFX90A:TG_SPLIT: 0
	.section	.text._ZN7rocprim17ROCPRIM_400000_NS6detail17trampoline_kernelINS0_14default_configENS1_25partition_config_selectorILNS1_17partition_subalgoE9EllbEEZZNS1_14partition_implILS5_9ELb0ES3_jPlS8_PNS0_10empty_typeENS0_5tupleIJS8_S9_EEENSB_IJS8_SA_EEENS0_18inequality_wrapperIZN2at6native12_GLOBAL__N_124unique_dim_cuda_templateIN3c108BFloat16EEESt5tupleIJNSF_6TensorESM_SM_EERKSM_lbbbEUlllE0_EEPmJS9_EEE10hipError_tPvRmT3_T4_T5_T6_T7_T9_mT8_P12ihipStream_tbDpT10_ENKUlT_T0_E_clISt17integral_constantIbLb1EES1C_EEDaS17_S18_EUlS17_E_NS1_11comp_targetILNS1_3genE0ELNS1_11target_archE4294967295ELNS1_3gpuE0ELNS1_3repE0EEENS1_30default_config_static_selectorELNS0_4arch9wavefront6targetE1EEEvT1_,"axG",@progbits,_ZN7rocprim17ROCPRIM_400000_NS6detail17trampoline_kernelINS0_14default_configENS1_25partition_config_selectorILNS1_17partition_subalgoE9EllbEEZZNS1_14partition_implILS5_9ELb0ES3_jPlS8_PNS0_10empty_typeENS0_5tupleIJS8_S9_EEENSB_IJS8_SA_EEENS0_18inequality_wrapperIZN2at6native12_GLOBAL__N_124unique_dim_cuda_templateIN3c108BFloat16EEESt5tupleIJNSF_6TensorESM_SM_EERKSM_lbbbEUlllE0_EEPmJS9_EEE10hipError_tPvRmT3_T4_T5_T6_T7_T9_mT8_P12ihipStream_tbDpT10_ENKUlT_T0_E_clISt17integral_constantIbLb1EES1C_EEDaS17_S18_EUlS17_E_NS1_11comp_targetILNS1_3genE0ELNS1_11target_archE4294967295ELNS1_3gpuE0ELNS1_3repE0EEENS1_30default_config_static_selectorELNS0_4arch9wavefront6targetE1EEEvT1_,comdat
	.globl	_ZN7rocprim17ROCPRIM_400000_NS6detail17trampoline_kernelINS0_14default_configENS1_25partition_config_selectorILNS1_17partition_subalgoE9EllbEEZZNS1_14partition_implILS5_9ELb0ES3_jPlS8_PNS0_10empty_typeENS0_5tupleIJS8_S9_EEENSB_IJS8_SA_EEENS0_18inequality_wrapperIZN2at6native12_GLOBAL__N_124unique_dim_cuda_templateIN3c108BFloat16EEESt5tupleIJNSF_6TensorESM_SM_EERKSM_lbbbEUlllE0_EEPmJS9_EEE10hipError_tPvRmT3_T4_T5_T6_T7_T9_mT8_P12ihipStream_tbDpT10_ENKUlT_T0_E_clISt17integral_constantIbLb1EES1C_EEDaS17_S18_EUlS17_E_NS1_11comp_targetILNS1_3genE0ELNS1_11target_archE4294967295ELNS1_3gpuE0ELNS1_3repE0EEENS1_30default_config_static_selectorELNS0_4arch9wavefront6targetE1EEEvT1_ ; -- Begin function _ZN7rocprim17ROCPRIM_400000_NS6detail17trampoline_kernelINS0_14default_configENS1_25partition_config_selectorILNS1_17partition_subalgoE9EllbEEZZNS1_14partition_implILS5_9ELb0ES3_jPlS8_PNS0_10empty_typeENS0_5tupleIJS8_S9_EEENSB_IJS8_SA_EEENS0_18inequality_wrapperIZN2at6native12_GLOBAL__N_124unique_dim_cuda_templateIN3c108BFloat16EEESt5tupleIJNSF_6TensorESM_SM_EERKSM_lbbbEUlllE0_EEPmJS9_EEE10hipError_tPvRmT3_T4_T5_T6_T7_T9_mT8_P12ihipStream_tbDpT10_ENKUlT_T0_E_clISt17integral_constantIbLb1EES1C_EEDaS17_S18_EUlS17_E_NS1_11comp_targetILNS1_3genE0ELNS1_11target_archE4294967295ELNS1_3gpuE0ELNS1_3repE0EEENS1_30default_config_static_selectorELNS0_4arch9wavefront6targetE1EEEvT1_
	.p2align	8
	.type	_ZN7rocprim17ROCPRIM_400000_NS6detail17trampoline_kernelINS0_14default_configENS1_25partition_config_selectorILNS1_17partition_subalgoE9EllbEEZZNS1_14partition_implILS5_9ELb0ES3_jPlS8_PNS0_10empty_typeENS0_5tupleIJS8_S9_EEENSB_IJS8_SA_EEENS0_18inequality_wrapperIZN2at6native12_GLOBAL__N_124unique_dim_cuda_templateIN3c108BFloat16EEESt5tupleIJNSF_6TensorESM_SM_EERKSM_lbbbEUlllE0_EEPmJS9_EEE10hipError_tPvRmT3_T4_T5_T6_T7_T9_mT8_P12ihipStream_tbDpT10_ENKUlT_T0_E_clISt17integral_constantIbLb1EES1C_EEDaS17_S18_EUlS17_E_NS1_11comp_targetILNS1_3genE0ELNS1_11target_archE4294967295ELNS1_3gpuE0ELNS1_3repE0EEENS1_30default_config_static_selectorELNS0_4arch9wavefront6targetE1EEEvT1_,@function
_ZN7rocprim17ROCPRIM_400000_NS6detail17trampoline_kernelINS0_14default_configENS1_25partition_config_selectorILNS1_17partition_subalgoE9EllbEEZZNS1_14partition_implILS5_9ELb0ES3_jPlS8_PNS0_10empty_typeENS0_5tupleIJS8_S9_EEENSB_IJS8_SA_EEENS0_18inequality_wrapperIZN2at6native12_GLOBAL__N_124unique_dim_cuda_templateIN3c108BFloat16EEESt5tupleIJNSF_6TensorESM_SM_EERKSM_lbbbEUlllE0_EEPmJS9_EEE10hipError_tPvRmT3_T4_T5_T6_T7_T9_mT8_P12ihipStream_tbDpT10_ENKUlT_T0_E_clISt17integral_constantIbLb1EES1C_EEDaS17_S18_EUlS17_E_NS1_11comp_targetILNS1_3genE0ELNS1_11target_archE4294967295ELNS1_3gpuE0ELNS1_3repE0EEENS1_30default_config_static_selectorELNS0_4arch9wavefront6targetE1EEEvT1_: ; @_ZN7rocprim17ROCPRIM_400000_NS6detail17trampoline_kernelINS0_14default_configENS1_25partition_config_selectorILNS1_17partition_subalgoE9EllbEEZZNS1_14partition_implILS5_9ELb0ES3_jPlS8_PNS0_10empty_typeENS0_5tupleIJS8_S9_EEENSB_IJS8_SA_EEENS0_18inequality_wrapperIZN2at6native12_GLOBAL__N_124unique_dim_cuda_templateIN3c108BFloat16EEESt5tupleIJNSF_6TensorESM_SM_EERKSM_lbbbEUlllE0_EEPmJS9_EEE10hipError_tPvRmT3_T4_T5_T6_T7_T9_mT8_P12ihipStream_tbDpT10_ENKUlT_T0_E_clISt17integral_constantIbLb1EES1C_EEDaS17_S18_EUlS17_E_NS1_11comp_targetILNS1_3genE0ELNS1_11target_archE4294967295ELNS1_3gpuE0ELNS1_3repE0EEENS1_30default_config_static_selectorELNS0_4arch9wavefront6targetE1EEEvT1_
; %bb.0:
	s_endpgm
	.section	.rodata,"a",@progbits
	.p2align	6, 0x0
	.amdhsa_kernel _ZN7rocprim17ROCPRIM_400000_NS6detail17trampoline_kernelINS0_14default_configENS1_25partition_config_selectorILNS1_17partition_subalgoE9EllbEEZZNS1_14partition_implILS5_9ELb0ES3_jPlS8_PNS0_10empty_typeENS0_5tupleIJS8_S9_EEENSB_IJS8_SA_EEENS0_18inequality_wrapperIZN2at6native12_GLOBAL__N_124unique_dim_cuda_templateIN3c108BFloat16EEESt5tupleIJNSF_6TensorESM_SM_EERKSM_lbbbEUlllE0_EEPmJS9_EEE10hipError_tPvRmT3_T4_T5_T6_T7_T9_mT8_P12ihipStream_tbDpT10_ENKUlT_T0_E_clISt17integral_constantIbLb1EES1C_EEDaS17_S18_EUlS17_E_NS1_11comp_targetILNS1_3genE0ELNS1_11target_archE4294967295ELNS1_3gpuE0ELNS1_3repE0EEENS1_30default_config_static_selectorELNS0_4arch9wavefront6targetE1EEEvT1_
		.amdhsa_group_segment_fixed_size 0
		.amdhsa_private_segment_fixed_size 0
		.amdhsa_kernarg_size 136
		.amdhsa_user_sgpr_count 2
		.amdhsa_user_sgpr_dispatch_ptr 0
		.amdhsa_user_sgpr_queue_ptr 0
		.amdhsa_user_sgpr_kernarg_segment_ptr 1
		.amdhsa_user_sgpr_dispatch_id 0
		.amdhsa_user_sgpr_kernarg_preload_length 0
		.amdhsa_user_sgpr_kernarg_preload_offset 0
		.amdhsa_user_sgpr_private_segment_size 0
		.amdhsa_uses_dynamic_stack 0
		.amdhsa_enable_private_segment 0
		.amdhsa_system_sgpr_workgroup_id_x 1
		.amdhsa_system_sgpr_workgroup_id_y 0
		.amdhsa_system_sgpr_workgroup_id_z 0
		.amdhsa_system_sgpr_workgroup_info 0
		.amdhsa_system_vgpr_workitem_id 0
		.amdhsa_next_free_vgpr 1
		.amdhsa_next_free_sgpr 0
		.amdhsa_accum_offset 4
		.amdhsa_reserve_vcc 0
		.amdhsa_float_round_mode_32 0
		.amdhsa_float_round_mode_16_64 0
		.amdhsa_float_denorm_mode_32 3
		.amdhsa_float_denorm_mode_16_64 3
		.amdhsa_dx10_clamp 1
		.amdhsa_ieee_mode 1
		.amdhsa_fp16_overflow 0
		.amdhsa_tg_split 0
		.amdhsa_exception_fp_ieee_invalid_op 0
		.amdhsa_exception_fp_denorm_src 0
		.amdhsa_exception_fp_ieee_div_zero 0
		.amdhsa_exception_fp_ieee_overflow 0
		.amdhsa_exception_fp_ieee_underflow 0
		.amdhsa_exception_fp_ieee_inexact 0
		.amdhsa_exception_int_div_zero 0
	.end_amdhsa_kernel
	.section	.text._ZN7rocprim17ROCPRIM_400000_NS6detail17trampoline_kernelINS0_14default_configENS1_25partition_config_selectorILNS1_17partition_subalgoE9EllbEEZZNS1_14partition_implILS5_9ELb0ES3_jPlS8_PNS0_10empty_typeENS0_5tupleIJS8_S9_EEENSB_IJS8_SA_EEENS0_18inequality_wrapperIZN2at6native12_GLOBAL__N_124unique_dim_cuda_templateIN3c108BFloat16EEESt5tupleIJNSF_6TensorESM_SM_EERKSM_lbbbEUlllE0_EEPmJS9_EEE10hipError_tPvRmT3_T4_T5_T6_T7_T9_mT8_P12ihipStream_tbDpT10_ENKUlT_T0_E_clISt17integral_constantIbLb1EES1C_EEDaS17_S18_EUlS17_E_NS1_11comp_targetILNS1_3genE0ELNS1_11target_archE4294967295ELNS1_3gpuE0ELNS1_3repE0EEENS1_30default_config_static_selectorELNS0_4arch9wavefront6targetE1EEEvT1_,"axG",@progbits,_ZN7rocprim17ROCPRIM_400000_NS6detail17trampoline_kernelINS0_14default_configENS1_25partition_config_selectorILNS1_17partition_subalgoE9EllbEEZZNS1_14partition_implILS5_9ELb0ES3_jPlS8_PNS0_10empty_typeENS0_5tupleIJS8_S9_EEENSB_IJS8_SA_EEENS0_18inequality_wrapperIZN2at6native12_GLOBAL__N_124unique_dim_cuda_templateIN3c108BFloat16EEESt5tupleIJNSF_6TensorESM_SM_EERKSM_lbbbEUlllE0_EEPmJS9_EEE10hipError_tPvRmT3_T4_T5_T6_T7_T9_mT8_P12ihipStream_tbDpT10_ENKUlT_T0_E_clISt17integral_constantIbLb1EES1C_EEDaS17_S18_EUlS17_E_NS1_11comp_targetILNS1_3genE0ELNS1_11target_archE4294967295ELNS1_3gpuE0ELNS1_3repE0EEENS1_30default_config_static_selectorELNS0_4arch9wavefront6targetE1EEEvT1_,comdat
.Lfunc_end1214:
	.size	_ZN7rocprim17ROCPRIM_400000_NS6detail17trampoline_kernelINS0_14default_configENS1_25partition_config_selectorILNS1_17partition_subalgoE9EllbEEZZNS1_14partition_implILS5_9ELb0ES3_jPlS8_PNS0_10empty_typeENS0_5tupleIJS8_S9_EEENSB_IJS8_SA_EEENS0_18inequality_wrapperIZN2at6native12_GLOBAL__N_124unique_dim_cuda_templateIN3c108BFloat16EEESt5tupleIJNSF_6TensorESM_SM_EERKSM_lbbbEUlllE0_EEPmJS9_EEE10hipError_tPvRmT3_T4_T5_T6_T7_T9_mT8_P12ihipStream_tbDpT10_ENKUlT_T0_E_clISt17integral_constantIbLb1EES1C_EEDaS17_S18_EUlS17_E_NS1_11comp_targetILNS1_3genE0ELNS1_11target_archE4294967295ELNS1_3gpuE0ELNS1_3repE0EEENS1_30default_config_static_selectorELNS0_4arch9wavefront6targetE1EEEvT1_, .Lfunc_end1214-_ZN7rocprim17ROCPRIM_400000_NS6detail17trampoline_kernelINS0_14default_configENS1_25partition_config_selectorILNS1_17partition_subalgoE9EllbEEZZNS1_14partition_implILS5_9ELb0ES3_jPlS8_PNS0_10empty_typeENS0_5tupleIJS8_S9_EEENSB_IJS8_SA_EEENS0_18inequality_wrapperIZN2at6native12_GLOBAL__N_124unique_dim_cuda_templateIN3c108BFloat16EEESt5tupleIJNSF_6TensorESM_SM_EERKSM_lbbbEUlllE0_EEPmJS9_EEE10hipError_tPvRmT3_T4_T5_T6_T7_T9_mT8_P12ihipStream_tbDpT10_ENKUlT_T0_E_clISt17integral_constantIbLb1EES1C_EEDaS17_S18_EUlS17_E_NS1_11comp_targetILNS1_3genE0ELNS1_11target_archE4294967295ELNS1_3gpuE0ELNS1_3repE0EEENS1_30default_config_static_selectorELNS0_4arch9wavefront6targetE1EEEvT1_
                                        ; -- End function
	.set _ZN7rocprim17ROCPRIM_400000_NS6detail17trampoline_kernelINS0_14default_configENS1_25partition_config_selectorILNS1_17partition_subalgoE9EllbEEZZNS1_14partition_implILS5_9ELb0ES3_jPlS8_PNS0_10empty_typeENS0_5tupleIJS8_S9_EEENSB_IJS8_SA_EEENS0_18inequality_wrapperIZN2at6native12_GLOBAL__N_124unique_dim_cuda_templateIN3c108BFloat16EEESt5tupleIJNSF_6TensorESM_SM_EERKSM_lbbbEUlllE0_EEPmJS9_EEE10hipError_tPvRmT3_T4_T5_T6_T7_T9_mT8_P12ihipStream_tbDpT10_ENKUlT_T0_E_clISt17integral_constantIbLb1EES1C_EEDaS17_S18_EUlS17_E_NS1_11comp_targetILNS1_3genE0ELNS1_11target_archE4294967295ELNS1_3gpuE0ELNS1_3repE0EEENS1_30default_config_static_selectorELNS0_4arch9wavefront6targetE1EEEvT1_.num_vgpr, 0
	.set _ZN7rocprim17ROCPRIM_400000_NS6detail17trampoline_kernelINS0_14default_configENS1_25partition_config_selectorILNS1_17partition_subalgoE9EllbEEZZNS1_14partition_implILS5_9ELb0ES3_jPlS8_PNS0_10empty_typeENS0_5tupleIJS8_S9_EEENSB_IJS8_SA_EEENS0_18inequality_wrapperIZN2at6native12_GLOBAL__N_124unique_dim_cuda_templateIN3c108BFloat16EEESt5tupleIJNSF_6TensorESM_SM_EERKSM_lbbbEUlllE0_EEPmJS9_EEE10hipError_tPvRmT3_T4_T5_T6_T7_T9_mT8_P12ihipStream_tbDpT10_ENKUlT_T0_E_clISt17integral_constantIbLb1EES1C_EEDaS17_S18_EUlS17_E_NS1_11comp_targetILNS1_3genE0ELNS1_11target_archE4294967295ELNS1_3gpuE0ELNS1_3repE0EEENS1_30default_config_static_selectorELNS0_4arch9wavefront6targetE1EEEvT1_.num_agpr, 0
	.set _ZN7rocprim17ROCPRIM_400000_NS6detail17trampoline_kernelINS0_14default_configENS1_25partition_config_selectorILNS1_17partition_subalgoE9EllbEEZZNS1_14partition_implILS5_9ELb0ES3_jPlS8_PNS0_10empty_typeENS0_5tupleIJS8_S9_EEENSB_IJS8_SA_EEENS0_18inequality_wrapperIZN2at6native12_GLOBAL__N_124unique_dim_cuda_templateIN3c108BFloat16EEESt5tupleIJNSF_6TensorESM_SM_EERKSM_lbbbEUlllE0_EEPmJS9_EEE10hipError_tPvRmT3_T4_T5_T6_T7_T9_mT8_P12ihipStream_tbDpT10_ENKUlT_T0_E_clISt17integral_constantIbLb1EES1C_EEDaS17_S18_EUlS17_E_NS1_11comp_targetILNS1_3genE0ELNS1_11target_archE4294967295ELNS1_3gpuE0ELNS1_3repE0EEENS1_30default_config_static_selectorELNS0_4arch9wavefront6targetE1EEEvT1_.numbered_sgpr, 0
	.set _ZN7rocprim17ROCPRIM_400000_NS6detail17trampoline_kernelINS0_14default_configENS1_25partition_config_selectorILNS1_17partition_subalgoE9EllbEEZZNS1_14partition_implILS5_9ELb0ES3_jPlS8_PNS0_10empty_typeENS0_5tupleIJS8_S9_EEENSB_IJS8_SA_EEENS0_18inequality_wrapperIZN2at6native12_GLOBAL__N_124unique_dim_cuda_templateIN3c108BFloat16EEESt5tupleIJNSF_6TensorESM_SM_EERKSM_lbbbEUlllE0_EEPmJS9_EEE10hipError_tPvRmT3_T4_T5_T6_T7_T9_mT8_P12ihipStream_tbDpT10_ENKUlT_T0_E_clISt17integral_constantIbLb1EES1C_EEDaS17_S18_EUlS17_E_NS1_11comp_targetILNS1_3genE0ELNS1_11target_archE4294967295ELNS1_3gpuE0ELNS1_3repE0EEENS1_30default_config_static_selectorELNS0_4arch9wavefront6targetE1EEEvT1_.num_named_barrier, 0
	.set _ZN7rocprim17ROCPRIM_400000_NS6detail17trampoline_kernelINS0_14default_configENS1_25partition_config_selectorILNS1_17partition_subalgoE9EllbEEZZNS1_14partition_implILS5_9ELb0ES3_jPlS8_PNS0_10empty_typeENS0_5tupleIJS8_S9_EEENSB_IJS8_SA_EEENS0_18inequality_wrapperIZN2at6native12_GLOBAL__N_124unique_dim_cuda_templateIN3c108BFloat16EEESt5tupleIJNSF_6TensorESM_SM_EERKSM_lbbbEUlllE0_EEPmJS9_EEE10hipError_tPvRmT3_T4_T5_T6_T7_T9_mT8_P12ihipStream_tbDpT10_ENKUlT_T0_E_clISt17integral_constantIbLb1EES1C_EEDaS17_S18_EUlS17_E_NS1_11comp_targetILNS1_3genE0ELNS1_11target_archE4294967295ELNS1_3gpuE0ELNS1_3repE0EEENS1_30default_config_static_selectorELNS0_4arch9wavefront6targetE1EEEvT1_.private_seg_size, 0
	.set _ZN7rocprim17ROCPRIM_400000_NS6detail17trampoline_kernelINS0_14default_configENS1_25partition_config_selectorILNS1_17partition_subalgoE9EllbEEZZNS1_14partition_implILS5_9ELb0ES3_jPlS8_PNS0_10empty_typeENS0_5tupleIJS8_S9_EEENSB_IJS8_SA_EEENS0_18inequality_wrapperIZN2at6native12_GLOBAL__N_124unique_dim_cuda_templateIN3c108BFloat16EEESt5tupleIJNSF_6TensorESM_SM_EERKSM_lbbbEUlllE0_EEPmJS9_EEE10hipError_tPvRmT3_T4_T5_T6_T7_T9_mT8_P12ihipStream_tbDpT10_ENKUlT_T0_E_clISt17integral_constantIbLb1EES1C_EEDaS17_S18_EUlS17_E_NS1_11comp_targetILNS1_3genE0ELNS1_11target_archE4294967295ELNS1_3gpuE0ELNS1_3repE0EEENS1_30default_config_static_selectorELNS0_4arch9wavefront6targetE1EEEvT1_.uses_vcc, 0
	.set _ZN7rocprim17ROCPRIM_400000_NS6detail17trampoline_kernelINS0_14default_configENS1_25partition_config_selectorILNS1_17partition_subalgoE9EllbEEZZNS1_14partition_implILS5_9ELb0ES3_jPlS8_PNS0_10empty_typeENS0_5tupleIJS8_S9_EEENSB_IJS8_SA_EEENS0_18inequality_wrapperIZN2at6native12_GLOBAL__N_124unique_dim_cuda_templateIN3c108BFloat16EEESt5tupleIJNSF_6TensorESM_SM_EERKSM_lbbbEUlllE0_EEPmJS9_EEE10hipError_tPvRmT3_T4_T5_T6_T7_T9_mT8_P12ihipStream_tbDpT10_ENKUlT_T0_E_clISt17integral_constantIbLb1EES1C_EEDaS17_S18_EUlS17_E_NS1_11comp_targetILNS1_3genE0ELNS1_11target_archE4294967295ELNS1_3gpuE0ELNS1_3repE0EEENS1_30default_config_static_selectorELNS0_4arch9wavefront6targetE1EEEvT1_.uses_flat_scratch, 0
	.set _ZN7rocprim17ROCPRIM_400000_NS6detail17trampoline_kernelINS0_14default_configENS1_25partition_config_selectorILNS1_17partition_subalgoE9EllbEEZZNS1_14partition_implILS5_9ELb0ES3_jPlS8_PNS0_10empty_typeENS0_5tupleIJS8_S9_EEENSB_IJS8_SA_EEENS0_18inequality_wrapperIZN2at6native12_GLOBAL__N_124unique_dim_cuda_templateIN3c108BFloat16EEESt5tupleIJNSF_6TensorESM_SM_EERKSM_lbbbEUlllE0_EEPmJS9_EEE10hipError_tPvRmT3_T4_T5_T6_T7_T9_mT8_P12ihipStream_tbDpT10_ENKUlT_T0_E_clISt17integral_constantIbLb1EES1C_EEDaS17_S18_EUlS17_E_NS1_11comp_targetILNS1_3genE0ELNS1_11target_archE4294967295ELNS1_3gpuE0ELNS1_3repE0EEENS1_30default_config_static_selectorELNS0_4arch9wavefront6targetE1EEEvT1_.has_dyn_sized_stack, 0
	.set _ZN7rocprim17ROCPRIM_400000_NS6detail17trampoline_kernelINS0_14default_configENS1_25partition_config_selectorILNS1_17partition_subalgoE9EllbEEZZNS1_14partition_implILS5_9ELb0ES3_jPlS8_PNS0_10empty_typeENS0_5tupleIJS8_S9_EEENSB_IJS8_SA_EEENS0_18inequality_wrapperIZN2at6native12_GLOBAL__N_124unique_dim_cuda_templateIN3c108BFloat16EEESt5tupleIJNSF_6TensorESM_SM_EERKSM_lbbbEUlllE0_EEPmJS9_EEE10hipError_tPvRmT3_T4_T5_T6_T7_T9_mT8_P12ihipStream_tbDpT10_ENKUlT_T0_E_clISt17integral_constantIbLb1EES1C_EEDaS17_S18_EUlS17_E_NS1_11comp_targetILNS1_3genE0ELNS1_11target_archE4294967295ELNS1_3gpuE0ELNS1_3repE0EEENS1_30default_config_static_selectorELNS0_4arch9wavefront6targetE1EEEvT1_.has_recursion, 0
	.set _ZN7rocprim17ROCPRIM_400000_NS6detail17trampoline_kernelINS0_14default_configENS1_25partition_config_selectorILNS1_17partition_subalgoE9EllbEEZZNS1_14partition_implILS5_9ELb0ES3_jPlS8_PNS0_10empty_typeENS0_5tupleIJS8_S9_EEENSB_IJS8_SA_EEENS0_18inequality_wrapperIZN2at6native12_GLOBAL__N_124unique_dim_cuda_templateIN3c108BFloat16EEESt5tupleIJNSF_6TensorESM_SM_EERKSM_lbbbEUlllE0_EEPmJS9_EEE10hipError_tPvRmT3_T4_T5_T6_T7_T9_mT8_P12ihipStream_tbDpT10_ENKUlT_T0_E_clISt17integral_constantIbLb1EES1C_EEDaS17_S18_EUlS17_E_NS1_11comp_targetILNS1_3genE0ELNS1_11target_archE4294967295ELNS1_3gpuE0ELNS1_3repE0EEENS1_30default_config_static_selectorELNS0_4arch9wavefront6targetE1EEEvT1_.has_indirect_call, 0
	.section	.AMDGPU.csdata,"",@progbits
; Kernel info:
; codeLenInByte = 4
; TotalNumSgprs: 6
; NumVgprs: 0
; NumAgprs: 0
; TotalNumVgprs: 0
; ScratchSize: 0
; MemoryBound: 0
; FloatMode: 240
; IeeeMode: 1
; LDSByteSize: 0 bytes/workgroup (compile time only)
; SGPRBlocks: 0
; VGPRBlocks: 0
; NumSGPRsForWavesPerEU: 6
; NumVGPRsForWavesPerEU: 1
; AccumOffset: 4
; Occupancy: 8
; WaveLimiterHint : 0
; COMPUTE_PGM_RSRC2:SCRATCH_EN: 0
; COMPUTE_PGM_RSRC2:USER_SGPR: 2
; COMPUTE_PGM_RSRC2:TRAP_HANDLER: 0
; COMPUTE_PGM_RSRC2:TGID_X_EN: 1
; COMPUTE_PGM_RSRC2:TGID_Y_EN: 0
; COMPUTE_PGM_RSRC2:TGID_Z_EN: 0
; COMPUTE_PGM_RSRC2:TIDIG_COMP_CNT: 0
; COMPUTE_PGM_RSRC3_GFX90A:ACCUM_OFFSET: 0
; COMPUTE_PGM_RSRC3_GFX90A:TG_SPLIT: 0
	.section	.text._ZN7rocprim17ROCPRIM_400000_NS6detail17trampoline_kernelINS0_14default_configENS1_25partition_config_selectorILNS1_17partition_subalgoE9EllbEEZZNS1_14partition_implILS5_9ELb0ES3_jPlS8_PNS0_10empty_typeENS0_5tupleIJS8_S9_EEENSB_IJS8_SA_EEENS0_18inequality_wrapperIZN2at6native12_GLOBAL__N_124unique_dim_cuda_templateIN3c108BFloat16EEESt5tupleIJNSF_6TensorESM_SM_EERKSM_lbbbEUlllE0_EEPmJS9_EEE10hipError_tPvRmT3_T4_T5_T6_T7_T9_mT8_P12ihipStream_tbDpT10_ENKUlT_T0_E_clISt17integral_constantIbLb1EES1C_EEDaS17_S18_EUlS17_E_NS1_11comp_targetILNS1_3genE5ELNS1_11target_archE942ELNS1_3gpuE9ELNS1_3repE0EEENS1_30default_config_static_selectorELNS0_4arch9wavefront6targetE1EEEvT1_,"axG",@progbits,_ZN7rocprim17ROCPRIM_400000_NS6detail17trampoline_kernelINS0_14default_configENS1_25partition_config_selectorILNS1_17partition_subalgoE9EllbEEZZNS1_14partition_implILS5_9ELb0ES3_jPlS8_PNS0_10empty_typeENS0_5tupleIJS8_S9_EEENSB_IJS8_SA_EEENS0_18inequality_wrapperIZN2at6native12_GLOBAL__N_124unique_dim_cuda_templateIN3c108BFloat16EEESt5tupleIJNSF_6TensorESM_SM_EERKSM_lbbbEUlllE0_EEPmJS9_EEE10hipError_tPvRmT3_T4_T5_T6_T7_T9_mT8_P12ihipStream_tbDpT10_ENKUlT_T0_E_clISt17integral_constantIbLb1EES1C_EEDaS17_S18_EUlS17_E_NS1_11comp_targetILNS1_3genE5ELNS1_11target_archE942ELNS1_3gpuE9ELNS1_3repE0EEENS1_30default_config_static_selectorELNS0_4arch9wavefront6targetE1EEEvT1_,comdat
	.globl	_ZN7rocprim17ROCPRIM_400000_NS6detail17trampoline_kernelINS0_14default_configENS1_25partition_config_selectorILNS1_17partition_subalgoE9EllbEEZZNS1_14partition_implILS5_9ELb0ES3_jPlS8_PNS0_10empty_typeENS0_5tupleIJS8_S9_EEENSB_IJS8_SA_EEENS0_18inequality_wrapperIZN2at6native12_GLOBAL__N_124unique_dim_cuda_templateIN3c108BFloat16EEESt5tupleIJNSF_6TensorESM_SM_EERKSM_lbbbEUlllE0_EEPmJS9_EEE10hipError_tPvRmT3_T4_T5_T6_T7_T9_mT8_P12ihipStream_tbDpT10_ENKUlT_T0_E_clISt17integral_constantIbLb1EES1C_EEDaS17_S18_EUlS17_E_NS1_11comp_targetILNS1_3genE5ELNS1_11target_archE942ELNS1_3gpuE9ELNS1_3repE0EEENS1_30default_config_static_selectorELNS0_4arch9wavefront6targetE1EEEvT1_ ; -- Begin function _ZN7rocprim17ROCPRIM_400000_NS6detail17trampoline_kernelINS0_14default_configENS1_25partition_config_selectorILNS1_17partition_subalgoE9EllbEEZZNS1_14partition_implILS5_9ELb0ES3_jPlS8_PNS0_10empty_typeENS0_5tupleIJS8_S9_EEENSB_IJS8_SA_EEENS0_18inequality_wrapperIZN2at6native12_GLOBAL__N_124unique_dim_cuda_templateIN3c108BFloat16EEESt5tupleIJNSF_6TensorESM_SM_EERKSM_lbbbEUlllE0_EEPmJS9_EEE10hipError_tPvRmT3_T4_T5_T6_T7_T9_mT8_P12ihipStream_tbDpT10_ENKUlT_T0_E_clISt17integral_constantIbLb1EES1C_EEDaS17_S18_EUlS17_E_NS1_11comp_targetILNS1_3genE5ELNS1_11target_archE942ELNS1_3gpuE9ELNS1_3repE0EEENS1_30default_config_static_selectorELNS0_4arch9wavefront6targetE1EEEvT1_
	.p2align	8
	.type	_ZN7rocprim17ROCPRIM_400000_NS6detail17trampoline_kernelINS0_14default_configENS1_25partition_config_selectorILNS1_17partition_subalgoE9EllbEEZZNS1_14partition_implILS5_9ELb0ES3_jPlS8_PNS0_10empty_typeENS0_5tupleIJS8_S9_EEENSB_IJS8_SA_EEENS0_18inequality_wrapperIZN2at6native12_GLOBAL__N_124unique_dim_cuda_templateIN3c108BFloat16EEESt5tupleIJNSF_6TensorESM_SM_EERKSM_lbbbEUlllE0_EEPmJS9_EEE10hipError_tPvRmT3_T4_T5_T6_T7_T9_mT8_P12ihipStream_tbDpT10_ENKUlT_T0_E_clISt17integral_constantIbLb1EES1C_EEDaS17_S18_EUlS17_E_NS1_11comp_targetILNS1_3genE5ELNS1_11target_archE942ELNS1_3gpuE9ELNS1_3repE0EEENS1_30default_config_static_selectorELNS0_4arch9wavefront6targetE1EEEvT1_,@function
_ZN7rocprim17ROCPRIM_400000_NS6detail17trampoline_kernelINS0_14default_configENS1_25partition_config_selectorILNS1_17partition_subalgoE9EllbEEZZNS1_14partition_implILS5_9ELb0ES3_jPlS8_PNS0_10empty_typeENS0_5tupleIJS8_S9_EEENSB_IJS8_SA_EEENS0_18inequality_wrapperIZN2at6native12_GLOBAL__N_124unique_dim_cuda_templateIN3c108BFloat16EEESt5tupleIJNSF_6TensorESM_SM_EERKSM_lbbbEUlllE0_EEPmJS9_EEE10hipError_tPvRmT3_T4_T5_T6_T7_T9_mT8_P12ihipStream_tbDpT10_ENKUlT_T0_E_clISt17integral_constantIbLb1EES1C_EEDaS17_S18_EUlS17_E_NS1_11comp_targetILNS1_3genE5ELNS1_11target_archE942ELNS1_3gpuE9ELNS1_3repE0EEENS1_30default_config_static_selectorELNS0_4arch9wavefront6targetE1EEEvT1_: ; @_ZN7rocprim17ROCPRIM_400000_NS6detail17trampoline_kernelINS0_14default_configENS1_25partition_config_selectorILNS1_17partition_subalgoE9EllbEEZZNS1_14partition_implILS5_9ELb0ES3_jPlS8_PNS0_10empty_typeENS0_5tupleIJS8_S9_EEENSB_IJS8_SA_EEENS0_18inequality_wrapperIZN2at6native12_GLOBAL__N_124unique_dim_cuda_templateIN3c108BFloat16EEESt5tupleIJNSF_6TensorESM_SM_EERKSM_lbbbEUlllE0_EEPmJS9_EEE10hipError_tPvRmT3_T4_T5_T6_T7_T9_mT8_P12ihipStream_tbDpT10_ENKUlT_T0_E_clISt17integral_constantIbLb1EES1C_EEDaS17_S18_EUlS17_E_NS1_11comp_targetILNS1_3genE5ELNS1_11target_archE942ELNS1_3gpuE9ELNS1_3repE0EEENS1_30default_config_static_selectorELNS0_4arch9wavefront6targetE1EEEvT1_
; %bb.0:
	.section	.rodata,"a",@progbits
	.p2align	6, 0x0
	.amdhsa_kernel _ZN7rocprim17ROCPRIM_400000_NS6detail17trampoline_kernelINS0_14default_configENS1_25partition_config_selectorILNS1_17partition_subalgoE9EllbEEZZNS1_14partition_implILS5_9ELb0ES3_jPlS8_PNS0_10empty_typeENS0_5tupleIJS8_S9_EEENSB_IJS8_SA_EEENS0_18inequality_wrapperIZN2at6native12_GLOBAL__N_124unique_dim_cuda_templateIN3c108BFloat16EEESt5tupleIJNSF_6TensorESM_SM_EERKSM_lbbbEUlllE0_EEPmJS9_EEE10hipError_tPvRmT3_T4_T5_T6_T7_T9_mT8_P12ihipStream_tbDpT10_ENKUlT_T0_E_clISt17integral_constantIbLb1EES1C_EEDaS17_S18_EUlS17_E_NS1_11comp_targetILNS1_3genE5ELNS1_11target_archE942ELNS1_3gpuE9ELNS1_3repE0EEENS1_30default_config_static_selectorELNS0_4arch9wavefront6targetE1EEEvT1_
		.amdhsa_group_segment_fixed_size 0
		.amdhsa_private_segment_fixed_size 0
		.amdhsa_kernarg_size 136
		.amdhsa_user_sgpr_count 2
		.amdhsa_user_sgpr_dispatch_ptr 0
		.amdhsa_user_sgpr_queue_ptr 0
		.amdhsa_user_sgpr_kernarg_segment_ptr 1
		.amdhsa_user_sgpr_dispatch_id 0
		.amdhsa_user_sgpr_kernarg_preload_length 0
		.amdhsa_user_sgpr_kernarg_preload_offset 0
		.amdhsa_user_sgpr_private_segment_size 0
		.amdhsa_uses_dynamic_stack 0
		.amdhsa_enable_private_segment 0
		.amdhsa_system_sgpr_workgroup_id_x 1
		.amdhsa_system_sgpr_workgroup_id_y 0
		.amdhsa_system_sgpr_workgroup_id_z 0
		.amdhsa_system_sgpr_workgroup_info 0
		.amdhsa_system_vgpr_workitem_id 0
		.amdhsa_next_free_vgpr 1
		.amdhsa_next_free_sgpr 0
		.amdhsa_accum_offset 4
		.amdhsa_reserve_vcc 0
		.amdhsa_float_round_mode_32 0
		.amdhsa_float_round_mode_16_64 0
		.amdhsa_float_denorm_mode_32 3
		.amdhsa_float_denorm_mode_16_64 3
		.amdhsa_dx10_clamp 1
		.amdhsa_ieee_mode 1
		.amdhsa_fp16_overflow 0
		.amdhsa_tg_split 0
		.amdhsa_exception_fp_ieee_invalid_op 0
		.amdhsa_exception_fp_denorm_src 0
		.amdhsa_exception_fp_ieee_div_zero 0
		.amdhsa_exception_fp_ieee_overflow 0
		.amdhsa_exception_fp_ieee_underflow 0
		.amdhsa_exception_fp_ieee_inexact 0
		.amdhsa_exception_int_div_zero 0
	.end_amdhsa_kernel
	.section	.text._ZN7rocprim17ROCPRIM_400000_NS6detail17trampoline_kernelINS0_14default_configENS1_25partition_config_selectorILNS1_17partition_subalgoE9EllbEEZZNS1_14partition_implILS5_9ELb0ES3_jPlS8_PNS0_10empty_typeENS0_5tupleIJS8_S9_EEENSB_IJS8_SA_EEENS0_18inequality_wrapperIZN2at6native12_GLOBAL__N_124unique_dim_cuda_templateIN3c108BFloat16EEESt5tupleIJNSF_6TensorESM_SM_EERKSM_lbbbEUlllE0_EEPmJS9_EEE10hipError_tPvRmT3_T4_T5_T6_T7_T9_mT8_P12ihipStream_tbDpT10_ENKUlT_T0_E_clISt17integral_constantIbLb1EES1C_EEDaS17_S18_EUlS17_E_NS1_11comp_targetILNS1_3genE5ELNS1_11target_archE942ELNS1_3gpuE9ELNS1_3repE0EEENS1_30default_config_static_selectorELNS0_4arch9wavefront6targetE1EEEvT1_,"axG",@progbits,_ZN7rocprim17ROCPRIM_400000_NS6detail17trampoline_kernelINS0_14default_configENS1_25partition_config_selectorILNS1_17partition_subalgoE9EllbEEZZNS1_14partition_implILS5_9ELb0ES3_jPlS8_PNS0_10empty_typeENS0_5tupleIJS8_S9_EEENSB_IJS8_SA_EEENS0_18inequality_wrapperIZN2at6native12_GLOBAL__N_124unique_dim_cuda_templateIN3c108BFloat16EEESt5tupleIJNSF_6TensorESM_SM_EERKSM_lbbbEUlllE0_EEPmJS9_EEE10hipError_tPvRmT3_T4_T5_T6_T7_T9_mT8_P12ihipStream_tbDpT10_ENKUlT_T0_E_clISt17integral_constantIbLb1EES1C_EEDaS17_S18_EUlS17_E_NS1_11comp_targetILNS1_3genE5ELNS1_11target_archE942ELNS1_3gpuE9ELNS1_3repE0EEENS1_30default_config_static_selectorELNS0_4arch9wavefront6targetE1EEEvT1_,comdat
.Lfunc_end1215:
	.size	_ZN7rocprim17ROCPRIM_400000_NS6detail17trampoline_kernelINS0_14default_configENS1_25partition_config_selectorILNS1_17partition_subalgoE9EllbEEZZNS1_14partition_implILS5_9ELb0ES3_jPlS8_PNS0_10empty_typeENS0_5tupleIJS8_S9_EEENSB_IJS8_SA_EEENS0_18inequality_wrapperIZN2at6native12_GLOBAL__N_124unique_dim_cuda_templateIN3c108BFloat16EEESt5tupleIJNSF_6TensorESM_SM_EERKSM_lbbbEUlllE0_EEPmJS9_EEE10hipError_tPvRmT3_T4_T5_T6_T7_T9_mT8_P12ihipStream_tbDpT10_ENKUlT_T0_E_clISt17integral_constantIbLb1EES1C_EEDaS17_S18_EUlS17_E_NS1_11comp_targetILNS1_3genE5ELNS1_11target_archE942ELNS1_3gpuE9ELNS1_3repE0EEENS1_30default_config_static_selectorELNS0_4arch9wavefront6targetE1EEEvT1_, .Lfunc_end1215-_ZN7rocprim17ROCPRIM_400000_NS6detail17trampoline_kernelINS0_14default_configENS1_25partition_config_selectorILNS1_17partition_subalgoE9EllbEEZZNS1_14partition_implILS5_9ELb0ES3_jPlS8_PNS0_10empty_typeENS0_5tupleIJS8_S9_EEENSB_IJS8_SA_EEENS0_18inequality_wrapperIZN2at6native12_GLOBAL__N_124unique_dim_cuda_templateIN3c108BFloat16EEESt5tupleIJNSF_6TensorESM_SM_EERKSM_lbbbEUlllE0_EEPmJS9_EEE10hipError_tPvRmT3_T4_T5_T6_T7_T9_mT8_P12ihipStream_tbDpT10_ENKUlT_T0_E_clISt17integral_constantIbLb1EES1C_EEDaS17_S18_EUlS17_E_NS1_11comp_targetILNS1_3genE5ELNS1_11target_archE942ELNS1_3gpuE9ELNS1_3repE0EEENS1_30default_config_static_selectorELNS0_4arch9wavefront6targetE1EEEvT1_
                                        ; -- End function
	.set _ZN7rocprim17ROCPRIM_400000_NS6detail17trampoline_kernelINS0_14default_configENS1_25partition_config_selectorILNS1_17partition_subalgoE9EllbEEZZNS1_14partition_implILS5_9ELb0ES3_jPlS8_PNS0_10empty_typeENS0_5tupleIJS8_S9_EEENSB_IJS8_SA_EEENS0_18inequality_wrapperIZN2at6native12_GLOBAL__N_124unique_dim_cuda_templateIN3c108BFloat16EEESt5tupleIJNSF_6TensorESM_SM_EERKSM_lbbbEUlllE0_EEPmJS9_EEE10hipError_tPvRmT3_T4_T5_T6_T7_T9_mT8_P12ihipStream_tbDpT10_ENKUlT_T0_E_clISt17integral_constantIbLb1EES1C_EEDaS17_S18_EUlS17_E_NS1_11comp_targetILNS1_3genE5ELNS1_11target_archE942ELNS1_3gpuE9ELNS1_3repE0EEENS1_30default_config_static_selectorELNS0_4arch9wavefront6targetE1EEEvT1_.num_vgpr, 0
	.set _ZN7rocprim17ROCPRIM_400000_NS6detail17trampoline_kernelINS0_14default_configENS1_25partition_config_selectorILNS1_17partition_subalgoE9EllbEEZZNS1_14partition_implILS5_9ELb0ES3_jPlS8_PNS0_10empty_typeENS0_5tupleIJS8_S9_EEENSB_IJS8_SA_EEENS0_18inequality_wrapperIZN2at6native12_GLOBAL__N_124unique_dim_cuda_templateIN3c108BFloat16EEESt5tupleIJNSF_6TensorESM_SM_EERKSM_lbbbEUlllE0_EEPmJS9_EEE10hipError_tPvRmT3_T4_T5_T6_T7_T9_mT8_P12ihipStream_tbDpT10_ENKUlT_T0_E_clISt17integral_constantIbLb1EES1C_EEDaS17_S18_EUlS17_E_NS1_11comp_targetILNS1_3genE5ELNS1_11target_archE942ELNS1_3gpuE9ELNS1_3repE0EEENS1_30default_config_static_selectorELNS0_4arch9wavefront6targetE1EEEvT1_.num_agpr, 0
	.set _ZN7rocprim17ROCPRIM_400000_NS6detail17trampoline_kernelINS0_14default_configENS1_25partition_config_selectorILNS1_17partition_subalgoE9EllbEEZZNS1_14partition_implILS5_9ELb0ES3_jPlS8_PNS0_10empty_typeENS0_5tupleIJS8_S9_EEENSB_IJS8_SA_EEENS0_18inequality_wrapperIZN2at6native12_GLOBAL__N_124unique_dim_cuda_templateIN3c108BFloat16EEESt5tupleIJNSF_6TensorESM_SM_EERKSM_lbbbEUlllE0_EEPmJS9_EEE10hipError_tPvRmT3_T4_T5_T6_T7_T9_mT8_P12ihipStream_tbDpT10_ENKUlT_T0_E_clISt17integral_constantIbLb1EES1C_EEDaS17_S18_EUlS17_E_NS1_11comp_targetILNS1_3genE5ELNS1_11target_archE942ELNS1_3gpuE9ELNS1_3repE0EEENS1_30default_config_static_selectorELNS0_4arch9wavefront6targetE1EEEvT1_.numbered_sgpr, 0
	.set _ZN7rocprim17ROCPRIM_400000_NS6detail17trampoline_kernelINS0_14default_configENS1_25partition_config_selectorILNS1_17partition_subalgoE9EllbEEZZNS1_14partition_implILS5_9ELb0ES3_jPlS8_PNS0_10empty_typeENS0_5tupleIJS8_S9_EEENSB_IJS8_SA_EEENS0_18inequality_wrapperIZN2at6native12_GLOBAL__N_124unique_dim_cuda_templateIN3c108BFloat16EEESt5tupleIJNSF_6TensorESM_SM_EERKSM_lbbbEUlllE0_EEPmJS9_EEE10hipError_tPvRmT3_T4_T5_T6_T7_T9_mT8_P12ihipStream_tbDpT10_ENKUlT_T0_E_clISt17integral_constantIbLb1EES1C_EEDaS17_S18_EUlS17_E_NS1_11comp_targetILNS1_3genE5ELNS1_11target_archE942ELNS1_3gpuE9ELNS1_3repE0EEENS1_30default_config_static_selectorELNS0_4arch9wavefront6targetE1EEEvT1_.num_named_barrier, 0
	.set _ZN7rocprim17ROCPRIM_400000_NS6detail17trampoline_kernelINS0_14default_configENS1_25partition_config_selectorILNS1_17partition_subalgoE9EllbEEZZNS1_14partition_implILS5_9ELb0ES3_jPlS8_PNS0_10empty_typeENS0_5tupleIJS8_S9_EEENSB_IJS8_SA_EEENS0_18inequality_wrapperIZN2at6native12_GLOBAL__N_124unique_dim_cuda_templateIN3c108BFloat16EEESt5tupleIJNSF_6TensorESM_SM_EERKSM_lbbbEUlllE0_EEPmJS9_EEE10hipError_tPvRmT3_T4_T5_T6_T7_T9_mT8_P12ihipStream_tbDpT10_ENKUlT_T0_E_clISt17integral_constantIbLb1EES1C_EEDaS17_S18_EUlS17_E_NS1_11comp_targetILNS1_3genE5ELNS1_11target_archE942ELNS1_3gpuE9ELNS1_3repE0EEENS1_30default_config_static_selectorELNS0_4arch9wavefront6targetE1EEEvT1_.private_seg_size, 0
	.set _ZN7rocprim17ROCPRIM_400000_NS6detail17trampoline_kernelINS0_14default_configENS1_25partition_config_selectorILNS1_17partition_subalgoE9EllbEEZZNS1_14partition_implILS5_9ELb0ES3_jPlS8_PNS0_10empty_typeENS0_5tupleIJS8_S9_EEENSB_IJS8_SA_EEENS0_18inequality_wrapperIZN2at6native12_GLOBAL__N_124unique_dim_cuda_templateIN3c108BFloat16EEESt5tupleIJNSF_6TensorESM_SM_EERKSM_lbbbEUlllE0_EEPmJS9_EEE10hipError_tPvRmT3_T4_T5_T6_T7_T9_mT8_P12ihipStream_tbDpT10_ENKUlT_T0_E_clISt17integral_constantIbLb1EES1C_EEDaS17_S18_EUlS17_E_NS1_11comp_targetILNS1_3genE5ELNS1_11target_archE942ELNS1_3gpuE9ELNS1_3repE0EEENS1_30default_config_static_selectorELNS0_4arch9wavefront6targetE1EEEvT1_.uses_vcc, 0
	.set _ZN7rocprim17ROCPRIM_400000_NS6detail17trampoline_kernelINS0_14default_configENS1_25partition_config_selectorILNS1_17partition_subalgoE9EllbEEZZNS1_14partition_implILS5_9ELb0ES3_jPlS8_PNS0_10empty_typeENS0_5tupleIJS8_S9_EEENSB_IJS8_SA_EEENS0_18inequality_wrapperIZN2at6native12_GLOBAL__N_124unique_dim_cuda_templateIN3c108BFloat16EEESt5tupleIJNSF_6TensorESM_SM_EERKSM_lbbbEUlllE0_EEPmJS9_EEE10hipError_tPvRmT3_T4_T5_T6_T7_T9_mT8_P12ihipStream_tbDpT10_ENKUlT_T0_E_clISt17integral_constantIbLb1EES1C_EEDaS17_S18_EUlS17_E_NS1_11comp_targetILNS1_3genE5ELNS1_11target_archE942ELNS1_3gpuE9ELNS1_3repE0EEENS1_30default_config_static_selectorELNS0_4arch9wavefront6targetE1EEEvT1_.uses_flat_scratch, 0
	.set _ZN7rocprim17ROCPRIM_400000_NS6detail17trampoline_kernelINS0_14default_configENS1_25partition_config_selectorILNS1_17partition_subalgoE9EllbEEZZNS1_14partition_implILS5_9ELb0ES3_jPlS8_PNS0_10empty_typeENS0_5tupleIJS8_S9_EEENSB_IJS8_SA_EEENS0_18inequality_wrapperIZN2at6native12_GLOBAL__N_124unique_dim_cuda_templateIN3c108BFloat16EEESt5tupleIJNSF_6TensorESM_SM_EERKSM_lbbbEUlllE0_EEPmJS9_EEE10hipError_tPvRmT3_T4_T5_T6_T7_T9_mT8_P12ihipStream_tbDpT10_ENKUlT_T0_E_clISt17integral_constantIbLb1EES1C_EEDaS17_S18_EUlS17_E_NS1_11comp_targetILNS1_3genE5ELNS1_11target_archE942ELNS1_3gpuE9ELNS1_3repE0EEENS1_30default_config_static_selectorELNS0_4arch9wavefront6targetE1EEEvT1_.has_dyn_sized_stack, 0
	.set _ZN7rocprim17ROCPRIM_400000_NS6detail17trampoline_kernelINS0_14default_configENS1_25partition_config_selectorILNS1_17partition_subalgoE9EllbEEZZNS1_14partition_implILS5_9ELb0ES3_jPlS8_PNS0_10empty_typeENS0_5tupleIJS8_S9_EEENSB_IJS8_SA_EEENS0_18inequality_wrapperIZN2at6native12_GLOBAL__N_124unique_dim_cuda_templateIN3c108BFloat16EEESt5tupleIJNSF_6TensorESM_SM_EERKSM_lbbbEUlllE0_EEPmJS9_EEE10hipError_tPvRmT3_T4_T5_T6_T7_T9_mT8_P12ihipStream_tbDpT10_ENKUlT_T0_E_clISt17integral_constantIbLb1EES1C_EEDaS17_S18_EUlS17_E_NS1_11comp_targetILNS1_3genE5ELNS1_11target_archE942ELNS1_3gpuE9ELNS1_3repE0EEENS1_30default_config_static_selectorELNS0_4arch9wavefront6targetE1EEEvT1_.has_recursion, 0
	.set _ZN7rocprim17ROCPRIM_400000_NS6detail17trampoline_kernelINS0_14default_configENS1_25partition_config_selectorILNS1_17partition_subalgoE9EllbEEZZNS1_14partition_implILS5_9ELb0ES3_jPlS8_PNS0_10empty_typeENS0_5tupleIJS8_S9_EEENSB_IJS8_SA_EEENS0_18inequality_wrapperIZN2at6native12_GLOBAL__N_124unique_dim_cuda_templateIN3c108BFloat16EEESt5tupleIJNSF_6TensorESM_SM_EERKSM_lbbbEUlllE0_EEPmJS9_EEE10hipError_tPvRmT3_T4_T5_T6_T7_T9_mT8_P12ihipStream_tbDpT10_ENKUlT_T0_E_clISt17integral_constantIbLb1EES1C_EEDaS17_S18_EUlS17_E_NS1_11comp_targetILNS1_3genE5ELNS1_11target_archE942ELNS1_3gpuE9ELNS1_3repE0EEENS1_30default_config_static_selectorELNS0_4arch9wavefront6targetE1EEEvT1_.has_indirect_call, 0
	.section	.AMDGPU.csdata,"",@progbits
; Kernel info:
; codeLenInByte = 0
; TotalNumSgprs: 6
; NumVgprs: 0
; NumAgprs: 0
; TotalNumVgprs: 0
; ScratchSize: 0
; MemoryBound: 0
; FloatMode: 240
; IeeeMode: 1
; LDSByteSize: 0 bytes/workgroup (compile time only)
; SGPRBlocks: 0
; VGPRBlocks: 0
; NumSGPRsForWavesPerEU: 6
; NumVGPRsForWavesPerEU: 1
; AccumOffset: 4
; Occupancy: 8
; WaveLimiterHint : 0
; COMPUTE_PGM_RSRC2:SCRATCH_EN: 0
; COMPUTE_PGM_RSRC2:USER_SGPR: 2
; COMPUTE_PGM_RSRC2:TRAP_HANDLER: 0
; COMPUTE_PGM_RSRC2:TGID_X_EN: 1
; COMPUTE_PGM_RSRC2:TGID_Y_EN: 0
; COMPUTE_PGM_RSRC2:TGID_Z_EN: 0
; COMPUTE_PGM_RSRC2:TIDIG_COMP_CNT: 0
; COMPUTE_PGM_RSRC3_GFX90A:ACCUM_OFFSET: 0
; COMPUTE_PGM_RSRC3_GFX90A:TG_SPLIT: 0
	.section	.text._ZN7rocprim17ROCPRIM_400000_NS6detail17trampoline_kernelINS0_14default_configENS1_25partition_config_selectorILNS1_17partition_subalgoE9EllbEEZZNS1_14partition_implILS5_9ELb0ES3_jPlS8_PNS0_10empty_typeENS0_5tupleIJS8_S9_EEENSB_IJS8_SA_EEENS0_18inequality_wrapperIZN2at6native12_GLOBAL__N_124unique_dim_cuda_templateIN3c108BFloat16EEESt5tupleIJNSF_6TensorESM_SM_EERKSM_lbbbEUlllE0_EEPmJS9_EEE10hipError_tPvRmT3_T4_T5_T6_T7_T9_mT8_P12ihipStream_tbDpT10_ENKUlT_T0_E_clISt17integral_constantIbLb1EES1C_EEDaS17_S18_EUlS17_E_NS1_11comp_targetILNS1_3genE4ELNS1_11target_archE910ELNS1_3gpuE8ELNS1_3repE0EEENS1_30default_config_static_selectorELNS0_4arch9wavefront6targetE1EEEvT1_,"axG",@progbits,_ZN7rocprim17ROCPRIM_400000_NS6detail17trampoline_kernelINS0_14default_configENS1_25partition_config_selectorILNS1_17partition_subalgoE9EllbEEZZNS1_14partition_implILS5_9ELb0ES3_jPlS8_PNS0_10empty_typeENS0_5tupleIJS8_S9_EEENSB_IJS8_SA_EEENS0_18inequality_wrapperIZN2at6native12_GLOBAL__N_124unique_dim_cuda_templateIN3c108BFloat16EEESt5tupleIJNSF_6TensorESM_SM_EERKSM_lbbbEUlllE0_EEPmJS9_EEE10hipError_tPvRmT3_T4_T5_T6_T7_T9_mT8_P12ihipStream_tbDpT10_ENKUlT_T0_E_clISt17integral_constantIbLb1EES1C_EEDaS17_S18_EUlS17_E_NS1_11comp_targetILNS1_3genE4ELNS1_11target_archE910ELNS1_3gpuE8ELNS1_3repE0EEENS1_30default_config_static_selectorELNS0_4arch9wavefront6targetE1EEEvT1_,comdat
	.globl	_ZN7rocprim17ROCPRIM_400000_NS6detail17trampoline_kernelINS0_14default_configENS1_25partition_config_selectorILNS1_17partition_subalgoE9EllbEEZZNS1_14partition_implILS5_9ELb0ES3_jPlS8_PNS0_10empty_typeENS0_5tupleIJS8_S9_EEENSB_IJS8_SA_EEENS0_18inequality_wrapperIZN2at6native12_GLOBAL__N_124unique_dim_cuda_templateIN3c108BFloat16EEESt5tupleIJNSF_6TensorESM_SM_EERKSM_lbbbEUlllE0_EEPmJS9_EEE10hipError_tPvRmT3_T4_T5_T6_T7_T9_mT8_P12ihipStream_tbDpT10_ENKUlT_T0_E_clISt17integral_constantIbLb1EES1C_EEDaS17_S18_EUlS17_E_NS1_11comp_targetILNS1_3genE4ELNS1_11target_archE910ELNS1_3gpuE8ELNS1_3repE0EEENS1_30default_config_static_selectorELNS0_4arch9wavefront6targetE1EEEvT1_ ; -- Begin function _ZN7rocprim17ROCPRIM_400000_NS6detail17trampoline_kernelINS0_14default_configENS1_25partition_config_selectorILNS1_17partition_subalgoE9EllbEEZZNS1_14partition_implILS5_9ELb0ES3_jPlS8_PNS0_10empty_typeENS0_5tupleIJS8_S9_EEENSB_IJS8_SA_EEENS0_18inequality_wrapperIZN2at6native12_GLOBAL__N_124unique_dim_cuda_templateIN3c108BFloat16EEESt5tupleIJNSF_6TensorESM_SM_EERKSM_lbbbEUlllE0_EEPmJS9_EEE10hipError_tPvRmT3_T4_T5_T6_T7_T9_mT8_P12ihipStream_tbDpT10_ENKUlT_T0_E_clISt17integral_constantIbLb1EES1C_EEDaS17_S18_EUlS17_E_NS1_11comp_targetILNS1_3genE4ELNS1_11target_archE910ELNS1_3gpuE8ELNS1_3repE0EEENS1_30default_config_static_selectorELNS0_4arch9wavefront6targetE1EEEvT1_
	.p2align	8
	.type	_ZN7rocprim17ROCPRIM_400000_NS6detail17trampoline_kernelINS0_14default_configENS1_25partition_config_selectorILNS1_17partition_subalgoE9EllbEEZZNS1_14partition_implILS5_9ELb0ES3_jPlS8_PNS0_10empty_typeENS0_5tupleIJS8_S9_EEENSB_IJS8_SA_EEENS0_18inequality_wrapperIZN2at6native12_GLOBAL__N_124unique_dim_cuda_templateIN3c108BFloat16EEESt5tupleIJNSF_6TensorESM_SM_EERKSM_lbbbEUlllE0_EEPmJS9_EEE10hipError_tPvRmT3_T4_T5_T6_T7_T9_mT8_P12ihipStream_tbDpT10_ENKUlT_T0_E_clISt17integral_constantIbLb1EES1C_EEDaS17_S18_EUlS17_E_NS1_11comp_targetILNS1_3genE4ELNS1_11target_archE910ELNS1_3gpuE8ELNS1_3repE0EEENS1_30default_config_static_selectorELNS0_4arch9wavefront6targetE1EEEvT1_,@function
_ZN7rocprim17ROCPRIM_400000_NS6detail17trampoline_kernelINS0_14default_configENS1_25partition_config_selectorILNS1_17partition_subalgoE9EllbEEZZNS1_14partition_implILS5_9ELb0ES3_jPlS8_PNS0_10empty_typeENS0_5tupleIJS8_S9_EEENSB_IJS8_SA_EEENS0_18inequality_wrapperIZN2at6native12_GLOBAL__N_124unique_dim_cuda_templateIN3c108BFloat16EEESt5tupleIJNSF_6TensorESM_SM_EERKSM_lbbbEUlllE0_EEPmJS9_EEE10hipError_tPvRmT3_T4_T5_T6_T7_T9_mT8_P12ihipStream_tbDpT10_ENKUlT_T0_E_clISt17integral_constantIbLb1EES1C_EEDaS17_S18_EUlS17_E_NS1_11comp_targetILNS1_3genE4ELNS1_11target_archE910ELNS1_3gpuE8ELNS1_3repE0EEENS1_30default_config_static_selectorELNS0_4arch9wavefront6targetE1EEEvT1_: ; @_ZN7rocprim17ROCPRIM_400000_NS6detail17trampoline_kernelINS0_14default_configENS1_25partition_config_selectorILNS1_17partition_subalgoE9EllbEEZZNS1_14partition_implILS5_9ELb0ES3_jPlS8_PNS0_10empty_typeENS0_5tupleIJS8_S9_EEENSB_IJS8_SA_EEENS0_18inequality_wrapperIZN2at6native12_GLOBAL__N_124unique_dim_cuda_templateIN3c108BFloat16EEESt5tupleIJNSF_6TensorESM_SM_EERKSM_lbbbEUlllE0_EEPmJS9_EEE10hipError_tPvRmT3_T4_T5_T6_T7_T9_mT8_P12ihipStream_tbDpT10_ENKUlT_T0_E_clISt17integral_constantIbLb1EES1C_EEDaS17_S18_EUlS17_E_NS1_11comp_targetILNS1_3genE4ELNS1_11target_archE910ELNS1_3gpuE8ELNS1_3repE0EEENS1_30default_config_static_selectorELNS0_4arch9wavefront6targetE1EEEvT1_
; %bb.0:
	.section	.rodata,"a",@progbits
	.p2align	6, 0x0
	.amdhsa_kernel _ZN7rocprim17ROCPRIM_400000_NS6detail17trampoline_kernelINS0_14default_configENS1_25partition_config_selectorILNS1_17partition_subalgoE9EllbEEZZNS1_14partition_implILS5_9ELb0ES3_jPlS8_PNS0_10empty_typeENS0_5tupleIJS8_S9_EEENSB_IJS8_SA_EEENS0_18inequality_wrapperIZN2at6native12_GLOBAL__N_124unique_dim_cuda_templateIN3c108BFloat16EEESt5tupleIJNSF_6TensorESM_SM_EERKSM_lbbbEUlllE0_EEPmJS9_EEE10hipError_tPvRmT3_T4_T5_T6_T7_T9_mT8_P12ihipStream_tbDpT10_ENKUlT_T0_E_clISt17integral_constantIbLb1EES1C_EEDaS17_S18_EUlS17_E_NS1_11comp_targetILNS1_3genE4ELNS1_11target_archE910ELNS1_3gpuE8ELNS1_3repE0EEENS1_30default_config_static_selectorELNS0_4arch9wavefront6targetE1EEEvT1_
		.amdhsa_group_segment_fixed_size 0
		.amdhsa_private_segment_fixed_size 0
		.amdhsa_kernarg_size 136
		.amdhsa_user_sgpr_count 2
		.amdhsa_user_sgpr_dispatch_ptr 0
		.amdhsa_user_sgpr_queue_ptr 0
		.amdhsa_user_sgpr_kernarg_segment_ptr 1
		.amdhsa_user_sgpr_dispatch_id 0
		.amdhsa_user_sgpr_kernarg_preload_length 0
		.amdhsa_user_sgpr_kernarg_preload_offset 0
		.amdhsa_user_sgpr_private_segment_size 0
		.amdhsa_uses_dynamic_stack 0
		.amdhsa_enable_private_segment 0
		.amdhsa_system_sgpr_workgroup_id_x 1
		.amdhsa_system_sgpr_workgroup_id_y 0
		.amdhsa_system_sgpr_workgroup_id_z 0
		.amdhsa_system_sgpr_workgroup_info 0
		.amdhsa_system_vgpr_workitem_id 0
		.amdhsa_next_free_vgpr 1
		.amdhsa_next_free_sgpr 0
		.amdhsa_accum_offset 4
		.amdhsa_reserve_vcc 0
		.amdhsa_float_round_mode_32 0
		.amdhsa_float_round_mode_16_64 0
		.amdhsa_float_denorm_mode_32 3
		.amdhsa_float_denorm_mode_16_64 3
		.amdhsa_dx10_clamp 1
		.amdhsa_ieee_mode 1
		.amdhsa_fp16_overflow 0
		.amdhsa_tg_split 0
		.amdhsa_exception_fp_ieee_invalid_op 0
		.amdhsa_exception_fp_denorm_src 0
		.amdhsa_exception_fp_ieee_div_zero 0
		.amdhsa_exception_fp_ieee_overflow 0
		.amdhsa_exception_fp_ieee_underflow 0
		.amdhsa_exception_fp_ieee_inexact 0
		.amdhsa_exception_int_div_zero 0
	.end_amdhsa_kernel
	.section	.text._ZN7rocprim17ROCPRIM_400000_NS6detail17trampoline_kernelINS0_14default_configENS1_25partition_config_selectorILNS1_17partition_subalgoE9EllbEEZZNS1_14partition_implILS5_9ELb0ES3_jPlS8_PNS0_10empty_typeENS0_5tupleIJS8_S9_EEENSB_IJS8_SA_EEENS0_18inequality_wrapperIZN2at6native12_GLOBAL__N_124unique_dim_cuda_templateIN3c108BFloat16EEESt5tupleIJNSF_6TensorESM_SM_EERKSM_lbbbEUlllE0_EEPmJS9_EEE10hipError_tPvRmT3_T4_T5_T6_T7_T9_mT8_P12ihipStream_tbDpT10_ENKUlT_T0_E_clISt17integral_constantIbLb1EES1C_EEDaS17_S18_EUlS17_E_NS1_11comp_targetILNS1_3genE4ELNS1_11target_archE910ELNS1_3gpuE8ELNS1_3repE0EEENS1_30default_config_static_selectorELNS0_4arch9wavefront6targetE1EEEvT1_,"axG",@progbits,_ZN7rocprim17ROCPRIM_400000_NS6detail17trampoline_kernelINS0_14default_configENS1_25partition_config_selectorILNS1_17partition_subalgoE9EllbEEZZNS1_14partition_implILS5_9ELb0ES3_jPlS8_PNS0_10empty_typeENS0_5tupleIJS8_S9_EEENSB_IJS8_SA_EEENS0_18inequality_wrapperIZN2at6native12_GLOBAL__N_124unique_dim_cuda_templateIN3c108BFloat16EEESt5tupleIJNSF_6TensorESM_SM_EERKSM_lbbbEUlllE0_EEPmJS9_EEE10hipError_tPvRmT3_T4_T5_T6_T7_T9_mT8_P12ihipStream_tbDpT10_ENKUlT_T0_E_clISt17integral_constantIbLb1EES1C_EEDaS17_S18_EUlS17_E_NS1_11comp_targetILNS1_3genE4ELNS1_11target_archE910ELNS1_3gpuE8ELNS1_3repE0EEENS1_30default_config_static_selectorELNS0_4arch9wavefront6targetE1EEEvT1_,comdat
.Lfunc_end1216:
	.size	_ZN7rocprim17ROCPRIM_400000_NS6detail17trampoline_kernelINS0_14default_configENS1_25partition_config_selectorILNS1_17partition_subalgoE9EllbEEZZNS1_14partition_implILS5_9ELb0ES3_jPlS8_PNS0_10empty_typeENS0_5tupleIJS8_S9_EEENSB_IJS8_SA_EEENS0_18inequality_wrapperIZN2at6native12_GLOBAL__N_124unique_dim_cuda_templateIN3c108BFloat16EEESt5tupleIJNSF_6TensorESM_SM_EERKSM_lbbbEUlllE0_EEPmJS9_EEE10hipError_tPvRmT3_T4_T5_T6_T7_T9_mT8_P12ihipStream_tbDpT10_ENKUlT_T0_E_clISt17integral_constantIbLb1EES1C_EEDaS17_S18_EUlS17_E_NS1_11comp_targetILNS1_3genE4ELNS1_11target_archE910ELNS1_3gpuE8ELNS1_3repE0EEENS1_30default_config_static_selectorELNS0_4arch9wavefront6targetE1EEEvT1_, .Lfunc_end1216-_ZN7rocprim17ROCPRIM_400000_NS6detail17trampoline_kernelINS0_14default_configENS1_25partition_config_selectorILNS1_17partition_subalgoE9EllbEEZZNS1_14partition_implILS5_9ELb0ES3_jPlS8_PNS0_10empty_typeENS0_5tupleIJS8_S9_EEENSB_IJS8_SA_EEENS0_18inequality_wrapperIZN2at6native12_GLOBAL__N_124unique_dim_cuda_templateIN3c108BFloat16EEESt5tupleIJNSF_6TensorESM_SM_EERKSM_lbbbEUlllE0_EEPmJS9_EEE10hipError_tPvRmT3_T4_T5_T6_T7_T9_mT8_P12ihipStream_tbDpT10_ENKUlT_T0_E_clISt17integral_constantIbLb1EES1C_EEDaS17_S18_EUlS17_E_NS1_11comp_targetILNS1_3genE4ELNS1_11target_archE910ELNS1_3gpuE8ELNS1_3repE0EEENS1_30default_config_static_selectorELNS0_4arch9wavefront6targetE1EEEvT1_
                                        ; -- End function
	.set _ZN7rocprim17ROCPRIM_400000_NS6detail17trampoline_kernelINS0_14default_configENS1_25partition_config_selectorILNS1_17partition_subalgoE9EllbEEZZNS1_14partition_implILS5_9ELb0ES3_jPlS8_PNS0_10empty_typeENS0_5tupleIJS8_S9_EEENSB_IJS8_SA_EEENS0_18inequality_wrapperIZN2at6native12_GLOBAL__N_124unique_dim_cuda_templateIN3c108BFloat16EEESt5tupleIJNSF_6TensorESM_SM_EERKSM_lbbbEUlllE0_EEPmJS9_EEE10hipError_tPvRmT3_T4_T5_T6_T7_T9_mT8_P12ihipStream_tbDpT10_ENKUlT_T0_E_clISt17integral_constantIbLb1EES1C_EEDaS17_S18_EUlS17_E_NS1_11comp_targetILNS1_3genE4ELNS1_11target_archE910ELNS1_3gpuE8ELNS1_3repE0EEENS1_30default_config_static_selectorELNS0_4arch9wavefront6targetE1EEEvT1_.num_vgpr, 0
	.set _ZN7rocprim17ROCPRIM_400000_NS6detail17trampoline_kernelINS0_14default_configENS1_25partition_config_selectorILNS1_17partition_subalgoE9EllbEEZZNS1_14partition_implILS5_9ELb0ES3_jPlS8_PNS0_10empty_typeENS0_5tupleIJS8_S9_EEENSB_IJS8_SA_EEENS0_18inequality_wrapperIZN2at6native12_GLOBAL__N_124unique_dim_cuda_templateIN3c108BFloat16EEESt5tupleIJNSF_6TensorESM_SM_EERKSM_lbbbEUlllE0_EEPmJS9_EEE10hipError_tPvRmT3_T4_T5_T6_T7_T9_mT8_P12ihipStream_tbDpT10_ENKUlT_T0_E_clISt17integral_constantIbLb1EES1C_EEDaS17_S18_EUlS17_E_NS1_11comp_targetILNS1_3genE4ELNS1_11target_archE910ELNS1_3gpuE8ELNS1_3repE0EEENS1_30default_config_static_selectorELNS0_4arch9wavefront6targetE1EEEvT1_.num_agpr, 0
	.set _ZN7rocprim17ROCPRIM_400000_NS6detail17trampoline_kernelINS0_14default_configENS1_25partition_config_selectorILNS1_17partition_subalgoE9EllbEEZZNS1_14partition_implILS5_9ELb0ES3_jPlS8_PNS0_10empty_typeENS0_5tupleIJS8_S9_EEENSB_IJS8_SA_EEENS0_18inequality_wrapperIZN2at6native12_GLOBAL__N_124unique_dim_cuda_templateIN3c108BFloat16EEESt5tupleIJNSF_6TensorESM_SM_EERKSM_lbbbEUlllE0_EEPmJS9_EEE10hipError_tPvRmT3_T4_T5_T6_T7_T9_mT8_P12ihipStream_tbDpT10_ENKUlT_T0_E_clISt17integral_constantIbLb1EES1C_EEDaS17_S18_EUlS17_E_NS1_11comp_targetILNS1_3genE4ELNS1_11target_archE910ELNS1_3gpuE8ELNS1_3repE0EEENS1_30default_config_static_selectorELNS0_4arch9wavefront6targetE1EEEvT1_.numbered_sgpr, 0
	.set _ZN7rocprim17ROCPRIM_400000_NS6detail17trampoline_kernelINS0_14default_configENS1_25partition_config_selectorILNS1_17partition_subalgoE9EllbEEZZNS1_14partition_implILS5_9ELb0ES3_jPlS8_PNS0_10empty_typeENS0_5tupleIJS8_S9_EEENSB_IJS8_SA_EEENS0_18inequality_wrapperIZN2at6native12_GLOBAL__N_124unique_dim_cuda_templateIN3c108BFloat16EEESt5tupleIJNSF_6TensorESM_SM_EERKSM_lbbbEUlllE0_EEPmJS9_EEE10hipError_tPvRmT3_T4_T5_T6_T7_T9_mT8_P12ihipStream_tbDpT10_ENKUlT_T0_E_clISt17integral_constantIbLb1EES1C_EEDaS17_S18_EUlS17_E_NS1_11comp_targetILNS1_3genE4ELNS1_11target_archE910ELNS1_3gpuE8ELNS1_3repE0EEENS1_30default_config_static_selectorELNS0_4arch9wavefront6targetE1EEEvT1_.num_named_barrier, 0
	.set _ZN7rocprim17ROCPRIM_400000_NS6detail17trampoline_kernelINS0_14default_configENS1_25partition_config_selectorILNS1_17partition_subalgoE9EllbEEZZNS1_14partition_implILS5_9ELb0ES3_jPlS8_PNS0_10empty_typeENS0_5tupleIJS8_S9_EEENSB_IJS8_SA_EEENS0_18inequality_wrapperIZN2at6native12_GLOBAL__N_124unique_dim_cuda_templateIN3c108BFloat16EEESt5tupleIJNSF_6TensorESM_SM_EERKSM_lbbbEUlllE0_EEPmJS9_EEE10hipError_tPvRmT3_T4_T5_T6_T7_T9_mT8_P12ihipStream_tbDpT10_ENKUlT_T0_E_clISt17integral_constantIbLb1EES1C_EEDaS17_S18_EUlS17_E_NS1_11comp_targetILNS1_3genE4ELNS1_11target_archE910ELNS1_3gpuE8ELNS1_3repE0EEENS1_30default_config_static_selectorELNS0_4arch9wavefront6targetE1EEEvT1_.private_seg_size, 0
	.set _ZN7rocprim17ROCPRIM_400000_NS6detail17trampoline_kernelINS0_14default_configENS1_25partition_config_selectorILNS1_17partition_subalgoE9EllbEEZZNS1_14partition_implILS5_9ELb0ES3_jPlS8_PNS0_10empty_typeENS0_5tupleIJS8_S9_EEENSB_IJS8_SA_EEENS0_18inequality_wrapperIZN2at6native12_GLOBAL__N_124unique_dim_cuda_templateIN3c108BFloat16EEESt5tupleIJNSF_6TensorESM_SM_EERKSM_lbbbEUlllE0_EEPmJS9_EEE10hipError_tPvRmT3_T4_T5_T6_T7_T9_mT8_P12ihipStream_tbDpT10_ENKUlT_T0_E_clISt17integral_constantIbLb1EES1C_EEDaS17_S18_EUlS17_E_NS1_11comp_targetILNS1_3genE4ELNS1_11target_archE910ELNS1_3gpuE8ELNS1_3repE0EEENS1_30default_config_static_selectorELNS0_4arch9wavefront6targetE1EEEvT1_.uses_vcc, 0
	.set _ZN7rocprim17ROCPRIM_400000_NS6detail17trampoline_kernelINS0_14default_configENS1_25partition_config_selectorILNS1_17partition_subalgoE9EllbEEZZNS1_14partition_implILS5_9ELb0ES3_jPlS8_PNS0_10empty_typeENS0_5tupleIJS8_S9_EEENSB_IJS8_SA_EEENS0_18inequality_wrapperIZN2at6native12_GLOBAL__N_124unique_dim_cuda_templateIN3c108BFloat16EEESt5tupleIJNSF_6TensorESM_SM_EERKSM_lbbbEUlllE0_EEPmJS9_EEE10hipError_tPvRmT3_T4_T5_T6_T7_T9_mT8_P12ihipStream_tbDpT10_ENKUlT_T0_E_clISt17integral_constantIbLb1EES1C_EEDaS17_S18_EUlS17_E_NS1_11comp_targetILNS1_3genE4ELNS1_11target_archE910ELNS1_3gpuE8ELNS1_3repE0EEENS1_30default_config_static_selectorELNS0_4arch9wavefront6targetE1EEEvT1_.uses_flat_scratch, 0
	.set _ZN7rocprim17ROCPRIM_400000_NS6detail17trampoline_kernelINS0_14default_configENS1_25partition_config_selectorILNS1_17partition_subalgoE9EllbEEZZNS1_14partition_implILS5_9ELb0ES3_jPlS8_PNS0_10empty_typeENS0_5tupleIJS8_S9_EEENSB_IJS8_SA_EEENS0_18inequality_wrapperIZN2at6native12_GLOBAL__N_124unique_dim_cuda_templateIN3c108BFloat16EEESt5tupleIJNSF_6TensorESM_SM_EERKSM_lbbbEUlllE0_EEPmJS9_EEE10hipError_tPvRmT3_T4_T5_T6_T7_T9_mT8_P12ihipStream_tbDpT10_ENKUlT_T0_E_clISt17integral_constantIbLb1EES1C_EEDaS17_S18_EUlS17_E_NS1_11comp_targetILNS1_3genE4ELNS1_11target_archE910ELNS1_3gpuE8ELNS1_3repE0EEENS1_30default_config_static_selectorELNS0_4arch9wavefront6targetE1EEEvT1_.has_dyn_sized_stack, 0
	.set _ZN7rocprim17ROCPRIM_400000_NS6detail17trampoline_kernelINS0_14default_configENS1_25partition_config_selectorILNS1_17partition_subalgoE9EllbEEZZNS1_14partition_implILS5_9ELb0ES3_jPlS8_PNS0_10empty_typeENS0_5tupleIJS8_S9_EEENSB_IJS8_SA_EEENS0_18inequality_wrapperIZN2at6native12_GLOBAL__N_124unique_dim_cuda_templateIN3c108BFloat16EEESt5tupleIJNSF_6TensorESM_SM_EERKSM_lbbbEUlllE0_EEPmJS9_EEE10hipError_tPvRmT3_T4_T5_T6_T7_T9_mT8_P12ihipStream_tbDpT10_ENKUlT_T0_E_clISt17integral_constantIbLb1EES1C_EEDaS17_S18_EUlS17_E_NS1_11comp_targetILNS1_3genE4ELNS1_11target_archE910ELNS1_3gpuE8ELNS1_3repE0EEENS1_30default_config_static_selectorELNS0_4arch9wavefront6targetE1EEEvT1_.has_recursion, 0
	.set _ZN7rocprim17ROCPRIM_400000_NS6detail17trampoline_kernelINS0_14default_configENS1_25partition_config_selectorILNS1_17partition_subalgoE9EllbEEZZNS1_14partition_implILS5_9ELb0ES3_jPlS8_PNS0_10empty_typeENS0_5tupleIJS8_S9_EEENSB_IJS8_SA_EEENS0_18inequality_wrapperIZN2at6native12_GLOBAL__N_124unique_dim_cuda_templateIN3c108BFloat16EEESt5tupleIJNSF_6TensorESM_SM_EERKSM_lbbbEUlllE0_EEPmJS9_EEE10hipError_tPvRmT3_T4_T5_T6_T7_T9_mT8_P12ihipStream_tbDpT10_ENKUlT_T0_E_clISt17integral_constantIbLb1EES1C_EEDaS17_S18_EUlS17_E_NS1_11comp_targetILNS1_3genE4ELNS1_11target_archE910ELNS1_3gpuE8ELNS1_3repE0EEENS1_30default_config_static_selectorELNS0_4arch9wavefront6targetE1EEEvT1_.has_indirect_call, 0
	.section	.AMDGPU.csdata,"",@progbits
; Kernel info:
; codeLenInByte = 0
; TotalNumSgprs: 6
; NumVgprs: 0
; NumAgprs: 0
; TotalNumVgprs: 0
; ScratchSize: 0
; MemoryBound: 0
; FloatMode: 240
; IeeeMode: 1
; LDSByteSize: 0 bytes/workgroup (compile time only)
; SGPRBlocks: 0
; VGPRBlocks: 0
; NumSGPRsForWavesPerEU: 6
; NumVGPRsForWavesPerEU: 1
; AccumOffset: 4
; Occupancy: 8
; WaveLimiterHint : 0
; COMPUTE_PGM_RSRC2:SCRATCH_EN: 0
; COMPUTE_PGM_RSRC2:USER_SGPR: 2
; COMPUTE_PGM_RSRC2:TRAP_HANDLER: 0
; COMPUTE_PGM_RSRC2:TGID_X_EN: 1
; COMPUTE_PGM_RSRC2:TGID_Y_EN: 0
; COMPUTE_PGM_RSRC2:TGID_Z_EN: 0
; COMPUTE_PGM_RSRC2:TIDIG_COMP_CNT: 0
; COMPUTE_PGM_RSRC3_GFX90A:ACCUM_OFFSET: 0
; COMPUTE_PGM_RSRC3_GFX90A:TG_SPLIT: 0
	.section	.text._ZN7rocprim17ROCPRIM_400000_NS6detail17trampoline_kernelINS0_14default_configENS1_25partition_config_selectorILNS1_17partition_subalgoE9EllbEEZZNS1_14partition_implILS5_9ELb0ES3_jPlS8_PNS0_10empty_typeENS0_5tupleIJS8_S9_EEENSB_IJS8_SA_EEENS0_18inequality_wrapperIZN2at6native12_GLOBAL__N_124unique_dim_cuda_templateIN3c108BFloat16EEESt5tupleIJNSF_6TensorESM_SM_EERKSM_lbbbEUlllE0_EEPmJS9_EEE10hipError_tPvRmT3_T4_T5_T6_T7_T9_mT8_P12ihipStream_tbDpT10_ENKUlT_T0_E_clISt17integral_constantIbLb1EES1C_EEDaS17_S18_EUlS17_E_NS1_11comp_targetILNS1_3genE3ELNS1_11target_archE908ELNS1_3gpuE7ELNS1_3repE0EEENS1_30default_config_static_selectorELNS0_4arch9wavefront6targetE1EEEvT1_,"axG",@progbits,_ZN7rocprim17ROCPRIM_400000_NS6detail17trampoline_kernelINS0_14default_configENS1_25partition_config_selectorILNS1_17partition_subalgoE9EllbEEZZNS1_14partition_implILS5_9ELb0ES3_jPlS8_PNS0_10empty_typeENS0_5tupleIJS8_S9_EEENSB_IJS8_SA_EEENS0_18inequality_wrapperIZN2at6native12_GLOBAL__N_124unique_dim_cuda_templateIN3c108BFloat16EEESt5tupleIJNSF_6TensorESM_SM_EERKSM_lbbbEUlllE0_EEPmJS9_EEE10hipError_tPvRmT3_T4_T5_T6_T7_T9_mT8_P12ihipStream_tbDpT10_ENKUlT_T0_E_clISt17integral_constantIbLb1EES1C_EEDaS17_S18_EUlS17_E_NS1_11comp_targetILNS1_3genE3ELNS1_11target_archE908ELNS1_3gpuE7ELNS1_3repE0EEENS1_30default_config_static_selectorELNS0_4arch9wavefront6targetE1EEEvT1_,comdat
	.globl	_ZN7rocprim17ROCPRIM_400000_NS6detail17trampoline_kernelINS0_14default_configENS1_25partition_config_selectorILNS1_17partition_subalgoE9EllbEEZZNS1_14partition_implILS5_9ELb0ES3_jPlS8_PNS0_10empty_typeENS0_5tupleIJS8_S9_EEENSB_IJS8_SA_EEENS0_18inequality_wrapperIZN2at6native12_GLOBAL__N_124unique_dim_cuda_templateIN3c108BFloat16EEESt5tupleIJNSF_6TensorESM_SM_EERKSM_lbbbEUlllE0_EEPmJS9_EEE10hipError_tPvRmT3_T4_T5_T6_T7_T9_mT8_P12ihipStream_tbDpT10_ENKUlT_T0_E_clISt17integral_constantIbLb1EES1C_EEDaS17_S18_EUlS17_E_NS1_11comp_targetILNS1_3genE3ELNS1_11target_archE908ELNS1_3gpuE7ELNS1_3repE0EEENS1_30default_config_static_selectorELNS0_4arch9wavefront6targetE1EEEvT1_ ; -- Begin function _ZN7rocprim17ROCPRIM_400000_NS6detail17trampoline_kernelINS0_14default_configENS1_25partition_config_selectorILNS1_17partition_subalgoE9EllbEEZZNS1_14partition_implILS5_9ELb0ES3_jPlS8_PNS0_10empty_typeENS0_5tupleIJS8_S9_EEENSB_IJS8_SA_EEENS0_18inequality_wrapperIZN2at6native12_GLOBAL__N_124unique_dim_cuda_templateIN3c108BFloat16EEESt5tupleIJNSF_6TensorESM_SM_EERKSM_lbbbEUlllE0_EEPmJS9_EEE10hipError_tPvRmT3_T4_T5_T6_T7_T9_mT8_P12ihipStream_tbDpT10_ENKUlT_T0_E_clISt17integral_constantIbLb1EES1C_EEDaS17_S18_EUlS17_E_NS1_11comp_targetILNS1_3genE3ELNS1_11target_archE908ELNS1_3gpuE7ELNS1_3repE0EEENS1_30default_config_static_selectorELNS0_4arch9wavefront6targetE1EEEvT1_
	.p2align	8
	.type	_ZN7rocprim17ROCPRIM_400000_NS6detail17trampoline_kernelINS0_14default_configENS1_25partition_config_selectorILNS1_17partition_subalgoE9EllbEEZZNS1_14partition_implILS5_9ELb0ES3_jPlS8_PNS0_10empty_typeENS0_5tupleIJS8_S9_EEENSB_IJS8_SA_EEENS0_18inequality_wrapperIZN2at6native12_GLOBAL__N_124unique_dim_cuda_templateIN3c108BFloat16EEESt5tupleIJNSF_6TensorESM_SM_EERKSM_lbbbEUlllE0_EEPmJS9_EEE10hipError_tPvRmT3_T4_T5_T6_T7_T9_mT8_P12ihipStream_tbDpT10_ENKUlT_T0_E_clISt17integral_constantIbLb1EES1C_EEDaS17_S18_EUlS17_E_NS1_11comp_targetILNS1_3genE3ELNS1_11target_archE908ELNS1_3gpuE7ELNS1_3repE0EEENS1_30default_config_static_selectorELNS0_4arch9wavefront6targetE1EEEvT1_,@function
_ZN7rocprim17ROCPRIM_400000_NS6detail17trampoline_kernelINS0_14default_configENS1_25partition_config_selectorILNS1_17partition_subalgoE9EllbEEZZNS1_14partition_implILS5_9ELb0ES3_jPlS8_PNS0_10empty_typeENS0_5tupleIJS8_S9_EEENSB_IJS8_SA_EEENS0_18inequality_wrapperIZN2at6native12_GLOBAL__N_124unique_dim_cuda_templateIN3c108BFloat16EEESt5tupleIJNSF_6TensorESM_SM_EERKSM_lbbbEUlllE0_EEPmJS9_EEE10hipError_tPvRmT3_T4_T5_T6_T7_T9_mT8_P12ihipStream_tbDpT10_ENKUlT_T0_E_clISt17integral_constantIbLb1EES1C_EEDaS17_S18_EUlS17_E_NS1_11comp_targetILNS1_3genE3ELNS1_11target_archE908ELNS1_3gpuE7ELNS1_3repE0EEENS1_30default_config_static_selectorELNS0_4arch9wavefront6targetE1EEEvT1_: ; @_ZN7rocprim17ROCPRIM_400000_NS6detail17trampoline_kernelINS0_14default_configENS1_25partition_config_selectorILNS1_17partition_subalgoE9EllbEEZZNS1_14partition_implILS5_9ELb0ES3_jPlS8_PNS0_10empty_typeENS0_5tupleIJS8_S9_EEENSB_IJS8_SA_EEENS0_18inequality_wrapperIZN2at6native12_GLOBAL__N_124unique_dim_cuda_templateIN3c108BFloat16EEESt5tupleIJNSF_6TensorESM_SM_EERKSM_lbbbEUlllE0_EEPmJS9_EEE10hipError_tPvRmT3_T4_T5_T6_T7_T9_mT8_P12ihipStream_tbDpT10_ENKUlT_T0_E_clISt17integral_constantIbLb1EES1C_EEDaS17_S18_EUlS17_E_NS1_11comp_targetILNS1_3genE3ELNS1_11target_archE908ELNS1_3gpuE7ELNS1_3repE0EEENS1_30default_config_static_selectorELNS0_4arch9wavefront6targetE1EEEvT1_
; %bb.0:
	.section	.rodata,"a",@progbits
	.p2align	6, 0x0
	.amdhsa_kernel _ZN7rocprim17ROCPRIM_400000_NS6detail17trampoline_kernelINS0_14default_configENS1_25partition_config_selectorILNS1_17partition_subalgoE9EllbEEZZNS1_14partition_implILS5_9ELb0ES3_jPlS8_PNS0_10empty_typeENS0_5tupleIJS8_S9_EEENSB_IJS8_SA_EEENS0_18inequality_wrapperIZN2at6native12_GLOBAL__N_124unique_dim_cuda_templateIN3c108BFloat16EEESt5tupleIJNSF_6TensorESM_SM_EERKSM_lbbbEUlllE0_EEPmJS9_EEE10hipError_tPvRmT3_T4_T5_T6_T7_T9_mT8_P12ihipStream_tbDpT10_ENKUlT_T0_E_clISt17integral_constantIbLb1EES1C_EEDaS17_S18_EUlS17_E_NS1_11comp_targetILNS1_3genE3ELNS1_11target_archE908ELNS1_3gpuE7ELNS1_3repE0EEENS1_30default_config_static_selectorELNS0_4arch9wavefront6targetE1EEEvT1_
		.amdhsa_group_segment_fixed_size 0
		.amdhsa_private_segment_fixed_size 0
		.amdhsa_kernarg_size 136
		.amdhsa_user_sgpr_count 2
		.amdhsa_user_sgpr_dispatch_ptr 0
		.amdhsa_user_sgpr_queue_ptr 0
		.amdhsa_user_sgpr_kernarg_segment_ptr 1
		.amdhsa_user_sgpr_dispatch_id 0
		.amdhsa_user_sgpr_kernarg_preload_length 0
		.amdhsa_user_sgpr_kernarg_preload_offset 0
		.amdhsa_user_sgpr_private_segment_size 0
		.amdhsa_uses_dynamic_stack 0
		.amdhsa_enable_private_segment 0
		.amdhsa_system_sgpr_workgroup_id_x 1
		.amdhsa_system_sgpr_workgroup_id_y 0
		.amdhsa_system_sgpr_workgroup_id_z 0
		.amdhsa_system_sgpr_workgroup_info 0
		.amdhsa_system_vgpr_workitem_id 0
		.amdhsa_next_free_vgpr 1
		.amdhsa_next_free_sgpr 0
		.amdhsa_accum_offset 4
		.amdhsa_reserve_vcc 0
		.amdhsa_float_round_mode_32 0
		.amdhsa_float_round_mode_16_64 0
		.amdhsa_float_denorm_mode_32 3
		.amdhsa_float_denorm_mode_16_64 3
		.amdhsa_dx10_clamp 1
		.amdhsa_ieee_mode 1
		.amdhsa_fp16_overflow 0
		.amdhsa_tg_split 0
		.amdhsa_exception_fp_ieee_invalid_op 0
		.amdhsa_exception_fp_denorm_src 0
		.amdhsa_exception_fp_ieee_div_zero 0
		.amdhsa_exception_fp_ieee_overflow 0
		.amdhsa_exception_fp_ieee_underflow 0
		.amdhsa_exception_fp_ieee_inexact 0
		.amdhsa_exception_int_div_zero 0
	.end_amdhsa_kernel
	.section	.text._ZN7rocprim17ROCPRIM_400000_NS6detail17trampoline_kernelINS0_14default_configENS1_25partition_config_selectorILNS1_17partition_subalgoE9EllbEEZZNS1_14partition_implILS5_9ELb0ES3_jPlS8_PNS0_10empty_typeENS0_5tupleIJS8_S9_EEENSB_IJS8_SA_EEENS0_18inequality_wrapperIZN2at6native12_GLOBAL__N_124unique_dim_cuda_templateIN3c108BFloat16EEESt5tupleIJNSF_6TensorESM_SM_EERKSM_lbbbEUlllE0_EEPmJS9_EEE10hipError_tPvRmT3_T4_T5_T6_T7_T9_mT8_P12ihipStream_tbDpT10_ENKUlT_T0_E_clISt17integral_constantIbLb1EES1C_EEDaS17_S18_EUlS17_E_NS1_11comp_targetILNS1_3genE3ELNS1_11target_archE908ELNS1_3gpuE7ELNS1_3repE0EEENS1_30default_config_static_selectorELNS0_4arch9wavefront6targetE1EEEvT1_,"axG",@progbits,_ZN7rocprim17ROCPRIM_400000_NS6detail17trampoline_kernelINS0_14default_configENS1_25partition_config_selectorILNS1_17partition_subalgoE9EllbEEZZNS1_14partition_implILS5_9ELb0ES3_jPlS8_PNS0_10empty_typeENS0_5tupleIJS8_S9_EEENSB_IJS8_SA_EEENS0_18inequality_wrapperIZN2at6native12_GLOBAL__N_124unique_dim_cuda_templateIN3c108BFloat16EEESt5tupleIJNSF_6TensorESM_SM_EERKSM_lbbbEUlllE0_EEPmJS9_EEE10hipError_tPvRmT3_T4_T5_T6_T7_T9_mT8_P12ihipStream_tbDpT10_ENKUlT_T0_E_clISt17integral_constantIbLb1EES1C_EEDaS17_S18_EUlS17_E_NS1_11comp_targetILNS1_3genE3ELNS1_11target_archE908ELNS1_3gpuE7ELNS1_3repE0EEENS1_30default_config_static_selectorELNS0_4arch9wavefront6targetE1EEEvT1_,comdat
.Lfunc_end1217:
	.size	_ZN7rocprim17ROCPRIM_400000_NS6detail17trampoline_kernelINS0_14default_configENS1_25partition_config_selectorILNS1_17partition_subalgoE9EllbEEZZNS1_14partition_implILS5_9ELb0ES3_jPlS8_PNS0_10empty_typeENS0_5tupleIJS8_S9_EEENSB_IJS8_SA_EEENS0_18inequality_wrapperIZN2at6native12_GLOBAL__N_124unique_dim_cuda_templateIN3c108BFloat16EEESt5tupleIJNSF_6TensorESM_SM_EERKSM_lbbbEUlllE0_EEPmJS9_EEE10hipError_tPvRmT3_T4_T5_T6_T7_T9_mT8_P12ihipStream_tbDpT10_ENKUlT_T0_E_clISt17integral_constantIbLb1EES1C_EEDaS17_S18_EUlS17_E_NS1_11comp_targetILNS1_3genE3ELNS1_11target_archE908ELNS1_3gpuE7ELNS1_3repE0EEENS1_30default_config_static_selectorELNS0_4arch9wavefront6targetE1EEEvT1_, .Lfunc_end1217-_ZN7rocprim17ROCPRIM_400000_NS6detail17trampoline_kernelINS0_14default_configENS1_25partition_config_selectorILNS1_17partition_subalgoE9EllbEEZZNS1_14partition_implILS5_9ELb0ES3_jPlS8_PNS0_10empty_typeENS0_5tupleIJS8_S9_EEENSB_IJS8_SA_EEENS0_18inequality_wrapperIZN2at6native12_GLOBAL__N_124unique_dim_cuda_templateIN3c108BFloat16EEESt5tupleIJNSF_6TensorESM_SM_EERKSM_lbbbEUlllE0_EEPmJS9_EEE10hipError_tPvRmT3_T4_T5_T6_T7_T9_mT8_P12ihipStream_tbDpT10_ENKUlT_T0_E_clISt17integral_constantIbLb1EES1C_EEDaS17_S18_EUlS17_E_NS1_11comp_targetILNS1_3genE3ELNS1_11target_archE908ELNS1_3gpuE7ELNS1_3repE0EEENS1_30default_config_static_selectorELNS0_4arch9wavefront6targetE1EEEvT1_
                                        ; -- End function
	.set _ZN7rocprim17ROCPRIM_400000_NS6detail17trampoline_kernelINS0_14default_configENS1_25partition_config_selectorILNS1_17partition_subalgoE9EllbEEZZNS1_14partition_implILS5_9ELb0ES3_jPlS8_PNS0_10empty_typeENS0_5tupleIJS8_S9_EEENSB_IJS8_SA_EEENS0_18inequality_wrapperIZN2at6native12_GLOBAL__N_124unique_dim_cuda_templateIN3c108BFloat16EEESt5tupleIJNSF_6TensorESM_SM_EERKSM_lbbbEUlllE0_EEPmJS9_EEE10hipError_tPvRmT3_T4_T5_T6_T7_T9_mT8_P12ihipStream_tbDpT10_ENKUlT_T0_E_clISt17integral_constantIbLb1EES1C_EEDaS17_S18_EUlS17_E_NS1_11comp_targetILNS1_3genE3ELNS1_11target_archE908ELNS1_3gpuE7ELNS1_3repE0EEENS1_30default_config_static_selectorELNS0_4arch9wavefront6targetE1EEEvT1_.num_vgpr, 0
	.set _ZN7rocprim17ROCPRIM_400000_NS6detail17trampoline_kernelINS0_14default_configENS1_25partition_config_selectorILNS1_17partition_subalgoE9EllbEEZZNS1_14partition_implILS5_9ELb0ES3_jPlS8_PNS0_10empty_typeENS0_5tupleIJS8_S9_EEENSB_IJS8_SA_EEENS0_18inequality_wrapperIZN2at6native12_GLOBAL__N_124unique_dim_cuda_templateIN3c108BFloat16EEESt5tupleIJNSF_6TensorESM_SM_EERKSM_lbbbEUlllE0_EEPmJS9_EEE10hipError_tPvRmT3_T4_T5_T6_T7_T9_mT8_P12ihipStream_tbDpT10_ENKUlT_T0_E_clISt17integral_constantIbLb1EES1C_EEDaS17_S18_EUlS17_E_NS1_11comp_targetILNS1_3genE3ELNS1_11target_archE908ELNS1_3gpuE7ELNS1_3repE0EEENS1_30default_config_static_selectorELNS0_4arch9wavefront6targetE1EEEvT1_.num_agpr, 0
	.set _ZN7rocprim17ROCPRIM_400000_NS6detail17trampoline_kernelINS0_14default_configENS1_25partition_config_selectorILNS1_17partition_subalgoE9EllbEEZZNS1_14partition_implILS5_9ELb0ES3_jPlS8_PNS0_10empty_typeENS0_5tupleIJS8_S9_EEENSB_IJS8_SA_EEENS0_18inequality_wrapperIZN2at6native12_GLOBAL__N_124unique_dim_cuda_templateIN3c108BFloat16EEESt5tupleIJNSF_6TensorESM_SM_EERKSM_lbbbEUlllE0_EEPmJS9_EEE10hipError_tPvRmT3_T4_T5_T6_T7_T9_mT8_P12ihipStream_tbDpT10_ENKUlT_T0_E_clISt17integral_constantIbLb1EES1C_EEDaS17_S18_EUlS17_E_NS1_11comp_targetILNS1_3genE3ELNS1_11target_archE908ELNS1_3gpuE7ELNS1_3repE0EEENS1_30default_config_static_selectorELNS0_4arch9wavefront6targetE1EEEvT1_.numbered_sgpr, 0
	.set _ZN7rocprim17ROCPRIM_400000_NS6detail17trampoline_kernelINS0_14default_configENS1_25partition_config_selectorILNS1_17partition_subalgoE9EllbEEZZNS1_14partition_implILS5_9ELb0ES3_jPlS8_PNS0_10empty_typeENS0_5tupleIJS8_S9_EEENSB_IJS8_SA_EEENS0_18inequality_wrapperIZN2at6native12_GLOBAL__N_124unique_dim_cuda_templateIN3c108BFloat16EEESt5tupleIJNSF_6TensorESM_SM_EERKSM_lbbbEUlllE0_EEPmJS9_EEE10hipError_tPvRmT3_T4_T5_T6_T7_T9_mT8_P12ihipStream_tbDpT10_ENKUlT_T0_E_clISt17integral_constantIbLb1EES1C_EEDaS17_S18_EUlS17_E_NS1_11comp_targetILNS1_3genE3ELNS1_11target_archE908ELNS1_3gpuE7ELNS1_3repE0EEENS1_30default_config_static_selectorELNS0_4arch9wavefront6targetE1EEEvT1_.num_named_barrier, 0
	.set _ZN7rocprim17ROCPRIM_400000_NS6detail17trampoline_kernelINS0_14default_configENS1_25partition_config_selectorILNS1_17partition_subalgoE9EllbEEZZNS1_14partition_implILS5_9ELb0ES3_jPlS8_PNS0_10empty_typeENS0_5tupleIJS8_S9_EEENSB_IJS8_SA_EEENS0_18inequality_wrapperIZN2at6native12_GLOBAL__N_124unique_dim_cuda_templateIN3c108BFloat16EEESt5tupleIJNSF_6TensorESM_SM_EERKSM_lbbbEUlllE0_EEPmJS9_EEE10hipError_tPvRmT3_T4_T5_T6_T7_T9_mT8_P12ihipStream_tbDpT10_ENKUlT_T0_E_clISt17integral_constantIbLb1EES1C_EEDaS17_S18_EUlS17_E_NS1_11comp_targetILNS1_3genE3ELNS1_11target_archE908ELNS1_3gpuE7ELNS1_3repE0EEENS1_30default_config_static_selectorELNS0_4arch9wavefront6targetE1EEEvT1_.private_seg_size, 0
	.set _ZN7rocprim17ROCPRIM_400000_NS6detail17trampoline_kernelINS0_14default_configENS1_25partition_config_selectorILNS1_17partition_subalgoE9EllbEEZZNS1_14partition_implILS5_9ELb0ES3_jPlS8_PNS0_10empty_typeENS0_5tupleIJS8_S9_EEENSB_IJS8_SA_EEENS0_18inequality_wrapperIZN2at6native12_GLOBAL__N_124unique_dim_cuda_templateIN3c108BFloat16EEESt5tupleIJNSF_6TensorESM_SM_EERKSM_lbbbEUlllE0_EEPmJS9_EEE10hipError_tPvRmT3_T4_T5_T6_T7_T9_mT8_P12ihipStream_tbDpT10_ENKUlT_T0_E_clISt17integral_constantIbLb1EES1C_EEDaS17_S18_EUlS17_E_NS1_11comp_targetILNS1_3genE3ELNS1_11target_archE908ELNS1_3gpuE7ELNS1_3repE0EEENS1_30default_config_static_selectorELNS0_4arch9wavefront6targetE1EEEvT1_.uses_vcc, 0
	.set _ZN7rocprim17ROCPRIM_400000_NS6detail17trampoline_kernelINS0_14default_configENS1_25partition_config_selectorILNS1_17partition_subalgoE9EllbEEZZNS1_14partition_implILS5_9ELb0ES3_jPlS8_PNS0_10empty_typeENS0_5tupleIJS8_S9_EEENSB_IJS8_SA_EEENS0_18inequality_wrapperIZN2at6native12_GLOBAL__N_124unique_dim_cuda_templateIN3c108BFloat16EEESt5tupleIJNSF_6TensorESM_SM_EERKSM_lbbbEUlllE0_EEPmJS9_EEE10hipError_tPvRmT3_T4_T5_T6_T7_T9_mT8_P12ihipStream_tbDpT10_ENKUlT_T0_E_clISt17integral_constantIbLb1EES1C_EEDaS17_S18_EUlS17_E_NS1_11comp_targetILNS1_3genE3ELNS1_11target_archE908ELNS1_3gpuE7ELNS1_3repE0EEENS1_30default_config_static_selectorELNS0_4arch9wavefront6targetE1EEEvT1_.uses_flat_scratch, 0
	.set _ZN7rocprim17ROCPRIM_400000_NS6detail17trampoline_kernelINS0_14default_configENS1_25partition_config_selectorILNS1_17partition_subalgoE9EllbEEZZNS1_14partition_implILS5_9ELb0ES3_jPlS8_PNS0_10empty_typeENS0_5tupleIJS8_S9_EEENSB_IJS8_SA_EEENS0_18inequality_wrapperIZN2at6native12_GLOBAL__N_124unique_dim_cuda_templateIN3c108BFloat16EEESt5tupleIJNSF_6TensorESM_SM_EERKSM_lbbbEUlllE0_EEPmJS9_EEE10hipError_tPvRmT3_T4_T5_T6_T7_T9_mT8_P12ihipStream_tbDpT10_ENKUlT_T0_E_clISt17integral_constantIbLb1EES1C_EEDaS17_S18_EUlS17_E_NS1_11comp_targetILNS1_3genE3ELNS1_11target_archE908ELNS1_3gpuE7ELNS1_3repE0EEENS1_30default_config_static_selectorELNS0_4arch9wavefront6targetE1EEEvT1_.has_dyn_sized_stack, 0
	.set _ZN7rocprim17ROCPRIM_400000_NS6detail17trampoline_kernelINS0_14default_configENS1_25partition_config_selectorILNS1_17partition_subalgoE9EllbEEZZNS1_14partition_implILS5_9ELb0ES3_jPlS8_PNS0_10empty_typeENS0_5tupleIJS8_S9_EEENSB_IJS8_SA_EEENS0_18inequality_wrapperIZN2at6native12_GLOBAL__N_124unique_dim_cuda_templateIN3c108BFloat16EEESt5tupleIJNSF_6TensorESM_SM_EERKSM_lbbbEUlllE0_EEPmJS9_EEE10hipError_tPvRmT3_T4_T5_T6_T7_T9_mT8_P12ihipStream_tbDpT10_ENKUlT_T0_E_clISt17integral_constantIbLb1EES1C_EEDaS17_S18_EUlS17_E_NS1_11comp_targetILNS1_3genE3ELNS1_11target_archE908ELNS1_3gpuE7ELNS1_3repE0EEENS1_30default_config_static_selectorELNS0_4arch9wavefront6targetE1EEEvT1_.has_recursion, 0
	.set _ZN7rocprim17ROCPRIM_400000_NS6detail17trampoline_kernelINS0_14default_configENS1_25partition_config_selectorILNS1_17partition_subalgoE9EllbEEZZNS1_14partition_implILS5_9ELb0ES3_jPlS8_PNS0_10empty_typeENS0_5tupleIJS8_S9_EEENSB_IJS8_SA_EEENS0_18inequality_wrapperIZN2at6native12_GLOBAL__N_124unique_dim_cuda_templateIN3c108BFloat16EEESt5tupleIJNSF_6TensorESM_SM_EERKSM_lbbbEUlllE0_EEPmJS9_EEE10hipError_tPvRmT3_T4_T5_T6_T7_T9_mT8_P12ihipStream_tbDpT10_ENKUlT_T0_E_clISt17integral_constantIbLb1EES1C_EEDaS17_S18_EUlS17_E_NS1_11comp_targetILNS1_3genE3ELNS1_11target_archE908ELNS1_3gpuE7ELNS1_3repE0EEENS1_30default_config_static_selectorELNS0_4arch9wavefront6targetE1EEEvT1_.has_indirect_call, 0
	.section	.AMDGPU.csdata,"",@progbits
; Kernel info:
; codeLenInByte = 0
; TotalNumSgprs: 6
; NumVgprs: 0
; NumAgprs: 0
; TotalNumVgprs: 0
; ScratchSize: 0
; MemoryBound: 0
; FloatMode: 240
; IeeeMode: 1
; LDSByteSize: 0 bytes/workgroup (compile time only)
; SGPRBlocks: 0
; VGPRBlocks: 0
; NumSGPRsForWavesPerEU: 6
; NumVGPRsForWavesPerEU: 1
; AccumOffset: 4
; Occupancy: 8
; WaveLimiterHint : 0
; COMPUTE_PGM_RSRC2:SCRATCH_EN: 0
; COMPUTE_PGM_RSRC2:USER_SGPR: 2
; COMPUTE_PGM_RSRC2:TRAP_HANDLER: 0
; COMPUTE_PGM_RSRC2:TGID_X_EN: 1
; COMPUTE_PGM_RSRC2:TGID_Y_EN: 0
; COMPUTE_PGM_RSRC2:TGID_Z_EN: 0
; COMPUTE_PGM_RSRC2:TIDIG_COMP_CNT: 0
; COMPUTE_PGM_RSRC3_GFX90A:ACCUM_OFFSET: 0
; COMPUTE_PGM_RSRC3_GFX90A:TG_SPLIT: 0
	.section	.text._ZN7rocprim17ROCPRIM_400000_NS6detail17trampoline_kernelINS0_14default_configENS1_25partition_config_selectorILNS1_17partition_subalgoE9EllbEEZZNS1_14partition_implILS5_9ELb0ES3_jPlS8_PNS0_10empty_typeENS0_5tupleIJS8_S9_EEENSB_IJS8_SA_EEENS0_18inequality_wrapperIZN2at6native12_GLOBAL__N_124unique_dim_cuda_templateIN3c108BFloat16EEESt5tupleIJNSF_6TensorESM_SM_EERKSM_lbbbEUlllE0_EEPmJS9_EEE10hipError_tPvRmT3_T4_T5_T6_T7_T9_mT8_P12ihipStream_tbDpT10_ENKUlT_T0_E_clISt17integral_constantIbLb1EES1C_EEDaS17_S18_EUlS17_E_NS1_11comp_targetILNS1_3genE2ELNS1_11target_archE906ELNS1_3gpuE6ELNS1_3repE0EEENS1_30default_config_static_selectorELNS0_4arch9wavefront6targetE1EEEvT1_,"axG",@progbits,_ZN7rocprim17ROCPRIM_400000_NS6detail17trampoline_kernelINS0_14default_configENS1_25partition_config_selectorILNS1_17partition_subalgoE9EllbEEZZNS1_14partition_implILS5_9ELb0ES3_jPlS8_PNS0_10empty_typeENS0_5tupleIJS8_S9_EEENSB_IJS8_SA_EEENS0_18inequality_wrapperIZN2at6native12_GLOBAL__N_124unique_dim_cuda_templateIN3c108BFloat16EEESt5tupleIJNSF_6TensorESM_SM_EERKSM_lbbbEUlllE0_EEPmJS9_EEE10hipError_tPvRmT3_T4_T5_T6_T7_T9_mT8_P12ihipStream_tbDpT10_ENKUlT_T0_E_clISt17integral_constantIbLb1EES1C_EEDaS17_S18_EUlS17_E_NS1_11comp_targetILNS1_3genE2ELNS1_11target_archE906ELNS1_3gpuE6ELNS1_3repE0EEENS1_30default_config_static_selectorELNS0_4arch9wavefront6targetE1EEEvT1_,comdat
	.globl	_ZN7rocprim17ROCPRIM_400000_NS6detail17trampoline_kernelINS0_14default_configENS1_25partition_config_selectorILNS1_17partition_subalgoE9EllbEEZZNS1_14partition_implILS5_9ELb0ES3_jPlS8_PNS0_10empty_typeENS0_5tupleIJS8_S9_EEENSB_IJS8_SA_EEENS0_18inequality_wrapperIZN2at6native12_GLOBAL__N_124unique_dim_cuda_templateIN3c108BFloat16EEESt5tupleIJNSF_6TensorESM_SM_EERKSM_lbbbEUlllE0_EEPmJS9_EEE10hipError_tPvRmT3_T4_T5_T6_T7_T9_mT8_P12ihipStream_tbDpT10_ENKUlT_T0_E_clISt17integral_constantIbLb1EES1C_EEDaS17_S18_EUlS17_E_NS1_11comp_targetILNS1_3genE2ELNS1_11target_archE906ELNS1_3gpuE6ELNS1_3repE0EEENS1_30default_config_static_selectorELNS0_4arch9wavefront6targetE1EEEvT1_ ; -- Begin function _ZN7rocprim17ROCPRIM_400000_NS6detail17trampoline_kernelINS0_14default_configENS1_25partition_config_selectorILNS1_17partition_subalgoE9EllbEEZZNS1_14partition_implILS5_9ELb0ES3_jPlS8_PNS0_10empty_typeENS0_5tupleIJS8_S9_EEENSB_IJS8_SA_EEENS0_18inequality_wrapperIZN2at6native12_GLOBAL__N_124unique_dim_cuda_templateIN3c108BFloat16EEESt5tupleIJNSF_6TensorESM_SM_EERKSM_lbbbEUlllE0_EEPmJS9_EEE10hipError_tPvRmT3_T4_T5_T6_T7_T9_mT8_P12ihipStream_tbDpT10_ENKUlT_T0_E_clISt17integral_constantIbLb1EES1C_EEDaS17_S18_EUlS17_E_NS1_11comp_targetILNS1_3genE2ELNS1_11target_archE906ELNS1_3gpuE6ELNS1_3repE0EEENS1_30default_config_static_selectorELNS0_4arch9wavefront6targetE1EEEvT1_
	.p2align	8
	.type	_ZN7rocprim17ROCPRIM_400000_NS6detail17trampoline_kernelINS0_14default_configENS1_25partition_config_selectorILNS1_17partition_subalgoE9EllbEEZZNS1_14partition_implILS5_9ELb0ES3_jPlS8_PNS0_10empty_typeENS0_5tupleIJS8_S9_EEENSB_IJS8_SA_EEENS0_18inequality_wrapperIZN2at6native12_GLOBAL__N_124unique_dim_cuda_templateIN3c108BFloat16EEESt5tupleIJNSF_6TensorESM_SM_EERKSM_lbbbEUlllE0_EEPmJS9_EEE10hipError_tPvRmT3_T4_T5_T6_T7_T9_mT8_P12ihipStream_tbDpT10_ENKUlT_T0_E_clISt17integral_constantIbLb1EES1C_EEDaS17_S18_EUlS17_E_NS1_11comp_targetILNS1_3genE2ELNS1_11target_archE906ELNS1_3gpuE6ELNS1_3repE0EEENS1_30default_config_static_selectorELNS0_4arch9wavefront6targetE1EEEvT1_,@function
_ZN7rocprim17ROCPRIM_400000_NS6detail17trampoline_kernelINS0_14default_configENS1_25partition_config_selectorILNS1_17partition_subalgoE9EllbEEZZNS1_14partition_implILS5_9ELb0ES3_jPlS8_PNS0_10empty_typeENS0_5tupleIJS8_S9_EEENSB_IJS8_SA_EEENS0_18inequality_wrapperIZN2at6native12_GLOBAL__N_124unique_dim_cuda_templateIN3c108BFloat16EEESt5tupleIJNSF_6TensorESM_SM_EERKSM_lbbbEUlllE0_EEPmJS9_EEE10hipError_tPvRmT3_T4_T5_T6_T7_T9_mT8_P12ihipStream_tbDpT10_ENKUlT_T0_E_clISt17integral_constantIbLb1EES1C_EEDaS17_S18_EUlS17_E_NS1_11comp_targetILNS1_3genE2ELNS1_11target_archE906ELNS1_3gpuE6ELNS1_3repE0EEENS1_30default_config_static_selectorELNS0_4arch9wavefront6targetE1EEEvT1_: ; @_ZN7rocprim17ROCPRIM_400000_NS6detail17trampoline_kernelINS0_14default_configENS1_25partition_config_selectorILNS1_17partition_subalgoE9EllbEEZZNS1_14partition_implILS5_9ELb0ES3_jPlS8_PNS0_10empty_typeENS0_5tupleIJS8_S9_EEENSB_IJS8_SA_EEENS0_18inequality_wrapperIZN2at6native12_GLOBAL__N_124unique_dim_cuda_templateIN3c108BFloat16EEESt5tupleIJNSF_6TensorESM_SM_EERKSM_lbbbEUlllE0_EEPmJS9_EEE10hipError_tPvRmT3_T4_T5_T6_T7_T9_mT8_P12ihipStream_tbDpT10_ENKUlT_T0_E_clISt17integral_constantIbLb1EES1C_EEDaS17_S18_EUlS17_E_NS1_11comp_targetILNS1_3genE2ELNS1_11target_archE906ELNS1_3gpuE6ELNS1_3repE0EEENS1_30default_config_static_selectorELNS0_4arch9wavefront6targetE1EEEvT1_
; %bb.0:
	.section	.rodata,"a",@progbits
	.p2align	6, 0x0
	.amdhsa_kernel _ZN7rocprim17ROCPRIM_400000_NS6detail17trampoline_kernelINS0_14default_configENS1_25partition_config_selectorILNS1_17partition_subalgoE9EllbEEZZNS1_14partition_implILS5_9ELb0ES3_jPlS8_PNS0_10empty_typeENS0_5tupleIJS8_S9_EEENSB_IJS8_SA_EEENS0_18inequality_wrapperIZN2at6native12_GLOBAL__N_124unique_dim_cuda_templateIN3c108BFloat16EEESt5tupleIJNSF_6TensorESM_SM_EERKSM_lbbbEUlllE0_EEPmJS9_EEE10hipError_tPvRmT3_T4_T5_T6_T7_T9_mT8_P12ihipStream_tbDpT10_ENKUlT_T0_E_clISt17integral_constantIbLb1EES1C_EEDaS17_S18_EUlS17_E_NS1_11comp_targetILNS1_3genE2ELNS1_11target_archE906ELNS1_3gpuE6ELNS1_3repE0EEENS1_30default_config_static_selectorELNS0_4arch9wavefront6targetE1EEEvT1_
		.amdhsa_group_segment_fixed_size 0
		.amdhsa_private_segment_fixed_size 0
		.amdhsa_kernarg_size 136
		.amdhsa_user_sgpr_count 2
		.amdhsa_user_sgpr_dispatch_ptr 0
		.amdhsa_user_sgpr_queue_ptr 0
		.amdhsa_user_sgpr_kernarg_segment_ptr 1
		.amdhsa_user_sgpr_dispatch_id 0
		.amdhsa_user_sgpr_kernarg_preload_length 0
		.amdhsa_user_sgpr_kernarg_preload_offset 0
		.amdhsa_user_sgpr_private_segment_size 0
		.amdhsa_uses_dynamic_stack 0
		.amdhsa_enable_private_segment 0
		.amdhsa_system_sgpr_workgroup_id_x 1
		.amdhsa_system_sgpr_workgroup_id_y 0
		.amdhsa_system_sgpr_workgroup_id_z 0
		.amdhsa_system_sgpr_workgroup_info 0
		.amdhsa_system_vgpr_workitem_id 0
		.amdhsa_next_free_vgpr 1
		.amdhsa_next_free_sgpr 0
		.amdhsa_accum_offset 4
		.amdhsa_reserve_vcc 0
		.amdhsa_float_round_mode_32 0
		.amdhsa_float_round_mode_16_64 0
		.amdhsa_float_denorm_mode_32 3
		.amdhsa_float_denorm_mode_16_64 3
		.amdhsa_dx10_clamp 1
		.amdhsa_ieee_mode 1
		.amdhsa_fp16_overflow 0
		.amdhsa_tg_split 0
		.amdhsa_exception_fp_ieee_invalid_op 0
		.amdhsa_exception_fp_denorm_src 0
		.amdhsa_exception_fp_ieee_div_zero 0
		.amdhsa_exception_fp_ieee_overflow 0
		.amdhsa_exception_fp_ieee_underflow 0
		.amdhsa_exception_fp_ieee_inexact 0
		.amdhsa_exception_int_div_zero 0
	.end_amdhsa_kernel
	.section	.text._ZN7rocprim17ROCPRIM_400000_NS6detail17trampoline_kernelINS0_14default_configENS1_25partition_config_selectorILNS1_17partition_subalgoE9EllbEEZZNS1_14partition_implILS5_9ELb0ES3_jPlS8_PNS0_10empty_typeENS0_5tupleIJS8_S9_EEENSB_IJS8_SA_EEENS0_18inequality_wrapperIZN2at6native12_GLOBAL__N_124unique_dim_cuda_templateIN3c108BFloat16EEESt5tupleIJNSF_6TensorESM_SM_EERKSM_lbbbEUlllE0_EEPmJS9_EEE10hipError_tPvRmT3_T4_T5_T6_T7_T9_mT8_P12ihipStream_tbDpT10_ENKUlT_T0_E_clISt17integral_constantIbLb1EES1C_EEDaS17_S18_EUlS17_E_NS1_11comp_targetILNS1_3genE2ELNS1_11target_archE906ELNS1_3gpuE6ELNS1_3repE0EEENS1_30default_config_static_selectorELNS0_4arch9wavefront6targetE1EEEvT1_,"axG",@progbits,_ZN7rocprim17ROCPRIM_400000_NS6detail17trampoline_kernelINS0_14default_configENS1_25partition_config_selectorILNS1_17partition_subalgoE9EllbEEZZNS1_14partition_implILS5_9ELb0ES3_jPlS8_PNS0_10empty_typeENS0_5tupleIJS8_S9_EEENSB_IJS8_SA_EEENS0_18inequality_wrapperIZN2at6native12_GLOBAL__N_124unique_dim_cuda_templateIN3c108BFloat16EEESt5tupleIJNSF_6TensorESM_SM_EERKSM_lbbbEUlllE0_EEPmJS9_EEE10hipError_tPvRmT3_T4_T5_T6_T7_T9_mT8_P12ihipStream_tbDpT10_ENKUlT_T0_E_clISt17integral_constantIbLb1EES1C_EEDaS17_S18_EUlS17_E_NS1_11comp_targetILNS1_3genE2ELNS1_11target_archE906ELNS1_3gpuE6ELNS1_3repE0EEENS1_30default_config_static_selectorELNS0_4arch9wavefront6targetE1EEEvT1_,comdat
.Lfunc_end1218:
	.size	_ZN7rocprim17ROCPRIM_400000_NS6detail17trampoline_kernelINS0_14default_configENS1_25partition_config_selectorILNS1_17partition_subalgoE9EllbEEZZNS1_14partition_implILS5_9ELb0ES3_jPlS8_PNS0_10empty_typeENS0_5tupleIJS8_S9_EEENSB_IJS8_SA_EEENS0_18inequality_wrapperIZN2at6native12_GLOBAL__N_124unique_dim_cuda_templateIN3c108BFloat16EEESt5tupleIJNSF_6TensorESM_SM_EERKSM_lbbbEUlllE0_EEPmJS9_EEE10hipError_tPvRmT3_T4_T5_T6_T7_T9_mT8_P12ihipStream_tbDpT10_ENKUlT_T0_E_clISt17integral_constantIbLb1EES1C_EEDaS17_S18_EUlS17_E_NS1_11comp_targetILNS1_3genE2ELNS1_11target_archE906ELNS1_3gpuE6ELNS1_3repE0EEENS1_30default_config_static_selectorELNS0_4arch9wavefront6targetE1EEEvT1_, .Lfunc_end1218-_ZN7rocprim17ROCPRIM_400000_NS6detail17trampoline_kernelINS0_14default_configENS1_25partition_config_selectorILNS1_17partition_subalgoE9EllbEEZZNS1_14partition_implILS5_9ELb0ES3_jPlS8_PNS0_10empty_typeENS0_5tupleIJS8_S9_EEENSB_IJS8_SA_EEENS0_18inequality_wrapperIZN2at6native12_GLOBAL__N_124unique_dim_cuda_templateIN3c108BFloat16EEESt5tupleIJNSF_6TensorESM_SM_EERKSM_lbbbEUlllE0_EEPmJS9_EEE10hipError_tPvRmT3_T4_T5_T6_T7_T9_mT8_P12ihipStream_tbDpT10_ENKUlT_T0_E_clISt17integral_constantIbLb1EES1C_EEDaS17_S18_EUlS17_E_NS1_11comp_targetILNS1_3genE2ELNS1_11target_archE906ELNS1_3gpuE6ELNS1_3repE0EEENS1_30default_config_static_selectorELNS0_4arch9wavefront6targetE1EEEvT1_
                                        ; -- End function
	.set _ZN7rocprim17ROCPRIM_400000_NS6detail17trampoline_kernelINS0_14default_configENS1_25partition_config_selectorILNS1_17partition_subalgoE9EllbEEZZNS1_14partition_implILS5_9ELb0ES3_jPlS8_PNS0_10empty_typeENS0_5tupleIJS8_S9_EEENSB_IJS8_SA_EEENS0_18inequality_wrapperIZN2at6native12_GLOBAL__N_124unique_dim_cuda_templateIN3c108BFloat16EEESt5tupleIJNSF_6TensorESM_SM_EERKSM_lbbbEUlllE0_EEPmJS9_EEE10hipError_tPvRmT3_T4_T5_T6_T7_T9_mT8_P12ihipStream_tbDpT10_ENKUlT_T0_E_clISt17integral_constantIbLb1EES1C_EEDaS17_S18_EUlS17_E_NS1_11comp_targetILNS1_3genE2ELNS1_11target_archE906ELNS1_3gpuE6ELNS1_3repE0EEENS1_30default_config_static_selectorELNS0_4arch9wavefront6targetE1EEEvT1_.num_vgpr, 0
	.set _ZN7rocprim17ROCPRIM_400000_NS6detail17trampoline_kernelINS0_14default_configENS1_25partition_config_selectorILNS1_17partition_subalgoE9EllbEEZZNS1_14partition_implILS5_9ELb0ES3_jPlS8_PNS0_10empty_typeENS0_5tupleIJS8_S9_EEENSB_IJS8_SA_EEENS0_18inequality_wrapperIZN2at6native12_GLOBAL__N_124unique_dim_cuda_templateIN3c108BFloat16EEESt5tupleIJNSF_6TensorESM_SM_EERKSM_lbbbEUlllE0_EEPmJS9_EEE10hipError_tPvRmT3_T4_T5_T6_T7_T9_mT8_P12ihipStream_tbDpT10_ENKUlT_T0_E_clISt17integral_constantIbLb1EES1C_EEDaS17_S18_EUlS17_E_NS1_11comp_targetILNS1_3genE2ELNS1_11target_archE906ELNS1_3gpuE6ELNS1_3repE0EEENS1_30default_config_static_selectorELNS0_4arch9wavefront6targetE1EEEvT1_.num_agpr, 0
	.set _ZN7rocprim17ROCPRIM_400000_NS6detail17trampoline_kernelINS0_14default_configENS1_25partition_config_selectorILNS1_17partition_subalgoE9EllbEEZZNS1_14partition_implILS5_9ELb0ES3_jPlS8_PNS0_10empty_typeENS0_5tupleIJS8_S9_EEENSB_IJS8_SA_EEENS0_18inequality_wrapperIZN2at6native12_GLOBAL__N_124unique_dim_cuda_templateIN3c108BFloat16EEESt5tupleIJNSF_6TensorESM_SM_EERKSM_lbbbEUlllE0_EEPmJS9_EEE10hipError_tPvRmT3_T4_T5_T6_T7_T9_mT8_P12ihipStream_tbDpT10_ENKUlT_T0_E_clISt17integral_constantIbLb1EES1C_EEDaS17_S18_EUlS17_E_NS1_11comp_targetILNS1_3genE2ELNS1_11target_archE906ELNS1_3gpuE6ELNS1_3repE0EEENS1_30default_config_static_selectorELNS0_4arch9wavefront6targetE1EEEvT1_.numbered_sgpr, 0
	.set _ZN7rocprim17ROCPRIM_400000_NS6detail17trampoline_kernelINS0_14default_configENS1_25partition_config_selectorILNS1_17partition_subalgoE9EllbEEZZNS1_14partition_implILS5_9ELb0ES3_jPlS8_PNS0_10empty_typeENS0_5tupleIJS8_S9_EEENSB_IJS8_SA_EEENS0_18inequality_wrapperIZN2at6native12_GLOBAL__N_124unique_dim_cuda_templateIN3c108BFloat16EEESt5tupleIJNSF_6TensorESM_SM_EERKSM_lbbbEUlllE0_EEPmJS9_EEE10hipError_tPvRmT3_T4_T5_T6_T7_T9_mT8_P12ihipStream_tbDpT10_ENKUlT_T0_E_clISt17integral_constantIbLb1EES1C_EEDaS17_S18_EUlS17_E_NS1_11comp_targetILNS1_3genE2ELNS1_11target_archE906ELNS1_3gpuE6ELNS1_3repE0EEENS1_30default_config_static_selectorELNS0_4arch9wavefront6targetE1EEEvT1_.num_named_barrier, 0
	.set _ZN7rocprim17ROCPRIM_400000_NS6detail17trampoline_kernelINS0_14default_configENS1_25partition_config_selectorILNS1_17partition_subalgoE9EllbEEZZNS1_14partition_implILS5_9ELb0ES3_jPlS8_PNS0_10empty_typeENS0_5tupleIJS8_S9_EEENSB_IJS8_SA_EEENS0_18inequality_wrapperIZN2at6native12_GLOBAL__N_124unique_dim_cuda_templateIN3c108BFloat16EEESt5tupleIJNSF_6TensorESM_SM_EERKSM_lbbbEUlllE0_EEPmJS9_EEE10hipError_tPvRmT3_T4_T5_T6_T7_T9_mT8_P12ihipStream_tbDpT10_ENKUlT_T0_E_clISt17integral_constantIbLb1EES1C_EEDaS17_S18_EUlS17_E_NS1_11comp_targetILNS1_3genE2ELNS1_11target_archE906ELNS1_3gpuE6ELNS1_3repE0EEENS1_30default_config_static_selectorELNS0_4arch9wavefront6targetE1EEEvT1_.private_seg_size, 0
	.set _ZN7rocprim17ROCPRIM_400000_NS6detail17trampoline_kernelINS0_14default_configENS1_25partition_config_selectorILNS1_17partition_subalgoE9EllbEEZZNS1_14partition_implILS5_9ELb0ES3_jPlS8_PNS0_10empty_typeENS0_5tupleIJS8_S9_EEENSB_IJS8_SA_EEENS0_18inequality_wrapperIZN2at6native12_GLOBAL__N_124unique_dim_cuda_templateIN3c108BFloat16EEESt5tupleIJNSF_6TensorESM_SM_EERKSM_lbbbEUlllE0_EEPmJS9_EEE10hipError_tPvRmT3_T4_T5_T6_T7_T9_mT8_P12ihipStream_tbDpT10_ENKUlT_T0_E_clISt17integral_constantIbLb1EES1C_EEDaS17_S18_EUlS17_E_NS1_11comp_targetILNS1_3genE2ELNS1_11target_archE906ELNS1_3gpuE6ELNS1_3repE0EEENS1_30default_config_static_selectorELNS0_4arch9wavefront6targetE1EEEvT1_.uses_vcc, 0
	.set _ZN7rocprim17ROCPRIM_400000_NS6detail17trampoline_kernelINS0_14default_configENS1_25partition_config_selectorILNS1_17partition_subalgoE9EllbEEZZNS1_14partition_implILS5_9ELb0ES3_jPlS8_PNS0_10empty_typeENS0_5tupleIJS8_S9_EEENSB_IJS8_SA_EEENS0_18inequality_wrapperIZN2at6native12_GLOBAL__N_124unique_dim_cuda_templateIN3c108BFloat16EEESt5tupleIJNSF_6TensorESM_SM_EERKSM_lbbbEUlllE0_EEPmJS9_EEE10hipError_tPvRmT3_T4_T5_T6_T7_T9_mT8_P12ihipStream_tbDpT10_ENKUlT_T0_E_clISt17integral_constantIbLb1EES1C_EEDaS17_S18_EUlS17_E_NS1_11comp_targetILNS1_3genE2ELNS1_11target_archE906ELNS1_3gpuE6ELNS1_3repE0EEENS1_30default_config_static_selectorELNS0_4arch9wavefront6targetE1EEEvT1_.uses_flat_scratch, 0
	.set _ZN7rocprim17ROCPRIM_400000_NS6detail17trampoline_kernelINS0_14default_configENS1_25partition_config_selectorILNS1_17partition_subalgoE9EllbEEZZNS1_14partition_implILS5_9ELb0ES3_jPlS8_PNS0_10empty_typeENS0_5tupleIJS8_S9_EEENSB_IJS8_SA_EEENS0_18inequality_wrapperIZN2at6native12_GLOBAL__N_124unique_dim_cuda_templateIN3c108BFloat16EEESt5tupleIJNSF_6TensorESM_SM_EERKSM_lbbbEUlllE0_EEPmJS9_EEE10hipError_tPvRmT3_T4_T5_T6_T7_T9_mT8_P12ihipStream_tbDpT10_ENKUlT_T0_E_clISt17integral_constantIbLb1EES1C_EEDaS17_S18_EUlS17_E_NS1_11comp_targetILNS1_3genE2ELNS1_11target_archE906ELNS1_3gpuE6ELNS1_3repE0EEENS1_30default_config_static_selectorELNS0_4arch9wavefront6targetE1EEEvT1_.has_dyn_sized_stack, 0
	.set _ZN7rocprim17ROCPRIM_400000_NS6detail17trampoline_kernelINS0_14default_configENS1_25partition_config_selectorILNS1_17partition_subalgoE9EllbEEZZNS1_14partition_implILS5_9ELb0ES3_jPlS8_PNS0_10empty_typeENS0_5tupleIJS8_S9_EEENSB_IJS8_SA_EEENS0_18inequality_wrapperIZN2at6native12_GLOBAL__N_124unique_dim_cuda_templateIN3c108BFloat16EEESt5tupleIJNSF_6TensorESM_SM_EERKSM_lbbbEUlllE0_EEPmJS9_EEE10hipError_tPvRmT3_T4_T5_T6_T7_T9_mT8_P12ihipStream_tbDpT10_ENKUlT_T0_E_clISt17integral_constantIbLb1EES1C_EEDaS17_S18_EUlS17_E_NS1_11comp_targetILNS1_3genE2ELNS1_11target_archE906ELNS1_3gpuE6ELNS1_3repE0EEENS1_30default_config_static_selectorELNS0_4arch9wavefront6targetE1EEEvT1_.has_recursion, 0
	.set _ZN7rocprim17ROCPRIM_400000_NS6detail17trampoline_kernelINS0_14default_configENS1_25partition_config_selectorILNS1_17partition_subalgoE9EllbEEZZNS1_14partition_implILS5_9ELb0ES3_jPlS8_PNS0_10empty_typeENS0_5tupleIJS8_S9_EEENSB_IJS8_SA_EEENS0_18inequality_wrapperIZN2at6native12_GLOBAL__N_124unique_dim_cuda_templateIN3c108BFloat16EEESt5tupleIJNSF_6TensorESM_SM_EERKSM_lbbbEUlllE0_EEPmJS9_EEE10hipError_tPvRmT3_T4_T5_T6_T7_T9_mT8_P12ihipStream_tbDpT10_ENKUlT_T0_E_clISt17integral_constantIbLb1EES1C_EEDaS17_S18_EUlS17_E_NS1_11comp_targetILNS1_3genE2ELNS1_11target_archE906ELNS1_3gpuE6ELNS1_3repE0EEENS1_30default_config_static_selectorELNS0_4arch9wavefront6targetE1EEEvT1_.has_indirect_call, 0
	.section	.AMDGPU.csdata,"",@progbits
; Kernel info:
; codeLenInByte = 0
; TotalNumSgprs: 6
; NumVgprs: 0
; NumAgprs: 0
; TotalNumVgprs: 0
; ScratchSize: 0
; MemoryBound: 0
; FloatMode: 240
; IeeeMode: 1
; LDSByteSize: 0 bytes/workgroup (compile time only)
; SGPRBlocks: 0
; VGPRBlocks: 0
; NumSGPRsForWavesPerEU: 6
; NumVGPRsForWavesPerEU: 1
; AccumOffset: 4
; Occupancy: 8
; WaveLimiterHint : 0
; COMPUTE_PGM_RSRC2:SCRATCH_EN: 0
; COMPUTE_PGM_RSRC2:USER_SGPR: 2
; COMPUTE_PGM_RSRC2:TRAP_HANDLER: 0
; COMPUTE_PGM_RSRC2:TGID_X_EN: 1
; COMPUTE_PGM_RSRC2:TGID_Y_EN: 0
; COMPUTE_PGM_RSRC2:TGID_Z_EN: 0
; COMPUTE_PGM_RSRC2:TIDIG_COMP_CNT: 0
; COMPUTE_PGM_RSRC3_GFX90A:ACCUM_OFFSET: 0
; COMPUTE_PGM_RSRC3_GFX90A:TG_SPLIT: 0
	.section	.text._ZN7rocprim17ROCPRIM_400000_NS6detail17trampoline_kernelINS0_14default_configENS1_25partition_config_selectorILNS1_17partition_subalgoE9EllbEEZZNS1_14partition_implILS5_9ELb0ES3_jPlS8_PNS0_10empty_typeENS0_5tupleIJS8_S9_EEENSB_IJS8_SA_EEENS0_18inequality_wrapperIZN2at6native12_GLOBAL__N_124unique_dim_cuda_templateIN3c108BFloat16EEESt5tupleIJNSF_6TensorESM_SM_EERKSM_lbbbEUlllE0_EEPmJS9_EEE10hipError_tPvRmT3_T4_T5_T6_T7_T9_mT8_P12ihipStream_tbDpT10_ENKUlT_T0_E_clISt17integral_constantIbLb1EES1C_EEDaS17_S18_EUlS17_E_NS1_11comp_targetILNS1_3genE10ELNS1_11target_archE1200ELNS1_3gpuE4ELNS1_3repE0EEENS1_30default_config_static_selectorELNS0_4arch9wavefront6targetE1EEEvT1_,"axG",@progbits,_ZN7rocprim17ROCPRIM_400000_NS6detail17trampoline_kernelINS0_14default_configENS1_25partition_config_selectorILNS1_17partition_subalgoE9EllbEEZZNS1_14partition_implILS5_9ELb0ES3_jPlS8_PNS0_10empty_typeENS0_5tupleIJS8_S9_EEENSB_IJS8_SA_EEENS0_18inequality_wrapperIZN2at6native12_GLOBAL__N_124unique_dim_cuda_templateIN3c108BFloat16EEESt5tupleIJNSF_6TensorESM_SM_EERKSM_lbbbEUlllE0_EEPmJS9_EEE10hipError_tPvRmT3_T4_T5_T6_T7_T9_mT8_P12ihipStream_tbDpT10_ENKUlT_T0_E_clISt17integral_constantIbLb1EES1C_EEDaS17_S18_EUlS17_E_NS1_11comp_targetILNS1_3genE10ELNS1_11target_archE1200ELNS1_3gpuE4ELNS1_3repE0EEENS1_30default_config_static_selectorELNS0_4arch9wavefront6targetE1EEEvT1_,comdat
	.globl	_ZN7rocprim17ROCPRIM_400000_NS6detail17trampoline_kernelINS0_14default_configENS1_25partition_config_selectorILNS1_17partition_subalgoE9EllbEEZZNS1_14partition_implILS5_9ELb0ES3_jPlS8_PNS0_10empty_typeENS0_5tupleIJS8_S9_EEENSB_IJS8_SA_EEENS0_18inequality_wrapperIZN2at6native12_GLOBAL__N_124unique_dim_cuda_templateIN3c108BFloat16EEESt5tupleIJNSF_6TensorESM_SM_EERKSM_lbbbEUlllE0_EEPmJS9_EEE10hipError_tPvRmT3_T4_T5_T6_T7_T9_mT8_P12ihipStream_tbDpT10_ENKUlT_T0_E_clISt17integral_constantIbLb1EES1C_EEDaS17_S18_EUlS17_E_NS1_11comp_targetILNS1_3genE10ELNS1_11target_archE1200ELNS1_3gpuE4ELNS1_3repE0EEENS1_30default_config_static_selectorELNS0_4arch9wavefront6targetE1EEEvT1_ ; -- Begin function _ZN7rocprim17ROCPRIM_400000_NS6detail17trampoline_kernelINS0_14default_configENS1_25partition_config_selectorILNS1_17partition_subalgoE9EllbEEZZNS1_14partition_implILS5_9ELb0ES3_jPlS8_PNS0_10empty_typeENS0_5tupleIJS8_S9_EEENSB_IJS8_SA_EEENS0_18inequality_wrapperIZN2at6native12_GLOBAL__N_124unique_dim_cuda_templateIN3c108BFloat16EEESt5tupleIJNSF_6TensorESM_SM_EERKSM_lbbbEUlllE0_EEPmJS9_EEE10hipError_tPvRmT3_T4_T5_T6_T7_T9_mT8_P12ihipStream_tbDpT10_ENKUlT_T0_E_clISt17integral_constantIbLb1EES1C_EEDaS17_S18_EUlS17_E_NS1_11comp_targetILNS1_3genE10ELNS1_11target_archE1200ELNS1_3gpuE4ELNS1_3repE0EEENS1_30default_config_static_selectorELNS0_4arch9wavefront6targetE1EEEvT1_
	.p2align	8
	.type	_ZN7rocprim17ROCPRIM_400000_NS6detail17trampoline_kernelINS0_14default_configENS1_25partition_config_selectorILNS1_17partition_subalgoE9EllbEEZZNS1_14partition_implILS5_9ELb0ES3_jPlS8_PNS0_10empty_typeENS0_5tupleIJS8_S9_EEENSB_IJS8_SA_EEENS0_18inequality_wrapperIZN2at6native12_GLOBAL__N_124unique_dim_cuda_templateIN3c108BFloat16EEESt5tupleIJNSF_6TensorESM_SM_EERKSM_lbbbEUlllE0_EEPmJS9_EEE10hipError_tPvRmT3_T4_T5_T6_T7_T9_mT8_P12ihipStream_tbDpT10_ENKUlT_T0_E_clISt17integral_constantIbLb1EES1C_EEDaS17_S18_EUlS17_E_NS1_11comp_targetILNS1_3genE10ELNS1_11target_archE1200ELNS1_3gpuE4ELNS1_3repE0EEENS1_30default_config_static_selectorELNS0_4arch9wavefront6targetE1EEEvT1_,@function
_ZN7rocprim17ROCPRIM_400000_NS6detail17trampoline_kernelINS0_14default_configENS1_25partition_config_selectorILNS1_17partition_subalgoE9EllbEEZZNS1_14partition_implILS5_9ELb0ES3_jPlS8_PNS0_10empty_typeENS0_5tupleIJS8_S9_EEENSB_IJS8_SA_EEENS0_18inequality_wrapperIZN2at6native12_GLOBAL__N_124unique_dim_cuda_templateIN3c108BFloat16EEESt5tupleIJNSF_6TensorESM_SM_EERKSM_lbbbEUlllE0_EEPmJS9_EEE10hipError_tPvRmT3_T4_T5_T6_T7_T9_mT8_P12ihipStream_tbDpT10_ENKUlT_T0_E_clISt17integral_constantIbLb1EES1C_EEDaS17_S18_EUlS17_E_NS1_11comp_targetILNS1_3genE10ELNS1_11target_archE1200ELNS1_3gpuE4ELNS1_3repE0EEENS1_30default_config_static_selectorELNS0_4arch9wavefront6targetE1EEEvT1_: ; @_ZN7rocprim17ROCPRIM_400000_NS6detail17trampoline_kernelINS0_14default_configENS1_25partition_config_selectorILNS1_17partition_subalgoE9EllbEEZZNS1_14partition_implILS5_9ELb0ES3_jPlS8_PNS0_10empty_typeENS0_5tupleIJS8_S9_EEENSB_IJS8_SA_EEENS0_18inequality_wrapperIZN2at6native12_GLOBAL__N_124unique_dim_cuda_templateIN3c108BFloat16EEESt5tupleIJNSF_6TensorESM_SM_EERKSM_lbbbEUlllE0_EEPmJS9_EEE10hipError_tPvRmT3_T4_T5_T6_T7_T9_mT8_P12ihipStream_tbDpT10_ENKUlT_T0_E_clISt17integral_constantIbLb1EES1C_EEDaS17_S18_EUlS17_E_NS1_11comp_targetILNS1_3genE10ELNS1_11target_archE1200ELNS1_3gpuE4ELNS1_3repE0EEENS1_30default_config_static_selectorELNS0_4arch9wavefront6targetE1EEEvT1_
; %bb.0:
	.section	.rodata,"a",@progbits
	.p2align	6, 0x0
	.amdhsa_kernel _ZN7rocprim17ROCPRIM_400000_NS6detail17trampoline_kernelINS0_14default_configENS1_25partition_config_selectorILNS1_17partition_subalgoE9EllbEEZZNS1_14partition_implILS5_9ELb0ES3_jPlS8_PNS0_10empty_typeENS0_5tupleIJS8_S9_EEENSB_IJS8_SA_EEENS0_18inequality_wrapperIZN2at6native12_GLOBAL__N_124unique_dim_cuda_templateIN3c108BFloat16EEESt5tupleIJNSF_6TensorESM_SM_EERKSM_lbbbEUlllE0_EEPmJS9_EEE10hipError_tPvRmT3_T4_T5_T6_T7_T9_mT8_P12ihipStream_tbDpT10_ENKUlT_T0_E_clISt17integral_constantIbLb1EES1C_EEDaS17_S18_EUlS17_E_NS1_11comp_targetILNS1_3genE10ELNS1_11target_archE1200ELNS1_3gpuE4ELNS1_3repE0EEENS1_30default_config_static_selectorELNS0_4arch9wavefront6targetE1EEEvT1_
		.amdhsa_group_segment_fixed_size 0
		.amdhsa_private_segment_fixed_size 0
		.amdhsa_kernarg_size 136
		.amdhsa_user_sgpr_count 2
		.amdhsa_user_sgpr_dispatch_ptr 0
		.amdhsa_user_sgpr_queue_ptr 0
		.amdhsa_user_sgpr_kernarg_segment_ptr 1
		.amdhsa_user_sgpr_dispatch_id 0
		.amdhsa_user_sgpr_kernarg_preload_length 0
		.amdhsa_user_sgpr_kernarg_preload_offset 0
		.amdhsa_user_sgpr_private_segment_size 0
		.amdhsa_uses_dynamic_stack 0
		.amdhsa_enable_private_segment 0
		.amdhsa_system_sgpr_workgroup_id_x 1
		.amdhsa_system_sgpr_workgroup_id_y 0
		.amdhsa_system_sgpr_workgroup_id_z 0
		.amdhsa_system_sgpr_workgroup_info 0
		.amdhsa_system_vgpr_workitem_id 0
		.amdhsa_next_free_vgpr 1
		.amdhsa_next_free_sgpr 0
		.amdhsa_accum_offset 4
		.amdhsa_reserve_vcc 0
		.amdhsa_float_round_mode_32 0
		.amdhsa_float_round_mode_16_64 0
		.amdhsa_float_denorm_mode_32 3
		.amdhsa_float_denorm_mode_16_64 3
		.amdhsa_dx10_clamp 1
		.amdhsa_ieee_mode 1
		.amdhsa_fp16_overflow 0
		.amdhsa_tg_split 0
		.amdhsa_exception_fp_ieee_invalid_op 0
		.amdhsa_exception_fp_denorm_src 0
		.amdhsa_exception_fp_ieee_div_zero 0
		.amdhsa_exception_fp_ieee_overflow 0
		.amdhsa_exception_fp_ieee_underflow 0
		.amdhsa_exception_fp_ieee_inexact 0
		.amdhsa_exception_int_div_zero 0
	.end_amdhsa_kernel
	.section	.text._ZN7rocprim17ROCPRIM_400000_NS6detail17trampoline_kernelINS0_14default_configENS1_25partition_config_selectorILNS1_17partition_subalgoE9EllbEEZZNS1_14partition_implILS5_9ELb0ES3_jPlS8_PNS0_10empty_typeENS0_5tupleIJS8_S9_EEENSB_IJS8_SA_EEENS0_18inequality_wrapperIZN2at6native12_GLOBAL__N_124unique_dim_cuda_templateIN3c108BFloat16EEESt5tupleIJNSF_6TensorESM_SM_EERKSM_lbbbEUlllE0_EEPmJS9_EEE10hipError_tPvRmT3_T4_T5_T6_T7_T9_mT8_P12ihipStream_tbDpT10_ENKUlT_T0_E_clISt17integral_constantIbLb1EES1C_EEDaS17_S18_EUlS17_E_NS1_11comp_targetILNS1_3genE10ELNS1_11target_archE1200ELNS1_3gpuE4ELNS1_3repE0EEENS1_30default_config_static_selectorELNS0_4arch9wavefront6targetE1EEEvT1_,"axG",@progbits,_ZN7rocprim17ROCPRIM_400000_NS6detail17trampoline_kernelINS0_14default_configENS1_25partition_config_selectorILNS1_17partition_subalgoE9EllbEEZZNS1_14partition_implILS5_9ELb0ES3_jPlS8_PNS0_10empty_typeENS0_5tupleIJS8_S9_EEENSB_IJS8_SA_EEENS0_18inequality_wrapperIZN2at6native12_GLOBAL__N_124unique_dim_cuda_templateIN3c108BFloat16EEESt5tupleIJNSF_6TensorESM_SM_EERKSM_lbbbEUlllE0_EEPmJS9_EEE10hipError_tPvRmT3_T4_T5_T6_T7_T9_mT8_P12ihipStream_tbDpT10_ENKUlT_T0_E_clISt17integral_constantIbLb1EES1C_EEDaS17_S18_EUlS17_E_NS1_11comp_targetILNS1_3genE10ELNS1_11target_archE1200ELNS1_3gpuE4ELNS1_3repE0EEENS1_30default_config_static_selectorELNS0_4arch9wavefront6targetE1EEEvT1_,comdat
.Lfunc_end1219:
	.size	_ZN7rocprim17ROCPRIM_400000_NS6detail17trampoline_kernelINS0_14default_configENS1_25partition_config_selectorILNS1_17partition_subalgoE9EllbEEZZNS1_14partition_implILS5_9ELb0ES3_jPlS8_PNS0_10empty_typeENS0_5tupleIJS8_S9_EEENSB_IJS8_SA_EEENS0_18inequality_wrapperIZN2at6native12_GLOBAL__N_124unique_dim_cuda_templateIN3c108BFloat16EEESt5tupleIJNSF_6TensorESM_SM_EERKSM_lbbbEUlllE0_EEPmJS9_EEE10hipError_tPvRmT3_T4_T5_T6_T7_T9_mT8_P12ihipStream_tbDpT10_ENKUlT_T0_E_clISt17integral_constantIbLb1EES1C_EEDaS17_S18_EUlS17_E_NS1_11comp_targetILNS1_3genE10ELNS1_11target_archE1200ELNS1_3gpuE4ELNS1_3repE0EEENS1_30default_config_static_selectorELNS0_4arch9wavefront6targetE1EEEvT1_, .Lfunc_end1219-_ZN7rocprim17ROCPRIM_400000_NS6detail17trampoline_kernelINS0_14default_configENS1_25partition_config_selectorILNS1_17partition_subalgoE9EllbEEZZNS1_14partition_implILS5_9ELb0ES3_jPlS8_PNS0_10empty_typeENS0_5tupleIJS8_S9_EEENSB_IJS8_SA_EEENS0_18inequality_wrapperIZN2at6native12_GLOBAL__N_124unique_dim_cuda_templateIN3c108BFloat16EEESt5tupleIJNSF_6TensorESM_SM_EERKSM_lbbbEUlllE0_EEPmJS9_EEE10hipError_tPvRmT3_T4_T5_T6_T7_T9_mT8_P12ihipStream_tbDpT10_ENKUlT_T0_E_clISt17integral_constantIbLb1EES1C_EEDaS17_S18_EUlS17_E_NS1_11comp_targetILNS1_3genE10ELNS1_11target_archE1200ELNS1_3gpuE4ELNS1_3repE0EEENS1_30default_config_static_selectorELNS0_4arch9wavefront6targetE1EEEvT1_
                                        ; -- End function
	.set _ZN7rocprim17ROCPRIM_400000_NS6detail17trampoline_kernelINS0_14default_configENS1_25partition_config_selectorILNS1_17partition_subalgoE9EllbEEZZNS1_14partition_implILS5_9ELb0ES3_jPlS8_PNS0_10empty_typeENS0_5tupleIJS8_S9_EEENSB_IJS8_SA_EEENS0_18inequality_wrapperIZN2at6native12_GLOBAL__N_124unique_dim_cuda_templateIN3c108BFloat16EEESt5tupleIJNSF_6TensorESM_SM_EERKSM_lbbbEUlllE0_EEPmJS9_EEE10hipError_tPvRmT3_T4_T5_T6_T7_T9_mT8_P12ihipStream_tbDpT10_ENKUlT_T0_E_clISt17integral_constantIbLb1EES1C_EEDaS17_S18_EUlS17_E_NS1_11comp_targetILNS1_3genE10ELNS1_11target_archE1200ELNS1_3gpuE4ELNS1_3repE0EEENS1_30default_config_static_selectorELNS0_4arch9wavefront6targetE1EEEvT1_.num_vgpr, 0
	.set _ZN7rocprim17ROCPRIM_400000_NS6detail17trampoline_kernelINS0_14default_configENS1_25partition_config_selectorILNS1_17partition_subalgoE9EllbEEZZNS1_14partition_implILS5_9ELb0ES3_jPlS8_PNS0_10empty_typeENS0_5tupleIJS8_S9_EEENSB_IJS8_SA_EEENS0_18inequality_wrapperIZN2at6native12_GLOBAL__N_124unique_dim_cuda_templateIN3c108BFloat16EEESt5tupleIJNSF_6TensorESM_SM_EERKSM_lbbbEUlllE0_EEPmJS9_EEE10hipError_tPvRmT3_T4_T5_T6_T7_T9_mT8_P12ihipStream_tbDpT10_ENKUlT_T0_E_clISt17integral_constantIbLb1EES1C_EEDaS17_S18_EUlS17_E_NS1_11comp_targetILNS1_3genE10ELNS1_11target_archE1200ELNS1_3gpuE4ELNS1_3repE0EEENS1_30default_config_static_selectorELNS0_4arch9wavefront6targetE1EEEvT1_.num_agpr, 0
	.set _ZN7rocprim17ROCPRIM_400000_NS6detail17trampoline_kernelINS0_14default_configENS1_25partition_config_selectorILNS1_17partition_subalgoE9EllbEEZZNS1_14partition_implILS5_9ELb0ES3_jPlS8_PNS0_10empty_typeENS0_5tupleIJS8_S9_EEENSB_IJS8_SA_EEENS0_18inequality_wrapperIZN2at6native12_GLOBAL__N_124unique_dim_cuda_templateIN3c108BFloat16EEESt5tupleIJNSF_6TensorESM_SM_EERKSM_lbbbEUlllE0_EEPmJS9_EEE10hipError_tPvRmT3_T4_T5_T6_T7_T9_mT8_P12ihipStream_tbDpT10_ENKUlT_T0_E_clISt17integral_constantIbLb1EES1C_EEDaS17_S18_EUlS17_E_NS1_11comp_targetILNS1_3genE10ELNS1_11target_archE1200ELNS1_3gpuE4ELNS1_3repE0EEENS1_30default_config_static_selectorELNS0_4arch9wavefront6targetE1EEEvT1_.numbered_sgpr, 0
	.set _ZN7rocprim17ROCPRIM_400000_NS6detail17trampoline_kernelINS0_14default_configENS1_25partition_config_selectorILNS1_17partition_subalgoE9EllbEEZZNS1_14partition_implILS5_9ELb0ES3_jPlS8_PNS0_10empty_typeENS0_5tupleIJS8_S9_EEENSB_IJS8_SA_EEENS0_18inequality_wrapperIZN2at6native12_GLOBAL__N_124unique_dim_cuda_templateIN3c108BFloat16EEESt5tupleIJNSF_6TensorESM_SM_EERKSM_lbbbEUlllE0_EEPmJS9_EEE10hipError_tPvRmT3_T4_T5_T6_T7_T9_mT8_P12ihipStream_tbDpT10_ENKUlT_T0_E_clISt17integral_constantIbLb1EES1C_EEDaS17_S18_EUlS17_E_NS1_11comp_targetILNS1_3genE10ELNS1_11target_archE1200ELNS1_3gpuE4ELNS1_3repE0EEENS1_30default_config_static_selectorELNS0_4arch9wavefront6targetE1EEEvT1_.num_named_barrier, 0
	.set _ZN7rocprim17ROCPRIM_400000_NS6detail17trampoline_kernelINS0_14default_configENS1_25partition_config_selectorILNS1_17partition_subalgoE9EllbEEZZNS1_14partition_implILS5_9ELb0ES3_jPlS8_PNS0_10empty_typeENS0_5tupleIJS8_S9_EEENSB_IJS8_SA_EEENS0_18inequality_wrapperIZN2at6native12_GLOBAL__N_124unique_dim_cuda_templateIN3c108BFloat16EEESt5tupleIJNSF_6TensorESM_SM_EERKSM_lbbbEUlllE0_EEPmJS9_EEE10hipError_tPvRmT3_T4_T5_T6_T7_T9_mT8_P12ihipStream_tbDpT10_ENKUlT_T0_E_clISt17integral_constantIbLb1EES1C_EEDaS17_S18_EUlS17_E_NS1_11comp_targetILNS1_3genE10ELNS1_11target_archE1200ELNS1_3gpuE4ELNS1_3repE0EEENS1_30default_config_static_selectorELNS0_4arch9wavefront6targetE1EEEvT1_.private_seg_size, 0
	.set _ZN7rocprim17ROCPRIM_400000_NS6detail17trampoline_kernelINS0_14default_configENS1_25partition_config_selectorILNS1_17partition_subalgoE9EllbEEZZNS1_14partition_implILS5_9ELb0ES3_jPlS8_PNS0_10empty_typeENS0_5tupleIJS8_S9_EEENSB_IJS8_SA_EEENS0_18inequality_wrapperIZN2at6native12_GLOBAL__N_124unique_dim_cuda_templateIN3c108BFloat16EEESt5tupleIJNSF_6TensorESM_SM_EERKSM_lbbbEUlllE0_EEPmJS9_EEE10hipError_tPvRmT3_T4_T5_T6_T7_T9_mT8_P12ihipStream_tbDpT10_ENKUlT_T0_E_clISt17integral_constantIbLb1EES1C_EEDaS17_S18_EUlS17_E_NS1_11comp_targetILNS1_3genE10ELNS1_11target_archE1200ELNS1_3gpuE4ELNS1_3repE0EEENS1_30default_config_static_selectorELNS0_4arch9wavefront6targetE1EEEvT1_.uses_vcc, 0
	.set _ZN7rocprim17ROCPRIM_400000_NS6detail17trampoline_kernelINS0_14default_configENS1_25partition_config_selectorILNS1_17partition_subalgoE9EllbEEZZNS1_14partition_implILS5_9ELb0ES3_jPlS8_PNS0_10empty_typeENS0_5tupleIJS8_S9_EEENSB_IJS8_SA_EEENS0_18inequality_wrapperIZN2at6native12_GLOBAL__N_124unique_dim_cuda_templateIN3c108BFloat16EEESt5tupleIJNSF_6TensorESM_SM_EERKSM_lbbbEUlllE0_EEPmJS9_EEE10hipError_tPvRmT3_T4_T5_T6_T7_T9_mT8_P12ihipStream_tbDpT10_ENKUlT_T0_E_clISt17integral_constantIbLb1EES1C_EEDaS17_S18_EUlS17_E_NS1_11comp_targetILNS1_3genE10ELNS1_11target_archE1200ELNS1_3gpuE4ELNS1_3repE0EEENS1_30default_config_static_selectorELNS0_4arch9wavefront6targetE1EEEvT1_.uses_flat_scratch, 0
	.set _ZN7rocprim17ROCPRIM_400000_NS6detail17trampoline_kernelINS0_14default_configENS1_25partition_config_selectorILNS1_17partition_subalgoE9EllbEEZZNS1_14partition_implILS5_9ELb0ES3_jPlS8_PNS0_10empty_typeENS0_5tupleIJS8_S9_EEENSB_IJS8_SA_EEENS0_18inequality_wrapperIZN2at6native12_GLOBAL__N_124unique_dim_cuda_templateIN3c108BFloat16EEESt5tupleIJNSF_6TensorESM_SM_EERKSM_lbbbEUlllE0_EEPmJS9_EEE10hipError_tPvRmT3_T4_T5_T6_T7_T9_mT8_P12ihipStream_tbDpT10_ENKUlT_T0_E_clISt17integral_constantIbLb1EES1C_EEDaS17_S18_EUlS17_E_NS1_11comp_targetILNS1_3genE10ELNS1_11target_archE1200ELNS1_3gpuE4ELNS1_3repE0EEENS1_30default_config_static_selectorELNS0_4arch9wavefront6targetE1EEEvT1_.has_dyn_sized_stack, 0
	.set _ZN7rocprim17ROCPRIM_400000_NS6detail17trampoline_kernelINS0_14default_configENS1_25partition_config_selectorILNS1_17partition_subalgoE9EllbEEZZNS1_14partition_implILS5_9ELb0ES3_jPlS8_PNS0_10empty_typeENS0_5tupleIJS8_S9_EEENSB_IJS8_SA_EEENS0_18inequality_wrapperIZN2at6native12_GLOBAL__N_124unique_dim_cuda_templateIN3c108BFloat16EEESt5tupleIJNSF_6TensorESM_SM_EERKSM_lbbbEUlllE0_EEPmJS9_EEE10hipError_tPvRmT3_T4_T5_T6_T7_T9_mT8_P12ihipStream_tbDpT10_ENKUlT_T0_E_clISt17integral_constantIbLb1EES1C_EEDaS17_S18_EUlS17_E_NS1_11comp_targetILNS1_3genE10ELNS1_11target_archE1200ELNS1_3gpuE4ELNS1_3repE0EEENS1_30default_config_static_selectorELNS0_4arch9wavefront6targetE1EEEvT1_.has_recursion, 0
	.set _ZN7rocprim17ROCPRIM_400000_NS6detail17trampoline_kernelINS0_14default_configENS1_25partition_config_selectorILNS1_17partition_subalgoE9EllbEEZZNS1_14partition_implILS5_9ELb0ES3_jPlS8_PNS0_10empty_typeENS0_5tupleIJS8_S9_EEENSB_IJS8_SA_EEENS0_18inequality_wrapperIZN2at6native12_GLOBAL__N_124unique_dim_cuda_templateIN3c108BFloat16EEESt5tupleIJNSF_6TensorESM_SM_EERKSM_lbbbEUlllE0_EEPmJS9_EEE10hipError_tPvRmT3_T4_T5_T6_T7_T9_mT8_P12ihipStream_tbDpT10_ENKUlT_T0_E_clISt17integral_constantIbLb1EES1C_EEDaS17_S18_EUlS17_E_NS1_11comp_targetILNS1_3genE10ELNS1_11target_archE1200ELNS1_3gpuE4ELNS1_3repE0EEENS1_30default_config_static_selectorELNS0_4arch9wavefront6targetE1EEEvT1_.has_indirect_call, 0
	.section	.AMDGPU.csdata,"",@progbits
; Kernel info:
; codeLenInByte = 0
; TotalNumSgprs: 6
; NumVgprs: 0
; NumAgprs: 0
; TotalNumVgprs: 0
; ScratchSize: 0
; MemoryBound: 0
; FloatMode: 240
; IeeeMode: 1
; LDSByteSize: 0 bytes/workgroup (compile time only)
; SGPRBlocks: 0
; VGPRBlocks: 0
; NumSGPRsForWavesPerEU: 6
; NumVGPRsForWavesPerEU: 1
; AccumOffset: 4
; Occupancy: 8
; WaveLimiterHint : 0
; COMPUTE_PGM_RSRC2:SCRATCH_EN: 0
; COMPUTE_PGM_RSRC2:USER_SGPR: 2
; COMPUTE_PGM_RSRC2:TRAP_HANDLER: 0
; COMPUTE_PGM_RSRC2:TGID_X_EN: 1
; COMPUTE_PGM_RSRC2:TGID_Y_EN: 0
; COMPUTE_PGM_RSRC2:TGID_Z_EN: 0
; COMPUTE_PGM_RSRC2:TIDIG_COMP_CNT: 0
; COMPUTE_PGM_RSRC3_GFX90A:ACCUM_OFFSET: 0
; COMPUTE_PGM_RSRC3_GFX90A:TG_SPLIT: 0
	.section	.text._ZN7rocprim17ROCPRIM_400000_NS6detail17trampoline_kernelINS0_14default_configENS1_25partition_config_selectorILNS1_17partition_subalgoE9EllbEEZZNS1_14partition_implILS5_9ELb0ES3_jPlS8_PNS0_10empty_typeENS0_5tupleIJS8_S9_EEENSB_IJS8_SA_EEENS0_18inequality_wrapperIZN2at6native12_GLOBAL__N_124unique_dim_cuda_templateIN3c108BFloat16EEESt5tupleIJNSF_6TensorESM_SM_EERKSM_lbbbEUlllE0_EEPmJS9_EEE10hipError_tPvRmT3_T4_T5_T6_T7_T9_mT8_P12ihipStream_tbDpT10_ENKUlT_T0_E_clISt17integral_constantIbLb1EES1C_EEDaS17_S18_EUlS17_E_NS1_11comp_targetILNS1_3genE9ELNS1_11target_archE1100ELNS1_3gpuE3ELNS1_3repE0EEENS1_30default_config_static_selectorELNS0_4arch9wavefront6targetE1EEEvT1_,"axG",@progbits,_ZN7rocprim17ROCPRIM_400000_NS6detail17trampoline_kernelINS0_14default_configENS1_25partition_config_selectorILNS1_17partition_subalgoE9EllbEEZZNS1_14partition_implILS5_9ELb0ES3_jPlS8_PNS0_10empty_typeENS0_5tupleIJS8_S9_EEENSB_IJS8_SA_EEENS0_18inequality_wrapperIZN2at6native12_GLOBAL__N_124unique_dim_cuda_templateIN3c108BFloat16EEESt5tupleIJNSF_6TensorESM_SM_EERKSM_lbbbEUlllE0_EEPmJS9_EEE10hipError_tPvRmT3_T4_T5_T6_T7_T9_mT8_P12ihipStream_tbDpT10_ENKUlT_T0_E_clISt17integral_constantIbLb1EES1C_EEDaS17_S18_EUlS17_E_NS1_11comp_targetILNS1_3genE9ELNS1_11target_archE1100ELNS1_3gpuE3ELNS1_3repE0EEENS1_30default_config_static_selectorELNS0_4arch9wavefront6targetE1EEEvT1_,comdat
	.globl	_ZN7rocprim17ROCPRIM_400000_NS6detail17trampoline_kernelINS0_14default_configENS1_25partition_config_selectorILNS1_17partition_subalgoE9EllbEEZZNS1_14partition_implILS5_9ELb0ES3_jPlS8_PNS0_10empty_typeENS0_5tupleIJS8_S9_EEENSB_IJS8_SA_EEENS0_18inequality_wrapperIZN2at6native12_GLOBAL__N_124unique_dim_cuda_templateIN3c108BFloat16EEESt5tupleIJNSF_6TensorESM_SM_EERKSM_lbbbEUlllE0_EEPmJS9_EEE10hipError_tPvRmT3_T4_T5_T6_T7_T9_mT8_P12ihipStream_tbDpT10_ENKUlT_T0_E_clISt17integral_constantIbLb1EES1C_EEDaS17_S18_EUlS17_E_NS1_11comp_targetILNS1_3genE9ELNS1_11target_archE1100ELNS1_3gpuE3ELNS1_3repE0EEENS1_30default_config_static_selectorELNS0_4arch9wavefront6targetE1EEEvT1_ ; -- Begin function _ZN7rocprim17ROCPRIM_400000_NS6detail17trampoline_kernelINS0_14default_configENS1_25partition_config_selectorILNS1_17partition_subalgoE9EllbEEZZNS1_14partition_implILS5_9ELb0ES3_jPlS8_PNS0_10empty_typeENS0_5tupleIJS8_S9_EEENSB_IJS8_SA_EEENS0_18inequality_wrapperIZN2at6native12_GLOBAL__N_124unique_dim_cuda_templateIN3c108BFloat16EEESt5tupleIJNSF_6TensorESM_SM_EERKSM_lbbbEUlllE0_EEPmJS9_EEE10hipError_tPvRmT3_T4_T5_T6_T7_T9_mT8_P12ihipStream_tbDpT10_ENKUlT_T0_E_clISt17integral_constantIbLb1EES1C_EEDaS17_S18_EUlS17_E_NS1_11comp_targetILNS1_3genE9ELNS1_11target_archE1100ELNS1_3gpuE3ELNS1_3repE0EEENS1_30default_config_static_selectorELNS0_4arch9wavefront6targetE1EEEvT1_
	.p2align	8
	.type	_ZN7rocprim17ROCPRIM_400000_NS6detail17trampoline_kernelINS0_14default_configENS1_25partition_config_selectorILNS1_17partition_subalgoE9EllbEEZZNS1_14partition_implILS5_9ELb0ES3_jPlS8_PNS0_10empty_typeENS0_5tupleIJS8_S9_EEENSB_IJS8_SA_EEENS0_18inequality_wrapperIZN2at6native12_GLOBAL__N_124unique_dim_cuda_templateIN3c108BFloat16EEESt5tupleIJNSF_6TensorESM_SM_EERKSM_lbbbEUlllE0_EEPmJS9_EEE10hipError_tPvRmT3_T4_T5_T6_T7_T9_mT8_P12ihipStream_tbDpT10_ENKUlT_T0_E_clISt17integral_constantIbLb1EES1C_EEDaS17_S18_EUlS17_E_NS1_11comp_targetILNS1_3genE9ELNS1_11target_archE1100ELNS1_3gpuE3ELNS1_3repE0EEENS1_30default_config_static_selectorELNS0_4arch9wavefront6targetE1EEEvT1_,@function
_ZN7rocprim17ROCPRIM_400000_NS6detail17trampoline_kernelINS0_14default_configENS1_25partition_config_selectorILNS1_17partition_subalgoE9EllbEEZZNS1_14partition_implILS5_9ELb0ES3_jPlS8_PNS0_10empty_typeENS0_5tupleIJS8_S9_EEENSB_IJS8_SA_EEENS0_18inequality_wrapperIZN2at6native12_GLOBAL__N_124unique_dim_cuda_templateIN3c108BFloat16EEESt5tupleIJNSF_6TensorESM_SM_EERKSM_lbbbEUlllE0_EEPmJS9_EEE10hipError_tPvRmT3_T4_T5_T6_T7_T9_mT8_P12ihipStream_tbDpT10_ENKUlT_T0_E_clISt17integral_constantIbLb1EES1C_EEDaS17_S18_EUlS17_E_NS1_11comp_targetILNS1_3genE9ELNS1_11target_archE1100ELNS1_3gpuE3ELNS1_3repE0EEENS1_30default_config_static_selectorELNS0_4arch9wavefront6targetE1EEEvT1_: ; @_ZN7rocprim17ROCPRIM_400000_NS6detail17trampoline_kernelINS0_14default_configENS1_25partition_config_selectorILNS1_17partition_subalgoE9EllbEEZZNS1_14partition_implILS5_9ELb0ES3_jPlS8_PNS0_10empty_typeENS0_5tupleIJS8_S9_EEENSB_IJS8_SA_EEENS0_18inequality_wrapperIZN2at6native12_GLOBAL__N_124unique_dim_cuda_templateIN3c108BFloat16EEESt5tupleIJNSF_6TensorESM_SM_EERKSM_lbbbEUlllE0_EEPmJS9_EEE10hipError_tPvRmT3_T4_T5_T6_T7_T9_mT8_P12ihipStream_tbDpT10_ENKUlT_T0_E_clISt17integral_constantIbLb1EES1C_EEDaS17_S18_EUlS17_E_NS1_11comp_targetILNS1_3genE9ELNS1_11target_archE1100ELNS1_3gpuE3ELNS1_3repE0EEENS1_30default_config_static_selectorELNS0_4arch9wavefront6targetE1EEEvT1_
; %bb.0:
	.section	.rodata,"a",@progbits
	.p2align	6, 0x0
	.amdhsa_kernel _ZN7rocprim17ROCPRIM_400000_NS6detail17trampoline_kernelINS0_14default_configENS1_25partition_config_selectorILNS1_17partition_subalgoE9EllbEEZZNS1_14partition_implILS5_9ELb0ES3_jPlS8_PNS0_10empty_typeENS0_5tupleIJS8_S9_EEENSB_IJS8_SA_EEENS0_18inequality_wrapperIZN2at6native12_GLOBAL__N_124unique_dim_cuda_templateIN3c108BFloat16EEESt5tupleIJNSF_6TensorESM_SM_EERKSM_lbbbEUlllE0_EEPmJS9_EEE10hipError_tPvRmT3_T4_T5_T6_T7_T9_mT8_P12ihipStream_tbDpT10_ENKUlT_T0_E_clISt17integral_constantIbLb1EES1C_EEDaS17_S18_EUlS17_E_NS1_11comp_targetILNS1_3genE9ELNS1_11target_archE1100ELNS1_3gpuE3ELNS1_3repE0EEENS1_30default_config_static_selectorELNS0_4arch9wavefront6targetE1EEEvT1_
		.amdhsa_group_segment_fixed_size 0
		.amdhsa_private_segment_fixed_size 0
		.amdhsa_kernarg_size 136
		.amdhsa_user_sgpr_count 2
		.amdhsa_user_sgpr_dispatch_ptr 0
		.amdhsa_user_sgpr_queue_ptr 0
		.amdhsa_user_sgpr_kernarg_segment_ptr 1
		.amdhsa_user_sgpr_dispatch_id 0
		.amdhsa_user_sgpr_kernarg_preload_length 0
		.amdhsa_user_sgpr_kernarg_preload_offset 0
		.amdhsa_user_sgpr_private_segment_size 0
		.amdhsa_uses_dynamic_stack 0
		.amdhsa_enable_private_segment 0
		.amdhsa_system_sgpr_workgroup_id_x 1
		.amdhsa_system_sgpr_workgroup_id_y 0
		.amdhsa_system_sgpr_workgroup_id_z 0
		.amdhsa_system_sgpr_workgroup_info 0
		.amdhsa_system_vgpr_workitem_id 0
		.amdhsa_next_free_vgpr 1
		.amdhsa_next_free_sgpr 0
		.amdhsa_accum_offset 4
		.amdhsa_reserve_vcc 0
		.amdhsa_float_round_mode_32 0
		.amdhsa_float_round_mode_16_64 0
		.amdhsa_float_denorm_mode_32 3
		.amdhsa_float_denorm_mode_16_64 3
		.amdhsa_dx10_clamp 1
		.amdhsa_ieee_mode 1
		.amdhsa_fp16_overflow 0
		.amdhsa_tg_split 0
		.amdhsa_exception_fp_ieee_invalid_op 0
		.amdhsa_exception_fp_denorm_src 0
		.amdhsa_exception_fp_ieee_div_zero 0
		.amdhsa_exception_fp_ieee_overflow 0
		.amdhsa_exception_fp_ieee_underflow 0
		.amdhsa_exception_fp_ieee_inexact 0
		.amdhsa_exception_int_div_zero 0
	.end_amdhsa_kernel
	.section	.text._ZN7rocprim17ROCPRIM_400000_NS6detail17trampoline_kernelINS0_14default_configENS1_25partition_config_selectorILNS1_17partition_subalgoE9EllbEEZZNS1_14partition_implILS5_9ELb0ES3_jPlS8_PNS0_10empty_typeENS0_5tupleIJS8_S9_EEENSB_IJS8_SA_EEENS0_18inequality_wrapperIZN2at6native12_GLOBAL__N_124unique_dim_cuda_templateIN3c108BFloat16EEESt5tupleIJNSF_6TensorESM_SM_EERKSM_lbbbEUlllE0_EEPmJS9_EEE10hipError_tPvRmT3_T4_T5_T6_T7_T9_mT8_P12ihipStream_tbDpT10_ENKUlT_T0_E_clISt17integral_constantIbLb1EES1C_EEDaS17_S18_EUlS17_E_NS1_11comp_targetILNS1_3genE9ELNS1_11target_archE1100ELNS1_3gpuE3ELNS1_3repE0EEENS1_30default_config_static_selectorELNS0_4arch9wavefront6targetE1EEEvT1_,"axG",@progbits,_ZN7rocprim17ROCPRIM_400000_NS6detail17trampoline_kernelINS0_14default_configENS1_25partition_config_selectorILNS1_17partition_subalgoE9EllbEEZZNS1_14partition_implILS5_9ELb0ES3_jPlS8_PNS0_10empty_typeENS0_5tupleIJS8_S9_EEENSB_IJS8_SA_EEENS0_18inequality_wrapperIZN2at6native12_GLOBAL__N_124unique_dim_cuda_templateIN3c108BFloat16EEESt5tupleIJNSF_6TensorESM_SM_EERKSM_lbbbEUlllE0_EEPmJS9_EEE10hipError_tPvRmT3_T4_T5_T6_T7_T9_mT8_P12ihipStream_tbDpT10_ENKUlT_T0_E_clISt17integral_constantIbLb1EES1C_EEDaS17_S18_EUlS17_E_NS1_11comp_targetILNS1_3genE9ELNS1_11target_archE1100ELNS1_3gpuE3ELNS1_3repE0EEENS1_30default_config_static_selectorELNS0_4arch9wavefront6targetE1EEEvT1_,comdat
.Lfunc_end1220:
	.size	_ZN7rocprim17ROCPRIM_400000_NS6detail17trampoline_kernelINS0_14default_configENS1_25partition_config_selectorILNS1_17partition_subalgoE9EllbEEZZNS1_14partition_implILS5_9ELb0ES3_jPlS8_PNS0_10empty_typeENS0_5tupleIJS8_S9_EEENSB_IJS8_SA_EEENS0_18inequality_wrapperIZN2at6native12_GLOBAL__N_124unique_dim_cuda_templateIN3c108BFloat16EEESt5tupleIJNSF_6TensorESM_SM_EERKSM_lbbbEUlllE0_EEPmJS9_EEE10hipError_tPvRmT3_T4_T5_T6_T7_T9_mT8_P12ihipStream_tbDpT10_ENKUlT_T0_E_clISt17integral_constantIbLb1EES1C_EEDaS17_S18_EUlS17_E_NS1_11comp_targetILNS1_3genE9ELNS1_11target_archE1100ELNS1_3gpuE3ELNS1_3repE0EEENS1_30default_config_static_selectorELNS0_4arch9wavefront6targetE1EEEvT1_, .Lfunc_end1220-_ZN7rocprim17ROCPRIM_400000_NS6detail17trampoline_kernelINS0_14default_configENS1_25partition_config_selectorILNS1_17partition_subalgoE9EllbEEZZNS1_14partition_implILS5_9ELb0ES3_jPlS8_PNS0_10empty_typeENS0_5tupleIJS8_S9_EEENSB_IJS8_SA_EEENS0_18inequality_wrapperIZN2at6native12_GLOBAL__N_124unique_dim_cuda_templateIN3c108BFloat16EEESt5tupleIJNSF_6TensorESM_SM_EERKSM_lbbbEUlllE0_EEPmJS9_EEE10hipError_tPvRmT3_T4_T5_T6_T7_T9_mT8_P12ihipStream_tbDpT10_ENKUlT_T0_E_clISt17integral_constantIbLb1EES1C_EEDaS17_S18_EUlS17_E_NS1_11comp_targetILNS1_3genE9ELNS1_11target_archE1100ELNS1_3gpuE3ELNS1_3repE0EEENS1_30default_config_static_selectorELNS0_4arch9wavefront6targetE1EEEvT1_
                                        ; -- End function
	.set _ZN7rocprim17ROCPRIM_400000_NS6detail17trampoline_kernelINS0_14default_configENS1_25partition_config_selectorILNS1_17partition_subalgoE9EllbEEZZNS1_14partition_implILS5_9ELb0ES3_jPlS8_PNS0_10empty_typeENS0_5tupleIJS8_S9_EEENSB_IJS8_SA_EEENS0_18inequality_wrapperIZN2at6native12_GLOBAL__N_124unique_dim_cuda_templateIN3c108BFloat16EEESt5tupleIJNSF_6TensorESM_SM_EERKSM_lbbbEUlllE0_EEPmJS9_EEE10hipError_tPvRmT3_T4_T5_T6_T7_T9_mT8_P12ihipStream_tbDpT10_ENKUlT_T0_E_clISt17integral_constantIbLb1EES1C_EEDaS17_S18_EUlS17_E_NS1_11comp_targetILNS1_3genE9ELNS1_11target_archE1100ELNS1_3gpuE3ELNS1_3repE0EEENS1_30default_config_static_selectorELNS0_4arch9wavefront6targetE1EEEvT1_.num_vgpr, 0
	.set _ZN7rocprim17ROCPRIM_400000_NS6detail17trampoline_kernelINS0_14default_configENS1_25partition_config_selectorILNS1_17partition_subalgoE9EllbEEZZNS1_14partition_implILS5_9ELb0ES3_jPlS8_PNS0_10empty_typeENS0_5tupleIJS8_S9_EEENSB_IJS8_SA_EEENS0_18inequality_wrapperIZN2at6native12_GLOBAL__N_124unique_dim_cuda_templateIN3c108BFloat16EEESt5tupleIJNSF_6TensorESM_SM_EERKSM_lbbbEUlllE0_EEPmJS9_EEE10hipError_tPvRmT3_T4_T5_T6_T7_T9_mT8_P12ihipStream_tbDpT10_ENKUlT_T0_E_clISt17integral_constantIbLb1EES1C_EEDaS17_S18_EUlS17_E_NS1_11comp_targetILNS1_3genE9ELNS1_11target_archE1100ELNS1_3gpuE3ELNS1_3repE0EEENS1_30default_config_static_selectorELNS0_4arch9wavefront6targetE1EEEvT1_.num_agpr, 0
	.set _ZN7rocprim17ROCPRIM_400000_NS6detail17trampoline_kernelINS0_14default_configENS1_25partition_config_selectorILNS1_17partition_subalgoE9EllbEEZZNS1_14partition_implILS5_9ELb0ES3_jPlS8_PNS0_10empty_typeENS0_5tupleIJS8_S9_EEENSB_IJS8_SA_EEENS0_18inequality_wrapperIZN2at6native12_GLOBAL__N_124unique_dim_cuda_templateIN3c108BFloat16EEESt5tupleIJNSF_6TensorESM_SM_EERKSM_lbbbEUlllE0_EEPmJS9_EEE10hipError_tPvRmT3_T4_T5_T6_T7_T9_mT8_P12ihipStream_tbDpT10_ENKUlT_T0_E_clISt17integral_constantIbLb1EES1C_EEDaS17_S18_EUlS17_E_NS1_11comp_targetILNS1_3genE9ELNS1_11target_archE1100ELNS1_3gpuE3ELNS1_3repE0EEENS1_30default_config_static_selectorELNS0_4arch9wavefront6targetE1EEEvT1_.numbered_sgpr, 0
	.set _ZN7rocprim17ROCPRIM_400000_NS6detail17trampoline_kernelINS0_14default_configENS1_25partition_config_selectorILNS1_17partition_subalgoE9EllbEEZZNS1_14partition_implILS5_9ELb0ES3_jPlS8_PNS0_10empty_typeENS0_5tupleIJS8_S9_EEENSB_IJS8_SA_EEENS0_18inequality_wrapperIZN2at6native12_GLOBAL__N_124unique_dim_cuda_templateIN3c108BFloat16EEESt5tupleIJNSF_6TensorESM_SM_EERKSM_lbbbEUlllE0_EEPmJS9_EEE10hipError_tPvRmT3_T4_T5_T6_T7_T9_mT8_P12ihipStream_tbDpT10_ENKUlT_T0_E_clISt17integral_constantIbLb1EES1C_EEDaS17_S18_EUlS17_E_NS1_11comp_targetILNS1_3genE9ELNS1_11target_archE1100ELNS1_3gpuE3ELNS1_3repE0EEENS1_30default_config_static_selectorELNS0_4arch9wavefront6targetE1EEEvT1_.num_named_barrier, 0
	.set _ZN7rocprim17ROCPRIM_400000_NS6detail17trampoline_kernelINS0_14default_configENS1_25partition_config_selectorILNS1_17partition_subalgoE9EllbEEZZNS1_14partition_implILS5_9ELb0ES3_jPlS8_PNS0_10empty_typeENS0_5tupleIJS8_S9_EEENSB_IJS8_SA_EEENS0_18inequality_wrapperIZN2at6native12_GLOBAL__N_124unique_dim_cuda_templateIN3c108BFloat16EEESt5tupleIJNSF_6TensorESM_SM_EERKSM_lbbbEUlllE0_EEPmJS9_EEE10hipError_tPvRmT3_T4_T5_T6_T7_T9_mT8_P12ihipStream_tbDpT10_ENKUlT_T0_E_clISt17integral_constantIbLb1EES1C_EEDaS17_S18_EUlS17_E_NS1_11comp_targetILNS1_3genE9ELNS1_11target_archE1100ELNS1_3gpuE3ELNS1_3repE0EEENS1_30default_config_static_selectorELNS0_4arch9wavefront6targetE1EEEvT1_.private_seg_size, 0
	.set _ZN7rocprim17ROCPRIM_400000_NS6detail17trampoline_kernelINS0_14default_configENS1_25partition_config_selectorILNS1_17partition_subalgoE9EllbEEZZNS1_14partition_implILS5_9ELb0ES3_jPlS8_PNS0_10empty_typeENS0_5tupleIJS8_S9_EEENSB_IJS8_SA_EEENS0_18inequality_wrapperIZN2at6native12_GLOBAL__N_124unique_dim_cuda_templateIN3c108BFloat16EEESt5tupleIJNSF_6TensorESM_SM_EERKSM_lbbbEUlllE0_EEPmJS9_EEE10hipError_tPvRmT3_T4_T5_T6_T7_T9_mT8_P12ihipStream_tbDpT10_ENKUlT_T0_E_clISt17integral_constantIbLb1EES1C_EEDaS17_S18_EUlS17_E_NS1_11comp_targetILNS1_3genE9ELNS1_11target_archE1100ELNS1_3gpuE3ELNS1_3repE0EEENS1_30default_config_static_selectorELNS0_4arch9wavefront6targetE1EEEvT1_.uses_vcc, 0
	.set _ZN7rocprim17ROCPRIM_400000_NS6detail17trampoline_kernelINS0_14default_configENS1_25partition_config_selectorILNS1_17partition_subalgoE9EllbEEZZNS1_14partition_implILS5_9ELb0ES3_jPlS8_PNS0_10empty_typeENS0_5tupleIJS8_S9_EEENSB_IJS8_SA_EEENS0_18inequality_wrapperIZN2at6native12_GLOBAL__N_124unique_dim_cuda_templateIN3c108BFloat16EEESt5tupleIJNSF_6TensorESM_SM_EERKSM_lbbbEUlllE0_EEPmJS9_EEE10hipError_tPvRmT3_T4_T5_T6_T7_T9_mT8_P12ihipStream_tbDpT10_ENKUlT_T0_E_clISt17integral_constantIbLb1EES1C_EEDaS17_S18_EUlS17_E_NS1_11comp_targetILNS1_3genE9ELNS1_11target_archE1100ELNS1_3gpuE3ELNS1_3repE0EEENS1_30default_config_static_selectorELNS0_4arch9wavefront6targetE1EEEvT1_.uses_flat_scratch, 0
	.set _ZN7rocprim17ROCPRIM_400000_NS6detail17trampoline_kernelINS0_14default_configENS1_25partition_config_selectorILNS1_17partition_subalgoE9EllbEEZZNS1_14partition_implILS5_9ELb0ES3_jPlS8_PNS0_10empty_typeENS0_5tupleIJS8_S9_EEENSB_IJS8_SA_EEENS0_18inequality_wrapperIZN2at6native12_GLOBAL__N_124unique_dim_cuda_templateIN3c108BFloat16EEESt5tupleIJNSF_6TensorESM_SM_EERKSM_lbbbEUlllE0_EEPmJS9_EEE10hipError_tPvRmT3_T4_T5_T6_T7_T9_mT8_P12ihipStream_tbDpT10_ENKUlT_T0_E_clISt17integral_constantIbLb1EES1C_EEDaS17_S18_EUlS17_E_NS1_11comp_targetILNS1_3genE9ELNS1_11target_archE1100ELNS1_3gpuE3ELNS1_3repE0EEENS1_30default_config_static_selectorELNS0_4arch9wavefront6targetE1EEEvT1_.has_dyn_sized_stack, 0
	.set _ZN7rocprim17ROCPRIM_400000_NS6detail17trampoline_kernelINS0_14default_configENS1_25partition_config_selectorILNS1_17partition_subalgoE9EllbEEZZNS1_14partition_implILS5_9ELb0ES3_jPlS8_PNS0_10empty_typeENS0_5tupleIJS8_S9_EEENSB_IJS8_SA_EEENS0_18inequality_wrapperIZN2at6native12_GLOBAL__N_124unique_dim_cuda_templateIN3c108BFloat16EEESt5tupleIJNSF_6TensorESM_SM_EERKSM_lbbbEUlllE0_EEPmJS9_EEE10hipError_tPvRmT3_T4_T5_T6_T7_T9_mT8_P12ihipStream_tbDpT10_ENKUlT_T0_E_clISt17integral_constantIbLb1EES1C_EEDaS17_S18_EUlS17_E_NS1_11comp_targetILNS1_3genE9ELNS1_11target_archE1100ELNS1_3gpuE3ELNS1_3repE0EEENS1_30default_config_static_selectorELNS0_4arch9wavefront6targetE1EEEvT1_.has_recursion, 0
	.set _ZN7rocprim17ROCPRIM_400000_NS6detail17trampoline_kernelINS0_14default_configENS1_25partition_config_selectorILNS1_17partition_subalgoE9EllbEEZZNS1_14partition_implILS5_9ELb0ES3_jPlS8_PNS0_10empty_typeENS0_5tupleIJS8_S9_EEENSB_IJS8_SA_EEENS0_18inequality_wrapperIZN2at6native12_GLOBAL__N_124unique_dim_cuda_templateIN3c108BFloat16EEESt5tupleIJNSF_6TensorESM_SM_EERKSM_lbbbEUlllE0_EEPmJS9_EEE10hipError_tPvRmT3_T4_T5_T6_T7_T9_mT8_P12ihipStream_tbDpT10_ENKUlT_T0_E_clISt17integral_constantIbLb1EES1C_EEDaS17_S18_EUlS17_E_NS1_11comp_targetILNS1_3genE9ELNS1_11target_archE1100ELNS1_3gpuE3ELNS1_3repE0EEENS1_30default_config_static_selectorELNS0_4arch9wavefront6targetE1EEEvT1_.has_indirect_call, 0
	.section	.AMDGPU.csdata,"",@progbits
; Kernel info:
; codeLenInByte = 0
; TotalNumSgprs: 6
; NumVgprs: 0
; NumAgprs: 0
; TotalNumVgprs: 0
; ScratchSize: 0
; MemoryBound: 0
; FloatMode: 240
; IeeeMode: 1
; LDSByteSize: 0 bytes/workgroup (compile time only)
; SGPRBlocks: 0
; VGPRBlocks: 0
; NumSGPRsForWavesPerEU: 6
; NumVGPRsForWavesPerEU: 1
; AccumOffset: 4
; Occupancy: 8
; WaveLimiterHint : 0
; COMPUTE_PGM_RSRC2:SCRATCH_EN: 0
; COMPUTE_PGM_RSRC2:USER_SGPR: 2
; COMPUTE_PGM_RSRC2:TRAP_HANDLER: 0
; COMPUTE_PGM_RSRC2:TGID_X_EN: 1
; COMPUTE_PGM_RSRC2:TGID_Y_EN: 0
; COMPUTE_PGM_RSRC2:TGID_Z_EN: 0
; COMPUTE_PGM_RSRC2:TIDIG_COMP_CNT: 0
; COMPUTE_PGM_RSRC3_GFX90A:ACCUM_OFFSET: 0
; COMPUTE_PGM_RSRC3_GFX90A:TG_SPLIT: 0
	.section	.text._ZN7rocprim17ROCPRIM_400000_NS6detail17trampoline_kernelINS0_14default_configENS1_25partition_config_selectorILNS1_17partition_subalgoE9EllbEEZZNS1_14partition_implILS5_9ELb0ES3_jPlS8_PNS0_10empty_typeENS0_5tupleIJS8_S9_EEENSB_IJS8_SA_EEENS0_18inequality_wrapperIZN2at6native12_GLOBAL__N_124unique_dim_cuda_templateIN3c108BFloat16EEESt5tupleIJNSF_6TensorESM_SM_EERKSM_lbbbEUlllE0_EEPmJS9_EEE10hipError_tPvRmT3_T4_T5_T6_T7_T9_mT8_P12ihipStream_tbDpT10_ENKUlT_T0_E_clISt17integral_constantIbLb1EES1C_EEDaS17_S18_EUlS17_E_NS1_11comp_targetILNS1_3genE8ELNS1_11target_archE1030ELNS1_3gpuE2ELNS1_3repE0EEENS1_30default_config_static_selectorELNS0_4arch9wavefront6targetE1EEEvT1_,"axG",@progbits,_ZN7rocprim17ROCPRIM_400000_NS6detail17trampoline_kernelINS0_14default_configENS1_25partition_config_selectorILNS1_17partition_subalgoE9EllbEEZZNS1_14partition_implILS5_9ELb0ES3_jPlS8_PNS0_10empty_typeENS0_5tupleIJS8_S9_EEENSB_IJS8_SA_EEENS0_18inequality_wrapperIZN2at6native12_GLOBAL__N_124unique_dim_cuda_templateIN3c108BFloat16EEESt5tupleIJNSF_6TensorESM_SM_EERKSM_lbbbEUlllE0_EEPmJS9_EEE10hipError_tPvRmT3_T4_T5_T6_T7_T9_mT8_P12ihipStream_tbDpT10_ENKUlT_T0_E_clISt17integral_constantIbLb1EES1C_EEDaS17_S18_EUlS17_E_NS1_11comp_targetILNS1_3genE8ELNS1_11target_archE1030ELNS1_3gpuE2ELNS1_3repE0EEENS1_30default_config_static_selectorELNS0_4arch9wavefront6targetE1EEEvT1_,comdat
	.globl	_ZN7rocprim17ROCPRIM_400000_NS6detail17trampoline_kernelINS0_14default_configENS1_25partition_config_selectorILNS1_17partition_subalgoE9EllbEEZZNS1_14partition_implILS5_9ELb0ES3_jPlS8_PNS0_10empty_typeENS0_5tupleIJS8_S9_EEENSB_IJS8_SA_EEENS0_18inequality_wrapperIZN2at6native12_GLOBAL__N_124unique_dim_cuda_templateIN3c108BFloat16EEESt5tupleIJNSF_6TensorESM_SM_EERKSM_lbbbEUlllE0_EEPmJS9_EEE10hipError_tPvRmT3_T4_T5_T6_T7_T9_mT8_P12ihipStream_tbDpT10_ENKUlT_T0_E_clISt17integral_constantIbLb1EES1C_EEDaS17_S18_EUlS17_E_NS1_11comp_targetILNS1_3genE8ELNS1_11target_archE1030ELNS1_3gpuE2ELNS1_3repE0EEENS1_30default_config_static_selectorELNS0_4arch9wavefront6targetE1EEEvT1_ ; -- Begin function _ZN7rocprim17ROCPRIM_400000_NS6detail17trampoline_kernelINS0_14default_configENS1_25partition_config_selectorILNS1_17partition_subalgoE9EllbEEZZNS1_14partition_implILS5_9ELb0ES3_jPlS8_PNS0_10empty_typeENS0_5tupleIJS8_S9_EEENSB_IJS8_SA_EEENS0_18inequality_wrapperIZN2at6native12_GLOBAL__N_124unique_dim_cuda_templateIN3c108BFloat16EEESt5tupleIJNSF_6TensorESM_SM_EERKSM_lbbbEUlllE0_EEPmJS9_EEE10hipError_tPvRmT3_T4_T5_T6_T7_T9_mT8_P12ihipStream_tbDpT10_ENKUlT_T0_E_clISt17integral_constantIbLb1EES1C_EEDaS17_S18_EUlS17_E_NS1_11comp_targetILNS1_3genE8ELNS1_11target_archE1030ELNS1_3gpuE2ELNS1_3repE0EEENS1_30default_config_static_selectorELNS0_4arch9wavefront6targetE1EEEvT1_
	.p2align	8
	.type	_ZN7rocprim17ROCPRIM_400000_NS6detail17trampoline_kernelINS0_14default_configENS1_25partition_config_selectorILNS1_17partition_subalgoE9EllbEEZZNS1_14partition_implILS5_9ELb0ES3_jPlS8_PNS0_10empty_typeENS0_5tupleIJS8_S9_EEENSB_IJS8_SA_EEENS0_18inequality_wrapperIZN2at6native12_GLOBAL__N_124unique_dim_cuda_templateIN3c108BFloat16EEESt5tupleIJNSF_6TensorESM_SM_EERKSM_lbbbEUlllE0_EEPmJS9_EEE10hipError_tPvRmT3_T4_T5_T6_T7_T9_mT8_P12ihipStream_tbDpT10_ENKUlT_T0_E_clISt17integral_constantIbLb1EES1C_EEDaS17_S18_EUlS17_E_NS1_11comp_targetILNS1_3genE8ELNS1_11target_archE1030ELNS1_3gpuE2ELNS1_3repE0EEENS1_30default_config_static_selectorELNS0_4arch9wavefront6targetE1EEEvT1_,@function
_ZN7rocprim17ROCPRIM_400000_NS6detail17trampoline_kernelINS0_14default_configENS1_25partition_config_selectorILNS1_17partition_subalgoE9EllbEEZZNS1_14partition_implILS5_9ELb0ES3_jPlS8_PNS0_10empty_typeENS0_5tupleIJS8_S9_EEENSB_IJS8_SA_EEENS0_18inequality_wrapperIZN2at6native12_GLOBAL__N_124unique_dim_cuda_templateIN3c108BFloat16EEESt5tupleIJNSF_6TensorESM_SM_EERKSM_lbbbEUlllE0_EEPmJS9_EEE10hipError_tPvRmT3_T4_T5_T6_T7_T9_mT8_P12ihipStream_tbDpT10_ENKUlT_T0_E_clISt17integral_constantIbLb1EES1C_EEDaS17_S18_EUlS17_E_NS1_11comp_targetILNS1_3genE8ELNS1_11target_archE1030ELNS1_3gpuE2ELNS1_3repE0EEENS1_30default_config_static_selectorELNS0_4arch9wavefront6targetE1EEEvT1_: ; @_ZN7rocprim17ROCPRIM_400000_NS6detail17trampoline_kernelINS0_14default_configENS1_25partition_config_selectorILNS1_17partition_subalgoE9EllbEEZZNS1_14partition_implILS5_9ELb0ES3_jPlS8_PNS0_10empty_typeENS0_5tupleIJS8_S9_EEENSB_IJS8_SA_EEENS0_18inequality_wrapperIZN2at6native12_GLOBAL__N_124unique_dim_cuda_templateIN3c108BFloat16EEESt5tupleIJNSF_6TensorESM_SM_EERKSM_lbbbEUlllE0_EEPmJS9_EEE10hipError_tPvRmT3_T4_T5_T6_T7_T9_mT8_P12ihipStream_tbDpT10_ENKUlT_T0_E_clISt17integral_constantIbLb1EES1C_EEDaS17_S18_EUlS17_E_NS1_11comp_targetILNS1_3genE8ELNS1_11target_archE1030ELNS1_3gpuE2ELNS1_3repE0EEENS1_30default_config_static_selectorELNS0_4arch9wavefront6targetE1EEEvT1_
; %bb.0:
	.section	.rodata,"a",@progbits
	.p2align	6, 0x0
	.amdhsa_kernel _ZN7rocprim17ROCPRIM_400000_NS6detail17trampoline_kernelINS0_14default_configENS1_25partition_config_selectorILNS1_17partition_subalgoE9EllbEEZZNS1_14partition_implILS5_9ELb0ES3_jPlS8_PNS0_10empty_typeENS0_5tupleIJS8_S9_EEENSB_IJS8_SA_EEENS0_18inequality_wrapperIZN2at6native12_GLOBAL__N_124unique_dim_cuda_templateIN3c108BFloat16EEESt5tupleIJNSF_6TensorESM_SM_EERKSM_lbbbEUlllE0_EEPmJS9_EEE10hipError_tPvRmT3_T4_T5_T6_T7_T9_mT8_P12ihipStream_tbDpT10_ENKUlT_T0_E_clISt17integral_constantIbLb1EES1C_EEDaS17_S18_EUlS17_E_NS1_11comp_targetILNS1_3genE8ELNS1_11target_archE1030ELNS1_3gpuE2ELNS1_3repE0EEENS1_30default_config_static_selectorELNS0_4arch9wavefront6targetE1EEEvT1_
		.amdhsa_group_segment_fixed_size 0
		.amdhsa_private_segment_fixed_size 0
		.amdhsa_kernarg_size 136
		.amdhsa_user_sgpr_count 2
		.amdhsa_user_sgpr_dispatch_ptr 0
		.amdhsa_user_sgpr_queue_ptr 0
		.amdhsa_user_sgpr_kernarg_segment_ptr 1
		.amdhsa_user_sgpr_dispatch_id 0
		.amdhsa_user_sgpr_kernarg_preload_length 0
		.amdhsa_user_sgpr_kernarg_preload_offset 0
		.amdhsa_user_sgpr_private_segment_size 0
		.amdhsa_uses_dynamic_stack 0
		.amdhsa_enable_private_segment 0
		.amdhsa_system_sgpr_workgroup_id_x 1
		.amdhsa_system_sgpr_workgroup_id_y 0
		.amdhsa_system_sgpr_workgroup_id_z 0
		.amdhsa_system_sgpr_workgroup_info 0
		.amdhsa_system_vgpr_workitem_id 0
		.amdhsa_next_free_vgpr 1
		.amdhsa_next_free_sgpr 0
		.amdhsa_accum_offset 4
		.amdhsa_reserve_vcc 0
		.amdhsa_float_round_mode_32 0
		.amdhsa_float_round_mode_16_64 0
		.amdhsa_float_denorm_mode_32 3
		.amdhsa_float_denorm_mode_16_64 3
		.amdhsa_dx10_clamp 1
		.amdhsa_ieee_mode 1
		.amdhsa_fp16_overflow 0
		.amdhsa_tg_split 0
		.amdhsa_exception_fp_ieee_invalid_op 0
		.amdhsa_exception_fp_denorm_src 0
		.amdhsa_exception_fp_ieee_div_zero 0
		.amdhsa_exception_fp_ieee_overflow 0
		.amdhsa_exception_fp_ieee_underflow 0
		.amdhsa_exception_fp_ieee_inexact 0
		.amdhsa_exception_int_div_zero 0
	.end_amdhsa_kernel
	.section	.text._ZN7rocprim17ROCPRIM_400000_NS6detail17trampoline_kernelINS0_14default_configENS1_25partition_config_selectorILNS1_17partition_subalgoE9EllbEEZZNS1_14partition_implILS5_9ELb0ES3_jPlS8_PNS0_10empty_typeENS0_5tupleIJS8_S9_EEENSB_IJS8_SA_EEENS0_18inequality_wrapperIZN2at6native12_GLOBAL__N_124unique_dim_cuda_templateIN3c108BFloat16EEESt5tupleIJNSF_6TensorESM_SM_EERKSM_lbbbEUlllE0_EEPmJS9_EEE10hipError_tPvRmT3_T4_T5_T6_T7_T9_mT8_P12ihipStream_tbDpT10_ENKUlT_T0_E_clISt17integral_constantIbLb1EES1C_EEDaS17_S18_EUlS17_E_NS1_11comp_targetILNS1_3genE8ELNS1_11target_archE1030ELNS1_3gpuE2ELNS1_3repE0EEENS1_30default_config_static_selectorELNS0_4arch9wavefront6targetE1EEEvT1_,"axG",@progbits,_ZN7rocprim17ROCPRIM_400000_NS6detail17trampoline_kernelINS0_14default_configENS1_25partition_config_selectorILNS1_17partition_subalgoE9EllbEEZZNS1_14partition_implILS5_9ELb0ES3_jPlS8_PNS0_10empty_typeENS0_5tupleIJS8_S9_EEENSB_IJS8_SA_EEENS0_18inequality_wrapperIZN2at6native12_GLOBAL__N_124unique_dim_cuda_templateIN3c108BFloat16EEESt5tupleIJNSF_6TensorESM_SM_EERKSM_lbbbEUlllE0_EEPmJS9_EEE10hipError_tPvRmT3_T4_T5_T6_T7_T9_mT8_P12ihipStream_tbDpT10_ENKUlT_T0_E_clISt17integral_constantIbLb1EES1C_EEDaS17_S18_EUlS17_E_NS1_11comp_targetILNS1_3genE8ELNS1_11target_archE1030ELNS1_3gpuE2ELNS1_3repE0EEENS1_30default_config_static_selectorELNS0_4arch9wavefront6targetE1EEEvT1_,comdat
.Lfunc_end1221:
	.size	_ZN7rocprim17ROCPRIM_400000_NS6detail17trampoline_kernelINS0_14default_configENS1_25partition_config_selectorILNS1_17partition_subalgoE9EllbEEZZNS1_14partition_implILS5_9ELb0ES3_jPlS8_PNS0_10empty_typeENS0_5tupleIJS8_S9_EEENSB_IJS8_SA_EEENS0_18inequality_wrapperIZN2at6native12_GLOBAL__N_124unique_dim_cuda_templateIN3c108BFloat16EEESt5tupleIJNSF_6TensorESM_SM_EERKSM_lbbbEUlllE0_EEPmJS9_EEE10hipError_tPvRmT3_T4_T5_T6_T7_T9_mT8_P12ihipStream_tbDpT10_ENKUlT_T0_E_clISt17integral_constantIbLb1EES1C_EEDaS17_S18_EUlS17_E_NS1_11comp_targetILNS1_3genE8ELNS1_11target_archE1030ELNS1_3gpuE2ELNS1_3repE0EEENS1_30default_config_static_selectorELNS0_4arch9wavefront6targetE1EEEvT1_, .Lfunc_end1221-_ZN7rocprim17ROCPRIM_400000_NS6detail17trampoline_kernelINS0_14default_configENS1_25partition_config_selectorILNS1_17partition_subalgoE9EllbEEZZNS1_14partition_implILS5_9ELb0ES3_jPlS8_PNS0_10empty_typeENS0_5tupleIJS8_S9_EEENSB_IJS8_SA_EEENS0_18inequality_wrapperIZN2at6native12_GLOBAL__N_124unique_dim_cuda_templateIN3c108BFloat16EEESt5tupleIJNSF_6TensorESM_SM_EERKSM_lbbbEUlllE0_EEPmJS9_EEE10hipError_tPvRmT3_T4_T5_T6_T7_T9_mT8_P12ihipStream_tbDpT10_ENKUlT_T0_E_clISt17integral_constantIbLb1EES1C_EEDaS17_S18_EUlS17_E_NS1_11comp_targetILNS1_3genE8ELNS1_11target_archE1030ELNS1_3gpuE2ELNS1_3repE0EEENS1_30default_config_static_selectorELNS0_4arch9wavefront6targetE1EEEvT1_
                                        ; -- End function
	.set _ZN7rocprim17ROCPRIM_400000_NS6detail17trampoline_kernelINS0_14default_configENS1_25partition_config_selectorILNS1_17partition_subalgoE9EllbEEZZNS1_14partition_implILS5_9ELb0ES3_jPlS8_PNS0_10empty_typeENS0_5tupleIJS8_S9_EEENSB_IJS8_SA_EEENS0_18inequality_wrapperIZN2at6native12_GLOBAL__N_124unique_dim_cuda_templateIN3c108BFloat16EEESt5tupleIJNSF_6TensorESM_SM_EERKSM_lbbbEUlllE0_EEPmJS9_EEE10hipError_tPvRmT3_T4_T5_T6_T7_T9_mT8_P12ihipStream_tbDpT10_ENKUlT_T0_E_clISt17integral_constantIbLb1EES1C_EEDaS17_S18_EUlS17_E_NS1_11comp_targetILNS1_3genE8ELNS1_11target_archE1030ELNS1_3gpuE2ELNS1_3repE0EEENS1_30default_config_static_selectorELNS0_4arch9wavefront6targetE1EEEvT1_.num_vgpr, 0
	.set _ZN7rocprim17ROCPRIM_400000_NS6detail17trampoline_kernelINS0_14default_configENS1_25partition_config_selectorILNS1_17partition_subalgoE9EllbEEZZNS1_14partition_implILS5_9ELb0ES3_jPlS8_PNS0_10empty_typeENS0_5tupleIJS8_S9_EEENSB_IJS8_SA_EEENS0_18inequality_wrapperIZN2at6native12_GLOBAL__N_124unique_dim_cuda_templateIN3c108BFloat16EEESt5tupleIJNSF_6TensorESM_SM_EERKSM_lbbbEUlllE0_EEPmJS9_EEE10hipError_tPvRmT3_T4_T5_T6_T7_T9_mT8_P12ihipStream_tbDpT10_ENKUlT_T0_E_clISt17integral_constantIbLb1EES1C_EEDaS17_S18_EUlS17_E_NS1_11comp_targetILNS1_3genE8ELNS1_11target_archE1030ELNS1_3gpuE2ELNS1_3repE0EEENS1_30default_config_static_selectorELNS0_4arch9wavefront6targetE1EEEvT1_.num_agpr, 0
	.set _ZN7rocprim17ROCPRIM_400000_NS6detail17trampoline_kernelINS0_14default_configENS1_25partition_config_selectorILNS1_17partition_subalgoE9EllbEEZZNS1_14partition_implILS5_9ELb0ES3_jPlS8_PNS0_10empty_typeENS0_5tupleIJS8_S9_EEENSB_IJS8_SA_EEENS0_18inequality_wrapperIZN2at6native12_GLOBAL__N_124unique_dim_cuda_templateIN3c108BFloat16EEESt5tupleIJNSF_6TensorESM_SM_EERKSM_lbbbEUlllE0_EEPmJS9_EEE10hipError_tPvRmT3_T4_T5_T6_T7_T9_mT8_P12ihipStream_tbDpT10_ENKUlT_T0_E_clISt17integral_constantIbLb1EES1C_EEDaS17_S18_EUlS17_E_NS1_11comp_targetILNS1_3genE8ELNS1_11target_archE1030ELNS1_3gpuE2ELNS1_3repE0EEENS1_30default_config_static_selectorELNS0_4arch9wavefront6targetE1EEEvT1_.numbered_sgpr, 0
	.set _ZN7rocprim17ROCPRIM_400000_NS6detail17trampoline_kernelINS0_14default_configENS1_25partition_config_selectorILNS1_17partition_subalgoE9EllbEEZZNS1_14partition_implILS5_9ELb0ES3_jPlS8_PNS0_10empty_typeENS0_5tupleIJS8_S9_EEENSB_IJS8_SA_EEENS0_18inequality_wrapperIZN2at6native12_GLOBAL__N_124unique_dim_cuda_templateIN3c108BFloat16EEESt5tupleIJNSF_6TensorESM_SM_EERKSM_lbbbEUlllE0_EEPmJS9_EEE10hipError_tPvRmT3_T4_T5_T6_T7_T9_mT8_P12ihipStream_tbDpT10_ENKUlT_T0_E_clISt17integral_constantIbLb1EES1C_EEDaS17_S18_EUlS17_E_NS1_11comp_targetILNS1_3genE8ELNS1_11target_archE1030ELNS1_3gpuE2ELNS1_3repE0EEENS1_30default_config_static_selectorELNS0_4arch9wavefront6targetE1EEEvT1_.num_named_barrier, 0
	.set _ZN7rocprim17ROCPRIM_400000_NS6detail17trampoline_kernelINS0_14default_configENS1_25partition_config_selectorILNS1_17partition_subalgoE9EllbEEZZNS1_14partition_implILS5_9ELb0ES3_jPlS8_PNS0_10empty_typeENS0_5tupleIJS8_S9_EEENSB_IJS8_SA_EEENS0_18inequality_wrapperIZN2at6native12_GLOBAL__N_124unique_dim_cuda_templateIN3c108BFloat16EEESt5tupleIJNSF_6TensorESM_SM_EERKSM_lbbbEUlllE0_EEPmJS9_EEE10hipError_tPvRmT3_T4_T5_T6_T7_T9_mT8_P12ihipStream_tbDpT10_ENKUlT_T0_E_clISt17integral_constantIbLb1EES1C_EEDaS17_S18_EUlS17_E_NS1_11comp_targetILNS1_3genE8ELNS1_11target_archE1030ELNS1_3gpuE2ELNS1_3repE0EEENS1_30default_config_static_selectorELNS0_4arch9wavefront6targetE1EEEvT1_.private_seg_size, 0
	.set _ZN7rocprim17ROCPRIM_400000_NS6detail17trampoline_kernelINS0_14default_configENS1_25partition_config_selectorILNS1_17partition_subalgoE9EllbEEZZNS1_14partition_implILS5_9ELb0ES3_jPlS8_PNS0_10empty_typeENS0_5tupleIJS8_S9_EEENSB_IJS8_SA_EEENS0_18inequality_wrapperIZN2at6native12_GLOBAL__N_124unique_dim_cuda_templateIN3c108BFloat16EEESt5tupleIJNSF_6TensorESM_SM_EERKSM_lbbbEUlllE0_EEPmJS9_EEE10hipError_tPvRmT3_T4_T5_T6_T7_T9_mT8_P12ihipStream_tbDpT10_ENKUlT_T0_E_clISt17integral_constantIbLb1EES1C_EEDaS17_S18_EUlS17_E_NS1_11comp_targetILNS1_3genE8ELNS1_11target_archE1030ELNS1_3gpuE2ELNS1_3repE0EEENS1_30default_config_static_selectorELNS0_4arch9wavefront6targetE1EEEvT1_.uses_vcc, 0
	.set _ZN7rocprim17ROCPRIM_400000_NS6detail17trampoline_kernelINS0_14default_configENS1_25partition_config_selectorILNS1_17partition_subalgoE9EllbEEZZNS1_14partition_implILS5_9ELb0ES3_jPlS8_PNS0_10empty_typeENS0_5tupleIJS8_S9_EEENSB_IJS8_SA_EEENS0_18inequality_wrapperIZN2at6native12_GLOBAL__N_124unique_dim_cuda_templateIN3c108BFloat16EEESt5tupleIJNSF_6TensorESM_SM_EERKSM_lbbbEUlllE0_EEPmJS9_EEE10hipError_tPvRmT3_T4_T5_T6_T7_T9_mT8_P12ihipStream_tbDpT10_ENKUlT_T0_E_clISt17integral_constantIbLb1EES1C_EEDaS17_S18_EUlS17_E_NS1_11comp_targetILNS1_3genE8ELNS1_11target_archE1030ELNS1_3gpuE2ELNS1_3repE0EEENS1_30default_config_static_selectorELNS0_4arch9wavefront6targetE1EEEvT1_.uses_flat_scratch, 0
	.set _ZN7rocprim17ROCPRIM_400000_NS6detail17trampoline_kernelINS0_14default_configENS1_25partition_config_selectorILNS1_17partition_subalgoE9EllbEEZZNS1_14partition_implILS5_9ELb0ES3_jPlS8_PNS0_10empty_typeENS0_5tupleIJS8_S9_EEENSB_IJS8_SA_EEENS0_18inequality_wrapperIZN2at6native12_GLOBAL__N_124unique_dim_cuda_templateIN3c108BFloat16EEESt5tupleIJNSF_6TensorESM_SM_EERKSM_lbbbEUlllE0_EEPmJS9_EEE10hipError_tPvRmT3_T4_T5_T6_T7_T9_mT8_P12ihipStream_tbDpT10_ENKUlT_T0_E_clISt17integral_constantIbLb1EES1C_EEDaS17_S18_EUlS17_E_NS1_11comp_targetILNS1_3genE8ELNS1_11target_archE1030ELNS1_3gpuE2ELNS1_3repE0EEENS1_30default_config_static_selectorELNS0_4arch9wavefront6targetE1EEEvT1_.has_dyn_sized_stack, 0
	.set _ZN7rocprim17ROCPRIM_400000_NS6detail17trampoline_kernelINS0_14default_configENS1_25partition_config_selectorILNS1_17partition_subalgoE9EllbEEZZNS1_14partition_implILS5_9ELb0ES3_jPlS8_PNS0_10empty_typeENS0_5tupleIJS8_S9_EEENSB_IJS8_SA_EEENS0_18inequality_wrapperIZN2at6native12_GLOBAL__N_124unique_dim_cuda_templateIN3c108BFloat16EEESt5tupleIJNSF_6TensorESM_SM_EERKSM_lbbbEUlllE0_EEPmJS9_EEE10hipError_tPvRmT3_T4_T5_T6_T7_T9_mT8_P12ihipStream_tbDpT10_ENKUlT_T0_E_clISt17integral_constantIbLb1EES1C_EEDaS17_S18_EUlS17_E_NS1_11comp_targetILNS1_3genE8ELNS1_11target_archE1030ELNS1_3gpuE2ELNS1_3repE0EEENS1_30default_config_static_selectorELNS0_4arch9wavefront6targetE1EEEvT1_.has_recursion, 0
	.set _ZN7rocprim17ROCPRIM_400000_NS6detail17trampoline_kernelINS0_14default_configENS1_25partition_config_selectorILNS1_17partition_subalgoE9EllbEEZZNS1_14partition_implILS5_9ELb0ES3_jPlS8_PNS0_10empty_typeENS0_5tupleIJS8_S9_EEENSB_IJS8_SA_EEENS0_18inequality_wrapperIZN2at6native12_GLOBAL__N_124unique_dim_cuda_templateIN3c108BFloat16EEESt5tupleIJNSF_6TensorESM_SM_EERKSM_lbbbEUlllE0_EEPmJS9_EEE10hipError_tPvRmT3_T4_T5_T6_T7_T9_mT8_P12ihipStream_tbDpT10_ENKUlT_T0_E_clISt17integral_constantIbLb1EES1C_EEDaS17_S18_EUlS17_E_NS1_11comp_targetILNS1_3genE8ELNS1_11target_archE1030ELNS1_3gpuE2ELNS1_3repE0EEENS1_30default_config_static_selectorELNS0_4arch9wavefront6targetE1EEEvT1_.has_indirect_call, 0
	.section	.AMDGPU.csdata,"",@progbits
; Kernel info:
; codeLenInByte = 0
; TotalNumSgprs: 6
; NumVgprs: 0
; NumAgprs: 0
; TotalNumVgprs: 0
; ScratchSize: 0
; MemoryBound: 0
; FloatMode: 240
; IeeeMode: 1
; LDSByteSize: 0 bytes/workgroup (compile time only)
; SGPRBlocks: 0
; VGPRBlocks: 0
; NumSGPRsForWavesPerEU: 6
; NumVGPRsForWavesPerEU: 1
; AccumOffset: 4
; Occupancy: 8
; WaveLimiterHint : 0
; COMPUTE_PGM_RSRC2:SCRATCH_EN: 0
; COMPUTE_PGM_RSRC2:USER_SGPR: 2
; COMPUTE_PGM_RSRC2:TRAP_HANDLER: 0
; COMPUTE_PGM_RSRC2:TGID_X_EN: 1
; COMPUTE_PGM_RSRC2:TGID_Y_EN: 0
; COMPUTE_PGM_RSRC2:TGID_Z_EN: 0
; COMPUTE_PGM_RSRC2:TIDIG_COMP_CNT: 0
; COMPUTE_PGM_RSRC3_GFX90A:ACCUM_OFFSET: 0
; COMPUTE_PGM_RSRC3_GFX90A:TG_SPLIT: 0
	.section	.text._ZN7rocprim17ROCPRIM_400000_NS6detail17trampoline_kernelINS0_14default_configENS1_25partition_config_selectorILNS1_17partition_subalgoE9EllbEEZZNS1_14partition_implILS5_9ELb0ES3_jPlS8_PNS0_10empty_typeENS0_5tupleIJS8_S9_EEENSB_IJS8_SA_EEENS0_18inequality_wrapperIZN2at6native12_GLOBAL__N_124unique_dim_cuda_templateIN3c108BFloat16EEESt5tupleIJNSF_6TensorESM_SM_EERKSM_lbbbEUlllE0_EEPmJS9_EEE10hipError_tPvRmT3_T4_T5_T6_T7_T9_mT8_P12ihipStream_tbDpT10_ENKUlT_T0_E_clISt17integral_constantIbLb1EES1B_IbLb0EEEEDaS17_S18_EUlS17_E_NS1_11comp_targetILNS1_3genE0ELNS1_11target_archE4294967295ELNS1_3gpuE0ELNS1_3repE0EEENS1_30default_config_static_selectorELNS0_4arch9wavefront6targetE1EEEvT1_,"axG",@progbits,_ZN7rocprim17ROCPRIM_400000_NS6detail17trampoline_kernelINS0_14default_configENS1_25partition_config_selectorILNS1_17partition_subalgoE9EllbEEZZNS1_14partition_implILS5_9ELb0ES3_jPlS8_PNS0_10empty_typeENS0_5tupleIJS8_S9_EEENSB_IJS8_SA_EEENS0_18inequality_wrapperIZN2at6native12_GLOBAL__N_124unique_dim_cuda_templateIN3c108BFloat16EEESt5tupleIJNSF_6TensorESM_SM_EERKSM_lbbbEUlllE0_EEPmJS9_EEE10hipError_tPvRmT3_T4_T5_T6_T7_T9_mT8_P12ihipStream_tbDpT10_ENKUlT_T0_E_clISt17integral_constantIbLb1EES1B_IbLb0EEEEDaS17_S18_EUlS17_E_NS1_11comp_targetILNS1_3genE0ELNS1_11target_archE4294967295ELNS1_3gpuE0ELNS1_3repE0EEENS1_30default_config_static_selectorELNS0_4arch9wavefront6targetE1EEEvT1_,comdat
	.globl	_ZN7rocprim17ROCPRIM_400000_NS6detail17trampoline_kernelINS0_14default_configENS1_25partition_config_selectorILNS1_17partition_subalgoE9EllbEEZZNS1_14partition_implILS5_9ELb0ES3_jPlS8_PNS0_10empty_typeENS0_5tupleIJS8_S9_EEENSB_IJS8_SA_EEENS0_18inequality_wrapperIZN2at6native12_GLOBAL__N_124unique_dim_cuda_templateIN3c108BFloat16EEESt5tupleIJNSF_6TensorESM_SM_EERKSM_lbbbEUlllE0_EEPmJS9_EEE10hipError_tPvRmT3_T4_T5_T6_T7_T9_mT8_P12ihipStream_tbDpT10_ENKUlT_T0_E_clISt17integral_constantIbLb1EES1B_IbLb0EEEEDaS17_S18_EUlS17_E_NS1_11comp_targetILNS1_3genE0ELNS1_11target_archE4294967295ELNS1_3gpuE0ELNS1_3repE0EEENS1_30default_config_static_selectorELNS0_4arch9wavefront6targetE1EEEvT1_ ; -- Begin function _ZN7rocprim17ROCPRIM_400000_NS6detail17trampoline_kernelINS0_14default_configENS1_25partition_config_selectorILNS1_17partition_subalgoE9EllbEEZZNS1_14partition_implILS5_9ELb0ES3_jPlS8_PNS0_10empty_typeENS0_5tupleIJS8_S9_EEENSB_IJS8_SA_EEENS0_18inequality_wrapperIZN2at6native12_GLOBAL__N_124unique_dim_cuda_templateIN3c108BFloat16EEESt5tupleIJNSF_6TensorESM_SM_EERKSM_lbbbEUlllE0_EEPmJS9_EEE10hipError_tPvRmT3_T4_T5_T6_T7_T9_mT8_P12ihipStream_tbDpT10_ENKUlT_T0_E_clISt17integral_constantIbLb1EES1B_IbLb0EEEEDaS17_S18_EUlS17_E_NS1_11comp_targetILNS1_3genE0ELNS1_11target_archE4294967295ELNS1_3gpuE0ELNS1_3repE0EEENS1_30default_config_static_selectorELNS0_4arch9wavefront6targetE1EEEvT1_
	.p2align	8
	.type	_ZN7rocprim17ROCPRIM_400000_NS6detail17trampoline_kernelINS0_14default_configENS1_25partition_config_selectorILNS1_17partition_subalgoE9EllbEEZZNS1_14partition_implILS5_9ELb0ES3_jPlS8_PNS0_10empty_typeENS0_5tupleIJS8_S9_EEENSB_IJS8_SA_EEENS0_18inequality_wrapperIZN2at6native12_GLOBAL__N_124unique_dim_cuda_templateIN3c108BFloat16EEESt5tupleIJNSF_6TensorESM_SM_EERKSM_lbbbEUlllE0_EEPmJS9_EEE10hipError_tPvRmT3_T4_T5_T6_T7_T9_mT8_P12ihipStream_tbDpT10_ENKUlT_T0_E_clISt17integral_constantIbLb1EES1B_IbLb0EEEEDaS17_S18_EUlS17_E_NS1_11comp_targetILNS1_3genE0ELNS1_11target_archE4294967295ELNS1_3gpuE0ELNS1_3repE0EEENS1_30default_config_static_selectorELNS0_4arch9wavefront6targetE1EEEvT1_,@function
_ZN7rocprim17ROCPRIM_400000_NS6detail17trampoline_kernelINS0_14default_configENS1_25partition_config_selectorILNS1_17partition_subalgoE9EllbEEZZNS1_14partition_implILS5_9ELb0ES3_jPlS8_PNS0_10empty_typeENS0_5tupleIJS8_S9_EEENSB_IJS8_SA_EEENS0_18inequality_wrapperIZN2at6native12_GLOBAL__N_124unique_dim_cuda_templateIN3c108BFloat16EEESt5tupleIJNSF_6TensorESM_SM_EERKSM_lbbbEUlllE0_EEPmJS9_EEE10hipError_tPvRmT3_T4_T5_T6_T7_T9_mT8_P12ihipStream_tbDpT10_ENKUlT_T0_E_clISt17integral_constantIbLb1EES1B_IbLb0EEEEDaS17_S18_EUlS17_E_NS1_11comp_targetILNS1_3genE0ELNS1_11target_archE4294967295ELNS1_3gpuE0ELNS1_3repE0EEENS1_30default_config_static_selectorELNS0_4arch9wavefront6targetE1EEEvT1_: ; @_ZN7rocprim17ROCPRIM_400000_NS6detail17trampoline_kernelINS0_14default_configENS1_25partition_config_selectorILNS1_17partition_subalgoE9EllbEEZZNS1_14partition_implILS5_9ELb0ES3_jPlS8_PNS0_10empty_typeENS0_5tupleIJS8_S9_EEENSB_IJS8_SA_EEENS0_18inequality_wrapperIZN2at6native12_GLOBAL__N_124unique_dim_cuda_templateIN3c108BFloat16EEESt5tupleIJNSF_6TensorESM_SM_EERKSM_lbbbEUlllE0_EEPmJS9_EEE10hipError_tPvRmT3_T4_T5_T6_T7_T9_mT8_P12ihipStream_tbDpT10_ENKUlT_T0_E_clISt17integral_constantIbLb1EES1B_IbLb0EEEEDaS17_S18_EUlS17_E_NS1_11comp_targetILNS1_3genE0ELNS1_11target_archE4294967295ELNS1_3gpuE0ELNS1_3repE0EEENS1_30default_config_static_selectorELNS0_4arch9wavefront6targetE1EEEvT1_
; %bb.0:
	s_endpgm
	.section	.rodata,"a",@progbits
	.p2align	6, 0x0
	.amdhsa_kernel _ZN7rocprim17ROCPRIM_400000_NS6detail17trampoline_kernelINS0_14default_configENS1_25partition_config_selectorILNS1_17partition_subalgoE9EllbEEZZNS1_14partition_implILS5_9ELb0ES3_jPlS8_PNS0_10empty_typeENS0_5tupleIJS8_S9_EEENSB_IJS8_SA_EEENS0_18inequality_wrapperIZN2at6native12_GLOBAL__N_124unique_dim_cuda_templateIN3c108BFloat16EEESt5tupleIJNSF_6TensorESM_SM_EERKSM_lbbbEUlllE0_EEPmJS9_EEE10hipError_tPvRmT3_T4_T5_T6_T7_T9_mT8_P12ihipStream_tbDpT10_ENKUlT_T0_E_clISt17integral_constantIbLb1EES1B_IbLb0EEEEDaS17_S18_EUlS17_E_NS1_11comp_targetILNS1_3genE0ELNS1_11target_archE4294967295ELNS1_3gpuE0ELNS1_3repE0EEENS1_30default_config_static_selectorELNS0_4arch9wavefront6targetE1EEEvT1_
		.amdhsa_group_segment_fixed_size 0
		.amdhsa_private_segment_fixed_size 0
		.amdhsa_kernarg_size 120
		.amdhsa_user_sgpr_count 2
		.amdhsa_user_sgpr_dispatch_ptr 0
		.amdhsa_user_sgpr_queue_ptr 0
		.amdhsa_user_sgpr_kernarg_segment_ptr 1
		.amdhsa_user_sgpr_dispatch_id 0
		.amdhsa_user_sgpr_kernarg_preload_length 0
		.amdhsa_user_sgpr_kernarg_preload_offset 0
		.amdhsa_user_sgpr_private_segment_size 0
		.amdhsa_uses_dynamic_stack 0
		.amdhsa_enable_private_segment 0
		.amdhsa_system_sgpr_workgroup_id_x 1
		.amdhsa_system_sgpr_workgroup_id_y 0
		.amdhsa_system_sgpr_workgroup_id_z 0
		.amdhsa_system_sgpr_workgroup_info 0
		.amdhsa_system_vgpr_workitem_id 0
		.amdhsa_next_free_vgpr 1
		.amdhsa_next_free_sgpr 0
		.amdhsa_accum_offset 4
		.amdhsa_reserve_vcc 0
		.amdhsa_float_round_mode_32 0
		.amdhsa_float_round_mode_16_64 0
		.amdhsa_float_denorm_mode_32 3
		.amdhsa_float_denorm_mode_16_64 3
		.amdhsa_dx10_clamp 1
		.amdhsa_ieee_mode 1
		.amdhsa_fp16_overflow 0
		.amdhsa_tg_split 0
		.amdhsa_exception_fp_ieee_invalid_op 0
		.amdhsa_exception_fp_denorm_src 0
		.amdhsa_exception_fp_ieee_div_zero 0
		.amdhsa_exception_fp_ieee_overflow 0
		.amdhsa_exception_fp_ieee_underflow 0
		.amdhsa_exception_fp_ieee_inexact 0
		.amdhsa_exception_int_div_zero 0
	.end_amdhsa_kernel
	.section	.text._ZN7rocprim17ROCPRIM_400000_NS6detail17trampoline_kernelINS0_14default_configENS1_25partition_config_selectorILNS1_17partition_subalgoE9EllbEEZZNS1_14partition_implILS5_9ELb0ES3_jPlS8_PNS0_10empty_typeENS0_5tupleIJS8_S9_EEENSB_IJS8_SA_EEENS0_18inequality_wrapperIZN2at6native12_GLOBAL__N_124unique_dim_cuda_templateIN3c108BFloat16EEESt5tupleIJNSF_6TensorESM_SM_EERKSM_lbbbEUlllE0_EEPmJS9_EEE10hipError_tPvRmT3_T4_T5_T6_T7_T9_mT8_P12ihipStream_tbDpT10_ENKUlT_T0_E_clISt17integral_constantIbLb1EES1B_IbLb0EEEEDaS17_S18_EUlS17_E_NS1_11comp_targetILNS1_3genE0ELNS1_11target_archE4294967295ELNS1_3gpuE0ELNS1_3repE0EEENS1_30default_config_static_selectorELNS0_4arch9wavefront6targetE1EEEvT1_,"axG",@progbits,_ZN7rocprim17ROCPRIM_400000_NS6detail17trampoline_kernelINS0_14default_configENS1_25partition_config_selectorILNS1_17partition_subalgoE9EllbEEZZNS1_14partition_implILS5_9ELb0ES3_jPlS8_PNS0_10empty_typeENS0_5tupleIJS8_S9_EEENSB_IJS8_SA_EEENS0_18inequality_wrapperIZN2at6native12_GLOBAL__N_124unique_dim_cuda_templateIN3c108BFloat16EEESt5tupleIJNSF_6TensorESM_SM_EERKSM_lbbbEUlllE0_EEPmJS9_EEE10hipError_tPvRmT3_T4_T5_T6_T7_T9_mT8_P12ihipStream_tbDpT10_ENKUlT_T0_E_clISt17integral_constantIbLb1EES1B_IbLb0EEEEDaS17_S18_EUlS17_E_NS1_11comp_targetILNS1_3genE0ELNS1_11target_archE4294967295ELNS1_3gpuE0ELNS1_3repE0EEENS1_30default_config_static_selectorELNS0_4arch9wavefront6targetE1EEEvT1_,comdat
.Lfunc_end1222:
	.size	_ZN7rocprim17ROCPRIM_400000_NS6detail17trampoline_kernelINS0_14default_configENS1_25partition_config_selectorILNS1_17partition_subalgoE9EllbEEZZNS1_14partition_implILS5_9ELb0ES3_jPlS8_PNS0_10empty_typeENS0_5tupleIJS8_S9_EEENSB_IJS8_SA_EEENS0_18inequality_wrapperIZN2at6native12_GLOBAL__N_124unique_dim_cuda_templateIN3c108BFloat16EEESt5tupleIJNSF_6TensorESM_SM_EERKSM_lbbbEUlllE0_EEPmJS9_EEE10hipError_tPvRmT3_T4_T5_T6_T7_T9_mT8_P12ihipStream_tbDpT10_ENKUlT_T0_E_clISt17integral_constantIbLb1EES1B_IbLb0EEEEDaS17_S18_EUlS17_E_NS1_11comp_targetILNS1_3genE0ELNS1_11target_archE4294967295ELNS1_3gpuE0ELNS1_3repE0EEENS1_30default_config_static_selectorELNS0_4arch9wavefront6targetE1EEEvT1_, .Lfunc_end1222-_ZN7rocprim17ROCPRIM_400000_NS6detail17trampoline_kernelINS0_14default_configENS1_25partition_config_selectorILNS1_17partition_subalgoE9EllbEEZZNS1_14partition_implILS5_9ELb0ES3_jPlS8_PNS0_10empty_typeENS0_5tupleIJS8_S9_EEENSB_IJS8_SA_EEENS0_18inequality_wrapperIZN2at6native12_GLOBAL__N_124unique_dim_cuda_templateIN3c108BFloat16EEESt5tupleIJNSF_6TensorESM_SM_EERKSM_lbbbEUlllE0_EEPmJS9_EEE10hipError_tPvRmT3_T4_T5_T6_T7_T9_mT8_P12ihipStream_tbDpT10_ENKUlT_T0_E_clISt17integral_constantIbLb1EES1B_IbLb0EEEEDaS17_S18_EUlS17_E_NS1_11comp_targetILNS1_3genE0ELNS1_11target_archE4294967295ELNS1_3gpuE0ELNS1_3repE0EEENS1_30default_config_static_selectorELNS0_4arch9wavefront6targetE1EEEvT1_
                                        ; -- End function
	.set _ZN7rocprim17ROCPRIM_400000_NS6detail17trampoline_kernelINS0_14default_configENS1_25partition_config_selectorILNS1_17partition_subalgoE9EllbEEZZNS1_14partition_implILS5_9ELb0ES3_jPlS8_PNS0_10empty_typeENS0_5tupleIJS8_S9_EEENSB_IJS8_SA_EEENS0_18inequality_wrapperIZN2at6native12_GLOBAL__N_124unique_dim_cuda_templateIN3c108BFloat16EEESt5tupleIJNSF_6TensorESM_SM_EERKSM_lbbbEUlllE0_EEPmJS9_EEE10hipError_tPvRmT3_T4_T5_T6_T7_T9_mT8_P12ihipStream_tbDpT10_ENKUlT_T0_E_clISt17integral_constantIbLb1EES1B_IbLb0EEEEDaS17_S18_EUlS17_E_NS1_11comp_targetILNS1_3genE0ELNS1_11target_archE4294967295ELNS1_3gpuE0ELNS1_3repE0EEENS1_30default_config_static_selectorELNS0_4arch9wavefront6targetE1EEEvT1_.num_vgpr, 0
	.set _ZN7rocprim17ROCPRIM_400000_NS6detail17trampoline_kernelINS0_14default_configENS1_25partition_config_selectorILNS1_17partition_subalgoE9EllbEEZZNS1_14partition_implILS5_9ELb0ES3_jPlS8_PNS0_10empty_typeENS0_5tupleIJS8_S9_EEENSB_IJS8_SA_EEENS0_18inequality_wrapperIZN2at6native12_GLOBAL__N_124unique_dim_cuda_templateIN3c108BFloat16EEESt5tupleIJNSF_6TensorESM_SM_EERKSM_lbbbEUlllE0_EEPmJS9_EEE10hipError_tPvRmT3_T4_T5_T6_T7_T9_mT8_P12ihipStream_tbDpT10_ENKUlT_T0_E_clISt17integral_constantIbLb1EES1B_IbLb0EEEEDaS17_S18_EUlS17_E_NS1_11comp_targetILNS1_3genE0ELNS1_11target_archE4294967295ELNS1_3gpuE0ELNS1_3repE0EEENS1_30default_config_static_selectorELNS0_4arch9wavefront6targetE1EEEvT1_.num_agpr, 0
	.set _ZN7rocprim17ROCPRIM_400000_NS6detail17trampoline_kernelINS0_14default_configENS1_25partition_config_selectorILNS1_17partition_subalgoE9EllbEEZZNS1_14partition_implILS5_9ELb0ES3_jPlS8_PNS0_10empty_typeENS0_5tupleIJS8_S9_EEENSB_IJS8_SA_EEENS0_18inequality_wrapperIZN2at6native12_GLOBAL__N_124unique_dim_cuda_templateIN3c108BFloat16EEESt5tupleIJNSF_6TensorESM_SM_EERKSM_lbbbEUlllE0_EEPmJS9_EEE10hipError_tPvRmT3_T4_T5_T6_T7_T9_mT8_P12ihipStream_tbDpT10_ENKUlT_T0_E_clISt17integral_constantIbLb1EES1B_IbLb0EEEEDaS17_S18_EUlS17_E_NS1_11comp_targetILNS1_3genE0ELNS1_11target_archE4294967295ELNS1_3gpuE0ELNS1_3repE0EEENS1_30default_config_static_selectorELNS0_4arch9wavefront6targetE1EEEvT1_.numbered_sgpr, 0
	.set _ZN7rocprim17ROCPRIM_400000_NS6detail17trampoline_kernelINS0_14default_configENS1_25partition_config_selectorILNS1_17partition_subalgoE9EllbEEZZNS1_14partition_implILS5_9ELb0ES3_jPlS8_PNS0_10empty_typeENS0_5tupleIJS8_S9_EEENSB_IJS8_SA_EEENS0_18inequality_wrapperIZN2at6native12_GLOBAL__N_124unique_dim_cuda_templateIN3c108BFloat16EEESt5tupleIJNSF_6TensorESM_SM_EERKSM_lbbbEUlllE0_EEPmJS9_EEE10hipError_tPvRmT3_T4_T5_T6_T7_T9_mT8_P12ihipStream_tbDpT10_ENKUlT_T0_E_clISt17integral_constantIbLb1EES1B_IbLb0EEEEDaS17_S18_EUlS17_E_NS1_11comp_targetILNS1_3genE0ELNS1_11target_archE4294967295ELNS1_3gpuE0ELNS1_3repE0EEENS1_30default_config_static_selectorELNS0_4arch9wavefront6targetE1EEEvT1_.num_named_barrier, 0
	.set _ZN7rocprim17ROCPRIM_400000_NS6detail17trampoline_kernelINS0_14default_configENS1_25partition_config_selectorILNS1_17partition_subalgoE9EllbEEZZNS1_14partition_implILS5_9ELb0ES3_jPlS8_PNS0_10empty_typeENS0_5tupleIJS8_S9_EEENSB_IJS8_SA_EEENS0_18inequality_wrapperIZN2at6native12_GLOBAL__N_124unique_dim_cuda_templateIN3c108BFloat16EEESt5tupleIJNSF_6TensorESM_SM_EERKSM_lbbbEUlllE0_EEPmJS9_EEE10hipError_tPvRmT3_T4_T5_T6_T7_T9_mT8_P12ihipStream_tbDpT10_ENKUlT_T0_E_clISt17integral_constantIbLb1EES1B_IbLb0EEEEDaS17_S18_EUlS17_E_NS1_11comp_targetILNS1_3genE0ELNS1_11target_archE4294967295ELNS1_3gpuE0ELNS1_3repE0EEENS1_30default_config_static_selectorELNS0_4arch9wavefront6targetE1EEEvT1_.private_seg_size, 0
	.set _ZN7rocprim17ROCPRIM_400000_NS6detail17trampoline_kernelINS0_14default_configENS1_25partition_config_selectorILNS1_17partition_subalgoE9EllbEEZZNS1_14partition_implILS5_9ELb0ES3_jPlS8_PNS0_10empty_typeENS0_5tupleIJS8_S9_EEENSB_IJS8_SA_EEENS0_18inequality_wrapperIZN2at6native12_GLOBAL__N_124unique_dim_cuda_templateIN3c108BFloat16EEESt5tupleIJNSF_6TensorESM_SM_EERKSM_lbbbEUlllE0_EEPmJS9_EEE10hipError_tPvRmT3_T4_T5_T6_T7_T9_mT8_P12ihipStream_tbDpT10_ENKUlT_T0_E_clISt17integral_constantIbLb1EES1B_IbLb0EEEEDaS17_S18_EUlS17_E_NS1_11comp_targetILNS1_3genE0ELNS1_11target_archE4294967295ELNS1_3gpuE0ELNS1_3repE0EEENS1_30default_config_static_selectorELNS0_4arch9wavefront6targetE1EEEvT1_.uses_vcc, 0
	.set _ZN7rocprim17ROCPRIM_400000_NS6detail17trampoline_kernelINS0_14default_configENS1_25partition_config_selectorILNS1_17partition_subalgoE9EllbEEZZNS1_14partition_implILS5_9ELb0ES3_jPlS8_PNS0_10empty_typeENS0_5tupleIJS8_S9_EEENSB_IJS8_SA_EEENS0_18inequality_wrapperIZN2at6native12_GLOBAL__N_124unique_dim_cuda_templateIN3c108BFloat16EEESt5tupleIJNSF_6TensorESM_SM_EERKSM_lbbbEUlllE0_EEPmJS9_EEE10hipError_tPvRmT3_T4_T5_T6_T7_T9_mT8_P12ihipStream_tbDpT10_ENKUlT_T0_E_clISt17integral_constantIbLb1EES1B_IbLb0EEEEDaS17_S18_EUlS17_E_NS1_11comp_targetILNS1_3genE0ELNS1_11target_archE4294967295ELNS1_3gpuE0ELNS1_3repE0EEENS1_30default_config_static_selectorELNS0_4arch9wavefront6targetE1EEEvT1_.uses_flat_scratch, 0
	.set _ZN7rocprim17ROCPRIM_400000_NS6detail17trampoline_kernelINS0_14default_configENS1_25partition_config_selectorILNS1_17partition_subalgoE9EllbEEZZNS1_14partition_implILS5_9ELb0ES3_jPlS8_PNS0_10empty_typeENS0_5tupleIJS8_S9_EEENSB_IJS8_SA_EEENS0_18inequality_wrapperIZN2at6native12_GLOBAL__N_124unique_dim_cuda_templateIN3c108BFloat16EEESt5tupleIJNSF_6TensorESM_SM_EERKSM_lbbbEUlllE0_EEPmJS9_EEE10hipError_tPvRmT3_T4_T5_T6_T7_T9_mT8_P12ihipStream_tbDpT10_ENKUlT_T0_E_clISt17integral_constantIbLb1EES1B_IbLb0EEEEDaS17_S18_EUlS17_E_NS1_11comp_targetILNS1_3genE0ELNS1_11target_archE4294967295ELNS1_3gpuE0ELNS1_3repE0EEENS1_30default_config_static_selectorELNS0_4arch9wavefront6targetE1EEEvT1_.has_dyn_sized_stack, 0
	.set _ZN7rocprim17ROCPRIM_400000_NS6detail17trampoline_kernelINS0_14default_configENS1_25partition_config_selectorILNS1_17partition_subalgoE9EllbEEZZNS1_14partition_implILS5_9ELb0ES3_jPlS8_PNS0_10empty_typeENS0_5tupleIJS8_S9_EEENSB_IJS8_SA_EEENS0_18inequality_wrapperIZN2at6native12_GLOBAL__N_124unique_dim_cuda_templateIN3c108BFloat16EEESt5tupleIJNSF_6TensorESM_SM_EERKSM_lbbbEUlllE0_EEPmJS9_EEE10hipError_tPvRmT3_T4_T5_T6_T7_T9_mT8_P12ihipStream_tbDpT10_ENKUlT_T0_E_clISt17integral_constantIbLb1EES1B_IbLb0EEEEDaS17_S18_EUlS17_E_NS1_11comp_targetILNS1_3genE0ELNS1_11target_archE4294967295ELNS1_3gpuE0ELNS1_3repE0EEENS1_30default_config_static_selectorELNS0_4arch9wavefront6targetE1EEEvT1_.has_recursion, 0
	.set _ZN7rocprim17ROCPRIM_400000_NS6detail17trampoline_kernelINS0_14default_configENS1_25partition_config_selectorILNS1_17partition_subalgoE9EllbEEZZNS1_14partition_implILS5_9ELb0ES3_jPlS8_PNS0_10empty_typeENS0_5tupleIJS8_S9_EEENSB_IJS8_SA_EEENS0_18inequality_wrapperIZN2at6native12_GLOBAL__N_124unique_dim_cuda_templateIN3c108BFloat16EEESt5tupleIJNSF_6TensorESM_SM_EERKSM_lbbbEUlllE0_EEPmJS9_EEE10hipError_tPvRmT3_T4_T5_T6_T7_T9_mT8_P12ihipStream_tbDpT10_ENKUlT_T0_E_clISt17integral_constantIbLb1EES1B_IbLb0EEEEDaS17_S18_EUlS17_E_NS1_11comp_targetILNS1_3genE0ELNS1_11target_archE4294967295ELNS1_3gpuE0ELNS1_3repE0EEENS1_30default_config_static_selectorELNS0_4arch9wavefront6targetE1EEEvT1_.has_indirect_call, 0
	.section	.AMDGPU.csdata,"",@progbits
; Kernel info:
; codeLenInByte = 4
; TotalNumSgprs: 6
; NumVgprs: 0
; NumAgprs: 0
; TotalNumVgprs: 0
; ScratchSize: 0
; MemoryBound: 0
; FloatMode: 240
; IeeeMode: 1
; LDSByteSize: 0 bytes/workgroup (compile time only)
; SGPRBlocks: 0
; VGPRBlocks: 0
; NumSGPRsForWavesPerEU: 6
; NumVGPRsForWavesPerEU: 1
; AccumOffset: 4
; Occupancy: 8
; WaveLimiterHint : 0
; COMPUTE_PGM_RSRC2:SCRATCH_EN: 0
; COMPUTE_PGM_RSRC2:USER_SGPR: 2
; COMPUTE_PGM_RSRC2:TRAP_HANDLER: 0
; COMPUTE_PGM_RSRC2:TGID_X_EN: 1
; COMPUTE_PGM_RSRC2:TGID_Y_EN: 0
; COMPUTE_PGM_RSRC2:TGID_Z_EN: 0
; COMPUTE_PGM_RSRC2:TIDIG_COMP_CNT: 0
; COMPUTE_PGM_RSRC3_GFX90A:ACCUM_OFFSET: 0
; COMPUTE_PGM_RSRC3_GFX90A:TG_SPLIT: 0
	.section	.text._ZN7rocprim17ROCPRIM_400000_NS6detail17trampoline_kernelINS0_14default_configENS1_25partition_config_selectorILNS1_17partition_subalgoE9EllbEEZZNS1_14partition_implILS5_9ELb0ES3_jPlS8_PNS0_10empty_typeENS0_5tupleIJS8_S9_EEENSB_IJS8_SA_EEENS0_18inequality_wrapperIZN2at6native12_GLOBAL__N_124unique_dim_cuda_templateIN3c108BFloat16EEESt5tupleIJNSF_6TensorESM_SM_EERKSM_lbbbEUlllE0_EEPmJS9_EEE10hipError_tPvRmT3_T4_T5_T6_T7_T9_mT8_P12ihipStream_tbDpT10_ENKUlT_T0_E_clISt17integral_constantIbLb1EES1B_IbLb0EEEEDaS17_S18_EUlS17_E_NS1_11comp_targetILNS1_3genE5ELNS1_11target_archE942ELNS1_3gpuE9ELNS1_3repE0EEENS1_30default_config_static_selectorELNS0_4arch9wavefront6targetE1EEEvT1_,"axG",@progbits,_ZN7rocprim17ROCPRIM_400000_NS6detail17trampoline_kernelINS0_14default_configENS1_25partition_config_selectorILNS1_17partition_subalgoE9EllbEEZZNS1_14partition_implILS5_9ELb0ES3_jPlS8_PNS0_10empty_typeENS0_5tupleIJS8_S9_EEENSB_IJS8_SA_EEENS0_18inequality_wrapperIZN2at6native12_GLOBAL__N_124unique_dim_cuda_templateIN3c108BFloat16EEESt5tupleIJNSF_6TensorESM_SM_EERKSM_lbbbEUlllE0_EEPmJS9_EEE10hipError_tPvRmT3_T4_T5_T6_T7_T9_mT8_P12ihipStream_tbDpT10_ENKUlT_T0_E_clISt17integral_constantIbLb1EES1B_IbLb0EEEEDaS17_S18_EUlS17_E_NS1_11comp_targetILNS1_3genE5ELNS1_11target_archE942ELNS1_3gpuE9ELNS1_3repE0EEENS1_30default_config_static_selectorELNS0_4arch9wavefront6targetE1EEEvT1_,comdat
	.globl	_ZN7rocprim17ROCPRIM_400000_NS6detail17trampoline_kernelINS0_14default_configENS1_25partition_config_selectorILNS1_17partition_subalgoE9EllbEEZZNS1_14partition_implILS5_9ELb0ES3_jPlS8_PNS0_10empty_typeENS0_5tupleIJS8_S9_EEENSB_IJS8_SA_EEENS0_18inequality_wrapperIZN2at6native12_GLOBAL__N_124unique_dim_cuda_templateIN3c108BFloat16EEESt5tupleIJNSF_6TensorESM_SM_EERKSM_lbbbEUlllE0_EEPmJS9_EEE10hipError_tPvRmT3_T4_T5_T6_T7_T9_mT8_P12ihipStream_tbDpT10_ENKUlT_T0_E_clISt17integral_constantIbLb1EES1B_IbLb0EEEEDaS17_S18_EUlS17_E_NS1_11comp_targetILNS1_3genE5ELNS1_11target_archE942ELNS1_3gpuE9ELNS1_3repE0EEENS1_30default_config_static_selectorELNS0_4arch9wavefront6targetE1EEEvT1_ ; -- Begin function _ZN7rocprim17ROCPRIM_400000_NS6detail17trampoline_kernelINS0_14default_configENS1_25partition_config_selectorILNS1_17partition_subalgoE9EllbEEZZNS1_14partition_implILS5_9ELb0ES3_jPlS8_PNS0_10empty_typeENS0_5tupleIJS8_S9_EEENSB_IJS8_SA_EEENS0_18inequality_wrapperIZN2at6native12_GLOBAL__N_124unique_dim_cuda_templateIN3c108BFloat16EEESt5tupleIJNSF_6TensorESM_SM_EERKSM_lbbbEUlllE0_EEPmJS9_EEE10hipError_tPvRmT3_T4_T5_T6_T7_T9_mT8_P12ihipStream_tbDpT10_ENKUlT_T0_E_clISt17integral_constantIbLb1EES1B_IbLb0EEEEDaS17_S18_EUlS17_E_NS1_11comp_targetILNS1_3genE5ELNS1_11target_archE942ELNS1_3gpuE9ELNS1_3repE0EEENS1_30default_config_static_selectorELNS0_4arch9wavefront6targetE1EEEvT1_
	.p2align	8
	.type	_ZN7rocprim17ROCPRIM_400000_NS6detail17trampoline_kernelINS0_14default_configENS1_25partition_config_selectorILNS1_17partition_subalgoE9EllbEEZZNS1_14partition_implILS5_9ELb0ES3_jPlS8_PNS0_10empty_typeENS0_5tupleIJS8_S9_EEENSB_IJS8_SA_EEENS0_18inequality_wrapperIZN2at6native12_GLOBAL__N_124unique_dim_cuda_templateIN3c108BFloat16EEESt5tupleIJNSF_6TensorESM_SM_EERKSM_lbbbEUlllE0_EEPmJS9_EEE10hipError_tPvRmT3_T4_T5_T6_T7_T9_mT8_P12ihipStream_tbDpT10_ENKUlT_T0_E_clISt17integral_constantIbLb1EES1B_IbLb0EEEEDaS17_S18_EUlS17_E_NS1_11comp_targetILNS1_3genE5ELNS1_11target_archE942ELNS1_3gpuE9ELNS1_3repE0EEENS1_30default_config_static_selectorELNS0_4arch9wavefront6targetE1EEEvT1_,@function
_ZN7rocprim17ROCPRIM_400000_NS6detail17trampoline_kernelINS0_14default_configENS1_25partition_config_selectorILNS1_17partition_subalgoE9EllbEEZZNS1_14partition_implILS5_9ELb0ES3_jPlS8_PNS0_10empty_typeENS0_5tupleIJS8_S9_EEENSB_IJS8_SA_EEENS0_18inequality_wrapperIZN2at6native12_GLOBAL__N_124unique_dim_cuda_templateIN3c108BFloat16EEESt5tupleIJNSF_6TensorESM_SM_EERKSM_lbbbEUlllE0_EEPmJS9_EEE10hipError_tPvRmT3_T4_T5_T6_T7_T9_mT8_P12ihipStream_tbDpT10_ENKUlT_T0_E_clISt17integral_constantIbLb1EES1B_IbLb0EEEEDaS17_S18_EUlS17_E_NS1_11comp_targetILNS1_3genE5ELNS1_11target_archE942ELNS1_3gpuE9ELNS1_3repE0EEENS1_30default_config_static_selectorELNS0_4arch9wavefront6targetE1EEEvT1_: ; @_ZN7rocprim17ROCPRIM_400000_NS6detail17trampoline_kernelINS0_14default_configENS1_25partition_config_selectorILNS1_17partition_subalgoE9EllbEEZZNS1_14partition_implILS5_9ELb0ES3_jPlS8_PNS0_10empty_typeENS0_5tupleIJS8_S9_EEENSB_IJS8_SA_EEENS0_18inequality_wrapperIZN2at6native12_GLOBAL__N_124unique_dim_cuda_templateIN3c108BFloat16EEESt5tupleIJNSF_6TensorESM_SM_EERKSM_lbbbEUlllE0_EEPmJS9_EEE10hipError_tPvRmT3_T4_T5_T6_T7_T9_mT8_P12ihipStream_tbDpT10_ENKUlT_T0_E_clISt17integral_constantIbLb1EES1B_IbLb0EEEEDaS17_S18_EUlS17_E_NS1_11comp_targetILNS1_3genE5ELNS1_11target_archE942ELNS1_3gpuE9ELNS1_3repE0EEENS1_30default_config_static_selectorELNS0_4arch9wavefront6targetE1EEEvT1_
; %bb.0:
	.section	.rodata,"a",@progbits
	.p2align	6, 0x0
	.amdhsa_kernel _ZN7rocprim17ROCPRIM_400000_NS6detail17trampoline_kernelINS0_14default_configENS1_25partition_config_selectorILNS1_17partition_subalgoE9EllbEEZZNS1_14partition_implILS5_9ELb0ES3_jPlS8_PNS0_10empty_typeENS0_5tupleIJS8_S9_EEENSB_IJS8_SA_EEENS0_18inequality_wrapperIZN2at6native12_GLOBAL__N_124unique_dim_cuda_templateIN3c108BFloat16EEESt5tupleIJNSF_6TensorESM_SM_EERKSM_lbbbEUlllE0_EEPmJS9_EEE10hipError_tPvRmT3_T4_T5_T6_T7_T9_mT8_P12ihipStream_tbDpT10_ENKUlT_T0_E_clISt17integral_constantIbLb1EES1B_IbLb0EEEEDaS17_S18_EUlS17_E_NS1_11comp_targetILNS1_3genE5ELNS1_11target_archE942ELNS1_3gpuE9ELNS1_3repE0EEENS1_30default_config_static_selectorELNS0_4arch9wavefront6targetE1EEEvT1_
		.amdhsa_group_segment_fixed_size 0
		.amdhsa_private_segment_fixed_size 0
		.amdhsa_kernarg_size 120
		.amdhsa_user_sgpr_count 2
		.amdhsa_user_sgpr_dispatch_ptr 0
		.amdhsa_user_sgpr_queue_ptr 0
		.amdhsa_user_sgpr_kernarg_segment_ptr 1
		.amdhsa_user_sgpr_dispatch_id 0
		.amdhsa_user_sgpr_kernarg_preload_length 0
		.amdhsa_user_sgpr_kernarg_preload_offset 0
		.amdhsa_user_sgpr_private_segment_size 0
		.amdhsa_uses_dynamic_stack 0
		.amdhsa_enable_private_segment 0
		.amdhsa_system_sgpr_workgroup_id_x 1
		.amdhsa_system_sgpr_workgroup_id_y 0
		.amdhsa_system_sgpr_workgroup_id_z 0
		.amdhsa_system_sgpr_workgroup_info 0
		.amdhsa_system_vgpr_workitem_id 0
		.amdhsa_next_free_vgpr 1
		.amdhsa_next_free_sgpr 0
		.amdhsa_accum_offset 4
		.amdhsa_reserve_vcc 0
		.amdhsa_float_round_mode_32 0
		.amdhsa_float_round_mode_16_64 0
		.amdhsa_float_denorm_mode_32 3
		.amdhsa_float_denorm_mode_16_64 3
		.amdhsa_dx10_clamp 1
		.amdhsa_ieee_mode 1
		.amdhsa_fp16_overflow 0
		.amdhsa_tg_split 0
		.amdhsa_exception_fp_ieee_invalid_op 0
		.amdhsa_exception_fp_denorm_src 0
		.amdhsa_exception_fp_ieee_div_zero 0
		.amdhsa_exception_fp_ieee_overflow 0
		.amdhsa_exception_fp_ieee_underflow 0
		.amdhsa_exception_fp_ieee_inexact 0
		.amdhsa_exception_int_div_zero 0
	.end_amdhsa_kernel
	.section	.text._ZN7rocprim17ROCPRIM_400000_NS6detail17trampoline_kernelINS0_14default_configENS1_25partition_config_selectorILNS1_17partition_subalgoE9EllbEEZZNS1_14partition_implILS5_9ELb0ES3_jPlS8_PNS0_10empty_typeENS0_5tupleIJS8_S9_EEENSB_IJS8_SA_EEENS0_18inequality_wrapperIZN2at6native12_GLOBAL__N_124unique_dim_cuda_templateIN3c108BFloat16EEESt5tupleIJNSF_6TensorESM_SM_EERKSM_lbbbEUlllE0_EEPmJS9_EEE10hipError_tPvRmT3_T4_T5_T6_T7_T9_mT8_P12ihipStream_tbDpT10_ENKUlT_T0_E_clISt17integral_constantIbLb1EES1B_IbLb0EEEEDaS17_S18_EUlS17_E_NS1_11comp_targetILNS1_3genE5ELNS1_11target_archE942ELNS1_3gpuE9ELNS1_3repE0EEENS1_30default_config_static_selectorELNS0_4arch9wavefront6targetE1EEEvT1_,"axG",@progbits,_ZN7rocprim17ROCPRIM_400000_NS6detail17trampoline_kernelINS0_14default_configENS1_25partition_config_selectorILNS1_17partition_subalgoE9EllbEEZZNS1_14partition_implILS5_9ELb0ES3_jPlS8_PNS0_10empty_typeENS0_5tupleIJS8_S9_EEENSB_IJS8_SA_EEENS0_18inequality_wrapperIZN2at6native12_GLOBAL__N_124unique_dim_cuda_templateIN3c108BFloat16EEESt5tupleIJNSF_6TensorESM_SM_EERKSM_lbbbEUlllE0_EEPmJS9_EEE10hipError_tPvRmT3_T4_T5_T6_T7_T9_mT8_P12ihipStream_tbDpT10_ENKUlT_T0_E_clISt17integral_constantIbLb1EES1B_IbLb0EEEEDaS17_S18_EUlS17_E_NS1_11comp_targetILNS1_3genE5ELNS1_11target_archE942ELNS1_3gpuE9ELNS1_3repE0EEENS1_30default_config_static_selectorELNS0_4arch9wavefront6targetE1EEEvT1_,comdat
.Lfunc_end1223:
	.size	_ZN7rocprim17ROCPRIM_400000_NS6detail17trampoline_kernelINS0_14default_configENS1_25partition_config_selectorILNS1_17partition_subalgoE9EllbEEZZNS1_14partition_implILS5_9ELb0ES3_jPlS8_PNS0_10empty_typeENS0_5tupleIJS8_S9_EEENSB_IJS8_SA_EEENS0_18inequality_wrapperIZN2at6native12_GLOBAL__N_124unique_dim_cuda_templateIN3c108BFloat16EEESt5tupleIJNSF_6TensorESM_SM_EERKSM_lbbbEUlllE0_EEPmJS9_EEE10hipError_tPvRmT3_T4_T5_T6_T7_T9_mT8_P12ihipStream_tbDpT10_ENKUlT_T0_E_clISt17integral_constantIbLb1EES1B_IbLb0EEEEDaS17_S18_EUlS17_E_NS1_11comp_targetILNS1_3genE5ELNS1_11target_archE942ELNS1_3gpuE9ELNS1_3repE0EEENS1_30default_config_static_selectorELNS0_4arch9wavefront6targetE1EEEvT1_, .Lfunc_end1223-_ZN7rocprim17ROCPRIM_400000_NS6detail17trampoline_kernelINS0_14default_configENS1_25partition_config_selectorILNS1_17partition_subalgoE9EllbEEZZNS1_14partition_implILS5_9ELb0ES3_jPlS8_PNS0_10empty_typeENS0_5tupleIJS8_S9_EEENSB_IJS8_SA_EEENS0_18inequality_wrapperIZN2at6native12_GLOBAL__N_124unique_dim_cuda_templateIN3c108BFloat16EEESt5tupleIJNSF_6TensorESM_SM_EERKSM_lbbbEUlllE0_EEPmJS9_EEE10hipError_tPvRmT3_T4_T5_T6_T7_T9_mT8_P12ihipStream_tbDpT10_ENKUlT_T0_E_clISt17integral_constantIbLb1EES1B_IbLb0EEEEDaS17_S18_EUlS17_E_NS1_11comp_targetILNS1_3genE5ELNS1_11target_archE942ELNS1_3gpuE9ELNS1_3repE0EEENS1_30default_config_static_selectorELNS0_4arch9wavefront6targetE1EEEvT1_
                                        ; -- End function
	.set _ZN7rocprim17ROCPRIM_400000_NS6detail17trampoline_kernelINS0_14default_configENS1_25partition_config_selectorILNS1_17partition_subalgoE9EllbEEZZNS1_14partition_implILS5_9ELb0ES3_jPlS8_PNS0_10empty_typeENS0_5tupleIJS8_S9_EEENSB_IJS8_SA_EEENS0_18inequality_wrapperIZN2at6native12_GLOBAL__N_124unique_dim_cuda_templateIN3c108BFloat16EEESt5tupleIJNSF_6TensorESM_SM_EERKSM_lbbbEUlllE0_EEPmJS9_EEE10hipError_tPvRmT3_T4_T5_T6_T7_T9_mT8_P12ihipStream_tbDpT10_ENKUlT_T0_E_clISt17integral_constantIbLb1EES1B_IbLb0EEEEDaS17_S18_EUlS17_E_NS1_11comp_targetILNS1_3genE5ELNS1_11target_archE942ELNS1_3gpuE9ELNS1_3repE0EEENS1_30default_config_static_selectorELNS0_4arch9wavefront6targetE1EEEvT1_.num_vgpr, 0
	.set _ZN7rocprim17ROCPRIM_400000_NS6detail17trampoline_kernelINS0_14default_configENS1_25partition_config_selectorILNS1_17partition_subalgoE9EllbEEZZNS1_14partition_implILS5_9ELb0ES3_jPlS8_PNS0_10empty_typeENS0_5tupleIJS8_S9_EEENSB_IJS8_SA_EEENS0_18inequality_wrapperIZN2at6native12_GLOBAL__N_124unique_dim_cuda_templateIN3c108BFloat16EEESt5tupleIJNSF_6TensorESM_SM_EERKSM_lbbbEUlllE0_EEPmJS9_EEE10hipError_tPvRmT3_T4_T5_T6_T7_T9_mT8_P12ihipStream_tbDpT10_ENKUlT_T0_E_clISt17integral_constantIbLb1EES1B_IbLb0EEEEDaS17_S18_EUlS17_E_NS1_11comp_targetILNS1_3genE5ELNS1_11target_archE942ELNS1_3gpuE9ELNS1_3repE0EEENS1_30default_config_static_selectorELNS0_4arch9wavefront6targetE1EEEvT1_.num_agpr, 0
	.set _ZN7rocprim17ROCPRIM_400000_NS6detail17trampoline_kernelINS0_14default_configENS1_25partition_config_selectorILNS1_17partition_subalgoE9EllbEEZZNS1_14partition_implILS5_9ELb0ES3_jPlS8_PNS0_10empty_typeENS0_5tupleIJS8_S9_EEENSB_IJS8_SA_EEENS0_18inequality_wrapperIZN2at6native12_GLOBAL__N_124unique_dim_cuda_templateIN3c108BFloat16EEESt5tupleIJNSF_6TensorESM_SM_EERKSM_lbbbEUlllE0_EEPmJS9_EEE10hipError_tPvRmT3_T4_T5_T6_T7_T9_mT8_P12ihipStream_tbDpT10_ENKUlT_T0_E_clISt17integral_constantIbLb1EES1B_IbLb0EEEEDaS17_S18_EUlS17_E_NS1_11comp_targetILNS1_3genE5ELNS1_11target_archE942ELNS1_3gpuE9ELNS1_3repE0EEENS1_30default_config_static_selectorELNS0_4arch9wavefront6targetE1EEEvT1_.numbered_sgpr, 0
	.set _ZN7rocprim17ROCPRIM_400000_NS6detail17trampoline_kernelINS0_14default_configENS1_25partition_config_selectorILNS1_17partition_subalgoE9EllbEEZZNS1_14partition_implILS5_9ELb0ES3_jPlS8_PNS0_10empty_typeENS0_5tupleIJS8_S9_EEENSB_IJS8_SA_EEENS0_18inequality_wrapperIZN2at6native12_GLOBAL__N_124unique_dim_cuda_templateIN3c108BFloat16EEESt5tupleIJNSF_6TensorESM_SM_EERKSM_lbbbEUlllE0_EEPmJS9_EEE10hipError_tPvRmT3_T4_T5_T6_T7_T9_mT8_P12ihipStream_tbDpT10_ENKUlT_T0_E_clISt17integral_constantIbLb1EES1B_IbLb0EEEEDaS17_S18_EUlS17_E_NS1_11comp_targetILNS1_3genE5ELNS1_11target_archE942ELNS1_3gpuE9ELNS1_3repE0EEENS1_30default_config_static_selectorELNS0_4arch9wavefront6targetE1EEEvT1_.num_named_barrier, 0
	.set _ZN7rocprim17ROCPRIM_400000_NS6detail17trampoline_kernelINS0_14default_configENS1_25partition_config_selectorILNS1_17partition_subalgoE9EllbEEZZNS1_14partition_implILS5_9ELb0ES3_jPlS8_PNS0_10empty_typeENS0_5tupleIJS8_S9_EEENSB_IJS8_SA_EEENS0_18inequality_wrapperIZN2at6native12_GLOBAL__N_124unique_dim_cuda_templateIN3c108BFloat16EEESt5tupleIJNSF_6TensorESM_SM_EERKSM_lbbbEUlllE0_EEPmJS9_EEE10hipError_tPvRmT3_T4_T5_T6_T7_T9_mT8_P12ihipStream_tbDpT10_ENKUlT_T0_E_clISt17integral_constantIbLb1EES1B_IbLb0EEEEDaS17_S18_EUlS17_E_NS1_11comp_targetILNS1_3genE5ELNS1_11target_archE942ELNS1_3gpuE9ELNS1_3repE0EEENS1_30default_config_static_selectorELNS0_4arch9wavefront6targetE1EEEvT1_.private_seg_size, 0
	.set _ZN7rocprim17ROCPRIM_400000_NS6detail17trampoline_kernelINS0_14default_configENS1_25partition_config_selectorILNS1_17partition_subalgoE9EllbEEZZNS1_14partition_implILS5_9ELb0ES3_jPlS8_PNS0_10empty_typeENS0_5tupleIJS8_S9_EEENSB_IJS8_SA_EEENS0_18inequality_wrapperIZN2at6native12_GLOBAL__N_124unique_dim_cuda_templateIN3c108BFloat16EEESt5tupleIJNSF_6TensorESM_SM_EERKSM_lbbbEUlllE0_EEPmJS9_EEE10hipError_tPvRmT3_T4_T5_T6_T7_T9_mT8_P12ihipStream_tbDpT10_ENKUlT_T0_E_clISt17integral_constantIbLb1EES1B_IbLb0EEEEDaS17_S18_EUlS17_E_NS1_11comp_targetILNS1_3genE5ELNS1_11target_archE942ELNS1_3gpuE9ELNS1_3repE0EEENS1_30default_config_static_selectorELNS0_4arch9wavefront6targetE1EEEvT1_.uses_vcc, 0
	.set _ZN7rocprim17ROCPRIM_400000_NS6detail17trampoline_kernelINS0_14default_configENS1_25partition_config_selectorILNS1_17partition_subalgoE9EllbEEZZNS1_14partition_implILS5_9ELb0ES3_jPlS8_PNS0_10empty_typeENS0_5tupleIJS8_S9_EEENSB_IJS8_SA_EEENS0_18inequality_wrapperIZN2at6native12_GLOBAL__N_124unique_dim_cuda_templateIN3c108BFloat16EEESt5tupleIJNSF_6TensorESM_SM_EERKSM_lbbbEUlllE0_EEPmJS9_EEE10hipError_tPvRmT3_T4_T5_T6_T7_T9_mT8_P12ihipStream_tbDpT10_ENKUlT_T0_E_clISt17integral_constantIbLb1EES1B_IbLb0EEEEDaS17_S18_EUlS17_E_NS1_11comp_targetILNS1_3genE5ELNS1_11target_archE942ELNS1_3gpuE9ELNS1_3repE0EEENS1_30default_config_static_selectorELNS0_4arch9wavefront6targetE1EEEvT1_.uses_flat_scratch, 0
	.set _ZN7rocprim17ROCPRIM_400000_NS6detail17trampoline_kernelINS0_14default_configENS1_25partition_config_selectorILNS1_17partition_subalgoE9EllbEEZZNS1_14partition_implILS5_9ELb0ES3_jPlS8_PNS0_10empty_typeENS0_5tupleIJS8_S9_EEENSB_IJS8_SA_EEENS0_18inequality_wrapperIZN2at6native12_GLOBAL__N_124unique_dim_cuda_templateIN3c108BFloat16EEESt5tupleIJNSF_6TensorESM_SM_EERKSM_lbbbEUlllE0_EEPmJS9_EEE10hipError_tPvRmT3_T4_T5_T6_T7_T9_mT8_P12ihipStream_tbDpT10_ENKUlT_T0_E_clISt17integral_constantIbLb1EES1B_IbLb0EEEEDaS17_S18_EUlS17_E_NS1_11comp_targetILNS1_3genE5ELNS1_11target_archE942ELNS1_3gpuE9ELNS1_3repE0EEENS1_30default_config_static_selectorELNS0_4arch9wavefront6targetE1EEEvT1_.has_dyn_sized_stack, 0
	.set _ZN7rocprim17ROCPRIM_400000_NS6detail17trampoline_kernelINS0_14default_configENS1_25partition_config_selectorILNS1_17partition_subalgoE9EllbEEZZNS1_14partition_implILS5_9ELb0ES3_jPlS8_PNS0_10empty_typeENS0_5tupleIJS8_S9_EEENSB_IJS8_SA_EEENS0_18inequality_wrapperIZN2at6native12_GLOBAL__N_124unique_dim_cuda_templateIN3c108BFloat16EEESt5tupleIJNSF_6TensorESM_SM_EERKSM_lbbbEUlllE0_EEPmJS9_EEE10hipError_tPvRmT3_T4_T5_T6_T7_T9_mT8_P12ihipStream_tbDpT10_ENKUlT_T0_E_clISt17integral_constantIbLb1EES1B_IbLb0EEEEDaS17_S18_EUlS17_E_NS1_11comp_targetILNS1_3genE5ELNS1_11target_archE942ELNS1_3gpuE9ELNS1_3repE0EEENS1_30default_config_static_selectorELNS0_4arch9wavefront6targetE1EEEvT1_.has_recursion, 0
	.set _ZN7rocprim17ROCPRIM_400000_NS6detail17trampoline_kernelINS0_14default_configENS1_25partition_config_selectorILNS1_17partition_subalgoE9EllbEEZZNS1_14partition_implILS5_9ELb0ES3_jPlS8_PNS0_10empty_typeENS0_5tupleIJS8_S9_EEENSB_IJS8_SA_EEENS0_18inequality_wrapperIZN2at6native12_GLOBAL__N_124unique_dim_cuda_templateIN3c108BFloat16EEESt5tupleIJNSF_6TensorESM_SM_EERKSM_lbbbEUlllE0_EEPmJS9_EEE10hipError_tPvRmT3_T4_T5_T6_T7_T9_mT8_P12ihipStream_tbDpT10_ENKUlT_T0_E_clISt17integral_constantIbLb1EES1B_IbLb0EEEEDaS17_S18_EUlS17_E_NS1_11comp_targetILNS1_3genE5ELNS1_11target_archE942ELNS1_3gpuE9ELNS1_3repE0EEENS1_30default_config_static_selectorELNS0_4arch9wavefront6targetE1EEEvT1_.has_indirect_call, 0
	.section	.AMDGPU.csdata,"",@progbits
; Kernel info:
; codeLenInByte = 0
; TotalNumSgprs: 6
; NumVgprs: 0
; NumAgprs: 0
; TotalNumVgprs: 0
; ScratchSize: 0
; MemoryBound: 0
; FloatMode: 240
; IeeeMode: 1
; LDSByteSize: 0 bytes/workgroup (compile time only)
; SGPRBlocks: 0
; VGPRBlocks: 0
; NumSGPRsForWavesPerEU: 6
; NumVGPRsForWavesPerEU: 1
; AccumOffset: 4
; Occupancy: 8
; WaveLimiterHint : 0
; COMPUTE_PGM_RSRC2:SCRATCH_EN: 0
; COMPUTE_PGM_RSRC2:USER_SGPR: 2
; COMPUTE_PGM_RSRC2:TRAP_HANDLER: 0
; COMPUTE_PGM_RSRC2:TGID_X_EN: 1
; COMPUTE_PGM_RSRC2:TGID_Y_EN: 0
; COMPUTE_PGM_RSRC2:TGID_Z_EN: 0
; COMPUTE_PGM_RSRC2:TIDIG_COMP_CNT: 0
; COMPUTE_PGM_RSRC3_GFX90A:ACCUM_OFFSET: 0
; COMPUTE_PGM_RSRC3_GFX90A:TG_SPLIT: 0
	.section	.text._ZN7rocprim17ROCPRIM_400000_NS6detail17trampoline_kernelINS0_14default_configENS1_25partition_config_selectorILNS1_17partition_subalgoE9EllbEEZZNS1_14partition_implILS5_9ELb0ES3_jPlS8_PNS0_10empty_typeENS0_5tupleIJS8_S9_EEENSB_IJS8_SA_EEENS0_18inequality_wrapperIZN2at6native12_GLOBAL__N_124unique_dim_cuda_templateIN3c108BFloat16EEESt5tupleIJNSF_6TensorESM_SM_EERKSM_lbbbEUlllE0_EEPmJS9_EEE10hipError_tPvRmT3_T4_T5_T6_T7_T9_mT8_P12ihipStream_tbDpT10_ENKUlT_T0_E_clISt17integral_constantIbLb1EES1B_IbLb0EEEEDaS17_S18_EUlS17_E_NS1_11comp_targetILNS1_3genE4ELNS1_11target_archE910ELNS1_3gpuE8ELNS1_3repE0EEENS1_30default_config_static_selectorELNS0_4arch9wavefront6targetE1EEEvT1_,"axG",@progbits,_ZN7rocprim17ROCPRIM_400000_NS6detail17trampoline_kernelINS0_14default_configENS1_25partition_config_selectorILNS1_17partition_subalgoE9EllbEEZZNS1_14partition_implILS5_9ELb0ES3_jPlS8_PNS0_10empty_typeENS0_5tupleIJS8_S9_EEENSB_IJS8_SA_EEENS0_18inequality_wrapperIZN2at6native12_GLOBAL__N_124unique_dim_cuda_templateIN3c108BFloat16EEESt5tupleIJNSF_6TensorESM_SM_EERKSM_lbbbEUlllE0_EEPmJS9_EEE10hipError_tPvRmT3_T4_T5_T6_T7_T9_mT8_P12ihipStream_tbDpT10_ENKUlT_T0_E_clISt17integral_constantIbLb1EES1B_IbLb0EEEEDaS17_S18_EUlS17_E_NS1_11comp_targetILNS1_3genE4ELNS1_11target_archE910ELNS1_3gpuE8ELNS1_3repE0EEENS1_30default_config_static_selectorELNS0_4arch9wavefront6targetE1EEEvT1_,comdat
	.globl	_ZN7rocprim17ROCPRIM_400000_NS6detail17trampoline_kernelINS0_14default_configENS1_25partition_config_selectorILNS1_17partition_subalgoE9EllbEEZZNS1_14partition_implILS5_9ELb0ES3_jPlS8_PNS0_10empty_typeENS0_5tupleIJS8_S9_EEENSB_IJS8_SA_EEENS0_18inequality_wrapperIZN2at6native12_GLOBAL__N_124unique_dim_cuda_templateIN3c108BFloat16EEESt5tupleIJNSF_6TensorESM_SM_EERKSM_lbbbEUlllE0_EEPmJS9_EEE10hipError_tPvRmT3_T4_T5_T6_T7_T9_mT8_P12ihipStream_tbDpT10_ENKUlT_T0_E_clISt17integral_constantIbLb1EES1B_IbLb0EEEEDaS17_S18_EUlS17_E_NS1_11comp_targetILNS1_3genE4ELNS1_11target_archE910ELNS1_3gpuE8ELNS1_3repE0EEENS1_30default_config_static_selectorELNS0_4arch9wavefront6targetE1EEEvT1_ ; -- Begin function _ZN7rocprim17ROCPRIM_400000_NS6detail17trampoline_kernelINS0_14default_configENS1_25partition_config_selectorILNS1_17partition_subalgoE9EllbEEZZNS1_14partition_implILS5_9ELb0ES3_jPlS8_PNS0_10empty_typeENS0_5tupleIJS8_S9_EEENSB_IJS8_SA_EEENS0_18inequality_wrapperIZN2at6native12_GLOBAL__N_124unique_dim_cuda_templateIN3c108BFloat16EEESt5tupleIJNSF_6TensorESM_SM_EERKSM_lbbbEUlllE0_EEPmJS9_EEE10hipError_tPvRmT3_T4_T5_T6_T7_T9_mT8_P12ihipStream_tbDpT10_ENKUlT_T0_E_clISt17integral_constantIbLb1EES1B_IbLb0EEEEDaS17_S18_EUlS17_E_NS1_11comp_targetILNS1_3genE4ELNS1_11target_archE910ELNS1_3gpuE8ELNS1_3repE0EEENS1_30default_config_static_selectorELNS0_4arch9wavefront6targetE1EEEvT1_
	.p2align	8
	.type	_ZN7rocprim17ROCPRIM_400000_NS6detail17trampoline_kernelINS0_14default_configENS1_25partition_config_selectorILNS1_17partition_subalgoE9EllbEEZZNS1_14partition_implILS5_9ELb0ES3_jPlS8_PNS0_10empty_typeENS0_5tupleIJS8_S9_EEENSB_IJS8_SA_EEENS0_18inequality_wrapperIZN2at6native12_GLOBAL__N_124unique_dim_cuda_templateIN3c108BFloat16EEESt5tupleIJNSF_6TensorESM_SM_EERKSM_lbbbEUlllE0_EEPmJS9_EEE10hipError_tPvRmT3_T4_T5_T6_T7_T9_mT8_P12ihipStream_tbDpT10_ENKUlT_T0_E_clISt17integral_constantIbLb1EES1B_IbLb0EEEEDaS17_S18_EUlS17_E_NS1_11comp_targetILNS1_3genE4ELNS1_11target_archE910ELNS1_3gpuE8ELNS1_3repE0EEENS1_30default_config_static_selectorELNS0_4arch9wavefront6targetE1EEEvT1_,@function
_ZN7rocprim17ROCPRIM_400000_NS6detail17trampoline_kernelINS0_14default_configENS1_25partition_config_selectorILNS1_17partition_subalgoE9EllbEEZZNS1_14partition_implILS5_9ELb0ES3_jPlS8_PNS0_10empty_typeENS0_5tupleIJS8_S9_EEENSB_IJS8_SA_EEENS0_18inequality_wrapperIZN2at6native12_GLOBAL__N_124unique_dim_cuda_templateIN3c108BFloat16EEESt5tupleIJNSF_6TensorESM_SM_EERKSM_lbbbEUlllE0_EEPmJS9_EEE10hipError_tPvRmT3_T4_T5_T6_T7_T9_mT8_P12ihipStream_tbDpT10_ENKUlT_T0_E_clISt17integral_constantIbLb1EES1B_IbLb0EEEEDaS17_S18_EUlS17_E_NS1_11comp_targetILNS1_3genE4ELNS1_11target_archE910ELNS1_3gpuE8ELNS1_3repE0EEENS1_30default_config_static_selectorELNS0_4arch9wavefront6targetE1EEEvT1_: ; @_ZN7rocprim17ROCPRIM_400000_NS6detail17trampoline_kernelINS0_14default_configENS1_25partition_config_selectorILNS1_17partition_subalgoE9EllbEEZZNS1_14partition_implILS5_9ELb0ES3_jPlS8_PNS0_10empty_typeENS0_5tupleIJS8_S9_EEENSB_IJS8_SA_EEENS0_18inequality_wrapperIZN2at6native12_GLOBAL__N_124unique_dim_cuda_templateIN3c108BFloat16EEESt5tupleIJNSF_6TensorESM_SM_EERKSM_lbbbEUlllE0_EEPmJS9_EEE10hipError_tPvRmT3_T4_T5_T6_T7_T9_mT8_P12ihipStream_tbDpT10_ENKUlT_T0_E_clISt17integral_constantIbLb1EES1B_IbLb0EEEEDaS17_S18_EUlS17_E_NS1_11comp_targetILNS1_3genE4ELNS1_11target_archE910ELNS1_3gpuE8ELNS1_3repE0EEENS1_30default_config_static_selectorELNS0_4arch9wavefront6targetE1EEEvT1_
; %bb.0:
	.section	.rodata,"a",@progbits
	.p2align	6, 0x0
	.amdhsa_kernel _ZN7rocprim17ROCPRIM_400000_NS6detail17trampoline_kernelINS0_14default_configENS1_25partition_config_selectorILNS1_17partition_subalgoE9EllbEEZZNS1_14partition_implILS5_9ELb0ES3_jPlS8_PNS0_10empty_typeENS0_5tupleIJS8_S9_EEENSB_IJS8_SA_EEENS0_18inequality_wrapperIZN2at6native12_GLOBAL__N_124unique_dim_cuda_templateIN3c108BFloat16EEESt5tupleIJNSF_6TensorESM_SM_EERKSM_lbbbEUlllE0_EEPmJS9_EEE10hipError_tPvRmT3_T4_T5_T6_T7_T9_mT8_P12ihipStream_tbDpT10_ENKUlT_T0_E_clISt17integral_constantIbLb1EES1B_IbLb0EEEEDaS17_S18_EUlS17_E_NS1_11comp_targetILNS1_3genE4ELNS1_11target_archE910ELNS1_3gpuE8ELNS1_3repE0EEENS1_30default_config_static_selectorELNS0_4arch9wavefront6targetE1EEEvT1_
		.amdhsa_group_segment_fixed_size 0
		.amdhsa_private_segment_fixed_size 0
		.amdhsa_kernarg_size 120
		.amdhsa_user_sgpr_count 2
		.amdhsa_user_sgpr_dispatch_ptr 0
		.amdhsa_user_sgpr_queue_ptr 0
		.amdhsa_user_sgpr_kernarg_segment_ptr 1
		.amdhsa_user_sgpr_dispatch_id 0
		.amdhsa_user_sgpr_kernarg_preload_length 0
		.amdhsa_user_sgpr_kernarg_preload_offset 0
		.amdhsa_user_sgpr_private_segment_size 0
		.amdhsa_uses_dynamic_stack 0
		.amdhsa_enable_private_segment 0
		.amdhsa_system_sgpr_workgroup_id_x 1
		.amdhsa_system_sgpr_workgroup_id_y 0
		.amdhsa_system_sgpr_workgroup_id_z 0
		.amdhsa_system_sgpr_workgroup_info 0
		.amdhsa_system_vgpr_workitem_id 0
		.amdhsa_next_free_vgpr 1
		.amdhsa_next_free_sgpr 0
		.amdhsa_accum_offset 4
		.amdhsa_reserve_vcc 0
		.amdhsa_float_round_mode_32 0
		.amdhsa_float_round_mode_16_64 0
		.amdhsa_float_denorm_mode_32 3
		.amdhsa_float_denorm_mode_16_64 3
		.amdhsa_dx10_clamp 1
		.amdhsa_ieee_mode 1
		.amdhsa_fp16_overflow 0
		.amdhsa_tg_split 0
		.amdhsa_exception_fp_ieee_invalid_op 0
		.amdhsa_exception_fp_denorm_src 0
		.amdhsa_exception_fp_ieee_div_zero 0
		.amdhsa_exception_fp_ieee_overflow 0
		.amdhsa_exception_fp_ieee_underflow 0
		.amdhsa_exception_fp_ieee_inexact 0
		.amdhsa_exception_int_div_zero 0
	.end_amdhsa_kernel
	.section	.text._ZN7rocprim17ROCPRIM_400000_NS6detail17trampoline_kernelINS0_14default_configENS1_25partition_config_selectorILNS1_17partition_subalgoE9EllbEEZZNS1_14partition_implILS5_9ELb0ES3_jPlS8_PNS0_10empty_typeENS0_5tupleIJS8_S9_EEENSB_IJS8_SA_EEENS0_18inequality_wrapperIZN2at6native12_GLOBAL__N_124unique_dim_cuda_templateIN3c108BFloat16EEESt5tupleIJNSF_6TensorESM_SM_EERKSM_lbbbEUlllE0_EEPmJS9_EEE10hipError_tPvRmT3_T4_T5_T6_T7_T9_mT8_P12ihipStream_tbDpT10_ENKUlT_T0_E_clISt17integral_constantIbLb1EES1B_IbLb0EEEEDaS17_S18_EUlS17_E_NS1_11comp_targetILNS1_3genE4ELNS1_11target_archE910ELNS1_3gpuE8ELNS1_3repE0EEENS1_30default_config_static_selectorELNS0_4arch9wavefront6targetE1EEEvT1_,"axG",@progbits,_ZN7rocprim17ROCPRIM_400000_NS6detail17trampoline_kernelINS0_14default_configENS1_25partition_config_selectorILNS1_17partition_subalgoE9EllbEEZZNS1_14partition_implILS5_9ELb0ES3_jPlS8_PNS0_10empty_typeENS0_5tupleIJS8_S9_EEENSB_IJS8_SA_EEENS0_18inequality_wrapperIZN2at6native12_GLOBAL__N_124unique_dim_cuda_templateIN3c108BFloat16EEESt5tupleIJNSF_6TensorESM_SM_EERKSM_lbbbEUlllE0_EEPmJS9_EEE10hipError_tPvRmT3_T4_T5_T6_T7_T9_mT8_P12ihipStream_tbDpT10_ENKUlT_T0_E_clISt17integral_constantIbLb1EES1B_IbLb0EEEEDaS17_S18_EUlS17_E_NS1_11comp_targetILNS1_3genE4ELNS1_11target_archE910ELNS1_3gpuE8ELNS1_3repE0EEENS1_30default_config_static_selectorELNS0_4arch9wavefront6targetE1EEEvT1_,comdat
.Lfunc_end1224:
	.size	_ZN7rocprim17ROCPRIM_400000_NS6detail17trampoline_kernelINS0_14default_configENS1_25partition_config_selectorILNS1_17partition_subalgoE9EllbEEZZNS1_14partition_implILS5_9ELb0ES3_jPlS8_PNS0_10empty_typeENS0_5tupleIJS8_S9_EEENSB_IJS8_SA_EEENS0_18inequality_wrapperIZN2at6native12_GLOBAL__N_124unique_dim_cuda_templateIN3c108BFloat16EEESt5tupleIJNSF_6TensorESM_SM_EERKSM_lbbbEUlllE0_EEPmJS9_EEE10hipError_tPvRmT3_T4_T5_T6_T7_T9_mT8_P12ihipStream_tbDpT10_ENKUlT_T0_E_clISt17integral_constantIbLb1EES1B_IbLb0EEEEDaS17_S18_EUlS17_E_NS1_11comp_targetILNS1_3genE4ELNS1_11target_archE910ELNS1_3gpuE8ELNS1_3repE0EEENS1_30default_config_static_selectorELNS0_4arch9wavefront6targetE1EEEvT1_, .Lfunc_end1224-_ZN7rocprim17ROCPRIM_400000_NS6detail17trampoline_kernelINS0_14default_configENS1_25partition_config_selectorILNS1_17partition_subalgoE9EllbEEZZNS1_14partition_implILS5_9ELb0ES3_jPlS8_PNS0_10empty_typeENS0_5tupleIJS8_S9_EEENSB_IJS8_SA_EEENS0_18inequality_wrapperIZN2at6native12_GLOBAL__N_124unique_dim_cuda_templateIN3c108BFloat16EEESt5tupleIJNSF_6TensorESM_SM_EERKSM_lbbbEUlllE0_EEPmJS9_EEE10hipError_tPvRmT3_T4_T5_T6_T7_T9_mT8_P12ihipStream_tbDpT10_ENKUlT_T0_E_clISt17integral_constantIbLb1EES1B_IbLb0EEEEDaS17_S18_EUlS17_E_NS1_11comp_targetILNS1_3genE4ELNS1_11target_archE910ELNS1_3gpuE8ELNS1_3repE0EEENS1_30default_config_static_selectorELNS0_4arch9wavefront6targetE1EEEvT1_
                                        ; -- End function
	.set _ZN7rocprim17ROCPRIM_400000_NS6detail17trampoline_kernelINS0_14default_configENS1_25partition_config_selectorILNS1_17partition_subalgoE9EllbEEZZNS1_14partition_implILS5_9ELb0ES3_jPlS8_PNS0_10empty_typeENS0_5tupleIJS8_S9_EEENSB_IJS8_SA_EEENS0_18inequality_wrapperIZN2at6native12_GLOBAL__N_124unique_dim_cuda_templateIN3c108BFloat16EEESt5tupleIJNSF_6TensorESM_SM_EERKSM_lbbbEUlllE0_EEPmJS9_EEE10hipError_tPvRmT3_T4_T5_T6_T7_T9_mT8_P12ihipStream_tbDpT10_ENKUlT_T0_E_clISt17integral_constantIbLb1EES1B_IbLb0EEEEDaS17_S18_EUlS17_E_NS1_11comp_targetILNS1_3genE4ELNS1_11target_archE910ELNS1_3gpuE8ELNS1_3repE0EEENS1_30default_config_static_selectorELNS0_4arch9wavefront6targetE1EEEvT1_.num_vgpr, 0
	.set _ZN7rocprim17ROCPRIM_400000_NS6detail17trampoline_kernelINS0_14default_configENS1_25partition_config_selectorILNS1_17partition_subalgoE9EllbEEZZNS1_14partition_implILS5_9ELb0ES3_jPlS8_PNS0_10empty_typeENS0_5tupleIJS8_S9_EEENSB_IJS8_SA_EEENS0_18inequality_wrapperIZN2at6native12_GLOBAL__N_124unique_dim_cuda_templateIN3c108BFloat16EEESt5tupleIJNSF_6TensorESM_SM_EERKSM_lbbbEUlllE0_EEPmJS9_EEE10hipError_tPvRmT3_T4_T5_T6_T7_T9_mT8_P12ihipStream_tbDpT10_ENKUlT_T0_E_clISt17integral_constantIbLb1EES1B_IbLb0EEEEDaS17_S18_EUlS17_E_NS1_11comp_targetILNS1_3genE4ELNS1_11target_archE910ELNS1_3gpuE8ELNS1_3repE0EEENS1_30default_config_static_selectorELNS0_4arch9wavefront6targetE1EEEvT1_.num_agpr, 0
	.set _ZN7rocprim17ROCPRIM_400000_NS6detail17trampoline_kernelINS0_14default_configENS1_25partition_config_selectorILNS1_17partition_subalgoE9EllbEEZZNS1_14partition_implILS5_9ELb0ES3_jPlS8_PNS0_10empty_typeENS0_5tupleIJS8_S9_EEENSB_IJS8_SA_EEENS0_18inequality_wrapperIZN2at6native12_GLOBAL__N_124unique_dim_cuda_templateIN3c108BFloat16EEESt5tupleIJNSF_6TensorESM_SM_EERKSM_lbbbEUlllE0_EEPmJS9_EEE10hipError_tPvRmT3_T4_T5_T6_T7_T9_mT8_P12ihipStream_tbDpT10_ENKUlT_T0_E_clISt17integral_constantIbLb1EES1B_IbLb0EEEEDaS17_S18_EUlS17_E_NS1_11comp_targetILNS1_3genE4ELNS1_11target_archE910ELNS1_3gpuE8ELNS1_3repE0EEENS1_30default_config_static_selectorELNS0_4arch9wavefront6targetE1EEEvT1_.numbered_sgpr, 0
	.set _ZN7rocprim17ROCPRIM_400000_NS6detail17trampoline_kernelINS0_14default_configENS1_25partition_config_selectorILNS1_17partition_subalgoE9EllbEEZZNS1_14partition_implILS5_9ELb0ES3_jPlS8_PNS0_10empty_typeENS0_5tupleIJS8_S9_EEENSB_IJS8_SA_EEENS0_18inequality_wrapperIZN2at6native12_GLOBAL__N_124unique_dim_cuda_templateIN3c108BFloat16EEESt5tupleIJNSF_6TensorESM_SM_EERKSM_lbbbEUlllE0_EEPmJS9_EEE10hipError_tPvRmT3_T4_T5_T6_T7_T9_mT8_P12ihipStream_tbDpT10_ENKUlT_T0_E_clISt17integral_constantIbLb1EES1B_IbLb0EEEEDaS17_S18_EUlS17_E_NS1_11comp_targetILNS1_3genE4ELNS1_11target_archE910ELNS1_3gpuE8ELNS1_3repE0EEENS1_30default_config_static_selectorELNS0_4arch9wavefront6targetE1EEEvT1_.num_named_barrier, 0
	.set _ZN7rocprim17ROCPRIM_400000_NS6detail17trampoline_kernelINS0_14default_configENS1_25partition_config_selectorILNS1_17partition_subalgoE9EllbEEZZNS1_14partition_implILS5_9ELb0ES3_jPlS8_PNS0_10empty_typeENS0_5tupleIJS8_S9_EEENSB_IJS8_SA_EEENS0_18inequality_wrapperIZN2at6native12_GLOBAL__N_124unique_dim_cuda_templateIN3c108BFloat16EEESt5tupleIJNSF_6TensorESM_SM_EERKSM_lbbbEUlllE0_EEPmJS9_EEE10hipError_tPvRmT3_T4_T5_T6_T7_T9_mT8_P12ihipStream_tbDpT10_ENKUlT_T0_E_clISt17integral_constantIbLb1EES1B_IbLb0EEEEDaS17_S18_EUlS17_E_NS1_11comp_targetILNS1_3genE4ELNS1_11target_archE910ELNS1_3gpuE8ELNS1_3repE0EEENS1_30default_config_static_selectorELNS0_4arch9wavefront6targetE1EEEvT1_.private_seg_size, 0
	.set _ZN7rocprim17ROCPRIM_400000_NS6detail17trampoline_kernelINS0_14default_configENS1_25partition_config_selectorILNS1_17partition_subalgoE9EllbEEZZNS1_14partition_implILS5_9ELb0ES3_jPlS8_PNS0_10empty_typeENS0_5tupleIJS8_S9_EEENSB_IJS8_SA_EEENS0_18inequality_wrapperIZN2at6native12_GLOBAL__N_124unique_dim_cuda_templateIN3c108BFloat16EEESt5tupleIJNSF_6TensorESM_SM_EERKSM_lbbbEUlllE0_EEPmJS9_EEE10hipError_tPvRmT3_T4_T5_T6_T7_T9_mT8_P12ihipStream_tbDpT10_ENKUlT_T0_E_clISt17integral_constantIbLb1EES1B_IbLb0EEEEDaS17_S18_EUlS17_E_NS1_11comp_targetILNS1_3genE4ELNS1_11target_archE910ELNS1_3gpuE8ELNS1_3repE0EEENS1_30default_config_static_selectorELNS0_4arch9wavefront6targetE1EEEvT1_.uses_vcc, 0
	.set _ZN7rocprim17ROCPRIM_400000_NS6detail17trampoline_kernelINS0_14default_configENS1_25partition_config_selectorILNS1_17partition_subalgoE9EllbEEZZNS1_14partition_implILS5_9ELb0ES3_jPlS8_PNS0_10empty_typeENS0_5tupleIJS8_S9_EEENSB_IJS8_SA_EEENS0_18inequality_wrapperIZN2at6native12_GLOBAL__N_124unique_dim_cuda_templateIN3c108BFloat16EEESt5tupleIJNSF_6TensorESM_SM_EERKSM_lbbbEUlllE0_EEPmJS9_EEE10hipError_tPvRmT3_T4_T5_T6_T7_T9_mT8_P12ihipStream_tbDpT10_ENKUlT_T0_E_clISt17integral_constantIbLb1EES1B_IbLb0EEEEDaS17_S18_EUlS17_E_NS1_11comp_targetILNS1_3genE4ELNS1_11target_archE910ELNS1_3gpuE8ELNS1_3repE0EEENS1_30default_config_static_selectorELNS0_4arch9wavefront6targetE1EEEvT1_.uses_flat_scratch, 0
	.set _ZN7rocprim17ROCPRIM_400000_NS6detail17trampoline_kernelINS0_14default_configENS1_25partition_config_selectorILNS1_17partition_subalgoE9EllbEEZZNS1_14partition_implILS5_9ELb0ES3_jPlS8_PNS0_10empty_typeENS0_5tupleIJS8_S9_EEENSB_IJS8_SA_EEENS0_18inequality_wrapperIZN2at6native12_GLOBAL__N_124unique_dim_cuda_templateIN3c108BFloat16EEESt5tupleIJNSF_6TensorESM_SM_EERKSM_lbbbEUlllE0_EEPmJS9_EEE10hipError_tPvRmT3_T4_T5_T6_T7_T9_mT8_P12ihipStream_tbDpT10_ENKUlT_T0_E_clISt17integral_constantIbLb1EES1B_IbLb0EEEEDaS17_S18_EUlS17_E_NS1_11comp_targetILNS1_3genE4ELNS1_11target_archE910ELNS1_3gpuE8ELNS1_3repE0EEENS1_30default_config_static_selectorELNS0_4arch9wavefront6targetE1EEEvT1_.has_dyn_sized_stack, 0
	.set _ZN7rocprim17ROCPRIM_400000_NS6detail17trampoline_kernelINS0_14default_configENS1_25partition_config_selectorILNS1_17partition_subalgoE9EllbEEZZNS1_14partition_implILS5_9ELb0ES3_jPlS8_PNS0_10empty_typeENS0_5tupleIJS8_S9_EEENSB_IJS8_SA_EEENS0_18inequality_wrapperIZN2at6native12_GLOBAL__N_124unique_dim_cuda_templateIN3c108BFloat16EEESt5tupleIJNSF_6TensorESM_SM_EERKSM_lbbbEUlllE0_EEPmJS9_EEE10hipError_tPvRmT3_T4_T5_T6_T7_T9_mT8_P12ihipStream_tbDpT10_ENKUlT_T0_E_clISt17integral_constantIbLb1EES1B_IbLb0EEEEDaS17_S18_EUlS17_E_NS1_11comp_targetILNS1_3genE4ELNS1_11target_archE910ELNS1_3gpuE8ELNS1_3repE0EEENS1_30default_config_static_selectorELNS0_4arch9wavefront6targetE1EEEvT1_.has_recursion, 0
	.set _ZN7rocprim17ROCPRIM_400000_NS6detail17trampoline_kernelINS0_14default_configENS1_25partition_config_selectorILNS1_17partition_subalgoE9EllbEEZZNS1_14partition_implILS5_9ELb0ES3_jPlS8_PNS0_10empty_typeENS0_5tupleIJS8_S9_EEENSB_IJS8_SA_EEENS0_18inequality_wrapperIZN2at6native12_GLOBAL__N_124unique_dim_cuda_templateIN3c108BFloat16EEESt5tupleIJNSF_6TensorESM_SM_EERKSM_lbbbEUlllE0_EEPmJS9_EEE10hipError_tPvRmT3_T4_T5_T6_T7_T9_mT8_P12ihipStream_tbDpT10_ENKUlT_T0_E_clISt17integral_constantIbLb1EES1B_IbLb0EEEEDaS17_S18_EUlS17_E_NS1_11comp_targetILNS1_3genE4ELNS1_11target_archE910ELNS1_3gpuE8ELNS1_3repE0EEENS1_30default_config_static_selectorELNS0_4arch9wavefront6targetE1EEEvT1_.has_indirect_call, 0
	.section	.AMDGPU.csdata,"",@progbits
; Kernel info:
; codeLenInByte = 0
; TotalNumSgprs: 6
; NumVgprs: 0
; NumAgprs: 0
; TotalNumVgprs: 0
; ScratchSize: 0
; MemoryBound: 0
; FloatMode: 240
; IeeeMode: 1
; LDSByteSize: 0 bytes/workgroup (compile time only)
; SGPRBlocks: 0
; VGPRBlocks: 0
; NumSGPRsForWavesPerEU: 6
; NumVGPRsForWavesPerEU: 1
; AccumOffset: 4
; Occupancy: 8
; WaveLimiterHint : 0
; COMPUTE_PGM_RSRC2:SCRATCH_EN: 0
; COMPUTE_PGM_RSRC2:USER_SGPR: 2
; COMPUTE_PGM_RSRC2:TRAP_HANDLER: 0
; COMPUTE_PGM_RSRC2:TGID_X_EN: 1
; COMPUTE_PGM_RSRC2:TGID_Y_EN: 0
; COMPUTE_PGM_RSRC2:TGID_Z_EN: 0
; COMPUTE_PGM_RSRC2:TIDIG_COMP_CNT: 0
; COMPUTE_PGM_RSRC3_GFX90A:ACCUM_OFFSET: 0
; COMPUTE_PGM_RSRC3_GFX90A:TG_SPLIT: 0
	.section	.text._ZN7rocprim17ROCPRIM_400000_NS6detail17trampoline_kernelINS0_14default_configENS1_25partition_config_selectorILNS1_17partition_subalgoE9EllbEEZZNS1_14partition_implILS5_9ELb0ES3_jPlS8_PNS0_10empty_typeENS0_5tupleIJS8_S9_EEENSB_IJS8_SA_EEENS0_18inequality_wrapperIZN2at6native12_GLOBAL__N_124unique_dim_cuda_templateIN3c108BFloat16EEESt5tupleIJNSF_6TensorESM_SM_EERKSM_lbbbEUlllE0_EEPmJS9_EEE10hipError_tPvRmT3_T4_T5_T6_T7_T9_mT8_P12ihipStream_tbDpT10_ENKUlT_T0_E_clISt17integral_constantIbLb1EES1B_IbLb0EEEEDaS17_S18_EUlS17_E_NS1_11comp_targetILNS1_3genE3ELNS1_11target_archE908ELNS1_3gpuE7ELNS1_3repE0EEENS1_30default_config_static_selectorELNS0_4arch9wavefront6targetE1EEEvT1_,"axG",@progbits,_ZN7rocprim17ROCPRIM_400000_NS6detail17trampoline_kernelINS0_14default_configENS1_25partition_config_selectorILNS1_17partition_subalgoE9EllbEEZZNS1_14partition_implILS5_9ELb0ES3_jPlS8_PNS0_10empty_typeENS0_5tupleIJS8_S9_EEENSB_IJS8_SA_EEENS0_18inequality_wrapperIZN2at6native12_GLOBAL__N_124unique_dim_cuda_templateIN3c108BFloat16EEESt5tupleIJNSF_6TensorESM_SM_EERKSM_lbbbEUlllE0_EEPmJS9_EEE10hipError_tPvRmT3_T4_T5_T6_T7_T9_mT8_P12ihipStream_tbDpT10_ENKUlT_T0_E_clISt17integral_constantIbLb1EES1B_IbLb0EEEEDaS17_S18_EUlS17_E_NS1_11comp_targetILNS1_3genE3ELNS1_11target_archE908ELNS1_3gpuE7ELNS1_3repE0EEENS1_30default_config_static_selectorELNS0_4arch9wavefront6targetE1EEEvT1_,comdat
	.globl	_ZN7rocprim17ROCPRIM_400000_NS6detail17trampoline_kernelINS0_14default_configENS1_25partition_config_selectorILNS1_17partition_subalgoE9EllbEEZZNS1_14partition_implILS5_9ELb0ES3_jPlS8_PNS0_10empty_typeENS0_5tupleIJS8_S9_EEENSB_IJS8_SA_EEENS0_18inequality_wrapperIZN2at6native12_GLOBAL__N_124unique_dim_cuda_templateIN3c108BFloat16EEESt5tupleIJNSF_6TensorESM_SM_EERKSM_lbbbEUlllE0_EEPmJS9_EEE10hipError_tPvRmT3_T4_T5_T6_T7_T9_mT8_P12ihipStream_tbDpT10_ENKUlT_T0_E_clISt17integral_constantIbLb1EES1B_IbLb0EEEEDaS17_S18_EUlS17_E_NS1_11comp_targetILNS1_3genE3ELNS1_11target_archE908ELNS1_3gpuE7ELNS1_3repE0EEENS1_30default_config_static_selectorELNS0_4arch9wavefront6targetE1EEEvT1_ ; -- Begin function _ZN7rocprim17ROCPRIM_400000_NS6detail17trampoline_kernelINS0_14default_configENS1_25partition_config_selectorILNS1_17partition_subalgoE9EllbEEZZNS1_14partition_implILS5_9ELb0ES3_jPlS8_PNS0_10empty_typeENS0_5tupleIJS8_S9_EEENSB_IJS8_SA_EEENS0_18inequality_wrapperIZN2at6native12_GLOBAL__N_124unique_dim_cuda_templateIN3c108BFloat16EEESt5tupleIJNSF_6TensorESM_SM_EERKSM_lbbbEUlllE0_EEPmJS9_EEE10hipError_tPvRmT3_T4_T5_T6_T7_T9_mT8_P12ihipStream_tbDpT10_ENKUlT_T0_E_clISt17integral_constantIbLb1EES1B_IbLb0EEEEDaS17_S18_EUlS17_E_NS1_11comp_targetILNS1_3genE3ELNS1_11target_archE908ELNS1_3gpuE7ELNS1_3repE0EEENS1_30default_config_static_selectorELNS0_4arch9wavefront6targetE1EEEvT1_
	.p2align	8
	.type	_ZN7rocprim17ROCPRIM_400000_NS6detail17trampoline_kernelINS0_14default_configENS1_25partition_config_selectorILNS1_17partition_subalgoE9EllbEEZZNS1_14partition_implILS5_9ELb0ES3_jPlS8_PNS0_10empty_typeENS0_5tupleIJS8_S9_EEENSB_IJS8_SA_EEENS0_18inequality_wrapperIZN2at6native12_GLOBAL__N_124unique_dim_cuda_templateIN3c108BFloat16EEESt5tupleIJNSF_6TensorESM_SM_EERKSM_lbbbEUlllE0_EEPmJS9_EEE10hipError_tPvRmT3_T4_T5_T6_T7_T9_mT8_P12ihipStream_tbDpT10_ENKUlT_T0_E_clISt17integral_constantIbLb1EES1B_IbLb0EEEEDaS17_S18_EUlS17_E_NS1_11comp_targetILNS1_3genE3ELNS1_11target_archE908ELNS1_3gpuE7ELNS1_3repE0EEENS1_30default_config_static_selectorELNS0_4arch9wavefront6targetE1EEEvT1_,@function
_ZN7rocprim17ROCPRIM_400000_NS6detail17trampoline_kernelINS0_14default_configENS1_25partition_config_selectorILNS1_17partition_subalgoE9EllbEEZZNS1_14partition_implILS5_9ELb0ES3_jPlS8_PNS0_10empty_typeENS0_5tupleIJS8_S9_EEENSB_IJS8_SA_EEENS0_18inequality_wrapperIZN2at6native12_GLOBAL__N_124unique_dim_cuda_templateIN3c108BFloat16EEESt5tupleIJNSF_6TensorESM_SM_EERKSM_lbbbEUlllE0_EEPmJS9_EEE10hipError_tPvRmT3_T4_T5_T6_T7_T9_mT8_P12ihipStream_tbDpT10_ENKUlT_T0_E_clISt17integral_constantIbLb1EES1B_IbLb0EEEEDaS17_S18_EUlS17_E_NS1_11comp_targetILNS1_3genE3ELNS1_11target_archE908ELNS1_3gpuE7ELNS1_3repE0EEENS1_30default_config_static_selectorELNS0_4arch9wavefront6targetE1EEEvT1_: ; @_ZN7rocprim17ROCPRIM_400000_NS6detail17trampoline_kernelINS0_14default_configENS1_25partition_config_selectorILNS1_17partition_subalgoE9EllbEEZZNS1_14partition_implILS5_9ELb0ES3_jPlS8_PNS0_10empty_typeENS0_5tupleIJS8_S9_EEENSB_IJS8_SA_EEENS0_18inequality_wrapperIZN2at6native12_GLOBAL__N_124unique_dim_cuda_templateIN3c108BFloat16EEESt5tupleIJNSF_6TensorESM_SM_EERKSM_lbbbEUlllE0_EEPmJS9_EEE10hipError_tPvRmT3_T4_T5_T6_T7_T9_mT8_P12ihipStream_tbDpT10_ENKUlT_T0_E_clISt17integral_constantIbLb1EES1B_IbLb0EEEEDaS17_S18_EUlS17_E_NS1_11comp_targetILNS1_3genE3ELNS1_11target_archE908ELNS1_3gpuE7ELNS1_3repE0EEENS1_30default_config_static_selectorELNS0_4arch9wavefront6targetE1EEEvT1_
; %bb.0:
	.section	.rodata,"a",@progbits
	.p2align	6, 0x0
	.amdhsa_kernel _ZN7rocprim17ROCPRIM_400000_NS6detail17trampoline_kernelINS0_14default_configENS1_25partition_config_selectorILNS1_17partition_subalgoE9EllbEEZZNS1_14partition_implILS5_9ELb0ES3_jPlS8_PNS0_10empty_typeENS0_5tupleIJS8_S9_EEENSB_IJS8_SA_EEENS0_18inequality_wrapperIZN2at6native12_GLOBAL__N_124unique_dim_cuda_templateIN3c108BFloat16EEESt5tupleIJNSF_6TensorESM_SM_EERKSM_lbbbEUlllE0_EEPmJS9_EEE10hipError_tPvRmT3_T4_T5_T6_T7_T9_mT8_P12ihipStream_tbDpT10_ENKUlT_T0_E_clISt17integral_constantIbLb1EES1B_IbLb0EEEEDaS17_S18_EUlS17_E_NS1_11comp_targetILNS1_3genE3ELNS1_11target_archE908ELNS1_3gpuE7ELNS1_3repE0EEENS1_30default_config_static_selectorELNS0_4arch9wavefront6targetE1EEEvT1_
		.amdhsa_group_segment_fixed_size 0
		.amdhsa_private_segment_fixed_size 0
		.amdhsa_kernarg_size 120
		.amdhsa_user_sgpr_count 2
		.amdhsa_user_sgpr_dispatch_ptr 0
		.amdhsa_user_sgpr_queue_ptr 0
		.amdhsa_user_sgpr_kernarg_segment_ptr 1
		.amdhsa_user_sgpr_dispatch_id 0
		.amdhsa_user_sgpr_kernarg_preload_length 0
		.amdhsa_user_sgpr_kernarg_preload_offset 0
		.amdhsa_user_sgpr_private_segment_size 0
		.amdhsa_uses_dynamic_stack 0
		.amdhsa_enable_private_segment 0
		.amdhsa_system_sgpr_workgroup_id_x 1
		.amdhsa_system_sgpr_workgroup_id_y 0
		.amdhsa_system_sgpr_workgroup_id_z 0
		.amdhsa_system_sgpr_workgroup_info 0
		.amdhsa_system_vgpr_workitem_id 0
		.amdhsa_next_free_vgpr 1
		.amdhsa_next_free_sgpr 0
		.amdhsa_accum_offset 4
		.amdhsa_reserve_vcc 0
		.amdhsa_float_round_mode_32 0
		.amdhsa_float_round_mode_16_64 0
		.amdhsa_float_denorm_mode_32 3
		.amdhsa_float_denorm_mode_16_64 3
		.amdhsa_dx10_clamp 1
		.amdhsa_ieee_mode 1
		.amdhsa_fp16_overflow 0
		.amdhsa_tg_split 0
		.amdhsa_exception_fp_ieee_invalid_op 0
		.amdhsa_exception_fp_denorm_src 0
		.amdhsa_exception_fp_ieee_div_zero 0
		.amdhsa_exception_fp_ieee_overflow 0
		.amdhsa_exception_fp_ieee_underflow 0
		.amdhsa_exception_fp_ieee_inexact 0
		.amdhsa_exception_int_div_zero 0
	.end_amdhsa_kernel
	.section	.text._ZN7rocprim17ROCPRIM_400000_NS6detail17trampoline_kernelINS0_14default_configENS1_25partition_config_selectorILNS1_17partition_subalgoE9EllbEEZZNS1_14partition_implILS5_9ELb0ES3_jPlS8_PNS0_10empty_typeENS0_5tupleIJS8_S9_EEENSB_IJS8_SA_EEENS0_18inequality_wrapperIZN2at6native12_GLOBAL__N_124unique_dim_cuda_templateIN3c108BFloat16EEESt5tupleIJNSF_6TensorESM_SM_EERKSM_lbbbEUlllE0_EEPmJS9_EEE10hipError_tPvRmT3_T4_T5_T6_T7_T9_mT8_P12ihipStream_tbDpT10_ENKUlT_T0_E_clISt17integral_constantIbLb1EES1B_IbLb0EEEEDaS17_S18_EUlS17_E_NS1_11comp_targetILNS1_3genE3ELNS1_11target_archE908ELNS1_3gpuE7ELNS1_3repE0EEENS1_30default_config_static_selectorELNS0_4arch9wavefront6targetE1EEEvT1_,"axG",@progbits,_ZN7rocprim17ROCPRIM_400000_NS6detail17trampoline_kernelINS0_14default_configENS1_25partition_config_selectorILNS1_17partition_subalgoE9EllbEEZZNS1_14partition_implILS5_9ELb0ES3_jPlS8_PNS0_10empty_typeENS0_5tupleIJS8_S9_EEENSB_IJS8_SA_EEENS0_18inequality_wrapperIZN2at6native12_GLOBAL__N_124unique_dim_cuda_templateIN3c108BFloat16EEESt5tupleIJNSF_6TensorESM_SM_EERKSM_lbbbEUlllE0_EEPmJS9_EEE10hipError_tPvRmT3_T4_T5_T6_T7_T9_mT8_P12ihipStream_tbDpT10_ENKUlT_T0_E_clISt17integral_constantIbLb1EES1B_IbLb0EEEEDaS17_S18_EUlS17_E_NS1_11comp_targetILNS1_3genE3ELNS1_11target_archE908ELNS1_3gpuE7ELNS1_3repE0EEENS1_30default_config_static_selectorELNS0_4arch9wavefront6targetE1EEEvT1_,comdat
.Lfunc_end1225:
	.size	_ZN7rocprim17ROCPRIM_400000_NS6detail17trampoline_kernelINS0_14default_configENS1_25partition_config_selectorILNS1_17partition_subalgoE9EllbEEZZNS1_14partition_implILS5_9ELb0ES3_jPlS8_PNS0_10empty_typeENS0_5tupleIJS8_S9_EEENSB_IJS8_SA_EEENS0_18inequality_wrapperIZN2at6native12_GLOBAL__N_124unique_dim_cuda_templateIN3c108BFloat16EEESt5tupleIJNSF_6TensorESM_SM_EERKSM_lbbbEUlllE0_EEPmJS9_EEE10hipError_tPvRmT3_T4_T5_T6_T7_T9_mT8_P12ihipStream_tbDpT10_ENKUlT_T0_E_clISt17integral_constantIbLb1EES1B_IbLb0EEEEDaS17_S18_EUlS17_E_NS1_11comp_targetILNS1_3genE3ELNS1_11target_archE908ELNS1_3gpuE7ELNS1_3repE0EEENS1_30default_config_static_selectorELNS0_4arch9wavefront6targetE1EEEvT1_, .Lfunc_end1225-_ZN7rocprim17ROCPRIM_400000_NS6detail17trampoline_kernelINS0_14default_configENS1_25partition_config_selectorILNS1_17partition_subalgoE9EllbEEZZNS1_14partition_implILS5_9ELb0ES3_jPlS8_PNS0_10empty_typeENS0_5tupleIJS8_S9_EEENSB_IJS8_SA_EEENS0_18inequality_wrapperIZN2at6native12_GLOBAL__N_124unique_dim_cuda_templateIN3c108BFloat16EEESt5tupleIJNSF_6TensorESM_SM_EERKSM_lbbbEUlllE0_EEPmJS9_EEE10hipError_tPvRmT3_T4_T5_T6_T7_T9_mT8_P12ihipStream_tbDpT10_ENKUlT_T0_E_clISt17integral_constantIbLb1EES1B_IbLb0EEEEDaS17_S18_EUlS17_E_NS1_11comp_targetILNS1_3genE3ELNS1_11target_archE908ELNS1_3gpuE7ELNS1_3repE0EEENS1_30default_config_static_selectorELNS0_4arch9wavefront6targetE1EEEvT1_
                                        ; -- End function
	.set _ZN7rocprim17ROCPRIM_400000_NS6detail17trampoline_kernelINS0_14default_configENS1_25partition_config_selectorILNS1_17partition_subalgoE9EllbEEZZNS1_14partition_implILS5_9ELb0ES3_jPlS8_PNS0_10empty_typeENS0_5tupleIJS8_S9_EEENSB_IJS8_SA_EEENS0_18inequality_wrapperIZN2at6native12_GLOBAL__N_124unique_dim_cuda_templateIN3c108BFloat16EEESt5tupleIJNSF_6TensorESM_SM_EERKSM_lbbbEUlllE0_EEPmJS9_EEE10hipError_tPvRmT3_T4_T5_T6_T7_T9_mT8_P12ihipStream_tbDpT10_ENKUlT_T0_E_clISt17integral_constantIbLb1EES1B_IbLb0EEEEDaS17_S18_EUlS17_E_NS1_11comp_targetILNS1_3genE3ELNS1_11target_archE908ELNS1_3gpuE7ELNS1_3repE0EEENS1_30default_config_static_selectorELNS0_4arch9wavefront6targetE1EEEvT1_.num_vgpr, 0
	.set _ZN7rocprim17ROCPRIM_400000_NS6detail17trampoline_kernelINS0_14default_configENS1_25partition_config_selectorILNS1_17partition_subalgoE9EllbEEZZNS1_14partition_implILS5_9ELb0ES3_jPlS8_PNS0_10empty_typeENS0_5tupleIJS8_S9_EEENSB_IJS8_SA_EEENS0_18inequality_wrapperIZN2at6native12_GLOBAL__N_124unique_dim_cuda_templateIN3c108BFloat16EEESt5tupleIJNSF_6TensorESM_SM_EERKSM_lbbbEUlllE0_EEPmJS9_EEE10hipError_tPvRmT3_T4_T5_T6_T7_T9_mT8_P12ihipStream_tbDpT10_ENKUlT_T0_E_clISt17integral_constantIbLb1EES1B_IbLb0EEEEDaS17_S18_EUlS17_E_NS1_11comp_targetILNS1_3genE3ELNS1_11target_archE908ELNS1_3gpuE7ELNS1_3repE0EEENS1_30default_config_static_selectorELNS0_4arch9wavefront6targetE1EEEvT1_.num_agpr, 0
	.set _ZN7rocprim17ROCPRIM_400000_NS6detail17trampoline_kernelINS0_14default_configENS1_25partition_config_selectorILNS1_17partition_subalgoE9EllbEEZZNS1_14partition_implILS5_9ELb0ES3_jPlS8_PNS0_10empty_typeENS0_5tupleIJS8_S9_EEENSB_IJS8_SA_EEENS0_18inequality_wrapperIZN2at6native12_GLOBAL__N_124unique_dim_cuda_templateIN3c108BFloat16EEESt5tupleIJNSF_6TensorESM_SM_EERKSM_lbbbEUlllE0_EEPmJS9_EEE10hipError_tPvRmT3_T4_T5_T6_T7_T9_mT8_P12ihipStream_tbDpT10_ENKUlT_T0_E_clISt17integral_constantIbLb1EES1B_IbLb0EEEEDaS17_S18_EUlS17_E_NS1_11comp_targetILNS1_3genE3ELNS1_11target_archE908ELNS1_3gpuE7ELNS1_3repE0EEENS1_30default_config_static_selectorELNS0_4arch9wavefront6targetE1EEEvT1_.numbered_sgpr, 0
	.set _ZN7rocprim17ROCPRIM_400000_NS6detail17trampoline_kernelINS0_14default_configENS1_25partition_config_selectorILNS1_17partition_subalgoE9EllbEEZZNS1_14partition_implILS5_9ELb0ES3_jPlS8_PNS0_10empty_typeENS0_5tupleIJS8_S9_EEENSB_IJS8_SA_EEENS0_18inequality_wrapperIZN2at6native12_GLOBAL__N_124unique_dim_cuda_templateIN3c108BFloat16EEESt5tupleIJNSF_6TensorESM_SM_EERKSM_lbbbEUlllE0_EEPmJS9_EEE10hipError_tPvRmT3_T4_T5_T6_T7_T9_mT8_P12ihipStream_tbDpT10_ENKUlT_T0_E_clISt17integral_constantIbLb1EES1B_IbLb0EEEEDaS17_S18_EUlS17_E_NS1_11comp_targetILNS1_3genE3ELNS1_11target_archE908ELNS1_3gpuE7ELNS1_3repE0EEENS1_30default_config_static_selectorELNS0_4arch9wavefront6targetE1EEEvT1_.num_named_barrier, 0
	.set _ZN7rocprim17ROCPRIM_400000_NS6detail17trampoline_kernelINS0_14default_configENS1_25partition_config_selectorILNS1_17partition_subalgoE9EllbEEZZNS1_14partition_implILS5_9ELb0ES3_jPlS8_PNS0_10empty_typeENS0_5tupleIJS8_S9_EEENSB_IJS8_SA_EEENS0_18inequality_wrapperIZN2at6native12_GLOBAL__N_124unique_dim_cuda_templateIN3c108BFloat16EEESt5tupleIJNSF_6TensorESM_SM_EERKSM_lbbbEUlllE0_EEPmJS9_EEE10hipError_tPvRmT3_T4_T5_T6_T7_T9_mT8_P12ihipStream_tbDpT10_ENKUlT_T0_E_clISt17integral_constantIbLb1EES1B_IbLb0EEEEDaS17_S18_EUlS17_E_NS1_11comp_targetILNS1_3genE3ELNS1_11target_archE908ELNS1_3gpuE7ELNS1_3repE0EEENS1_30default_config_static_selectorELNS0_4arch9wavefront6targetE1EEEvT1_.private_seg_size, 0
	.set _ZN7rocprim17ROCPRIM_400000_NS6detail17trampoline_kernelINS0_14default_configENS1_25partition_config_selectorILNS1_17partition_subalgoE9EllbEEZZNS1_14partition_implILS5_9ELb0ES3_jPlS8_PNS0_10empty_typeENS0_5tupleIJS8_S9_EEENSB_IJS8_SA_EEENS0_18inequality_wrapperIZN2at6native12_GLOBAL__N_124unique_dim_cuda_templateIN3c108BFloat16EEESt5tupleIJNSF_6TensorESM_SM_EERKSM_lbbbEUlllE0_EEPmJS9_EEE10hipError_tPvRmT3_T4_T5_T6_T7_T9_mT8_P12ihipStream_tbDpT10_ENKUlT_T0_E_clISt17integral_constantIbLb1EES1B_IbLb0EEEEDaS17_S18_EUlS17_E_NS1_11comp_targetILNS1_3genE3ELNS1_11target_archE908ELNS1_3gpuE7ELNS1_3repE0EEENS1_30default_config_static_selectorELNS0_4arch9wavefront6targetE1EEEvT1_.uses_vcc, 0
	.set _ZN7rocprim17ROCPRIM_400000_NS6detail17trampoline_kernelINS0_14default_configENS1_25partition_config_selectorILNS1_17partition_subalgoE9EllbEEZZNS1_14partition_implILS5_9ELb0ES3_jPlS8_PNS0_10empty_typeENS0_5tupleIJS8_S9_EEENSB_IJS8_SA_EEENS0_18inequality_wrapperIZN2at6native12_GLOBAL__N_124unique_dim_cuda_templateIN3c108BFloat16EEESt5tupleIJNSF_6TensorESM_SM_EERKSM_lbbbEUlllE0_EEPmJS9_EEE10hipError_tPvRmT3_T4_T5_T6_T7_T9_mT8_P12ihipStream_tbDpT10_ENKUlT_T0_E_clISt17integral_constantIbLb1EES1B_IbLb0EEEEDaS17_S18_EUlS17_E_NS1_11comp_targetILNS1_3genE3ELNS1_11target_archE908ELNS1_3gpuE7ELNS1_3repE0EEENS1_30default_config_static_selectorELNS0_4arch9wavefront6targetE1EEEvT1_.uses_flat_scratch, 0
	.set _ZN7rocprim17ROCPRIM_400000_NS6detail17trampoline_kernelINS0_14default_configENS1_25partition_config_selectorILNS1_17partition_subalgoE9EllbEEZZNS1_14partition_implILS5_9ELb0ES3_jPlS8_PNS0_10empty_typeENS0_5tupleIJS8_S9_EEENSB_IJS8_SA_EEENS0_18inequality_wrapperIZN2at6native12_GLOBAL__N_124unique_dim_cuda_templateIN3c108BFloat16EEESt5tupleIJNSF_6TensorESM_SM_EERKSM_lbbbEUlllE0_EEPmJS9_EEE10hipError_tPvRmT3_T4_T5_T6_T7_T9_mT8_P12ihipStream_tbDpT10_ENKUlT_T0_E_clISt17integral_constantIbLb1EES1B_IbLb0EEEEDaS17_S18_EUlS17_E_NS1_11comp_targetILNS1_3genE3ELNS1_11target_archE908ELNS1_3gpuE7ELNS1_3repE0EEENS1_30default_config_static_selectorELNS0_4arch9wavefront6targetE1EEEvT1_.has_dyn_sized_stack, 0
	.set _ZN7rocprim17ROCPRIM_400000_NS6detail17trampoline_kernelINS0_14default_configENS1_25partition_config_selectorILNS1_17partition_subalgoE9EllbEEZZNS1_14partition_implILS5_9ELb0ES3_jPlS8_PNS0_10empty_typeENS0_5tupleIJS8_S9_EEENSB_IJS8_SA_EEENS0_18inequality_wrapperIZN2at6native12_GLOBAL__N_124unique_dim_cuda_templateIN3c108BFloat16EEESt5tupleIJNSF_6TensorESM_SM_EERKSM_lbbbEUlllE0_EEPmJS9_EEE10hipError_tPvRmT3_T4_T5_T6_T7_T9_mT8_P12ihipStream_tbDpT10_ENKUlT_T0_E_clISt17integral_constantIbLb1EES1B_IbLb0EEEEDaS17_S18_EUlS17_E_NS1_11comp_targetILNS1_3genE3ELNS1_11target_archE908ELNS1_3gpuE7ELNS1_3repE0EEENS1_30default_config_static_selectorELNS0_4arch9wavefront6targetE1EEEvT1_.has_recursion, 0
	.set _ZN7rocprim17ROCPRIM_400000_NS6detail17trampoline_kernelINS0_14default_configENS1_25partition_config_selectorILNS1_17partition_subalgoE9EllbEEZZNS1_14partition_implILS5_9ELb0ES3_jPlS8_PNS0_10empty_typeENS0_5tupleIJS8_S9_EEENSB_IJS8_SA_EEENS0_18inequality_wrapperIZN2at6native12_GLOBAL__N_124unique_dim_cuda_templateIN3c108BFloat16EEESt5tupleIJNSF_6TensorESM_SM_EERKSM_lbbbEUlllE0_EEPmJS9_EEE10hipError_tPvRmT3_T4_T5_T6_T7_T9_mT8_P12ihipStream_tbDpT10_ENKUlT_T0_E_clISt17integral_constantIbLb1EES1B_IbLb0EEEEDaS17_S18_EUlS17_E_NS1_11comp_targetILNS1_3genE3ELNS1_11target_archE908ELNS1_3gpuE7ELNS1_3repE0EEENS1_30default_config_static_selectorELNS0_4arch9wavefront6targetE1EEEvT1_.has_indirect_call, 0
	.section	.AMDGPU.csdata,"",@progbits
; Kernel info:
; codeLenInByte = 0
; TotalNumSgprs: 6
; NumVgprs: 0
; NumAgprs: 0
; TotalNumVgprs: 0
; ScratchSize: 0
; MemoryBound: 0
; FloatMode: 240
; IeeeMode: 1
; LDSByteSize: 0 bytes/workgroup (compile time only)
; SGPRBlocks: 0
; VGPRBlocks: 0
; NumSGPRsForWavesPerEU: 6
; NumVGPRsForWavesPerEU: 1
; AccumOffset: 4
; Occupancy: 8
; WaveLimiterHint : 0
; COMPUTE_PGM_RSRC2:SCRATCH_EN: 0
; COMPUTE_PGM_RSRC2:USER_SGPR: 2
; COMPUTE_PGM_RSRC2:TRAP_HANDLER: 0
; COMPUTE_PGM_RSRC2:TGID_X_EN: 1
; COMPUTE_PGM_RSRC2:TGID_Y_EN: 0
; COMPUTE_PGM_RSRC2:TGID_Z_EN: 0
; COMPUTE_PGM_RSRC2:TIDIG_COMP_CNT: 0
; COMPUTE_PGM_RSRC3_GFX90A:ACCUM_OFFSET: 0
; COMPUTE_PGM_RSRC3_GFX90A:TG_SPLIT: 0
	.section	.text._ZN7rocprim17ROCPRIM_400000_NS6detail17trampoline_kernelINS0_14default_configENS1_25partition_config_selectorILNS1_17partition_subalgoE9EllbEEZZNS1_14partition_implILS5_9ELb0ES3_jPlS8_PNS0_10empty_typeENS0_5tupleIJS8_S9_EEENSB_IJS8_SA_EEENS0_18inequality_wrapperIZN2at6native12_GLOBAL__N_124unique_dim_cuda_templateIN3c108BFloat16EEESt5tupleIJNSF_6TensorESM_SM_EERKSM_lbbbEUlllE0_EEPmJS9_EEE10hipError_tPvRmT3_T4_T5_T6_T7_T9_mT8_P12ihipStream_tbDpT10_ENKUlT_T0_E_clISt17integral_constantIbLb1EES1B_IbLb0EEEEDaS17_S18_EUlS17_E_NS1_11comp_targetILNS1_3genE2ELNS1_11target_archE906ELNS1_3gpuE6ELNS1_3repE0EEENS1_30default_config_static_selectorELNS0_4arch9wavefront6targetE1EEEvT1_,"axG",@progbits,_ZN7rocprim17ROCPRIM_400000_NS6detail17trampoline_kernelINS0_14default_configENS1_25partition_config_selectorILNS1_17partition_subalgoE9EllbEEZZNS1_14partition_implILS5_9ELb0ES3_jPlS8_PNS0_10empty_typeENS0_5tupleIJS8_S9_EEENSB_IJS8_SA_EEENS0_18inequality_wrapperIZN2at6native12_GLOBAL__N_124unique_dim_cuda_templateIN3c108BFloat16EEESt5tupleIJNSF_6TensorESM_SM_EERKSM_lbbbEUlllE0_EEPmJS9_EEE10hipError_tPvRmT3_T4_T5_T6_T7_T9_mT8_P12ihipStream_tbDpT10_ENKUlT_T0_E_clISt17integral_constantIbLb1EES1B_IbLb0EEEEDaS17_S18_EUlS17_E_NS1_11comp_targetILNS1_3genE2ELNS1_11target_archE906ELNS1_3gpuE6ELNS1_3repE0EEENS1_30default_config_static_selectorELNS0_4arch9wavefront6targetE1EEEvT1_,comdat
	.globl	_ZN7rocprim17ROCPRIM_400000_NS6detail17trampoline_kernelINS0_14default_configENS1_25partition_config_selectorILNS1_17partition_subalgoE9EllbEEZZNS1_14partition_implILS5_9ELb0ES3_jPlS8_PNS0_10empty_typeENS0_5tupleIJS8_S9_EEENSB_IJS8_SA_EEENS0_18inequality_wrapperIZN2at6native12_GLOBAL__N_124unique_dim_cuda_templateIN3c108BFloat16EEESt5tupleIJNSF_6TensorESM_SM_EERKSM_lbbbEUlllE0_EEPmJS9_EEE10hipError_tPvRmT3_T4_T5_T6_T7_T9_mT8_P12ihipStream_tbDpT10_ENKUlT_T0_E_clISt17integral_constantIbLb1EES1B_IbLb0EEEEDaS17_S18_EUlS17_E_NS1_11comp_targetILNS1_3genE2ELNS1_11target_archE906ELNS1_3gpuE6ELNS1_3repE0EEENS1_30default_config_static_selectorELNS0_4arch9wavefront6targetE1EEEvT1_ ; -- Begin function _ZN7rocprim17ROCPRIM_400000_NS6detail17trampoline_kernelINS0_14default_configENS1_25partition_config_selectorILNS1_17partition_subalgoE9EllbEEZZNS1_14partition_implILS5_9ELb0ES3_jPlS8_PNS0_10empty_typeENS0_5tupleIJS8_S9_EEENSB_IJS8_SA_EEENS0_18inequality_wrapperIZN2at6native12_GLOBAL__N_124unique_dim_cuda_templateIN3c108BFloat16EEESt5tupleIJNSF_6TensorESM_SM_EERKSM_lbbbEUlllE0_EEPmJS9_EEE10hipError_tPvRmT3_T4_T5_T6_T7_T9_mT8_P12ihipStream_tbDpT10_ENKUlT_T0_E_clISt17integral_constantIbLb1EES1B_IbLb0EEEEDaS17_S18_EUlS17_E_NS1_11comp_targetILNS1_3genE2ELNS1_11target_archE906ELNS1_3gpuE6ELNS1_3repE0EEENS1_30default_config_static_selectorELNS0_4arch9wavefront6targetE1EEEvT1_
	.p2align	8
	.type	_ZN7rocprim17ROCPRIM_400000_NS6detail17trampoline_kernelINS0_14default_configENS1_25partition_config_selectorILNS1_17partition_subalgoE9EllbEEZZNS1_14partition_implILS5_9ELb0ES3_jPlS8_PNS0_10empty_typeENS0_5tupleIJS8_S9_EEENSB_IJS8_SA_EEENS0_18inequality_wrapperIZN2at6native12_GLOBAL__N_124unique_dim_cuda_templateIN3c108BFloat16EEESt5tupleIJNSF_6TensorESM_SM_EERKSM_lbbbEUlllE0_EEPmJS9_EEE10hipError_tPvRmT3_T4_T5_T6_T7_T9_mT8_P12ihipStream_tbDpT10_ENKUlT_T0_E_clISt17integral_constantIbLb1EES1B_IbLb0EEEEDaS17_S18_EUlS17_E_NS1_11comp_targetILNS1_3genE2ELNS1_11target_archE906ELNS1_3gpuE6ELNS1_3repE0EEENS1_30default_config_static_selectorELNS0_4arch9wavefront6targetE1EEEvT1_,@function
_ZN7rocprim17ROCPRIM_400000_NS6detail17trampoline_kernelINS0_14default_configENS1_25partition_config_selectorILNS1_17partition_subalgoE9EllbEEZZNS1_14partition_implILS5_9ELb0ES3_jPlS8_PNS0_10empty_typeENS0_5tupleIJS8_S9_EEENSB_IJS8_SA_EEENS0_18inequality_wrapperIZN2at6native12_GLOBAL__N_124unique_dim_cuda_templateIN3c108BFloat16EEESt5tupleIJNSF_6TensorESM_SM_EERKSM_lbbbEUlllE0_EEPmJS9_EEE10hipError_tPvRmT3_T4_T5_T6_T7_T9_mT8_P12ihipStream_tbDpT10_ENKUlT_T0_E_clISt17integral_constantIbLb1EES1B_IbLb0EEEEDaS17_S18_EUlS17_E_NS1_11comp_targetILNS1_3genE2ELNS1_11target_archE906ELNS1_3gpuE6ELNS1_3repE0EEENS1_30default_config_static_selectorELNS0_4arch9wavefront6targetE1EEEvT1_: ; @_ZN7rocprim17ROCPRIM_400000_NS6detail17trampoline_kernelINS0_14default_configENS1_25partition_config_selectorILNS1_17partition_subalgoE9EllbEEZZNS1_14partition_implILS5_9ELb0ES3_jPlS8_PNS0_10empty_typeENS0_5tupleIJS8_S9_EEENSB_IJS8_SA_EEENS0_18inequality_wrapperIZN2at6native12_GLOBAL__N_124unique_dim_cuda_templateIN3c108BFloat16EEESt5tupleIJNSF_6TensorESM_SM_EERKSM_lbbbEUlllE0_EEPmJS9_EEE10hipError_tPvRmT3_T4_T5_T6_T7_T9_mT8_P12ihipStream_tbDpT10_ENKUlT_T0_E_clISt17integral_constantIbLb1EES1B_IbLb0EEEEDaS17_S18_EUlS17_E_NS1_11comp_targetILNS1_3genE2ELNS1_11target_archE906ELNS1_3gpuE6ELNS1_3repE0EEENS1_30default_config_static_selectorELNS0_4arch9wavefront6targetE1EEEvT1_
; %bb.0:
	.section	.rodata,"a",@progbits
	.p2align	6, 0x0
	.amdhsa_kernel _ZN7rocprim17ROCPRIM_400000_NS6detail17trampoline_kernelINS0_14default_configENS1_25partition_config_selectorILNS1_17partition_subalgoE9EllbEEZZNS1_14partition_implILS5_9ELb0ES3_jPlS8_PNS0_10empty_typeENS0_5tupleIJS8_S9_EEENSB_IJS8_SA_EEENS0_18inequality_wrapperIZN2at6native12_GLOBAL__N_124unique_dim_cuda_templateIN3c108BFloat16EEESt5tupleIJNSF_6TensorESM_SM_EERKSM_lbbbEUlllE0_EEPmJS9_EEE10hipError_tPvRmT3_T4_T5_T6_T7_T9_mT8_P12ihipStream_tbDpT10_ENKUlT_T0_E_clISt17integral_constantIbLb1EES1B_IbLb0EEEEDaS17_S18_EUlS17_E_NS1_11comp_targetILNS1_3genE2ELNS1_11target_archE906ELNS1_3gpuE6ELNS1_3repE0EEENS1_30default_config_static_selectorELNS0_4arch9wavefront6targetE1EEEvT1_
		.amdhsa_group_segment_fixed_size 0
		.amdhsa_private_segment_fixed_size 0
		.amdhsa_kernarg_size 120
		.amdhsa_user_sgpr_count 2
		.amdhsa_user_sgpr_dispatch_ptr 0
		.amdhsa_user_sgpr_queue_ptr 0
		.amdhsa_user_sgpr_kernarg_segment_ptr 1
		.amdhsa_user_sgpr_dispatch_id 0
		.amdhsa_user_sgpr_kernarg_preload_length 0
		.amdhsa_user_sgpr_kernarg_preload_offset 0
		.amdhsa_user_sgpr_private_segment_size 0
		.amdhsa_uses_dynamic_stack 0
		.amdhsa_enable_private_segment 0
		.amdhsa_system_sgpr_workgroup_id_x 1
		.amdhsa_system_sgpr_workgroup_id_y 0
		.amdhsa_system_sgpr_workgroup_id_z 0
		.amdhsa_system_sgpr_workgroup_info 0
		.amdhsa_system_vgpr_workitem_id 0
		.amdhsa_next_free_vgpr 1
		.amdhsa_next_free_sgpr 0
		.amdhsa_accum_offset 4
		.amdhsa_reserve_vcc 0
		.amdhsa_float_round_mode_32 0
		.amdhsa_float_round_mode_16_64 0
		.amdhsa_float_denorm_mode_32 3
		.amdhsa_float_denorm_mode_16_64 3
		.amdhsa_dx10_clamp 1
		.amdhsa_ieee_mode 1
		.amdhsa_fp16_overflow 0
		.amdhsa_tg_split 0
		.amdhsa_exception_fp_ieee_invalid_op 0
		.amdhsa_exception_fp_denorm_src 0
		.amdhsa_exception_fp_ieee_div_zero 0
		.amdhsa_exception_fp_ieee_overflow 0
		.amdhsa_exception_fp_ieee_underflow 0
		.amdhsa_exception_fp_ieee_inexact 0
		.amdhsa_exception_int_div_zero 0
	.end_amdhsa_kernel
	.section	.text._ZN7rocprim17ROCPRIM_400000_NS6detail17trampoline_kernelINS0_14default_configENS1_25partition_config_selectorILNS1_17partition_subalgoE9EllbEEZZNS1_14partition_implILS5_9ELb0ES3_jPlS8_PNS0_10empty_typeENS0_5tupleIJS8_S9_EEENSB_IJS8_SA_EEENS0_18inequality_wrapperIZN2at6native12_GLOBAL__N_124unique_dim_cuda_templateIN3c108BFloat16EEESt5tupleIJNSF_6TensorESM_SM_EERKSM_lbbbEUlllE0_EEPmJS9_EEE10hipError_tPvRmT3_T4_T5_T6_T7_T9_mT8_P12ihipStream_tbDpT10_ENKUlT_T0_E_clISt17integral_constantIbLb1EES1B_IbLb0EEEEDaS17_S18_EUlS17_E_NS1_11comp_targetILNS1_3genE2ELNS1_11target_archE906ELNS1_3gpuE6ELNS1_3repE0EEENS1_30default_config_static_selectorELNS0_4arch9wavefront6targetE1EEEvT1_,"axG",@progbits,_ZN7rocprim17ROCPRIM_400000_NS6detail17trampoline_kernelINS0_14default_configENS1_25partition_config_selectorILNS1_17partition_subalgoE9EllbEEZZNS1_14partition_implILS5_9ELb0ES3_jPlS8_PNS0_10empty_typeENS0_5tupleIJS8_S9_EEENSB_IJS8_SA_EEENS0_18inequality_wrapperIZN2at6native12_GLOBAL__N_124unique_dim_cuda_templateIN3c108BFloat16EEESt5tupleIJNSF_6TensorESM_SM_EERKSM_lbbbEUlllE0_EEPmJS9_EEE10hipError_tPvRmT3_T4_T5_T6_T7_T9_mT8_P12ihipStream_tbDpT10_ENKUlT_T0_E_clISt17integral_constantIbLb1EES1B_IbLb0EEEEDaS17_S18_EUlS17_E_NS1_11comp_targetILNS1_3genE2ELNS1_11target_archE906ELNS1_3gpuE6ELNS1_3repE0EEENS1_30default_config_static_selectorELNS0_4arch9wavefront6targetE1EEEvT1_,comdat
.Lfunc_end1226:
	.size	_ZN7rocprim17ROCPRIM_400000_NS6detail17trampoline_kernelINS0_14default_configENS1_25partition_config_selectorILNS1_17partition_subalgoE9EllbEEZZNS1_14partition_implILS5_9ELb0ES3_jPlS8_PNS0_10empty_typeENS0_5tupleIJS8_S9_EEENSB_IJS8_SA_EEENS0_18inequality_wrapperIZN2at6native12_GLOBAL__N_124unique_dim_cuda_templateIN3c108BFloat16EEESt5tupleIJNSF_6TensorESM_SM_EERKSM_lbbbEUlllE0_EEPmJS9_EEE10hipError_tPvRmT3_T4_T5_T6_T7_T9_mT8_P12ihipStream_tbDpT10_ENKUlT_T0_E_clISt17integral_constantIbLb1EES1B_IbLb0EEEEDaS17_S18_EUlS17_E_NS1_11comp_targetILNS1_3genE2ELNS1_11target_archE906ELNS1_3gpuE6ELNS1_3repE0EEENS1_30default_config_static_selectorELNS0_4arch9wavefront6targetE1EEEvT1_, .Lfunc_end1226-_ZN7rocprim17ROCPRIM_400000_NS6detail17trampoline_kernelINS0_14default_configENS1_25partition_config_selectorILNS1_17partition_subalgoE9EllbEEZZNS1_14partition_implILS5_9ELb0ES3_jPlS8_PNS0_10empty_typeENS0_5tupleIJS8_S9_EEENSB_IJS8_SA_EEENS0_18inequality_wrapperIZN2at6native12_GLOBAL__N_124unique_dim_cuda_templateIN3c108BFloat16EEESt5tupleIJNSF_6TensorESM_SM_EERKSM_lbbbEUlllE0_EEPmJS9_EEE10hipError_tPvRmT3_T4_T5_T6_T7_T9_mT8_P12ihipStream_tbDpT10_ENKUlT_T0_E_clISt17integral_constantIbLb1EES1B_IbLb0EEEEDaS17_S18_EUlS17_E_NS1_11comp_targetILNS1_3genE2ELNS1_11target_archE906ELNS1_3gpuE6ELNS1_3repE0EEENS1_30default_config_static_selectorELNS0_4arch9wavefront6targetE1EEEvT1_
                                        ; -- End function
	.set _ZN7rocprim17ROCPRIM_400000_NS6detail17trampoline_kernelINS0_14default_configENS1_25partition_config_selectorILNS1_17partition_subalgoE9EllbEEZZNS1_14partition_implILS5_9ELb0ES3_jPlS8_PNS0_10empty_typeENS0_5tupleIJS8_S9_EEENSB_IJS8_SA_EEENS0_18inequality_wrapperIZN2at6native12_GLOBAL__N_124unique_dim_cuda_templateIN3c108BFloat16EEESt5tupleIJNSF_6TensorESM_SM_EERKSM_lbbbEUlllE0_EEPmJS9_EEE10hipError_tPvRmT3_T4_T5_T6_T7_T9_mT8_P12ihipStream_tbDpT10_ENKUlT_T0_E_clISt17integral_constantIbLb1EES1B_IbLb0EEEEDaS17_S18_EUlS17_E_NS1_11comp_targetILNS1_3genE2ELNS1_11target_archE906ELNS1_3gpuE6ELNS1_3repE0EEENS1_30default_config_static_selectorELNS0_4arch9wavefront6targetE1EEEvT1_.num_vgpr, 0
	.set _ZN7rocprim17ROCPRIM_400000_NS6detail17trampoline_kernelINS0_14default_configENS1_25partition_config_selectorILNS1_17partition_subalgoE9EllbEEZZNS1_14partition_implILS5_9ELb0ES3_jPlS8_PNS0_10empty_typeENS0_5tupleIJS8_S9_EEENSB_IJS8_SA_EEENS0_18inequality_wrapperIZN2at6native12_GLOBAL__N_124unique_dim_cuda_templateIN3c108BFloat16EEESt5tupleIJNSF_6TensorESM_SM_EERKSM_lbbbEUlllE0_EEPmJS9_EEE10hipError_tPvRmT3_T4_T5_T6_T7_T9_mT8_P12ihipStream_tbDpT10_ENKUlT_T0_E_clISt17integral_constantIbLb1EES1B_IbLb0EEEEDaS17_S18_EUlS17_E_NS1_11comp_targetILNS1_3genE2ELNS1_11target_archE906ELNS1_3gpuE6ELNS1_3repE0EEENS1_30default_config_static_selectorELNS0_4arch9wavefront6targetE1EEEvT1_.num_agpr, 0
	.set _ZN7rocprim17ROCPRIM_400000_NS6detail17trampoline_kernelINS0_14default_configENS1_25partition_config_selectorILNS1_17partition_subalgoE9EllbEEZZNS1_14partition_implILS5_9ELb0ES3_jPlS8_PNS0_10empty_typeENS0_5tupleIJS8_S9_EEENSB_IJS8_SA_EEENS0_18inequality_wrapperIZN2at6native12_GLOBAL__N_124unique_dim_cuda_templateIN3c108BFloat16EEESt5tupleIJNSF_6TensorESM_SM_EERKSM_lbbbEUlllE0_EEPmJS9_EEE10hipError_tPvRmT3_T4_T5_T6_T7_T9_mT8_P12ihipStream_tbDpT10_ENKUlT_T0_E_clISt17integral_constantIbLb1EES1B_IbLb0EEEEDaS17_S18_EUlS17_E_NS1_11comp_targetILNS1_3genE2ELNS1_11target_archE906ELNS1_3gpuE6ELNS1_3repE0EEENS1_30default_config_static_selectorELNS0_4arch9wavefront6targetE1EEEvT1_.numbered_sgpr, 0
	.set _ZN7rocprim17ROCPRIM_400000_NS6detail17trampoline_kernelINS0_14default_configENS1_25partition_config_selectorILNS1_17partition_subalgoE9EllbEEZZNS1_14partition_implILS5_9ELb0ES3_jPlS8_PNS0_10empty_typeENS0_5tupleIJS8_S9_EEENSB_IJS8_SA_EEENS0_18inequality_wrapperIZN2at6native12_GLOBAL__N_124unique_dim_cuda_templateIN3c108BFloat16EEESt5tupleIJNSF_6TensorESM_SM_EERKSM_lbbbEUlllE0_EEPmJS9_EEE10hipError_tPvRmT3_T4_T5_T6_T7_T9_mT8_P12ihipStream_tbDpT10_ENKUlT_T0_E_clISt17integral_constantIbLb1EES1B_IbLb0EEEEDaS17_S18_EUlS17_E_NS1_11comp_targetILNS1_3genE2ELNS1_11target_archE906ELNS1_3gpuE6ELNS1_3repE0EEENS1_30default_config_static_selectorELNS0_4arch9wavefront6targetE1EEEvT1_.num_named_barrier, 0
	.set _ZN7rocprim17ROCPRIM_400000_NS6detail17trampoline_kernelINS0_14default_configENS1_25partition_config_selectorILNS1_17partition_subalgoE9EllbEEZZNS1_14partition_implILS5_9ELb0ES3_jPlS8_PNS0_10empty_typeENS0_5tupleIJS8_S9_EEENSB_IJS8_SA_EEENS0_18inequality_wrapperIZN2at6native12_GLOBAL__N_124unique_dim_cuda_templateIN3c108BFloat16EEESt5tupleIJNSF_6TensorESM_SM_EERKSM_lbbbEUlllE0_EEPmJS9_EEE10hipError_tPvRmT3_T4_T5_T6_T7_T9_mT8_P12ihipStream_tbDpT10_ENKUlT_T0_E_clISt17integral_constantIbLb1EES1B_IbLb0EEEEDaS17_S18_EUlS17_E_NS1_11comp_targetILNS1_3genE2ELNS1_11target_archE906ELNS1_3gpuE6ELNS1_3repE0EEENS1_30default_config_static_selectorELNS0_4arch9wavefront6targetE1EEEvT1_.private_seg_size, 0
	.set _ZN7rocprim17ROCPRIM_400000_NS6detail17trampoline_kernelINS0_14default_configENS1_25partition_config_selectorILNS1_17partition_subalgoE9EllbEEZZNS1_14partition_implILS5_9ELb0ES3_jPlS8_PNS0_10empty_typeENS0_5tupleIJS8_S9_EEENSB_IJS8_SA_EEENS0_18inequality_wrapperIZN2at6native12_GLOBAL__N_124unique_dim_cuda_templateIN3c108BFloat16EEESt5tupleIJNSF_6TensorESM_SM_EERKSM_lbbbEUlllE0_EEPmJS9_EEE10hipError_tPvRmT3_T4_T5_T6_T7_T9_mT8_P12ihipStream_tbDpT10_ENKUlT_T0_E_clISt17integral_constantIbLb1EES1B_IbLb0EEEEDaS17_S18_EUlS17_E_NS1_11comp_targetILNS1_3genE2ELNS1_11target_archE906ELNS1_3gpuE6ELNS1_3repE0EEENS1_30default_config_static_selectorELNS0_4arch9wavefront6targetE1EEEvT1_.uses_vcc, 0
	.set _ZN7rocprim17ROCPRIM_400000_NS6detail17trampoline_kernelINS0_14default_configENS1_25partition_config_selectorILNS1_17partition_subalgoE9EllbEEZZNS1_14partition_implILS5_9ELb0ES3_jPlS8_PNS0_10empty_typeENS0_5tupleIJS8_S9_EEENSB_IJS8_SA_EEENS0_18inequality_wrapperIZN2at6native12_GLOBAL__N_124unique_dim_cuda_templateIN3c108BFloat16EEESt5tupleIJNSF_6TensorESM_SM_EERKSM_lbbbEUlllE0_EEPmJS9_EEE10hipError_tPvRmT3_T4_T5_T6_T7_T9_mT8_P12ihipStream_tbDpT10_ENKUlT_T0_E_clISt17integral_constantIbLb1EES1B_IbLb0EEEEDaS17_S18_EUlS17_E_NS1_11comp_targetILNS1_3genE2ELNS1_11target_archE906ELNS1_3gpuE6ELNS1_3repE0EEENS1_30default_config_static_selectorELNS0_4arch9wavefront6targetE1EEEvT1_.uses_flat_scratch, 0
	.set _ZN7rocprim17ROCPRIM_400000_NS6detail17trampoline_kernelINS0_14default_configENS1_25partition_config_selectorILNS1_17partition_subalgoE9EllbEEZZNS1_14partition_implILS5_9ELb0ES3_jPlS8_PNS0_10empty_typeENS0_5tupleIJS8_S9_EEENSB_IJS8_SA_EEENS0_18inequality_wrapperIZN2at6native12_GLOBAL__N_124unique_dim_cuda_templateIN3c108BFloat16EEESt5tupleIJNSF_6TensorESM_SM_EERKSM_lbbbEUlllE0_EEPmJS9_EEE10hipError_tPvRmT3_T4_T5_T6_T7_T9_mT8_P12ihipStream_tbDpT10_ENKUlT_T0_E_clISt17integral_constantIbLb1EES1B_IbLb0EEEEDaS17_S18_EUlS17_E_NS1_11comp_targetILNS1_3genE2ELNS1_11target_archE906ELNS1_3gpuE6ELNS1_3repE0EEENS1_30default_config_static_selectorELNS0_4arch9wavefront6targetE1EEEvT1_.has_dyn_sized_stack, 0
	.set _ZN7rocprim17ROCPRIM_400000_NS6detail17trampoline_kernelINS0_14default_configENS1_25partition_config_selectorILNS1_17partition_subalgoE9EllbEEZZNS1_14partition_implILS5_9ELb0ES3_jPlS8_PNS0_10empty_typeENS0_5tupleIJS8_S9_EEENSB_IJS8_SA_EEENS0_18inequality_wrapperIZN2at6native12_GLOBAL__N_124unique_dim_cuda_templateIN3c108BFloat16EEESt5tupleIJNSF_6TensorESM_SM_EERKSM_lbbbEUlllE0_EEPmJS9_EEE10hipError_tPvRmT3_T4_T5_T6_T7_T9_mT8_P12ihipStream_tbDpT10_ENKUlT_T0_E_clISt17integral_constantIbLb1EES1B_IbLb0EEEEDaS17_S18_EUlS17_E_NS1_11comp_targetILNS1_3genE2ELNS1_11target_archE906ELNS1_3gpuE6ELNS1_3repE0EEENS1_30default_config_static_selectorELNS0_4arch9wavefront6targetE1EEEvT1_.has_recursion, 0
	.set _ZN7rocprim17ROCPRIM_400000_NS6detail17trampoline_kernelINS0_14default_configENS1_25partition_config_selectorILNS1_17partition_subalgoE9EllbEEZZNS1_14partition_implILS5_9ELb0ES3_jPlS8_PNS0_10empty_typeENS0_5tupleIJS8_S9_EEENSB_IJS8_SA_EEENS0_18inequality_wrapperIZN2at6native12_GLOBAL__N_124unique_dim_cuda_templateIN3c108BFloat16EEESt5tupleIJNSF_6TensorESM_SM_EERKSM_lbbbEUlllE0_EEPmJS9_EEE10hipError_tPvRmT3_T4_T5_T6_T7_T9_mT8_P12ihipStream_tbDpT10_ENKUlT_T0_E_clISt17integral_constantIbLb1EES1B_IbLb0EEEEDaS17_S18_EUlS17_E_NS1_11comp_targetILNS1_3genE2ELNS1_11target_archE906ELNS1_3gpuE6ELNS1_3repE0EEENS1_30default_config_static_selectorELNS0_4arch9wavefront6targetE1EEEvT1_.has_indirect_call, 0
	.section	.AMDGPU.csdata,"",@progbits
; Kernel info:
; codeLenInByte = 0
; TotalNumSgprs: 6
; NumVgprs: 0
; NumAgprs: 0
; TotalNumVgprs: 0
; ScratchSize: 0
; MemoryBound: 0
; FloatMode: 240
; IeeeMode: 1
; LDSByteSize: 0 bytes/workgroup (compile time only)
; SGPRBlocks: 0
; VGPRBlocks: 0
; NumSGPRsForWavesPerEU: 6
; NumVGPRsForWavesPerEU: 1
; AccumOffset: 4
; Occupancy: 8
; WaveLimiterHint : 0
; COMPUTE_PGM_RSRC2:SCRATCH_EN: 0
; COMPUTE_PGM_RSRC2:USER_SGPR: 2
; COMPUTE_PGM_RSRC2:TRAP_HANDLER: 0
; COMPUTE_PGM_RSRC2:TGID_X_EN: 1
; COMPUTE_PGM_RSRC2:TGID_Y_EN: 0
; COMPUTE_PGM_RSRC2:TGID_Z_EN: 0
; COMPUTE_PGM_RSRC2:TIDIG_COMP_CNT: 0
; COMPUTE_PGM_RSRC3_GFX90A:ACCUM_OFFSET: 0
; COMPUTE_PGM_RSRC3_GFX90A:TG_SPLIT: 0
	.section	.text._ZN7rocprim17ROCPRIM_400000_NS6detail17trampoline_kernelINS0_14default_configENS1_25partition_config_selectorILNS1_17partition_subalgoE9EllbEEZZNS1_14partition_implILS5_9ELb0ES3_jPlS8_PNS0_10empty_typeENS0_5tupleIJS8_S9_EEENSB_IJS8_SA_EEENS0_18inequality_wrapperIZN2at6native12_GLOBAL__N_124unique_dim_cuda_templateIN3c108BFloat16EEESt5tupleIJNSF_6TensorESM_SM_EERKSM_lbbbEUlllE0_EEPmJS9_EEE10hipError_tPvRmT3_T4_T5_T6_T7_T9_mT8_P12ihipStream_tbDpT10_ENKUlT_T0_E_clISt17integral_constantIbLb1EES1B_IbLb0EEEEDaS17_S18_EUlS17_E_NS1_11comp_targetILNS1_3genE10ELNS1_11target_archE1200ELNS1_3gpuE4ELNS1_3repE0EEENS1_30default_config_static_selectorELNS0_4arch9wavefront6targetE1EEEvT1_,"axG",@progbits,_ZN7rocprim17ROCPRIM_400000_NS6detail17trampoline_kernelINS0_14default_configENS1_25partition_config_selectorILNS1_17partition_subalgoE9EllbEEZZNS1_14partition_implILS5_9ELb0ES3_jPlS8_PNS0_10empty_typeENS0_5tupleIJS8_S9_EEENSB_IJS8_SA_EEENS0_18inequality_wrapperIZN2at6native12_GLOBAL__N_124unique_dim_cuda_templateIN3c108BFloat16EEESt5tupleIJNSF_6TensorESM_SM_EERKSM_lbbbEUlllE0_EEPmJS9_EEE10hipError_tPvRmT3_T4_T5_T6_T7_T9_mT8_P12ihipStream_tbDpT10_ENKUlT_T0_E_clISt17integral_constantIbLb1EES1B_IbLb0EEEEDaS17_S18_EUlS17_E_NS1_11comp_targetILNS1_3genE10ELNS1_11target_archE1200ELNS1_3gpuE4ELNS1_3repE0EEENS1_30default_config_static_selectorELNS0_4arch9wavefront6targetE1EEEvT1_,comdat
	.globl	_ZN7rocprim17ROCPRIM_400000_NS6detail17trampoline_kernelINS0_14default_configENS1_25partition_config_selectorILNS1_17partition_subalgoE9EllbEEZZNS1_14partition_implILS5_9ELb0ES3_jPlS8_PNS0_10empty_typeENS0_5tupleIJS8_S9_EEENSB_IJS8_SA_EEENS0_18inequality_wrapperIZN2at6native12_GLOBAL__N_124unique_dim_cuda_templateIN3c108BFloat16EEESt5tupleIJNSF_6TensorESM_SM_EERKSM_lbbbEUlllE0_EEPmJS9_EEE10hipError_tPvRmT3_T4_T5_T6_T7_T9_mT8_P12ihipStream_tbDpT10_ENKUlT_T0_E_clISt17integral_constantIbLb1EES1B_IbLb0EEEEDaS17_S18_EUlS17_E_NS1_11comp_targetILNS1_3genE10ELNS1_11target_archE1200ELNS1_3gpuE4ELNS1_3repE0EEENS1_30default_config_static_selectorELNS0_4arch9wavefront6targetE1EEEvT1_ ; -- Begin function _ZN7rocprim17ROCPRIM_400000_NS6detail17trampoline_kernelINS0_14default_configENS1_25partition_config_selectorILNS1_17partition_subalgoE9EllbEEZZNS1_14partition_implILS5_9ELb0ES3_jPlS8_PNS0_10empty_typeENS0_5tupleIJS8_S9_EEENSB_IJS8_SA_EEENS0_18inequality_wrapperIZN2at6native12_GLOBAL__N_124unique_dim_cuda_templateIN3c108BFloat16EEESt5tupleIJNSF_6TensorESM_SM_EERKSM_lbbbEUlllE0_EEPmJS9_EEE10hipError_tPvRmT3_T4_T5_T6_T7_T9_mT8_P12ihipStream_tbDpT10_ENKUlT_T0_E_clISt17integral_constantIbLb1EES1B_IbLb0EEEEDaS17_S18_EUlS17_E_NS1_11comp_targetILNS1_3genE10ELNS1_11target_archE1200ELNS1_3gpuE4ELNS1_3repE0EEENS1_30default_config_static_selectorELNS0_4arch9wavefront6targetE1EEEvT1_
	.p2align	8
	.type	_ZN7rocprim17ROCPRIM_400000_NS6detail17trampoline_kernelINS0_14default_configENS1_25partition_config_selectorILNS1_17partition_subalgoE9EllbEEZZNS1_14partition_implILS5_9ELb0ES3_jPlS8_PNS0_10empty_typeENS0_5tupleIJS8_S9_EEENSB_IJS8_SA_EEENS0_18inequality_wrapperIZN2at6native12_GLOBAL__N_124unique_dim_cuda_templateIN3c108BFloat16EEESt5tupleIJNSF_6TensorESM_SM_EERKSM_lbbbEUlllE0_EEPmJS9_EEE10hipError_tPvRmT3_T4_T5_T6_T7_T9_mT8_P12ihipStream_tbDpT10_ENKUlT_T0_E_clISt17integral_constantIbLb1EES1B_IbLb0EEEEDaS17_S18_EUlS17_E_NS1_11comp_targetILNS1_3genE10ELNS1_11target_archE1200ELNS1_3gpuE4ELNS1_3repE0EEENS1_30default_config_static_selectorELNS0_4arch9wavefront6targetE1EEEvT1_,@function
_ZN7rocprim17ROCPRIM_400000_NS6detail17trampoline_kernelINS0_14default_configENS1_25partition_config_selectorILNS1_17partition_subalgoE9EllbEEZZNS1_14partition_implILS5_9ELb0ES3_jPlS8_PNS0_10empty_typeENS0_5tupleIJS8_S9_EEENSB_IJS8_SA_EEENS0_18inequality_wrapperIZN2at6native12_GLOBAL__N_124unique_dim_cuda_templateIN3c108BFloat16EEESt5tupleIJNSF_6TensorESM_SM_EERKSM_lbbbEUlllE0_EEPmJS9_EEE10hipError_tPvRmT3_T4_T5_T6_T7_T9_mT8_P12ihipStream_tbDpT10_ENKUlT_T0_E_clISt17integral_constantIbLb1EES1B_IbLb0EEEEDaS17_S18_EUlS17_E_NS1_11comp_targetILNS1_3genE10ELNS1_11target_archE1200ELNS1_3gpuE4ELNS1_3repE0EEENS1_30default_config_static_selectorELNS0_4arch9wavefront6targetE1EEEvT1_: ; @_ZN7rocprim17ROCPRIM_400000_NS6detail17trampoline_kernelINS0_14default_configENS1_25partition_config_selectorILNS1_17partition_subalgoE9EllbEEZZNS1_14partition_implILS5_9ELb0ES3_jPlS8_PNS0_10empty_typeENS0_5tupleIJS8_S9_EEENSB_IJS8_SA_EEENS0_18inequality_wrapperIZN2at6native12_GLOBAL__N_124unique_dim_cuda_templateIN3c108BFloat16EEESt5tupleIJNSF_6TensorESM_SM_EERKSM_lbbbEUlllE0_EEPmJS9_EEE10hipError_tPvRmT3_T4_T5_T6_T7_T9_mT8_P12ihipStream_tbDpT10_ENKUlT_T0_E_clISt17integral_constantIbLb1EES1B_IbLb0EEEEDaS17_S18_EUlS17_E_NS1_11comp_targetILNS1_3genE10ELNS1_11target_archE1200ELNS1_3gpuE4ELNS1_3repE0EEENS1_30default_config_static_selectorELNS0_4arch9wavefront6targetE1EEEvT1_
; %bb.0:
	.section	.rodata,"a",@progbits
	.p2align	6, 0x0
	.amdhsa_kernel _ZN7rocprim17ROCPRIM_400000_NS6detail17trampoline_kernelINS0_14default_configENS1_25partition_config_selectorILNS1_17partition_subalgoE9EllbEEZZNS1_14partition_implILS5_9ELb0ES3_jPlS8_PNS0_10empty_typeENS0_5tupleIJS8_S9_EEENSB_IJS8_SA_EEENS0_18inequality_wrapperIZN2at6native12_GLOBAL__N_124unique_dim_cuda_templateIN3c108BFloat16EEESt5tupleIJNSF_6TensorESM_SM_EERKSM_lbbbEUlllE0_EEPmJS9_EEE10hipError_tPvRmT3_T4_T5_T6_T7_T9_mT8_P12ihipStream_tbDpT10_ENKUlT_T0_E_clISt17integral_constantIbLb1EES1B_IbLb0EEEEDaS17_S18_EUlS17_E_NS1_11comp_targetILNS1_3genE10ELNS1_11target_archE1200ELNS1_3gpuE4ELNS1_3repE0EEENS1_30default_config_static_selectorELNS0_4arch9wavefront6targetE1EEEvT1_
		.amdhsa_group_segment_fixed_size 0
		.amdhsa_private_segment_fixed_size 0
		.amdhsa_kernarg_size 120
		.amdhsa_user_sgpr_count 2
		.amdhsa_user_sgpr_dispatch_ptr 0
		.amdhsa_user_sgpr_queue_ptr 0
		.amdhsa_user_sgpr_kernarg_segment_ptr 1
		.amdhsa_user_sgpr_dispatch_id 0
		.amdhsa_user_sgpr_kernarg_preload_length 0
		.amdhsa_user_sgpr_kernarg_preload_offset 0
		.amdhsa_user_sgpr_private_segment_size 0
		.amdhsa_uses_dynamic_stack 0
		.amdhsa_enable_private_segment 0
		.amdhsa_system_sgpr_workgroup_id_x 1
		.amdhsa_system_sgpr_workgroup_id_y 0
		.amdhsa_system_sgpr_workgroup_id_z 0
		.amdhsa_system_sgpr_workgroup_info 0
		.amdhsa_system_vgpr_workitem_id 0
		.amdhsa_next_free_vgpr 1
		.amdhsa_next_free_sgpr 0
		.amdhsa_accum_offset 4
		.amdhsa_reserve_vcc 0
		.amdhsa_float_round_mode_32 0
		.amdhsa_float_round_mode_16_64 0
		.amdhsa_float_denorm_mode_32 3
		.amdhsa_float_denorm_mode_16_64 3
		.amdhsa_dx10_clamp 1
		.amdhsa_ieee_mode 1
		.amdhsa_fp16_overflow 0
		.amdhsa_tg_split 0
		.amdhsa_exception_fp_ieee_invalid_op 0
		.amdhsa_exception_fp_denorm_src 0
		.amdhsa_exception_fp_ieee_div_zero 0
		.amdhsa_exception_fp_ieee_overflow 0
		.amdhsa_exception_fp_ieee_underflow 0
		.amdhsa_exception_fp_ieee_inexact 0
		.amdhsa_exception_int_div_zero 0
	.end_amdhsa_kernel
	.section	.text._ZN7rocprim17ROCPRIM_400000_NS6detail17trampoline_kernelINS0_14default_configENS1_25partition_config_selectorILNS1_17partition_subalgoE9EllbEEZZNS1_14partition_implILS5_9ELb0ES3_jPlS8_PNS0_10empty_typeENS0_5tupleIJS8_S9_EEENSB_IJS8_SA_EEENS0_18inequality_wrapperIZN2at6native12_GLOBAL__N_124unique_dim_cuda_templateIN3c108BFloat16EEESt5tupleIJNSF_6TensorESM_SM_EERKSM_lbbbEUlllE0_EEPmJS9_EEE10hipError_tPvRmT3_T4_T5_T6_T7_T9_mT8_P12ihipStream_tbDpT10_ENKUlT_T0_E_clISt17integral_constantIbLb1EES1B_IbLb0EEEEDaS17_S18_EUlS17_E_NS1_11comp_targetILNS1_3genE10ELNS1_11target_archE1200ELNS1_3gpuE4ELNS1_3repE0EEENS1_30default_config_static_selectorELNS0_4arch9wavefront6targetE1EEEvT1_,"axG",@progbits,_ZN7rocprim17ROCPRIM_400000_NS6detail17trampoline_kernelINS0_14default_configENS1_25partition_config_selectorILNS1_17partition_subalgoE9EllbEEZZNS1_14partition_implILS5_9ELb0ES3_jPlS8_PNS0_10empty_typeENS0_5tupleIJS8_S9_EEENSB_IJS8_SA_EEENS0_18inequality_wrapperIZN2at6native12_GLOBAL__N_124unique_dim_cuda_templateIN3c108BFloat16EEESt5tupleIJNSF_6TensorESM_SM_EERKSM_lbbbEUlllE0_EEPmJS9_EEE10hipError_tPvRmT3_T4_T5_T6_T7_T9_mT8_P12ihipStream_tbDpT10_ENKUlT_T0_E_clISt17integral_constantIbLb1EES1B_IbLb0EEEEDaS17_S18_EUlS17_E_NS1_11comp_targetILNS1_3genE10ELNS1_11target_archE1200ELNS1_3gpuE4ELNS1_3repE0EEENS1_30default_config_static_selectorELNS0_4arch9wavefront6targetE1EEEvT1_,comdat
.Lfunc_end1227:
	.size	_ZN7rocprim17ROCPRIM_400000_NS6detail17trampoline_kernelINS0_14default_configENS1_25partition_config_selectorILNS1_17partition_subalgoE9EllbEEZZNS1_14partition_implILS5_9ELb0ES3_jPlS8_PNS0_10empty_typeENS0_5tupleIJS8_S9_EEENSB_IJS8_SA_EEENS0_18inequality_wrapperIZN2at6native12_GLOBAL__N_124unique_dim_cuda_templateIN3c108BFloat16EEESt5tupleIJNSF_6TensorESM_SM_EERKSM_lbbbEUlllE0_EEPmJS9_EEE10hipError_tPvRmT3_T4_T5_T6_T7_T9_mT8_P12ihipStream_tbDpT10_ENKUlT_T0_E_clISt17integral_constantIbLb1EES1B_IbLb0EEEEDaS17_S18_EUlS17_E_NS1_11comp_targetILNS1_3genE10ELNS1_11target_archE1200ELNS1_3gpuE4ELNS1_3repE0EEENS1_30default_config_static_selectorELNS0_4arch9wavefront6targetE1EEEvT1_, .Lfunc_end1227-_ZN7rocprim17ROCPRIM_400000_NS6detail17trampoline_kernelINS0_14default_configENS1_25partition_config_selectorILNS1_17partition_subalgoE9EllbEEZZNS1_14partition_implILS5_9ELb0ES3_jPlS8_PNS0_10empty_typeENS0_5tupleIJS8_S9_EEENSB_IJS8_SA_EEENS0_18inequality_wrapperIZN2at6native12_GLOBAL__N_124unique_dim_cuda_templateIN3c108BFloat16EEESt5tupleIJNSF_6TensorESM_SM_EERKSM_lbbbEUlllE0_EEPmJS9_EEE10hipError_tPvRmT3_T4_T5_T6_T7_T9_mT8_P12ihipStream_tbDpT10_ENKUlT_T0_E_clISt17integral_constantIbLb1EES1B_IbLb0EEEEDaS17_S18_EUlS17_E_NS1_11comp_targetILNS1_3genE10ELNS1_11target_archE1200ELNS1_3gpuE4ELNS1_3repE0EEENS1_30default_config_static_selectorELNS0_4arch9wavefront6targetE1EEEvT1_
                                        ; -- End function
	.set _ZN7rocprim17ROCPRIM_400000_NS6detail17trampoline_kernelINS0_14default_configENS1_25partition_config_selectorILNS1_17partition_subalgoE9EllbEEZZNS1_14partition_implILS5_9ELb0ES3_jPlS8_PNS0_10empty_typeENS0_5tupleIJS8_S9_EEENSB_IJS8_SA_EEENS0_18inequality_wrapperIZN2at6native12_GLOBAL__N_124unique_dim_cuda_templateIN3c108BFloat16EEESt5tupleIJNSF_6TensorESM_SM_EERKSM_lbbbEUlllE0_EEPmJS9_EEE10hipError_tPvRmT3_T4_T5_T6_T7_T9_mT8_P12ihipStream_tbDpT10_ENKUlT_T0_E_clISt17integral_constantIbLb1EES1B_IbLb0EEEEDaS17_S18_EUlS17_E_NS1_11comp_targetILNS1_3genE10ELNS1_11target_archE1200ELNS1_3gpuE4ELNS1_3repE0EEENS1_30default_config_static_selectorELNS0_4arch9wavefront6targetE1EEEvT1_.num_vgpr, 0
	.set _ZN7rocprim17ROCPRIM_400000_NS6detail17trampoline_kernelINS0_14default_configENS1_25partition_config_selectorILNS1_17partition_subalgoE9EllbEEZZNS1_14partition_implILS5_9ELb0ES3_jPlS8_PNS0_10empty_typeENS0_5tupleIJS8_S9_EEENSB_IJS8_SA_EEENS0_18inequality_wrapperIZN2at6native12_GLOBAL__N_124unique_dim_cuda_templateIN3c108BFloat16EEESt5tupleIJNSF_6TensorESM_SM_EERKSM_lbbbEUlllE0_EEPmJS9_EEE10hipError_tPvRmT3_T4_T5_T6_T7_T9_mT8_P12ihipStream_tbDpT10_ENKUlT_T0_E_clISt17integral_constantIbLb1EES1B_IbLb0EEEEDaS17_S18_EUlS17_E_NS1_11comp_targetILNS1_3genE10ELNS1_11target_archE1200ELNS1_3gpuE4ELNS1_3repE0EEENS1_30default_config_static_selectorELNS0_4arch9wavefront6targetE1EEEvT1_.num_agpr, 0
	.set _ZN7rocprim17ROCPRIM_400000_NS6detail17trampoline_kernelINS0_14default_configENS1_25partition_config_selectorILNS1_17partition_subalgoE9EllbEEZZNS1_14partition_implILS5_9ELb0ES3_jPlS8_PNS0_10empty_typeENS0_5tupleIJS8_S9_EEENSB_IJS8_SA_EEENS0_18inequality_wrapperIZN2at6native12_GLOBAL__N_124unique_dim_cuda_templateIN3c108BFloat16EEESt5tupleIJNSF_6TensorESM_SM_EERKSM_lbbbEUlllE0_EEPmJS9_EEE10hipError_tPvRmT3_T4_T5_T6_T7_T9_mT8_P12ihipStream_tbDpT10_ENKUlT_T0_E_clISt17integral_constantIbLb1EES1B_IbLb0EEEEDaS17_S18_EUlS17_E_NS1_11comp_targetILNS1_3genE10ELNS1_11target_archE1200ELNS1_3gpuE4ELNS1_3repE0EEENS1_30default_config_static_selectorELNS0_4arch9wavefront6targetE1EEEvT1_.numbered_sgpr, 0
	.set _ZN7rocprim17ROCPRIM_400000_NS6detail17trampoline_kernelINS0_14default_configENS1_25partition_config_selectorILNS1_17partition_subalgoE9EllbEEZZNS1_14partition_implILS5_9ELb0ES3_jPlS8_PNS0_10empty_typeENS0_5tupleIJS8_S9_EEENSB_IJS8_SA_EEENS0_18inequality_wrapperIZN2at6native12_GLOBAL__N_124unique_dim_cuda_templateIN3c108BFloat16EEESt5tupleIJNSF_6TensorESM_SM_EERKSM_lbbbEUlllE0_EEPmJS9_EEE10hipError_tPvRmT3_T4_T5_T6_T7_T9_mT8_P12ihipStream_tbDpT10_ENKUlT_T0_E_clISt17integral_constantIbLb1EES1B_IbLb0EEEEDaS17_S18_EUlS17_E_NS1_11comp_targetILNS1_3genE10ELNS1_11target_archE1200ELNS1_3gpuE4ELNS1_3repE0EEENS1_30default_config_static_selectorELNS0_4arch9wavefront6targetE1EEEvT1_.num_named_barrier, 0
	.set _ZN7rocprim17ROCPRIM_400000_NS6detail17trampoline_kernelINS0_14default_configENS1_25partition_config_selectorILNS1_17partition_subalgoE9EllbEEZZNS1_14partition_implILS5_9ELb0ES3_jPlS8_PNS0_10empty_typeENS0_5tupleIJS8_S9_EEENSB_IJS8_SA_EEENS0_18inequality_wrapperIZN2at6native12_GLOBAL__N_124unique_dim_cuda_templateIN3c108BFloat16EEESt5tupleIJNSF_6TensorESM_SM_EERKSM_lbbbEUlllE0_EEPmJS9_EEE10hipError_tPvRmT3_T4_T5_T6_T7_T9_mT8_P12ihipStream_tbDpT10_ENKUlT_T0_E_clISt17integral_constantIbLb1EES1B_IbLb0EEEEDaS17_S18_EUlS17_E_NS1_11comp_targetILNS1_3genE10ELNS1_11target_archE1200ELNS1_3gpuE4ELNS1_3repE0EEENS1_30default_config_static_selectorELNS0_4arch9wavefront6targetE1EEEvT1_.private_seg_size, 0
	.set _ZN7rocprim17ROCPRIM_400000_NS6detail17trampoline_kernelINS0_14default_configENS1_25partition_config_selectorILNS1_17partition_subalgoE9EllbEEZZNS1_14partition_implILS5_9ELb0ES3_jPlS8_PNS0_10empty_typeENS0_5tupleIJS8_S9_EEENSB_IJS8_SA_EEENS0_18inequality_wrapperIZN2at6native12_GLOBAL__N_124unique_dim_cuda_templateIN3c108BFloat16EEESt5tupleIJNSF_6TensorESM_SM_EERKSM_lbbbEUlllE0_EEPmJS9_EEE10hipError_tPvRmT3_T4_T5_T6_T7_T9_mT8_P12ihipStream_tbDpT10_ENKUlT_T0_E_clISt17integral_constantIbLb1EES1B_IbLb0EEEEDaS17_S18_EUlS17_E_NS1_11comp_targetILNS1_3genE10ELNS1_11target_archE1200ELNS1_3gpuE4ELNS1_3repE0EEENS1_30default_config_static_selectorELNS0_4arch9wavefront6targetE1EEEvT1_.uses_vcc, 0
	.set _ZN7rocprim17ROCPRIM_400000_NS6detail17trampoline_kernelINS0_14default_configENS1_25partition_config_selectorILNS1_17partition_subalgoE9EllbEEZZNS1_14partition_implILS5_9ELb0ES3_jPlS8_PNS0_10empty_typeENS0_5tupleIJS8_S9_EEENSB_IJS8_SA_EEENS0_18inequality_wrapperIZN2at6native12_GLOBAL__N_124unique_dim_cuda_templateIN3c108BFloat16EEESt5tupleIJNSF_6TensorESM_SM_EERKSM_lbbbEUlllE0_EEPmJS9_EEE10hipError_tPvRmT3_T4_T5_T6_T7_T9_mT8_P12ihipStream_tbDpT10_ENKUlT_T0_E_clISt17integral_constantIbLb1EES1B_IbLb0EEEEDaS17_S18_EUlS17_E_NS1_11comp_targetILNS1_3genE10ELNS1_11target_archE1200ELNS1_3gpuE4ELNS1_3repE0EEENS1_30default_config_static_selectorELNS0_4arch9wavefront6targetE1EEEvT1_.uses_flat_scratch, 0
	.set _ZN7rocprim17ROCPRIM_400000_NS6detail17trampoline_kernelINS0_14default_configENS1_25partition_config_selectorILNS1_17partition_subalgoE9EllbEEZZNS1_14partition_implILS5_9ELb0ES3_jPlS8_PNS0_10empty_typeENS0_5tupleIJS8_S9_EEENSB_IJS8_SA_EEENS0_18inequality_wrapperIZN2at6native12_GLOBAL__N_124unique_dim_cuda_templateIN3c108BFloat16EEESt5tupleIJNSF_6TensorESM_SM_EERKSM_lbbbEUlllE0_EEPmJS9_EEE10hipError_tPvRmT3_T4_T5_T6_T7_T9_mT8_P12ihipStream_tbDpT10_ENKUlT_T0_E_clISt17integral_constantIbLb1EES1B_IbLb0EEEEDaS17_S18_EUlS17_E_NS1_11comp_targetILNS1_3genE10ELNS1_11target_archE1200ELNS1_3gpuE4ELNS1_3repE0EEENS1_30default_config_static_selectorELNS0_4arch9wavefront6targetE1EEEvT1_.has_dyn_sized_stack, 0
	.set _ZN7rocprim17ROCPRIM_400000_NS6detail17trampoline_kernelINS0_14default_configENS1_25partition_config_selectorILNS1_17partition_subalgoE9EllbEEZZNS1_14partition_implILS5_9ELb0ES3_jPlS8_PNS0_10empty_typeENS0_5tupleIJS8_S9_EEENSB_IJS8_SA_EEENS0_18inequality_wrapperIZN2at6native12_GLOBAL__N_124unique_dim_cuda_templateIN3c108BFloat16EEESt5tupleIJNSF_6TensorESM_SM_EERKSM_lbbbEUlllE0_EEPmJS9_EEE10hipError_tPvRmT3_T4_T5_T6_T7_T9_mT8_P12ihipStream_tbDpT10_ENKUlT_T0_E_clISt17integral_constantIbLb1EES1B_IbLb0EEEEDaS17_S18_EUlS17_E_NS1_11comp_targetILNS1_3genE10ELNS1_11target_archE1200ELNS1_3gpuE4ELNS1_3repE0EEENS1_30default_config_static_selectorELNS0_4arch9wavefront6targetE1EEEvT1_.has_recursion, 0
	.set _ZN7rocprim17ROCPRIM_400000_NS6detail17trampoline_kernelINS0_14default_configENS1_25partition_config_selectorILNS1_17partition_subalgoE9EllbEEZZNS1_14partition_implILS5_9ELb0ES3_jPlS8_PNS0_10empty_typeENS0_5tupleIJS8_S9_EEENSB_IJS8_SA_EEENS0_18inequality_wrapperIZN2at6native12_GLOBAL__N_124unique_dim_cuda_templateIN3c108BFloat16EEESt5tupleIJNSF_6TensorESM_SM_EERKSM_lbbbEUlllE0_EEPmJS9_EEE10hipError_tPvRmT3_T4_T5_T6_T7_T9_mT8_P12ihipStream_tbDpT10_ENKUlT_T0_E_clISt17integral_constantIbLb1EES1B_IbLb0EEEEDaS17_S18_EUlS17_E_NS1_11comp_targetILNS1_3genE10ELNS1_11target_archE1200ELNS1_3gpuE4ELNS1_3repE0EEENS1_30default_config_static_selectorELNS0_4arch9wavefront6targetE1EEEvT1_.has_indirect_call, 0
	.section	.AMDGPU.csdata,"",@progbits
; Kernel info:
; codeLenInByte = 0
; TotalNumSgprs: 6
; NumVgprs: 0
; NumAgprs: 0
; TotalNumVgprs: 0
; ScratchSize: 0
; MemoryBound: 0
; FloatMode: 240
; IeeeMode: 1
; LDSByteSize: 0 bytes/workgroup (compile time only)
; SGPRBlocks: 0
; VGPRBlocks: 0
; NumSGPRsForWavesPerEU: 6
; NumVGPRsForWavesPerEU: 1
; AccumOffset: 4
; Occupancy: 8
; WaveLimiterHint : 0
; COMPUTE_PGM_RSRC2:SCRATCH_EN: 0
; COMPUTE_PGM_RSRC2:USER_SGPR: 2
; COMPUTE_PGM_RSRC2:TRAP_HANDLER: 0
; COMPUTE_PGM_RSRC2:TGID_X_EN: 1
; COMPUTE_PGM_RSRC2:TGID_Y_EN: 0
; COMPUTE_PGM_RSRC2:TGID_Z_EN: 0
; COMPUTE_PGM_RSRC2:TIDIG_COMP_CNT: 0
; COMPUTE_PGM_RSRC3_GFX90A:ACCUM_OFFSET: 0
; COMPUTE_PGM_RSRC3_GFX90A:TG_SPLIT: 0
	.section	.text._ZN7rocprim17ROCPRIM_400000_NS6detail17trampoline_kernelINS0_14default_configENS1_25partition_config_selectorILNS1_17partition_subalgoE9EllbEEZZNS1_14partition_implILS5_9ELb0ES3_jPlS8_PNS0_10empty_typeENS0_5tupleIJS8_S9_EEENSB_IJS8_SA_EEENS0_18inequality_wrapperIZN2at6native12_GLOBAL__N_124unique_dim_cuda_templateIN3c108BFloat16EEESt5tupleIJNSF_6TensorESM_SM_EERKSM_lbbbEUlllE0_EEPmJS9_EEE10hipError_tPvRmT3_T4_T5_T6_T7_T9_mT8_P12ihipStream_tbDpT10_ENKUlT_T0_E_clISt17integral_constantIbLb1EES1B_IbLb0EEEEDaS17_S18_EUlS17_E_NS1_11comp_targetILNS1_3genE9ELNS1_11target_archE1100ELNS1_3gpuE3ELNS1_3repE0EEENS1_30default_config_static_selectorELNS0_4arch9wavefront6targetE1EEEvT1_,"axG",@progbits,_ZN7rocprim17ROCPRIM_400000_NS6detail17trampoline_kernelINS0_14default_configENS1_25partition_config_selectorILNS1_17partition_subalgoE9EllbEEZZNS1_14partition_implILS5_9ELb0ES3_jPlS8_PNS0_10empty_typeENS0_5tupleIJS8_S9_EEENSB_IJS8_SA_EEENS0_18inequality_wrapperIZN2at6native12_GLOBAL__N_124unique_dim_cuda_templateIN3c108BFloat16EEESt5tupleIJNSF_6TensorESM_SM_EERKSM_lbbbEUlllE0_EEPmJS9_EEE10hipError_tPvRmT3_T4_T5_T6_T7_T9_mT8_P12ihipStream_tbDpT10_ENKUlT_T0_E_clISt17integral_constantIbLb1EES1B_IbLb0EEEEDaS17_S18_EUlS17_E_NS1_11comp_targetILNS1_3genE9ELNS1_11target_archE1100ELNS1_3gpuE3ELNS1_3repE0EEENS1_30default_config_static_selectorELNS0_4arch9wavefront6targetE1EEEvT1_,comdat
	.globl	_ZN7rocprim17ROCPRIM_400000_NS6detail17trampoline_kernelINS0_14default_configENS1_25partition_config_selectorILNS1_17partition_subalgoE9EllbEEZZNS1_14partition_implILS5_9ELb0ES3_jPlS8_PNS0_10empty_typeENS0_5tupleIJS8_S9_EEENSB_IJS8_SA_EEENS0_18inequality_wrapperIZN2at6native12_GLOBAL__N_124unique_dim_cuda_templateIN3c108BFloat16EEESt5tupleIJNSF_6TensorESM_SM_EERKSM_lbbbEUlllE0_EEPmJS9_EEE10hipError_tPvRmT3_T4_T5_T6_T7_T9_mT8_P12ihipStream_tbDpT10_ENKUlT_T0_E_clISt17integral_constantIbLb1EES1B_IbLb0EEEEDaS17_S18_EUlS17_E_NS1_11comp_targetILNS1_3genE9ELNS1_11target_archE1100ELNS1_3gpuE3ELNS1_3repE0EEENS1_30default_config_static_selectorELNS0_4arch9wavefront6targetE1EEEvT1_ ; -- Begin function _ZN7rocprim17ROCPRIM_400000_NS6detail17trampoline_kernelINS0_14default_configENS1_25partition_config_selectorILNS1_17partition_subalgoE9EllbEEZZNS1_14partition_implILS5_9ELb0ES3_jPlS8_PNS0_10empty_typeENS0_5tupleIJS8_S9_EEENSB_IJS8_SA_EEENS0_18inequality_wrapperIZN2at6native12_GLOBAL__N_124unique_dim_cuda_templateIN3c108BFloat16EEESt5tupleIJNSF_6TensorESM_SM_EERKSM_lbbbEUlllE0_EEPmJS9_EEE10hipError_tPvRmT3_T4_T5_T6_T7_T9_mT8_P12ihipStream_tbDpT10_ENKUlT_T0_E_clISt17integral_constantIbLb1EES1B_IbLb0EEEEDaS17_S18_EUlS17_E_NS1_11comp_targetILNS1_3genE9ELNS1_11target_archE1100ELNS1_3gpuE3ELNS1_3repE0EEENS1_30default_config_static_selectorELNS0_4arch9wavefront6targetE1EEEvT1_
	.p2align	8
	.type	_ZN7rocprim17ROCPRIM_400000_NS6detail17trampoline_kernelINS0_14default_configENS1_25partition_config_selectorILNS1_17partition_subalgoE9EllbEEZZNS1_14partition_implILS5_9ELb0ES3_jPlS8_PNS0_10empty_typeENS0_5tupleIJS8_S9_EEENSB_IJS8_SA_EEENS0_18inequality_wrapperIZN2at6native12_GLOBAL__N_124unique_dim_cuda_templateIN3c108BFloat16EEESt5tupleIJNSF_6TensorESM_SM_EERKSM_lbbbEUlllE0_EEPmJS9_EEE10hipError_tPvRmT3_T4_T5_T6_T7_T9_mT8_P12ihipStream_tbDpT10_ENKUlT_T0_E_clISt17integral_constantIbLb1EES1B_IbLb0EEEEDaS17_S18_EUlS17_E_NS1_11comp_targetILNS1_3genE9ELNS1_11target_archE1100ELNS1_3gpuE3ELNS1_3repE0EEENS1_30default_config_static_selectorELNS0_4arch9wavefront6targetE1EEEvT1_,@function
_ZN7rocprim17ROCPRIM_400000_NS6detail17trampoline_kernelINS0_14default_configENS1_25partition_config_selectorILNS1_17partition_subalgoE9EllbEEZZNS1_14partition_implILS5_9ELb0ES3_jPlS8_PNS0_10empty_typeENS0_5tupleIJS8_S9_EEENSB_IJS8_SA_EEENS0_18inequality_wrapperIZN2at6native12_GLOBAL__N_124unique_dim_cuda_templateIN3c108BFloat16EEESt5tupleIJNSF_6TensorESM_SM_EERKSM_lbbbEUlllE0_EEPmJS9_EEE10hipError_tPvRmT3_T4_T5_T6_T7_T9_mT8_P12ihipStream_tbDpT10_ENKUlT_T0_E_clISt17integral_constantIbLb1EES1B_IbLb0EEEEDaS17_S18_EUlS17_E_NS1_11comp_targetILNS1_3genE9ELNS1_11target_archE1100ELNS1_3gpuE3ELNS1_3repE0EEENS1_30default_config_static_selectorELNS0_4arch9wavefront6targetE1EEEvT1_: ; @_ZN7rocprim17ROCPRIM_400000_NS6detail17trampoline_kernelINS0_14default_configENS1_25partition_config_selectorILNS1_17partition_subalgoE9EllbEEZZNS1_14partition_implILS5_9ELb0ES3_jPlS8_PNS0_10empty_typeENS0_5tupleIJS8_S9_EEENSB_IJS8_SA_EEENS0_18inequality_wrapperIZN2at6native12_GLOBAL__N_124unique_dim_cuda_templateIN3c108BFloat16EEESt5tupleIJNSF_6TensorESM_SM_EERKSM_lbbbEUlllE0_EEPmJS9_EEE10hipError_tPvRmT3_T4_T5_T6_T7_T9_mT8_P12ihipStream_tbDpT10_ENKUlT_T0_E_clISt17integral_constantIbLb1EES1B_IbLb0EEEEDaS17_S18_EUlS17_E_NS1_11comp_targetILNS1_3genE9ELNS1_11target_archE1100ELNS1_3gpuE3ELNS1_3repE0EEENS1_30default_config_static_selectorELNS0_4arch9wavefront6targetE1EEEvT1_
; %bb.0:
	.section	.rodata,"a",@progbits
	.p2align	6, 0x0
	.amdhsa_kernel _ZN7rocprim17ROCPRIM_400000_NS6detail17trampoline_kernelINS0_14default_configENS1_25partition_config_selectorILNS1_17partition_subalgoE9EllbEEZZNS1_14partition_implILS5_9ELb0ES3_jPlS8_PNS0_10empty_typeENS0_5tupleIJS8_S9_EEENSB_IJS8_SA_EEENS0_18inequality_wrapperIZN2at6native12_GLOBAL__N_124unique_dim_cuda_templateIN3c108BFloat16EEESt5tupleIJNSF_6TensorESM_SM_EERKSM_lbbbEUlllE0_EEPmJS9_EEE10hipError_tPvRmT3_T4_T5_T6_T7_T9_mT8_P12ihipStream_tbDpT10_ENKUlT_T0_E_clISt17integral_constantIbLb1EES1B_IbLb0EEEEDaS17_S18_EUlS17_E_NS1_11comp_targetILNS1_3genE9ELNS1_11target_archE1100ELNS1_3gpuE3ELNS1_3repE0EEENS1_30default_config_static_selectorELNS0_4arch9wavefront6targetE1EEEvT1_
		.amdhsa_group_segment_fixed_size 0
		.amdhsa_private_segment_fixed_size 0
		.amdhsa_kernarg_size 120
		.amdhsa_user_sgpr_count 2
		.amdhsa_user_sgpr_dispatch_ptr 0
		.amdhsa_user_sgpr_queue_ptr 0
		.amdhsa_user_sgpr_kernarg_segment_ptr 1
		.amdhsa_user_sgpr_dispatch_id 0
		.amdhsa_user_sgpr_kernarg_preload_length 0
		.amdhsa_user_sgpr_kernarg_preload_offset 0
		.amdhsa_user_sgpr_private_segment_size 0
		.amdhsa_uses_dynamic_stack 0
		.amdhsa_enable_private_segment 0
		.amdhsa_system_sgpr_workgroup_id_x 1
		.amdhsa_system_sgpr_workgroup_id_y 0
		.amdhsa_system_sgpr_workgroup_id_z 0
		.amdhsa_system_sgpr_workgroup_info 0
		.amdhsa_system_vgpr_workitem_id 0
		.amdhsa_next_free_vgpr 1
		.amdhsa_next_free_sgpr 0
		.amdhsa_accum_offset 4
		.amdhsa_reserve_vcc 0
		.amdhsa_float_round_mode_32 0
		.amdhsa_float_round_mode_16_64 0
		.amdhsa_float_denorm_mode_32 3
		.amdhsa_float_denorm_mode_16_64 3
		.amdhsa_dx10_clamp 1
		.amdhsa_ieee_mode 1
		.amdhsa_fp16_overflow 0
		.amdhsa_tg_split 0
		.amdhsa_exception_fp_ieee_invalid_op 0
		.amdhsa_exception_fp_denorm_src 0
		.amdhsa_exception_fp_ieee_div_zero 0
		.amdhsa_exception_fp_ieee_overflow 0
		.amdhsa_exception_fp_ieee_underflow 0
		.amdhsa_exception_fp_ieee_inexact 0
		.amdhsa_exception_int_div_zero 0
	.end_amdhsa_kernel
	.section	.text._ZN7rocprim17ROCPRIM_400000_NS6detail17trampoline_kernelINS0_14default_configENS1_25partition_config_selectorILNS1_17partition_subalgoE9EllbEEZZNS1_14partition_implILS5_9ELb0ES3_jPlS8_PNS0_10empty_typeENS0_5tupleIJS8_S9_EEENSB_IJS8_SA_EEENS0_18inequality_wrapperIZN2at6native12_GLOBAL__N_124unique_dim_cuda_templateIN3c108BFloat16EEESt5tupleIJNSF_6TensorESM_SM_EERKSM_lbbbEUlllE0_EEPmJS9_EEE10hipError_tPvRmT3_T4_T5_T6_T7_T9_mT8_P12ihipStream_tbDpT10_ENKUlT_T0_E_clISt17integral_constantIbLb1EES1B_IbLb0EEEEDaS17_S18_EUlS17_E_NS1_11comp_targetILNS1_3genE9ELNS1_11target_archE1100ELNS1_3gpuE3ELNS1_3repE0EEENS1_30default_config_static_selectorELNS0_4arch9wavefront6targetE1EEEvT1_,"axG",@progbits,_ZN7rocprim17ROCPRIM_400000_NS6detail17trampoline_kernelINS0_14default_configENS1_25partition_config_selectorILNS1_17partition_subalgoE9EllbEEZZNS1_14partition_implILS5_9ELb0ES3_jPlS8_PNS0_10empty_typeENS0_5tupleIJS8_S9_EEENSB_IJS8_SA_EEENS0_18inequality_wrapperIZN2at6native12_GLOBAL__N_124unique_dim_cuda_templateIN3c108BFloat16EEESt5tupleIJNSF_6TensorESM_SM_EERKSM_lbbbEUlllE0_EEPmJS9_EEE10hipError_tPvRmT3_T4_T5_T6_T7_T9_mT8_P12ihipStream_tbDpT10_ENKUlT_T0_E_clISt17integral_constantIbLb1EES1B_IbLb0EEEEDaS17_S18_EUlS17_E_NS1_11comp_targetILNS1_3genE9ELNS1_11target_archE1100ELNS1_3gpuE3ELNS1_3repE0EEENS1_30default_config_static_selectorELNS0_4arch9wavefront6targetE1EEEvT1_,comdat
.Lfunc_end1228:
	.size	_ZN7rocprim17ROCPRIM_400000_NS6detail17trampoline_kernelINS0_14default_configENS1_25partition_config_selectorILNS1_17partition_subalgoE9EllbEEZZNS1_14partition_implILS5_9ELb0ES3_jPlS8_PNS0_10empty_typeENS0_5tupleIJS8_S9_EEENSB_IJS8_SA_EEENS0_18inequality_wrapperIZN2at6native12_GLOBAL__N_124unique_dim_cuda_templateIN3c108BFloat16EEESt5tupleIJNSF_6TensorESM_SM_EERKSM_lbbbEUlllE0_EEPmJS9_EEE10hipError_tPvRmT3_T4_T5_T6_T7_T9_mT8_P12ihipStream_tbDpT10_ENKUlT_T0_E_clISt17integral_constantIbLb1EES1B_IbLb0EEEEDaS17_S18_EUlS17_E_NS1_11comp_targetILNS1_3genE9ELNS1_11target_archE1100ELNS1_3gpuE3ELNS1_3repE0EEENS1_30default_config_static_selectorELNS0_4arch9wavefront6targetE1EEEvT1_, .Lfunc_end1228-_ZN7rocprim17ROCPRIM_400000_NS6detail17trampoline_kernelINS0_14default_configENS1_25partition_config_selectorILNS1_17partition_subalgoE9EllbEEZZNS1_14partition_implILS5_9ELb0ES3_jPlS8_PNS0_10empty_typeENS0_5tupleIJS8_S9_EEENSB_IJS8_SA_EEENS0_18inequality_wrapperIZN2at6native12_GLOBAL__N_124unique_dim_cuda_templateIN3c108BFloat16EEESt5tupleIJNSF_6TensorESM_SM_EERKSM_lbbbEUlllE0_EEPmJS9_EEE10hipError_tPvRmT3_T4_T5_T6_T7_T9_mT8_P12ihipStream_tbDpT10_ENKUlT_T0_E_clISt17integral_constantIbLb1EES1B_IbLb0EEEEDaS17_S18_EUlS17_E_NS1_11comp_targetILNS1_3genE9ELNS1_11target_archE1100ELNS1_3gpuE3ELNS1_3repE0EEENS1_30default_config_static_selectorELNS0_4arch9wavefront6targetE1EEEvT1_
                                        ; -- End function
	.set _ZN7rocprim17ROCPRIM_400000_NS6detail17trampoline_kernelINS0_14default_configENS1_25partition_config_selectorILNS1_17partition_subalgoE9EllbEEZZNS1_14partition_implILS5_9ELb0ES3_jPlS8_PNS0_10empty_typeENS0_5tupleIJS8_S9_EEENSB_IJS8_SA_EEENS0_18inequality_wrapperIZN2at6native12_GLOBAL__N_124unique_dim_cuda_templateIN3c108BFloat16EEESt5tupleIJNSF_6TensorESM_SM_EERKSM_lbbbEUlllE0_EEPmJS9_EEE10hipError_tPvRmT3_T4_T5_T6_T7_T9_mT8_P12ihipStream_tbDpT10_ENKUlT_T0_E_clISt17integral_constantIbLb1EES1B_IbLb0EEEEDaS17_S18_EUlS17_E_NS1_11comp_targetILNS1_3genE9ELNS1_11target_archE1100ELNS1_3gpuE3ELNS1_3repE0EEENS1_30default_config_static_selectorELNS0_4arch9wavefront6targetE1EEEvT1_.num_vgpr, 0
	.set _ZN7rocprim17ROCPRIM_400000_NS6detail17trampoline_kernelINS0_14default_configENS1_25partition_config_selectorILNS1_17partition_subalgoE9EllbEEZZNS1_14partition_implILS5_9ELb0ES3_jPlS8_PNS0_10empty_typeENS0_5tupleIJS8_S9_EEENSB_IJS8_SA_EEENS0_18inequality_wrapperIZN2at6native12_GLOBAL__N_124unique_dim_cuda_templateIN3c108BFloat16EEESt5tupleIJNSF_6TensorESM_SM_EERKSM_lbbbEUlllE0_EEPmJS9_EEE10hipError_tPvRmT3_T4_T5_T6_T7_T9_mT8_P12ihipStream_tbDpT10_ENKUlT_T0_E_clISt17integral_constantIbLb1EES1B_IbLb0EEEEDaS17_S18_EUlS17_E_NS1_11comp_targetILNS1_3genE9ELNS1_11target_archE1100ELNS1_3gpuE3ELNS1_3repE0EEENS1_30default_config_static_selectorELNS0_4arch9wavefront6targetE1EEEvT1_.num_agpr, 0
	.set _ZN7rocprim17ROCPRIM_400000_NS6detail17trampoline_kernelINS0_14default_configENS1_25partition_config_selectorILNS1_17partition_subalgoE9EllbEEZZNS1_14partition_implILS5_9ELb0ES3_jPlS8_PNS0_10empty_typeENS0_5tupleIJS8_S9_EEENSB_IJS8_SA_EEENS0_18inequality_wrapperIZN2at6native12_GLOBAL__N_124unique_dim_cuda_templateIN3c108BFloat16EEESt5tupleIJNSF_6TensorESM_SM_EERKSM_lbbbEUlllE0_EEPmJS9_EEE10hipError_tPvRmT3_T4_T5_T6_T7_T9_mT8_P12ihipStream_tbDpT10_ENKUlT_T0_E_clISt17integral_constantIbLb1EES1B_IbLb0EEEEDaS17_S18_EUlS17_E_NS1_11comp_targetILNS1_3genE9ELNS1_11target_archE1100ELNS1_3gpuE3ELNS1_3repE0EEENS1_30default_config_static_selectorELNS0_4arch9wavefront6targetE1EEEvT1_.numbered_sgpr, 0
	.set _ZN7rocprim17ROCPRIM_400000_NS6detail17trampoline_kernelINS0_14default_configENS1_25partition_config_selectorILNS1_17partition_subalgoE9EllbEEZZNS1_14partition_implILS5_9ELb0ES3_jPlS8_PNS0_10empty_typeENS0_5tupleIJS8_S9_EEENSB_IJS8_SA_EEENS0_18inequality_wrapperIZN2at6native12_GLOBAL__N_124unique_dim_cuda_templateIN3c108BFloat16EEESt5tupleIJNSF_6TensorESM_SM_EERKSM_lbbbEUlllE0_EEPmJS9_EEE10hipError_tPvRmT3_T4_T5_T6_T7_T9_mT8_P12ihipStream_tbDpT10_ENKUlT_T0_E_clISt17integral_constantIbLb1EES1B_IbLb0EEEEDaS17_S18_EUlS17_E_NS1_11comp_targetILNS1_3genE9ELNS1_11target_archE1100ELNS1_3gpuE3ELNS1_3repE0EEENS1_30default_config_static_selectorELNS0_4arch9wavefront6targetE1EEEvT1_.num_named_barrier, 0
	.set _ZN7rocprim17ROCPRIM_400000_NS6detail17trampoline_kernelINS0_14default_configENS1_25partition_config_selectorILNS1_17partition_subalgoE9EllbEEZZNS1_14partition_implILS5_9ELb0ES3_jPlS8_PNS0_10empty_typeENS0_5tupleIJS8_S9_EEENSB_IJS8_SA_EEENS0_18inequality_wrapperIZN2at6native12_GLOBAL__N_124unique_dim_cuda_templateIN3c108BFloat16EEESt5tupleIJNSF_6TensorESM_SM_EERKSM_lbbbEUlllE0_EEPmJS9_EEE10hipError_tPvRmT3_T4_T5_T6_T7_T9_mT8_P12ihipStream_tbDpT10_ENKUlT_T0_E_clISt17integral_constantIbLb1EES1B_IbLb0EEEEDaS17_S18_EUlS17_E_NS1_11comp_targetILNS1_3genE9ELNS1_11target_archE1100ELNS1_3gpuE3ELNS1_3repE0EEENS1_30default_config_static_selectorELNS0_4arch9wavefront6targetE1EEEvT1_.private_seg_size, 0
	.set _ZN7rocprim17ROCPRIM_400000_NS6detail17trampoline_kernelINS0_14default_configENS1_25partition_config_selectorILNS1_17partition_subalgoE9EllbEEZZNS1_14partition_implILS5_9ELb0ES3_jPlS8_PNS0_10empty_typeENS0_5tupleIJS8_S9_EEENSB_IJS8_SA_EEENS0_18inequality_wrapperIZN2at6native12_GLOBAL__N_124unique_dim_cuda_templateIN3c108BFloat16EEESt5tupleIJNSF_6TensorESM_SM_EERKSM_lbbbEUlllE0_EEPmJS9_EEE10hipError_tPvRmT3_T4_T5_T6_T7_T9_mT8_P12ihipStream_tbDpT10_ENKUlT_T0_E_clISt17integral_constantIbLb1EES1B_IbLb0EEEEDaS17_S18_EUlS17_E_NS1_11comp_targetILNS1_3genE9ELNS1_11target_archE1100ELNS1_3gpuE3ELNS1_3repE0EEENS1_30default_config_static_selectorELNS0_4arch9wavefront6targetE1EEEvT1_.uses_vcc, 0
	.set _ZN7rocprim17ROCPRIM_400000_NS6detail17trampoline_kernelINS0_14default_configENS1_25partition_config_selectorILNS1_17partition_subalgoE9EllbEEZZNS1_14partition_implILS5_9ELb0ES3_jPlS8_PNS0_10empty_typeENS0_5tupleIJS8_S9_EEENSB_IJS8_SA_EEENS0_18inequality_wrapperIZN2at6native12_GLOBAL__N_124unique_dim_cuda_templateIN3c108BFloat16EEESt5tupleIJNSF_6TensorESM_SM_EERKSM_lbbbEUlllE0_EEPmJS9_EEE10hipError_tPvRmT3_T4_T5_T6_T7_T9_mT8_P12ihipStream_tbDpT10_ENKUlT_T0_E_clISt17integral_constantIbLb1EES1B_IbLb0EEEEDaS17_S18_EUlS17_E_NS1_11comp_targetILNS1_3genE9ELNS1_11target_archE1100ELNS1_3gpuE3ELNS1_3repE0EEENS1_30default_config_static_selectorELNS0_4arch9wavefront6targetE1EEEvT1_.uses_flat_scratch, 0
	.set _ZN7rocprim17ROCPRIM_400000_NS6detail17trampoline_kernelINS0_14default_configENS1_25partition_config_selectorILNS1_17partition_subalgoE9EllbEEZZNS1_14partition_implILS5_9ELb0ES3_jPlS8_PNS0_10empty_typeENS0_5tupleIJS8_S9_EEENSB_IJS8_SA_EEENS0_18inequality_wrapperIZN2at6native12_GLOBAL__N_124unique_dim_cuda_templateIN3c108BFloat16EEESt5tupleIJNSF_6TensorESM_SM_EERKSM_lbbbEUlllE0_EEPmJS9_EEE10hipError_tPvRmT3_T4_T5_T6_T7_T9_mT8_P12ihipStream_tbDpT10_ENKUlT_T0_E_clISt17integral_constantIbLb1EES1B_IbLb0EEEEDaS17_S18_EUlS17_E_NS1_11comp_targetILNS1_3genE9ELNS1_11target_archE1100ELNS1_3gpuE3ELNS1_3repE0EEENS1_30default_config_static_selectorELNS0_4arch9wavefront6targetE1EEEvT1_.has_dyn_sized_stack, 0
	.set _ZN7rocprim17ROCPRIM_400000_NS6detail17trampoline_kernelINS0_14default_configENS1_25partition_config_selectorILNS1_17partition_subalgoE9EllbEEZZNS1_14partition_implILS5_9ELb0ES3_jPlS8_PNS0_10empty_typeENS0_5tupleIJS8_S9_EEENSB_IJS8_SA_EEENS0_18inequality_wrapperIZN2at6native12_GLOBAL__N_124unique_dim_cuda_templateIN3c108BFloat16EEESt5tupleIJNSF_6TensorESM_SM_EERKSM_lbbbEUlllE0_EEPmJS9_EEE10hipError_tPvRmT3_T4_T5_T6_T7_T9_mT8_P12ihipStream_tbDpT10_ENKUlT_T0_E_clISt17integral_constantIbLb1EES1B_IbLb0EEEEDaS17_S18_EUlS17_E_NS1_11comp_targetILNS1_3genE9ELNS1_11target_archE1100ELNS1_3gpuE3ELNS1_3repE0EEENS1_30default_config_static_selectorELNS0_4arch9wavefront6targetE1EEEvT1_.has_recursion, 0
	.set _ZN7rocprim17ROCPRIM_400000_NS6detail17trampoline_kernelINS0_14default_configENS1_25partition_config_selectorILNS1_17partition_subalgoE9EllbEEZZNS1_14partition_implILS5_9ELb0ES3_jPlS8_PNS0_10empty_typeENS0_5tupleIJS8_S9_EEENSB_IJS8_SA_EEENS0_18inequality_wrapperIZN2at6native12_GLOBAL__N_124unique_dim_cuda_templateIN3c108BFloat16EEESt5tupleIJNSF_6TensorESM_SM_EERKSM_lbbbEUlllE0_EEPmJS9_EEE10hipError_tPvRmT3_T4_T5_T6_T7_T9_mT8_P12ihipStream_tbDpT10_ENKUlT_T0_E_clISt17integral_constantIbLb1EES1B_IbLb0EEEEDaS17_S18_EUlS17_E_NS1_11comp_targetILNS1_3genE9ELNS1_11target_archE1100ELNS1_3gpuE3ELNS1_3repE0EEENS1_30default_config_static_selectorELNS0_4arch9wavefront6targetE1EEEvT1_.has_indirect_call, 0
	.section	.AMDGPU.csdata,"",@progbits
; Kernel info:
; codeLenInByte = 0
; TotalNumSgprs: 6
; NumVgprs: 0
; NumAgprs: 0
; TotalNumVgprs: 0
; ScratchSize: 0
; MemoryBound: 0
; FloatMode: 240
; IeeeMode: 1
; LDSByteSize: 0 bytes/workgroup (compile time only)
; SGPRBlocks: 0
; VGPRBlocks: 0
; NumSGPRsForWavesPerEU: 6
; NumVGPRsForWavesPerEU: 1
; AccumOffset: 4
; Occupancy: 8
; WaveLimiterHint : 0
; COMPUTE_PGM_RSRC2:SCRATCH_EN: 0
; COMPUTE_PGM_RSRC2:USER_SGPR: 2
; COMPUTE_PGM_RSRC2:TRAP_HANDLER: 0
; COMPUTE_PGM_RSRC2:TGID_X_EN: 1
; COMPUTE_PGM_RSRC2:TGID_Y_EN: 0
; COMPUTE_PGM_RSRC2:TGID_Z_EN: 0
; COMPUTE_PGM_RSRC2:TIDIG_COMP_CNT: 0
; COMPUTE_PGM_RSRC3_GFX90A:ACCUM_OFFSET: 0
; COMPUTE_PGM_RSRC3_GFX90A:TG_SPLIT: 0
	.section	.text._ZN7rocprim17ROCPRIM_400000_NS6detail17trampoline_kernelINS0_14default_configENS1_25partition_config_selectorILNS1_17partition_subalgoE9EllbEEZZNS1_14partition_implILS5_9ELb0ES3_jPlS8_PNS0_10empty_typeENS0_5tupleIJS8_S9_EEENSB_IJS8_SA_EEENS0_18inequality_wrapperIZN2at6native12_GLOBAL__N_124unique_dim_cuda_templateIN3c108BFloat16EEESt5tupleIJNSF_6TensorESM_SM_EERKSM_lbbbEUlllE0_EEPmJS9_EEE10hipError_tPvRmT3_T4_T5_T6_T7_T9_mT8_P12ihipStream_tbDpT10_ENKUlT_T0_E_clISt17integral_constantIbLb1EES1B_IbLb0EEEEDaS17_S18_EUlS17_E_NS1_11comp_targetILNS1_3genE8ELNS1_11target_archE1030ELNS1_3gpuE2ELNS1_3repE0EEENS1_30default_config_static_selectorELNS0_4arch9wavefront6targetE1EEEvT1_,"axG",@progbits,_ZN7rocprim17ROCPRIM_400000_NS6detail17trampoline_kernelINS0_14default_configENS1_25partition_config_selectorILNS1_17partition_subalgoE9EllbEEZZNS1_14partition_implILS5_9ELb0ES3_jPlS8_PNS0_10empty_typeENS0_5tupleIJS8_S9_EEENSB_IJS8_SA_EEENS0_18inequality_wrapperIZN2at6native12_GLOBAL__N_124unique_dim_cuda_templateIN3c108BFloat16EEESt5tupleIJNSF_6TensorESM_SM_EERKSM_lbbbEUlllE0_EEPmJS9_EEE10hipError_tPvRmT3_T4_T5_T6_T7_T9_mT8_P12ihipStream_tbDpT10_ENKUlT_T0_E_clISt17integral_constantIbLb1EES1B_IbLb0EEEEDaS17_S18_EUlS17_E_NS1_11comp_targetILNS1_3genE8ELNS1_11target_archE1030ELNS1_3gpuE2ELNS1_3repE0EEENS1_30default_config_static_selectorELNS0_4arch9wavefront6targetE1EEEvT1_,comdat
	.globl	_ZN7rocprim17ROCPRIM_400000_NS6detail17trampoline_kernelINS0_14default_configENS1_25partition_config_selectorILNS1_17partition_subalgoE9EllbEEZZNS1_14partition_implILS5_9ELb0ES3_jPlS8_PNS0_10empty_typeENS0_5tupleIJS8_S9_EEENSB_IJS8_SA_EEENS0_18inequality_wrapperIZN2at6native12_GLOBAL__N_124unique_dim_cuda_templateIN3c108BFloat16EEESt5tupleIJNSF_6TensorESM_SM_EERKSM_lbbbEUlllE0_EEPmJS9_EEE10hipError_tPvRmT3_T4_T5_T6_T7_T9_mT8_P12ihipStream_tbDpT10_ENKUlT_T0_E_clISt17integral_constantIbLb1EES1B_IbLb0EEEEDaS17_S18_EUlS17_E_NS1_11comp_targetILNS1_3genE8ELNS1_11target_archE1030ELNS1_3gpuE2ELNS1_3repE0EEENS1_30default_config_static_selectorELNS0_4arch9wavefront6targetE1EEEvT1_ ; -- Begin function _ZN7rocprim17ROCPRIM_400000_NS6detail17trampoline_kernelINS0_14default_configENS1_25partition_config_selectorILNS1_17partition_subalgoE9EllbEEZZNS1_14partition_implILS5_9ELb0ES3_jPlS8_PNS0_10empty_typeENS0_5tupleIJS8_S9_EEENSB_IJS8_SA_EEENS0_18inequality_wrapperIZN2at6native12_GLOBAL__N_124unique_dim_cuda_templateIN3c108BFloat16EEESt5tupleIJNSF_6TensorESM_SM_EERKSM_lbbbEUlllE0_EEPmJS9_EEE10hipError_tPvRmT3_T4_T5_T6_T7_T9_mT8_P12ihipStream_tbDpT10_ENKUlT_T0_E_clISt17integral_constantIbLb1EES1B_IbLb0EEEEDaS17_S18_EUlS17_E_NS1_11comp_targetILNS1_3genE8ELNS1_11target_archE1030ELNS1_3gpuE2ELNS1_3repE0EEENS1_30default_config_static_selectorELNS0_4arch9wavefront6targetE1EEEvT1_
	.p2align	8
	.type	_ZN7rocprim17ROCPRIM_400000_NS6detail17trampoline_kernelINS0_14default_configENS1_25partition_config_selectorILNS1_17partition_subalgoE9EllbEEZZNS1_14partition_implILS5_9ELb0ES3_jPlS8_PNS0_10empty_typeENS0_5tupleIJS8_S9_EEENSB_IJS8_SA_EEENS0_18inequality_wrapperIZN2at6native12_GLOBAL__N_124unique_dim_cuda_templateIN3c108BFloat16EEESt5tupleIJNSF_6TensorESM_SM_EERKSM_lbbbEUlllE0_EEPmJS9_EEE10hipError_tPvRmT3_T4_T5_T6_T7_T9_mT8_P12ihipStream_tbDpT10_ENKUlT_T0_E_clISt17integral_constantIbLb1EES1B_IbLb0EEEEDaS17_S18_EUlS17_E_NS1_11comp_targetILNS1_3genE8ELNS1_11target_archE1030ELNS1_3gpuE2ELNS1_3repE0EEENS1_30default_config_static_selectorELNS0_4arch9wavefront6targetE1EEEvT1_,@function
_ZN7rocprim17ROCPRIM_400000_NS6detail17trampoline_kernelINS0_14default_configENS1_25partition_config_selectorILNS1_17partition_subalgoE9EllbEEZZNS1_14partition_implILS5_9ELb0ES3_jPlS8_PNS0_10empty_typeENS0_5tupleIJS8_S9_EEENSB_IJS8_SA_EEENS0_18inequality_wrapperIZN2at6native12_GLOBAL__N_124unique_dim_cuda_templateIN3c108BFloat16EEESt5tupleIJNSF_6TensorESM_SM_EERKSM_lbbbEUlllE0_EEPmJS9_EEE10hipError_tPvRmT3_T4_T5_T6_T7_T9_mT8_P12ihipStream_tbDpT10_ENKUlT_T0_E_clISt17integral_constantIbLb1EES1B_IbLb0EEEEDaS17_S18_EUlS17_E_NS1_11comp_targetILNS1_3genE8ELNS1_11target_archE1030ELNS1_3gpuE2ELNS1_3repE0EEENS1_30default_config_static_selectorELNS0_4arch9wavefront6targetE1EEEvT1_: ; @_ZN7rocprim17ROCPRIM_400000_NS6detail17trampoline_kernelINS0_14default_configENS1_25partition_config_selectorILNS1_17partition_subalgoE9EllbEEZZNS1_14partition_implILS5_9ELb0ES3_jPlS8_PNS0_10empty_typeENS0_5tupleIJS8_S9_EEENSB_IJS8_SA_EEENS0_18inequality_wrapperIZN2at6native12_GLOBAL__N_124unique_dim_cuda_templateIN3c108BFloat16EEESt5tupleIJNSF_6TensorESM_SM_EERKSM_lbbbEUlllE0_EEPmJS9_EEE10hipError_tPvRmT3_T4_T5_T6_T7_T9_mT8_P12ihipStream_tbDpT10_ENKUlT_T0_E_clISt17integral_constantIbLb1EES1B_IbLb0EEEEDaS17_S18_EUlS17_E_NS1_11comp_targetILNS1_3genE8ELNS1_11target_archE1030ELNS1_3gpuE2ELNS1_3repE0EEENS1_30default_config_static_selectorELNS0_4arch9wavefront6targetE1EEEvT1_
; %bb.0:
	.section	.rodata,"a",@progbits
	.p2align	6, 0x0
	.amdhsa_kernel _ZN7rocprim17ROCPRIM_400000_NS6detail17trampoline_kernelINS0_14default_configENS1_25partition_config_selectorILNS1_17partition_subalgoE9EllbEEZZNS1_14partition_implILS5_9ELb0ES3_jPlS8_PNS0_10empty_typeENS0_5tupleIJS8_S9_EEENSB_IJS8_SA_EEENS0_18inequality_wrapperIZN2at6native12_GLOBAL__N_124unique_dim_cuda_templateIN3c108BFloat16EEESt5tupleIJNSF_6TensorESM_SM_EERKSM_lbbbEUlllE0_EEPmJS9_EEE10hipError_tPvRmT3_T4_T5_T6_T7_T9_mT8_P12ihipStream_tbDpT10_ENKUlT_T0_E_clISt17integral_constantIbLb1EES1B_IbLb0EEEEDaS17_S18_EUlS17_E_NS1_11comp_targetILNS1_3genE8ELNS1_11target_archE1030ELNS1_3gpuE2ELNS1_3repE0EEENS1_30default_config_static_selectorELNS0_4arch9wavefront6targetE1EEEvT1_
		.amdhsa_group_segment_fixed_size 0
		.amdhsa_private_segment_fixed_size 0
		.amdhsa_kernarg_size 120
		.amdhsa_user_sgpr_count 2
		.amdhsa_user_sgpr_dispatch_ptr 0
		.amdhsa_user_sgpr_queue_ptr 0
		.amdhsa_user_sgpr_kernarg_segment_ptr 1
		.amdhsa_user_sgpr_dispatch_id 0
		.amdhsa_user_sgpr_kernarg_preload_length 0
		.amdhsa_user_sgpr_kernarg_preload_offset 0
		.amdhsa_user_sgpr_private_segment_size 0
		.amdhsa_uses_dynamic_stack 0
		.amdhsa_enable_private_segment 0
		.amdhsa_system_sgpr_workgroup_id_x 1
		.amdhsa_system_sgpr_workgroup_id_y 0
		.amdhsa_system_sgpr_workgroup_id_z 0
		.amdhsa_system_sgpr_workgroup_info 0
		.amdhsa_system_vgpr_workitem_id 0
		.amdhsa_next_free_vgpr 1
		.amdhsa_next_free_sgpr 0
		.amdhsa_accum_offset 4
		.amdhsa_reserve_vcc 0
		.amdhsa_float_round_mode_32 0
		.amdhsa_float_round_mode_16_64 0
		.amdhsa_float_denorm_mode_32 3
		.amdhsa_float_denorm_mode_16_64 3
		.amdhsa_dx10_clamp 1
		.amdhsa_ieee_mode 1
		.amdhsa_fp16_overflow 0
		.amdhsa_tg_split 0
		.amdhsa_exception_fp_ieee_invalid_op 0
		.amdhsa_exception_fp_denorm_src 0
		.amdhsa_exception_fp_ieee_div_zero 0
		.amdhsa_exception_fp_ieee_overflow 0
		.amdhsa_exception_fp_ieee_underflow 0
		.amdhsa_exception_fp_ieee_inexact 0
		.amdhsa_exception_int_div_zero 0
	.end_amdhsa_kernel
	.section	.text._ZN7rocprim17ROCPRIM_400000_NS6detail17trampoline_kernelINS0_14default_configENS1_25partition_config_selectorILNS1_17partition_subalgoE9EllbEEZZNS1_14partition_implILS5_9ELb0ES3_jPlS8_PNS0_10empty_typeENS0_5tupleIJS8_S9_EEENSB_IJS8_SA_EEENS0_18inequality_wrapperIZN2at6native12_GLOBAL__N_124unique_dim_cuda_templateIN3c108BFloat16EEESt5tupleIJNSF_6TensorESM_SM_EERKSM_lbbbEUlllE0_EEPmJS9_EEE10hipError_tPvRmT3_T4_T5_T6_T7_T9_mT8_P12ihipStream_tbDpT10_ENKUlT_T0_E_clISt17integral_constantIbLb1EES1B_IbLb0EEEEDaS17_S18_EUlS17_E_NS1_11comp_targetILNS1_3genE8ELNS1_11target_archE1030ELNS1_3gpuE2ELNS1_3repE0EEENS1_30default_config_static_selectorELNS0_4arch9wavefront6targetE1EEEvT1_,"axG",@progbits,_ZN7rocprim17ROCPRIM_400000_NS6detail17trampoline_kernelINS0_14default_configENS1_25partition_config_selectorILNS1_17partition_subalgoE9EllbEEZZNS1_14partition_implILS5_9ELb0ES3_jPlS8_PNS0_10empty_typeENS0_5tupleIJS8_S9_EEENSB_IJS8_SA_EEENS0_18inequality_wrapperIZN2at6native12_GLOBAL__N_124unique_dim_cuda_templateIN3c108BFloat16EEESt5tupleIJNSF_6TensorESM_SM_EERKSM_lbbbEUlllE0_EEPmJS9_EEE10hipError_tPvRmT3_T4_T5_T6_T7_T9_mT8_P12ihipStream_tbDpT10_ENKUlT_T0_E_clISt17integral_constantIbLb1EES1B_IbLb0EEEEDaS17_S18_EUlS17_E_NS1_11comp_targetILNS1_3genE8ELNS1_11target_archE1030ELNS1_3gpuE2ELNS1_3repE0EEENS1_30default_config_static_selectorELNS0_4arch9wavefront6targetE1EEEvT1_,comdat
.Lfunc_end1229:
	.size	_ZN7rocprim17ROCPRIM_400000_NS6detail17trampoline_kernelINS0_14default_configENS1_25partition_config_selectorILNS1_17partition_subalgoE9EllbEEZZNS1_14partition_implILS5_9ELb0ES3_jPlS8_PNS0_10empty_typeENS0_5tupleIJS8_S9_EEENSB_IJS8_SA_EEENS0_18inequality_wrapperIZN2at6native12_GLOBAL__N_124unique_dim_cuda_templateIN3c108BFloat16EEESt5tupleIJNSF_6TensorESM_SM_EERKSM_lbbbEUlllE0_EEPmJS9_EEE10hipError_tPvRmT3_T4_T5_T6_T7_T9_mT8_P12ihipStream_tbDpT10_ENKUlT_T0_E_clISt17integral_constantIbLb1EES1B_IbLb0EEEEDaS17_S18_EUlS17_E_NS1_11comp_targetILNS1_3genE8ELNS1_11target_archE1030ELNS1_3gpuE2ELNS1_3repE0EEENS1_30default_config_static_selectorELNS0_4arch9wavefront6targetE1EEEvT1_, .Lfunc_end1229-_ZN7rocprim17ROCPRIM_400000_NS6detail17trampoline_kernelINS0_14default_configENS1_25partition_config_selectorILNS1_17partition_subalgoE9EllbEEZZNS1_14partition_implILS5_9ELb0ES3_jPlS8_PNS0_10empty_typeENS0_5tupleIJS8_S9_EEENSB_IJS8_SA_EEENS0_18inequality_wrapperIZN2at6native12_GLOBAL__N_124unique_dim_cuda_templateIN3c108BFloat16EEESt5tupleIJNSF_6TensorESM_SM_EERKSM_lbbbEUlllE0_EEPmJS9_EEE10hipError_tPvRmT3_T4_T5_T6_T7_T9_mT8_P12ihipStream_tbDpT10_ENKUlT_T0_E_clISt17integral_constantIbLb1EES1B_IbLb0EEEEDaS17_S18_EUlS17_E_NS1_11comp_targetILNS1_3genE8ELNS1_11target_archE1030ELNS1_3gpuE2ELNS1_3repE0EEENS1_30default_config_static_selectorELNS0_4arch9wavefront6targetE1EEEvT1_
                                        ; -- End function
	.set _ZN7rocprim17ROCPRIM_400000_NS6detail17trampoline_kernelINS0_14default_configENS1_25partition_config_selectorILNS1_17partition_subalgoE9EllbEEZZNS1_14partition_implILS5_9ELb0ES3_jPlS8_PNS0_10empty_typeENS0_5tupleIJS8_S9_EEENSB_IJS8_SA_EEENS0_18inequality_wrapperIZN2at6native12_GLOBAL__N_124unique_dim_cuda_templateIN3c108BFloat16EEESt5tupleIJNSF_6TensorESM_SM_EERKSM_lbbbEUlllE0_EEPmJS9_EEE10hipError_tPvRmT3_T4_T5_T6_T7_T9_mT8_P12ihipStream_tbDpT10_ENKUlT_T0_E_clISt17integral_constantIbLb1EES1B_IbLb0EEEEDaS17_S18_EUlS17_E_NS1_11comp_targetILNS1_3genE8ELNS1_11target_archE1030ELNS1_3gpuE2ELNS1_3repE0EEENS1_30default_config_static_selectorELNS0_4arch9wavefront6targetE1EEEvT1_.num_vgpr, 0
	.set _ZN7rocprim17ROCPRIM_400000_NS6detail17trampoline_kernelINS0_14default_configENS1_25partition_config_selectorILNS1_17partition_subalgoE9EllbEEZZNS1_14partition_implILS5_9ELb0ES3_jPlS8_PNS0_10empty_typeENS0_5tupleIJS8_S9_EEENSB_IJS8_SA_EEENS0_18inequality_wrapperIZN2at6native12_GLOBAL__N_124unique_dim_cuda_templateIN3c108BFloat16EEESt5tupleIJNSF_6TensorESM_SM_EERKSM_lbbbEUlllE0_EEPmJS9_EEE10hipError_tPvRmT3_T4_T5_T6_T7_T9_mT8_P12ihipStream_tbDpT10_ENKUlT_T0_E_clISt17integral_constantIbLb1EES1B_IbLb0EEEEDaS17_S18_EUlS17_E_NS1_11comp_targetILNS1_3genE8ELNS1_11target_archE1030ELNS1_3gpuE2ELNS1_3repE0EEENS1_30default_config_static_selectorELNS0_4arch9wavefront6targetE1EEEvT1_.num_agpr, 0
	.set _ZN7rocprim17ROCPRIM_400000_NS6detail17trampoline_kernelINS0_14default_configENS1_25partition_config_selectorILNS1_17partition_subalgoE9EllbEEZZNS1_14partition_implILS5_9ELb0ES3_jPlS8_PNS0_10empty_typeENS0_5tupleIJS8_S9_EEENSB_IJS8_SA_EEENS0_18inequality_wrapperIZN2at6native12_GLOBAL__N_124unique_dim_cuda_templateIN3c108BFloat16EEESt5tupleIJNSF_6TensorESM_SM_EERKSM_lbbbEUlllE0_EEPmJS9_EEE10hipError_tPvRmT3_T4_T5_T6_T7_T9_mT8_P12ihipStream_tbDpT10_ENKUlT_T0_E_clISt17integral_constantIbLb1EES1B_IbLb0EEEEDaS17_S18_EUlS17_E_NS1_11comp_targetILNS1_3genE8ELNS1_11target_archE1030ELNS1_3gpuE2ELNS1_3repE0EEENS1_30default_config_static_selectorELNS0_4arch9wavefront6targetE1EEEvT1_.numbered_sgpr, 0
	.set _ZN7rocprim17ROCPRIM_400000_NS6detail17trampoline_kernelINS0_14default_configENS1_25partition_config_selectorILNS1_17partition_subalgoE9EllbEEZZNS1_14partition_implILS5_9ELb0ES3_jPlS8_PNS0_10empty_typeENS0_5tupleIJS8_S9_EEENSB_IJS8_SA_EEENS0_18inequality_wrapperIZN2at6native12_GLOBAL__N_124unique_dim_cuda_templateIN3c108BFloat16EEESt5tupleIJNSF_6TensorESM_SM_EERKSM_lbbbEUlllE0_EEPmJS9_EEE10hipError_tPvRmT3_T4_T5_T6_T7_T9_mT8_P12ihipStream_tbDpT10_ENKUlT_T0_E_clISt17integral_constantIbLb1EES1B_IbLb0EEEEDaS17_S18_EUlS17_E_NS1_11comp_targetILNS1_3genE8ELNS1_11target_archE1030ELNS1_3gpuE2ELNS1_3repE0EEENS1_30default_config_static_selectorELNS0_4arch9wavefront6targetE1EEEvT1_.num_named_barrier, 0
	.set _ZN7rocprim17ROCPRIM_400000_NS6detail17trampoline_kernelINS0_14default_configENS1_25partition_config_selectorILNS1_17partition_subalgoE9EllbEEZZNS1_14partition_implILS5_9ELb0ES3_jPlS8_PNS0_10empty_typeENS0_5tupleIJS8_S9_EEENSB_IJS8_SA_EEENS0_18inequality_wrapperIZN2at6native12_GLOBAL__N_124unique_dim_cuda_templateIN3c108BFloat16EEESt5tupleIJNSF_6TensorESM_SM_EERKSM_lbbbEUlllE0_EEPmJS9_EEE10hipError_tPvRmT3_T4_T5_T6_T7_T9_mT8_P12ihipStream_tbDpT10_ENKUlT_T0_E_clISt17integral_constantIbLb1EES1B_IbLb0EEEEDaS17_S18_EUlS17_E_NS1_11comp_targetILNS1_3genE8ELNS1_11target_archE1030ELNS1_3gpuE2ELNS1_3repE0EEENS1_30default_config_static_selectorELNS0_4arch9wavefront6targetE1EEEvT1_.private_seg_size, 0
	.set _ZN7rocprim17ROCPRIM_400000_NS6detail17trampoline_kernelINS0_14default_configENS1_25partition_config_selectorILNS1_17partition_subalgoE9EllbEEZZNS1_14partition_implILS5_9ELb0ES3_jPlS8_PNS0_10empty_typeENS0_5tupleIJS8_S9_EEENSB_IJS8_SA_EEENS0_18inequality_wrapperIZN2at6native12_GLOBAL__N_124unique_dim_cuda_templateIN3c108BFloat16EEESt5tupleIJNSF_6TensorESM_SM_EERKSM_lbbbEUlllE0_EEPmJS9_EEE10hipError_tPvRmT3_T4_T5_T6_T7_T9_mT8_P12ihipStream_tbDpT10_ENKUlT_T0_E_clISt17integral_constantIbLb1EES1B_IbLb0EEEEDaS17_S18_EUlS17_E_NS1_11comp_targetILNS1_3genE8ELNS1_11target_archE1030ELNS1_3gpuE2ELNS1_3repE0EEENS1_30default_config_static_selectorELNS0_4arch9wavefront6targetE1EEEvT1_.uses_vcc, 0
	.set _ZN7rocprim17ROCPRIM_400000_NS6detail17trampoline_kernelINS0_14default_configENS1_25partition_config_selectorILNS1_17partition_subalgoE9EllbEEZZNS1_14partition_implILS5_9ELb0ES3_jPlS8_PNS0_10empty_typeENS0_5tupleIJS8_S9_EEENSB_IJS8_SA_EEENS0_18inequality_wrapperIZN2at6native12_GLOBAL__N_124unique_dim_cuda_templateIN3c108BFloat16EEESt5tupleIJNSF_6TensorESM_SM_EERKSM_lbbbEUlllE0_EEPmJS9_EEE10hipError_tPvRmT3_T4_T5_T6_T7_T9_mT8_P12ihipStream_tbDpT10_ENKUlT_T0_E_clISt17integral_constantIbLb1EES1B_IbLb0EEEEDaS17_S18_EUlS17_E_NS1_11comp_targetILNS1_3genE8ELNS1_11target_archE1030ELNS1_3gpuE2ELNS1_3repE0EEENS1_30default_config_static_selectorELNS0_4arch9wavefront6targetE1EEEvT1_.uses_flat_scratch, 0
	.set _ZN7rocprim17ROCPRIM_400000_NS6detail17trampoline_kernelINS0_14default_configENS1_25partition_config_selectorILNS1_17partition_subalgoE9EllbEEZZNS1_14partition_implILS5_9ELb0ES3_jPlS8_PNS0_10empty_typeENS0_5tupleIJS8_S9_EEENSB_IJS8_SA_EEENS0_18inequality_wrapperIZN2at6native12_GLOBAL__N_124unique_dim_cuda_templateIN3c108BFloat16EEESt5tupleIJNSF_6TensorESM_SM_EERKSM_lbbbEUlllE0_EEPmJS9_EEE10hipError_tPvRmT3_T4_T5_T6_T7_T9_mT8_P12ihipStream_tbDpT10_ENKUlT_T0_E_clISt17integral_constantIbLb1EES1B_IbLb0EEEEDaS17_S18_EUlS17_E_NS1_11comp_targetILNS1_3genE8ELNS1_11target_archE1030ELNS1_3gpuE2ELNS1_3repE0EEENS1_30default_config_static_selectorELNS0_4arch9wavefront6targetE1EEEvT1_.has_dyn_sized_stack, 0
	.set _ZN7rocprim17ROCPRIM_400000_NS6detail17trampoline_kernelINS0_14default_configENS1_25partition_config_selectorILNS1_17partition_subalgoE9EllbEEZZNS1_14partition_implILS5_9ELb0ES3_jPlS8_PNS0_10empty_typeENS0_5tupleIJS8_S9_EEENSB_IJS8_SA_EEENS0_18inequality_wrapperIZN2at6native12_GLOBAL__N_124unique_dim_cuda_templateIN3c108BFloat16EEESt5tupleIJNSF_6TensorESM_SM_EERKSM_lbbbEUlllE0_EEPmJS9_EEE10hipError_tPvRmT3_T4_T5_T6_T7_T9_mT8_P12ihipStream_tbDpT10_ENKUlT_T0_E_clISt17integral_constantIbLb1EES1B_IbLb0EEEEDaS17_S18_EUlS17_E_NS1_11comp_targetILNS1_3genE8ELNS1_11target_archE1030ELNS1_3gpuE2ELNS1_3repE0EEENS1_30default_config_static_selectorELNS0_4arch9wavefront6targetE1EEEvT1_.has_recursion, 0
	.set _ZN7rocprim17ROCPRIM_400000_NS6detail17trampoline_kernelINS0_14default_configENS1_25partition_config_selectorILNS1_17partition_subalgoE9EllbEEZZNS1_14partition_implILS5_9ELb0ES3_jPlS8_PNS0_10empty_typeENS0_5tupleIJS8_S9_EEENSB_IJS8_SA_EEENS0_18inequality_wrapperIZN2at6native12_GLOBAL__N_124unique_dim_cuda_templateIN3c108BFloat16EEESt5tupleIJNSF_6TensorESM_SM_EERKSM_lbbbEUlllE0_EEPmJS9_EEE10hipError_tPvRmT3_T4_T5_T6_T7_T9_mT8_P12ihipStream_tbDpT10_ENKUlT_T0_E_clISt17integral_constantIbLb1EES1B_IbLb0EEEEDaS17_S18_EUlS17_E_NS1_11comp_targetILNS1_3genE8ELNS1_11target_archE1030ELNS1_3gpuE2ELNS1_3repE0EEENS1_30default_config_static_selectorELNS0_4arch9wavefront6targetE1EEEvT1_.has_indirect_call, 0
	.section	.AMDGPU.csdata,"",@progbits
; Kernel info:
; codeLenInByte = 0
; TotalNumSgprs: 6
; NumVgprs: 0
; NumAgprs: 0
; TotalNumVgprs: 0
; ScratchSize: 0
; MemoryBound: 0
; FloatMode: 240
; IeeeMode: 1
; LDSByteSize: 0 bytes/workgroup (compile time only)
; SGPRBlocks: 0
; VGPRBlocks: 0
; NumSGPRsForWavesPerEU: 6
; NumVGPRsForWavesPerEU: 1
; AccumOffset: 4
; Occupancy: 8
; WaveLimiterHint : 0
; COMPUTE_PGM_RSRC2:SCRATCH_EN: 0
; COMPUTE_PGM_RSRC2:USER_SGPR: 2
; COMPUTE_PGM_RSRC2:TRAP_HANDLER: 0
; COMPUTE_PGM_RSRC2:TGID_X_EN: 1
; COMPUTE_PGM_RSRC2:TGID_Y_EN: 0
; COMPUTE_PGM_RSRC2:TGID_Z_EN: 0
; COMPUTE_PGM_RSRC2:TIDIG_COMP_CNT: 0
; COMPUTE_PGM_RSRC3_GFX90A:ACCUM_OFFSET: 0
; COMPUTE_PGM_RSRC3_GFX90A:TG_SPLIT: 0
	.section	.text._ZN7rocprim17ROCPRIM_400000_NS6detail17trampoline_kernelINS0_14default_configENS1_25partition_config_selectorILNS1_17partition_subalgoE9EllbEEZZNS1_14partition_implILS5_9ELb0ES3_jPlS8_PNS0_10empty_typeENS0_5tupleIJS8_S9_EEENSB_IJS8_SA_EEENS0_18inequality_wrapperIZN2at6native12_GLOBAL__N_124unique_dim_cuda_templateIN3c108BFloat16EEESt5tupleIJNSF_6TensorESM_SM_EERKSM_lbbbEUlllE0_EEPmJS9_EEE10hipError_tPvRmT3_T4_T5_T6_T7_T9_mT8_P12ihipStream_tbDpT10_ENKUlT_T0_E_clISt17integral_constantIbLb0EES1B_IbLb1EEEEDaS17_S18_EUlS17_E_NS1_11comp_targetILNS1_3genE0ELNS1_11target_archE4294967295ELNS1_3gpuE0ELNS1_3repE0EEENS1_30default_config_static_selectorELNS0_4arch9wavefront6targetE1EEEvT1_,"axG",@progbits,_ZN7rocprim17ROCPRIM_400000_NS6detail17trampoline_kernelINS0_14default_configENS1_25partition_config_selectorILNS1_17partition_subalgoE9EllbEEZZNS1_14partition_implILS5_9ELb0ES3_jPlS8_PNS0_10empty_typeENS0_5tupleIJS8_S9_EEENSB_IJS8_SA_EEENS0_18inequality_wrapperIZN2at6native12_GLOBAL__N_124unique_dim_cuda_templateIN3c108BFloat16EEESt5tupleIJNSF_6TensorESM_SM_EERKSM_lbbbEUlllE0_EEPmJS9_EEE10hipError_tPvRmT3_T4_T5_T6_T7_T9_mT8_P12ihipStream_tbDpT10_ENKUlT_T0_E_clISt17integral_constantIbLb0EES1B_IbLb1EEEEDaS17_S18_EUlS17_E_NS1_11comp_targetILNS1_3genE0ELNS1_11target_archE4294967295ELNS1_3gpuE0ELNS1_3repE0EEENS1_30default_config_static_selectorELNS0_4arch9wavefront6targetE1EEEvT1_,comdat
	.globl	_ZN7rocprim17ROCPRIM_400000_NS6detail17trampoline_kernelINS0_14default_configENS1_25partition_config_selectorILNS1_17partition_subalgoE9EllbEEZZNS1_14partition_implILS5_9ELb0ES3_jPlS8_PNS0_10empty_typeENS0_5tupleIJS8_S9_EEENSB_IJS8_SA_EEENS0_18inequality_wrapperIZN2at6native12_GLOBAL__N_124unique_dim_cuda_templateIN3c108BFloat16EEESt5tupleIJNSF_6TensorESM_SM_EERKSM_lbbbEUlllE0_EEPmJS9_EEE10hipError_tPvRmT3_T4_T5_T6_T7_T9_mT8_P12ihipStream_tbDpT10_ENKUlT_T0_E_clISt17integral_constantIbLb0EES1B_IbLb1EEEEDaS17_S18_EUlS17_E_NS1_11comp_targetILNS1_3genE0ELNS1_11target_archE4294967295ELNS1_3gpuE0ELNS1_3repE0EEENS1_30default_config_static_selectorELNS0_4arch9wavefront6targetE1EEEvT1_ ; -- Begin function _ZN7rocprim17ROCPRIM_400000_NS6detail17trampoline_kernelINS0_14default_configENS1_25partition_config_selectorILNS1_17partition_subalgoE9EllbEEZZNS1_14partition_implILS5_9ELb0ES3_jPlS8_PNS0_10empty_typeENS0_5tupleIJS8_S9_EEENSB_IJS8_SA_EEENS0_18inequality_wrapperIZN2at6native12_GLOBAL__N_124unique_dim_cuda_templateIN3c108BFloat16EEESt5tupleIJNSF_6TensorESM_SM_EERKSM_lbbbEUlllE0_EEPmJS9_EEE10hipError_tPvRmT3_T4_T5_T6_T7_T9_mT8_P12ihipStream_tbDpT10_ENKUlT_T0_E_clISt17integral_constantIbLb0EES1B_IbLb1EEEEDaS17_S18_EUlS17_E_NS1_11comp_targetILNS1_3genE0ELNS1_11target_archE4294967295ELNS1_3gpuE0ELNS1_3repE0EEENS1_30default_config_static_selectorELNS0_4arch9wavefront6targetE1EEEvT1_
	.p2align	8
	.type	_ZN7rocprim17ROCPRIM_400000_NS6detail17trampoline_kernelINS0_14default_configENS1_25partition_config_selectorILNS1_17partition_subalgoE9EllbEEZZNS1_14partition_implILS5_9ELb0ES3_jPlS8_PNS0_10empty_typeENS0_5tupleIJS8_S9_EEENSB_IJS8_SA_EEENS0_18inequality_wrapperIZN2at6native12_GLOBAL__N_124unique_dim_cuda_templateIN3c108BFloat16EEESt5tupleIJNSF_6TensorESM_SM_EERKSM_lbbbEUlllE0_EEPmJS9_EEE10hipError_tPvRmT3_T4_T5_T6_T7_T9_mT8_P12ihipStream_tbDpT10_ENKUlT_T0_E_clISt17integral_constantIbLb0EES1B_IbLb1EEEEDaS17_S18_EUlS17_E_NS1_11comp_targetILNS1_3genE0ELNS1_11target_archE4294967295ELNS1_3gpuE0ELNS1_3repE0EEENS1_30default_config_static_selectorELNS0_4arch9wavefront6targetE1EEEvT1_,@function
_ZN7rocprim17ROCPRIM_400000_NS6detail17trampoline_kernelINS0_14default_configENS1_25partition_config_selectorILNS1_17partition_subalgoE9EllbEEZZNS1_14partition_implILS5_9ELb0ES3_jPlS8_PNS0_10empty_typeENS0_5tupleIJS8_S9_EEENSB_IJS8_SA_EEENS0_18inequality_wrapperIZN2at6native12_GLOBAL__N_124unique_dim_cuda_templateIN3c108BFloat16EEESt5tupleIJNSF_6TensorESM_SM_EERKSM_lbbbEUlllE0_EEPmJS9_EEE10hipError_tPvRmT3_T4_T5_T6_T7_T9_mT8_P12ihipStream_tbDpT10_ENKUlT_T0_E_clISt17integral_constantIbLb0EES1B_IbLb1EEEEDaS17_S18_EUlS17_E_NS1_11comp_targetILNS1_3genE0ELNS1_11target_archE4294967295ELNS1_3gpuE0ELNS1_3repE0EEENS1_30default_config_static_selectorELNS0_4arch9wavefront6targetE1EEEvT1_: ; @_ZN7rocprim17ROCPRIM_400000_NS6detail17trampoline_kernelINS0_14default_configENS1_25partition_config_selectorILNS1_17partition_subalgoE9EllbEEZZNS1_14partition_implILS5_9ELb0ES3_jPlS8_PNS0_10empty_typeENS0_5tupleIJS8_S9_EEENSB_IJS8_SA_EEENS0_18inequality_wrapperIZN2at6native12_GLOBAL__N_124unique_dim_cuda_templateIN3c108BFloat16EEESt5tupleIJNSF_6TensorESM_SM_EERKSM_lbbbEUlllE0_EEPmJS9_EEE10hipError_tPvRmT3_T4_T5_T6_T7_T9_mT8_P12ihipStream_tbDpT10_ENKUlT_T0_E_clISt17integral_constantIbLb0EES1B_IbLb1EEEEDaS17_S18_EUlS17_E_NS1_11comp_targetILNS1_3genE0ELNS1_11target_archE4294967295ELNS1_3gpuE0ELNS1_3repE0EEENS1_30default_config_static_selectorELNS0_4arch9wavefront6targetE1EEEvT1_
; %bb.0:
	s_load_dwordx4 s[4:7], s[0:1], 0x8
	s_load_dwordx2 s[10:11], s[0:1], 0x18
	s_load_dwordx8 s[20:27], s[0:1], 0x40
	s_load_dwordx4 s[36:39], s[0:1], 0x60
	v_cmp_ne_u32_e64 s[2:3], 0, v0
	v_cmp_eq_u32_e64 s[18:19], 0, v0
	s_and_saveexec_b64 s[8:9], s[18:19]
	s_cbranch_execz .LBB1230_4
; %bb.1:
	s_mov_b64 s[14:15], exec
	v_mbcnt_lo_u32_b32 v1, s14, 0
	v_mbcnt_hi_u32_b32 v1, s15, v1
	v_cmp_eq_u32_e32 vcc, 0, v1
                                        ; implicit-def: $vgpr2
	s_and_saveexec_b64 s[12:13], vcc
	s_cbranch_execz .LBB1230_3
; %bb.2:
	s_load_dwordx2 s[16:17], s[0:1], 0x78
	s_bcnt1_i32_b64 s14, s[14:15]
	v_mov_b32_e32 v2, 0
	v_mov_b32_e32 v3, s14
	s_waitcnt lgkmcnt(0)
	global_atomic_add v2, v2, v3, s[16:17] sc0
.LBB1230_3:
	s_or_b64 exec, exec, s[12:13]
	s_waitcnt vmcnt(0)
	v_readfirstlane_b32 s12, v2
	v_mov_b32_e32 v2, 0
	s_nop 0
	v_add_u32_e32 v1, s12, v1
	ds_write_b32 v2, v1
.LBB1230_4:
	s_or_b64 exec, exec, s[8:9]
	v_mov_b32_e32 v3, 0
	s_load_dwordx4 s[28:31], s[0:1], 0x28
	s_load_dword s8, s[0:1], 0x70
	s_waitcnt lgkmcnt(0)
	s_barrier
	ds_read_b32 v1, v3
	s_waitcnt lgkmcnt(0)
	s_barrier
	global_load_dwordx2 v[4:5], v3, s[22:23]
	s_lshl_b64 s[12:13], s[6:7], 3
	s_mul_i32 s14, s8, 0x280
	s_add_u32 s16, s4, s12
	s_addc_u32 s17, s5, s13
	s_add_i32 s4, s14, s6
	s_sub_i32 s48, s24, s4
	s_add_i32 s15, s8, -1
	s_addk_i32 s48, 0x280
	s_add_u32 s4, s6, s14
	v_readfirstlane_b32 s33, v1
	s_addc_u32 s5, s7, 0
	v_mov_b64_e32 v[6:7], s[4:5]
	s_cmp_eq_u32 s33, s15
	s_mov_b32 s9, 0
	s_mul_i32 s8, s33, 0x280
	v_cmp_le_u64_e32 vcc, s[24:25], v[6:7]
	s_cselect_b64 s[24:25], -1, 0
	s_lshl_b64 s[14:15], s[8:9], 3
	s_and_b64 s[8:9], vcc, s[24:25]
	s_xor_b64 s[34:35], s[8:9], -1
	s_add_u32 s4, s16, s14
	s_mov_b64 s[0:1], -1
	v_lshlrev_b32_e32 v32, 3, v0
	s_addc_u32 s5, s17, s15
	s_and_b64 vcc, exec, s[34:35]
	s_waitcnt vmcnt(0)
	v_readfirstlane_b32 s22, v4
	v_readfirstlane_b32 s23, v5
	s_cbranch_vccz .LBB1230_6
; %bb.5:
	v_lshlrev_b32_e32 v2, 3, v0
	v_lshl_add_u64 v[4:5], s[4:5], 0, v[2:3]
	v_add_co_u32_e32 v4, vcc, 0x1000, v4
	global_load_dwordx2 v[6:7], v2, s[4:5] offset:3072
	s_nop 0
	v_addc_co_u32_e32 v5, vcc, 0, v5, vcc
	global_load_dwordx2 v[8:9], v2, s[4:5]
	global_load_dwordx2 v[10:11], v2, s[4:5] offset:1024
	global_load_dwordx2 v[12:13], v2, s[4:5] offset:2048
	global_load_dwordx2 v[14:15], v[4:5], off
	s_mov_b64 s[0:1], 0
	s_waitcnt vmcnt(2)
	ds_write2st64_b64 v2, v[8:9], v[10:11] offset1:2
	s_waitcnt vmcnt(1)
	ds_write2st64_b64 v2, v[12:13], v[6:7] offset0:4 offset1:6
	s_waitcnt vmcnt(0)
	ds_write_b64 v2, v[14:15] offset:4096
	s_waitcnt lgkmcnt(0)
	s_barrier
.LBB1230_6:
	s_andn2_b64 vcc, exec, s[0:1]
	v_cmp_gt_u32_e64 s[0:1], s48, v0
	s_cbranch_vccnz .LBB1230_18
; %bb.7:
	v_mov_b32_e32 v2, 0
	v_mov_b32_e32 v3, v2
	v_mov_b32_e32 v4, v2
	v_mov_b32_e32 v5, v2
	v_mov_b32_e32 v6, v2
	v_mov_b32_e32 v7, v2
	v_mov_b32_e32 v8, v2
	v_mov_b32_e32 v9, v2
	v_mov_b32_e32 v10, v2
	v_mov_b32_e32 v11, v2
	s_and_saveexec_b64 s[16:17], s[0:1]
	s_cbranch_execz .LBB1230_9
; %bb.8:
	v_lshlrev_b32_e32 v1, 3, v0
	global_load_dwordx2 v[4:5], v1, s[4:5]
	v_mov_b32_e32 v6, v2
	v_mov_b32_e32 v7, v2
	;; [unrolled: 1-line block ×8, first 2 shown]
	s_waitcnt vmcnt(0)
	v_mov_b64_e32 v[2:3], v[4:5]
	v_mov_b64_e32 v[4:5], v[6:7]
	v_mov_b64_e32 v[6:7], v[8:9]
	v_mov_b64_e32 v[8:9], v[10:11]
	v_mov_b64_e32 v[10:11], v[12:13]
	v_mov_b64_e32 v[12:13], v[14:15]
	v_mov_b64_e32 v[14:15], v[16:17]
	v_mov_b64_e32 v[16:17], v[18:19]
.LBB1230_9:
	s_or_b64 exec, exec, s[16:17]
	v_or_b32_e32 v1, 0x80, v0
	v_cmp_gt_u32_e32 vcc, s48, v1
	s_and_saveexec_b64 s[0:1], vcc
	s_cbranch_execz .LBB1230_11
; %bb.10:
	v_lshlrev_b32_e32 v1, 3, v0
	global_load_dwordx2 v[4:5], v1, s[4:5] offset:1024
.LBB1230_11:
	s_or_b64 exec, exec, s[0:1]
	v_or_b32_e32 v1, 0x100, v0
	v_cmp_gt_u32_e32 vcc, s48, v1
	s_and_saveexec_b64 s[0:1], vcc
	s_cbranch_execz .LBB1230_13
; %bb.12:
	v_lshlrev_b32_e32 v1, 3, v0
	global_load_dwordx2 v[6:7], v1, s[4:5] offset:2048
.LBB1230_13:
	;; [unrolled: 9-line block ×3, first 2 shown]
	s_or_b64 exec, exec, s[0:1]
	v_or_b32_e32 v1, 0x200, v0
	v_cmp_gt_u32_e32 vcc, s48, v1
	s_and_saveexec_b64 s[0:1], vcc
	s_cbranch_execz .LBB1230_17
; %bb.16:
	v_lshlrev_b32_e32 v1, 3, v1
	global_load_dwordx2 v[10:11], v1, s[4:5]
.LBB1230_17:
	s_or_b64 exec, exec, s[0:1]
	v_lshlrev_b32_e32 v1, 3, v0
	s_waitcnt vmcnt(0)
	ds_write2st64_b64 v1, v[2:3], v[4:5] offset1:2
	ds_write2st64_b64 v1, v[6:7], v[8:9] offset0:4 offset1:6
	ds_write_b64 v1, v[10:11] offset:4096
	s_waitcnt lgkmcnt(0)
	s_barrier
.LBB1230_18:
	v_mul_u32_u24_e32 v1, 5, v0
	v_lshlrev_b32_e32 v22, 3, v1
	ds_read2_b64 v[6:9], v22 offset1:1
	ds_read2_b64 v[2:5], v22 offset0:2 offset1:3
	ds_read_b64 v[12:13], v22 offset:32
	s_add_u32 s0, s10, s12
	s_addc_u32 s1, s11, s13
	s_add_u32 s0, s0, s14
	s_addc_u32 s1, s1, s15
	s_mov_b64 s[10:11], -1
	s_and_b64 vcc, exec, s[34:35]
	s_waitcnt lgkmcnt(0)
	s_barrier
	s_cbranch_vccz .LBB1230_20
; %bb.19:
	v_lshlrev_b32_e32 v10, 3, v0
	v_mov_b32_e32 v11, 0
	v_lshl_add_u64 v[14:15], s[0:1], 0, v[10:11]
	v_add_co_u32_e32 v14, vcc, 0x1000, v14
	global_load_dwordx2 v[16:17], v10, s[0:1] offset:3072
	s_nop 0
	v_addc_co_u32_e32 v15, vcc, 0, v15, vcc
	global_load_dwordx2 v[18:19], v10, s[0:1]
	global_load_dwordx2 v[20:21], v10, s[0:1] offset:1024
	global_load_dwordx2 v[24:25], v10, s[0:1] offset:2048
	global_load_dwordx2 v[26:27], v[14:15], off
	s_mov_b64 s[10:11], 0
	s_waitcnt vmcnt(2)
	ds_write2st64_b64 v10, v[18:19], v[20:21] offset1:2
	s_waitcnt vmcnt(1)
	ds_write2st64_b64 v10, v[24:25], v[16:17] offset0:4 offset1:6
	s_waitcnt vmcnt(0)
	ds_write_b64 v10, v[26:27] offset:4096
	s_waitcnt lgkmcnt(0)
	s_barrier
.LBB1230_20:
	s_andn2_b64 vcc, exec, s[10:11]
	s_cbranch_vccnz .LBB1230_32
; %bb.21:
	v_cmp_gt_u32_e32 vcc, s48, v0
                                        ; implicit-def: $vgpr10_vgpr11
	s_and_saveexec_b64 s[10:11], vcc
	s_cbranch_execz .LBB1230_23
; %bb.22:
	v_lshlrev_b32_e32 v10, 3, v0
	global_load_dwordx2 v[10:11], v10, s[0:1]
.LBB1230_23:
	s_or_b64 exec, exec, s[10:11]
	v_or_b32_e32 v14, 0x80, v0
	v_cmp_gt_u32_e32 vcc, s48, v14
                                        ; implicit-def: $vgpr14_vgpr15
	s_and_saveexec_b64 s[10:11], vcc
	s_cbranch_execz .LBB1230_25
; %bb.24:
	v_lshlrev_b32_e32 v14, 3, v0
	global_load_dwordx2 v[14:15], v14, s[0:1] offset:1024
.LBB1230_25:
	s_or_b64 exec, exec, s[10:11]
	v_or_b32_e32 v16, 0x100, v0
	v_cmp_gt_u32_e32 vcc, s48, v16
                                        ; implicit-def: $vgpr16_vgpr17
	s_and_saveexec_b64 s[10:11], vcc
	s_cbranch_execz .LBB1230_27
; %bb.26:
	v_lshlrev_b32_e32 v16, 3, v0
	global_load_dwordx2 v[16:17], v16, s[0:1] offset:2048
.LBB1230_27:
	s_or_b64 exec, exec, s[10:11]
	v_or_b32_e32 v18, 0x180, v0
	v_cmp_gt_u32_e32 vcc, s48, v18
                                        ; implicit-def: $vgpr18_vgpr19
	s_and_saveexec_b64 s[10:11], vcc
	s_cbranch_execz .LBB1230_29
; %bb.28:
	v_lshlrev_b32_e32 v18, 3, v0
	global_load_dwordx2 v[18:19], v18, s[0:1] offset:3072
.LBB1230_29:
	s_or_b64 exec, exec, s[10:11]
	v_or_b32_e32 v20, 0x200, v0
	v_cmp_gt_u32_e32 vcc, s48, v20
                                        ; implicit-def: $vgpr24_vgpr25
	s_and_saveexec_b64 s[10:11], vcc
	s_cbranch_execz .LBB1230_31
; %bb.30:
	v_lshlrev_b32_e32 v20, 3, v20
	global_load_dwordx2 v[24:25], v20, s[0:1]
.LBB1230_31:
	s_or_b64 exec, exec, s[10:11]
	v_lshlrev_b32_e32 v20, 5, v0
	v_sub_u32_e32 v20, v22, v20
	s_waitcnt vmcnt(0)
	ds_write2st64_b64 v20, v[10:11], v[14:15] offset1:2
	ds_write2st64_b64 v20, v[16:17], v[18:19] offset0:4 offset1:6
	ds_write_b64 v20, v[24:25] offset:4096
	s_waitcnt lgkmcnt(0)
	s_barrier
.LBB1230_32:
	ds_read_b64 v[10:11], v22 offset:32
	ds_read2_b64 v[52:55], v22 offset0:2 offset1:3
	ds_read2_b64 v[56:59], v22 offset1:1
	s_cmp_lg_u32 s33, 0
	s_cselect_b64 s[16:17], -1, 0
	s_cmp_lg_u64 s[6:7], 0
	s_cselect_b64 s[0:1], -1, 0
	s_or_b64 s[0:1], s[0:1], s[16:17]
	s_mov_b64 s[10:11], 0
	s_and_b64 vcc, exec, s[0:1]
	v_cmp_gt_i64_e64 s[6:7], s[26:27], 0
	s_waitcnt lgkmcnt(0)
	s_barrier
	s_cbranch_vccz .LBB1230_51
; %bb.33:
	v_mov_b32_e32 v18, 0
	global_load_dwordx2 v[14:15], v18, s[4:5] offset:-8
	v_cndmask_b32_e64 v16, 0, 1, s[6:7]
	v_lshlrev_b32_e32 v23, 3, v0
	s_mov_b64 s[0:1], 0
	s_and_b64 vcc, exec, s[34:35]
	v_cmp_ne_u32_e64 s[4:5], 1, v16
	ds_write_b64 v23, v[12:13]
	s_cbranch_vccz .LBB1230_53
; %bb.34:
	s_and_b64 vcc, exec, s[4:5]
	v_mov_b32_e32 v33, 0
	s_cbranch_vccnz .LBB1230_44
; %bb.35:
	v_mul_lo_u32 v18, v5, s26
	v_mul_lo_u32 v19, v4, s27
	v_mad_u64_u32 v[16:17], s[0:1], v4, s26, 0
	v_add3_u32 v17, v17, v19, v18
	v_mul_lo_u32 v20, v13, s26
	v_mul_lo_u32 v21, v12, s27
	v_mad_u64_u32 v[18:19], s[0:1], v12, s26, 0
	s_add_u32 s10, s26, -1
	v_lshl_add_u64 v[16:17], v[16:17], 1, s[36:37]
	v_add3_u32 v19, v19, v21, v20
	s_addc_u32 s11, s27, -1
	v_lshl_add_u64 v[18:19], v[18:19], 1, s[36:37]
	s_mov_b64 s[12:13], 0
	s_mov_b64 s[14:15], s[10:11]
	v_mov_b64_e32 v[20:21], v[16:17]
                                        ; implicit-def: $sgpr6_sgpr7
.LBB1230_36:                            ; =>This Inner Loop Header: Depth=1
	global_load_ushort v24, v[18:19], off
	global_load_ushort v25, v[20:21], off
	s_add_u32 s0, s14, -1
	s_addc_u32 s1, s15, -1
	s_cmp_eq_u64 s[14:15], 0
	s_mov_b64 s[14:15], s[0:1]
	s_cselect_b64 s[40:41], -1, 0
	v_lshl_add_u64 v[20:21], v[20:21], 0, 2
	v_lshl_add_u64 v[18:19], v[18:19], 0, 2
	s_waitcnt vmcnt(1)
	v_lshlrev_b32_e32 v24, 16, v24
	s_waitcnt vmcnt(0)
	v_lshlrev_b32_e32 v25, 16, v25
	v_cmp_neq_f32_e64 s[0:1], v25, v24
	s_or_b64 s[0:1], s[0:1], s[40:41]
	s_and_b64 s[0:1], exec, s[0:1]
	v_cmp_eq_f32_e32 vcc, v25, v24
	s_or_b64 s[12:13], s[0:1], s[12:13]
	s_andn2_b64 s[0:1], s[6:7], exec
	s_and_b64 s[6:7], vcc, exec
	s_or_b64 s[6:7], s[0:1], s[6:7]
	s_andn2_b64 exec, exec, s[12:13]
	s_cbranch_execnz .LBB1230_36
; %bb.37:
	s_or_b64 exec, exec, s[12:13]
	v_mul_lo_u32 v20, v3, s26
	v_mul_lo_u32 v21, v2, s27
	v_mad_u64_u32 v[18:19], s[0:1], v2, s26, 0
	v_add3_u32 v19, v19, v21, v20
	v_lshl_add_u64 v[18:19], v[18:19], 1, s[36:37]
	s_mov_b64 s[14:15], 0
	s_mov_b64 s[40:41], s[10:11]
	v_mov_b64_e32 v[20:21], v[18:19]
                                        ; implicit-def: $sgpr12_sgpr13
.LBB1230_38:                            ; =>This Inner Loop Header: Depth=1
	global_load_ushort v24, v[16:17], off
	global_load_ushort v25, v[20:21], off
	s_add_u32 s0, s40, -1
	s_addc_u32 s1, s41, -1
	s_cmp_eq_u64 s[40:41], 0
	s_mov_b64 s[40:41], s[0:1]
	s_cselect_b64 s[42:43], -1, 0
	v_lshl_add_u64 v[20:21], v[20:21], 0, 2
	v_lshl_add_u64 v[16:17], v[16:17], 0, 2
	s_waitcnt vmcnt(1)
	v_lshlrev_b32_e32 v24, 16, v24
	s_waitcnt vmcnt(0)
	v_lshlrev_b32_e32 v25, 16, v25
	v_cmp_neq_f32_e64 s[0:1], v25, v24
	s_or_b64 s[0:1], s[0:1], s[42:43]
	s_and_b64 s[0:1], exec, s[0:1]
	v_cmp_eq_f32_e32 vcc, v25, v24
	s_or_b64 s[14:15], s[0:1], s[14:15]
	s_andn2_b64 s[0:1], s[12:13], exec
	s_and_b64 s[12:13], vcc, exec
	s_or_b64 s[12:13], s[0:1], s[12:13]
	s_andn2_b64 exec, exec, s[14:15]
	s_cbranch_execnz .LBB1230_38
; %bb.39:
	s_or_b64 exec, exec, s[14:15]
	v_mul_lo_u32 v20, v9, s26
	v_mul_lo_u32 v21, v8, s27
	v_mad_u64_u32 v[16:17], s[0:1], v8, s26, 0
	v_add3_u32 v17, v17, v21, v20
	v_lshl_add_u64 v[16:17], v[16:17], 1, s[36:37]
	s_mov_b64 s[40:41], 0
	s_mov_b64 s[42:43], s[10:11]
	v_mov_b64_e32 v[20:21], v[16:17]
                                        ; implicit-def: $sgpr14_sgpr15
.LBB1230_40:                            ; =>This Inner Loop Header: Depth=1
	global_load_ushort v24, v[18:19], off
	global_load_ushort v25, v[20:21], off
	s_add_u32 s0, s42, -1
	s_addc_u32 s1, s43, -1
	s_cmp_eq_u64 s[42:43], 0
	s_mov_b64 s[42:43], s[0:1]
	s_cselect_b64 s[44:45], -1, 0
	v_lshl_add_u64 v[20:21], v[20:21], 0, 2
	v_lshl_add_u64 v[18:19], v[18:19], 0, 2
	s_waitcnt vmcnt(1)
	v_lshlrev_b32_e32 v24, 16, v24
	s_waitcnt vmcnt(0)
	v_lshlrev_b32_e32 v25, 16, v25
	v_cmp_neq_f32_e64 s[0:1], v25, v24
	s_or_b64 s[0:1], s[0:1], s[44:45]
	s_and_b64 s[0:1], exec, s[0:1]
	v_cmp_eq_f32_e32 vcc, v25, v24
	s_or_b64 s[40:41], s[0:1], s[40:41]
	s_andn2_b64 s[0:1], s[14:15], exec
	s_and_b64 s[14:15], vcc, exec
	s_or_b64 s[14:15], s[0:1], s[14:15]
	s_andn2_b64 exec, exec, s[40:41]
	s_cbranch_execnz .LBB1230_40
; %bb.41:
	s_or_b64 exec, exec, s[40:41]
	v_mul_lo_u32 v20, v7, s26
	v_mul_lo_u32 v21, v6, s27
	v_mad_u64_u32 v[18:19], s[0:1], v6, s26, 0
	v_add3_u32 v19, v19, v21, v20
	v_lshl_add_u64 v[18:19], v[18:19], 1, s[36:37]
	s_mov_b64 s[42:43], 0
                                        ; implicit-def: $sgpr40_sgpr41
.LBB1230_42:                            ; =>This Inner Loop Header: Depth=1
	global_load_ushort v20, v[16:17], off
	global_load_ushort v21, v[18:19], off
	s_add_u32 s0, s10, -1
	s_addc_u32 s1, s11, -1
	s_cmp_eq_u64 s[10:11], 0
	s_mov_b64 s[10:11], s[0:1]
	s_cselect_b64 s[44:45], -1, 0
	v_lshl_add_u64 v[18:19], v[18:19], 0, 2
	v_lshl_add_u64 v[16:17], v[16:17], 0, 2
	s_waitcnt vmcnt(1)
	v_lshlrev_b32_e32 v20, 16, v20
	s_waitcnt vmcnt(0)
	v_lshlrev_b32_e32 v21, 16, v21
	v_cmp_neq_f32_e64 s[0:1], v21, v20
	s_or_b64 s[0:1], s[0:1], s[44:45]
	s_and_b64 s[0:1], exec, s[0:1]
	v_cmp_eq_f32_e32 vcc, v21, v20
	s_or_b64 s[42:43], s[0:1], s[42:43]
	s_andn2_b64 s[0:1], s[40:41], exec
	s_and_b64 s[40:41], vcc, exec
	s_or_b64 s[40:41], s[0:1], s[40:41]
	s_andn2_b64 exec, exec, s[42:43]
	s_cbranch_execnz .LBB1230_42
; %bb.43:
	s_or_b64 exec, exec, s[42:43]
	s_xor_b64 s[0:1], s[6:7], -1
	v_cndmask_b32_e64 v33, 0, 1, s[0:1]
	s_xor_b64 s[0:1], s[12:13], -1
	v_cndmask_b32_e64 v16, 0, 1, s[0:1]
	v_lshlrev_b16_e32 v16, 8, v16
	v_mov_b32_e32 v17, 8
	s_xor_b64 s[6:7], s[14:15], -1
	v_lshrrev_b32_sdwa v16, v17, v16 dst_sel:BYTE_1 dst_unused:UNUSED_PAD src0_sel:DWORD src1_sel:DWORD
	v_cndmask_b32_e64 v17, 0, 1, s[6:7]
	s_xor_b64 s[0:1], s[40:41], -1
	v_or_b32_sdwa v18, v17, v16 dst_sel:WORD_1 dst_unused:UNUSED_PAD src0_sel:DWORD src1_sel:DWORD
.LBB1230_44:
	s_waitcnt vmcnt(0)
	v_mov_b64_e32 v[16:17], v[14:15]
	s_waitcnt lgkmcnt(0)
	s_barrier
	s_and_saveexec_b64 s[6:7], s[2:3]
; %bb.45:
	v_add_u32_e32 v16, -8, v23
	ds_read_b64 v[16:17], v16
; %bb.46:
	s_or_b64 exec, exec, s[6:7]
	v_cndmask_b32_e64 v19, 0, 1, s[0:1]
	v_lshrrev_b32_e32 v20, 16, v18
	s_mov_b32 s0, 0xc0c0304
	v_perm_b32 v20, v20, v18, s0
	v_lshlrev_b16_e32 v19, 8, v19
	s_movk_i32 s0, 0xff
	v_bitop3_b16 v18, v18, v19, s0 bitop3:0xec
	v_and_b32_e32 v21, 0xffff, v18
	s_mov_b64 s[6:7], 0
	s_and_b64 vcc, exec, s[4:5]
	s_mov_b64 s[0:1], 0
	s_cbranch_vccnz .LBB1230_50
; %bb.47:
	s_waitcnt lgkmcnt(0)
	v_mul_lo_u32 v18, v17, s26
	v_mul_lo_u32 v19, v16, s27
	v_mad_u64_u32 v[16:17], s[0:1], v16, s26, 0
	v_add3_u32 v17, v17, v19, v18
	v_mul_lo_u32 v24, v7, s26
	v_mul_lo_u32 v25, v6, s27
	v_mad_u64_u32 v[18:19], s[0:1], v6, s26, 0
	v_add3_u32 v19, v19, v25, v24
	s_add_u32 s14, s26, -1
	v_lshl_add_u64 v[16:17], v[16:17], 1, s[36:37]
	v_lshl_add_u64 v[18:19], v[18:19], 1, s[36:37]
	s_addc_u32 s15, s27, -1
	s_mov_b64 s[10:11], 0
                                        ; implicit-def: $sgpr12_sgpr13
.LBB1230_48:                            ; =>This Inner Loop Header: Depth=1
	global_load_ushort v24, v[18:19], off
	global_load_ushort v25, v[16:17], off
	s_add_u32 s0, s14, -1
	s_addc_u32 s1, s15, -1
	s_cmp_eq_u64 s[14:15], 0
	s_mov_b64 s[14:15], s[0:1]
	s_cselect_b64 s[40:41], -1, 0
	v_lshl_add_u64 v[16:17], v[16:17], 0, 2
	v_lshl_add_u64 v[18:19], v[18:19], 0, 2
	s_waitcnt vmcnt(1)
	v_lshlrev_b32_e32 v24, 16, v24
	s_waitcnt vmcnt(0)
	v_lshlrev_b32_e32 v25, 16, v25
	v_cmp_neq_f32_e64 s[0:1], v25, v24
	s_or_b64 s[0:1], s[0:1], s[40:41]
	s_and_b64 s[0:1], exec, s[0:1]
	v_cmp_eq_f32_e32 vcc, v25, v24
	s_or_b64 s[10:11], s[0:1], s[10:11]
	s_andn2_b64 s[0:1], s[12:13], exec
	s_and_b64 s[12:13], vcc, exec
	s_or_b64 s[12:13], s[0:1], s[12:13]
	s_andn2_b64 exec, exec, s[10:11]
	s_cbranch_execnz .LBB1230_48
; %bb.49:
	s_or_b64 exec, exec, s[10:11]
	s_xor_b64 s[0:1], s[12:13], -1
.LBB1230_50:
	s_waitcnt lgkmcnt(0)
	v_lshl_or_b32 v17, v20, 16, v21
	s_and_b64 vcc, exec, s[6:7]
	s_cbranch_vccnz .LBB1230_54
	s_branch .LBB1230_87
.LBB1230_51:
                                        ; implicit-def: $sgpr0_sgpr1
                                        ; implicit-def: $vgpr33
                                        ; implicit-def: $vgpr17
	s_branch .LBB1230_88
.LBB1230_52:
                                        ; implicit-def: $vgpr16
                                        ; implicit-def: $vgpr35
                                        ; implicit-def: $vgpr34
                                        ; implicit-def: $vgpr14
	s_branch .LBB1230_141
.LBB1230_53:
                                        ; implicit-def: $sgpr0_sgpr1
                                        ; implicit-def: $vgpr33
                                        ; implicit-def: $vgpr17
	s_cbranch_execz .LBB1230_87
.LBB1230_54:
	v_add_u32_e32 v16, 4, v1
	v_cmp_gt_u32_e32 vcc, s48, v16
	s_mov_b64 s[10:11], 0
	s_mov_b64 s[6:7], 0
	s_and_saveexec_b64 s[12:13], vcc
	s_cbranch_execz .LBB1230_60
; %bb.55:
	s_and_b64 vcc, exec, s[4:5]
	s_mov_b64 s[0:1], 0
	s_cbranch_vccnz .LBB1230_59
; %bb.56:
	v_mul_lo_u32 v18, v5, s26
	v_mul_lo_u32 v19, v4, s27
	v_mad_u64_u32 v[16:17], s[0:1], v4, s26, 0
	v_add3_u32 v17, v17, v19, v18
	v_mul_lo_u32 v20, v13, s26
	v_mul_lo_u32 v21, v12, s27
	v_mad_u64_u32 v[18:19], s[0:1], v12, s26, 0
	v_add3_u32 v19, v19, v21, v20
	s_add_u32 s40, s26, -1
	v_lshl_add_u64 v[16:17], v[16:17], 1, s[36:37]
	v_lshl_add_u64 v[18:19], v[18:19], 1, s[36:37]
	s_addc_u32 s41, s27, -1
                                        ; implicit-def: $sgpr14_sgpr15
.LBB1230_57:                            ; =>This Inner Loop Header: Depth=1
	global_load_ushort v20, v[18:19], off
	global_load_ushort v21, v[16:17], off
	s_add_u32 s0, s40, -1
	s_addc_u32 s1, s41, -1
	s_cmp_eq_u64 s[40:41], 0
	s_mov_b64 s[40:41], s[0:1]
	s_cselect_b64 s[42:43], -1, 0
	v_lshl_add_u64 v[16:17], v[16:17], 0, 2
	v_lshl_add_u64 v[18:19], v[18:19], 0, 2
	s_waitcnt vmcnt(1)
	v_lshlrev_b32_e32 v20, 16, v20
	s_waitcnt vmcnt(0)
	v_lshlrev_b32_e32 v21, 16, v21
	v_cmp_neq_f32_e64 s[0:1], v21, v20
	s_or_b64 s[0:1], s[0:1], s[42:43]
	s_and_b64 s[0:1], exec, s[0:1]
	v_cmp_eq_f32_e32 vcc, v21, v20
	s_or_b64 s[6:7], s[0:1], s[6:7]
	s_andn2_b64 s[0:1], s[14:15], exec
	s_and_b64 s[14:15], vcc, exec
	s_or_b64 s[14:15], s[0:1], s[14:15]
	s_andn2_b64 exec, exec, s[6:7]
	s_cbranch_execnz .LBB1230_57
; %bb.58:
	s_or_b64 exec, exec, s[6:7]
	s_xor_b64 s[0:1], s[14:15], -1
.LBB1230_59:
	s_and_b64 s[6:7], s[0:1], exec
.LBB1230_60:
	s_or_b64 exec, exec, s[12:13]
	v_add_u32_e32 v16, 3, v1
	v_cmp_gt_u32_e32 vcc, s48, v16
	s_and_saveexec_b64 s[12:13], vcc
	s_cbranch_execz .LBB1230_66
; %bb.61:
	s_and_b64 vcc, exec, s[4:5]
	s_mov_b64 s[0:1], 0
	s_cbranch_vccnz .LBB1230_65
; %bb.62:
	v_mul_lo_u32 v18, v3, s26
	v_mul_lo_u32 v19, v2, s27
	v_mad_u64_u32 v[16:17], s[0:1], v2, s26, 0
	v_add3_u32 v17, v17, v19, v18
	v_mul_lo_u32 v20, v5, s26
	v_mul_lo_u32 v21, v4, s27
	v_mad_u64_u32 v[18:19], s[0:1], v4, s26, 0
	v_add3_u32 v19, v19, v21, v20
	s_add_u32 s40, s26, -1
	v_lshl_add_u64 v[16:17], v[16:17], 1, s[36:37]
	v_lshl_add_u64 v[18:19], v[18:19], 1, s[36:37]
	s_addc_u32 s41, s27, -1
	s_mov_b64 s[10:11], 0
                                        ; implicit-def: $sgpr14_sgpr15
.LBB1230_63:                            ; =>This Inner Loop Header: Depth=1
	global_load_ushort v20, v[18:19], off
	global_load_ushort v21, v[16:17], off
	s_add_u32 s0, s40, -1
	s_addc_u32 s1, s41, -1
	s_cmp_eq_u64 s[40:41], 0
	s_mov_b64 s[40:41], s[0:1]
	s_cselect_b64 s[42:43], -1, 0
	v_lshl_add_u64 v[16:17], v[16:17], 0, 2
	v_lshl_add_u64 v[18:19], v[18:19], 0, 2
	s_waitcnt vmcnt(1)
	v_lshlrev_b32_e32 v20, 16, v20
	s_waitcnt vmcnt(0)
	v_lshlrev_b32_e32 v21, 16, v21
	v_cmp_neq_f32_e64 s[0:1], v21, v20
	s_or_b64 s[0:1], s[0:1], s[42:43]
	s_and_b64 s[0:1], exec, s[0:1]
	v_cmp_eq_f32_e32 vcc, v21, v20
	s_or_b64 s[10:11], s[0:1], s[10:11]
	s_andn2_b64 s[0:1], s[14:15], exec
	s_and_b64 s[14:15], vcc, exec
	s_or_b64 s[14:15], s[0:1], s[14:15]
	s_andn2_b64 exec, exec, s[10:11]
	s_cbranch_execnz .LBB1230_63
; %bb.64:
	s_or_b64 exec, exec, s[10:11]
	s_xor_b64 s[0:1], s[14:15], -1
.LBB1230_65:
	s_and_b64 s[10:11], s[0:1], exec
.LBB1230_66:
	s_or_b64 exec, exec, s[12:13]
	v_add_u32_e32 v16, 2, v1
	v_cmp_gt_u32_e32 vcc, s48, v16
	s_mov_b64 s[12:13], 0
	s_mov_b64 s[14:15], 0
	s_and_saveexec_b64 s[40:41], vcc
	s_cbranch_execz .LBB1230_72
; %bb.67:
	s_and_b64 vcc, exec, s[4:5]
	s_mov_b64 s[0:1], 0
	s_cbranch_vccnz .LBB1230_71
; %bb.68:
	v_mul_lo_u32 v18, v9, s26
	v_mul_lo_u32 v19, v8, s27
	v_mad_u64_u32 v[16:17], s[0:1], v8, s26, 0
	v_add3_u32 v17, v17, v19, v18
	v_mul_lo_u32 v20, v3, s26
	v_mul_lo_u32 v21, v2, s27
	v_mad_u64_u32 v[18:19], s[0:1], v2, s26, 0
	v_add3_u32 v19, v19, v21, v20
	s_add_u32 s44, s26, -1
	v_lshl_add_u64 v[16:17], v[16:17], 1, s[36:37]
	v_lshl_add_u64 v[18:19], v[18:19], 1, s[36:37]
	s_addc_u32 s45, s27, -1
                                        ; implicit-def: $sgpr42_sgpr43
.LBB1230_69:                            ; =>This Inner Loop Header: Depth=1
	global_load_ushort v20, v[18:19], off
	global_load_ushort v21, v[16:17], off
	s_add_u32 s0, s44, -1
	s_addc_u32 s1, s45, -1
	s_cmp_eq_u64 s[44:45], 0
	s_mov_b64 s[44:45], s[0:1]
	s_cselect_b64 s[46:47], -1, 0
	v_lshl_add_u64 v[16:17], v[16:17], 0, 2
	v_lshl_add_u64 v[18:19], v[18:19], 0, 2
	s_waitcnt vmcnt(1)
	v_lshlrev_b32_e32 v20, 16, v20
	s_waitcnt vmcnt(0)
	v_lshlrev_b32_e32 v21, 16, v21
	v_cmp_neq_f32_e64 s[0:1], v21, v20
	s_or_b64 s[0:1], s[0:1], s[46:47]
	s_and_b64 s[0:1], exec, s[0:1]
	v_cmp_eq_f32_e32 vcc, v21, v20
	s_or_b64 s[14:15], s[0:1], s[14:15]
	s_andn2_b64 s[0:1], s[42:43], exec
	s_and_b64 s[42:43], vcc, exec
	s_or_b64 s[42:43], s[0:1], s[42:43]
	s_andn2_b64 exec, exec, s[14:15]
	s_cbranch_execnz .LBB1230_69
; %bb.70:
	s_or_b64 exec, exec, s[14:15]
	s_xor_b64 s[0:1], s[42:43], -1
.LBB1230_71:
	s_and_b64 s[14:15], s[0:1], exec
.LBB1230_72:
	s_or_b64 exec, exec, s[40:41]
	v_add_u32_e32 v16, 1, v1
	v_cmp_gt_u32_e32 vcc, s48, v16
	s_and_saveexec_b64 s[40:41], vcc
	s_cbranch_execz .LBB1230_78
; %bb.73:
	s_and_b64 vcc, exec, s[4:5]
	s_mov_b64 s[0:1], 0
	s_cbranch_vccnz .LBB1230_77
; %bb.74:
	v_mul_lo_u32 v18, v7, s26
	v_mul_lo_u32 v19, v6, s27
	v_mad_u64_u32 v[16:17], s[0:1], v6, s26, 0
	v_add3_u32 v17, v17, v19, v18
	v_mul_lo_u32 v20, v9, s26
	v_mul_lo_u32 v21, v8, s27
	v_mad_u64_u32 v[18:19], s[0:1], v8, s26, 0
	v_add3_u32 v19, v19, v21, v20
	s_add_u32 s44, s26, -1
	v_lshl_add_u64 v[16:17], v[16:17], 1, s[36:37]
	v_lshl_add_u64 v[18:19], v[18:19], 1, s[36:37]
	s_addc_u32 s45, s27, -1
	s_mov_b64 s[12:13], 0
                                        ; implicit-def: $sgpr42_sgpr43
.LBB1230_75:                            ; =>This Inner Loop Header: Depth=1
	global_load_ushort v20, v[18:19], off
	global_load_ushort v21, v[16:17], off
	s_add_u32 s0, s44, -1
	s_addc_u32 s1, s45, -1
	s_cmp_eq_u64 s[44:45], 0
	s_mov_b64 s[44:45], s[0:1]
	s_cselect_b64 s[46:47], -1, 0
	v_lshl_add_u64 v[16:17], v[16:17], 0, 2
	v_lshl_add_u64 v[18:19], v[18:19], 0, 2
	s_waitcnt vmcnt(1)
	v_lshlrev_b32_e32 v20, 16, v20
	s_waitcnt vmcnt(0)
	v_lshlrev_b32_e32 v21, 16, v21
	v_cmp_neq_f32_e64 s[0:1], v21, v20
	s_or_b64 s[0:1], s[0:1], s[46:47]
	s_and_b64 s[0:1], exec, s[0:1]
	v_cmp_eq_f32_e32 vcc, v21, v20
	s_or_b64 s[12:13], s[0:1], s[12:13]
	s_andn2_b64 s[0:1], s[42:43], exec
	s_and_b64 s[42:43], vcc, exec
	s_or_b64 s[42:43], s[0:1], s[42:43]
	s_andn2_b64 exec, exec, s[12:13]
	s_cbranch_execnz .LBB1230_75
; %bb.76:
	s_or_b64 exec, exec, s[12:13]
	s_xor_b64 s[0:1], s[42:43], -1
.LBB1230_77:
	s_and_b64 s[12:13], s[0:1], exec
.LBB1230_78:
	s_or_b64 exec, exec, s[40:41]
	s_waitcnt lgkmcnt(0)
	s_barrier
	s_and_saveexec_b64 s[0:1], s[2:3]
	s_cbranch_execz .LBB1230_80
; %bb.79:
	s_waitcnt vmcnt(0)
	v_add_u32_e32 v14, -8, v23
	ds_read_b64 v[14:15], v14
.LBB1230_80:
	s_or_b64 exec, exec, s[0:1]
	v_cndmask_b32_e64 v17, 0, 1, s[10:11]
	v_cndmask_b32_e64 v16, 0, 1, s[14:15]
	v_cndmask_b32_e64 v18, 0, 1, s[12:13]
	v_lshlrev_b16_e32 v17, 8, v17
	v_cmp_gt_u32_e32 vcc, s48, v1
	v_lshlrev_b16_e32 v18, 8, v18
	v_or_b32_sdwa v19, v16, v17 dst_sel:WORD_1 dst_unused:UNUSED_PAD src0_sel:DWORD src1_sel:DWORD
	s_mov_b64 s[0:1], 0
	s_and_saveexec_b64 s[10:11], vcc
	s_cbranch_execz .LBB1230_86
; %bb.81:
	s_and_b64 vcc, exec, s[4:5]
	s_cbranch_vccnz .LBB1230_85
; %bb.82:
	s_waitcnt vmcnt(0) lgkmcnt(0)
	v_mul_lo_u32 v16, v15, s26
	v_mul_lo_u32 v17, v14, s27
	v_mad_u64_u32 v[14:15], s[0:1], v14, s26, 0
	v_add3_u32 v15, v15, v17, v16
	v_mul_lo_u32 v20, v7, s26
	v_mul_lo_u32 v21, v6, s27
	v_mad_u64_u32 v[16:17], s[0:1], v6, s26, 0
	v_add3_u32 v17, v17, v21, v20
	s_add_u32 s14, s26, -1
	v_lshl_add_u64 v[14:15], v[14:15], 1, s[36:37]
	v_lshl_add_u64 v[16:17], v[16:17], 1, s[36:37]
	s_addc_u32 s15, s27, -1
	s_mov_b64 s[4:5], 0
                                        ; implicit-def: $sgpr12_sgpr13
.LBB1230_83:                            ; =>This Inner Loop Header: Depth=1
	global_load_ushort v20, v[16:17], off
	global_load_ushort v21, v[14:15], off
	s_add_u32 s0, s14, -1
	s_addc_u32 s1, s15, -1
	s_cmp_eq_u64 s[14:15], 0
	s_mov_b64 s[14:15], s[0:1]
	s_cselect_b64 s[40:41], -1, 0
	v_lshl_add_u64 v[14:15], v[14:15], 0, 2
	v_lshl_add_u64 v[16:17], v[16:17], 0, 2
	s_waitcnt vmcnt(1)
	v_lshlrev_b32_e32 v20, 16, v20
	s_waitcnt vmcnt(0)
	v_lshlrev_b32_e32 v21, 16, v21
	v_cmp_neq_f32_e64 s[0:1], v21, v20
	s_or_b64 s[0:1], s[0:1], s[40:41]
	s_and_b64 s[0:1], exec, s[0:1]
	v_cmp_eq_f32_e32 vcc, v21, v20
	s_or_b64 s[4:5], s[0:1], s[4:5]
	s_andn2_b64 s[0:1], s[12:13], exec
	s_and_b64 s[12:13], vcc, exec
	s_or_b64 s[12:13], s[0:1], s[12:13]
	s_andn2_b64 exec, exec, s[4:5]
	s_cbranch_execnz .LBB1230_83
; %bb.84:
	s_or_b64 exec, exec, s[4:5]
	s_xor_b64 s[0:1], s[12:13], -1
.LBB1230_85:
	s_and_b64 s[0:1], s[0:1], exec
.LBB1230_86:
	s_or_b64 exec, exec, s[10:11]
	v_cndmask_b32_e64 v33, 0, 1, s[6:7]
	v_or_b32_e32 v17, v18, v19
.LBB1230_87:
	s_mov_b64 s[10:11], -1
	s_cbranch_execnz .LBB1230_52
.LBB1230_88:
	s_waitcnt vmcnt(0) lgkmcnt(0)
	v_lshlrev_b32_e32 v14, 5, v0
	v_sub_u32_e32 v22, v22, v14
	s_mov_b64 s[0:1], 0
	v_cmp_gt_i64_e64 s[6:7], s[26:27], 0
	s_and_b64 vcc, exec, s[34:35]
	ds_write_b64 v22, v[12:13]
	s_cbranch_vccz .LBB1230_99
; %bb.89:
	v_cndmask_b32_e64 v14, 0, 1, s[6:7]
	v_cmp_ne_u32_e64 s[4:5], 1, v14
	s_andn2_b64 vcc, exec, s[6:7]
	s_cbranch_vccnz .LBB1230_100
; %bb.90:
	v_mul_lo_u32 v16, v5, s26
	v_mul_lo_u32 v17, v4, s27
	v_mad_u64_u32 v[14:15], s[0:1], v4, s26, 0
	v_add3_u32 v15, v15, v17, v16
	v_mul_lo_u32 v18, v13, s26
	v_mul_lo_u32 v19, v12, s27
	v_mad_u64_u32 v[16:17], s[0:1], v12, s26, 0
	s_add_u32 s14, s26, -1
	v_lshl_add_u64 v[14:15], v[14:15], 1, s[36:37]
	v_add3_u32 v17, v17, v19, v18
	s_addc_u32 s15, s27, -1
	v_lshl_add_u64 v[16:17], v[16:17], 1, s[36:37]
	s_mov_b64 s[40:41], 0
	s_mov_b64 s[42:43], s[14:15]
	v_mov_b64_e32 v[18:19], v[14:15]
                                        ; implicit-def: $sgpr12_sgpr13
.LBB1230_91:                            ; =>This Inner Loop Header: Depth=1
	global_load_ushort v20, v[16:17], off
	global_load_ushort v21, v[18:19], off
	s_add_u32 s0, s42, -1
	s_addc_u32 s1, s43, -1
	s_cmp_eq_u64 s[42:43], 0
	s_mov_b64 s[42:43], s[0:1]
	s_cselect_b64 s[44:45], -1, 0
	v_lshl_add_u64 v[18:19], v[18:19], 0, 2
	v_lshl_add_u64 v[16:17], v[16:17], 0, 2
	s_waitcnt vmcnt(1)
	v_lshlrev_b32_e32 v20, 16, v20
	s_waitcnt vmcnt(0)
	v_lshlrev_b32_e32 v21, 16, v21
	v_cmp_neq_f32_e64 s[0:1], v21, v20
	s_or_b64 s[0:1], s[0:1], s[44:45]
	s_and_b64 s[0:1], exec, s[0:1]
	v_cmp_eq_f32_e32 vcc, v21, v20
	s_or_b64 s[40:41], s[0:1], s[40:41]
	s_andn2_b64 s[0:1], s[12:13], exec
	s_and_b64 s[12:13], vcc, exec
	s_or_b64 s[12:13], s[0:1], s[12:13]
	s_andn2_b64 exec, exec, s[40:41]
	s_cbranch_execnz .LBB1230_91
; %bb.92:
	s_or_b64 exec, exec, s[40:41]
	v_mul_lo_u32 v18, v3, s26
	v_mul_lo_u32 v19, v2, s27
	v_mad_u64_u32 v[16:17], s[0:1], v2, s26, 0
	v_add3_u32 v17, v17, v19, v18
	v_lshl_add_u64 v[16:17], v[16:17], 1, s[36:37]
	s_mov_b64 s[42:43], 0
	s_mov_b64 s[44:45], s[14:15]
	v_mov_b64_e32 v[18:19], v[16:17]
                                        ; implicit-def: $sgpr40_sgpr41
.LBB1230_93:                            ; =>This Inner Loop Header: Depth=1
	global_load_ushort v20, v[14:15], off
	global_load_ushort v21, v[18:19], off
	s_add_u32 s0, s44, -1
	s_addc_u32 s1, s45, -1
	s_cmp_eq_u64 s[44:45], 0
	s_mov_b64 s[44:45], s[0:1]
	s_cselect_b64 s[46:47], -1, 0
	v_lshl_add_u64 v[18:19], v[18:19], 0, 2
	v_lshl_add_u64 v[14:15], v[14:15], 0, 2
	s_waitcnt vmcnt(1)
	v_lshlrev_b32_e32 v20, 16, v20
	s_waitcnt vmcnt(0)
	v_lshlrev_b32_e32 v21, 16, v21
	v_cmp_neq_f32_e64 s[0:1], v21, v20
	s_or_b64 s[0:1], s[0:1], s[46:47]
	s_and_b64 s[0:1], exec, s[0:1]
	v_cmp_eq_f32_e32 vcc, v21, v20
	s_or_b64 s[42:43], s[0:1], s[42:43]
	s_andn2_b64 s[0:1], s[40:41], exec
	s_and_b64 s[40:41], vcc, exec
	s_or_b64 s[40:41], s[0:1], s[40:41]
	s_andn2_b64 exec, exec, s[42:43]
	s_cbranch_execnz .LBB1230_93
; %bb.94:
	s_or_b64 exec, exec, s[42:43]
	v_mul_lo_u32 v18, v9, s26
	v_mul_lo_u32 v19, v8, s27
	v_mad_u64_u32 v[14:15], s[0:1], v8, s26, 0
	v_add3_u32 v15, v15, v19, v18
	v_lshl_add_u64 v[14:15], v[14:15], 1, s[36:37]
	s_mov_b64 s[44:45], 0
	s_mov_b64 s[46:47], s[14:15]
	v_mov_b64_e32 v[18:19], v[14:15]
                                        ; implicit-def: $sgpr42_sgpr43
.LBB1230_95:                            ; =>This Inner Loop Header: Depth=1
	global_load_ushort v20, v[16:17], off
	global_load_ushort v21, v[18:19], off
	s_add_u32 s0, s46, -1
	s_addc_u32 s1, s47, -1
	s_cmp_eq_u64 s[46:47], 0
	s_mov_b64 s[46:47], s[0:1]
	s_cselect_b64 s[50:51], -1, 0
	v_lshl_add_u64 v[18:19], v[18:19], 0, 2
	v_lshl_add_u64 v[16:17], v[16:17], 0, 2
	s_waitcnt vmcnt(1)
	v_lshlrev_b32_e32 v20, 16, v20
	s_waitcnt vmcnt(0)
	v_lshlrev_b32_e32 v21, 16, v21
	v_cmp_neq_f32_e64 s[0:1], v21, v20
	s_or_b64 s[0:1], s[0:1], s[50:51]
	s_and_b64 s[0:1], exec, s[0:1]
	v_cmp_eq_f32_e32 vcc, v21, v20
	s_or_b64 s[44:45], s[0:1], s[44:45]
	s_andn2_b64 s[0:1], s[42:43], exec
	s_and_b64 s[42:43], vcc, exec
	s_or_b64 s[42:43], s[0:1], s[42:43]
	s_andn2_b64 exec, exec, s[44:45]
	s_cbranch_execnz .LBB1230_95
; %bb.96:
	s_or_b64 exec, exec, s[44:45]
	v_mul_lo_u32 v18, v7, s26
	v_mul_lo_u32 v19, v6, s27
	v_mad_u64_u32 v[16:17], s[0:1], v6, s26, 0
	v_add3_u32 v17, v17, v19, v18
	v_lshl_add_u64 v[16:17], v[16:17], 1, s[36:37]
	s_mov_b64 s[46:47], 0
                                        ; implicit-def: $sgpr44_sgpr45
.LBB1230_97:                            ; =>This Inner Loop Header: Depth=1
	global_load_ushort v18, v[14:15], off
	global_load_ushort v19, v[16:17], off
	s_add_u32 s0, s14, -1
	s_addc_u32 s1, s15, -1
	s_cmp_eq_u64 s[14:15], 0
	s_mov_b64 s[14:15], s[0:1]
	s_cselect_b64 s[50:51], -1, 0
	v_lshl_add_u64 v[16:17], v[16:17], 0, 2
	v_lshl_add_u64 v[14:15], v[14:15], 0, 2
	s_waitcnt vmcnt(1)
	v_lshlrev_b32_e32 v18, 16, v18
	s_waitcnt vmcnt(0)
	v_lshlrev_b32_e32 v19, 16, v19
	v_cmp_neq_f32_e64 s[0:1], v19, v18
	s_or_b64 s[0:1], s[0:1], s[50:51]
	s_and_b64 s[0:1], exec, s[0:1]
	v_cmp_eq_f32_e32 vcc, v19, v18
	s_or_b64 s[46:47], s[0:1], s[46:47]
	s_andn2_b64 s[0:1], s[44:45], exec
	s_and_b64 s[44:45], vcc, exec
	s_or_b64 s[44:45], s[0:1], s[44:45]
	s_andn2_b64 exec, exec, s[46:47]
	s_cbranch_execnz .LBB1230_97
; %bb.98:
	s_or_b64 exec, exec, s[46:47]
	s_xor_b64 s[0:1], s[12:13], -1
	v_cndmask_b32_e64 v33, 0, 1, s[0:1]
	s_xor_b64 s[0:1], s[40:41], -1
	v_cndmask_b32_e64 v14, 0, 1, s[0:1]
	v_lshlrev_b16_e32 v14, 8, v14
	v_mov_b32_e32 v15, 8
	s_xor_b64 s[12:13], s[42:43], -1
	v_lshrrev_b32_sdwa v14, v15, v14 dst_sel:BYTE_1 dst_unused:UNUSED_PAD src0_sel:DWORD src1_sel:DWORD
	v_cndmask_b32_e64 v15, 0, 1, s[12:13]
	s_xor_b64 s[0:1], s[44:45], -1
	v_or_b32_sdwa v14, v15, v14 dst_sel:WORD_1 dst_unused:UNUSED_PAD src0_sel:DWORD src1_sel:DWORD
	s_branch .LBB1230_101
.LBB1230_99:
                                        ; implicit-def: $sgpr0_sgpr1
                                        ; implicit-def: $vgpr33
                                        ; implicit-def: $vgpr17
                                        ; implicit-def: $vgpr16
                                        ; implicit-def: $vgpr35
                                        ; implicit-def: $vgpr34
                                        ; implicit-def: $vgpr14
	s_cbranch_execnz .LBB1230_108
	s_branch .LBB1230_141
.LBB1230_100:
	v_mov_b32_e32 v14, 0
	v_mov_b32_e32 v33, 0
.LBB1230_101:
	v_lshrrev_b32_e32 v34, 16, v14
	v_lshrrev_b32_e32 v14, 24, v14
	v_cndmask_b32_e64 v35, 0, 1, s[0:1]
	v_mov_b32_e32 v16, 1
	s_waitcnt lgkmcnt(0)
	s_barrier
                                        ; implicit-def: $sgpr0_sgpr1
                                        ; implicit-def: $vgpr17
	s_and_saveexec_b64 s[12:13], s[2:3]
	s_xor_b64 s[12:13], exec, s[12:13]
	s_cbranch_execz .LBB1230_107
; %bb.102:
	v_lshlrev_b16_e32 v15, 8, v14
	s_movk_i32 s0, 0xff
	v_bitop3_b16 v15, v34, v15, s0 bitop3:0xec
	v_lshlrev_b16_e32 v17, 8, v35
	v_lshlrev_b32_e32 v15, 16, v15
	v_or_b32_e32 v17, 1, v17
	v_or_b32_sdwa v15, v17, v15 dst_sel:DWORD dst_unused:UNUSED_PAD src0_sel:WORD_0 src1_sel:DWORD
	s_mov_b32 s42, 0x3020104
	s_and_b64 vcc, exec, s[4:5]
	s_mov_b64 s[0:1], 0
	s_cbranch_vccnz .LBB1230_106
; %bb.103:
	v_add_u32_e32 v17, -8, v22
	ds_read_b64 v[18:19], v17
	v_mul_lo_u32 v17, v7, s26
	v_mul_lo_u32 v23, v6, s27
	s_add_u32 s40, s26, -1
	s_addc_u32 s41, s27, -1
	s_waitcnt lgkmcnt(0)
	v_mul_lo_u32 v20, v19, s26
	v_mul_lo_u32 v21, v18, s27
	v_mad_u64_u32 v[18:19], s[0:1], v18, s26, 0
	v_add3_u32 v19, v19, v21, v20
	v_mad_u64_u32 v[20:21], s[0:1], v6, s26, 0
	v_add3_u32 v21, v21, v23, v17
	v_lshl_add_u64 v[18:19], v[18:19], 1, s[36:37]
	v_lshl_add_u64 v[20:21], v[20:21], 1, s[36:37]
	s_mov_b64 s[4:5], 0
                                        ; implicit-def: $sgpr14_sgpr15
.LBB1230_104:                           ; =>This Inner Loop Header: Depth=1
	global_load_ushort v17, v[20:21], off
	global_load_ushort v23, v[18:19], off
	s_add_u32 s0, s40, -1
	s_addc_u32 s1, s41, -1
	s_cmp_eq_u64 s[40:41], 0
	s_mov_b64 s[40:41], s[0:1]
	s_cselect_b64 s[44:45], -1, 0
	v_lshl_add_u64 v[18:19], v[18:19], 0, 2
	v_lshl_add_u64 v[20:21], v[20:21], 0, 2
	s_waitcnt vmcnt(1)
	v_lshlrev_b32_e32 v17, 16, v17
	s_waitcnt vmcnt(0)
	v_lshlrev_b32_e32 v23, 16, v23
	v_cmp_neq_f32_e64 s[0:1], v23, v17
	s_or_b64 s[0:1], s[0:1], s[44:45]
	s_and_b64 s[0:1], exec, s[0:1]
	v_cmp_eq_f32_e32 vcc, v23, v17
	s_or_b64 s[4:5], s[0:1], s[4:5]
	s_andn2_b64 s[0:1], s[14:15], exec
	s_and_b64 s[14:15], vcc, exec
	s_or_b64 s[14:15], s[0:1], s[14:15]
	s_andn2_b64 exec, exec, s[4:5]
	s_cbranch_execnz .LBB1230_104
; %bb.105:
	s_or_b64 exec, exec, s[4:5]
	s_xor_b64 s[0:1], s[14:15], -1
.LBB1230_106:
	v_perm_b32 v17, v15, v15, s42
	s_or_b64 s[10:11], s[10:11], exec
.LBB1230_107:
	s_or_b64 exec, exec, s[12:13]
	s_branch .LBB1230_141
.LBB1230_108:
	v_add_u32_e32 v14, 4, v1
	v_cmp_gt_u32_e32 vcc, s48, v14
	s_mov_b64 s[4:5], 0
	s_mov_b64 s[12:13], 0
	s_and_saveexec_b64 s[14:15], vcc
	s_cbranch_execz .LBB1230_114
; %bb.109:
	s_andn2_b64 vcc, exec, s[6:7]
	s_mov_b64 s[0:1], 0
	s_cbranch_vccnz .LBB1230_113
; %bb.110:
	v_mul_lo_u32 v16, v5, s26
	v_mul_lo_u32 v17, v4, s27
	v_mad_u64_u32 v[14:15], s[0:1], v4, s26, 0
	v_add3_u32 v15, v15, v17, v16
	v_mul_lo_u32 v18, v13, s26
	v_mul_lo_u32 v19, v12, s27
	v_mad_u64_u32 v[16:17], s[0:1], v12, s26, 0
	v_add3_u32 v17, v17, v19, v18
	s_add_u32 s42, s26, -1
	v_lshl_add_u64 v[14:15], v[14:15], 1, s[36:37]
	v_lshl_add_u64 v[16:17], v[16:17], 1, s[36:37]
	s_addc_u32 s43, s27, -1
                                        ; implicit-def: $sgpr40_sgpr41
.LBB1230_111:                           ; =>This Inner Loop Header: Depth=1
	global_load_ushort v18, v[16:17], off
	global_load_ushort v19, v[14:15], off
	s_add_u32 s0, s42, -1
	s_addc_u32 s1, s43, -1
	s_cmp_eq_u64 s[42:43], 0
	s_mov_b64 s[42:43], s[0:1]
	s_cselect_b64 s[44:45], -1, 0
	v_lshl_add_u64 v[14:15], v[14:15], 0, 2
	v_lshl_add_u64 v[16:17], v[16:17], 0, 2
	s_waitcnt vmcnt(1)
	v_lshlrev_b32_e32 v18, 16, v18
	s_waitcnt vmcnt(0)
	v_lshlrev_b32_e32 v19, 16, v19
	v_cmp_neq_f32_e64 s[0:1], v19, v18
	s_or_b64 s[0:1], s[0:1], s[44:45]
	s_and_b64 s[0:1], exec, s[0:1]
	v_cmp_eq_f32_e32 vcc, v19, v18
	s_or_b64 s[12:13], s[0:1], s[12:13]
	s_andn2_b64 s[0:1], s[40:41], exec
	s_and_b64 s[40:41], vcc, exec
	s_or_b64 s[40:41], s[0:1], s[40:41]
	s_andn2_b64 exec, exec, s[12:13]
	s_cbranch_execnz .LBB1230_111
; %bb.112:
	s_or_b64 exec, exec, s[12:13]
	s_xor_b64 s[0:1], s[40:41], -1
.LBB1230_113:
	s_and_b64 s[12:13], s[0:1], exec
.LBB1230_114:
	s_or_b64 exec, exec, s[14:15]
	v_add_u32_e32 v14, 3, v1
	v_cmp_gt_u32_e32 vcc, s48, v14
	s_and_saveexec_b64 s[14:15], vcc
	s_cbranch_execz .LBB1230_120
; %bb.115:
	s_andn2_b64 vcc, exec, s[6:7]
	s_mov_b64 s[0:1], 0
	s_cbranch_vccnz .LBB1230_119
; %bb.116:
	v_mul_lo_u32 v16, v3, s26
	v_mul_lo_u32 v17, v2, s27
	v_mad_u64_u32 v[14:15], s[0:1], v2, s26, 0
	v_add3_u32 v15, v15, v17, v16
	v_mul_lo_u32 v18, v5, s26
	v_mul_lo_u32 v19, v4, s27
	v_mad_u64_u32 v[16:17], s[0:1], v4, s26, 0
	v_add3_u32 v17, v17, v19, v18
	s_add_u32 s42, s26, -1
	v_lshl_add_u64 v[14:15], v[14:15], 1, s[36:37]
	v_lshl_add_u64 v[16:17], v[16:17], 1, s[36:37]
	s_addc_u32 s43, s27, -1
	s_mov_b64 s[4:5], 0
                                        ; implicit-def: $sgpr40_sgpr41
.LBB1230_117:                           ; =>This Inner Loop Header: Depth=1
	global_load_ushort v18, v[16:17], off
	global_load_ushort v19, v[14:15], off
	s_add_u32 s0, s42, -1
	s_addc_u32 s1, s43, -1
	s_cmp_eq_u64 s[42:43], 0
	s_mov_b64 s[42:43], s[0:1]
	s_cselect_b64 s[44:45], -1, 0
	v_lshl_add_u64 v[14:15], v[14:15], 0, 2
	v_lshl_add_u64 v[16:17], v[16:17], 0, 2
	s_waitcnt vmcnt(1)
	v_lshlrev_b32_e32 v18, 16, v18
	s_waitcnt vmcnt(0)
	v_lshlrev_b32_e32 v19, 16, v19
	v_cmp_neq_f32_e64 s[0:1], v19, v18
	s_or_b64 s[0:1], s[0:1], s[44:45]
	s_and_b64 s[0:1], exec, s[0:1]
	v_cmp_eq_f32_e32 vcc, v19, v18
	s_or_b64 s[4:5], s[0:1], s[4:5]
	s_andn2_b64 s[0:1], s[40:41], exec
	s_and_b64 s[40:41], vcc, exec
	s_or_b64 s[40:41], s[0:1], s[40:41]
	s_andn2_b64 exec, exec, s[4:5]
	s_cbranch_execnz .LBB1230_117
; %bb.118:
	s_or_b64 exec, exec, s[4:5]
	s_xor_b64 s[0:1], s[40:41], -1
.LBB1230_119:
	s_and_b64 s[4:5], s[0:1], exec
.LBB1230_120:
	s_or_b64 exec, exec, s[14:15]
	v_add_u32_e32 v14, 2, v1
	v_cmp_gt_u32_e32 vcc, s48, v14
	s_mov_b64 s[14:15], 0
	s_mov_b64 s[40:41], 0
	s_and_saveexec_b64 s[42:43], vcc
	s_cbranch_execz .LBB1230_126
; %bb.121:
	s_andn2_b64 vcc, exec, s[6:7]
	s_mov_b64 s[0:1], 0
	s_cbranch_vccnz .LBB1230_125
; %bb.122:
	v_mul_lo_u32 v16, v9, s26
	v_mul_lo_u32 v17, v8, s27
	v_mad_u64_u32 v[14:15], s[0:1], v8, s26, 0
	v_add3_u32 v15, v15, v17, v16
	v_mul_lo_u32 v18, v3, s26
	v_mul_lo_u32 v19, v2, s27
	v_mad_u64_u32 v[16:17], s[0:1], v2, s26, 0
	v_add3_u32 v17, v17, v19, v18
	s_add_u32 s46, s26, -1
	v_lshl_add_u64 v[14:15], v[14:15], 1, s[36:37]
	v_lshl_add_u64 v[16:17], v[16:17], 1, s[36:37]
	s_addc_u32 s47, s27, -1
                                        ; implicit-def: $sgpr44_sgpr45
.LBB1230_123:                           ; =>This Inner Loop Header: Depth=1
	global_load_ushort v18, v[16:17], off
	global_load_ushort v19, v[14:15], off
	s_add_u32 s0, s46, -1
	s_addc_u32 s1, s47, -1
	s_cmp_eq_u64 s[46:47], 0
	s_mov_b64 s[46:47], s[0:1]
	s_cselect_b64 s[50:51], -1, 0
	v_lshl_add_u64 v[14:15], v[14:15], 0, 2
	v_lshl_add_u64 v[16:17], v[16:17], 0, 2
	s_waitcnt vmcnt(1)
	v_lshlrev_b32_e32 v18, 16, v18
	s_waitcnt vmcnt(0)
	v_lshlrev_b32_e32 v19, 16, v19
	v_cmp_neq_f32_e64 s[0:1], v19, v18
	s_or_b64 s[0:1], s[0:1], s[50:51]
	s_and_b64 s[0:1], exec, s[0:1]
	v_cmp_eq_f32_e32 vcc, v19, v18
	s_or_b64 s[40:41], s[0:1], s[40:41]
	s_andn2_b64 s[0:1], s[44:45], exec
	s_and_b64 s[44:45], vcc, exec
	s_or_b64 s[44:45], s[0:1], s[44:45]
	s_andn2_b64 exec, exec, s[40:41]
	s_cbranch_execnz .LBB1230_123
; %bb.124:
	s_or_b64 exec, exec, s[40:41]
	s_xor_b64 s[0:1], s[44:45], -1
.LBB1230_125:
	s_and_b64 s[40:41], s[0:1], exec
.LBB1230_126:
	s_or_b64 exec, exec, s[42:43]
	v_add_u32_e32 v14, 1, v1
	v_cmp_gt_u32_e32 vcc, s48, v14
	s_and_saveexec_b64 s[42:43], vcc
	s_cbranch_execz .LBB1230_132
; %bb.127:
	s_andn2_b64 vcc, exec, s[6:7]
	s_mov_b64 s[0:1], 0
	s_cbranch_vccnz .LBB1230_131
; %bb.128:
	v_mul_lo_u32 v16, v7, s26
	v_mul_lo_u32 v17, v6, s27
	v_mad_u64_u32 v[14:15], s[0:1], v6, s26, 0
	v_add3_u32 v15, v15, v17, v16
	v_mul_lo_u32 v18, v9, s26
	v_mul_lo_u32 v19, v8, s27
	v_mad_u64_u32 v[16:17], s[0:1], v8, s26, 0
	v_add3_u32 v17, v17, v19, v18
	s_add_u32 s46, s26, -1
	v_lshl_add_u64 v[14:15], v[14:15], 1, s[36:37]
	v_lshl_add_u64 v[16:17], v[16:17], 1, s[36:37]
	s_addc_u32 s47, s27, -1
	s_mov_b64 s[14:15], 0
                                        ; implicit-def: $sgpr44_sgpr45
.LBB1230_129:                           ; =>This Inner Loop Header: Depth=1
	global_load_ushort v18, v[16:17], off
	global_load_ushort v19, v[14:15], off
	s_add_u32 s0, s46, -1
	s_addc_u32 s1, s47, -1
	s_cmp_eq_u64 s[46:47], 0
	s_mov_b64 s[46:47], s[0:1]
	s_cselect_b64 s[50:51], -1, 0
	v_lshl_add_u64 v[14:15], v[14:15], 0, 2
	v_lshl_add_u64 v[16:17], v[16:17], 0, 2
	s_waitcnt vmcnt(1)
	v_lshlrev_b32_e32 v18, 16, v18
	s_waitcnt vmcnt(0)
	v_lshlrev_b32_e32 v19, 16, v19
	v_cmp_neq_f32_e64 s[0:1], v19, v18
	s_or_b64 s[0:1], s[0:1], s[50:51]
	s_and_b64 s[0:1], exec, s[0:1]
	v_cmp_eq_f32_e32 vcc, v19, v18
	s_or_b64 s[14:15], s[0:1], s[14:15]
	s_andn2_b64 s[0:1], s[44:45], exec
	s_and_b64 s[44:45], vcc, exec
	s_or_b64 s[44:45], s[0:1], s[44:45]
	s_andn2_b64 exec, exec, s[14:15]
	s_cbranch_execnz .LBB1230_129
; %bb.130:
	s_or_b64 exec, exec, s[14:15]
	s_xor_b64 s[0:1], s[44:45], -1
.LBB1230_131:
	s_and_b64 s[14:15], s[0:1], exec
.LBB1230_132:
	s_or_b64 exec, exec, s[42:43]
	v_cndmask_b32_e64 v33, 0, 1, s[12:13]
	v_cndmask_b32_e64 v34, 0, 1, s[40:41]
	;; [unrolled: 1-line block ×4, first 2 shown]
	v_mov_b32_e32 v16, 1
	s_waitcnt lgkmcnt(0)
	s_barrier
                                        ; implicit-def: $sgpr0_sgpr1
                                        ; implicit-def: $vgpr17
	s_and_saveexec_b64 s[4:5], s[2:3]
	s_cbranch_execz .LBB1230_140
; %bb.133:
	v_lshlrev_b16_e32 v15, 8, v35
	v_lshlrev_b16_e32 v17, 8, v14
	v_or_b32_e32 v15, 1, v15
	v_or_b32_sdwa v17, v34, v17 dst_sel:WORD_1 dst_unused:UNUSED_PAD src0_sel:DWORD src1_sel:DWORD
	v_cmp_gt_u32_e32 vcc, s48, v1
	v_or_b32_sdwa v15, v15, v17 dst_sel:DWORD dst_unused:UNUSED_PAD src0_sel:WORD_0 src1_sel:DWORD
	s_mov_b32 s40, 0x3020104
	s_mov_b64 s[0:1], 0
	s_and_saveexec_b64 s[2:3], vcc
	s_cbranch_execz .LBB1230_139
; %bb.134:
	s_andn2_b64 vcc, exec, s[6:7]
	s_cbranch_vccnz .LBB1230_138
; %bb.135:
	v_add_u32_e32 v17, -8, v22
	ds_read_b64 v[18:19], v17
	v_mul_lo_u32 v17, v7, s26
	v_mul_lo_u32 v22, v6, s27
	s_add_u32 s14, s26, -1
	s_addc_u32 s15, s27, -1
	s_waitcnt lgkmcnt(0)
	v_mul_lo_u32 v20, v19, s26
	v_mul_lo_u32 v21, v18, s27
	v_mad_u64_u32 v[18:19], s[0:1], v18, s26, 0
	v_add3_u32 v19, v19, v21, v20
	v_mad_u64_u32 v[20:21], s[0:1], v6, s26, 0
	v_add3_u32 v21, v21, v22, v17
	v_lshl_add_u64 v[18:19], v[18:19], 1, s[36:37]
	v_lshl_add_u64 v[20:21], v[20:21], 1, s[36:37]
	s_mov_b64 s[6:7], 0
                                        ; implicit-def: $sgpr12_sgpr13
.LBB1230_136:                           ; =>This Inner Loop Header: Depth=1
	global_load_ushort v17, v[20:21], off
	global_load_ushort v22, v[18:19], off
	s_add_u32 s0, s14, -1
	s_addc_u32 s1, s15, -1
	s_cmp_eq_u64 s[14:15], 0
	s_mov_b64 s[14:15], s[0:1]
	s_cselect_b64 s[26:27], -1, 0
	v_lshl_add_u64 v[18:19], v[18:19], 0, 2
	v_lshl_add_u64 v[20:21], v[20:21], 0, 2
	s_waitcnt vmcnt(1)
	v_lshlrev_b32_e32 v17, 16, v17
	s_waitcnt vmcnt(0)
	v_lshlrev_b32_e32 v22, 16, v22
	v_cmp_neq_f32_e64 s[0:1], v22, v17
	s_or_b64 s[0:1], s[0:1], s[26:27]
	s_and_b64 s[0:1], exec, s[0:1]
	v_cmp_eq_f32_e32 vcc, v22, v17
	s_or_b64 s[6:7], s[0:1], s[6:7]
	s_andn2_b64 s[0:1], s[12:13], exec
	s_and_b64 s[12:13], vcc, exec
	s_or_b64 s[12:13], s[0:1], s[12:13]
	s_andn2_b64 exec, exec, s[6:7]
	s_cbranch_execnz .LBB1230_136
; %bb.137:
	s_or_b64 exec, exec, s[6:7]
	s_xor_b64 s[0:1], s[12:13], -1
.LBB1230_138:
	s_and_b64 s[0:1], s[0:1], exec
.LBB1230_139:
	s_or_b64 exec, exec, s[2:3]
	v_perm_b32 v17, v15, v15, s40
	s_or_b64 s[10:11], s[10:11], exec
.LBB1230_140:
	s_or_b64 exec, exec, s[4:5]
.LBB1230_141:
	s_and_saveexec_b64 s[2:3], s[10:11]
	s_cbranch_execz .LBB1230_143
; %bb.142:
	s_waitcnt vmcnt(0) lgkmcnt(0)
	v_lshrrev_b32_e32 v14, 24, v17
	v_lshrrev_b32_e32 v34, 16, v17
	;; [unrolled: 1-line block ×3, first 2 shown]
	v_cndmask_b32_e64 v16, 0, 1, s[0:1]
.LBB1230_143:
	s_or_b64 exec, exec, s[2:3]
	s_andn2_b64 vcc, exec, s[8:9]
	s_cbranch_vccnz .LBB1230_147
; %bb.144:
	s_mov_b32 s0, 0xc0c0004
	s_waitcnt vmcnt(0) lgkmcnt(0)
	v_perm_b32 v14, v34, v14, s0
	v_perm_b32 v15, v16, v35, s0
	v_lshlrev_b32_e32 v14, 16, v14
	v_or_b32_e32 v15, v15, v14
	v_cmp_gt_u32_e32 vcc, s48, v1
	v_add_u32_e32 v16, 1, v1
	s_mov_b32 s0, 0x40c0100
	v_cndmask_b32_e32 v14, v14, v15, vcc
	v_and_b32_e32 v14, 0xffff00ff, v14
	v_cmp_gt_u32_e32 vcc, s48, v16
	v_add_u32_e32 v16, 2, v1
	v_and_b32_e32 v33, 0xff, v33
	v_cndmask_b32_e32 v14, v14, v15, vcc
	v_lshrrev_b32_e32 v18, 24, v14
	v_perm_b32 v14, v18, v14, s0
	v_cmp_gt_u32_e32 vcc, s48, v16
	v_add_u32_e32 v16, 3, v1
	v_and_b32_e32 v17, 0xffff, v33
	v_cndmask_b32_e32 v14, v14, v15, vcc
	v_and_b32_e32 v14, 0xffffff, v14
	v_cmp_gt_u32_e32 vcc, s48, v16
	v_add_u32_e32 v1, 4, v1
	s_nop 0
	v_cndmask_b32_e32 v16, v14, v15, vcc
	v_lshrrev_b32_e32 v34, 16, v16
	v_lshrrev_b32_e32 v35, 8, v16
	v_lshrrev_b64 v[14:15], 24, v[16:17]
	v_cmp_le_u32_e32 vcc, s48, v1
	s_and_saveexec_b64 s[0:1], vcc
; %bb.145:
	v_mov_b32_e32 v33, 0
; %bb.146:
	s_or_b64 exec, exec, s[0:1]
.LBB1230_147:
	v_and_b32_e32 v1, 0xff, v16
	s_waitcnt vmcnt(0) lgkmcnt(0)
	v_and_b32_e32 v15, 0xff, v35
	v_and_b32_e32 v17, 0xff, v34
	;; [unrolled: 1-line block ×4, first 2 shown]
	v_add3_u32 v19, v15, v1, v17
	v_add3_u32 v37, v19, v29, v18
	v_mbcnt_lo_u32_b32 v18, -1, 0
	v_mbcnt_hi_u32_b32 v31, -1, v18
	v_and_b32_e32 v18, 15, v31
	v_cmp_eq_u32_e64 s[14:15], 0, v18
	v_cmp_lt_u32_e64 s[12:13], 1, v18
	v_cmp_lt_u32_e64 s[10:11], 3, v18
	;; [unrolled: 1-line block ×3, first 2 shown]
	v_and_b32_e32 v18, 16, v31
	v_cmp_eq_u32_e64 s[6:7], 0, v18
	v_or_b32_e32 v18, 63, v0
	v_cmp_lt_u32_e64 s[2:3], 31, v31
	v_lshrrev_b32_e32 v36, 6, v0
	v_cmp_eq_u32_e64 s[4:5], v0, v18
	s_and_b64 vcc, exec, s[16:17]
	s_barrier
	s_cbranch_vccz .LBB1230_169
; %bb.148:
	v_mov_b32_dpp v18, v37 row_shr:1 row_mask:0xf bank_mask:0xf
	v_cndmask_b32_e64 v18, v18, 0, s[14:15]
	v_add_u32_e32 v18, v18, v37
	s_nop 1
	v_mov_b32_dpp v19, v18 row_shr:2 row_mask:0xf bank_mask:0xf
	v_cndmask_b32_e64 v19, 0, v19, s[12:13]
	v_add_u32_e32 v18, v18, v19
	s_nop 1
	;; [unrolled: 4-line block ×4, first 2 shown]
	v_mov_b32_dpp v19, v18 row_bcast:15 row_mask:0xf bank_mask:0xf
	v_cndmask_b32_e64 v19, v19, 0, s[6:7]
	v_add_u32_e32 v18, v18, v19
	s_nop 1
	v_mov_b32_dpp v19, v18 row_bcast:31 row_mask:0xf bank_mask:0xf
	v_cndmask_b32_e64 v19, 0, v19, s[2:3]
	v_add_u32_e32 v18, v18, v19
	s_and_saveexec_b64 s[0:1], s[4:5]
; %bb.149:
	v_lshlrev_b32_e32 v19, 2, v36
	ds_write_b32 v19, v18
; %bb.150:
	s_or_b64 exec, exec, s[0:1]
	v_cmp_gt_u32_e32 vcc, 2, v0
	s_waitcnt lgkmcnt(0)
	s_barrier
	s_and_saveexec_b64 s[0:1], vcc
	s_cbranch_execz .LBB1230_152
; %bb.151:
	v_lshlrev_b32_e32 v19, 2, v0
	ds_read_b32 v20, v19
	v_bfe_i32 v21, v31, 0, 1
	s_waitcnt lgkmcnt(0)
	v_mov_b32_dpp v22, v20 row_shr:1 row_mask:0xf bank_mask:0xf
	v_and_b32_e32 v21, v21, v22
	v_add_u32_e32 v20, v21, v20
	ds_write_b32 v19, v20
.LBB1230_152:
	s_or_b64 exec, exec, s[0:1]
	v_cmp_gt_u32_e32 vcc, 64, v0
	v_cmp_lt_u32_e64 s[0:1], 63, v0
	s_waitcnt lgkmcnt(0)
	s_barrier
                                        ; implicit-def: $vgpr28
	s_and_saveexec_b64 s[16:17], s[0:1]
	s_cbranch_execz .LBB1230_154
; %bb.153:
	v_lshl_add_u32 v19, v36, 2, -4
	ds_read_b32 v28, v19
	s_waitcnt lgkmcnt(0)
	v_add_u32_e32 v18, v28, v18
.LBB1230_154:
	s_or_b64 exec, exec, s[16:17]
	v_subrev_co_u32_e64 v19, s[16:17], 1, v31
	v_and_b32_e32 v20, 64, v31
	v_cmp_lt_i32_e64 s[0:1], v19, v20
	s_nop 1
	v_cndmask_b32_e64 v19, v19, v31, s[0:1]
	v_lshlrev_b32_e32 v19, 2, v19
	ds_bpermute_b32 v30, v19, v18
	s_and_saveexec_b64 s[0:1], vcc
	s_cbranch_execz .LBB1230_174
; %bb.155:
	v_mov_b32_e32 v25, 0
	ds_read_b32 v18, v25 offset:4
	s_and_saveexec_b64 s[26:27], s[16:17]
	s_cbranch_execz .LBB1230_157
; %bb.156:
	s_add_i32 s36, s33, 64
	s_mov_b32 s37, 0
	s_lshl_b64 s[36:37], s[36:37], 3
	s_add_u32 s36, s38, s36
	v_mov_b32_e32 v19, 1
	s_addc_u32 s37, s39, s37
	s_waitcnt lgkmcnt(0)
	global_store_dwordx2 v25, v[18:19], s[36:37] sc1
.LBB1230_157:
	s_or_b64 exec, exec, s[26:27]
	v_xad_u32 v20, v31, -1, s33
	v_add_u32_e32 v24, 64, v20
	v_lshl_add_u64 v[26:27], v[24:25], 3, s[38:39]
	global_load_dwordx2 v[22:23], v[26:27], off sc1
	s_waitcnt vmcnt(0)
	v_cmp_eq_u16_sdwa s[36:37], v23, v25 src0_sel:BYTE_0 src1_sel:DWORD
	s_and_saveexec_b64 s[26:27], s[36:37]
	s_cbranch_execz .LBB1230_161
; %bb.158:
	s_mov_b64 s[36:37], 0
	v_mov_b32_e32 v19, 0
.LBB1230_159:                           ; =>This Inner Loop Header: Depth=1
	global_load_dwordx2 v[22:23], v[26:27], off sc1
	s_waitcnt vmcnt(0)
	v_cmp_ne_u16_sdwa s[40:41], v23, v19 src0_sel:BYTE_0 src1_sel:DWORD
	s_or_b64 s[36:37], s[40:41], s[36:37]
	s_andn2_b64 exec, exec, s[36:37]
	s_cbranch_execnz .LBB1230_159
; %bb.160:
	s_or_b64 exec, exec, s[36:37]
.LBB1230_161:
	s_or_b64 exec, exec, s[26:27]
	v_and_b32_e32 v39, 63, v31
	v_mov_b32_e32 v38, 2
	v_cmp_ne_u32_e32 vcc, 63, v39
	v_cmp_eq_u16_sdwa s[26:27], v23, v38 src0_sel:BYTE_0 src1_sel:DWORD
	v_lshlrev_b64 v[24:25], v31, -1
	v_addc_co_u32_e32 v26, vcc, 0, v31, vcc
	v_and_b32_e32 v19, s27, v25
	v_lshlrev_b32_e32 v40, 2, v26
	v_or_b32_e32 v19, 0x80000000, v19
	ds_bpermute_b32 v26, v40, v22
	v_and_b32_e32 v21, s26, v24
	v_ffbl_b32_e32 v19, v19
	v_add_u32_e32 v19, 32, v19
	v_ffbl_b32_e32 v21, v21
	v_min_u32_e32 v19, v21, v19
	v_cmp_lt_u32_e32 vcc, v39, v19
	v_add_u32_e32 v42, 2, v39
	v_add_u32_e32 v44, 4, v39
	s_waitcnt lgkmcnt(0)
	v_cndmask_b32_e32 v21, 0, v26, vcc
	v_cmp_gt_u32_e32 vcc, 62, v39
	v_add_u32_e32 v21, v21, v22
	v_add_u32_e32 v46, 8, v39
	v_cndmask_b32_e64 v22, 0, 2, vcc
	v_add_lshl_u32 v41, v22, v31, 2
	ds_bpermute_b32 v22, v41, v21
	v_cmp_le_u32_e32 vcc, v42, v19
	v_add_u32_e32 v48, 16, v39
	v_add_u32_e32 v50, 32, v39
	s_waitcnt lgkmcnt(0)
	v_cndmask_b32_e32 v22, 0, v22, vcc
	v_cmp_gt_u32_e32 vcc, 60, v39
	v_add_u32_e32 v21, v21, v22
	s_nop 0
	v_cndmask_b32_e64 v22, 0, 4, vcc
	v_add_lshl_u32 v43, v22, v31, 2
	ds_bpermute_b32 v22, v43, v21
	v_cmp_le_u32_e32 vcc, v44, v19
	s_waitcnt lgkmcnt(0)
	s_nop 0
	v_cndmask_b32_e32 v22, 0, v22, vcc
	v_cmp_gt_u32_e32 vcc, 56, v39
	v_add_u32_e32 v21, v21, v22
	s_nop 0
	v_cndmask_b32_e64 v22, 0, 8, vcc
	v_add_lshl_u32 v45, v22, v31, 2
	ds_bpermute_b32 v22, v45, v21
	v_cmp_le_u32_e32 vcc, v46, v19
	s_waitcnt lgkmcnt(0)
	s_nop 0
	;; [unrolled: 10-line block ×3, first 2 shown]
	v_cndmask_b32_e32 v22, 0, v22, vcc
	v_add_u32_e32 v21, v21, v22
	v_mov_b32_e32 v22, 0x80
	v_lshl_or_b32 v49, v31, 2, v22
	ds_bpermute_b32 v22, v49, v21
	v_cmp_le_u32_e32 vcc, v50, v19
	s_waitcnt lgkmcnt(0)
	s_nop 0
	v_cndmask_b32_e32 v19, 0, v22, vcc
	v_add_u32_e32 v22, v21, v19
	v_mov_b32_e32 v21, 0
	s_branch .LBB1230_164
.LBB1230_162:                           ;   in Loop: Header=BB1230_164 Depth=1
	s_or_b64 exec, exec, s[26:27]
	v_cmp_eq_u16_sdwa s[26:27], v23, v38 src0_sel:BYTE_0 src1_sel:DWORD
	ds_bpermute_b32 v51, v40, v22
	v_subrev_u32_e32 v20, 64, v20
	v_and_b32_e32 v26, s27, v25
	v_or_b32_e32 v26, 0x80000000, v26
	v_and_b32_e32 v27, s26, v24
	v_ffbl_b32_e32 v26, v26
	v_add_u32_e32 v26, 32, v26
	v_ffbl_b32_e32 v27, v27
	v_min_u32_e32 v26, v27, v26
	v_cmp_lt_u32_e32 vcc, v39, v26
	s_mov_b64 s[26:27], 0
	s_waitcnt lgkmcnt(0)
	v_cndmask_b32_e32 v27, 0, v51, vcc
	v_add_u32_e32 v22, v27, v22
	ds_bpermute_b32 v27, v41, v22
	v_cmp_le_u32_e32 vcc, v42, v26
	s_waitcnt lgkmcnt(0)
	s_nop 0
	v_cndmask_b32_e32 v27, 0, v27, vcc
	v_add_u32_e32 v22, v22, v27
	ds_bpermute_b32 v27, v43, v22
	v_cmp_le_u32_e32 vcc, v44, v26
	s_waitcnt lgkmcnt(0)
	s_nop 0
	;; [unrolled: 6-line block ×5, first 2 shown]
	v_cndmask_b32_e32 v26, 0, v27, vcc
	v_add3_u32 v22, v26, v19, v22
.LBB1230_163:                           ;   in Loop: Header=BB1230_164 Depth=1
	s_and_b64 vcc, exec, s[26:27]
	s_cbranch_vccnz .LBB1230_170
.LBB1230_164:                           ; =>This Loop Header: Depth=1
                                        ;     Child Loop BB1230_167 Depth 2
	v_cmp_ne_u16_sdwa s[26:27], v23, v38 src0_sel:BYTE_0 src1_sel:DWORD
	v_mov_b32_e32 v19, v22
	s_cmp_lg_u64 s[26:27], exec
	s_mov_b64 s[26:27], -1
                                        ; implicit-def: $vgpr22
                                        ; implicit-def: $vgpr23
	s_cbranch_scc1 .LBB1230_163
; %bb.165:                              ;   in Loop: Header=BB1230_164 Depth=1
	v_lshl_add_u64 v[26:27], v[20:21], 3, s[38:39]
	global_load_dwordx2 v[22:23], v[26:27], off sc1
	s_waitcnt vmcnt(0)
	v_cmp_eq_u16_sdwa s[36:37], v23, v21 src0_sel:BYTE_0 src1_sel:DWORD
	s_and_saveexec_b64 s[26:27], s[36:37]
	s_cbranch_execz .LBB1230_162
; %bb.166:                              ;   in Loop: Header=BB1230_164 Depth=1
	s_mov_b64 s[36:37], 0
.LBB1230_167:                           ;   Parent Loop BB1230_164 Depth=1
                                        ; =>  This Inner Loop Header: Depth=2
	global_load_dwordx2 v[22:23], v[26:27], off sc1
	s_waitcnt vmcnt(0)
	v_cmp_ne_u16_sdwa s[40:41], v23, v21 src0_sel:BYTE_0 src1_sel:DWORD
	s_or_b64 s[36:37], s[40:41], s[36:37]
	s_andn2_b64 exec, exec, s[36:37]
	s_cbranch_execnz .LBB1230_167
; %bb.168:                              ;   in Loop: Header=BB1230_164 Depth=1
	s_or_b64 exec, exec, s[36:37]
	s_branch .LBB1230_162
.LBB1230_169:
                                        ; implicit-def: $vgpr22
                                        ; implicit-def: $vgpr24
                                        ; implicit-def: $vgpr26
                                        ; implicit-def: $vgpr28
                                        ; implicit-def: $vgpr30
                                        ; implicit-def: $vgpr20
                                        ; implicit-def: $vgpr18
	s_cbranch_execnz .LBB1230_175
	s_branch .LBB1230_184
.LBB1230_170:
	s_and_saveexec_b64 s[26:27], s[16:17]
	s_cbranch_execz .LBB1230_172
; %bb.171:
	s_add_i32 s36, s33, 64
	s_mov_b32 s37, 0
	s_lshl_b64 s[36:37], s[36:37], 3
	s_add_u32 s36, s38, s36
	v_add_u32_e32 v20, v19, v18
	v_mov_b32_e32 v21, 2
	s_addc_u32 s37, s39, s37
	v_mov_b32_e32 v22, 0
	global_store_dwordx2 v22, v[20:21], s[36:37] sc1
	ds_write_b64 v22, v[18:19] offset:5120
.LBB1230_172:
	s_or_b64 exec, exec, s[26:27]
	s_and_b64 exec, exec, s[18:19]
; %bb.173:
	v_mov_b32_e32 v18, 0
	ds_write_b32 v18, v19 offset:4
.LBB1230_174:
	s_or_b64 exec, exec, s[0:1]
	v_mov_b32_e32 v18, 0
	s_waitcnt lgkmcnt(0)
	s_barrier
	ds_read_b32 v19, v18 offset:4
	v_cndmask_b32_e64 v20, v30, v28, s[16:17]
	v_cndmask_b32_e64 v20, v20, 0, s[18:19]
	s_waitcnt lgkmcnt(0)
	s_barrier
	v_add_u32_e32 v30, v19, v20
	ds_read_b64 v[18:19], v18 offset:5120
	v_add_u32_e32 v28, v30, v1
	v_add_u32_e32 v26, v28, v15
	;; [unrolled: 1-line block ×4, first 2 shown]
	s_waitcnt lgkmcnt(0)
	v_mov_b32_e32 v20, v19
	s_branch .LBB1230_184
.LBB1230_175:
	v_mov_b32_dpp v18, v37 row_shr:1 row_mask:0xf bank_mask:0xf
	v_cndmask_b32_e64 v18, v18, 0, s[14:15]
	v_add_u32_e32 v18, v18, v37
	s_nop 1
	v_mov_b32_dpp v19, v18 row_shr:2 row_mask:0xf bank_mask:0xf
	v_cndmask_b32_e64 v19, 0, v19, s[12:13]
	v_add_u32_e32 v18, v18, v19
	s_nop 1
	;; [unrolled: 4-line block ×4, first 2 shown]
	v_mov_b32_dpp v19, v18 row_bcast:15 row_mask:0xf bank_mask:0xf
	v_cndmask_b32_e64 v19, v19, 0, s[6:7]
	v_add_u32_e32 v18, v18, v19
	s_nop 1
	v_mov_b32_dpp v19, v18 row_bcast:31 row_mask:0xf bank_mask:0xf
	v_cndmask_b32_e64 v19, 0, v19, s[2:3]
	v_add_u32_e32 v18, v18, v19
	s_and_saveexec_b64 s[0:1], s[4:5]
; %bb.176:
	v_lshlrev_b32_e32 v19, 2, v36
	ds_write_b32 v19, v18
; %bb.177:
	s_or_b64 exec, exec, s[0:1]
	v_cmp_gt_u32_e32 vcc, 2, v0
	s_waitcnt lgkmcnt(0)
	s_barrier
	s_and_saveexec_b64 s[0:1], vcc
	s_cbranch_execz .LBB1230_179
; %bb.178:
	v_lshlrev_b32_e32 v19, 2, v0
	ds_read_b32 v20, v19
	v_bfe_i32 v21, v31, 0, 1
	s_waitcnt lgkmcnt(0)
	v_mov_b32_dpp v22, v20 row_shr:1 row_mask:0xf bank_mask:0xf
	v_and_b32_e32 v21, v21, v22
	v_add_u32_e32 v20, v21, v20
	ds_write_b32 v19, v20
.LBB1230_179:
	s_or_b64 exec, exec, s[0:1]
	v_cmp_lt_u32_e32 vcc, 63, v0
	v_mov_b32_e32 v19, 0
	v_mov_b32_e32 v20, 0
	s_waitcnt lgkmcnt(0)
	s_barrier
	s_and_saveexec_b64 s[0:1], vcc
; %bb.180:
	v_lshl_add_u32 v20, v36, 2, -4
	ds_read_b32 v20, v20
; %bb.181:
	s_or_b64 exec, exec, s[0:1]
	v_subrev_co_u32_e32 v21, vcc, 1, v31
	v_and_b32_e32 v22, 64, v31
	v_cmp_lt_i32_e64 s[0:1], v21, v22
	s_waitcnt lgkmcnt(0)
	v_add_u32_e32 v18, v20, v18
	v_cndmask_b32_e64 v21, v21, v31, s[0:1]
	v_lshlrev_b32_e32 v21, 2, v21
	ds_bpermute_b32 v21, v21, v18
	ds_read_b32 v18, v19 offset:4
	s_and_saveexec_b64 s[0:1], s[18:19]
	s_cbranch_execz .LBB1230_183
; %bb.182:
	v_mov_b32_e32 v22, 0
	v_mov_b32_e32 v19, 2
	s_waitcnt lgkmcnt(0)
	global_store_dwordx2 v22, v[18:19], s[38:39] offset:512 sc1
.LBB1230_183:
	s_or_b64 exec, exec, s[0:1]
	s_waitcnt lgkmcnt(1)
	v_cndmask_b32_e32 v19, v21, v20, vcc
	v_cndmask_b32_e64 v30, v19, 0, s[18:19]
	v_add_u32_e32 v28, v30, v1
	v_add_u32_e32 v26, v28, v15
	;; [unrolled: 1-line block ×4, first 2 shown]
	s_waitcnt lgkmcnt(0)
	s_barrier
	v_mov_b32_e32 v20, 0
.LBB1230_184:
	s_movk_i32 s0, 0x81
	v_cmp_gt_u32_e64 s[2:3], s0, v18
	v_add_u32_e32 v15, v20, v18
	v_and_b32_e32 v1, 1, v16
	s_mov_b64 s[6:7], -1
	s_and_b64 vcc, exec, s[2:3]
	v_cmp_lt_u32_e64 s[0:1], v30, v15
	v_cmp_eq_u32_e64 s[4:5], 1, v1
	s_cbranch_vccz .LBB1230_196
; %bb.185:
	s_or_b64 s[0:1], s[34:35], s[0:1]
	s_and_b64 s[4:5], s[0:1], s[4:5]
	s_and_saveexec_b64 s[0:1], s[4:5]
	s_cbranch_execz .LBB1230_187
; %bb.186:
	s_lshl_b64 s[4:5], s[22:23], 3
	s_add_u32 s4, s28, s4
	s_addc_u32 s5, s29, s5
	v_mov_b32_e32 v31, 0
	v_lshl_add_u64 v[16:17], v[30:31], 3, s[4:5]
	global_store_dwordx2 v[16:17], v[6:7], off
.LBB1230_187:
	s_or_b64 exec, exec, s[0:1]
	v_cmp_lt_u32_e32 vcc, v28, v15
	v_and_b32_e32 v16, 1, v35
	s_or_b64 s[0:1], s[34:35], vcc
	v_cmp_eq_u32_e32 vcc, 1, v16
	s_and_b64 s[4:5], s[0:1], vcc
	s_and_saveexec_b64 s[0:1], s[4:5]
	s_cbranch_execz .LBB1230_189
; %bb.188:
	s_lshl_b64 s[4:5], s[22:23], 3
	s_add_u32 s4, s28, s4
	s_addc_u32 s5, s29, s5
	v_mov_b32_e32 v29, 0
	v_lshl_add_u64 v[16:17], v[28:29], 3, s[4:5]
	global_store_dwordx2 v[16:17], v[8:9], off
.LBB1230_189:
	s_or_b64 exec, exec, s[0:1]
	v_cmp_lt_u32_e32 vcc, v26, v15
	v_and_b32_e32 v16, 1, v34
	s_or_b64 s[0:1], s[34:35], vcc
	v_cmp_eq_u32_e32 vcc, 1, v16
	s_and_b64 s[4:5], s[0:1], vcc
	;; [unrolled: 16-line block ×4, first 2 shown]
	s_and_saveexec_b64 s[0:1], s[4:5]
	s_cbranch_execz .LBB1230_195
; %bb.194:
	s_lshl_b64 s[4:5], s[22:23], 3
	s_add_u32 s4, s28, s4
	s_addc_u32 s5, s29, s5
	v_mov_b32_e32 v23, 0
	v_lshl_add_u64 v[16:17], v[22:23], 3, s[4:5]
	global_store_dwordx2 v[16:17], v[12:13], off
.LBB1230_195:
	s_or_b64 exec, exec, s[0:1]
	s_mov_b64 s[6:7], 0
.LBB1230_196:
	s_and_b64 vcc, exec, s[6:7]
	s_cbranch_vccz .LBB1230_210
; %bb.197:
	v_cmp_eq_u32_e32 vcc, 1, v1
	s_and_saveexec_b64 s[0:1], vcc
; %bb.198:
	v_sub_u32_e32 v16, v30, v20
	v_lshlrev_b32_e32 v16, 3, v16
	ds_write_b64 v16, v[6:7]
; %bb.199:
	s_or_b64 exec, exec, s[0:1]
	v_and_b32_e32 v6, 1, v35
	v_cmp_eq_u32_e32 vcc, 1, v6
	s_and_saveexec_b64 s[0:1], vcc
; %bb.200:
	v_sub_u32_e32 v6, v28, v20
	v_lshlrev_b32_e32 v6, 3, v6
	ds_write_b64 v6, v[8:9]
; %bb.201:
	s_or_b64 exec, exec, s[0:1]
	v_and_b32_e32 v6, 1, v34
	;; [unrolled: 9-line block ×4, first 2 shown]
	v_cmp_eq_u32_e32 vcc, 1, v2
	s_and_saveexec_b64 s[0:1], vcc
; %bb.206:
	v_sub_u32_e32 v2, v22, v20
	v_lshlrev_b32_e32 v2, 3, v2
	ds_write_b64 v2, v[12:13]
; %bb.207:
	s_or_b64 exec, exec, s[0:1]
	v_mov_b32_e32 v3, 0
	v_mov_b32_e32 v21, v3
	v_lshlrev_b64 v[4:5], 3, v[20:21]
	v_lshl_add_u64 v[4:5], s[28:29], 0, v[4:5]
	s_lshl_b64 s[0:1], s[22:23], 3
	v_lshl_add_u64 v[4:5], v[4:5], 0, s[0:1]
	v_lshlrev_b32_e32 v6, 3, v0
	s_mov_b64 s[0:1], 0
	v_mov_b32_e32 v2, v0
	s_waitcnt lgkmcnt(0)
	s_barrier
.LBB1230_208:                           ; =>This Inner Loop Header: Depth=1
	ds_read_b64 v[8:9], v6
	v_lshl_add_u64 v[12:13], v[2:3], 3, v[4:5]
	v_add_u32_e32 v2, 0x80, v2
	v_cmp_ge_u32_e32 vcc, v2, v18
	v_add_u32_e32 v6, 0x400, v6
	s_or_b64 s[0:1], vcc, s[0:1]
	s_waitcnt lgkmcnt(0)
	global_store_dwordx2 v[12:13], v[8:9], off
	s_andn2_b64 exec, exec, s[0:1]
	s_cbranch_execnz .LBB1230_208
; %bb.209:
	s_or_b64 exec, exec, s[0:1]
.LBB1230_210:
	s_mov_b64 s[0:1], -1
	s_and_b64 vcc, exec, s[2:3]
	s_barrier
	s_cbranch_vccnz .LBB1230_214
; %bb.211:
	s_and_b64 vcc, exec, s[0:1]
	s_cbranch_vccnz .LBB1230_225
.LBB1230_212:
	s_and_b64 s[0:1], s[18:19], s[24:25]
	s_and_saveexec_b64 s[2:3], s[0:1]
	s_cbranch_execnz .LBB1230_238
.LBB1230_213:
	s_endpgm
.LBB1230_214:
	v_cmp_lt_u32_e32 vcc, v30, v15
	s_or_b64 s[0:1], s[34:35], vcc
	v_cmp_eq_u32_e32 vcc, 1, v1
	s_and_b64 s[2:3], s[0:1], vcc
	s_and_saveexec_b64 s[0:1], s[2:3]
	s_cbranch_execz .LBB1230_216
; %bb.215:
	s_lshl_b64 s[2:3], s[22:23], 3
	s_add_u32 s2, s30, s2
	s_addc_u32 s3, s31, s3
	v_mov_b32_e32 v31, 0
	v_lshl_add_u64 v[2:3], v[30:31], 3, s[2:3]
	global_store_dwordx2 v[2:3], v[56:57], off
.LBB1230_216:
	s_or_b64 exec, exec, s[0:1]
	v_cmp_lt_u32_e32 vcc, v28, v15
	v_and_b32_e32 v2, 1, v35
	s_or_b64 s[0:1], s[34:35], vcc
	v_cmp_eq_u32_e32 vcc, 1, v2
	s_and_b64 s[2:3], s[0:1], vcc
	s_and_saveexec_b64 s[0:1], s[2:3]
	s_cbranch_execz .LBB1230_218
; %bb.217:
	s_lshl_b64 s[2:3], s[22:23], 3
	s_add_u32 s2, s30, s2
	s_addc_u32 s3, s31, s3
	v_mov_b32_e32 v29, 0
	v_lshl_add_u64 v[2:3], v[28:29], 3, s[2:3]
	global_store_dwordx2 v[2:3], v[58:59], off
.LBB1230_218:
	s_or_b64 exec, exec, s[0:1]
	v_cmp_lt_u32_e32 vcc, v26, v15
	v_and_b32_e32 v2, 1, v34
	;; [unrolled: 16-line block ×4, first 2 shown]
	s_or_b64 s[0:1], s[34:35], vcc
	v_cmp_eq_u32_e32 vcc, 1, v2
	s_and_b64 s[2:3], s[0:1], vcc
	s_and_saveexec_b64 s[0:1], s[2:3]
	s_cbranch_execz .LBB1230_224
; %bb.223:
	s_lshl_b64 s[2:3], s[22:23], 3
	s_add_u32 s2, s30, s2
	s_addc_u32 s3, s31, s3
	v_mov_b32_e32 v23, 0
	v_lshl_add_u64 v[2:3], v[22:23], 3, s[2:3]
	global_store_dwordx2 v[2:3], v[10:11], off
.LBB1230_224:
	s_or_b64 exec, exec, s[0:1]
	s_branch .LBB1230_212
.LBB1230_225:
	v_cmp_eq_u32_e32 vcc, 1, v1
	s_and_saveexec_b64 s[0:1], vcc
; %bb.226:
	v_sub_u32_e32 v1, v30, v20
	v_lshlrev_b32_e32 v1, 3, v1
	ds_write_b64 v1, v[56:57]
; %bb.227:
	s_or_b64 exec, exec, s[0:1]
	v_and_b32_e32 v1, 1, v35
	v_cmp_eq_u32_e32 vcc, 1, v1
	s_and_saveexec_b64 s[0:1], vcc
; %bb.228:
	v_sub_u32_e32 v1, v28, v20
	v_lshlrev_b32_e32 v1, 3, v1
	ds_write_b64 v1, v[58:59]
; %bb.229:
	s_or_b64 exec, exec, s[0:1]
	v_and_b32_e32 v1, 1, v34
	v_cmp_eq_u32_e32 vcc, 1, v1
	s_and_saveexec_b64 s[0:1], vcc
; %bb.230:
	v_sub_u32_e32 v1, v26, v20
	v_lshlrev_b32_e32 v1, 3, v1
	ds_write_b64 v1, v[52:53]
; %bb.231:
	s_or_b64 exec, exec, s[0:1]
	v_and_b32_e32 v1, 1, v14
	v_cmp_eq_u32_e32 vcc, 1, v1
	s_and_saveexec_b64 s[0:1], vcc
; %bb.232:
	v_sub_u32_e32 v1, v24, v20
	v_lshlrev_b32_e32 v1, 3, v1
	ds_write_b64 v1, v[54:55]
; %bb.233:
	s_or_b64 exec, exec, s[0:1]
	v_and_b32_e32 v1, 1, v33
	v_cmp_eq_u32_e32 vcc, 1, v1
	s_and_saveexec_b64 s[0:1], vcc
; %bb.234:
	v_sub_u32_e32 v1, v22, v20
	v_lshlrev_b32_e32 v1, 3, v1
	ds_write_b64 v1, v[10:11]
; %bb.235:
	s_or_b64 exec, exec, s[0:1]
	v_mov_b32_e32 v1, 0
	v_mov_b32_e32 v21, v1
	v_lshlrev_b64 v[2:3], 3, v[20:21]
	v_lshl_add_u64 v[2:3], s[30:31], 0, v[2:3]
	s_lshl_b64 s[0:1], s[22:23], 3
	v_lshl_add_u64 v[2:3], v[2:3], 0, s[0:1]
	s_mov_b64 s[0:1], 0
	s_waitcnt lgkmcnt(0)
	s_barrier
.LBB1230_236:                           ; =>This Inner Loop Header: Depth=1
	ds_read_b64 v[4:5], v32
	v_lshl_add_u64 v[6:7], v[0:1], 3, v[2:3]
	v_add_u32_e32 v0, 0x80, v0
	v_cmp_ge_u32_e32 vcc, v0, v18
	v_add_u32_e32 v32, 0x400, v32
	s_or_b64 s[0:1], vcc, s[0:1]
	s_waitcnt lgkmcnt(0)
	global_store_dwordx2 v[6:7], v[4:5], off
	s_andn2_b64 exec, exec, s[0:1]
	s_cbranch_execnz .LBB1230_236
; %bb.237:
	s_or_b64 exec, exec, s[0:1]
	s_and_b64 s[0:1], s[18:19], s[24:25]
	s_and_saveexec_b64 s[2:3], s[0:1]
	s_cbranch_execz .LBB1230_213
.LBB1230_238:
	v_mov_b32_e32 v19, 0
	v_lshl_add_u64 v[0:1], s[22:23], 0, v[18:19]
	v_mov_b32_e32 v21, v19
	v_lshl_add_u64 v[0:1], v[0:1], 0, v[20:21]
	global_store_dwordx2 v19, v[0:1], s[20:21]
	s_endpgm
	.section	.rodata,"a",@progbits
	.p2align	6, 0x0
	.amdhsa_kernel _ZN7rocprim17ROCPRIM_400000_NS6detail17trampoline_kernelINS0_14default_configENS1_25partition_config_selectorILNS1_17partition_subalgoE9EllbEEZZNS1_14partition_implILS5_9ELb0ES3_jPlS8_PNS0_10empty_typeENS0_5tupleIJS8_S9_EEENSB_IJS8_SA_EEENS0_18inequality_wrapperIZN2at6native12_GLOBAL__N_124unique_dim_cuda_templateIN3c108BFloat16EEESt5tupleIJNSF_6TensorESM_SM_EERKSM_lbbbEUlllE0_EEPmJS9_EEE10hipError_tPvRmT3_T4_T5_T6_T7_T9_mT8_P12ihipStream_tbDpT10_ENKUlT_T0_E_clISt17integral_constantIbLb0EES1B_IbLb1EEEEDaS17_S18_EUlS17_E_NS1_11comp_targetILNS1_3genE0ELNS1_11target_archE4294967295ELNS1_3gpuE0ELNS1_3repE0EEENS1_30default_config_static_selectorELNS0_4arch9wavefront6targetE1EEEvT1_
		.amdhsa_group_segment_fixed_size 5128
		.amdhsa_private_segment_fixed_size 0
		.amdhsa_kernarg_size 136
		.amdhsa_user_sgpr_count 2
		.amdhsa_user_sgpr_dispatch_ptr 0
		.amdhsa_user_sgpr_queue_ptr 0
		.amdhsa_user_sgpr_kernarg_segment_ptr 1
		.amdhsa_user_sgpr_dispatch_id 0
		.amdhsa_user_sgpr_kernarg_preload_length 0
		.amdhsa_user_sgpr_kernarg_preload_offset 0
		.amdhsa_user_sgpr_private_segment_size 0
		.amdhsa_uses_dynamic_stack 0
		.amdhsa_enable_private_segment 0
		.amdhsa_system_sgpr_workgroup_id_x 1
		.amdhsa_system_sgpr_workgroup_id_y 0
		.amdhsa_system_sgpr_workgroup_id_z 0
		.amdhsa_system_sgpr_workgroup_info 0
		.amdhsa_system_vgpr_workitem_id 0
		.amdhsa_next_free_vgpr 60
		.amdhsa_next_free_sgpr 52
		.amdhsa_accum_offset 60
		.amdhsa_reserve_vcc 1
		.amdhsa_float_round_mode_32 0
		.amdhsa_float_round_mode_16_64 0
		.amdhsa_float_denorm_mode_32 3
		.amdhsa_float_denorm_mode_16_64 3
		.amdhsa_dx10_clamp 1
		.amdhsa_ieee_mode 1
		.amdhsa_fp16_overflow 0
		.amdhsa_tg_split 0
		.amdhsa_exception_fp_ieee_invalid_op 0
		.amdhsa_exception_fp_denorm_src 0
		.amdhsa_exception_fp_ieee_div_zero 0
		.amdhsa_exception_fp_ieee_overflow 0
		.amdhsa_exception_fp_ieee_underflow 0
		.amdhsa_exception_fp_ieee_inexact 0
		.amdhsa_exception_int_div_zero 0
	.end_amdhsa_kernel
	.section	.text._ZN7rocprim17ROCPRIM_400000_NS6detail17trampoline_kernelINS0_14default_configENS1_25partition_config_selectorILNS1_17partition_subalgoE9EllbEEZZNS1_14partition_implILS5_9ELb0ES3_jPlS8_PNS0_10empty_typeENS0_5tupleIJS8_S9_EEENSB_IJS8_SA_EEENS0_18inequality_wrapperIZN2at6native12_GLOBAL__N_124unique_dim_cuda_templateIN3c108BFloat16EEESt5tupleIJNSF_6TensorESM_SM_EERKSM_lbbbEUlllE0_EEPmJS9_EEE10hipError_tPvRmT3_T4_T5_T6_T7_T9_mT8_P12ihipStream_tbDpT10_ENKUlT_T0_E_clISt17integral_constantIbLb0EES1B_IbLb1EEEEDaS17_S18_EUlS17_E_NS1_11comp_targetILNS1_3genE0ELNS1_11target_archE4294967295ELNS1_3gpuE0ELNS1_3repE0EEENS1_30default_config_static_selectorELNS0_4arch9wavefront6targetE1EEEvT1_,"axG",@progbits,_ZN7rocprim17ROCPRIM_400000_NS6detail17trampoline_kernelINS0_14default_configENS1_25partition_config_selectorILNS1_17partition_subalgoE9EllbEEZZNS1_14partition_implILS5_9ELb0ES3_jPlS8_PNS0_10empty_typeENS0_5tupleIJS8_S9_EEENSB_IJS8_SA_EEENS0_18inequality_wrapperIZN2at6native12_GLOBAL__N_124unique_dim_cuda_templateIN3c108BFloat16EEESt5tupleIJNSF_6TensorESM_SM_EERKSM_lbbbEUlllE0_EEPmJS9_EEE10hipError_tPvRmT3_T4_T5_T6_T7_T9_mT8_P12ihipStream_tbDpT10_ENKUlT_T0_E_clISt17integral_constantIbLb0EES1B_IbLb1EEEEDaS17_S18_EUlS17_E_NS1_11comp_targetILNS1_3genE0ELNS1_11target_archE4294967295ELNS1_3gpuE0ELNS1_3repE0EEENS1_30default_config_static_selectorELNS0_4arch9wavefront6targetE1EEEvT1_,comdat
.Lfunc_end1230:
	.size	_ZN7rocprim17ROCPRIM_400000_NS6detail17trampoline_kernelINS0_14default_configENS1_25partition_config_selectorILNS1_17partition_subalgoE9EllbEEZZNS1_14partition_implILS5_9ELb0ES3_jPlS8_PNS0_10empty_typeENS0_5tupleIJS8_S9_EEENSB_IJS8_SA_EEENS0_18inequality_wrapperIZN2at6native12_GLOBAL__N_124unique_dim_cuda_templateIN3c108BFloat16EEESt5tupleIJNSF_6TensorESM_SM_EERKSM_lbbbEUlllE0_EEPmJS9_EEE10hipError_tPvRmT3_T4_T5_T6_T7_T9_mT8_P12ihipStream_tbDpT10_ENKUlT_T0_E_clISt17integral_constantIbLb0EES1B_IbLb1EEEEDaS17_S18_EUlS17_E_NS1_11comp_targetILNS1_3genE0ELNS1_11target_archE4294967295ELNS1_3gpuE0ELNS1_3repE0EEENS1_30default_config_static_selectorELNS0_4arch9wavefront6targetE1EEEvT1_, .Lfunc_end1230-_ZN7rocprim17ROCPRIM_400000_NS6detail17trampoline_kernelINS0_14default_configENS1_25partition_config_selectorILNS1_17partition_subalgoE9EllbEEZZNS1_14partition_implILS5_9ELb0ES3_jPlS8_PNS0_10empty_typeENS0_5tupleIJS8_S9_EEENSB_IJS8_SA_EEENS0_18inequality_wrapperIZN2at6native12_GLOBAL__N_124unique_dim_cuda_templateIN3c108BFloat16EEESt5tupleIJNSF_6TensorESM_SM_EERKSM_lbbbEUlllE0_EEPmJS9_EEE10hipError_tPvRmT3_T4_T5_T6_T7_T9_mT8_P12ihipStream_tbDpT10_ENKUlT_T0_E_clISt17integral_constantIbLb0EES1B_IbLb1EEEEDaS17_S18_EUlS17_E_NS1_11comp_targetILNS1_3genE0ELNS1_11target_archE4294967295ELNS1_3gpuE0ELNS1_3repE0EEENS1_30default_config_static_selectorELNS0_4arch9wavefront6targetE1EEEvT1_
                                        ; -- End function
	.set _ZN7rocprim17ROCPRIM_400000_NS6detail17trampoline_kernelINS0_14default_configENS1_25partition_config_selectorILNS1_17partition_subalgoE9EllbEEZZNS1_14partition_implILS5_9ELb0ES3_jPlS8_PNS0_10empty_typeENS0_5tupleIJS8_S9_EEENSB_IJS8_SA_EEENS0_18inequality_wrapperIZN2at6native12_GLOBAL__N_124unique_dim_cuda_templateIN3c108BFloat16EEESt5tupleIJNSF_6TensorESM_SM_EERKSM_lbbbEUlllE0_EEPmJS9_EEE10hipError_tPvRmT3_T4_T5_T6_T7_T9_mT8_P12ihipStream_tbDpT10_ENKUlT_T0_E_clISt17integral_constantIbLb0EES1B_IbLb1EEEEDaS17_S18_EUlS17_E_NS1_11comp_targetILNS1_3genE0ELNS1_11target_archE4294967295ELNS1_3gpuE0ELNS1_3repE0EEENS1_30default_config_static_selectorELNS0_4arch9wavefront6targetE1EEEvT1_.num_vgpr, 60
	.set _ZN7rocprim17ROCPRIM_400000_NS6detail17trampoline_kernelINS0_14default_configENS1_25partition_config_selectorILNS1_17partition_subalgoE9EllbEEZZNS1_14partition_implILS5_9ELb0ES3_jPlS8_PNS0_10empty_typeENS0_5tupleIJS8_S9_EEENSB_IJS8_SA_EEENS0_18inequality_wrapperIZN2at6native12_GLOBAL__N_124unique_dim_cuda_templateIN3c108BFloat16EEESt5tupleIJNSF_6TensorESM_SM_EERKSM_lbbbEUlllE0_EEPmJS9_EEE10hipError_tPvRmT3_T4_T5_T6_T7_T9_mT8_P12ihipStream_tbDpT10_ENKUlT_T0_E_clISt17integral_constantIbLb0EES1B_IbLb1EEEEDaS17_S18_EUlS17_E_NS1_11comp_targetILNS1_3genE0ELNS1_11target_archE4294967295ELNS1_3gpuE0ELNS1_3repE0EEENS1_30default_config_static_selectorELNS0_4arch9wavefront6targetE1EEEvT1_.num_agpr, 0
	.set _ZN7rocprim17ROCPRIM_400000_NS6detail17trampoline_kernelINS0_14default_configENS1_25partition_config_selectorILNS1_17partition_subalgoE9EllbEEZZNS1_14partition_implILS5_9ELb0ES3_jPlS8_PNS0_10empty_typeENS0_5tupleIJS8_S9_EEENSB_IJS8_SA_EEENS0_18inequality_wrapperIZN2at6native12_GLOBAL__N_124unique_dim_cuda_templateIN3c108BFloat16EEESt5tupleIJNSF_6TensorESM_SM_EERKSM_lbbbEUlllE0_EEPmJS9_EEE10hipError_tPvRmT3_T4_T5_T6_T7_T9_mT8_P12ihipStream_tbDpT10_ENKUlT_T0_E_clISt17integral_constantIbLb0EES1B_IbLb1EEEEDaS17_S18_EUlS17_E_NS1_11comp_targetILNS1_3genE0ELNS1_11target_archE4294967295ELNS1_3gpuE0ELNS1_3repE0EEENS1_30default_config_static_selectorELNS0_4arch9wavefront6targetE1EEEvT1_.numbered_sgpr, 52
	.set _ZN7rocprim17ROCPRIM_400000_NS6detail17trampoline_kernelINS0_14default_configENS1_25partition_config_selectorILNS1_17partition_subalgoE9EllbEEZZNS1_14partition_implILS5_9ELb0ES3_jPlS8_PNS0_10empty_typeENS0_5tupleIJS8_S9_EEENSB_IJS8_SA_EEENS0_18inequality_wrapperIZN2at6native12_GLOBAL__N_124unique_dim_cuda_templateIN3c108BFloat16EEESt5tupleIJNSF_6TensorESM_SM_EERKSM_lbbbEUlllE0_EEPmJS9_EEE10hipError_tPvRmT3_T4_T5_T6_T7_T9_mT8_P12ihipStream_tbDpT10_ENKUlT_T0_E_clISt17integral_constantIbLb0EES1B_IbLb1EEEEDaS17_S18_EUlS17_E_NS1_11comp_targetILNS1_3genE0ELNS1_11target_archE4294967295ELNS1_3gpuE0ELNS1_3repE0EEENS1_30default_config_static_selectorELNS0_4arch9wavefront6targetE1EEEvT1_.num_named_barrier, 0
	.set _ZN7rocprim17ROCPRIM_400000_NS6detail17trampoline_kernelINS0_14default_configENS1_25partition_config_selectorILNS1_17partition_subalgoE9EllbEEZZNS1_14partition_implILS5_9ELb0ES3_jPlS8_PNS0_10empty_typeENS0_5tupleIJS8_S9_EEENSB_IJS8_SA_EEENS0_18inequality_wrapperIZN2at6native12_GLOBAL__N_124unique_dim_cuda_templateIN3c108BFloat16EEESt5tupleIJNSF_6TensorESM_SM_EERKSM_lbbbEUlllE0_EEPmJS9_EEE10hipError_tPvRmT3_T4_T5_T6_T7_T9_mT8_P12ihipStream_tbDpT10_ENKUlT_T0_E_clISt17integral_constantIbLb0EES1B_IbLb1EEEEDaS17_S18_EUlS17_E_NS1_11comp_targetILNS1_3genE0ELNS1_11target_archE4294967295ELNS1_3gpuE0ELNS1_3repE0EEENS1_30default_config_static_selectorELNS0_4arch9wavefront6targetE1EEEvT1_.private_seg_size, 0
	.set _ZN7rocprim17ROCPRIM_400000_NS6detail17trampoline_kernelINS0_14default_configENS1_25partition_config_selectorILNS1_17partition_subalgoE9EllbEEZZNS1_14partition_implILS5_9ELb0ES3_jPlS8_PNS0_10empty_typeENS0_5tupleIJS8_S9_EEENSB_IJS8_SA_EEENS0_18inequality_wrapperIZN2at6native12_GLOBAL__N_124unique_dim_cuda_templateIN3c108BFloat16EEESt5tupleIJNSF_6TensorESM_SM_EERKSM_lbbbEUlllE0_EEPmJS9_EEE10hipError_tPvRmT3_T4_T5_T6_T7_T9_mT8_P12ihipStream_tbDpT10_ENKUlT_T0_E_clISt17integral_constantIbLb0EES1B_IbLb1EEEEDaS17_S18_EUlS17_E_NS1_11comp_targetILNS1_3genE0ELNS1_11target_archE4294967295ELNS1_3gpuE0ELNS1_3repE0EEENS1_30default_config_static_selectorELNS0_4arch9wavefront6targetE1EEEvT1_.uses_vcc, 1
	.set _ZN7rocprim17ROCPRIM_400000_NS6detail17trampoline_kernelINS0_14default_configENS1_25partition_config_selectorILNS1_17partition_subalgoE9EllbEEZZNS1_14partition_implILS5_9ELb0ES3_jPlS8_PNS0_10empty_typeENS0_5tupleIJS8_S9_EEENSB_IJS8_SA_EEENS0_18inequality_wrapperIZN2at6native12_GLOBAL__N_124unique_dim_cuda_templateIN3c108BFloat16EEESt5tupleIJNSF_6TensorESM_SM_EERKSM_lbbbEUlllE0_EEPmJS9_EEE10hipError_tPvRmT3_T4_T5_T6_T7_T9_mT8_P12ihipStream_tbDpT10_ENKUlT_T0_E_clISt17integral_constantIbLb0EES1B_IbLb1EEEEDaS17_S18_EUlS17_E_NS1_11comp_targetILNS1_3genE0ELNS1_11target_archE4294967295ELNS1_3gpuE0ELNS1_3repE0EEENS1_30default_config_static_selectorELNS0_4arch9wavefront6targetE1EEEvT1_.uses_flat_scratch, 0
	.set _ZN7rocprim17ROCPRIM_400000_NS6detail17trampoline_kernelINS0_14default_configENS1_25partition_config_selectorILNS1_17partition_subalgoE9EllbEEZZNS1_14partition_implILS5_9ELb0ES3_jPlS8_PNS0_10empty_typeENS0_5tupleIJS8_S9_EEENSB_IJS8_SA_EEENS0_18inequality_wrapperIZN2at6native12_GLOBAL__N_124unique_dim_cuda_templateIN3c108BFloat16EEESt5tupleIJNSF_6TensorESM_SM_EERKSM_lbbbEUlllE0_EEPmJS9_EEE10hipError_tPvRmT3_T4_T5_T6_T7_T9_mT8_P12ihipStream_tbDpT10_ENKUlT_T0_E_clISt17integral_constantIbLb0EES1B_IbLb1EEEEDaS17_S18_EUlS17_E_NS1_11comp_targetILNS1_3genE0ELNS1_11target_archE4294967295ELNS1_3gpuE0ELNS1_3repE0EEENS1_30default_config_static_selectorELNS0_4arch9wavefront6targetE1EEEvT1_.has_dyn_sized_stack, 0
	.set _ZN7rocprim17ROCPRIM_400000_NS6detail17trampoline_kernelINS0_14default_configENS1_25partition_config_selectorILNS1_17partition_subalgoE9EllbEEZZNS1_14partition_implILS5_9ELb0ES3_jPlS8_PNS0_10empty_typeENS0_5tupleIJS8_S9_EEENSB_IJS8_SA_EEENS0_18inequality_wrapperIZN2at6native12_GLOBAL__N_124unique_dim_cuda_templateIN3c108BFloat16EEESt5tupleIJNSF_6TensorESM_SM_EERKSM_lbbbEUlllE0_EEPmJS9_EEE10hipError_tPvRmT3_T4_T5_T6_T7_T9_mT8_P12ihipStream_tbDpT10_ENKUlT_T0_E_clISt17integral_constantIbLb0EES1B_IbLb1EEEEDaS17_S18_EUlS17_E_NS1_11comp_targetILNS1_3genE0ELNS1_11target_archE4294967295ELNS1_3gpuE0ELNS1_3repE0EEENS1_30default_config_static_selectorELNS0_4arch9wavefront6targetE1EEEvT1_.has_recursion, 0
	.set _ZN7rocprim17ROCPRIM_400000_NS6detail17trampoline_kernelINS0_14default_configENS1_25partition_config_selectorILNS1_17partition_subalgoE9EllbEEZZNS1_14partition_implILS5_9ELb0ES3_jPlS8_PNS0_10empty_typeENS0_5tupleIJS8_S9_EEENSB_IJS8_SA_EEENS0_18inequality_wrapperIZN2at6native12_GLOBAL__N_124unique_dim_cuda_templateIN3c108BFloat16EEESt5tupleIJNSF_6TensorESM_SM_EERKSM_lbbbEUlllE0_EEPmJS9_EEE10hipError_tPvRmT3_T4_T5_T6_T7_T9_mT8_P12ihipStream_tbDpT10_ENKUlT_T0_E_clISt17integral_constantIbLb0EES1B_IbLb1EEEEDaS17_S18_EUlS17_E_NS1_11comp_targetILNS1_3genE0ELNS1_11target_archE4294967295ELNS1_3gpuE0ELNS1_3repE0EEENS1_30default_config_static_selectorELNS0_4arch9wavefront6targetE1EEEvT1_.has_indirect_call, 0
	.section	.AMDGPU.csdata,"",@progbits
; Kernel info:
; codeLenInByte = 9836
; TotalNumSgprs: 58
; NumVgprs: 60
; NumAgprs: 0
; TotalNumVgprs: 60
; ScratchSize: 0
; MemoryBound: 0
; FloatMode: 240
; IeeeMode: 1
; LDSByteSize: 5128 bytes/workgroup (compile time only)
; SGPRBlocks: 7
; VGPRBlocks: 7
; NumSGPRsForWavesPerEU: 58
; NumVGPRsForWavesPerEU: 60
; AccumOffset: 60
; Occupancy: 8
; WaveLimiterHint : 1
; COMPUTE_PGM_RSRC2:SCRATCH_EN: 0
; COMPUTE_PGM_RSRC2:USER_SGPR: 2
; COMPUTE_PGM_RSRC2:TRAP_HANDLER: 0
; COMPUTE_PGM_RSRC2:TGID_X_EN: 1
; COMPUTE_PGM_RSRC2:TGID_Y_EN: 0
; COMPUTE_PGM_RSRC2:TGID_Z_EN: 0
; COMPUTE_PGM_RSRC2:TIDIG_COMP_CNT: 0
; COMPUTE_PGM_RSRC3_GFX90A:ACCUM_OFFSET: 14
; COMPUTE_PGM_RSRC3_GFX90A:TG_SPLIT: 0
	.section	.text._ZN7rocprim17ROCPRIM_400000_NS6detail17trampoline_kernelINS0_14default_configENS1_25partition_config_selectorILNS1_17partition_subalgoE9EllbEEZZNS1_14partition_implILS5_9ELb0ES3_jPlS8_PNS0_10empty_typeENS0_5tupleIJS8_S9_EEENSB_IJS8_SA_EEENS0_18inequality_wrapperIZN2at6native12_GLOBAL__N_124unique_dim_cuda_templateIN3c108BFloat16EEESt5tupleIJNSF_6TensorESM_SM_EERKSM_lbbbEUlllE0_EEPmJS9_EEE10hipError_tPvRmT3_T4_T5_T6_T7_T9_mT8_P12ihipStream_tbDpT10_ENKUlT_T0_E_clISt17integral_constantIbLb0EES1B_IbLb1EEEEDaS17_S18_EUlS17_E_NS1_11comp_targetILNS1_3genE5ELNS1_11target_archE942ELNS1_3gpuE9ELNS1_3repE0EEENS1_30default_config_static_selectorELNS0_4arch9wavefront6targetE1EEEvT1_,"axG",@progbits,_ZN7rocprim17ROCPRIM_400000_NS6detail17trampoline_kernelINS0_14default_configENS1_25partition_config_selectorILNS1_17partition_subalgoE9EllbEEZZNS1_14partition_implILS5_9ELb0ES3_jPlS8_PNS0_10empty_typeENS0_5tupleIJS8_S9_EEENSB_IJS8_SA_EEENS0_18inequality_wrapperIZN2at6native12_GLOBAL__N_124unique_dim_cuda_templateIN3c108BFloat16EEESt5tupleIJNSF_6TensorESM_SM_EERKSM_lbbbEUlllE0_EEPmJS9_EEE10hipError_tPvRmT3_T4_T5_T6_T7_T9_mT8_P12ihipStream_tbDpT10_ENKUlT_T0_E_clISt17integral_constantIbLb0EES1B_IbLb1EEEEDaS17_S18_EUlS17_E_NS1_11comp_targetILNS1_3genE5ELNS1_11target_archE942ELNS1_3gpuE9ELNS1_3repE0EEENS1_30default_config_static_selectorELNS0_4arch9wavefront6targetE1EEEvT1_,comdat
	.globl	_ZN7rocprim17ROCPRIM_400000_NS6detail17trampoline_kernelINS0_14default_configENS1_25partition_config_selectorILNS1_17partition_subalgoE9EllbEEZZNS1_14partition_implILS5_9ELb0ES3_jPlS8_PNS0_10empty_typeENS0_5tupleIJS8_S9_EEENSB_IJS8_SA_EEENS0_18inequality_wrapperIZN2at6native12_GLOBAL__N_124unique_dim_cuda_templateIN3c108BFloat16EEESt5tupleIJNSF_6TensorESM_SM_EERKSM_lbbbEUlllE0_EEPmJS9_EEE10hipError_tPvRmT3_T4_T5_T6_T7_T9_mT8_P12ihipStream_tbDpT10_ENKUlT_T0_E_clISt17integral_constantIbLb0EES1B_IbLb1EEEEDaS17_S18_EUlS17_E_NS1_11comp_targetILNS1_3genE5ELNS1_11target_archE942ELNS1_3gpuE9ELNS1_3repE0EEENS1_30default_config_static_selectorELNS0_4arch9wavefront6targetE1EEEvT1_ ; -- Begin function _ZN7rocprim17ROCPRIM_400000_NS6detail17trampoline_kernelINS0_14default_configENS1_25partition_config_selectorILNS1_17partition_subalgoE9EllbEEZZNS1_14partition_implILS5_9ELb0ES3_jPlS8_PNS0_10empty_typeENS0_5tupleIJS8_S9_EEENSB_IJS8_SA_EEENS0_18inequality_wrapperIZN2at6native12_GLOBAL__N_124unique_dim_cuda_templateIN3c108BFloat16EEESt5tupleIJNSF_6TensorESM_SM_EERKSM_lbbbEUlllE0_EEPmJS9_EEE10hipError_tPvRmT3_T4_T5_T6_T7_T9_mT8_P12ihipStream_tbDpT10_ENKUlT_T0_E_clISt17integral_constantIbLb0EES1B_IbLb1EEEEDaS17_S18_EUlS17_E_NS1_11comp_targetILNS1_3genE5ELNS1_11target_archE942ELNS1_3gpuE9ELNS1_3repE0EEENS1_30default_config_static_selectorELNS0_4arch9wavefront6targetE1EEEvT1_
	.p2align	8
	.type	_ZN7rocprim17ROCPRIM_400000_NS6detail17trampoline_kernelINS0_14default_configENS1_25partition_config_selectorILNS1_17partition_subalgoE9EllbEEZZNS1_14partition_implILS5_9ELb0ES3_jPlS8_PNS0_10empty_typeENS0_5tupleIJS8_S9_EEENSB_IJS8_SA_EEENS0_18inequality_wrapperIZN2at6native12_GLOBAL__N_124unique_dim_cuda_templateIN3c108BFloat16EEESt5tupleIJNSF_6TensorESM_SM_EERKSM_lbbbEUlllE0_EEPmJS9_EEE10hipError_tPvRmT3_T4_T5_T6_T7_T9_mT8_P12ihipStream_tbDpT10_ENKUlT_T0_E_clISt17integral_constantIbLb0EES1B_IbLb1EEEEDaS17_S18_EUlS17_E_NS1_11comp_targetILNS1_3genE5ELNS1_11target_archE942ELNS1_3gpuE9ELNS1_3repE0EEENS1_30default_config_static_selectorELNS0_4arch9wavefront6targetE1EEEvT1_,@function
_ZN7rocprim17ROCPRIM_400000_NS6detail17trampoline_kernelINS0_14default_configENS1_25partition_config_selectorILNS1_17partition_subalgoE9EllbEEZZNS1_14partition_implILS5_9ELb0ES3_jPlS8_PNS0_10empty_typeENS0_5tupleIJS8_S9_EEENSB_IJS8_SA_EEENS0_18inequality_wrapperIZN2at6native12_GLOBAL__N_124unique_dim_cuda_templateIN3c108BFloat16EEESt5tupleIJNSF_6TensorESM_SM_EERKSM_lbbbEUlllE0_EEPmJS9_EEE10hipError_tPvRmT3_T4_T5_T6_T7_T9_mT8_P12ihipStream_tbDpT10_ENKUlT_T0_E_clISt17integral_constantIbLb0EES1B_IbLb1EEEEDaS17_S18_EUlS17_E_NS1_11comp_targetILNS1_3genE5ELNS1_11target_archE942ELNS1_3gpuE9ELNS1_3repE0EEENS1_30default_config_static_selectorELNS0_4arch9wavefront6targetE1EEEvT1_: ; @_ZN7rocprim17ROCPRIM_400000_NS6detail17trampoline_kernelINS0_14default_configENS1_25partition_config_selectorILNS1_17partition_subalgoE9EllbEEZZNS1_14partition_implILS5_9ELb0ES3_jPlS8_PNS0_10empty_typeENS0_5tupleIJS8_S9_EEENSB_IJS8_SA_EEENS0_18inequality_wrapperIZN2at6native12_GLOBAL__N_124unique_dim_cuda_templateIN3c108BFloat16EEESt5tupleIJNSF_6TensorESM_SM_EERKSM_lbbbEUlllE0_EEPmJS9_EEE10hipError_tPvRmT3_T4_T5_T6_T7_T9_mT8_P12ihipStream_tbDpT10_ENKUlT_T0_E_clISt17integral_constantIbLb0EES1B_IbLb1EEEEDaS17_S18_EUlS17_E_NS1_11comp_targetILNS1_3genE5ELNS1_11target_archE942ELNS1_3gpuE9ELNS1_3repE0EEENS1_30default_config_static_selectorELNS0_4arch9wavefront6targetE1EEEvT1_
; %bb.0:
	.section	.rodata,"a",@progbits
	.p2align	6, 0x0
	.amdhsa_kernel _ZN7rocprim17ROCPRIM_400000_NS6detail17trampoline_kernelINS0_14default_configENS1_25partition_config_selectorILNS1_17partition_subalgoE9EllbEEZZNS1_14partition_implILS5_9ELb0ES3_jPlS8_PNS0_10empty_typeENS0_5tupleIJS8_S9_EEENSB_IJS8_SA_EEENS0_18inequality_wrapperIZN2at6native12_GLOBAL__N_124unique_dim_cuda_templateIN3c108BFloat16EEESt5tupleIJNSF_6TensorESM_SM_EERKSM_lbbbEUlllE0_EEPmJS9_EEE10hipError_tPvRmT3_T4_T5_T6_T7_T9_mT8_P12ihipStream_tbDpT10_ENKUlT_T0_E_clISt17integral_constantIbLb0EES1B_IbLb1EEEEDaS17_S18_EUlS17_E_NS1_11comp_targetILNS1_3genE5ELNS1_11target_archE942ELNS1_3gpuE9ELNS1_3repE0EEENS1_30default_config_static_selectorELNS0_4arch9wavefront6targetE1EEEvT1_
		.amdhsa_group_segment_fixed_size 0
		.amdhsa_private_segment_fixed_size 0
		.amdhsa_kernarg_size 136
		.amdhsa_user_sgpr_count 2
		.amdhsa_user_sgpr_dispatch_ptr 0
		.amdhsa_user_sgpr_queue_ptr 0
		.amdhsa_user_sgpr_kernarg_segment_ptr 1
		.amdhsa_user_sgpr_dispatch_id 0
		.amdhsa_user_sgpr_kernarg_preload_length 0
		.amdhsa_user_sgpr_kernarg_preload_offset 0
		.amdhsa_user_sgpr_private_segment_size 0
		.amdhsa_uses_dynamic_stack 0
		.amdhsa_enable_private_segment 0
		.amdhsa_system_sgpr_workgroup_id_x 1
		.amdhsa_system_sgpr_workgroup_id_y 0
		.amdhsa_system_sgpr_workgroup_id_z 0
		.amdhsa_system_sgpr_workgroup_info 0
		.amdhsa_system_vgpr_workitem_id 0
		.amdhsa_next_free_vgpr 1
		.amdhsa_next_free_sgpr 0
		.amdhsa_accum_offset 4
		.amdhsa_reserve_vcc 0
		.amdhsa_float_round_mode_32 0
		.amdhsa_float_round_mode_16_64 0
		.amdhsa_float_denorm_mode_32 3
		.amdhsa_float_denorm_mode_16_64 3
		.amdhsa_dx10_clamp 1
		.amdhsa_ieee_mode 1
		.amdhsa_fp16_overflow 0
		.amdhsa_tg_split 0
		.amdhsa_exception_fp_ieee_invalid_op 0
		.amdhsa_exception_fp_denorm_src 0
		.amdhsa_exception_fp_ieee_div_zero 0
		.amdhsa_exception_fp_ieee_overflow 0
		.amdhsa_exception_fp_ieee_underflow 0
		.amdhsa_exception_fp_ieee_inexact 0
		.amdhsa_exception_int_div_zero 0
	.end_amdhsa_kernel
	.section	.text._ZN7rocprim17ROCPRIM_400000_NS6detail17trampoline_kernelINS0_14default_configENS1_25partition_config_selectorILNS1_17partition_subalgoE9EllbEEZZNS1_14partition_implILS5_9ELb0ES3_jPlS8_PNS0_10empty_typeENS0_5tupleIJS8_S9_EEENSB_IJS8_SA_EEENS0_18inequality_wrapperIZN2at6native12_GLOBAL__N_124unique_dim_cuda_templateIN3c108BFloat16EEESt5tupleIJNSF_6TensorESM_SM_EERKSM_lbbbEUlllE0_EEPmJS9_EEE10hipError_tPvRmT3_T4_T5_T6_T7_T9_mT8_P12ihipStream_tbDpT10_ENKUlT_T0_E_clISt17integral_constantIbLb0EES1B_IbLb1EEEEDaS17_S18_EUlS17_E_NS1_11comp_targetILNS1_3genE5ELNS1_11target_archE942ELNS1_3gpuE9ELNS1_3repE0EEENS1_30default_config_static_selectorELNS0_4arch9wavefront6targetE1EEEvT1_,"axG",@progbits,_ZN7rocprim17ROCPRIM_400000_NS6detail17trampoline_kernelINS0_14default_configENS1_25partition_config_selectorILNS1_17partition_subalgoE9EllbEEZZNS1_14partition_implILS5_9ELb0ES3_jPlS8_PNS0_10empty_typeENS0_5tupleIJS8_S9_EEENSB_IJS8_SA_EEENS0_18inequality_wrapperIZN2at6native12_GLOBAL__N_124unique_dim_cuda_templateIN3c108BFloat16EEESt5tupleIJNSF_6TensorESM_SM_EERKSM_lbbbEUlllE0_EEPmJS9_EEE10hipError_tPvRmT3_T4_T5_T6_T7_T9_mT8_P12ihipStream_tbDpT10_ENKUlT_T0_E_clISt17integral_constantIbLb0EES1B_IbLb1EEEEDaS17_S18_EUlS17_E_NS1_11comp_targetILNS1_3genE5ELNS1_11target_archE942ELNS1_3gpuE9ELNS1_3repE0EEENS1_30default_config_static_selectorELNS0_4arch9wavefront6targetE1EEEvT1_,comdat
.Lfunc_end1231:
	.size	_ZN7rocprim17ROCPRIM_400000_NS6detail17trampoline_kernelINS0_14default_configENS1_25partition_config_selectorILNS1_17partition_subalgoE9EllbEEZZNS1_14partition_implILS5_9ELb0ES3_jPlS8_PNS0_10empty_typeENS0_5tupleIJS8_S9_EEENSB_IJS8_SA_EEENS0_18inequality_wrapperIZN2at6native12_GLOBAL__N_124unique_dim_cuda_templateIN3c108BFloat16EEESt5tupleIJNSF_6TensorESM_SM_EERKSM_lbbbEUlllE0_EEPmJS9_EEE10hipError_tPvRmT3_T4_T5_T6_T7_T9_mT8_P12ihipStream_tbDpT10_ENKUlT_T0_E_clISt17integral_constantIbLb0EES1B_IbLb1EEEEDaS17_S18_EUlS17_E_NS1_11comp_targetILNS1_3genE5ELNS1_11target_archE942ELNS1_3gpuE9ELNS1_3repE0EEENS1_30default_config_static_selectorELNS0_4arch9wavefront6targetE1EEEvT1_, .Lfunc_end1231-_ZN7rocprim17ROCPRIM_400000_NS6detail17trampoline_kernelINS0_14default_configENS1_25partition_config_selectorILNS1_17partition_subalgoE9EllbEEZZNS1_14partition_implILS5_9ELb0ES3_jPlS8_PNS0_10empty_typeENS0_5tupleIJS8_S9_EEENSB_IJS8_SA_EEENS0_18inequality_wrapperIZN2at6native12_GLOBAL__N_124unique_dim_cuda_templateIN3c108BFloat16EEESt5tupleIJNSF_6TensorESM_SM_EERKSM_lbbbEUlllE0_EEPmJS9_EEE10hipError_tPvRmT3_T4_T5_T6_T7_T9_mT8_P12ihipStream_tbDpT10_ENKUlT_T0_E_clISt17integral_constantIbLb0EES1B_IbLb1EEEEDaS17_S18_EUlS17_E_NS1_11comp_targetILNS1_3genE5ELNS1_11target_archE942ELNS1_3gpuE9ELNS1_3repE0EEENS1_30default_config_static_selectorELNS0_4arch9wavefront6targetE1EEEvT1_
                                        ; -- End function
	.set _ZN7rocprim17ROCPRIM_400000_NS6detail17trampoline_kernelINS0_14default_configENS1_25partition_config_selectorILNS1_17partition_subalgoE9EllbEEZZNS1_14partition_implILS5_9ELb0ES3_jPlS8_PNS0_10empty_typeENS0_5tupleIJS8_S9_EEENSB_IJS8_SA_EEENS0_18inequality_wrapperIZN2at6native12_GLOBAL__N_124unique_dim_cuda_templateIN3c108BFloat16EEESt5tupleIJNSF_6TensorESM_SM_EERKSM_lbbbEUlllE0_EEPmJS9_EEE10hipError_tPvRmT3_T4_T5_T6_T7_T9_mT8_P12ihipStream_tbDpT10_ENKUlT_T0_E_clISt17integral_constantIbLb0EES1B_IbLb1EEEEDaS17_S18_EUlS17_E_NS1_11comp_targetILNS1_3genE5ELNS1_11target_archE942ELNS1_3gpuE9ELNS1_3repE0EEENS1_30default_config_static_selectorELNS0_4arch9wavefront6targetE1EEEvT1_.num_vgpr, 0
	.set _ZN7rocprim17ROCPRIM_400000_NS6detail17trampoline_kernelINS0_14default_configENS1_25partition_config_selectorILNS1_17partition_subalgoE9EllbEEZZNS1_14partition_implILS5_9ELb0ES3_jPlS8_PNS0_10empty_typeENS0_5tupleIJS8_S9_EEENSB_IJS8_SA_EEENS0_18inequality_wrapperIZN2at6native12_GLOBAL__N_124unique_dim_cuda_templateIN3c108BFloat16EEESt5tupleIJNSF_6TensorESM_SM_EERKSM_lbbbEUlllE0_EEPmJS9_EEE10hipError_tPvRmT3_T4_T5_T6_T7_T9_mT8_P12ihipStream_tbDpT10_ENKUlT_T0_E_clISt17integral_constantIbLb0EES1B_IbLb1EEEEDaS17_S18_EUlS17_E_NS1_11comp_targetILNS1_3genE5ELNS1_11target_archE942ELNS1_3gpuE9ELNS1_3repE0EEENS1_30default_config_static_selectorELNS0_4arch9wavefront6targetE1EEEvT1_.num_agpr, 0
	.set _ZN7rocprim17ROCPRIM_400000_NS6detail17trampoline_kernelINS0_14default_configENS1_25partition_config_selectorILNS1_17partition_subalgoE9EllbEEZZNS1_14partition_implILS5_9ELb0ES3_jPlS8_PNS0_10empty_typeENS0_5tupleIJS8_S9_EEENSB_IJS8_SA_EEENS0_18inequality_wrapperIZN2at6native12_GLOBAL__N_124unique_dim_cuda_templateIN3c108BFloat16EEESt5tupleIJNSF_6TensorESM_SM_EERKSM_lbbbEUlllE0_EEPmJS9_EEE10hipError_tPvRmT3_T4_T5_T6_T7_T9_mT8_P12ihipStream_tbDpT10_ENKUlT_T0_E_clISt17integral_constantIbLb0EES1B_IbLb1EEEEDaS17_S18_EUlS17_E_NS1_11comp_targetILNS1_3genE5ELNS1_11target_archE942ELNS1_3gpuE9ELNS1_3repE0EEENS1_30default_config_static_selectorELNS0_4arch9wavefront6targetE1EEEvT1_.numbered_sgpr, 0
	.set _ZN7rocprim17ROCPRIM_400000_NS6detail17trampoline_kernelINS0_14default_configENS1_25partition_config_selectorILNS1_17partition_subalgoE9EllbEEZZNS1_14partition_implILS5_9ELb0ES3_jPlS8_PNS0_10empty_typeENS0_5tupleIJS8_S9_EEENSB_IJS8_SA_EEENS0_18inequality_wrapperIZN2at6native12_GLOBAL__N_124unique_dim_cuda_templateIN3c108BFloat16EEESt5tupleIJNSF_6TensorESM_SM_EERKSM_lbbbEUlllE0_EEPmJS9_EEE10hipError_tPvRmT3_T4_T5_T6_T7_T9_mT8_P12ihipStream_tbDpT10_ENKUlT_T0_E_clISt17integral_constantIbLb0EES1B_IbLb1EEEEDaS17_S18_EUlS17_E_NS1_11comp_targetILNS1_3genE5ELNS1_11target_archE942ELNS1_3gpuE9ELNS1_3repE0EEENS1_30default_config_static_selectorELNS0_4arch9wavefront6targetE1EEEvT1_.num_named_barrier, 0
	.set _ZN7rocprim17ROCPRIM_400000_NS6detail17trampoline_kernelINS0_14default_configENS1_25partition_config_selectorILNS1_17partition_subalgoE9EllbEEZZNS1_14partition_implILS5_9ELb0ES3_jPlS8_PNS0_10empty_typeENS0_5tupleIJS8_S9_EEENSB_IJS8_SA_EEENS0_18inequality_wrapperIZN2at6native12_GLOBAL__N_124unique_dim_cuda_templateIN3c108BFloat16EEESt5tupleIJNSF_6TensorESM_SM_EERKSM_lbbbEUlllE0_EEPmJS9_EEE10hipError_tPvRmT3_T4_T5_T6_T7_T9_mT8_P12ihipStream_tbDpT10_ENKUlT_T0_E_clISt17integral_constantIbLb0EES1B_IbLb1EEEEDaS17_S18_EUlS17_E_NS1_11comp_targetILNS1_3genE5ELNS1_11target_archE942ELNS1_3gpuE9ELNS1_3repE0EEENS1_30default_config_static_selectorELNS0_4arch9wavefront6targetE1EEEvT1_.private_seg_size, 0
	.set _ZN7rocprim17ROCPRIM_400000_NS6detail17trampoline_kernelINS0_14default_configENS1_25partition_config_selectorILNS1_17partition_subalgoE9EllbEEZZNS1_14partition_implILS5_9ELb0ES3_jPlS8_PNS0_10empty_typeENS0_5tupleIJS8_S9_EEENSB_IJS8_SA_EEENS0_18inequality_wrapperIZN2at6native12_GLOBAL__N_124unique_dim_cuda_templateIN3c108BFloat16EEESt5tupleIJNSF_6TensorESM_SM_EERKSM_lbbbEUlllE0_EEPmJS9_EEE10hipError_tPvRmT3_T4_T5_T6_T7_T9_mT8_P12ihipStream_tbDpT10_ENKUlT_T0_E_clISt17integral_constantIbLb0EES1B_IbLb1EEEEDaS17_S18_EUlS17_E_NS1_11comp_targetILNS1_3genE5ELNS1_11target_archE942ELNS1_3gpuE9ELNS1_3repE0EEENS1_30default_config_static_selectorELNS0_4arch9wavefront6targetE1EEEvT1_.uses_vcc, 0
	.set _ZN7rocprim17ROCPRIM_400000_NS6detail17trampoline_kernelINS0_14default_configENS1_25partition_config_selectorILNS1_17partition_subalgoE9EllbEEZZNS1_14partition_implILS5_9ELb0ES3_jPlS8_PNS0_10empty_typeENS0_5tupleIJS8_S9_EEENSB_IJS8_SA_EEENS0_18inequality_wrapperIZN2at6native12_GLOBAL__N_124unique_dim_cuda_templateIN3c108BFloat16EEESt5tupleIJNSF_6TensorESM_SM_EERKSM_lbbbEUlllE0_EEPmJS9_EEE10hipError_tPvRmT3_T4_T5_T6_T7_T9_mT8_P12ihipStream_tbDpT10_ENKUlT_T0_E_clISt17integral_constantIbLb0EES1B_IbLb1EEEEDaS17_S18_EUlS17_E_NS1_11comp_targetILNS1_3genE5ELNS1_11target_archE942ELNS1_3gpuE9ELNS1_3repE0EEENS1_30default_config_static_selectorELNS0_4arch9wavefront6targetE1EEEvT1_.uses_flat_scratch, 0
	.set _ZN7rocprim17ROCPRIM_400000_NS6detail17trampoline_kernelINS0_14default_configENS1_25partition_config_selectorILNS1_17partition_subalgoE9EllbEEZZNS1_14partition_implILS5_9ELb0ES3_jPlS8_PNS0_10empty_typeENS0_5tupleIJS8_S9_EEENSB_IJS8_SA_EEENS0_18inequality_wrapperIZN2at6native12_GLOBAL__N_124unique_dim_cuda_templateIN3c108BFloat16EEESt5tupleIJNSF_6TensorESM_SM_EERKSM_lbbbEUlllE0_EEPmJS9_EEE10hipError_tPvRmT3_T4_T5_T6_T7_T9_mT8_P12ihipStream_tbDpT10_ENKUlT_T0_E_clISt17integral_constantIbLb0EES1B_IbLb1EEEEDaS17_S18_EUlS17_E_NS1_11comp_targetILNS1_3genE5ELNS1_11target_archE942ELNS1_3gpuE9ELNS1_3repE0EEENS1_30default_config_static_selectorELNS0_4arch9wavefront6targetE1EEEvT1_.has_dyn_sized_stack, 0
	.set _ZN7rocprim17ROCPRIM_400000_NS6detail17trampoline_kernelINS0_14default_configENS1_25partition_config_selectorILNS1_17partition_subalgoE9EllbEEZZNS1_14partition_implILS5_9ELb0ES3_jPlS8_PNS0_10empty_typeENS0_5tupleIJS8_S9_EEENSB_IJS8_SA_EEENS0_18inequality_wrapperIZN2at6native12_GLOBAL__N_124unique_dim_cuda_templateIN3c108BFloat16EEESt5tupleIJNSF_6TensorESM_SM_EERKSM_lbbbEUlllE0_EEPmJS9_EEE10hipError_tPvRmT3_T4_T5_T6_T7_T9_mT8_P12ihipStream_tbDpT10_ENKUlT_T0_E_clISt17integral_constantIbLb0EES1B_IbLb1EEEEDaS17_S18_EUlS17_E_NS1_11comp_targetILNS1_3genE5ELNS1_11target_archE942ELNS1_3gpuE9ELNS1_3repE0EEENS1_30default_config_static_selectorELNS0_4arch9wavefront6targetE1EEEvT1_.has_recursion, 0
	.set _ZN7rocprim17ROCPRIM_400000_NS6detail17trampoline_kernelINS0_14default_configENS1_25partition_config_selectorILNS1_17partition_subalgoE9EllbEEZZNS1_14partition_implILS5_9ELb0ES3_jPlS8_PNS0_10empty_typeENS0_5tupleIJS8_S9_EEENSB_IJS8_SA_EEENS0_18inequality_wrapperIZN2at6native12_GLOBAL__N_124unique_dim_cuda_templateIN3c108BFloat16EEESt5tupleIJNSF_6TensorESM_SM_EERKSM_lbbbEUlllE0_EEPmJS9_EEE10hipError_tPvRmT3_T4_T5_T6_T7_T9_mT8_P12ihipStream_tbDpT10_ENKUlT_T0_E_clISt17integral_constantIbLb0EES1B_IbLb1EEEEDaS17_S18_EUlS17_E_NS1_11comp_targetILNS1_3genE5ELNS1_11target_archE942ELNS1_3gpuE9ELNS1_3repE0EEENS1_30default_config_static_selectorELNS0_4arch9wavefront6targetE1EEEvT1_.has_indirect_call, 0
	.section	.AMDGPU.csdata,"",@progbits
; Kernel info:
; codeLenInByte = 0
; TotalNumSgprs: 6
; NumVgprs: 0
; NumAgprs: 0
; TotalNumVgprs: 0
; ScratchSize: 0
; MemoryBound: 0
; FloatMode: 240
; IeeeMode: 1
; LDSByteSize: 0 bytes/workgroup (compile time only)
; SGPRBlocks: 0
; VGPRBlocks: 0
; NumSGPRsForWavesPerEU: 6
; NumVGPRsForWavesPerEU: 1
; AccumOffset: 4
; Occupancy: 8
; WaveLimiterHint : 0
; COMPUTE_PGM_RSRC2:SCRATCH_EN: 0
; COMPUTE_PGM_RSRC2:USER_SGPR: 2
; COMPUTE_PGM_RSRC2:TRAP_HANDLER: 0
; COMPUTE_PGM_RSRC2:TGID_X_EN: 1
; COMPUTE_PGM_RSRC2:TGID_Y_EN: 0
; COMPUTE_PGM_RSRC2:TGID_Z_EN: 0
; COMPUTE_PGM_RSRC2:TIDIG_COMP_CNT: 0
; COMPUTE_PGM_RSRC3_GFX90A:ACCUM_OFFSET: 0
; COMPUTE_PGM_RSRC3_GFX90A:TG_SPLIT: 0
	.section	.text._ZN7rocprim17ROCPRIM_400000_NS6detail17trampoline_kernelINS0_14default_configENS1_25partition_config_selectorILNS1_17partition_subalgoE9EllbEEZZNS1_14partition_implILS5_9ELb0ES3_jPlS8_PNS0_10empty_typeENS0_5tupleIJS8_S9_EEENSB_IJS8_SA_EEENS0_18inequality_wrapperIZN2at6native12_GLOBAL__N_124unique_dim_cuda_templateIN3c108BFloat16EEESt5tupleIJNSF_6TensorESM_SM_EERKSM_lbbbEUlllE0_EEPmJS9_EEE10hipError_tPvRmT3_T4_T5_T6_T7_T9_mT8_P12ihipStream_tbDpT10_ENKUlT_T0_E_clISt17integral_constantIbLb0EES1B_IbLb1EEEEDaS17_S18_EUlS17_E_NS1_11comp_targetILNS1_3genE4ELNS1_11target_archE910ELNS1_3gpuE8ELNS1_3repE0EEENS1_30default_config_static_selectorELNS0_4arch9wavefront6targetE1EEEvT1_,"axG",@progbits,_ZN7rocprim17ROCPRIM_400000_NS6detail17trampoline_kernelINS0_14default_configENS1_25partition_config_selectorILNS1_17partition_subalgoE9EllbEEZZNS1_14partition_implILS5_9ELb0ES3_jPlS8_PNS0_10empty_typeENS0_5tupleIJS8_S9_EEENSB_IJS8_SA_EEENS0_18inequality_wrapperIZN2at6native12_GLOBAL__N_124unique_dim_cuda_templateIN3c108BFloat16EEESt5tupleIJNSF_6TensorESM_SM_EERKSM_lbbbEUlllE0_EEPmJS9_EEE10hipError_tPvRmT3_T4_T5_T6_T7_T9_mT8_P12ihipStream_tbDpT10_ENKUlT_T0_E_clISt17integral_constantIbLb0EES1B_IbLb1EEEEDaS17_S18_EUlS17_E_NS1_11comp_targetILNS1_3genE4ELNS1_11target_archE910ELNS1_3gpuE8ELNS1_3repE0EEENS1_30default_config_static_selectorELNS0_4arch9wavefront6targetE1EEEvT1_,comdat
	.globl	_ZN7rocprim17ROCPRIM_400000_NS6detail17trampoline_kernelINS0_14default_configENS1_25partition_config_selectorILNS1_17partition_subalgoE9EllbEEZZNS1_14partition_implILS5_9ELb0ES3_jPlS8_PNS0_10empty_typeENS0_5tupleIJS8_S9_EEENSB_IJS8_SA_EEENS0_18inequality_wrapperIZN2at6native12_GLOBAL__N_124unique_dim_cuda_templateIN3c108BFloat16EEESt5tupleIJNSF_6TensorESM_SM_EERKSM_lbbbEUlllE0_EEPmJS9_EEE10hipError_tPvRmT3_T4_T5_T6_T7_T9_mT8_P12ihipStream_tbDpT10_ENKUlT_T0_E_clISt17integral_constantIbLb0EES1B_IbLb1EEEEDaS17_S18_EUlS17_E_NS1_11comp_targetILNS1_3genE4ELNS1_11target_archE910ELNS1_3gpuE8ELNS1_3repE0EEENS1_30default_config_static_selectorELNS0_4arch9wavefront6targetE1EEEvT1_ ; -- Begin function _ZN7rocprim17ROCPRIM_400000_NS6detail17trampoline_kernelINS0_14default_configENS1_25partition_config_selectorILNS1_17partition_subalgoE9EllbEEZZNS1_14partition_implILS5_9ELb0ES3_jPlS8_PNS0_10empty_typeENS0_5tupleIJS8_S9_EEENSB_IJS8_SA_EEENS0_18inequality_wrapperIZN2at6native12_GLOBAL__N_124unique_dim_cuda_templateIN3c108BFloat16EEESt5tupleIJNSF_6TensorESM_SM_EERKSM_lbbbEUlllE0_EEPmJS9_EEE10hipError_tPvRmT3_T4_T5_T6_T7_T9_mT8_P12ihipStream_tbDpT10_ENKUlT_T0_E_clISt17integral_constantIbLb0EES1B_IbLb1EEEEDaS17_S18_EUlS17_E_NS1_11comp_targetILNS1_3genE4ELNS1_11target_archE910ELNS1_3gpuE8ELNS1_3repE0EEENS1_30default_config_static_selectorELNS0_4arch9wavefront6targetE1EEEvT1_
	.p2align	8
	.type	_ZN7rocprim17ROCPRIM_400000_NS6detail17trampoline_kernelINS0_14default_configENS1_25partition_config_selectorILNS1_17partition_subalgoE9EllbEEZZNS1_14partition_implILS5_9ELb0ES3_jPlS8_PNS0_10empty_typeENS0_5tupleIJS8_S9_EEENSB_IJS8_SA_EEENS0_18inequality_wrapperIZN2at6native12_GLOBAL__N_124unique_dim_cuda_templateIN3c108BFloat16EEESt5tupleIJNSF_6TensorESM_SM_EERKSM_lbbbEUlllE0_EEPmJS9_EEE10hipError_tPvRmT3_T4_T5_T6_T7_T9_mT8_P12ihipStream_tbDpT10_ENKUlT_T0_E_clISt17integral_constantIbLb0EES1B_IbLb1EEEEDaS17_S18_EUlS17_E_NS1_11comp_targetILNS1_3genE4ELNS1_11target_archE910ELNS1_3gpuE8ELNS1_3repE0EEENS1_30default_config_static_selectorELNS0_4arch9wavefront6targetE1EEEvT1_,@function
_ZN7rocprim17ROCPRIM_400000_NS6detail17trampoline_kernelINS0_14default_configENS1_25partition_config_selectorILNS1_17partition_subalgoE9EllbEEZZNS1_14partition_implILS5_9ELb0ES3_jPlS8_PNS0_10empty_typeENS0_5tupleIJS8_S9_EEENSB_IJS8_SA_EEENS0_18inequality_wrapperIZN2at6native12_GLOBAL__N_124unique_dim_cuda_templateIN3c108BFloat16EEESt5tupleIJNSF_6TensorESM_SM_EERKSM_lbbbEUlllE0_EEPmJS9_EEE10hipError_tPvRmT3_T4_T5_T6_T7_T9_mT8_P12ihipStream_tbDpT10_ENKUlT_T0_E_clISt17integral_constantIbLb0EES1B_IbLb1EEEEDaS17_S18_EUlS17_E_NS1_11comp_targetILNS1_3genE4ELNS1_11target_archE910ELNS1_3gpuE8ELNS1_3repE0EEENS1_30default_config_static_selectorELNS0_4arch9wavefront6targetE1EEEvT1_: ; @_ZN7rocprim17ROCPRIM_400000_NS6detail17trampoline_kernelINS0_14default_configENS1_25partition_config_selectorILNS1_17partition_subalgoE9EllbEEZZNS1_14partition_implILS5_9ELb0ES3_jPlS8_PNS0_10empty_typeENS0_5tupleIJS8_S9_EEENSB_IJS8_SA_EEENS0_18inequality_wrapperIZN2at6native12_GLOBAL__N_124unique_dim_cuda_templateIN3c108BFloat16EEESt5tupleIJNSF_6TensorESM_SM_EERKSM_lbbbEUlllE0_EEPmJS9_EEE10hipError_tPvRmT3_T4_T5_T6_T7_T9_mT8_P12ihipStream_tbDpT10_ENKUlT_T0_E_clISt17integral_constantIbLb0EES1B_IbLb1EEEEDaS17_S18_EUlS17_E_NS1_11comp_targetILNS1_3genE4ELNS1_11target_archE910ELNS1_3gpuE8ELNS1_3repE0EEENS1_30default_config_static_selectorELNS0_4arch9wavefront6targetE1EEEvT1_
; %bb.0:
	.section	.rodata,"a",@progbits
	.p2align	6, 0x0
	.amdhsa_kernel _ZN7rocprim17ROCPRIM_400000_NS6detail17trampoline_kernelINS0_14default_configENS1_25partition_config_selectorILNS1_17partition_subalgoE9EllbEEZZNS1_14partition_implILS5_9ELb0ES3_jPlS8_PNS0_10empty_typeENS0_5tupleIJS8_S9_EEENSB_IJS8_SA_EEENS0_18inequality_wrapperIZN2at6native12_GLOBAL__N_124unique_dim_cuda_templateIN3c108BFloat16EEESt5tupleIJNSF_6TensorESM_SM_EERKSM_lbbbEUlllE0_EEPmJS9_EEE10hipError_tPvRmT3_T4_T5_T6_T7_T9_mT8_P12ihipStream_tbDpT10_ENKUlT_T0_E_clISt17integral_constantIbLb0EES1B_IbLb1EEEEDaS17_S18_EUlS17_E_NS1_11comp_targetILNS1_3genE4ELNS1_11target_archE910ELNS1_3gpuE8ELNS1_3repE0EEENS1_30default_config_static_selectorELNS0_4arch9wavefront6targetE1EEEvT1_
		.amdhsa_group_segment_fixed_size 0
		.amdhsa_private_segment_fixed_size 0
		.amdhsa_kernarg_size 136
		.amdhsa_user_sgpr_count 2
		.amdhsa_user_sgpr_dispatch_ptr 0
		.amdhsa_user_sgpr_queue_ptr 0
		.amdhsa_user_sgpr_kernarg_segment_ptr 1
		.amdhsa_user_sgpr_dispatch_id 0
		.amdhsa_user_sgpr_kernarg_preload_length 0
		.amdhsa_user_sgpr_kernarg_preload_offset 0
		.amdhsa_user_sgpr_private_segment_size 0
		.amdhsa_uses_dynamic_stack 0
		.amdhsa_enable_private_segment 0
		.amdhsa_system_sgpr_workgroup_id_x 1
		.amdhsa_system_sgpr_workgroup_id_y 0
		.amdhsa_system_sgpr_workgroup_id_z 0
		.amdhsa_system_sgpr_workgroup_info 0
		.amdhsa_system_vgpr_workitem_id 0
		.amdhsa_next_free_vgpr 1
		.amdhsa_next_free_sgpr 0
		.amdhsa_accum_offset 4
		.amdhsa_reserve_vcc 0
		.amdhsa_float_round_mode_32 0
		.amdhsa_float_round_mode_16_64 0
		.amdhsa_float_denorm_mode_32 3
		.amdhsa_float_denorm_mode_16_64 3
		.amdhsa_dx10_clamp 1
		.amdhsa_ieee_mode 1
		.amdhsa_fp16_overflow 0
		.amdhsa_tg_split 0
		.amdhsa_exception_fp_ieee_invalid_op 0
		.amdhsa_exception_fp_denorm_src 0
		.amdhsa_exception_fp_ieee_div_zero 0
		.amdhsa_exception_fp_ieee_overflow 0
		.amdhsa_exception_fp_ieee_underflow 0
		.amdhsa_exception_fp_ieee_inexact 0
		.amdhsa_exception_int_div_zero 0
	.end_amdhsa_kernel
	.section	.text._ZN7rocprim17ROCPRIM_400000_NS6detail17trampoline_kernelINS0_14default_configENS1_25partition_config_selectorILNS1_17partition_subalgoE9EllbEEZZNS1_14partition_implILS5_9ELb0ES3_jPlS8_PNS0_10empty_typeENS0_5tupleIJS8_S9_EEENSB_IJS8_SA_EEENS0_18inequality_wrapperIZN2at6native12_GLOBAL__N_124unique_dim_cuda_templateIN3c108BFloat16EEESt5tupleIJNSF_6TensorESM_SM_EERKSM_lbbbEUlllE0_EEPmJS9_EEE10hipError_tPvRmT3_T4_T5_T6_T7_T9_mT8_P12ihipStream_tbDpT10_ENKUlT_T0_E_clISt17integral_constantIbLb0EES1B_IbLb1EEEEDaS17_S18_EUlS17_E_NS1_11comp_targetILNS1_3genE4ELNS1_11target_archE910ELNS1_3gpuE8ELNS1_3repE0EEENS1_30default_config_static_selectorELNS0_4arch9wavefront6targetE1EEEvT1_,"axG",@progbits,_ZN7rocprim17ROCPRIM_400000_NS6detail17trampoline_kernelINS0_14default_configENS1_25partition_config_selectorILNS1_17partition_subalgoE9EllbEEZZNS1_14partition_implILS5_9ELb0ES3_jPlS8_PNS0_10empty_typeENS0_5tupleIJS8_S9_EEENSB_IJS8_SA_EEENS0_18inequality_wrapperIZN2at6native12_GLOBAL__N_124unique_dim_cuda_templateIN3c108BFloat16EEESt5tupleIJNSF_6TensorESM_SM_EERKSM_lbbbEUlllE0_EEPmJS9_EEE10hipError_tPvRmT3_T4_T5_T6_T7_T9_mT8_P12ihipStream_tbDpT10_ENKUlT_T0_E_clISt17integral_constantIbLb0EES1B_IbLb1EEEEDaS17_S18_EUlS17_E_NS1_11comp_targetILNS1_3genE4ELNS1_11target_archE910ELNS1_3gpuE8ELNS1_3repE0EEENS1_30default_config_static_selectorELNS0_4arch9wavefront6targetE1EEEvT1_,comdat
.Lfunc_end1232:
	.size	_ZN7rocprim17ROCPRIM_400000_NS6detail17trampoline_kernelINS0_14default_configENS1_25partition_config_selectorILNS1_17partition_subalgoE9EllbEEZZNS1_14partition_implILS5_9ELb0ES3_jPlS8_PNS0_10empty_typeENS0_5tupleIJS8_S9_EEENSB_IJS8_SA_EEENS0_18inequality_wrapperIZN2at6native12_GLOBAL__N_124unique_dim_cuda_templateIN3c108BFloat16EEESt5tupleIJNSF_6TensorESM_SM_EERKSM_lbbbEUlllE0_EEPmJS9_EEE10hipError_tPvRmT3_T4_T5_T6_T7_T9_mT8_P12ihipStream_tbDpT10_ENKUlT_T0_E_clISt17integral_constantIbLb0EES1B_IbLb1EEEEDaS17_S18_EUlS17_E_NS1_11comp_targetILNS1_3genE4ELNS1_11target_archE910ELNS1_3gpuE8ELNS1_3repE0EEENS1_30default_config_static_selectorELNS0_4arch9wavefront6targetE1EEEvT1_, .Lfunc_end1232-_ZN7rocprim17ROCPRIM_400000_NS6detail17trampoline_kernelINS0_14default_configENS1_25partition_config_selectorILNS1_17partition_subalgoE9EllbEEZZNS1_14partition_implILS5_9ELb0ES3_jPlS8_PNS0_10empty_typeENS0_5tupleIJS8_S9_EEENSB_IJS8_SA_EEENS0_18inequality_wrapperIZN2at6native12_GLOBAL__N_124unique_dim_cuda_templateIN3c108BFloat16EEESt5tupleIJNSF_6TensorESM_SM_EERKSM_lbbbEUlllE0_EEPmJS9_EEE10hipError_tPvRmT3_T4_T5_T6_T7_T9_mT8_P12ihipStream_tbDpT10_ENKUlT_T0_E_clISt17integral_constantIbLb0EES1B_IbLb1EEEEDaS17_S18_EUlS17_E_NS1_11comp_targetILNS1_3genE4ELNS1_11target_archE910ELNS1_3gpuE8ELNS1_3repE0EEENS1_30default_config_static_selectorELNS0_4arch9wavefront6targetE1EEEvT1_
                                        ; -- End function
	.set _ZN7rocprim17ROCPRIM_400000_NS6detail17trampoline_kernelINS0_14default_configENS1_25partition_config_selectorILNS1_17partition_subalgoE9EllbEEZZNS1_14partition_implILS5_9ELb0ES3_jPlS8_PNS0_10empty_typeENS0_5tupleIJS8_S9_EEENSB_IJS8_SA_EEENS0_18inequality_wrapperIZN2at6native12_GLOBAL__N_124unique_dim_cuda_templateIN3c108BFloat16EEESt5tupleIJNSF_6TensorESM_SM_EERKSM_lbbbEUlllE0_EEPmJS9_EEE10hipError_tPvRmT3_T4_T5_T6_T7_T9_mT8_P12ihipStream_tbDpT10_ENKUlT_T0_E_clISt17integral_constantIbLb0EES1B_IbLb1EEEEDaS17_S18_EUlS17_E_NS1_11comp_targetILNS1_3genE4ELNS1_11target_archE910ELNS1_3gpuE8ELNS1_3repE0EEENS1_30default_config_static_selectorELNS0_4arch9wavefront6targetE1EEEvT1_.num_vgpr, 0
	.set _ZN7rocprim17ROCPRIM_400000_NS6detail17trampoline_kernelINS0_14default_configENS1_25partition_config_selectorILNS1_17partition_subalgoE9EllbEEZZNS1_14partition_implILS5_9ELb0ES3_jPlS8_PNS0_10empty_typeENS0_5tupleIJS8_S9_EEENSB_IJS8_SA_EEENS0_18inequality_wrapperIZN2at6native12_GLOBAL__N_124unique_dim_cuda_templateIN3c108BFloat16EEESt5tupleIJNSF_6TensorESM_SM_EERKSM_lbbbEUlllE0_EEPmJS9_EEE10hipError_tPvRmT3_T4_T5_T6_T7_T9_mT8_P12ihipStream_tbDpT10_ENKUlT_T0_E_clISt17integral_constantIbLb0EES1B_IbLb1EEEEDaS17_S18_EUlS17_E_NS1_11comp_targetILNS1_3genE4ELNS1_11target_archE910ELNS1_3gpuE8ELNS1_3repE0EEENS1_30default_config_static_selectorELNS0_4arch9wavefront6targetE1EEEvT1_.num_agpr, 0
	.set _ZN7rocprim17ROCPRIM_400000_NS6detail17trampoline_kernelINS0_14default_configENS1_25partition_config_selectorILNS1_17partition_subalgoE9EllbEEZZNS1_14partition_implILS5_9ELb0ES3_jPlS8_PNS0_10empty_typeENS0_5tupleIJS8_S9_EEENSB_IJS8_SA_EEENS0_18inequality_wrapperIZN2at6native12_GLOBAL__N_124unique_dim_cuda_templateIN3c108BFloat16EEESt5tupleIJNSF_6TensorESM_SM_EERKSM_lbbbEUlllE0_EEPmJS9_EEE10hipError_tPvRmT3_T4_T5_T6_T7_T9_mT8_P12ihipStream_tbDpT10_ENKUlT_T0_E_clISt17integral_constantIbLb0EES1B_IbLb1EEEEDaS17_S18_EUlS17_E_NS1_11comp_targetILNS1_3genE4ELNS1_11target_archE910ELNS1_3gpuE8ELNS1_3repE0EEENS1_30default_config_static_selectorELNS0_4arch9wavefront6targetE1EEEvT1_.numbered_sgpr, 0
	.set _ZN7rocprim17ROCPRIM_400000_NS6detail17trampoline_kernelINS0_14default_configENS1_25partition_config_selectorILNS1_17partition_subalgoE9EllbEEZZNS1_14partition_implILS5_9ELb0ES3_jPlS8_PNS0_10empty_typeENS0_5tupleIJS8_S9_EEENSB_IJS8_SA_EEENS0_18inequality_wrapperIZN2at6native12_GLOBAL__N_124unique_dim_cuda_templateIN3c108BFloat16EEESt5tupleIJNSF_6TensorESM_SM_EERKSM_lbbbEUlllE0_EEPmJS9_EEE10hipError_tPvRmT3_T4_T5_T6_T7_T9_mT8_P12ihipStream_tbDpT10_ENKUlT_T0_E_clISt17integral_constantIbLb0EES1B_IbLb1EEEEDaS17_S18_EUlS17_E_NS1_11comp_targetILNS1_3genE4ELNS1_11target_archE910ELNS1_3gpuE8ELNS1_3repE0EEENS1_30default_config_static_selectorELNS0_4arch9wavefront6targetE1EEEvT1_.num_named_barrier, 0
	.set _ZN7rocprim17ROCPRIM_400000_NS6detail17trampoline_kernelINS0_14default_configENS1_25partition_config_selectorILNS1_17partition_subalgoE9EllbEEZZNS1_14partition_implILS5_9ELb0ES3_jPlS8_PNS0_10empty_typeENS0_5tupleIJS8_S9_EEENSB_IJS8_SA_EEENS0_18inequality_wrapperIZN2at6native12_GLOBAL__N_124unique_dim_cuda_templateIN3c108BFloat16EEESt5tupleIJNSF_6TensorESM_SM_EERKSM_lbbbEUlllE0_EEPmJS9_EEE10hipError_tPvRmT3_T4_T5_T6_T7_T9_mT8_P12ihipStream_tbDpT10_ENKUlT_T0_E_clISt17integral_constantIbLb0EES1B_IbLb1EEEEDaS17_S18_EUlS17_E_NS1_11comp_targetILNS1_3genE4ELNS1_11target_archE910ELNS1_3gpuE8ELNS1_3repE0EEENS1_30default_config_static_selectorELNS0_4arch9wavefront6targetE1EEEvT1_.private_seg_size, 0
	.set _ZN7rocprim17ROCPRIM_400000_NS6detail17trampoline_kernelINS0_14default_configENS1_25partition_config_selectorILNS1_17partition_subalgoE9EllbEEZZNS1_14partition_implILS5_9ELb0ES3_jPlS8_PNS0_10empty_typeENS0_5tupleIJS8_S9_EEENSB_IJS8_SA_EEENS0_18inequality_wrapperIZN2at6native12_GLOBAL__N_124unique_dim_cuda_templateIN3c108BFloat16EEESt5tupleIJNSF_6TensorESM_SM_EERKSM_lbbbEUlllE0_EEPmJS9_EEE10hipError_tPvRmT3_T4_T5_T6_T7_T9_mT8_P12ihipStream_tbDpT10_ENKUlT_T0_E_clISt17integral_constantIbLb0EES1B_IbLb1EEEEDaS17_S18_EUlS17_E_NS1_11comp_targetILNS1_3genE4ELNS1_11target_archE910ELNS1_3gpuE8ELNS1_3repE0EEENS1_30default_config_static_selectorELNS0_4arch9wavefront6targetE1EEEvT1_.uses_vcc, 0
	.set _ZN7rocprim17ROCPRIM_400000_NS6detail17trampoline_kernelINS0_14default_configENS1_25partition_config_selectorILNS1_17partition_subalgoE9EllbEEZZNS1_14partition_implILS5_9ELb0ES3_jPlS8_PNS0_10empty_typeENS0_5tupleIJS8_S9_EEENSB_IJS8_SA_EEENS0_18inequality_wrapperIZN2at6native12_GLOBAL__N_124unique_dim_cuda_templateIN3c108BFloat16EEESt5tupleIJNSF_6TensorESM_SM_EERKSM_lbbbEUlllE0_EEPmJS9_EEE10hipError_tPvRmT3_T4_T5_T6_T7_T9_mT8_P12ihipStream_tbDpT10_ENKUlT_T0_E_clISt17integral_constantIbLb0EES1B_IbLb1EEEEDaS17_S18_EUlS17_E_NS1_11comp_targetILNS1_3genE4ELNS1_11target_archE910ELNS1_3gpuE8ELNS1_3repE0EEENS1_30default_config_static_selectorELNS0_4arch9wavefront6targetE1EEEvT1_.uses_flat_scratch, 0
	.set _ZN7rocprim17ROCPRIM_400000_NS6detail17trampoline_kernelINS0_14default_configENS1_25partition_config_selectorILNS1_17partition_subalgoE9EllbEEZZNS1_14partition_implILS5_9ELb0ES3_jPlS8_PNS0_10empty_typeENS0_5tupleIJS8_S9_EEENSB_IJS8_SA_EEENS0_18inequality_wrapperIZN2at6native12_GLOBAL__N_124unique_dim_cuda_templateIN3c108BFloat16EEESt5tupleIJNSF_6TensorESM_SM_EERKSM_lbbbEUlllE0_EEPmJS9_EEE10hipError_tPvRmT3_T4_T5_T6_T7_T9_mT8_P12ihipStream_tbDpT10_ENKUlT_T0_E_clISt17integral_constantIbLb0EES1B_IbLb1EEEEDaS17_S18_EUlS17_E_NS1_11comp_targetILNS1_3genE4ELNS1_11target_archE910ELNS1_3gpuE8ELNS1_3repE0EEENS1_30default_config_static_selectorELNS0_4arch9wavefront6targetE1EEEvT1_.has_dyn_sized_stack, 0
	.set _ZN7rocprim17ROCPRIM_400000_NS6detail17trampoline_kernelINS0_14default_configENS1_25partition_config_selectorILNS1_17partition_subalgoE9EllbEEZZNS1_14partition_implILS5_9ELb0ES3_jPlS8_PNS0_10empty_typeENS0_5tupleIJS8_S9_EEENSB_IJS8_SA_EEENS0_18inequality_wrapperIZN2at6native12_GLOBAL__N_124unique_dim_cuda_templateIN3c108BFloat16EEESt5tupleIJNSF_6TensorESM_SM_EERKSM_lbbbEUlllE0_EEPmJS9_EEE10hipError_tPvRmT3_T4_T5_T6_T7_T9_mT8_P12ihipStream_tbDpT10_ENKUlT_T0_E_clISt17integral_constantIbLb0EES1B_IbLb1EEEEDaS17_S18_EUlS17_E_NS1_11comp_targetILNS1_3genE4ELNS1_11target_archE910ELNS1_3gpuE8ELNS1_3repE0EEENS1_30default_config_static_selectorELNS0_4arch9wavefront6targetE1EEEvT1_.has_recursion, 0
	.set _ZN7rocprim17ROCPRIM_400000_NS6detail17trampoline_kernelINS0_14default_configENS1_25partition_config_selectorILNS1_17partition_subalgoE9EllbEEZZNS1_14partition_implILS5_9ELb0ES3_jPlS8_PNS0_10empty_typeENS0_5tupleIJS8_S9_EEENSB_IJS8_SA_EEENS0_18inequality_wrapperIZN2at6native12_GLOBAL__N_124unique_dim_cuda_templateIN3c108BFloat16EEESt5tupleIJNSF_6TensorESM_SM_EERKSM_lbbbEUlllE0_EEPmJS9_EEE10hipError_tPvRmT3_T4_T5_T6_T7_T9_mT8_P12ihipStream_tbDpT10_ENKUlT_T0_E_clISt17integral_constantIbLb0EES1B_IbLb1EEEEDaS17_S18_EUlS17_E_NS1_11comp_targetILNS1_3genE4ELNS1_11target_archE910ELNS1_3gpuE8ELNS1_3repE0EEENS1_30default_config_static_selectorELNS0_4arch9wavefront6targetE1EEEvT1_.has_indirect_call, 0
	.section	.AMDGPU.csdata,"",@progbits
; Kernel info:
; codeLenInByte = 0
; TotalNumSgprs: 6
; NumVgprs: 0
; NumAgprs: 0
; TotalNumVgprs: 0
; ScratchSize: 0
; MemoryBound: 0
; FloatMode: 240
; IeeeMode: 1
; LDSByteSize: 0 bytes/workgroup (compile time only)
; SGPRBlocks: 0
; VGPRBlocks: 0
; NumSGPRsForWavesPerEU: 6
; NumVGPRsForWavesPerEU: 1
; AccumOffset: 4
; Occupancy: 8
; WaveLimiterHint : 0
; COMPUTE_PGM_RSRC2:SCRATCH_EN: 0
; COMPUTE_PGM_RSRC2:USER_SGPR: 2
; COMPUTE_PGM_RSRC2:TRAP_HANDLER: 0
; COMPUTE_PGM_RSRC2:TGID_X_EN: 1
; COMPUTE_PGM_RSRC2:TGID_Y_EN: 0
; COMPUTE_PGM_RSRC2:TGID_Z_EN: 0
; COMPUTE_PGM_RSRC2:TIDIG_COMP_CNT: 0
; COMPUTE_PGM_RSRC3_GFX90A:ACCUM_OFFSET: 0
; COMPUTE_PGM_RSRC3_GFX90A:TG_SPLIT: 0
	.section	.text._ZN7rocprim17ROCPRIM_400000_NS6detail17trampoline_kernelINS0_14default_configENS1_25partition_config_selectorILNS1_17partition_subalgoE9EllbEEZZNS1_14partition_implILS5_9ELb0ES3_jPlS8_PNS0_10empty_typeENS0_5tupleIJS8_S9_EEENSB_IJS8_SA_EEENS0_18inequality_wrapperIZN2at6native12_GLOBAL__N_124unique_dim_cuda_templateIN3c108BFloat16EEESt5tupleIJNSF_6TensorESM_SM_EERKSM_lbbbEUlllE0_EEPmJS9_EEE10hipError_tPvRmT3_T4_T5_T6_T7_T9_mT8_P12ihipStream_tbDpT10_ENKUlT_T0_E_clISt17integral_constantIbLb0EES1B_IbLb1EEEEDaS17_S18_EUlS17_E_NS1_11comp_targetILNS1_3genE3ELNS1_11target_archE908ELNS1_3gpuE7ELNS1_3repE0EEENS1_30default_config_static_selectorELNS0_4arch9wavefront6targetE1EEEvT1_,"axG",@progbits,_ZN7rocprim17ROCPRIM_400000_NS6detail17trampoline_kernelINS0_14default_configENS1_25partition_config_selectorILNS1_17partition_subalgoE9EllbEEZZNS1_14partition_implILS5_9ELb0ES3_jPlS8_PNS0_10empty_typeENS0_5tupleIJS8_S9_EEENSB_IJS8_SA_EEENS0_18inequality_wrapperIZN2at6native12_GLOBAL__N_124unique_dim_cuda_templateIN3c108BFloat16EEESt5tupleIJNSF_6TensorESM_SM_EERKSM_lbbbEUlllE0_EEPmJS9_EEE10hipError_tPvRmT3_T4_T5_T6_T7_T9_mT8_P12ihipStream_tbDpT10_ENKUlT_T0_E_clISt17integral_constantIbLb0EES1B_IbLb1EEEEDaS17_S18_EUlS17_E_NS1_11comp_targetILNS1_3genE3ELNS1_11target_archE908ELNS1_3gpuE7ELNS1_3repE0EEENS1_30default_config_static_selectorELNS0_4arch9wavefront6targetE1EEEvT1_,comdat
	.globl	_ZN7rocprim17ROCPRIM_400000_NS6detail17trampoline_kernelINS0_14default_configENS1_25partition_config_selectorILNS1_17partition_subalgoE9EllbEEZZNS1_14partition_implILS5_9ELb0ES3_jPlS8_PNS0_10empty_typeENS0_5tupleIJS8_S9_EEENSB_IJS8_SA_EEENS0_18inequality_wrapperIZN2at6native12_GLOBAL__N_124unique_dim_cuda_templateIN3c108BFloat16EEESt5tupleIJNSF_6TensorESM_SM_EERKSM_lbbbEUlllE0_EEPmJS9_EEE10hipError_tPvRmT3_T4_T5_T6_T7_T9_mT8_P12ihipStream_tbDpT10_ENKUlT_T0_E_clISt17integral_constantIbLb0EES1B_IbLb1EEEEDaS17_S18_EUlS17_E_NS1_11comp_targetILNS1_3genE3ELNS1_11target_archE908ELNS1_3gpuE7ELNS1_3repE0EEENS1_30default_config_static_selectorELNS0_4arch9wavefront6targetE1EEEvT1_ ; -- Begin function _ZN7rocprim17ROCPRIM_400000_NS6detail17trampoline_kernelINS0_14default_configENS1_25partition_config_selectorILNS1_17partition_subalgoE9EllbEEZZNS1_14partition_implILS5_9ELb0ES3_jPlS8_PNS0_10empty_typeENS0_5tupleIJS8_S9_EEENSB_IJS8_SA_EEENS0_18inequality_wrapperIZN2at6native12_GLOBAL__N_124unique_dim_cuda_templateIN3c108BFloat16EEESt5tupleIJNSF_6TensorESM_SM_EERKSM_lbbbEUlllE0_EEPmJS9_EEE10hipError_tPvRmT3_T4_T5_T6_T7_T9_mT8_P12ihipStream_tbDpT10_ENKUlT_T0_E_clISt17integral_constantIbLb0EES1B_IbLb1EEEEDaS17_S18_EUlS17_E_NS1_11comp_targetILNS1_3genE3ELNS1_11target_archE908ELNS1_3gpuE7ELNS1_3repE0EEENS1_30default_config_static_selectorELNS0_4arch9wavefront6targetE1EEEvT1_
	.p2align	8
	.type	_ZN7rocprim17ROCPRIM_400000_NS6detail17trampoline_kernelINS0_14default_configENS1_25partition_config_selectorILNS1_17partition_subalgoE9EllbEEZZNS1_14partition_implILS5_9ELb0ES3_jPlS8_PNS0_10empty_typeENS0_5tupleIJS8_S9_EEENSB_IJS8_SA_EEENS0_18inequality_wrapperIZN2at6native12_GLOBAL__N_124unique_dim_cuda_templateIN3c108BFloat16EEESt5tupleIJNSF_6TensorESM_SM_EERKSM_lbbbEUlllE0_EEPmJS9_EEE10hipError_tPvRmT3_T4_T5_T6_T7_T9_mT8_P12ihipStream_tbDpT10_ENKUlT_T0_E_clISt17integral_constantIbLb0EES1B_IbLb1EEEEDaS17_S18_EUlS17_E_NS1_11comp_targetILNS1_3genE3ELNS1_11target_archE908ELNS1_3gpuE7ELNS1_3repE0EEENS1_30default_config_static_selectorELNS0_4arch9wavefront6targetE1EEEvT1_,@function
_ZN7rocprim17ROCPRIM_400000_NS6detail17trampoline_kernelINS0_14default_configENS1_25partition_config_selectorILNS1_17partition_subalgoE9EllbEEZZNS1_14partition_implILS5_9ELb0ES3_jPlS8_PNS0_10empty_typeENS0_5tupleIJS8_S9_EEENSB_IJS8_SA_EEENS0_18inequality_wrapperIZN2at6native12_GLOBAL__N_124unique_dim_cuda_templateIN3c108BFloat16EEESt5tupleIJNSF_6TensorESM_SM_EERKSM_lbbbEUlllE0_EEPmJS9_EEE10hipError_tPvRmT3_T4_T5_T6_T7_T9_mT8_P12ihipStream_tbDpT10_ENKUlT_T0_E_clISt17integral_constantIbLb0EES1B_IbLb1EEEEDaS17_S18_EUlS17_E_NS1_11comp_targetILNS1_3genE3ELNS1_11target_archE908ELNS1_3gpuE7ELNS1_3repE0EEENS1_30default_config_static_selectorELNS0_4arch9wavefront6targetE1EEEvT1_: ; @_ZN7rocprim17ROCPRIM_400000_NS6detail17trampoline_kernelINS0_14default_configENS1_25partition_config_selectorILNS1_17partition_subalgoE9EllbEEZZNS1_14partition_implILS5_9ELb0ES3_jPlS8_PNS0_10empty_typeENS0_5tupleIJS8_S9_EEENSB_IJS8_SA_EEENS0_18inequality_wrapperIZN2at6native12_GLOBAL__N_124unique_dim_cuda_templateIN3c108BFloat16EEESt5tupleIJNSF_6TensorESM_SM_EERKSM_lbbbEUlllE0_EEPmJS9_EEE10hipError_tPvRmT3_T4_T5_T6_T7_T9_mT8_P12ihipStream_tbDpT10_ENKUlT_T0_E_clISt17integral_constantIbLb0EES1B_IbLb1EEEEDaS17_S18_EUlS17_E_NS1_11comp_targetILNS1_3genE3ELNS1_11target_archE908ELNS1_3gpuE7ELNS1_3repE0EEENS1_30default_config_static_selectorELNS0_4arch9wavefront6targetE1EEEvT1_
; %bb.0:
	.section	.rodata,"a",@progbits
	.p2align	6, 0x0
	.amdhsa_kernel _ZN7rocprim17ROCPRIM_400000_NS6detail17trampoline_kernelINS0_14default_configENS1_25partition_config_selectorILNS1_17partition_subalgoE9EllbEEZZNS1_14partition_implILS5_9ELb0ES3_jPlS8_PNS0_10empty_typeENS0_5tupleIJS8_S9_EEENSB_IJS8_SA_EEENS0_18inequality_wrapperIZN2at6native12_GLOBAL__N_124unique_dim_cuda_templateIN3c108BFloat16EEESt5tupleIJNSF_6TensorESM_SM_EERKSM_lbbbEUlllE0_EEPmJS9_EEE10hipError_tPvRmT3_T4_T5_T6_T7_T9_mT8_P12ihipStream_tbDpT10_ENKUlT_T0_E_clISt17integral_constantIbLb0EES1B_IbLb1EEEEDaS17_S18_EUlS17_E_NS1_11comp_targetILNS1_3genE3ELNS1_11target_archE908ELNS1_3gpuE7ELNS1_3repE0EEENS1_30default_config_static_selectorELNS0_4arch9wavefront6targetE1EEEvT1_
		.amdhsa_group_segment_fixed_size 0
		.amdhsa_private_segment_fixed_size 0
		.amdhsa_kernarg_size 136
		.amdhsa_user_sgpr_count 2
		.amdhsa_user_sgpr_dispatch_ptr 0
		.amdhsa_user_sgpr_queue_ptr 0
		.amdhsa_user_sgpr_kernarg_segment_ptr 1
		.amdhsa_user_sgpr_dispatch_id 0
		.amdhsa_user_sgpr_kernarg_preload_length 0
		.amdhsa_user_sgpr_kernarg_preload_offset 0
		.amdhsa_user_sgpr_private_segment_size 0
		.amdhsa_uses_dynamic_stack 0
		.amdhsa_enable_private_segment 0
		.amdhsa_system_sgpr_workgroup_id_x 1
		.amdhsa_system_sgpr_workgroup_id_y 0
		.amdhsa_system_sgpr_workgroup_id_z 0
		.amdhsa_system_sgpr_workgroup_info 0
		.amdhsa_system_vgpr_workitem_id 0
		.amdhsa_next_free_vgpr 1
		.amdhsa_next_free_sgpr 0
		.amdhsa_accum_offset 4
		.amdhsa_reserve_vcc 0
		.amdhsa_float_round_mode_32 0
		.amdhsa_float_round_mode_16_64 0
		.amdhsa_float_denorm_mode_32 3
		.amdhsa_float_denorm_mode_16_64 3
		.amdhsa_dx10_clamp 1
		.amdhsa_ieee_mode 1
		.amdhsa_fp16_overflow 0
		.amdhsa_tg_split 0
		.amdhsa_exception_fp_ieee_invalid_op 0
		.amdhsa_exception_fp_denorm_src 0
		.amdhsa_exception_fp_ieee_div_zero 0
		.amdhsa_exception_fp_ieee_overflow 0
		.amdhsa_exception_fp_ieee_underflow 0
		.amdhsa_exception_fp_ieee_inexact 0
		.amdhsa_exception_int_div_zero 0
	.end_amdhsa_kernel
	.section	.text._ZN7rocprim17ROCPRIM_400000_NS6detail17trampoline_kernelINS0_14default_configENS1_25partition_config_selectorILNS1_17partition_subalgoE9EllbEEZZNS1_14partition_implILS5_9ELb0ES3_jPlS8_PNS0_10empty_typeENS0_5tupleIJS8_S9_EEENSB_IJS8_SA_EEENS0_18inequality_wrapperIZN2at6native12_GLOBAL__N_124unique_dim_cuda_templateIN3c108BFloat16EEESt5tupleIJNSF_6TensorESM_SM_EERKSM_lbbbEUlllE0_EEPmJS9_EEE10hipError_tPvRmT3_T4_T5_T6_T7_T9_mT8_P12ihipStream_tbDpT10_ENKUlT_T0_E_clISt17integral_constantIbLb0EES1B_IbLb1EEEEDaS17_S18_EUlS17_E_NS1_11comp_targetILNS1_3genE3ELNS1_11target_archE908ELNS1_3gpuE7ELNS1_3repE0EEENS1_30default_config_static_selectorELNS0_4arch9wavefront6targetE1EEEvT1_,"axG",@progbits,_ZN7rocprim17ROCPRIM_400000_NS6detail17trampoline_kernelINS0_14default_configENS1_25partition_config_selectorILNS1_17partition_subalgoE9EllbEEZZNS1_14partition_implILS5_9ELb0ES3_jPlS8_PNS0_10empty_typeENS0_5tupleIJS8_S9_EEENSB_IJS8_SA_EEENS0_18inequality_wrapperIZN2at6native12_GLOBAL__N_124unique_dim_cuda_templateIN3c108BFloat16EEESt5tupleIJNSF_6TensorESM_SM_EERKSM_lbbbEUlllE0_EEPmJS9_EEE10hipError_tPvRmT3_T4_T5_T6_T7_T9_mT8_P12ihipStream_tbDpT10_ENKUlT_T0_E_clISt17integral_constantIbLb0EES1B_IbLb1EEEEDaS17_S18_EUlS17_E_NS1_11comp_targetILNS1_3genE3ELNS1_11target_archE908ELNS1_3gpuE7ELNS1_3repE0EEENS1_30default_config_static_selectorELNS0_4arch9wavefront6targetE1EEEvT1_,comdat
.Lfunc_end1233:
	.size	_ZN7rocprim17ROCPRIM_400000_NS6detail17trampoline_kernelINS0_14default_configENS1_25partition_config_selectorILNS1_17partition_subalgoE9EllbEEZZNS1_14partition_implILS5_9ELb0ES3_jPlS8_PNS0_10empty_typeENS0_5tupleIJS8_S9_EEENSB_IJS8_SA_EEENS0_18inequality_wrapperIZN2at6native12_GLOBAL__N_124unique_dim_cuda_templateIN3c108BFloat16EEESt5tupleIJNSF_6TensorESM_SM_EERKSM_lbbbEUlllE0_EEPmJS9_EEE10hipError_tPvRmT3_T4_T5_T6_T7_T9_mT8_P12ihipStream_tbDpT10_ENKUlT_T0_E_clISt17integral_constantIbLb0EES1B_IbLb1EEEEDaS17_S18_EUlS17_E_NS1_11comp_targetILNS1_3genE3ELNS1_11target_archE908ELNS1_3gpuE7ELNS1_3repE0EEENS1_30default_config_static_selectorELNS0_4arch9wavefront6targetE1EEEvT1_, .Lfunc_end1233-_ZN7rocprim17ROCPRIM_400000_NS6detail17trampoline_kernelINS0_14default_configENS1_25partition_config_selectorILNS1_17partition_subalgoE9EllbEEZZNS1_14partition_implILS5_9ELb0ES3_jPlS8_PNS0_10empty_typeENS0_5tupleIJS8_S9_EEENSB_IJS8_SA_EEENS0_18inequality_wrapperIZN2at6native12_GLOBAL__N_124unique_dim_cuda_templateIN3c108BFloat16EEESt5tupleIJNSF_6TensorESM_SM_EERKSM_lbbbEUlllE0_EEPmJS9_EEE10hipError_tPvRmT3_T4_T5_T6_T7_T9_mT8_P12ihipStream_tbDpT10_ENKUlT_T0_E_clISt17integral_constantIbLb0EES1B_IbLb1EEEEDaS17_S18_EUlS17_E_NS1_11comp_targetILNS1_3genE3ELNS1_11target_archE908ELNS1_3gpuE7ELNS1_3repE0EEENS1_30default_config_static_selectorELNS0_4arch9wavefront6targetE1EEEvT1_
                                        ; -- End function
	.set _ZN7rocprim17ROCPRIM_400000_NS6detail17trampoline_kernelINS0_14default_configENS1_25partition_config_selectorILNS1_17partition_subalgoE9EllbEEZZNS1_14partition_implILS5_9ELb0ES3_jPlS8_PNS0_10empty_typeENS0_5tupleIJS8_S9_EEENSB_IJS8_SA_EEENS0_18inequality_wrapperIZN2at6native12_GLOBAL__N_124unique_dim_cuda_templateIN3c108BFloat16EEESt5tupleIJNSF_6TensorESM_SM_EERKSM_lbbbEUlllE0_EEPmJS9_EEE10hipError_tPvRmT3_T4_T5_T6_T7_T9_mT8_P12ihipStream_tbDpT10_ENKUlT_T0_E_clISt17integral_constantIbLb0EES1B_IbLb1EEEEDaS17_S18_EUlS17_E_NS1_11comp_targetILNS1_3genE3ELNS1_11target_archE908ELNS1_3gpuE7ELNS1_3repE0EEENS1_30default_config_static_selectorELNS0_4arch9wavefront6targetE1EEEvT1_.num_vgpr, 0
	.set _ZN7rocprim17ROCPRIM_400000_NS6detail17trampoline_kernelINS0_14default_configENS1_25partition_config_selectorILNS1_17partition_subalgoE9EllbEEZZNS1_14partition_implILS5_9ELb0ES3_jPlS8_PNS0_10empty_typeENS0_5tupleIJS8_S9_EEENSB_IJS8_SA_EEENS0_18inequality_wrapperIZN2at6native12_GLOBAL__N_124unique_dim_cuda_templateIN3c108BFloat16EEESt5tupleIJNSF_6TensorESM_SM_EERKSM_lbbbEUlllE0_EEPmJS9_EEE10hipError_tPvRmT3_T4_T5_T6_T7_T9_mT8_P12ihipStream_tbDpT10_ENKUlT_T0_E_clISt17integral_constantIbLb0EES1B_IbLb1EEEEDaS17_S18_EUlS17_E_NS1_11comp_targetILNS1_3genE3ELNS1_11target_archE908ELNS1_3gpuE7ELNS1_3repE0EEENS1_30default_config_static_selectorELNS0_4arch9wavefront6targetE1EEEvT1_.num_agpr, 0
	.set _ZN7rocprim17ROCPRIM_400000_NS6detail17trampoline_kernelINS0_14default_configENS1_25partition_config_selectorILNS1_17partition_subalgoE9EllbEEZZNS1_14partition_implILS5_9ELb0ES3_jPlS8_PNS0_10empty_typeENS0_5tupleIJS8_S9_EEENSB_IJS8_SA_EEENS0_18inequality_wrapperIZN2at6native12_GLOBAL__N_124unique_dim_cuda_templateIN3c108BFloat16EEESt5tupleIJNSF_6TensorESM_SM_EERKSM_lbbbEUlllE0_EEPmJS9_EEE10hipError_tPvRmT3_T4_T5_T6_T7_T9_mT8_P12ihipStream_tbDpT10_ENKUlT_T0_E_clISt17integral_constantIbLb0EES1B_IbLb1EEEEDaS17_S18_EUlS17_E_NS1_11comp_targetILNS1_3genE3ELNS1_11target_archE908ELNS1_3gpuE7ELNS1_3repE0EEENS1_30default_config_static_selectorELNS0_4arch9wavefront6targetE1EEEvT1_.numbered_sgpr, 0
	.set _ZN7rocprim17ROCPRIM_400000_NS6detail17trampoline_kernelINS0_14default_configENS1_25partition_config_selectorILNS1_17partition_subalgoE9EllbEEZZNS1_14partition_implILS5_9ELb0ES3_jPlS8_PNS0_10empty_typeENS0_5tupleIJS8_S9_EEENSB_IJS8_SA_EEENS0_18inequality_wrapperIZN2at6native12_GLOBAL__N_124unique_dim_cuda_templateIN3c108BFloat16EEESt5tupleIJNSF_6TensorESM_SM_EERKSM_lbbbEUlllE0_EEPmJS9_EEE10hipError_tPvRmT3_T4_T5_T6_T7_T9_mT8_P12ihipStream_tbDpT10_ENKUlT_T0_E_clISt17integral_constantIbLb0EES1B_IbLb1EEEEDaS17_S18_EUlS17_E_NS1_11comp_targetILNS1_3genE3ELNS1_11target_archE908ELNS1_3gpuE7ELNS1_3repE0EEENS1_30default_config_static_selectorELNS0_4arch9wavefront6targetE1EEEvT1_.num_named_barrier, 0
	.set _ZN7rocprim17ROCPRIM_400000_NS6detail17trampoline_kernelINS0_14default_configENS1_25partition_config_selectorILNS1_17partition_subalgoE9EllbEEZZNS1_14partition_implILS5_9ELb0ES3_jPlS8_PNS0_10empty_typeENS0_5tupleIJS8_S9_EEENSB_IJS8_SA_EEENS0_18inequality_wrapperIZN2at6native12_GLOBAL__N_124unique_dim_cuda_templateIN3c108BFloat16EEESt5tupleIJNSF_6TensorESM_SM_EERKSM_lbbbEUlllE0_EEPmJS9_EEE10hipError_tPvRmT3_T4_T5_T6_T7_T9_mT8_P12ihipStream_tbDpT10_ENKUlT_T0_E_clISt17integral_constantIbLb0EES1B_IbLb1EEEEDaS17_S18_EUlS17_E_NS1_11comp_targetILNS1_3genE3ELNS1_11target_archE908ELNS1_3gpuE7ELNS1_3repE0EEENS1_30default_config_static_selectorELNS0_4arch9wavefront6targetE1EEEvT1_.private_seg_size, 0
	.set _ZN7rocprim17ROCPRIM_400000_NS6detail17trampoline_kernelINS0_14default_configENS1_25partition_config_selectorILNS1_17partition_subalgoE9EllbEEZZNS1_14partition_implILS5_9ELb0ES3_jPlS8_PNS0_10empty_typeENS0_5tupleIJS8_S9_EEENSB_IJS8_SA_EEENS0_18inequality_wrapperIZN2at6native12_GLOBAL__N_124unique_dim_cuda_templateIN3c108BFloat16EEESt5tupleIJNSF_6TensorESM_SM_EERKSM_lbbbEUlllE0_EEPmJS9_EEE10hipError_tPvRmT3_T4_T5_T6_T7_T9_mT8_P12ihipStream_tbDpT10_ENKUlT_T0_E_clISt17integral_constantIbLb0EES1B_IbLb1EEEEDaS17_S18_EUlS17_E_NS1_11comp_targetILNS1_3genE3ELNS1_11target_archE908ELNS1_3gpuE7ELNS1_3repE0EEENS1_30default_config_static_selectorELNS0_4arch9wavefront6targetE1EEEvT1_.uses_vcc, 0
	.set _ZN7rocprim17ROCPRIM_400000_NS6detail17trampoline_kernelINS0_14default_configENS1_25partition_config_selectorILNS1_17partition_subalgoE9EllbEEZZNS1_14partition_implILS5_9ELb0ES3_jPlS8_PNS0_10empty_typeENS0_5tupleIJS8_S9_EEENSB_IJS8_SA_EEENS0_18inequality_wrapperIZN2at6native12_GLOBAL__N_124unique_dim_cuda_templateIN3c108BFloat16EEESt5tupleIJNSF_6TensorESM_SM_EERKSM_lbbbEUlllE0_EEPmJS9_EEE10hipError_tPvRmT3_T4_T5_T6_T7_T9_mT8_P12ihipStream_tbDpT10_ENKUlT_T0_E_clISt17integral_constantIbLb0EES1B_IbLb1EEEEDaS17_S18_EUlS17_E_NS1_11comp_targetILNS1_3genE3ELNS1_11target_archE908ELNS1_3gpuE7ELNS1_3repE0EEENS1_30default_config_static_selectorELNS0_4arch9wavefront6targetE1EEEvT1_.uses_flat_scratch, 0
	.set _ZN7rocprim17ROCPRIM_400000_NS6detail17trampoline_kernelINS0_14default_configENS1_25partition_config_selectorILNS1_17partition_subalgoE9EllbEEZZNS1_14partition_implILS5_9ELb0ES3_jPlS8_PNS0_10empty_typeENS0_5tupleIJS8_S9_EEENSB_IJS8_SA_EEENS0_18inequality_wrapperIZN2at6native12_GLOBAL__N_124unique_dim_cuda_templateIN3c108BFloat16EEESt5tupleIJNSF_6TensorESM_SM_EERKSM_lbbbEUlllE0_EEPmJS9_EEE10hipError_tPvRmT3_T4_T5_T6_T7_T9_mT8_P12ihipStream_tbDpT10_ENKUlT_T0_E_clISt17integral_constantIbLb0EES1B_IbLb1EEEEDaS17_S18_EUlS17_E_NS1_11comp_targetILNS1_3genE3ELNS1_11target_archE908ELNS1_3gpuE7ELNS1_3repE0EEENS1_30default_config_static_selectorELNS0_4arch9wavefront6targetE1EEEvT1_.has_dyn_sized_stack, 0
	.set _ZN7rocprim17ROCPRIM_400000_NS6detail17trampoline_kernelINS0_14default_configENS1_25partition_config_selectorILNS1_17partition_subalgoE9EllbEEZZNS1_14partition_implILS5_9ELb0ES3_jPlS8_PNS0_10empty_typeENS0_5tupleIJS8_S9_EEENSB_IJS8_SA_EEENS0_18inequality_wrapperIZN2at6native12_GLOBAL__N_124unique_dim_cuda_templateIN3c108BFloat16EEESt5tupleIJNSF_6TensorESM_SM_EERKSM_lbbbEUlllE0_EEPmJS9_EEE10hipError_tPvRmT3_T4_T5_T6_T7_T9_mT8_P12ihipStream_tbDpT10_ENKUlT_T0_E_clISt17integral_constantIbLb0EES1B_IbLb1EEEEDaS17_S18_EUlS17_E_NS1_11comp_targetILNS1_3genE3ELNS1_11target_archE908ELNS1_3gpuE7ELNS1_3repE0EEENS1_30default_config_static_selectorELNS0_4arch9wavefront6targetE1EEEvT1_.has_recursion, 0
	.set _ZN7rocprim17ROCPRIM_400000_NS6detail17trampoline_kernelINS0_14default_configENS1_25partition_config_selectorILNS1_17partition_subalgoE9EllbEEZZNS1_14partition_implILS5_9ELb0ES3_jPlS8_PNS0_10empty_typeENS0_5tupleIJS8_S9_EEENSB_IJS8_SA_EEENS0_18inequality_wrapperIZN2at6native12_GLOBAL__N_124unique_dim_cuda_templateIN3c108BFloat16EEESt5tupleIJNSF_6TensorESM_SM_EERKSM_lbbbEUlllE0_EEPmJS9_EEE10hipError_tPvRmT3_T4_T5_T6_T7_T9_mT8_P12ihipStream_tbDpT10_ENKUlT_T0_E_clISt17integral_constantIbLb0EES1B_IbLb1EEEEDaS17_S18_EUlS17_E_NS1_11comp_targetILNS1_3genE3ELNS1_11target_archE908ELNS1_3gpuE7ELNS1_3repE0EEENS1_30default_config_static_selectorELNS0_4arch9wavefront6targetE1EEEvT1_.has_indirect_call, 0
	.section	.AMDGPU.csdata,"",@progbits
; Kernel info:
; codeLenInByte = 0
; TotalNumSgprs: 6
; NumVgprs: 0
; NumAgprs: 0
; TotalNumVgprs: 0
; ScratchSize: 0
; MemoryBound: 0
; FloatMode: 240
; IeeeMode: 1
; LDSByteSize: 0 bytes/workgroup (compile time only)
; SGPRBlocks: 0
; VGPRBlocks: 0
; NumSGPRsForWavesPerEU: 6
; NumVGPRsForWavesPerEU: 1
; AccumOffset: 4
; Occupancy: 8
; WaveLimiterHint : 0
; COMPUTE_PGM_RSRC2:SCRATCH_EN: 0
; COMPUTE_PGM_RSRC2:USER_SGPR: 2
; COMPUTE_PGM_RSRC2:TRAP_HANDLER: 0
; COMPUTE_PGM_RSRC2:TGID_X_EN: 1
; COMPUTE_PGM_RSRC2:TGID_Y_EN: 0
; COMPUTE_PGM_RSRC2:TGID_Z_EN: 0
; COMPUTE_PGM_RSRC2:TIDIG_COMP_CNT: 0
; COMPUTE_PGM_RSRC3_GFX90A:ACCUM_OFFSET: 0
; COMPUTE_PGM_RSRC3_GFX90A:TG_SPLIT: 0
	.section	.text._ZN7rocprim17ROCPRIM_400000_NS6detail17trampoline_kernelINS0_14default_configENS1_25partition_config_selectorILNS1_17partition_subalgoE9EllbEEZZNS1_14partition_implILS5_9ELb0ES3_jPlS8_PNS0_10empty_typeENS0_5tupleIJS8_S9_EEENSB_IJS8_SA_EEENS0_18inequality_wrapperIZN2at6native12_GLOBAL__N_124unique_dim_cuda_templateIN3c108BFloat16EEESt5tupleIJNSF_6TensorESM_SM_EERKSM_lbbbEUlllE0_EEPmJS9_EEE10hipError_tPvRmT3_T4_T5_T6_T7_T9_mT8_P12ihipStream_tbDpT10_ENKUlT_T0_E_clISt17integral_constantIbLb0EES1B_IbLb1EEEEDaS17_S18_EUlS17_E_NS1_11comp_targetILNS1_3genE2ELNS1_11target_archE906ELNS1_3gpuE6ELNS1_3repE0EEENS1_30default_config_static_selectorELNS0_4arch9wavefront6targetE1EEEvT1_,"axG",@progbits,_ZN7rocprim17ROCPRIM_400000_NS6detail17trampoline_kernelINS0_14default_configENS1_25partition_config_selectorILNS1_17partition_subalgoE9EllbEEZZNS1_14partition_implILS5_9ELb0ES3_jPlS8_PNS0_10empty_typeENS0_5tupleIJS8_S9_EEENSB_IJS8_SA_EEENS0_18inequality_wrapperIZN2at6native12_GLOBAL__N_124unique_dim_cuda_templateIN3c108BFloat16EEESt5tupleIJNSF_6TensorESM_SM_EERKSM_lbbbEUlllE0_EEPmJS9_EEE10hipError_tPvRmT3_T4_T5_T6_T7_T9_mT8_P12ihipStream_tbDpT10_ENKUlT_T0_E_clISt17integral_constantIbLb0EES1B_IbLb1EEEEDaS17_S18_EUlS17_E_NS1_11comp_targetILNS1_3genE2ELNS1_11target_archE906ELNS1_3gpuE6ELNS1_3repE0EEENS1_30default_config_static_selectorELNS0_4arch9wavefront6targetE1EEEvT1_,comdat
	.globl	_ZN7rocprim17ROCPRIM_400000_NS6detail17trampoline_kernelINS0_14default_configENS1_25partition_config_selectorILNS1_17partition_subalgoE9EllbEEZZNS1_14partition_implILS5_9ELb0ES3_jPlS8_PNS0_10empty_typeENS0_5tupleIJS8_S9_EEENSB_IJS8_SA_EEENS0_18inequality_wrapperIZN2at6native12_GLOBAL__N_124unique_dim_cuda_templateIN3c108BFloat16EEESt5tupleIJNSF_6TensorESM_SM_EERKSM_lbbbEUlllE0_EEPmJS9_EEE10hipError_tPvRmT3_T4_T5_T6_T7_T9_mT8_P12ihipStream_tbDpT10_ENKUlT_T0_E_clISt17integral_constantIbLb0EES1B_IbLb1EEEEDaS17_S18_EUlS17_E_NS1_11comp_targetILNS1_3genE2ELNS1_11target_archE906ELNS1_3gpuE6ELNS1_3repE0EEENS1_30default_config_static_selectorELNS0_4arch9wavefront6targetE1EEEvT1_ ; -- Begin function _ZN7rocprim17ROCPRIM_400000_NS6detail17trampoline_kernelINS0_14default_configENS1_25partition_config_selectorILNS1_17partition_subalgoE9EllbEEZZNS1_14partition_implILS5_9ELb0ES3_jPlS8_PNS0_10empty_typeENS0_5tupleIJS8_S9_EEENSB_IJS8_SA_EEENS0_18inequality_wrapperIZN2at6native12_GLOBAL__N_124unique_dim_cuda_templateIN3c108BFloat16EEESt5tupleIJNSF_6TensorESM_SM_EERKSM_lbbbEUlllE0_EEPmJS9_EEE10hipError_tPvRmT3_T4_T5_T6_T7_T9_mT8_P12ihipStream_tbDpT10_ENKUlT_T0_E_clISt17integral_constantIbLb0EES1B_IbLb1EEEEDaS17_S18_EUlS17_E_NS1_11comp_targetILNS1_3genE2ELNS1_11target_archE906ELNS1_3gpuE6ELNS1_3repE0EEENS1_30default_config_static_selectorELNS0_4arch9wavefront6targetE1EEEvT1_
	.p2align	8
	.type	_ZN7rocprim17ROCPRIM_400000_NS6detail17trampoline_kernelINS0_14default_configENS1_25partition_config_selectorILNS1_17partition_subalgoE9EllbEEZZNS1_14partition_implILS5_9ELb0ES3_jPlS8_PNS0_10empty_typeENS0_5tupleIJS8_S9_EEENSB_IJS8_SA_EEENS0_18inequality_wrapperIZN2at6native12_GLOBAL__N_124unique_dim_cuda_templateIN3c108BFloat16EEESt5tupleIJNSF_6TensorESM_SM_EERKSM_lbbbEUlllE0_EEPmJS9_EEE10hipError_tPvRmT3_T4_T5_T6_T7_T9_mT8_P12ihipStream_tbDpT10_ENKUlT_T0_E_clISt17integral_constantIbLb0EES1B_IbLb1EEEEDaS17_S18_EUlS17_E_NS1_11comp_targetILNS1_3genE2ELNS1_11target_archE906ELNS1_3gpuE6ELNS1_3repE0EEENS1_30default_config_static_selectorELNS0_4arch9wavefront6targetE1EEEvT1_,@function
_ZN7rocprim17ROCPRIM_400000_NS6detail17trampoline_kernelINS0_14default_configENS1_25partition_config_selectorILNS1_17partition_subalgoE9EllbEEZZNS1_14partition_implILS5_9ELb0ES3_jPlS8_PNS0_10empty_typeENS0_5tupleIJS8_S9_EEENSB_IJS8_SA_EEENS0_18inequality_wrapperIZN2at6native12_GLOBAL__N_124unique_dim_cuda_templateIN3c108BFloat16EEESt5tupleIJNSF_6TensorESM_SM_EERKSM_lbbbEUlllE0_EEPmJS9_EEE10hipError_tPvRmT3_T4_T5_T6_T7_T9_mT8_P12ihipStream_tbDpT10_ENKUlT_T0_E_clISt17integral_constantIbLb0EES1B_IbLb1EEEEDaS17_S18_EUlS17_E_NS1_11comp_targetILNS1_3genE2ELNS1_11target_archE906ELNS1_3gpuE6ELNS1_3repE0EEENS1_30default_config_static_selectorELNS0_4arch9wavefront6targetE1EEEvT1_: ; @_ZN7rocprim17ROCPRIM_400000_NS6detail17trampoline_kernelINS0_14default_configENS1_25partition_config_selectorILNS1_17partition_subalgoE9EllbEEZZNS1_14partition_implILS5_9ELb0ES3_jPlS8_PNS0_10empty_typeENS0_5tupleIJS8_S9_EEENSB_IJS8_SA_EEENS0_18inequality_wrapperIZN2at6native12_GLOBAL__N_124unique_dim_cuda_templateIN3c108BFloat16EEESt5tupleIJNSF_6TensorESM_SM_EERKSM_lbbbEUlllE0_EEPmJS9_EEE10hipError_tPvRmT3_T4_T5_T6_T7_T9_mT8_P12ihipStream_tbDpT10_ENKUlT_T0_E_clISt17integral_constantIbLb0EES1B_IbLb1EEEEDaS17_S18_EUlS17_E_NS1_11comp_targetILNS1_3genE2ELNS1_11target_archE906ELNS1_3gpuE6ELNS1_3repE0EEENS1_30default_config_static_selectorELNS0_4arch9wavefront6targetE1EEEvT1_
; %bb.0:
	.section	.rodata,"a",@progbits
	.p2align	6, 0x0
	.amdhsa_kernel _ZN7rocprim17ROCPRIM_400000_NS6detail17trampoline_kernelINS0_14default_configENS1_25partition_config_selectorILNS1_17partition_subalgoE9EllbEEZZNS1_14partition_implILS5_9ELb0ES3_jPlS8_PNS0_10empty_typeENS0_5tupleIJS8_S9_EEENSB_IJS8_SA_EEENS0_18inequality_wrapperIZN2at6native12_GLOBAL__N_124unique_dim_cuda_templateIN3c108BFloat16EEESt5tupleIJNSF_6TensorESM_SM_EERKSM_lbbbEUlllE0_EEPmJS9_EEE10hipError_tPvRmT3_T4_T5_T6_T7_T9_mT8_P12ihipStream_tbDpT10_ENKUlT_T0_E_clISt17integral_constantIbLb0EES1B_IbLb1EEEEDaS17_S18_EUlS17_E_NS1_11comp_targetILNS1_3genE2ELNS1_11target_archE906ELNS1_3gpuE6ELNS1_3repE0EEENS1_30default_config_static_selectorELNS0_4arch9wavefront6targetE1EEEvT1_
		.amdhsa_group_segment_fixed_size 0
		.amdhsa_private_segment_fixed_size 0
		.amdhsa_kernarg_size 136
		.amdhsa_user_sgpr_count 2
		.amdhsa_user_sgpr_dispatch_ptr 0
		.amdhsa_user_sgpr_queue_ptr 0
		.amdhsa_user_sgpr_kernarg_segment_ptr 1
		.amdhsa_user_sgpr_dispatch_id 0
		.amdhsa_user_sgpr_kernarg_preload_length 0
		.amdhsa_user_sgpr_kernarg_preload_offset 0
		.amdhsa_user_sgpr_private_segment_size 0
		.amdhsa_uses_dynamic_stack 0
		.amdhsa_enable_private_segment 0
		.amdhsa_system_sgpr_workgroup_id_x 1
		.amdhsa_system_sgpr_workgroup_id_y 0
		.amdhsa_system_sgpr_workgroup_id_z 0
		.amdhsa_system_sgpr_workgroup_info 0
		.amdhsa_system_vgpr_workitem_id 0
		.amdhsa_next_free_vgpr 1
		.amdhsa_next_free_sgpr 0
		.amdhsa_accum_offset 4
		.amdhsa_reserve_vcc 0
		.amdhsa_float_round_mode_32 0
		.amdhsa_float_round_mode_16_64 0
		.amdhsa_float_denorm_mode_32 3
		.amdhsa_float_denorm_mode_16_64 3
		.amdhsa_dx10_clamp 1
		.amdhsa_ieee_mode 1
		.amdhsa_fp16_overflow 0
		.amdhsa_tg_split 0
		.amdhsa_exception_fp_ieee_invalid_op 0
		.amdhsa_exception_fp_denorm_src 0
		.amdhsa_exception_fp_ieee_div_zero 0
		.amdhsa_exception_fp_ieee_overflow 0
		.amdhsa_exception_fp_ieee_underflow 0
		.amdhsa_exception_fp_ieee_inexact 0
		.amdhsa_exception_int_div_zero 0
	.end_amdhsa_kernel
	.section	.text._ZN7rocprim17ROCPRIM_400000_NS6detail17trampoline_kernelINS0_14default_configENS1_25partition_config_selectorILNS1_17partition_subalgoE9EllbEEZZNS1_14partition_implILS5_9ELb0ES3_jPlS8_PNS0_10empty_typeENS0_5tupleIJS8_S9_EEENSB_IJS8_SA_EEENS0_18inequality_wrapperIZN2at6native12_GLOBAL__N_124unique_dim_cuda_templateIN3c108BFloat16EEESt5tupleIJNSF_6TensorESM_SM_EERKSM_lbbbEUlllE0_EEPmJS9_EEE10hipError_tPvRmT3_T4_T5_T6_T7_T9_mT8_P12ihipStream_tbDpT10_ENKUlT_T0_E_clISt17integral_constantIbLb0EES1B_IbLb1EEEEDaS17_S18_EUlS17_E_NS1_11comp_targetILNS1_3genE2ELNS1_11target_archE906ELNS1_3gpuE6ELNS1_3repE0EEENS1_30default_config_static_selectorELNS0_4arch9wavefront6targetE1EEEvT1_,"axG",@progbits,_ZN7rocprim17ROCPRIM_400000_NS6detail17trampoline_kernelINS0_14default_configENS1_25partition_config_selectorILNS1_17partition_subalgoE9EllbEEZZNS1_14partition_implILS5_9ELb0ES3_jPlS8_PNS0_10empty_typeENS0_5tupleIJS8_S9_EEENSB_IJS8_SA_EEENS0_18inequality_wrapperIZN2at6native12_GLOBAL__N_124unique_dim_cuda_templateIN3c108BFloat16EEESt5tupleIJNSF_6TensorESM_SM_EERKSM_lbbbEUlllE0_EEPmJS9_EEE10hipError_tPvRmT3_T4_T5_T6_T7_T9_mT8_P12ihipStream_tbDpT10_ENKUlT_T0_E_clISt17integral_constantIbLb0EES1B_IbLb1EEEEDaS17_S18_EUlS17_E_NS1_11comp_targetILNS1_3genE2ELNS1_11target_archE906ELNS1_3gpuE6ELNS1_3repE0EEENS1_30default_config_static_selectorELNS0_4arch9wavefront6targetE1EEEvT1_,comdat
.Lfunc_end1234:
	.size	_ZN7rocprim17ROCPRIM_400000_NS6detail17trampoline_kernelINS0_14default_configENS1_25partition_config_selectorILNS1_17partition_subalgoE9EllbEEZZNS1_14partition_implILS5_9ELb0ES3_jPlS8_PNS0_10empty_typeENS0_5tupleIJS8_S9_EEENSB_IJS8_SA_EEENS0_18inequality_wrapperIZN2at6native12_GLOBAL__N_124unique_dim_cuda_templateIN3c108BFloat16EEESt5tupleIJNSF_6TensorESM_SM_EERKSM_lbbbEUlllE0_EEPmJS9_EEE10hipError_tPvRmT3_T4_T5_T6_T7_T9_mT8_P12ihipStream_tbDpT10_ENKUlT_T0_E_clISt17integral_constantIbLb0EES1B_IbLb1EEEEDaS17_S18_EUlS17_E_NS1_11comp_targetILNS1_3genE2ELNS1_11target_archE906ELNS1_3gpuE6ELNS1_3repE0EEENS1_30default_config_static_selectorELNS0_4arch9wavefront6targetE1EEEvT1_, .Lfunc_end1234-_ZN7rocprim17ROCPRIM_400000_NS6detail17trampoline_kernelINS0_14default_configENS1_25partition_config_selectorILNS1_17partition_subalgoE9EllbEEZZNS1_14partition_implILS5_9ELb0ES3_jPlS8_PNS0_10empty_typeENS0_5tupleIJS8_S9_EEENSB_IJS8_SA_EEENS0_18inequality_wrapperIZN2at6native12_GLOBAL__N_124unique_dim_cuda_templateIN3c108BFloat16EEESt5tupleIJNSF_6TensorESM_SM_EERKSM_lbbbEUlllE0_EEPmJS9_EEE10hipError_tPvRmT3_T4_T5_T6_T7_T9_mT8_P12ihipStream_tbDpT10_ENKUlT_T0_E_clISt17integral_constantIbLb0EES1B_IbLb1EEEEDaS17_S18_EUlS17_E_NS1_11comp_targetILNS1_3genE2ELNS1_11target_archE906ELNS1_3gpuE6ELNS1_3repE0EEENS1_30default_config_static_selectorELNS0_4arch9wavefront6targetE1EEEvT1_
                                        ; -- End function
	.set _ZN7rocprim17ROCPRIM_400000_NS6detail17trampoline_kernelINS0_14default_configENS1_25partition_config_selectorILNS1_17partition_subalgoE9EllbEEZZNS1_14partition_implILS5_9ELb0ES3_jPlS8_PNS0_10empty_typeENS0_5tupleIJS8_S9_EEENSB_IJS8_SA_EEENS0_18inequality_wrapperIZN2at6native12_GLOBAL__N_124unique_dim_cuda_templateIN3c108BFloat16EEESt5tupleIJNSF_6TensorESM_SM_EERKSM_lbbbEUlllE0_EEPmJS9_EEE10hipError_tPvRmT3_T4_T5_T6_T7_T9_mT8_P12ihipStream_tbDpT10_ENKUlT_T0_E_clISt17integral_constantIbLb0EES1B_IbLb1EEEEDaS17_S18_EUlS17_E_NS1_11comp_targetILNS1_3genE2ELNS1_11target_archE906ELNS1_3gpuE6ELNS1_3repE0EEENS1_30default_config_static_selectorELNS0_4arch9wavefront6targetE1EEEvT1_.num_vgpr, 0
	.set _ZN7rocprim17ROCPRIM_400000_NS6detail17trampoline_kernelINS0_14default_configENS1_25partition_config_selectorILNS1_17partition_subalgoE9EllbEEZZNS1_14partition_implILS5_9ELb0ES3_jPlS8_PNS0_10empty_typeENS0_5tupleIJS8_S9_EEENSB_IJS8_SA_EEENS0_18inequality_wrapperIZN2at6native12_GLOBAL__N_124unique_dim_cuda_templateIN3c108BFloat16EEESt5tupleIJNSF_6TensorESM_SM_EERKSM_lbbbEUlllE0_EEPmJS9_EEE10hipError_tPvRmT3_T4_T5_T6_T7_T9_mT8_P12ihipStream_tbDpT10_ENKUlT_T0_E_clISt17integral_constantIbLb0EES1B_IbLb1EEEEDaS17_S18_EUlS17_E_NS1_11comp_targetILNS1_3genE2ELNS1_11target_archE906ELNS1_3gpuE6ELNS1_3repE0EEENS1_30default_config_static_selectorELNS0_4arch9wavefront6targetE1EEEvT1_.num_agpr, 0
	.set _ZN7rocprim17ROCPRIM_400000_NS6detail17trampoline_kernelINS0_14default_configENS1_25partition_config_selectorILNS1_17partition_subalgoE9EllbEEZZNS1_14partition_implILS5_9ELb0ES3_jPlS8_PNS0_10empty_typeENS0_5tupleIJS8_S9_EEENSB_IJS8_SA_EEENS0_18inequality_wrapperIZN2at6native12_GLOBAL__N_124unique_dim_cuda_templateIN3c108BFloat16EEESt5tupleIJNSF_6TensorESM_SM_EERKSM_lbbbEUlllE0_EEPmJS9_EEE10hipError_tPvRmT3_T4_T5_T6_T7_T9_mT8_P12ihipStream_tbDpT10_ENKUlT_T0_E_clISt17integral_constantIbLb0EES1B_IbLb1EEEEDaS17_S18_EUlS17_E_NS1_11comp_targetILNS1_3genE2ELNS1_11target_archE906ELNS1_3gpuE6ELNS1_3repE0EEENS1_30default_config_static_selectorELNS0_4arch9wavefront6targetE1EEEvT1_.numbered_sgpr, 0
	.set _ZN7rocprim17ROCPRIM_400000_NS6detail17trampoline_kernelINS0_14default_configENS1_25partition_config_selectorILNS1_17partition_subalgoE9EllbEEZZNS1_14partition_implILS5_9ELb0ES3_jPlS8_PNS0_10empty_typeENS0_5tupleIJS8_S9_EEENSB_IJS8_SA_EEENS0_18inequality_wrapperIZN2at6native12_GLOBAL__N_124unique_dim_cuda_templateIN3c108BFloat16EEESt5tupleIJNSF_6TensorESM_SM_EERKSM_lbbbEUlllE0_EEPmJS9_EEE10hipError_tPvRmT3_T4_T5_T6_T7_T9_mT8_P12ihipStream_tbDpT10_ENKUlT_T0_E_clISt17integral_constantIbLb0EES1B_IbLb1EEEEDaS17_S18_EUlS17_E_NS1_11comp_targetILNS1_3genE2ELNS1_11target_archE906ELNS1_3gpuE6ELNS1_3repE0EEENS1_30default_config_static_selectorELNS0_4arch9wavefront6targetE1EEEvT1_.num_named_barrier, 0
	.set _ZN7rocprim17ROCPRIM_400000_NS6detail17trampoline_kernelINS0_14default_configENS1_25partition_config_selectorILNS1_17partition_subalgoE9EllbEEZZNS1_14partition_implILS5_9ELb0ES3_jPlS8_PNS0_10empty_typeENS0_5tupleIJS8_S9_EEENSB_IJS8_SA_EEENS0_18inequality_wrapperIZN2at6native12_GLOBAL__N_124unique_dim_cuda_templateIN3c108BFloat16EEESt5tupleIJNSF_6TensorESM_SM_EERKSM_lbbbEUlllE0_EEPmJS9_EEE10hipError_tPvRmT3_T4_T5_T6_T7_T9_mT8_P12ihipStream_tbDpT10_ENKUlT_T0_E_clISt17integral_constantIbLb0EES1B_IbLb1EEEEDaS17_S18_EUlS17_E_NS1_11comp_targetILNS1_3genE2ELNS1_11target_archE906ELNS1_3gpuE6ELNS1_3repE0EEENS1_30default_config_static_selectorELNS0_4arch9wavefront6targetE1EEEvT1_.private_seg_size, 0
	.set _ZN7rocprim17ROCPRIM_400000_NS6detail17trampoline_kernelINS0_14default_configENS1_25partition_config_selectorILNS1_17partition_subalgoE9EllbEEZZNS1_14partition_implILS5_9ELb0ES3_jPlS8_PNS0_10empty_typeENS0_5tupleIJS8_S9_EEENSB_IJS8_SA_EEENS0_18inequality_wrapperIZN2at6native12_GLOBAL__N_124unique_dim_cuda_templateIN3c108BFloat16EEESt5tupleIJNSF_6TensorESM_SM_EERKSM_lbbbEUlllE0_EEPmJS9_EEE10hipError_tPvRmT3_T4_T5_T6_T7_T9_mT8_P12ihipStream_tbDpT10_ENKUlT_T0_E_clISt17integral_constantIbLb0EES1B_IbLb1EEEEDaS17_S18_EUlS17_E_NS1_11comp_targetILNS1_3genE2ELNS1_11target_archE906ELNS1_3gpuE6ELNS1_3repE0EEENS1_30default_config_static_selectorELNS0_4arch9wavefront6targetE1EEEvT1_.uses_vcc, 0
	.set _ZN7rocprim17ROCPRIM_400000_NS6detail17trampoline_kernelINS0_14default_configENS1_25partition_config_selectorILNS1_17partition_subalgoE9EllbEEZZNS1_14partition_implILS5_9ELb0ES3_jPlS8_PNS0_10empty_typeENS0_5tupleIJS8_S9_EEENSB_IJS8_SA_EEENS0_18inequality_wrapperIZN2at6native12_GLOBAL__N_124unique_dim_cuda_templateIN3c108BFloat16EEESt5tupleIJNSF_6TensorESM_SM_EERKSM_lbbbEUlllE0_EEPmJS9_EEE10hipError_tPvRmT3_T4_T5_T6_T7_T9_mT8_P12ihipStream_tbDpT10_ENKUlT_T0_E_clISt17integral_constantIbLb0EES1B_IbLb1EEEEDaS17_S18_EUlS17_E_NS1_11comp_targetILNS1_3genE2ELNS1_11target_archE906ELNS1_3gpuE6ELNS1_3repE0EEENS1_30default_config_static_selectorELNS0_4arch9wavefront6targetE1EEEvT1_.uses_flat_scratch, 0
	.set _ZN7rocprim17ROCPRIM_400000_NS6detail17trampoline_kernelINS0_14default_configENS1_25partition_config_selectorILNS1_17partition_subalgoE9EllbEEZZNS1_14partition_implILS5_9ELb0ES3_jPlS8_PNS0_10empty_typeENS0_5tupleIJS8_S9_EEENSB_IJS8_SA_EEENS0_18inequality_wrapperIZN2at6native12_GLOBAL__N_124unique_dim_cuda_templateIN3c108BFloat16EEESt5tupleIJNSF_6TensorESM_SM_EERKSM_lbbbEUlllE0_EEPmJS9_EEE10hipError_tPvRmT3_T4_T5_T6_T7_T9_mT8_P12ihipStream_tbDpT10_ENKUlT_T0_E_clISt17integral_constantIbLb0EES1B_IbLb1EEEEDaS17_S18_EUlS17_E_NS1_11comp_targetILNS1_3genE2ELNS1_11target_archE906ELNS1_3gpuE6ELNS1_3repE0EEENS1_30default_config_static_selectorELNS0_4arch9wavefront6targetE1EEEvT1_.has_dyn_sized_stack, 0
	.set _ZN7rocprim17ROCPRIM_400000_NS6detail17trampoline_kernelINS0_14default_configENS1_25partition_config_selectorILNS1_17partition_subalgoE9EllbEEZZNS1_14partition_implILS5_9ELb0ES3_jPlS8_PNS0_10empty_typeENS0_5tupleIJS8_S9_EEENSB_IJS8_SA_EEENS0_18inequality_wrapperIZN2at6native12_GLOBAL__N_124unique_dim_cuda_templateIN3c108BFloat16EEESt5tupleIJNSF_6TensorESM_SM_EERKSM_lbbbEUlllE0_EEPmJS9_EEE10hipError_tPvRmT3_T4_T5_T6_T7_T9_mT8_P12ihipStream_tbDpT10_ENKUlT_T0_E_clISt17integral_constantIbLb0EES1B_IbLb1EEEEDaS17_S18_EUlS17_E_NS1_11comp_targetILNS1_3genE2ELNS1_11target_archE906ELNS1_3gpuE6ELNS1_3repE0EEENS1_30default_config_static_selectorELNS0_4arch9wavefront6targetE1EEEvT1_.has_recursion, 0
	.set _ZN7rocprim17ROCPRIM_400000_NS6detail17trampoline_kernelINS0_14default_configENS1_25partition_config_selectorILNS1_17partition_subalgoE9EllbEEZZNS1_14partition_implILS5_9ELb0ES3_jPlS8_PNS0_10empty_typeENS0_5tupleIJS8_S9_EEENSB_IJS8_SA_EEENS0_18inequality_wrapperIZN2at6native12_GLOBAL__N_124unique_dim_cuda_templateIN3c108BFloat16EEESt5tupleIJNSF_6TensorESM_SM_EERKSM_lbbbEUlllE0_EEPmJS9_EEE10hipError_tPvRmT3_T4_T5_T6_T7_T9_mT8_P12ihipStream_tbDpT10_ENKUlT_T0_E_clISt17integral_constantIbLb0EES1B_IbLb1EEEEDaS17_S18_EUlS17_E_NS1_11comp_targetILNS1_3genE2ELNS1_11target_archE906ELNS1_3gpuE6ELNS1_3repE0EEENS1_30default_config_static_selectorELNS0_4arch9wavefront6targetE1EEEvT1_.has_indirect_call, 0
	.section	.AMDGPU.csdata,"",@progbits
; Kernel info:
; codeLenInByte = 0
; TotalNumSgprs: 6
; NumVgprs: 0
; NumAgprs: 0
; TotalNumVgprs: 0
; ScratchSize: 0
; MemoryBound: 0
; FloatMode: 240
; IeeeMode: 1
; LDSByteSize: 0 bytes/workgroup (compile time only)
; SGPRBlocks: 0
; VGPRBlocks: 0
; NumSGPRsForWavesPerEU: 6
; NumVGPRsForWavesPerEU: 1
; AccumOffset: 4
; Occupancy: 8
; WaveLimiterHint : 0
; COMPUTE_PGM_RSRC2:SCRATCH_EN: 0
; COMPUTE_PGM_RSRC2:USER_SGPR: 2
; COMPUTE_PGM_RSRC2:TRAP_HANDLER: 0
; COMPUTE_PGM_RSRC2:TGID_X_EN: 1
; COMPUTE_PGM_RSRC2:TGID_Y_EN: 0
; COMPUTE_PGM_RSRC2:TGID_Z_EN: 0
; COMPUTE_PGM_RSRC2:TIDIG_COMP_CNT: 0
; COMPUTE_PGM_RSRC3_GFX90A:ACCUM_OFFSET: 0
; COMPUTE_PGM_RSRC3_GFX90A:TG_SPLIT: 0
	.section	.text._ZN7rocprim17ROCPRIM_400000_NS6detail17trampoline_kernelINS0_14default_configENS1_25partition_config_selectorILNS1_17partition_subalgoE9EllbEEZZNS1_14partition_implILS5_9ELb0ES3_jPlS8_PNS0_10empty_typeENS0_5tupleIJS8_S9_EEENSB_IJS8_SA_EEENS0_18inequality_wrapperIZN2at6native12_GLOBAL__N_124unique_dim_cuda_templateIN3c108BFloat16EEESt5tupleIJNSF_6TensorESM_SM_EERKSM_lbbbEUlllE0_EEPmJS9_EEE10hipError_tPvRmT3_T4_T5_T6_T7_T9_mT8_P12ihipStream_tbDpT10_ENKUlT_T0_E_clISt17integral_constantIbLb0EES1B_IbLb1EEEEDaS17_S18_EUlS17_E_NS1_11comp_targetILNS1_3genE10ELNS1_11target_archE1200ELNS1_3gpuE4ELNS1_3repE0EEENS1_30default_config_static_selectorELNS0_4arch9wavefront6targetE1EEEvT1_,"axG",@progbits,_ZN7rocprim17ROCPRIM_400000_NS6detail17trampoline_kernelINS0_14default_configENS1_25partition_config_selectorILNS1_17partition_subalgoE9EllbEEZZNS1_14partition_implILS5_9ELb0ES3_jPlS8_PNS0_10empty_typeENS0_5tupleIJS8_S9_EEENSB_IJS8_SA_EEENS0_18inequality_wrapperIZN2at6native12_GLOBAL__N_124unique_dim_cuda_templateIN3c108BFloat16EEESt5tupleIJNSF_6TensorESM_SM_EERKSM_lbbbEUlllE0_EEPmJS9_EEE10hipError_tPvRmT3_T4_T5_T6_T7_T9_mT8_P12ihipStream_tbDpT10_ENKUlT_T0_E_clISt17integral_constantIbLb0EES1B_IbLb1EEEEDaS17_S18_EUlS17_E_NS1_11comp_targetILNS1_3genE10ELNS1_11target_archE1200ELNS1_3gpuE4ELNS1_3repE0EEENS1_30default_config_static_selectorELNS0_4arch9wavefront6targetE1EEEvT1_,comdat
	.globl	_ZN7rocprim17ROCPRIM_400000_NS6detail17trampoline_kernelINS0_14default_configENS1_25partition_config_selectorILNS1_17partition_subalgoE9EllbEEZZNS1_14partition_implILS5_9ELb0ES3_jPlS8_PNS0_10empty_typeENS0_5tupleIJS8_S9_EEENSB_IJS8_SA_EEENS0_18inequality_wrapperIZN2at6native12_GLOBAL__N_124unique_dim_cuda_templateIN3c108BFloat16EEESt5tupleIJNSF_6TensorESM_SM_EERKSM_lbbbEUlllE0_EEPmJS9_EEE10hipError_tPvRmT3_T4_T5_T6_T7_T9_mT8_P12ihipStream_tbDpT10_ENKUlT_T0_E_clISt17integral_constantIbLb0EES1B_IbLb1EEEEDaS17_S18_EUlS17_E_NS1_11comp_targetILNS1_3genE10ELNS1_11target_archE1200ELNS1_3gpuE4ELNS1_3repE0EEENS1_30default_config_static_selectorELNS0_4arch9wavefront6targetE1EEEvT1_ ; -- Begin function _ZN7rocprim17ROCPRIM_400000_NS6detail17trampoline_kernelINS0_14default_configENS1_25partition_config_selectorILNS1_17partition_subalgoE9EllbEEZZNS1_14partition_implILS5_9ELb0ES3_jPlS8_PNS0_10empty_typeENS0_5tupleIJS8_S9_EEENSB_IJS8_SA_EEENS0_18inequality_wrapperIZN2at6native12_GLOBAL__N_124unique_dim_cuda_templateIN3c108BFloat16EEESt5tupleIJNSF_6TensorESM_SM_EERKSM_lbbbEUlllE0_EEPmJS9_EEE10hipError_tPvRmT3_T4_T5_T6_T7_T9_mT8_P12ihipStream_tbDpT10_ENKUlT_T0_E_clISt17integral_constantIbLb0EES1B_IbLb1EEEEDaS17_S18_EUlS17_E_NS1_11comp_targetILNS1_3genE10ELNS1_11target_archE1200ELNS1_3gpuE4ELNS1_3repE0EEENS1_30default_config_static_selectorELNS0_4arch9wavefront6targetE1EEEvT1_
	.p2align	8
	.type	_ZN7rocprim17ROCPRIM_400000_NS6detail17trampoline_kernelINS0_14default_configENS1_25partition_config_selectorILNS1_17partition_subalgoE9EllbEEZZNS1_14partition_implILS5_9ELb0ES3_jPlS8_PNS0_10empty_typeENS0_5tupleIJS8_S9_EEENSB_IJS8_SA_EEENS0_18inequality_wrapperIZN2at6native12_GLOBAL__N_124unique_dim_cuda_templateIN3c108BFloat16EEESt5tupleIJNSF_6TensorESM_SM_EERKSM_lbbbEUlllE0_EEPmJS9_EEE10hipError_tPvRmT3_T4_T5_T6_T7_T9_mT8_P12ihipStream_tbDpT10_ENKUlT_T0_E_clISt17integral_constantIbLb0EES1B_IbLb1EEEEDaS17_S18_EUlS17_E_NS1_11comp_targetILNS1_3genE10ELNS1_11target_archE1200ELNS1_3gpuE4ELNS1_3repE0EEENS1_30default_config_static_selectorELNS0_4arch9wavefront6targetE1EEEvT1_,@function
_ZN7rocprim17ROCPRIM_400000_NS6detail17trampoline_kernelINS0_14default_configENS1_25partition_config_selectorILNS1_17partition_subalgoE9EllbEEZZNS1_14partition_implILS5_9ELb0ES3_jPlS8_PNS0_10empty_typeENS0_5tupleIJS8_S9_EEENSB_IJS8_SA_EEENS0_18inequality_wrapperIZN2at6native12_GLOBAL__N_124unique_dim_cuda_templateIN3c108BFloat16EEESt5tupleIJNSF_6TensorESM_SM_EERKSM_lbbbEUlllE0_EEPmJS9_EEE10hipError_tPvRmT3_T4_T5_T6_T7_T9_mT8_P12ihipStream_tbDpT10_ENKUlT_T0_E_clISt17integral_constantIbLb0EES1B_IbLb1EEEEDaS17_S18_EUlS17_E_NS1_11comp_targetILNS1_3genE10ELNS1_11target_archE1200ELNS1_3gpuE4ELNS1_3repE0EEENS1_30default_config_static_selectorELNS0_4arch9wavefront6targetE1EEEvT1_: ; @_ZN7rocprim17ROCPRIM_400000_NS6detail17trampoline_kernelINS0_14default_configENS1_25partition_config_selectorILNS1_17partition_subalgoE9EllbEEZZNS1_14partition_implILS5_9ELb0ES3_jPlS8_PNS0_10empty_typeENS0_5tupleIJS8_S9_EEENSB_IJS8_SA_EEENS0_18inequality_wrapperIZN2at6native12_GLOBAL__N_124unique_dim_cuda_templateIN3c108BFloat16EEESt5tupleIJNSF_6TensorESM_SM_EERKSM_lbbbEUlllE0_EEPmJS9_EEE10hipError_tPvRmT3_T4_T5_T6_T7_T9_mT8_P12ihipStream_tbDpT10_ENKUlT_T0_E_clISt17integral_constantIbLb0EES1B_IbLb1EEEEDaS17_S18_EUlS17_E_NS1_11comp_targetILNS1_3genE10ELNS1_11target_archE1200ELNS1_3gpuE4ELNS1_3repE0EEENS1_30default_config_static_selectorELNS0_4arch9wavefront6targetE1EEEvT1_
; %bb.0:
	.section	.rodata,"a",@progbits
	.p2align	6, 0x0
	.amdhsa_kernel _ZN7rocprim17ROCPRIM_400000_NS6detail17trampoline_kernelINS0_14default_configENS1_25partition_config_selectorILNS1_17partition_subalgoE9EllbEEZZNS1_14partition_implILS5_9ELb0ES3_jPlS8_PNS0_10empty_typeENS0_5tupleIJS8_S9_EEENSB_IJS8_SA_EEENS0_18inequality_wrapperIZN2at6native12_GLOBAL__N_124unique_dim_cuda_templateIN3c108BFloat16EEESt5tupleIJNSF_6TensorESM_SM_EERKSM_lbbbEUlllE0_EEPmJS9_EEE10hipError_tPvRmT3_T4_T5_T6_T7_T9_mT8_P12ihipStream_tbDpT10_ENKUlT_T0_E_clISt17integral_constantIbLb0EES1B_IbLb1EEEEDaS17_S18_EUlS17_E_NS1_11comp_targetILNS1_3genE10ELNS1_11target_archE1200ELNS1_3gpuE4ELNS1_3repE0EEENS1_30default_config_static_selectorELNS0_4arch9wavefront6targetE1EEEvT1_
		.amdhsa_group_segment_fixed_size 0
		.amdhsa_private_segment_fixed_size 0
		.amdhsa_kernarg_size 136
		.amdhsa_user_sgpr_count 2
		.amdhsa_user_sgpr_dispatch_ptr 0
		.amdhsa_user_sgpr_queue_ptr 0
		.amdhsa_user_sgpr_kernarg_segment_ptr 1
		.amdhsa_user_sgpr_dispatch_id 0
		.amdhsa_user_sgpr_kernarg_preload_length 0
		.amdhsa_user_sgpr_kernarg_preload_offset 0
		.amdhsa_user_sgpr_private_segment_size 0
		.amdhsa_uses_dynamic_stack 0
		.amdhsa_enable_private_segment 0
		.amdhsa_system_sgpr_workgroup_id_x 1
		.amdhsa_system_sgpr_workgroup_id_y 0
		.amdhsa_system_sgpr_workgroup_id_z 0
		.amdhsa_system_sgpr_workgroup_info 0
		.amdhsa_system_vgpr_workitem_id 0
		.amdhsa_next_free_vgpr 1
		.amdhsa_next_free_sgpr 0
		.amdhsa_accum_offset 4
		.amdhsa_reserve_vcc 0
		.amdhsa_float_round_mode_32 0
		.amdhsa_float_round_mode_16_64 0
		.amdhsa_float_denorm_mode_32 3
		.amdhsa_float_denorm_mode_16_64 3
		.amdhsa_dx10_clamp 1
		.amdhsa_ieee_mode 1
		.amdhsa_fp16_overflow 0
		.amdhsa_tg_split 0
		.amdhsa_exception_fp_ieee_invalid_op 0
		.amdhsa_exception_fp_denorm_src 0
		.amdhsa_exception_fp_ieee_div_zero 0
		.amdhsa_exception_fp_ieee_overflow 0
		.amdhsa_exception_fp_ieee_underflow 0
		.amdhsa_exception_fp_ieee_inexact 0
		.amdhsa_exception_int_div_zero 0
	.end_amdhsa_kernel
	.section	.text._ZN7rocprim17ROCPRIM_400000_NS6detail17trampoline_kernelINS0_14default_configENS1_25partition_config_selectorILNS1_17partition_subalgoE9EllbEEZZNS1_14partition_implILS5_9ELb0ES3_jPlS8_PNS0_10empty_typeENS0_5tupleIJS8_S9_EEENSB_IJS8_SA_EEENS0_18inequality_wrapperIZN2at6native12_GLOBAL__N_124unique_dim_cuda_templateIN3c108BFloat16EEESt5tupleIJNSF_6TensorESM_SM_EERKSM_lbbbEUlllE0_EEPmJS9_EEE10hipError_tPvRmT3_T4_T5_T6_T7_T9_mT8_P12ihipStream_tbDpT10_ENKUlT_T0_E_clISt17integral_constantIbLb0EES1B_IbLb1EEEEDaS17_S18_EUlS17_E_NS1_11comp_targetILNS1_3genE10ELNS1_11target_archE1200ELNS1_3gpuE4ELNS1_3repE0EEENS1_30default_config_static_selectorELNS0_4arch9wavefront6targetE1EEEvT1_,"axG",@progbits,_ZN7rocprim17ROCPRIM_400000_NS6detail17trampoline_kernelINS0_14default_configENS1_25partition_config_selectorILNS1_17partition_subalgoE9EllbEEZZNS1_14partition_implILS5_9ELb0ES3_jPlS8_PNS0_10empty_typeENS0_5tupleIJS8_S9_EEENSB_IJS8_SA_EEENS0_18inequality_wrapperIZN2at6native12_GLOBAL__N_124unique_dim_cuda_templateIN3c108BFloat16EEESt5tupleIJNSF_6TensorESM_SM_EERKSM_lbbbEUlllE0_EEPmJS9_EEE10hipError_tPvRmT3_T4_T5_T6_T7_T9_mT8_P12ihipStream_tbDpT10_ENKUlT_T0_E_clISt17integral_constantIbLb0EES1B_IbLb1EEEEDaS17_S18_EUlS17_E_NS1_11comp_targetILNS1_3genE10ELNS1_11target_archE1200ELNS1_3gpuE4ELNS1_3repE0EEENS1_30default_config_static_selectorELNS0_4arch9wavefront6targetE1EEEvT1_,comdat
.Lfunc_end1235:
	.size	_ZN7rocprim17ROCPRIM_400000_NS6detail17trampoline_kernelINS0_14default_configENS1_25partition_config_selectorILNS1_17partition_subalgoE9EllbEEZZNS1_14partition_implILS5_9ELb0ES3_jPlS8_PNS0_10empty_typeENS0_5tupleIJS8_S9_EEENSB_IJS8_SA_EEENS0_18inequality_wrapperIZN2at6native12_GLOBAL__N_124unique_dim_cuda_templateIN3c108BFloat16EEESt5tupleIJNSF_6TensorESM_SM_EERKSM_lbbbEUlllE0_EEPmJS9_EEE10hipError_tPvRmT3_T4_T5_T6_T7_T9_mT8_P12ihipStream_tbDpT10_ENKUlT_T0_E_clISt17integral_constantIbLb0EES1B_IbLb1EEEEDaS17_S18_EUlS17_E_NS1_11comp_targetILNS1_3genE10ELNS1_11target_archE1200ELNS1_3gpuE4ELNS1_3repE0EEENS1_30default_config_static_selectorELNS0_4arch9wavefront6targetE1EEEvT1_, .Lfunc_end1235-_ZN7rocprim17ROCPRIM_400000_NS6detail17trampoline_kernelINS0_14default_configENS1_25partition_config_selectorILNS1_17partition_subalgoE9EllbEEZZNS1_14partition_implILS5_9ELb0ES3_jPlS8_PNS0_10empty_typeENS0_5tupleIJS8_S9_EEENSB_IJS8_SA_EEENS0_18inequality_wrapperIZN2at6native12_GLOBAL__N_124unique_dim_cuda_templateIN3c108BFloat16EEESt5tupleIJNSF_6TensorESM_SM_EERKSM_lbbbEUlllE0_EEPmJS9_EEE10hipError_tPvRmT3_T4_T5_T6_T7_T9_mT8_P12ihipStream_tbDpT10_ENKUlT_T0_E_clISt17integral_constantIbLb0EES1B_IbLb1EEEEDaS17_S18_EUlS17_E_NS1_11comp_targetILNS1_3genE10ELNS1_11target_archE1200ELNS1_3gpuE4ELNS1_3repE0EEENS1_30default_config_static_selectorELNS0_4arch9wavefront6targetE1EEEvT1_
                                        ; -- End function
	.set _ZN7rocprim17ROCPRIM_400000_NS6detail17trampoline_kernelINS0_14default_configENS1_25partition_config_selectorILNS1_17partition_subalgoE9EllbEEZZNS1_14partition_implILS5_9ELb0ES3_jPlS8_PNS0_10empty_typeENS0_5tupleIJS8_S9_EEENSB_IJS8_SA_EEENS0_18inequality_wrapperIZN2at6native12_GLOBAL__N_124unique_dim_cuda_templateIN3c108BFloat16EEESt5tupleIJNSF_6TensorESM_SM_EERKSM_lbbbEUlllE0_EEPmJS9_EEE10hipError_tPvRmT3_T4_T5_T6_T7_T9_mT8_P12ihipStream_tbDpT10_ENKUlT_T0_E_clISt17integral_constantIbLb0EES1B_IbLb1EEEEDaS17_S18_EUlS17_E_NS1_11comp_targetILNS1_3genE10ELNS1_11target_archE1200ELNS1_3gpuE4ELNS1_3repE0EEENS1_30default_config_static_selectorELNS0_4arch9wavefront6targetE1EEEvT1_.num_vgpr, 0
	.set _ZN7rocprim17ROCPRIM_400000_NS6detail17trampoline_kernelINS0_14default_configENS1_25partition_config_selectorILNS1_17partition_subalgoE9EllbEEZZNS1_14partition_implILS5_9ELb0ES3_jPlS8_PNS0_10empty_typeENS0_5tupleIJS8_S9_EEENSB_IJS8_SA_EEENS0_18inequality_wrapperIZN2at6native12_GLOBAL__N_124unique_dim_cuda_templateIN3c108BFloat16EEESt5tupleIJNSF_6TensorESM_SM_EERKSM_lbbbEUlllE0_EEPmJS9_EEE10hipError_tPvRmT3_T4_T5_T6_T7_T9_mT8_P12ihipStream_tbDpT10_ENKUlT_T0_E_clISt17integral_constantIbLb0EES1B_IbLb1EEEEDaS17_S18_EUlS17_E_NS1_11comp_targetILNS1_3genE10ELNS1_11target_archE1200ELNS1_3gpuE4ELNS1_3repE0EEENS1_30default_config_static_selectorELNS0_4arch9wavefront6targetE1EEEvT1_.num_agpr, 0
	.set _ZN7rocprim17ROCPRIM_400000_NS6detail17trampoline_kernelINS0_14default_configENS1_25partition_config_selectorILNS1_17partition_subalgoE9EllbEEZZNS1_14partition_implILS5_9ELb0ES3_jPlS8_PNS0_10empty_typeENS0_5tupleIJS8_S9_EEENSB_IJS8_SA_EEENS0_18inequality_wrapperIZN2at6native12_GLOBAL__N_124unique_dim_cuda_templateIN3c108BFloat16EEESt5tupleIJNSF_6TensorESM_SM_EERKSM_lbbbEUlllE0_EEPmJS9_EEE10hipError_tPvRmT3_T4_T5_T6_T7_T9_mT8_P12ihipStream_tbDpT10_ENKUlT_T0_E_clISt17integral_constantIbLb0EES1B_IbLb1EEEEDaS17_S18_EUlS17_E_NS1_11comp_targetILNS1_3genE10ELNS1_11target_archE1200ELNS1_3gpuE4ELNS1_3repE0EEENS1_30default_config_static_selectorELNS0_4arch9wavefront6targetE1EEEvT1_.numbered_sgpr, 0
	.set _ZN7rocprim17ROCPRIM_400000_NS6detail17trampoline_kernelINS0_14default_configENS1_25partition_config_selectorILNS1_17partition_subalgoE9EllbEEZZNS1_14partition_implILS5_9ELb0ES3_jPlS8_PNS0_10empty_typeENS0_5tupleIJS8_S9_EEENSB_IJS8_SA_EEENS0_18inequality_wrapperIZN2at6native12_GLOBAL__N_124unique_dim_cuda_templateIN3c108BFloat16EEESt5tupleIJNSF_6TensorESM_SM_EERKSM_lbbbEUlllE0_EEPmJS9_EEE10hipError_tPvRmT3_T4_T5_T6_T7_T9_mT8_P12ihipStream_tbDpT10_ENKUlT_T0_E_clISt17integral_constantIbLb0EES1B_IbLb1EEEEDaS17_S18_EUlS17_E_NS1_11comp_targetILNS1_3genE10ELNS1_11target_archE1200ELNS1_3gpuE4ELNS1_3repE0EEENS1_30default_config_static_selectorELNS0_4arch9wavefront6targetE1EEEvT1_.num_named_barrier, 0
	.set _ZN7rocprim17ROCPRIM_400000_NS6detail17trampoline_kernelINS0_14default_configENS1_25partition_config_selectorILNS1_17partition_subalgoE9EllbEEZZNS1_14partition_implILS5_9ELb0ES3_jPlS8_PNS0_10empty_typeENS0_5tupleIJS8_S9_EEENSB_IJS8_SA_EEENS0_18inequality_wrapperIZN2at6native12_GLOBAL__N_124unique_dim_cuda_templateIN3c108BFloat16EEESt5tupleIJNSF_6TensorESM_SM_EERKSM_lbbbEUlllE0_EEPmJS9_EEE10hipError_tPvRmT3_T4_T5_T6_T7_T9_mT8_P12ihipStream_tbDpT10_ENKUlT_T0_E_clISt17integral_constantIbLb0EES1B_IbLb1EEEEDaS17_S18_EUlS17_E_NS1_11comp_targetILNS1_3genE10ELNS1_11target_archE1200ELNS1_3gpuE4ELNS1_3repE0EEENS1_30default_config_static_selectorELNS0_4arch9wavefront6targetE1EEEvT1_.private_seg_size, 0
	.set _ZN7rocprim17ROCPRIM_400000_NS6detail17trampoline_kernelINS0_14default_configENS1_25partition_config_selectorILNS1_17partition_subalgoE9EllbEEZZNS1_14partition_implILS5_9ELb0ES3_jPlS8_PNS0_10empty_typeENS0_5tupleIJS8_S9_EEENSB_IJS8_SA_EEENS0_18inequality_wrapperIZN2at6native12_GLOBAL__N_124unique_dim_cuda_templateIN3c108BFloat16EEESt5tupleIJNSF_6TensorESM_SM_EERKSM_lbbbEUlllE0_EEPmJS9_EEE10hipError_tPvRmT3_T4_T5_T6_T7_T9_mT8_P12ihipStream_tbDpT10_ENKUlT_T0_E_clISt17integral_constantIbLb0EES1B_IbLb1EEEEDaS17_S18_EUlS17_E_NS1_11comp_targetILNS1_3genE10ELNS1_11target_archE1200ELNS1_3gpuE4ELNS1_3repE0EEENS1_30default_config_static_selectorELNS0_4arch9wavefront6targetE1EEEvT1_.uses_vcc, 0
	.set _ZN7rocprim17ROCPRIM_400000_NS6detail17trampoline_kernelINS0_14default_configENS1_25partition_config_selectorILNS1_17partition_subalgoE9EllbEEZZNS1_14partition_implILS5_9ELb0ES3_jPlS8_PNS0_10empty_typeENS0_5tupleIJS8_S9_EEENSB_IJS8_SA_EEENS0_18inequality_wrapperIZN2at6native12_GLOBAL__N_124unique_dim_cuda_templateIN3c108BFloat16EEESt5tupleIJNSF_6TensorESM_SM_EERKSM_lbbbEUlllE0_EEPmJS9_EEE10hipError_tPvRmT3_T4_T5_T6_T7_T9_mT8_P12ihipStream_tbDpT10_ENKUlT_T0_E_clISt17integral_constantIbLb0EES1B_IbLb1EEEEDaS17_S18_EUlS17_E_NS1_11comp_targetILNS1_3genE10ELNS1_11target_archE1200ELNS1_3gpuE4ELNS1_3repE0EEENS1_30default_config_static_selectorELNS0_4arch9wavefront6targetE1EEEvT1_.uses_flat_scratch, 0
	.set _ZN7rocprim17ROCPRIM_400000_NS6detail17trampoline_kernelINS0_14default_configENS1_25partition_config_selectorILNS1_17partition_subalgoE9EllbEEZZNS1_14partition_implILS5_9ELb0ES3_jPlS8_PNS0_10empty_typeENS0_5tupleIJS8_S9_EEENSB_IJS8_SA_EEENS0_18inequality_wrapperIZN2at6native12_GLOBAL__N_124unique_dim_cuda_templateIN3c108BFloat16EEESt5tupleIJNSF_6TensorESM_SM_EERKSM_lbbbEUlllE0_EEPmJS9_EEE10hipError_tPvRmT3_T4_T5_T6_T7_T9_mT8_P12ihipStream_tbDpT10_ENKUlT_T0_E_clISt17integral_constantIbLb0EES1B_IbLb1EEEEDaS17_S18_EUlS17_E_NS1_11comp_targetILNS1_3genE10ELNS1_11target_archE1200ELNS1_3gpuE4ELNS1_3repE0EEENS1_30default_config_static_selectorELNS0_4arch9wavefront6targetE1EEEvT1_.has_dyn_sized_stack, 0
	.set _ZN7rocprim17ROCPRIM_400000_NS6detail17trampoline_kernelINS0_14default_configENS1_25partition_config_selectorILNS1_17partition_subalgoE9EllbEEZZNS1_14partition_implILS5_9ELb0ES3_jPlS8_PNS0_10empty_typeENS0_5tupleIJS8_S9_EEENSB_IJS8_SA_EEENS0_18inequality_wrapperIZN2at6native12_GLOBAL__N_124unique_dim_cuda_templateIN3c108BFloat16EEESt5tupleIJNSF_6TensorESM_SM_EERKSM_lbbbEUlllE0_EEPmJS9_EEE10hipError_tPvRmT3_T4_T5_T6_T7_T9_mT8_P12ihipStream_tbDpT10_ENKUlT_T0_E_clISt17integral_constantIbLb0EES1B_IbLb1EEEEDaS17_S18_EUlS17_E_NS1_11comp_targetILNS1_3genE10ELNS1_11target_archE1200ELNS1_3gpuE4ELNS1_3repE0EEENS1_30default_config_static_selectorELNS0_4arch9wavefront6targetE1EEEvT1_.has_recursion, 0
	.set _ZN7rocprim17ROCPRIM_400000_NS6detail17trampoline_kernelINS0_14default_configENS1_25partition_config_selectorILNS1_17partition_subalgoE9EllbEEZZNS1_14partition_implILS5_9ELb0ES3_jPlS8_PNS0_10empty_typeENS0_5tupleIJS8_S9_EEENSB_IJS8_SA_EEENS0_18inequality_wrapperIZN2at6native12_GLOBAL__N_124unique_dim_cuda_templateIN3c108BFloat16EEESt5tupleIJNSF_6TensorESM_SM_EERKSM_lbbbEUlllE0_EEPmJS9_EEE10hipError_tPvRmT3_T4_T5_T6_T7_T9_mT8_P12ihipStream_tbDpT10_ENKUlT_T0_E_clISt17integral_constantIbLb0EES1B_IbLb1EEEEDaS17_S18_EUlS17_E_NS1_11comp_targetILNS1_3genE10ELNS1_11target_archE1200ELNS1_3gpuE4ELNS1_3repE0EEENS1_30default_config_static_selectorELNS0_4arch9wavefront6targetE1EEEvT1_.has_indirect_call, 0
	.section	.AMDGPU.csdata,"",@progbits
; Kernel info:
; codeLenInByte = 0
; TotalNumSgprs: 6
; NumVgprs: 0
; NumAgprs: 0
; TotalNumVgprs: 0
; ScratchSize: 0
; MemoryBound: 0
; FloatMode: 240
; IeeeMode: 1
; LDSByteSize: 0 bytes/workgroup (compile time only)
; SGPRBlocks: 0
; VGPRBlocks: 0
; NumSGPRsForWavesPerEU: 6
; NumVGPRsForWavesPerEU: 1
; AccumOffset: 4
; Occupancy: 8
; WaveLimiterHint : 0
; COMPUTE_PGM_RSRC2:SCRATCH_EN: 0
; COMPUTE_PGM_RSRC2:USER_SGPR: 2
; COMPUTE_PGM_RSRC2:TRAP_HANDLER: 0
; COMPUTE_PGM_RSRC2:TGID_X_EN: 1
; COMPUTE_PGM_RSRC2:TGID_Y_EN: 0
; COMPUTE_PGM_RSRC2:TGID_Z_EN: 0
; COMPUTE_PGM_RSRC2:TIDIG_COMP_CNT: 0
; COMPUTE_PGM_RSRC3_GFX90A:ACCUM_OFFSET: 0
; COMPUTE_PGM_RSRC3_GFX90A:TG_SPLIT: 0
	.section	.text._ZN7rocprim17ROCPRIM_400000_NS6detail17trampoline_kernelINS0_14default_configENS1_25partition_config_selectorILNS1_17partition_subalgoE9EllbEEZZNS1_14partition_implILS5_9ELb0ES3_jPlS8_PNS0_10empty_typeENS0_5tupleIJS8_S9_EEENSB_IJS8_SA_EEENS0_18inequality_wrapperIZN2at6native12_GLOBAL__N_124unique_dim_cuda_templateIN3c108BFloat16EEESt5tupleIJNSF_6TensorESM_SM_EERKSM_lbbbEUlllE0_EEPmJS9_EEE10hipError_tPvRmT3_T4_T5_T6_T7_T9_mT8_P12ihipStream_tbDpT10_ENKUlT_T0_E_clISt17integral_constantIbLb0EES1B_IbLb1EEEEDaS17_S18_EUlS17_E_NS1_11comp_targetILNS1_3genE9ELNS1_11target_archE1100ELNS1_3gpuE3ELNS1_3repE0EEENS1_30default_config_static_selectorELNS0_4arch9wavefront6targetE1EEEvT1_,"axG",@progbits,_ZN7rocprim17ROCPRIM_400000_NS6detail17trampoline_kernelINS0_14default_configENS1_25partition_config_selectorILNS1_17partition_subalgoE9EllbEEZZNS1_14partition_implILS5_9ELb0ES3_jPlS8_PNS0_10empty_typeENS0_5tupleIJS8_S9_EEENSB_IJS8_SA_EEENS0_18inequality_wrapperIZN2at6native12_GLOBAL__N_124unique_dim_cuda_templateIN3c108BFloat16EEESt5tupleIJNSF_6TensorESM_SM_EERKSM_lbbbEUlllE0_EEPmJS9_EEE10hipError_tPvRmT3_T4_T5_T6_T7_T9_mT8_P12ihipStream_tbDpT10_ENKUlT_T0_E_clISt17integral_constantIbLb0EES1B_IbLb1EEEEDaS17_S18_EUlS17_E_NS1_11comp_targetILNS1_3genE9ELNS1_11target_archE1100ELNS1_3gpuE3ELNS1_3repE0EEENS1_30default_config_static_selectorELNS0_4arch9wavefront6targetE1EEEvT1_,comdat
	.globl	_ZN7rocprim17ROCPRIM_400000_NS6detail17trampoline_kernelINS0_14default_configENS1_25partition_config_selectorILNS1_17partition_subalgoE9EllbEEZZNS1_14partition_implILS5_9ELb0ES3_jPlS8_PNS0_10empty_typeENS0_5tupleIJS8_S9_EEENSB_IJS8_SA_EEENS0_18inequality_wrapperIZN2at6native12_GLOBAL__N_124unique_dim_cuda_templateIN3c108BFloat16EEESt5tupleIJNSF_6TensorESM_SM_EERKSM_lbbbEUlllE0_EEPmJS9_EEE10hipError_tPvRmT3_T4_T5_T6_T7_T9_mT8_P12ihipStream_tbDpT10_ENKUlT_T0_E_clISt17integral_constantIbLb0EES1B_IbLb1EEEEDaS17_S18_EUlS17_E_NS1_11comp_targetILNS1_3genE9ELNS1_11target_archE1100ELNS1_3gpuE3ELNS1_3repE0EEENS1_30default_config_static_selectorELNS0_4arch9wavefront6targetE1EEEvT1_ ; -- Begin function _ZN7rocprim17ROCPRIM_400000_NS6detail17trampoline_kernelINS0_14default_configENS1_25partition_config_selectorILNS1_17partition_subalgoE9EllbEEZZNS1_14partition_implILS5_9ELb0ES3_jPlS8_PNS0_10empty_typeENS0_5tupleIJS8_S9_EEENSB_IJS8_SA_EEENS0_18inequality_wrapperIZN2at6native12_GLOBAL__N_124unique_dim_cuda_templateIN3c108BFloat16EEESt5tupleIJNSF_6TensorESM_SM_EERKSM_lbbbEUlllE0_EEPmJS9_EEE10hipError_tPvRmT3_T4_T5_T6_T7_T9_mT8_P12ihipStream_tbDpT10_ENKUlT_T0_E_clISt17integral_constantIbLb0EES1B_IbLb1EEEEDaS17_S18_EUlS17_E_NS1_11comp_targetILNS1_3genE9ELNS1_11target_archE1100ELNS1_3gpuE3ELNS1_3repE0EEENS1_30default_config_static_selectorELNS0_4arch9wavefront6targetE1EEEvT1_
	.p2align	8
	.type	_ZN7rocprim17ROCPRIM_400000_NS6detail17trampoline_kernelINS0_14default_configENS1_25partition_config_selectorILNS1_17partition_subalgoE9EllbEEZZNS1_14partition_implILS5_9ELb0ES3_jPlS8_PNS0_10empty_typeENS0_5tupleIJS8_S9_EEENSB_IJS8_SA_EEENS0_18inequality_wrapperIZN2at6native12_GLOBAL__N_124unique_dim_cuda_templateIN3c108BFloat16EEESt5tupleIJNSF_6TensorESM_SM_EERKSM_lbbbEUlllE0_EEPmJS9_EEE10hipError_tPvRmT3_T4_T5_T6_T7_T9_mT8_P12ihipStream_tbDpT10_ENKUlT_T0_E_clISt17integral_constantIbLb0EES1B_IbLb1EEEEDaS17_S18_EUlS17_E_NS1_11comp_targetILNS1_3genE9ELNS1_11target_archE1100ELNS1_3gpuE3ELNS1_3repE0EEENS1_30default_config_static_selectorELNS0_4arch9wavefront6targetE1EEEvT1_,@function
_ZN7rocprim17ROCPRIM_400000_NS6detail17trampoline_kernelINS0_14default_configENS1_25partition_config_selectorILNS1_17partition_subalgoE9EllbEEZZNS1_14partition_implILS5_9ELb0ES3_jPlS8_PNS0_10empty_typeENS0_5tupleIJS8_S9_EEENSB_IJS8_SA_EEENS0_18inequality_wrapperIZN2at6native12_GLOBAL__N_124unique_dim_cuda_templateIN3c108BFloat16EEESt5tupleIJNSF_6TensorESM_SM_EERKSM_lbbbEUlllE0_EEPmJS9_EEE10hipError_tPvRmT3_T4_T5_T6_T7_T9_mT8_P12ihipStream_tbDpT10_ENKUlT_T0_E_clISt17integral_constantIbLb0EES1B_IbLb1EEEEDaS17_S18_EUlS17_E_NS1_11comp_targetILNS1_3genE9ELNS1_11target_archE1100ELNS1_3gpuE3ELNS1_3repE0EEENS1_30default_config_static_selectorELNS0_4arch9wavefront6targetE1EEEvT1_: ; @_ZN7rocprim17ROCPRIM_400000_NS6detail17trampoline_kernelINS0_14default_configENS1_25partition_config_selectorILNS1_17partition_subalgoE9EllbEEZZNS1_14partition_implILS5_9ELb0ES3_jPlS8_PNS0_10empty_typeENS0_5tupleIJS8_S9_EEENSB_IJS8_SA_EEENS0_18inequality_wrapperIZN2at6native12_GLOBAL__N_124unique_dim_cuda_templateIN3c108BFloat16EEESt5tupleIJNSF_6TensorESM_SM_EERKSM_lbbbEUlllE0_EEPmJS9_EEE10hipError_tPvRmT3_T4_T5_T6_T7_T9_mT8_P12ihipStream_tbDpT10_ENKUlT_T0_E_clISt17integral_constantIbLb0EES1B_IbLb1EEEEDaS17_S18_EUlS17_E_NS1_11comp_targetILNS1_3genE9ELNS1_11target_archE1100ELNS1_3gpuE3ELNS1_3repE0EEENS1_30default_config_static_selectorELNS0_4arch9wavefront6targetE1EEEvT1_
; %bb.0:
	.section	.rodata,"a",@progbits
	.p2align	6, 0x0
	.amdhsa_kernel _ZN7rocprim17ROCPRIM_400000_NS6detail17trampoline_kernelINS0_14default_configENS1_25partition_config_selectorILNS1_17partition_subalgoE9EllbEEZZNS1_14partition_implILS5_9ELb0ES3_jPlS8_PNS0_10empty_typeENS0_5tupleIJS8_S9_EEENSB_IJS8_SA_EEENS0_18inequality_wrapperIZN2at6native12_GLOBAL__N_124unique_dim_cuda_templateIN3c108BFloat16EEESt5tupleIJNSF_6TensorESM_SM_EERKSM_lbbbEUlllE0_EEPmJS9_EEE10hipError_tPvRmT3_T4_T5_T6_T7_T9_mT8_P12ihipStream_tbDpT10_ENKUlT_T0_E_clISt17integral_constantIbLb0EES1B_IbLb1EEEEDaS17_S18_EUlS17_E_NS1_11comp_targetILNS1_3genE9ELNS1_11target_archE1100ELNS1_3gpuE3ELNS1_3repE0EEENS1_30default_config_static_selectorELNS0_4arch9wavefront6targetE1EEEvT1_
		.amdhsa_group_segment_fixed_size 0
		.amdhsa_private_segment_fixed_size 0
		.amdhsa_kernarg_size 136
		.amdhsa_user_sgpr_count 2
		.amdhsa_user_sgpr_dispatch_ptr 0
		.amdhsa_user_sgpr_queue_ptr 0
		.amdhsa_user_sgpr_kernarg_segment_ptr 1
		.amdhsa_user_sgpr_dispatch_id 0
		.amdhsa_user_sgpr_kernarg_preload_length 0
		.amdhsa_user_sgpr_kernarg_preload_offset 0
		.amdhsa_user_sgpr_private_segment_size 0
		.amdhsa_uses_dynamic_stack 0
		.amdhsa_enable_private_segment 0
		.amdhsa_system_sgpr_workgroup_id_x 1
		.amdhsa_system_sgpr_workgroup_id_y 0
		.amdhsa_system_sgpr_workgroup_id_z 0
		.amdhsa_system_sgpr_workgroup_info 0
		.amdhsa_system_vgpr_workitem_id 0
		.amdhsa_next_free_vgpr 1
		.amdhsa_next_free_sgpr 0
		.amdhsa_accum_offset 4
		.amdhsa_reserve_vcc 0
		.amdhsa_float_round_mode_32 0
		.amdhsa_float_round_mode_16_64 0
		.amdhsa_float_denorm_mode_32 3
		.amdhsa_float_denorm_mode_16_64 3
		.amdhsa_dx10_clamp 1
		.amdhsa_ieee_mode 1
		.amdhsa_fp16_overflow 0
		.amdhsa_tg_split 0
		.amdhsa_exception_fp_ieee_invalid_op 0
		.amdhsa_exception_fp_denorm_src 0
		.amdhsa_exception_fp_ieee_div_zero 0
		.amdhsa_exception_fp_ieee_overflow 0
		.amdhsa_exception_fp_ieee_underflow 0
		.amdhsa_exception_fp_ieee_inexact 0
		.amdhsa_exception_int_div_zero 0
	.end_amdhsa_kernel
	.section	.text._ZN7rocprim17ROCPRIM_400000_NS6detail17trampoline_kernelINS0_14default_configENS1_25partition_config_selectorILNS1_17partition_subalgoE9EllbEEZZNS1_14partition_implILS5_9ELb0ES3_jPlS8_PNS0_10empty_typeENS0_5tupleIJS8_S9_EEENSB_IJS8_SA_EEENS0_18inequality_wrapperIZN2at6native12_GLOBAL__N_124unique_dim_cuda_templateIN3c108BFloat16EEESt5tupleIJNSF_6TensorESM_SM_EERKSM_lbbbEUlllE0_EEPmJS9_EEE10hipError_tPvRmT3_T4_T5_T6_T7_T9_mT8_P12ihipStream_tbDpT10_ENKUlT_T0_E_clISt17integral_constantIbLb0EES1B_IbLb1EEEEDaS17_S18_EUlS17_E_NS1_11comp_targetILNS1_3genE9ELNS1_11target_archE1100ELNS1_3gpuE3ELNS1_3repE0EEENS1_30default_config_static_selectorELNS0_4arch9wavefront6targetE1EEEvT1_,"axG",@progbits,_ZN7rocprim17ROCPRIM_400000_NS6detail17trampoline_kernelINS0_14default_configENS1_25partition_config_selectorILNS1_17partition_subalgoE9EllbEEZZNS1_14partition_implILS5_9ELb0ES3_jPlS8_PNS0_10empty_typeENS0_5tupleIJS8_S9_EEENSB_IJS8_SA_EEENS0_18inequality_wrapperIZN2at6native12_GLOBAL__N_124unique_dim_cuda_templateIN3c108BFloat16EEESt5tupleIJNSF_6TensorESM_SM_EERKSM_lbbbEUlllE0_EEPmJS9_EEE10hipError_tPvRmT3_T4_T5_T6_T7_T9_mT8_P12ihipStream_tbDpT10_ENKUlT_T0_E_clISt17integral_constantIbLb0EES1B_IbLb1EEEEDaS17_S18_EUlS17_E_NS1_11comp_targetILNS1_3genE9ELNS1_11target_archE1100ELNS1_3gpuE3ELNS1_3repE0EEENS1_30default_config_static_selectorELNS0_4arch9wavefront6targetE1EEEvT1_,comdat
.Lfunc_end1236:
	.size	_ZN7rocprim17ROCPRIM_400000_NS6detail17trampoline_kernelINS0_14default_configENS1_25partition_config_selectorILNS1_17partition_subalgoE9EllbEEZZNS1_14partition_implILS5_9ELb0ES3_jPlS8_PNS0_10empty_typeENS0_5tupleIJS8_S9_EEENSB_IJS8_SA_EEENS0_18inequality_wrapperIZN2at6native12_GLOBAL__N_124unique_dim_cuda_templateIN3c108BFloat16EEESt5tupleIJNSF_6TensorESM_SM_EERKSM_lbbbEUlllE0_EEPmJS9_EEE10hipError_tPvRmT3_T4_T5_T6_T7_T9_mT8_P12ihipStream_tbDpT10_ENKUlT_T0_E_clISt17integral_constantIbLb0EES1B_IbLb1EEEEDaS17_S18_EUlS17_E_NS1_11comp_targetILNS1_3genE9ELNS1_11target_archE1100ELNS1_3gpuE3ELNS1_3repE0EEENS1_30default_config_static_selectorELNS0_4arch9wavefront6targetE1EEEvT1_, .Lfunc_end1236-_ZN7rocprim17ROCPRIM_400000_NS6detail17trampoline_kernelINS0_14default_configENS1_25partition_config_selectorILNS1_17partition_subalgoE9EllbEEZZNS1_14partition_implILS5_9ELb0ES3_jPlS8_PNS0_10empty_typeENS0_5tupleIJS8_S9_EEENSB_IJS8_SA_EEENS0_18inequality_wrapperIZN2at6native12_GLOBAL__N_124unique_dim_cuda_templateIN3c108BFloat16EEESt5tupleIJNSF_6TensorESM_SM_EERKSM_lbbbEUlllE0_EEPmJS9_EEE10hipError_tPvRmT3_T4_T5_T6_T7_T9_mT8_P12ihipStream_tbDpT10_ENKUlT_T0_E_clISt17integral_constantIbLb0EES1B_IbLb1EEEEDaS17_S18_EUlS17_E_NS1_11comp_targetILNS1_3genE9ELNS1_11target_archE1100ELNS1_3gpuE3ELNS1_3repE0EEENS1_30default_config_static_selectorELNS0_4arch9wavefront6targetE1EEEvT1_
                                        ; -- End function
	.set _ZN7rocprim17ROCPRIM_400000_NS6detail17trampoline_kernelINS0_14default_configENS1_25partition_config_selectorILNS1_17partition_subalgoE9EllbEEZZNS1_14partition_implILS5_9ELb0ES3_jPlS8_PNS0_10empty_typeENS0_5tupleIJS8_S9_EEENSB_IJS8_SA_EEENS0_18inequality_wrapperIZN2at6native12_GLOBAL__N_124unique_dim_cuda_templateIN3c108BFloat16EEESt5tupleIJNSF_6TensorESM_SM_EERKSM_lbbbEUlllE0_EEPmJS9_EEE10hipError_tPvRmT3_T4_T5_T6_T7_T9_mT8_P12ihipStream_tbDpT10_ENKUlT_T0_E_clISt17integral_constantIbLb0EES1B_IbLb1EEEEDaS17_S18_EUlS17_E_NS1_11comp_targetILNS1_3genE9ELNS1_11target_archE1100ELNS1_3gpuE3ELNS1_3repE0EEENS1_30default_config_static_selectorELNS0_4arch9wavefront6targetE1EEEvT1_.num_vgpr, 0
	.set _ZN7rocprim17ROCPRIM_400000_NS6detail17trampoline_kernelINS0_14default_configENS1_25partition_config_selectorILNS1_17partition_subalgoE9EllbEEZZNS1_14partition_implILS5_9ELb0ES3_jPlS8_PNS0_10empty_typeENS0_5tupleIJS8_S9_EEENSB_IJS8_SA_EEENS0_18inequality_wrapperIZN2at6native12_GLOBAL__N_124unique_dim_cuda_templateIN3c108BFloat16EEESt5tupleIJNSF_6TensorESM_SM_EERKSM_lbbbEUlllE0_EEPmJS9_EEE10hipError_tPvRmT3_T4_T5_T6_T7_T9_mT8_P12ihipStream_tbDpT10_ENKUlT_T0_E_clISt17integral_constantIbLb0EES1B_IbLb1EEEEDaS17_S18_EUlS17_E_NS1_11comp_targetILNS1_3genE9ELNS1_11target_archE1100ELNS1_3gpuE3ELNS1_3repE0EEENS1_30default_config_static_selectorELNS0_4arch9wavefront6targetE1EEEvT1_.num_agpr, 0
	.set _ZN7rocprim17ROCPRIM_400000_NS6detail17trampoline_kernelINS0_14default_configENS1_25partition_config_selectorILNS1_17partition_subalgoE9EllbEEZZNS1_14partition_implILS5_9ELb0ES3_jPlS8_PNS0_10empty_typeENS0_5tupleIJS8_S9_EEENSB_IJS8_SA_EEENS0_18inequality_wrapperIZN2at6native12_GLOBAL__N_124unique_dim_cuda_templateIN3c108BFloat16EEESt5tupleIJNSF_6TensorESM_SM_EERKSM_lbbbEUlllE0_EEPmJS9_EEE10hipError_tPvRmT3_T4_T5_T6_T7_T9_mT8_P12ihipStream_tbDpT10_ENKUlT_T0_E_clISt17integral_constantIbLb0EES1B_IbLb1EEEEDaS17_S18_EUlS17_E_NS1_11comp_targetILNS1_3genE9ELNS1_11target_archE1100ELNS1_3gpuE3ELNS1_3repE0EEENS1_30default_config_static_selectorELNS0_4arch9wavefront6targetE1EEEvT1_.numbered_sgpr, 0
	.set _ZN7rocprim17ROCPRIM_400000_NS6detail17trampoline_kernelINS0_14default_configENS1_25partition_config_selectorILNS1_17partition_subalgoE9EllbEEZZNS1_14partition_implILS5_9ELb0ES3_jPlS8_PNS0_10empty_typeENS0_5tupleIJS8_S9_EEENSB_IJS8_SA_EEENS0_18inequality_wrapperIZN2at6native12_GLOBAL__N_124unique_dim_cuda_templateIN3c108BFloat16EEESt5tupleIJNSF_6TensorESM_SM_EERKSM_lbbbEUlllE0_EEPmJS9_EEE10hipError_tPvRmT3_T4_T5_T6_T7_T9_mT8_P12ihipStream_tbDpT10_ENKUlT_T0_E_clISt17integral_constantIbLb0EES1B_IbLb1EEEEDaS17_S18_EUlS17_E_NS1_11comp_targetILNS1_3genE9ELNS1_11target_archE1100ELNS1_3gpuE3ELNS1_3repE0EEENS1_30default_config_static_selectorELNS0_4arch9wavefront6targetE1EEEvT1_.num_named_barrier, 0
	.set _ZN7rocprim17ROCPRIM_400000_NS6detail17trampoline_kernelINS0_14default_configENS1_25partition_config_selectorILNS1_17partition_subalgoE9EllbEEZZNS1_14partition_implILS5_9ELb0ES3_jPlS8_PNS0_10empty_typeENS0_5tupleIJS8_S9_EEENSB_IJS8_SA_EEENS0_18inequality_wrapperIZN2at6native12_GLOBAL__N_124unique_dim_cuda_templateIN3c108BFloat16EEESt5tupleIJNSF_6TensorESM_SM_EERKSM_lbbbEUlllE0_EEPmJS9_EEE10hipError_tPvRmT3_T4_T5_T6_T7_T9_mT8_P12ihipStream_tbDpT10_ENKUlT_T0_E_clISt17integral_constantIbLb0EES1B_IbLb1EEEEDaS17_S18_EUlS17_E_NS1_11comp_targetILNS1_3genE9ELNS1_11target_archE1100ELNS1_3gpuE3ELNS1_3repE0EEENS1_30default_config_static_selectorELNS0_4arch9wavefront6targetE1EEEvT1_.private_seg_size, 0
	.set _ZN7rocprim17ROCPRIM_400000_NS6detail17trampoline_kernelINS0_14default_configENS1_25partition_config_selectorILNS1_17partition_subalgoE9EllbEEZZNS1_14partition_implILS5_9ELb0ES3_jPlS8_PNS0_10empty_typeENS0_5tupleIJS8_S9_EEENSB_IJS8_SA_EEENS0_18inequality_wrapperIZN2at6native12_GLOBAL__N_124unique_dim_cuda_templateIN3c108BFloat16EEESt5tupleIJNSF_6TensorESM_SM_EERKSM_lbbbEUlllE0_EEPmJS9_EEE10hipError_tPvRmT3_T4_T5_T6_T7_T9_mT8_P12ihipStream_tbDpT10_ENKUlT_T0_E_clISt17integral_constantIbLb0EES1B_IbLb1EEEEDaS17_S18_EUlS17_E_NS1_11comp_targetILNS1_3genE9ELNS1_11target_archE1100ELNS1_3gpuE3ELNS1_3repE0EEENS1_30default_config_static_selectorELNS0_4arch9wavefront6targetE1EEEvT1_.uses_vcc, 0
	.set _ZN7rocprim17ROCPRIM_400000_NS6detail17trampoline_kernelINS0_14default_configENS1_25partition_config_selectorILNS1_17partition_subalgoE9EllbEEZZNS1_14partition_implILS5_9ELb0ES3_jPlS8_PNS0_10empty_typeENS0_5tupleIJS8_S9_EEENSB_IJS8_SA_EEENS0_18inequality_wrapperIZN2at6native12_GLOBAL__N_124unique_dim_cuda_templateIN3c108BFloat16EEESt5tupleIJNSF_6TensorESM_SM_EERKSM_lbbbEUlllE0_EEPmJS9_EEE10hipError_tPvRmT3_T4_T5_T6_T7_T9_mT8_P12ihipStream_tbDpT10_ENKUlT_T0_E_clISt17integral_constantIbLb0EES1B_IbLb1EEEEDaS17_S18_EUlS17_E_NS1_11comp_targetILNS1_3genE9ELNS1_11target_archE1100ELNS1_3gpuE3ELNS1_3repE0EEENS1_30default_config_static_selectorELNS0_4arch9wavefront6targetE1EEEvT1_.uses_flat_scratch, 0
	.set _ZN7rocprim17ROCPRIM_400000_NS6detail17trampoline_kernelINS0_14default_configENS1_25partition_config_selectorILNS1_17partition_subalgoE9EllbEEZZNS1_14partition_implILS5_9ELb0ES3_jPlS8_PNS0_10empty_typeENS0_5tupleIJS8_S9_EEENSB_IJS8_SA_EEENS0_18inequality_wrapperIZN2at6native12_GLOBAL__N_124unique_dim_cuda_templateIN3c108BFloat16EEESt5tupleIJNSF_6TensorESM_SM_EERKSM_lbbbEUlllE0_EEPmJS9_EEE10hipError_tPvRmT3_T4_T5_T6_T7_T9_mT8_P12ihipStream_tbDpT10_ENKUlT_T0_E_clISt17integral_constantIbLb0EES1B_IbLb1EEEEDaS17_S18_EUlS17_E_NS1_11comp_targetILNS1_3genE9ELNS1_11target_archE1100ELNS1_3gpuE3ELNS1_3repE0EEENS1_30default_config_static_selectorELNS0_4arch9wavefront6targetE1EEEvT1_.has_dyn_sized_stack, 0
	.set _ZN7rocprim17ROCPRIM_400000_NS6detail17trampoline_kernelINS0_14default_configENS1_25partition_config_selectorILNS1_17partition_subalgoE9EllbEEZZNS1_14partition_implILS5_9ELb0ES3_jPlS8_PNS0_10empty_typeENS0_5tupleIJS8_S9_EEENSB_IJS8_SA_EEENS0_18inequality_wrapperIZN2at6native12_GLOBAL__N_124unique_dim_cuda_templateIN3c108BFloat16EEESt5tupleIJNSF_6TensorESM_SM_EERKSM_lbbbEUlllE0_EEPmJS9_EEE10hipError_tPvRmT3_T4_T5_T6_T7_T9_mT8_P12ihipStream_tbDpT10_ENKUlT_T0_E_clISt17integral_constantIbLb0EES1B_IbLb1EEEEDaS17_S18_EUlS17_E_NS1_11comp_targetILNS1_3genE9ELNS1_11target_archE1100ELNS1_3gpuE3ELNS1_3repE0EEENS1_30default_config_static_selectorELNS0_4arch9wavefront6targetE1EEEvT1_.has_recursion, 0
	.set _ZN7rocprim17ROCPRIM_400000_NS6detail17trampoline_kernelINS0_14default_configENS1_25partition_config_selectorILNS1_17partition_subalgoE9EllbEEZZNS1_14partition_implILS5_9ELb0ES3_jPlS8_PNS0_10empty_typeENS0_5tupleIJS8_S9_EEENSB_IJS8_SA_EEENS0_18inequality_wrapperIZN2at6native12_GLOBAL__N_124unique_dim_cuda_templateIN3c108BFloat16EEESt5tupleIJNSF_6TensorESM_SM_EERKSM_lbbbEUlllE0_EEPmJS9_EEE10hipError_tPvRmT3_T4_T5_T6_T7_T9_mT8_P12ihipStream_tbDpT10_ENKUlT_T0_E_clISt17integral_constantIbLb0EES1B_IbLb1EEEEDaS17_S18_EUlS17_E_NS1_11comp_targetILNS1_3genE9ELNS1_11target_archE1100ELNS1_3gpuE3ELNS1_3repE0EEENS1_30default_config_static_selectorELNS0_4arch9wavefront6targetE1EEEvT1_.has_indirect_call, 0
	.section	.AMDGPU.csdata,"",@progbits
; Kernel info:
; codeLenInByte = 0
; TotalNumSgprs: 6
; NumVgprs: 0
; NumAgprs: 0
; TotalNumVgprs: 0
; ScratchSize: 0
; MemoryBound: 0
; FloatMode: 240
; IeeeMode: 1
; LDSByteSize: 0 bytes/workgroup (compile time only)
; SGPRBlocks: 0
; VGPRBlocks: 0
; NumSGPRsForWavesPerEU: 6
; NumVGPRsForWavesPerEU: 1
; AccumOffset: 4
; Occupancy: 8
; WaveLimiterHint : 0
; COMPUTE_PGM_RSRC2:SCRATCH_EN: 0
; COMPUTE_PGM_RSRC2:USER_SGPR: 2
; COMPUTE_PGM_RSRC2:TRAP_HANDLER: 0
; COMPUTE_PGM_RSRC2:TGID_X_EN: 1
; COMPUTE_PGM_RSRC2:TGID_Y_EN: 0
; COMPUTE_PGM_RSRC2:TGID_Z_EN: 0
; COMPUTE_PGM_RSRC2:TIDIG_COMP_CNT: 0
; COMPUTE_PGM_RSRC3_GFX90A:ACCUM_OFFSET: 0
; COMPUTE_PGM_RSRC3_GFX90A:TG_SPLIT: 0
	.section	.text._ZN7rocprim17ROCPRIM_400000_NS6detail17trampoline_kernelINS0_14default_configENS1_25partition_config_selectorILNS1_17partition_subalgoE9EllbEEZZNS1_14partition_implILS5_9ELb0ES3_jPlS8_PNS0_10empty_typeENS0_5tupleIJS8_S9_EEENSB_IJS8_SA_EEENS0_18inequality_wrapperIZN2at6native12_GLOBAL__N_124unique_dim_cuda_templateIN3c108BFloat16EEESt5tupleIJNSF_6TensorESM_SM_EERKSM_lbbbEUlllE0_EEPmJS9_EEE10hipError_tPvRmT3_T4_T5_T6_T7_T9_mT8_P12ihipStream_tbDpT10_ENKUlT_T0_E_clISt17integral_constantIbLb0EES1B_IbLb1EEEEDaS17_S18_EUlS17_E_NS1_11comp_targetILNS1_3genE8ELNS1_11target_archE1030ELNS1_3gpuE2ELNS1_3repE0EEENS1_30default_config_static_selectorELNS0_4arch9wavefront6targetE1EEEvT1_,"axG",@progbits,_ZN7rocprim17ROCPRIM_400000_NS6detail17trampoline_kernelINS0_14default_configENS1_25partition_config_selectorILNS1_17partition_subalgoE9EllbEEZZNS1_14partition_implILS5_9ELb0ES3_jPlS8_PNS0_10empty_typeENS0_5tupleIJS8_S9_EEENSB_IJS8_SA_EEENS0_18inequality_wrapperIZN2at6native12_GLOBAL__N_124unique_dim_cuda_templateIN3c108BFloat16EEESt5tupleIJNSF_6TensorESM_SM_EERKSM_lbbbEUlllE0_EEPmJS9_EEE10hipError_tPvRmT3_T4_T5_T6_T7_T9_mT8_P12ihipStream_tbDpT10_ENKUlT_T0_E_clISt17integral_constantIbLb0EES1B_IbLb1EEEEDaS17_S18_EUlS17_E_NS1_11comp_targetILNS1_3genE8ELNS1_11target_archE1030ELNS1_3gpuE2ELNS1_3repE0EEENS1_30default_config_static_selectorELNS0_4arch9wavefront6targetE1EEEvT1_,comdat
	.globl	_ZN7rocprim17ROCPRIM_400000_NS6detail17trampoline_kernelINS0_14default_configENS1_25partition_config_selectorILNS1_17partition_subalgoE9EllbEEZZNS1_14partition_implILS5_9ELb0ES3_jPlS8_PNS0_10empty_typeENS0_5tupleIJS8_S9_EEENSB_IJS8_SA_EEENS0_18inequality_wrapperIZN2at6native12_GLOBAL__N_124unique_dim_cuda_templateIN3c108BFloat16EEESt5tupleIJNSF_6TensorESM_SM_EERKSM_lbbbEUlllE0_EEPmJS9_EEE10hipError_tPvRmT3_T4_T5_T6_T7_T9_mT8_P12ihipStream_tbDpT10_ENKUlT_T0_E_clISt17integral_constantIbLb0EES1B_IbLb1EEEEDaS17_S18_EUlS17_E_NS1_11comp_targetILNS1_3genE8ELNS1_11target_archE1030ELNS1_3gpuE2ELNS1_3repE0EEENS1_30default_config_static_selectorELNS0_4arch9wavefront6targetE1EEEvT1_ ; -- Begin function _ZN7rocprim17ROCPRIM_400000_NS6detail17trampoline_kernelINS0_14default_configENS1_25partition_config_selectorILNS1_17partition_subalgoE9EllbEEZZNS1_14partition_implILS5_9ELb0ES3_jPlS8_PNS0_10empty_typeENS0_5tupleIJS8_S9_EEENSB_IJS8_SA_EEENS0_18inequality_wrapperIZN2at6native12_GLOBAL__N_124unique_dim_cuda_templateIN3c108BFloat16EEESt5tupleIJNSF_6TensorESM_SM_EERKSM_lbbbEUlllE0_EEPmJS9_EEE10hipError_tPvRmT3_T4_T5_T6_T7_T9_mT8_P12ihipStream_tbDpT10_ENKUlT_T0_E_clISt17integral_constantIbLb0EES1B_IbLb1EEEEDaS17_S18_EUlS17_E_NS1_11comp_targetILNS1_3genE8ELNS1_11target_archE1030ELNS1_3gpuE2ELNS1_3repE0EEENS1_30default_config_static_selectorELNS0_4arch9wavefront6targetE1EEEvT1_
	.p2align	8
	.type	_ZN7rocprim17ROCPRIM_400000_NS6detail17trampoline_kernelINS0_14default_configENS1_25partition_config_selectorILNS1_17partition_subalgoE9EllbEEZZNS1_14partition_implILS5_9ELb0ES3_jPlS8_PNS0_10empty_typeENS0_5tupleIJS8_S9_EEENSB_IJS8_SA_EEENS0_18inequality_wrapperIZN2at6native12_GLOBAL__N_124unique_dim_cuda_templateIN3c108BFloat16EEESt5tupleIJNSF_6TensorESM_SM_EERKSM_lbbbEUlllE0_EEPmJS9_EEE10hipError_tPvRmT3_T4_T5_T6_T7_T9_mT8_P12ihipStream_tbDpT10_ENKUlT_T0_E_clISt17integral_constantIbLb0EES1B_IbLb1EEEEDaS17_S18_EUlS17_E_NS1_11comp_targetILNS1_3genE8ELNS1_11target_archE1030ELNS1_3gpuE2ELNS1_3repE0EEENS1_30default_config_static_selectorELNS0_4arch9wavefront6targetE1EEEvT1_,@function
_ZN7rocprim17ROCPRIM_400000_NS6detail17trampoline_kernelINS0_14default_configENS1_25partition_config_selectorILNS1_17partition_subalgoE9EllbEEZZNS1_14partition_implILS5_9ELb0ES3_jPlS8_PNS0_10empty_typeENS0_5tupleIJS8_S9_EEENSB_IJS8_SA_EEENS0_18inequality_wrapperIZN2at6native12_GLOBAL__N_124unique_dim_cuda_templateIN3c108BFloat16EEESt5tupleIJNSF_6TensorESM_SM_EERKSM_lbbbEUlllE0_EEPmJS9_EEE10hipError_tPvRmT3_T4_T5_T6_T7_T9_mT8_P12ihipStream_tbDpT10_ENKUlT_T0_E_clISt17integral_constantIbLb0EES1B_IbLb1EEEEDaS17_S18_EUlS17_E_NS1_11comp_targetILNS1_3genE8ELNS1_11target_archE1030ELNS1_3gpuE2ELNS1_3repE0EEENS1_30default_config_static_selectorELNS0_4arch9wavefront6targetE1EEEvT1_: ; @_ZN7rocprim17ROCPRIM_400000_NS6detail17trampoline_kernelINS0_14default_configENS1_25partition_config_selectorILNS1_17partition_subalgoE9EllbEEZZNS1_14partition_implILS5_9ELb0ES3_jPlS8_PNS0_10empty_typeENS0_5tupleIJS8_S9_EEENSB_IJS8_SA_EEENS0_18inequality_wrapperIZN2at6native12_GLOBAL__N_124unique_dim_cuda_templateIN3c108BFloat16EEESt5tupleIJNSF_6TensorESM_SM_EERKSM_lbbbEUlllE0_EEPmJS9_EEE10hipError_tPvRmT3_T4_T5_T6_T7_T9_mT8_P12ihipStream_tbDpT10_ENKUlT_T0_E_clISt17integral_constantIbLb0EES1B_IbLb1EEEEDaS17_S18_EUlS17_E_NS1_11comp_targetILNS1_3genE8ELNS1_11target_archE1030ELNS1_3gpuE2ELNS1_3repE0EEENS1_30default_config_static_selectorELNS0_4arch9wavefront6targetE1EEEvT1_
; %bb.0:
	.section	.rodata,"a",@progbits
	.p2align	6, 0x0
	.amdhsa_kernel _ZN7rocprim17ROCPRIM_400000_NS6detail17trampoline_kernelINS0_14default_configENS1_25partition_config_selectorILNS1_17partition_subalgoE9EllbEEZZNS1_14partition_implILS5_9ELb0ES3_jPlS8_PNS0_10empty_typeENS0_5tupleIJS8_S9_EEENSB_IJS8_SA_EEENS0_18inequality_wrapperIZN2at6native12_GLOBAL__N_124unique_dim_cuda_templateIN3c108BFloat16EEESt5tupleIJNSF_6TensorESM_SM_EERKSM_lbbbEUlllE0_EEPmJS9_EEE10hipError_tPvRmT3_T4_T5_T6_T7_T9_mT8_P12ihipStream_tbDpT10_ENKUlT_T0_E_clISt17integral_constantIbLb0EES1B_IbLb1EEEEDaS17_S18_EUlS17_E_NS1_11comp_targetILNS1_3genE8ELNS1_11target_archE1030ELNS1_3gpuE2ELNS1_3repE0EEENS1_30default_config_static_selectorELNS0_4arch9wavefront6targetE1EEEvT1_
		.amdhsa_group_segment_fixed_size 0
		.amdhsa_private_segment_fixed_size 0
		.amdhsa_kernarg_size 136
		.amdhsa_user_sgpr_count 2
		.amdhsa_user_sgpr_dispatch_ptr 0
		.amdhsa_user_sgpr_queue_ptr 0
		.amdhsa_user_sgpr_kernarg_segment_ptr 1
		.amdhsa_user_sgpr_dispatch_id 0
		.amdhsa_user_sgpr_kernarg_preload_length 0
		.amdhsa_user_sgpr_kernarg_preload_offset 0
		.amdhsa_user_sgpr_private_segment_size 0
		.amdhsa_uses_dynamic_stack 0
		.amdhsa_enable_private_segment 0
		.amdhsa_system_sgpr_workgroup_id_x 1
		.amdhsa_system_sgpr_workgroup_id_y 0
		.amdhsa_system_sgpr_workgroup_id_z 0
		.amdhsa_system_sgpr_workgroup_info 0
		.amdhsa_system_vgpr_workitem_id 0
		.amdhsa_next_free_vgpr 1
		.amdhsa_next_free_sgpr 0
		.amdhsa_accum_offset 4
		.amdhsa_reserve_vcc 0
		.amdhsa_float_round_mode_32 0
		.amdhsa_float_round_mode_16_64 0
		.amdhsa_float_denorm_mode_32 3
		.amdhsa_float_denorm_mode_16_64 3
		.amdhsa_dx10_clamp 1
		.amdhsa_ieee_mode 1
		.amdhsa_fp16_overflow 0
		.amdhsa_tg_split 0
		.amdhsa_exception_fp_ieee_invalid_op 0
		.amdhsa_exception_fp_denorm_src 0
		.amdhsa_exception_fp_ieee_div_zero 0
		.amdhsa_exception_fp_ieee_overflow 0
		.amdhsa_exception_fp_ieee_underflow 0
		.amdhsa_exception_fp_ieee_inexact 0
		.amdhsa_exception_int_div_zero 0
	.end_amdhsa_kernel
	.section	.text._ZN7rocprim17ROCPRIM_400000_NS6detail17trampoline_kernelINS0_14default_configENS1_25partition_config_selectorILNS1_17partition_subalgoE9EllbEEZZNS1_14partition_implILS5_9ELb0ES3_jPlS8_PNS0_10empty_typeENS0_5tupleIJS8_S9_EEENSB_IJS8_SA_EEENS0_18inequality_wrapperIZN2at6native12_GLOBAL__N_124unique_dim_cuda_templateIN3c108BFloat16EEESt5tupleIJNSF_6TensorESM_SM_EERKSM_lbbbEUlllE0_EEPmJS9_EEE10hipError_tPvRmT3_T4_T5_T6_T7_T9_mT8_P12ihipStream_tbDpT10_ENKUlT_T0_E_clISt17integral_constantIbLb0EES1B_IbLb1EEEEDaS17_S18_EUlS17_E_NS1_11comp_targetILNS1_3genE8ELNS1_11target_archE1030ELNS1_3gpuE2ELNS1_3repE0EEENS1_30default_config_static_selectorELNS0_4arch9wavefront6targetE1EEEvT1_,"axG",@progbits,_ZN7rocprim17ROCPRIM_400000_NS6detail17trampoline_kernelINS0_14default_configENS1_25partition_config_selectorILNS1_17partition_subalgoE9EllbEEZZNS1_14partition_implILS5_9ELb0ES3_jPlS8_PNS0_10empty_typeENS0_5tupleIJS8_S9_EEENSB_IJS8_SA_EEENS0_18inequality_wrapperIZN2at6native12_GLOBAL__N_124unique_dim_cuda_templateIN3c108BFloat16EEESt5tupleIJNSF_6TensorESM_SM_EERKSM_lbbbEUlllE0_EEPmJS9_EEE10hipError_tPvRmT3_T4_T5_T6_T7_T9_mT8_P12ihipStream_tbDpT10_ENKUlT_T0_E_clISt17integral_constantIbLb0EES1B_IbLb1EEEEDaS17_S18_EUlS17_E_NS1_11comp_targetILNS1_3genE8ELNS1_11target_archE1030ELNS1_3gpuE2ELNS1_3repE0EEENS1_30default_config_static_selectorELNS0_4arch9wavefront6targetE1EEEvT1_,comdat
.Lfunc_end1237:
	.size	_ZN7rocprim17ROCPRIM_400000_NS6detail17trampoline_kernelINS0_14default_configENS1_25partition_config_selectorILNS1_17partition_subalgoE9EllbEEZZNS1_14partition_implILS5_9ELb0ES3_jPlS8_PNS0_10empty_typeENS0_5tupleIJS8_S9_EEENSB_IJS8_SA_EEENS0_18inequality_wrapperIZN2at6native12_GLOBAL__N_124unique_dim_cuda_templateIN3c108BFloat16EEESt5tupleIJNSF_6TensorESM_SM_EERKSM_lbbbEUlllE0_EEPmJS9_EEE10hipError_tPvRmT3_T4_T5_T6_T7_T9_mT8_P12ihipStream_tbDpT10_ENKUlT_T0_E_clISt17integral_constantIbLb0EES1B_IbLb1EEEEDaS17_S18_EUlS17_E_NS1_11comp_targetILNS1_3genE8ELNS1_11target_archE1030ELNS1_3gpuE2ELNS1_3repE0EEENS1_30default_config_static_selectorELNS0_4arch9wavefront6targetE1EEEvT1_, .Lfunc_end1237-_ZN7rocprim17ROCPRIM_400000_NS6detail17trampoline_kernelINS0_14default_configENS1_25partition_config_selectorILNS1_17partition_subalgoE9EllbEEZZNS1_14partition_implILS5_9ELb0ES3_jPlS8_PNS0_10empty_typeENS0_5tupleIJS8_S9_EEENSB_IJS8_SA_EEENS0_18inequality_wrapperIZN2at6native12_GLOBAL__N_124unique_dim_cuda_templateIN3c108BFloat16EEESt5tupleIJNSF_6TensorESM_SM_EERKSM_lbbbEUlllE0_EEPmJS9_EEE10hipError_tPvRmT3_T4_T5_T6_T7_T9_mT8_P12ihipStream_tbDpT10_ENKUlT_T0_E_clISt17integral_constantIbLb0EES1B_IbLb1EEEEDaS17_S18_EUlS17_E_NS1_11comp_targetILNS1_3genE8ELNS1_11target_archE1030ELNS1_3gpuE2ELNS1_3repE0EEENS1_30default_config_static_selectorELNS0_4arch9wavefront6targetE1EEEvT1_
                                        ; -- End function
	.set _ZN7rocprim17ROCPRIM_400000_NS6detail17trampoline_kernelINS0_14default_configENS1_25partition_config_selectorILNS1_17partition_subalgoE9EllbEEZZNS1_14partition_implILS5_9ELb0ES3_jPlS8_PNS0_10empty_typeENS0_5tupleIJS8_S9_EEENSB_IJS8_SA_EEENS0_18inequality_wrapperIZN2at6native12_GLOBAL__N_124unique_dim_cuda_templateIN3c108BFloat16EEESt5tupleIJNSF_6TensorESM_SM_EERKSM_lbbbEUlllE0_EEPmJS9_EEE10hipError_tPvRmT3_T4_T5_T6_T7_T9_mT8_P12ihipStream_tbDpT10_ENKUlT_T0_E_clISt17integral_constantIbLb0EES1B_IbLb1EEEEDaS17_S18_EUlS17_E_NS1_11comp_targetILNS1_3genE8ELNS1_11target_archE1030ELNS1_3gpuE2ELNS1_3repE0EEENS1_30default_config_static_selectorELNS0_4arch9wavefront6targetE1EEEvT1_.num_vgpr, 0
	.set _ZN7rocprim17ROCPRIM_400000_NS6detail17trampoline_kernelINS0_14default_configENS1_25partition_config_selectorILNS1_17partition_subalgoE9EllbEEZZNS1_14partition_implILS5_9ELb0ES3_jPlS8_PNS0_10empty_typeENS0_5tupleIJS8_S9_EEENSB_IJS8_SA_EEENS0_18inequality_wrapperIZN2at6native12_GLOBAL__N_124unique_dim_cuda_templateIN3c108BFloat16EEESt5tupleIJNSF_6TensorESM_SM_EERKSM_lbbbEUlllE0_EEPmJS9_EEE10hipError_tPvRmT3_T4_T5_T6_T7_T9_mT8_P12ihipStream_tbDpT10_ENKUlT_T0_E_clISt17integral_constantIbLb0EES1B_IbLb1EEEEDaS17_S18_EUlS17_E_NS1_11comp_targetILNS1_3genE8ELNS1_11target_archE1030ELNS1_3gpuE2ELNS1_3repE0EEENS1_30default_config_static_selectorELNS0_4arch9wavefront6targetE1EEEvT1_.num_agpr, 0
	.set _ZN7rocprim17ROCPRIM_400000_NS6detail17trampoline_kernelINS0_14default_configENS1_25partition_config_selectorILNS1_17partition_subalgoE9EllbEEZZNS1_14partition_implILS5_9ELb0ES3_jPlS8_PNS0_10empty_typeENS0_5tupleIJS8_S9_EEENSB_IJS8_SA_EEENS0_18inequality_wrapperIZN2at6native12_GLOBAL__N_124unique_dim_cuda_templateIN3c108BFloat16EEESt5tupleIJNSF_6TensorESM_SM_EERKSM_lbbbEUlllE0_EEPmJS9_EEE10hipError_tPvRmT3_T4_T5_T6_T7_T9_mT8_P12ihipStream_tbDpT10_ENKUlT_T0_E_clISt17integral_constantIbLb0EES1B_IbLb1EEEEDaS17_S18_EUlS17_E_NS1_11comp_targetILNS1_3genE8ELNS1_11target_archE1030ELNS1_3gpuE2ELNS1_3repE0EEENS1_30default_config_static_selectorELNS0_4arch9wavefront6targetE1EEEvT1_.numbered_sgpr, 0
	.set _ZN7rocprim17ROCPRIM_400000_NS6detail17trampoline_kernelINS0_14default_configENS1_25partition_config_selectorILNS1_17partition_subalgoE9EllbEEZZNS1_14partition_implILS5_9ELb0ES3_jPlS8_PNS0_10empty_typeENS0_5tupleIJS8_S9_EEENSB_IJS8_SA_EEENS0_18inequality_wrapperIZN2at6native12_GLOBAL__N_124unique_dim_cuda_templateIN3c108BFloat16EEESt5tupleIJNSF_6TensorESM_SM_EERKSM_lbbbEUlllE0_EEPmJS9_EEE10hipError_tPvRmT3_T4_T5_T6_T7_T9_mT8_P12ihipStream_tbDpT10_ENKUlT_T0_E_clISt17integral_constantIbLb0EES1B_IbLb1EEEEDaS17_S18_EUlS17_E_NS1_11comp_targetILNS1_3genE8ELNS1_11target_archE1030ELNS1_3gpuE2ELNS1_3repE0EEENS1_30default_config_static_selectorELNS0_4arch9wavefront6targetE1EEEvT1_.num_named_barrier, 0
	.set _ZN7rocprim17ROCPRIM_400000_NS6detail17trampoline_kernelINS0_14default_configENS1_25partition_config_selectorILNS1_17partition_subalgoE9EllbEEZZNS1_14partition_implILS5_9ELb0ES3_jPlS8_PNS0_10empty_typeENS0_5tupleIJS8_S9_EEENSB_IJS8_SA_EEENS0_18inequality_wrapperIZN2at6native12_GLOBAL__N_124unique_dim_cuda_templateIN3c108BFloat16EEESt5tupleIJNSF_6TensorESM_SM_EERKSM_lbbbEUlllE0_EEPmJS9_EEE10hipError_tPvRmT3_T4_T5_T6_T7_T9_mT8_P12ihipStream_tbDpT10_ENKUlT_T0_E_clISt17integral_constantIbLb0EES1B_IbLb1EEEEDaS17_S18_EUlS17_E_NS1_11comp_targetILNS1_3genE8ELNS1_11target_archE1030ELNS1_3gpuE2ELNS1_3repE0EEENS1_30default_config_static_selectorELNS0_4arch9wavefront6targetE1EEEvT1_.private_seg_size, 0
	.set _ZN7rocprim17ROCPRIM_400000_NS6detail17trampoline_kernelINS0_14default_configENS1_25partition_config_selectorILNS1_17partition_subalgoE9EllbEEZZNS1_14partition_implILS5_9ELb0ES3_jPlS8_PNS0_10empty_typeENS0_5tupleIJS8_S9_EEENSB_IJS8_SA_EEENS0_18inequality_wrapperIZN2at6native12_GLOBAL__N_124unique_dim_cuda_templateIN3c108BFloat16EEESt5tupleIJNSF_6TensorESM_SM_EERKSM_lbbbEUlllE0_EEPmJS9_EEE10hipError_tPvRmT3_T4_T5_T6_T7_T9_mT8_P12ihipStream_tbDpT10_ENKUlT_T0_E_clISt17integral_constantIbLb0EES1B_IbLb1EEEEDaS17_S18_EUlS17_E_NS1_11comp_targetILNS1_3genE8ELNS1_11target_archE1030ELNS1_3gpuE2ELNS1_3repE0EEENS1_30default_config_static_selectorELNS0_4arch9wavefront6targetE1EEEvT1_.uses_vcc, 0
	.set _ZN7rocprim17ROCPRIM_400000_NS6detail17trampoline_kernelINS0_14default_configENS1_25partition_config_selectorILNS1_17partition_subalgoE9EllbEEZZNS1_14partition_implILS5_9ELb0ES3_jPlS8_PNS0_10empty_typeENS0_5tupleIJS8_S9_EEENSB_IJS8_SA_EEENS0_18inequality_wrapperIZN2at6native12_GLOBAL__N_124unique_dim_cuda_templateIN3c108BFloat16EEESt5tupleIJNSF_6TensorESM_SM_EERKSM_lbbbEUlllE0_EEPmJS9_EEE10hipError_tPvRmT3_T4_T5_T6_T7_T9_mT8_P12ihipStream_tbDpT10_ENKUlT_T0_E_clISt17integral_constantIbLb0EES1B_IbLb1EEEEDaS17_S18_EUlS17_E_NS1_11comp_targetILNS1_3genE8ELNS1_11target_archE1030ELNS1_3gpuE2ELNS1_3repE0EEENS1_30default_config_static_selectorELNS0_4arch9wavefront6targetE1EEEvT1_.uses_flat_scratch, 0
	.set _ZN7rocprim17ROCPRIM_400000_NS6detail17trampoline_kernelINS0_14default_configENS1_25partition_config_selectorILNS1_17partition_subalgoE9EllbEEZZNS1_14partition_implILS5_9ELb0ES3_jPlS8_PNS0_10empty_typeENS0_5tupleIJS8_S9_EEENSB_IJS8_SA_EEENS0_18inequality_wrapperIZN2at6native12_GLOBAL__N_124unique_dim_cuda_templateIN3c108BFloat16EEESt5tupleIJNSF_6TensorESM_SM_EERKSM_lbbbEUlllE0_EEPmJS9_EEE10hipError_tPvRmT3_T4_T5_T6_T7_T9_mT8_P12ihipStream_tbDpT10_ENKUlT_T0_E_clISt17integral_constantIbLb0EES1B_IbLb1EEEEDaS17_S18_EUlS17_E_NS1_11comp_targetILNS1_3genE8ELNS1_11target_archE1030ELNS1_3gpuE2ELNS1_3repE0EEENS1_30default_config_static_selectorELNS0_4arch9wavefront6targetE1EEEvT1_.has_dyn_sized_stack, 0
	.set _ZN7rocprim17ROCPRIM_400000_NS6detail17trampoline_kernelINS0_14default_configENS1_25partition_config_selectorILNS1_17partition_subalgoE9EllbEEZZNS1_14partition_implILS5_9ELb0ES3_jPlS8_PNS0_10empty_typeENS0_5tupleIJS8_S9_EEENSB_IJS8_SA_EEENS0_18inequality_wrapperIZN2at6native12_GLOBAL__N_124unique_dim_cuda_templateIN3c108BFloat16EEESt5tupleIJNSF_6TensorESM_SM_EERKSM_lbbbEUlllE0_EEPmJS9_EEE10hipError_tPvRmT3_T4_T5_T6_T7_T9_mT8_P12ihipStream_tbDpT10_ENKUlT_T0_E_clISt17integral_constantIbLb0EES1B_IbLb1EEEEDaS17_S18_EUlS17_E_NS1_11comp_targetILNS1_3genE8ELNS1_11target_archE1030ELNS1_3gpuE2ELNS1_3repE0EEENS1_30default_config_static_selectorELNS0_4arch9wavefront6targetE1EEEvT1_.has_recursion, 0
	.set _ZN7rocprim17ROCPRIM_400000_NS6detail17trampoline_kernelINS0_14default_configENS1_25partition_config_selectorILNS1_17partition_subalgoE9EllbEEZZNS1_14partition_implILS5_9ELb0ES3_jPlS8_PNS0_10empty_typeENS0_5tupleIJS8_S9_EEENSB_IJS8_SA_EEENS0_18inequality_wrapperIZN2at6native12_GLOBAL__N_124unique_dim_cuda_templateIN3c108BFloat16EEESt5tupleIJNSF_6TensorESM_SM_EERKSM_lbbbEUlllE0_EEPmJS9_EEE10hipError_tPvRmT3_T4_T5_T6_T7_T9_mT8_P12ihipStream_tbDpT10_ENKUlT_T0_E_clISt17integral_constantIbLb0EES1B_IbLb1EEEEDaS17_S18_EUlS17_E_NS1_11comp_targetILNS1_3genE8ELNS1_11target_archE1030ELNS1_3gpuE2ELNS1_3repE0EEENS1_30default_config_static_selectorELNS0_4arch9wavefront6targetE1EEEvT1_.has_indirect_call, 0
	.section	.AMDGPU.csdata,"",@progbits
; Kernel info:
; codeLenInByte = 0
; TotalNumSgprs: 6
; NumVgprs: 0
; NumAgprs: 0
; TotalNumVgprs: 0
; ScratchSize: 0
; MemoryBound: 0
; FloatMode: 240
; IeeeMode: 1
; LDSByteSize: 0 bytes/workgroup (compile time only)
; SGPRBlocks: 0
; VGPRBlocks: 0
; NumSGPRsForWavesPerEU: 6
; NumVGPRsForWavesPerEU: 1
; AccumOffset: 4
; Occupancy: 8
; WaveLimiterHint : 0
; COMPUTE_PGM_RSRC2:SCRATCH_EN: 0
; COMPUTE_PGM_RSRC2:USER_SGPR: 2
; COMPUTE_PGM_RSRC2:TRAP_HANDLER: 0
; COMPUTE_PGM_RSRC2:TGID_X_EN: 1
; COMPUTE_PGM_RSRC2:TGID_Y_EN: 0
; COMPUTE_PGM_RSRC2:TGID_Z_EN: 0
; COMPUTE_PGM_RSRC2:TIDIG_COMP_CNT: 0
; COMPUTE_PGM_RSRC3_GFX90A:ACCUM_OFFSET: 0
; COMPUTE_PGM_RSRC3_GFX90A:TG_SPLIT: 0
	.text
	.p2align	2                               ; -- Begin function _ZN7rocprim17ROCPRIM_400000_NS6detail15block_sort_implIlNS0_10empty_typeELj256ELj8ELNS0_4arch9wavefront6targetE1EvE4sortIPlS9_PS3_SA_ZN2at6native12_GLOBAL__N_124unique_dim_cuda_templateIN3c104HalfEEESt5tupleIJNSB_6TensorESI_SI_EERKSI_lbbbEUlllE_EEvjbT_T0_T1_T2_T3_RNS7_12storage_typeE
	.type	_ZN7rocprim17ROCPRIM_400000_NS6detail15block_sort_implIlNS0_10empty_typeELj256ELj8ELNS0_4arch9wavefront6targetE1EvE4sortIPlS9_PS3_SA_ZN2at6native12_GLOBAL__N_124unique_dim_cuda_templateIN3c104HalfEEESt5tupleIJNSB_6TensorESI_SI_EERKSI_lbbbEUlllE_EEvjbT_T0_T1_T2_T3_RNS7_12storage_typeE,@function
_ZN7rocprim17ROCPRIM_400000_NS6detail15block_sort_implIlNS0_10empty_typeELj256ELj8ELNS0_4arch9wavefront6targetE1EvE4sortIPlS9_PS3_SA_ZN2at6native12_GLOBAL__N_124unique_dim_cuda_templateIN3c104HalfEEESt5tupleIJNSB_6TensorESI_SI_EERKSI_lbbbEUlllE_EEvjbT_T0_T1_T2_T3_RNS7_12storage_typeE: ; @_ZN7rocprim17ROCPRIM_400000_NS6detail15block_sort_implIlNS0_10empty_typeELj256ELj8ELNS0_4arch9wavefront6targetE1EvE4sortIPlS9_PS3_SA_ZN2at6native12_GLOBAL__N_124unique_dim_cuda_templateIN3c104HalfEEESt5tupleIJNSB_6TensorESI_SI_EERKSI_lbbbEUlllE_EEvjbT_T0_T1_T2_T3_RNS7_12storage_typeE
; %bb.0:
	s_waitcnt vmcnt(0) expcnt(0) lgkmcnt(0)
	s_or_saveexec_b64 s[0:1], -1
	scratch_store_dword off, v40, s32       ; 4-byte Folded Spill
	s_mov_b64 exec, s[0:1]
	v_writelane_b32 v40, s34, 0
	v_writelane_b32 v40, s35, 1
	;; [unrolled: 1-line block ×4, first 2 shown]
	s_nop 1
	v_writelane_b32 v40, s31, 4
	v_and_b32_e32 v1, 1, v1
	v_and_b32_e32 v26, 0x3ff, v31
	v_cmp_ne_u32_e32 vcc, 1, v1
	s_mov_b64 s[24:25], 0
	v_bfe_u32 v30, v31, 10, 10
	v_bfe_u32 v31, v31, 20, 10
	v_lshlrev_b32_e32 v28, 3, v26
	v_lshrrev_b32_e32 v1, 5, v26
	v_lshrrev_b32_e32 v10, 2, v26
                                        ; implicit-def: $vgpr16_vgpr17
	s_and_saveexec_b64 s[0:1], vcc
	s_xor_b64 s[10:11], exec, s[0:1]
	s_cbranch_execnz .LBB1238_5
; %bb.1:
	s_andn2_saveexec_b64 s[26:27], s[10:11]
	s_cbranch_execnz .LBB1238_737
.LBB1238_2:
	s_or_b64 exec, exec, s[26:27]
	s_and_saveexec_b64 s[0:1], s[24:25]
	s_cbranch_execz .LBB1238_4
.LBB1238_3:
	s_waitcnt lgkmcnt(0)
	v_lshl_add_u64 v[0:1], v[26:27], 3, v[4:5]
	v_add_co_u32_e32 v0, vcc, 0x3000, v0
	s_nop 1
	v_addc_co_u32_e32 v1, vcc, 0, v1, vcc
	flat_store_dwordx2 v[0:1], v[16:17] offset:2048
.LBB1238_4:
	s_or_b64 exec, exec, s[0:1]
	v_readlane_b32 s30, v40, 3
	v_readlane_b32 s31, v40, 4
	v_readlane_b32 s36, v40, 2
	v_readlane_b32 s35, v40, 1
	v_readlane_b32 s34, v40, 0
	s_or_saveexec_b64 s[0:1], -1
	scratch_load_dword v40, off, s32        ; 4-byte Folded Reload
	s_mov_b64 exec, s[0:1]
	s_waitcnt vmcnt(0) lgkmcnt(0)
	s_setpc_b64 s[30:31]
.LBB1238_5:
	v_mov_b32_e32 v27, 0
	v_mov_b32_e32 v29, v27
	v_lshl_add_u64 v[2:3], v[2:3], 0, v[28:29]
	v_add_co_u32_e32 v12, vcc, 0x1000, v2
	v_add_lshl_u32 v29, v1, v26, 3
	s_nop 0
	v_addc_co_u32_e32 v13, vcc, 0, v3, vcc
	flat_load_dwordx2 v[14:15], v[2:3]
	flat_load_dwordx2 v[16:17], v[2:3] offset:2048
	flat_load_dwordx2 v[18:19], v[12:13]
	flat_load_dwordx2 v[20:21], v[12:13] offset:2048
	v_add_co_u32_e32 v12, vcc, 0x2000, v2
	v_add_u32_e32 v0, 0x100, v26
	s_nop 0
	v_addc_co_u32_e32 v13, vcc, 0, v3, vcc
	v_add_co_u32_e32 v2, vcc, 0x3000, v2
	v_add_u32_e32 v1, 0x200, v26
	s_nop 0
	v_addc_co_u32_e32 v3, vcc, 0, v3, vcc
	flat_load_dwordx2 v[22:23], v[12:13]
	flat_load_dwordx2 v[24:25], v[12:13] offset:2048
	flat_load_dwordx2 v[34:35], v[2:3]
	flat_load_dwordx2 v[36:37], v[2:3] offset:2048
	v_add_u32_e32 v2, 0x300, v26
	v_or_b32_e32 v3, 0x400, v26
	v_add_u32_e32 v11, 0x500, v26
	v_add_u32_e32 v12, 0x600, v26
	;; [unrolled: 1-line block ×3, first 2 shown]
	v_add_lshl_u32 v54, v10, v28, 3
	v_lshrrev_b32_e32 v0, 5, v0
	v_lshrrev_b32_e32 v10, 5, v1
	;; [unrolled: 1-line block ×7, first 2 shown]
	v_add_lshl_u32 v32, v0, v26, 3
	v_add_lshl_u32 v48, v10, v1, 3
	;; [unrolled: 1-line block ×7, first 2 shown]
	v_cmp_lt_i64_e32 vcc, 0, v[6:7]
	s_waitcnt vmcnt(0) lgkmcnt(0)
	ds_write_b64 v29, v[14:15]
	ds_write_b64 v32, v[16:17] offset:2048
	ds_write_b64 v48, v[18:19]
	ds_write_b64 v49, v[20:21]
	;; [unrolled: 1-line block ×6, first 2 shown]
	s_waitcnt lgkmcnt(0)
	s_barrier
	ds_read2_b64 v[18:21], v54 offset1:1
	ds_read2_b64 v[14:17], v54 offset0:2 offset1:3
	ds_read2_b64 v[10:13], v54 offset0:4 offset1:5
	;; [unrolled: 1-line block ×3, first 2 shown]
	s_waitcnt lgkmcnt(0)
	s_barrier
	s_load_dwordx2 s[0:1], s[8:9], 0x0
	s_waitcnt lgkmcnt(0)
	s_cmp_lt_u32 s12, s0
	s_cselect_b32 s2, 12, 18
	s_cmp_lt_u32 s13, s1
	s_cselect_b32 s0, 14, 20
	s_add_u32 s0, s8, s0
	s_addc_u32 s1, s9, 0
	s_add_u32 s2, s8, s2
	s_addc_u32 s3, s9, 0
	global_load_ushort v22, v27, s[0:1]
	global_load_ushort v23, v27, s[2:3]
	s_movk_i32 s0, 0x800
	s_waitcnt vmcnt(1)
	v_mad_u32_u24 v22, v31, v22, v30
	s_waitcnt vmcnt(0)
	v_mul_lo_u32 v22, v22, v23
	v_add_lshl_u32 v33, v22, v26, 3
	v_cmp_gt_u32_e64 s[0:1], s0, v33
	s_and_saveexec_b64 s[2:3], s[0:1]
	s_cbranch_execz .LBB1238_253
; %bb.6:
	s_and_saveexec_b64 s[4:5], vcc
	s_cbranch_execnz .LBB1238_17
; %bb.7:
	s_or_b64 exec, exec, s[4:5]
	s_and_saveexec_b64 s[4:5], vcc
	s_cbranch_execnz .LBB1238_34
.LBB1238_8:
	s_or_b64 exec, exec, s[4:5]
	s_and_saveexec_b64 s[0:1], vcc
	s_xor_b64 s[4:5], exec, s[0:1]
	s_cbranch_execnz .LBB1238_51
.LBB1238_9:
	s_or_b64 exec, exec, s[4:5]
	s_and_saveexec_b64 s[4:5], vcc
	s_cbranch_execnz .LBB1238_68
.LBB1238_10:
	s_or_b64 exec, exec, s[4:5]
	s_and_saveexec_b64 s[4:5], vcc
	s_cbranch_execnz .LBB1238_85
.LBB1238_11:
	s_or_b64 exec, exec, s[4:5]
	s_and_saveexec_b64 s[4:5], vcc
	s_cbranch_execnz .LBB1238_102
.LBB1238_12:
	s_or_b64 exec, exec, s[4:5]
	s_and_saveexec_b64 s[4:5], vcc
	s_cbranch_execnz .LBB1238_119
.LBB1238_13:
	s_or_b64 exec, exec, s[4:5]
	s_and_saveexec_b64 s[4:5], vcc
	s_cbranch_execnz .LBB1238_136
.LBB1238_14:
	s_or_b64 exec, exec, s[4:5]
	s_and_saveexec_b64 s[4:5], vcc
	s_cbranch_execnz .LBB1238_153
.LBB1238_15:
	s_or_b64 exec, exec, s[4:5]
	s_and_saveexec_b64 s[4:5], vcc
	s_cbranch_execnz .LBB1238_170
.LBB1238_16:
	s_or_b64 exec, exec, s[4:5]
	s_and_saveexec_b64 s[4:5], vcc
	s_cbranch_execnz .LBB1238_187
	s_branch .LBB1238_252
.LBB1238_17:
	v_mul_lo_u32 v24, v19, v6
	v_mul_lo_u32 v25, v18, v7
	v_mad_u64_u32 v[22:23], s[0:1], v18, v6, 0
	v_add3_u32 v23, v23, v25, v24
	v_mul_lo_u32 v30, v21, v6
	v_mul_lo_u32 v31, v20, v7
	v_mad_u64_u32 v[24:25], s[0:1], v20, v6, 0
	v_add3_u32 v25, v25, v31, v30
	v_lshl_add_u64 v[22:23], v[22:23], 1, v[8:9]
	v_lshl_add_u64 v[24:25], v[24:25], 1, v[8:9]
	s_mov_b64 s[14:15], 0
	v_mov_b64_e32 v[30:31], v[6:7]
                                        ; implicit-def: $sgpr6_sgpr7
                                        ; implicit-def: $sgpr16_sgpr17
                                        ; implicit-def: $sgpr18_sgpr19
                                        ; implicit-def: $sgpr20_sgpr21
                                        ; implicit-def: $sgpr22_sgpr23
	s_branch .LBB1238_19
.LBB1238_18:                            ;   in Loop: Header=BB1238_19 Depth=1
	s_or_b64 exec, exec, s[22:23]
	s_and_b64 s[0:1], exec, s[0:1]
	s_or_b64 s[14:15], s[0:1], s[14:15]
	s_andn2_b64 s[0:1], s[16:17], exec
	s_and_b64 s[16:17], s[18:19], exec
	s_or_b64 s[16:17], s[0:1], s[16:17]
	s_andn2_b64 s[0:1], s[6:7], exec
	s_and_b64 s[6:7], s[20:21], exec
	s_or_b64 s[6:7], s[0:1], s[6:7]
	s_mov_b64 s[22:23], s[20:21]
	s_andn2_b64 exec, exec, s[14:15]
	s_cbranch_execz .LBB1238_23
.LBB1238_19:                            ; =>This Inner Loop Header: Depth=1
	flat_load_ushort v34, v[24:25]
	flat_load_ushort v35, v[22:23]
	s_or_b64 s[20:21], s[20:21], exec
	s_mov_b64 s[24:25], 0
	s_waitcnt vmcnt(0) lgkmcnt(0)
	v_cmp_nlt_f16_e64 s[0:1], v34, v35
	s_and_saveexec_b64 s[26:27], s[0:1]
; %bb.20:                               ;   in Loop: Header=BB1238_19 Depth=1
	v_cmp_ngt_f16_e64 s[0:1], v34, v35
	s_and_b64 s[22:23], s[0:1], s[22:23]
	s_andn2_b64 s[20:21], s[20:21], exec
	s_and_b64 s[22:23], s[22:23], exec
	s_or_b64 s[20:21], s[20:21], s[22:23]
	s_and_b64 s[24:25], s[0:1], exec
; %bb.21:                               ;   in Loop: Header=BB1238_19 Depth=1
	s_or_b64 exec, exec, s[26:27]
	s_mov_b64 s[0:1], -1
	s_or_b64 s[18:19], s[18:19], exec
	s_and_saveexec_b64 s[22:23], s[24:25]
	s_cbranch_execz .LBB1238_18
; %bb.22:                               ;   in Loop: Header=BB1238_19 Depth=1
	v_lshl_add_u64 v[30:31], v[30:31], 0, -1
	v_cmp_eq_u64_e64 s[0:1], 0, v[30:31]
	v_lshl_add_u64 v[22:23], v[22:23], 0, 2
	v_lshl_add_u64 v[24:25], v[24:25], 0, 2
	s_andn2_b64 s[18:19], s[18:19], exec
	s_orn2_b64 s[0:1], s[0:1], exec
	s_branch .LBB1238_18
.LBB1238_23:
	s_or_b64 exec, exec, s[14:15]
	s_and_saveexec_b64 s[0:1], s[16:17]
	s_xor_b64 s[0:1], exec, s[0:1]
; %bb.24:
	v_cndmask_b32_e64 v23, v21, v19, s[6:7]
	v_cndmask_b32_e64 v22, v20, v18, s[6:7]
	;; [unrolled: 1-line block ×4, first 2 shown]
	v_mov_b64_e32 v[20:21], v[22:23]
; %bb.25:
	s_or_b64 exec, exec, s[0:1]
	v_mul_lo_u32 v24, v15, v6
	v_mul_lo_u32 v25, v14, v7
	v_mad_u64_u32 v[22:23], s[0:1], v14, v6, 0
	v_add3_u32 v23, v23, v25, v24
	v_mul_lo_u32 v30, v17, v6
	v_mul_lo_u32 v31, v16, v7
	v_mad_u64_u32 v[24:25], s[0:1], v16, v6, 0
	v_add3_u32 v25, v25, v31, v30
	v_lshl_add_u64 v[22:23], v[22:23], 1, v[8:9]
	v_lshl_add_u64 v[24:25], v[24:25], 1, v[8:9]
	s_mov_b64 s[16:17], 0
	v_mov_b64_e32 v[30:31], v[6:7]
                                        ; implicit-def: $sgpr6_sgpr7
                                        ; implicit-def: $sgpr14_sgpr15
                                        ; implicit-def: $sgpr18_sgpr19
                                        ; implicit-def: $sgpr20_sgpr21
                                        ; implicit-def: $sgpr22_sgpr23
	s_branch .LBB1238_27
.LBB1238_26:                            ;   in Loop: Header=BB1238_27 Depth=1
	s_or_b64 exec, exec, s[22:23]
	s_and_b64 s[0:1], exec, s[0:1]
	s_or_b64 s[16:17], s[0:1], s[16:17]
	s_andn2_b64 s[0:1], s[14:15], exec
	s_and_b64 s[14:15], s[18:19], exec
	s_or_b64 s[14:15], s[0:1], s[14:15]
	s_andn2_b64 s[0:1], s[6:7], exec
	s_and_b64 s[6:7], s[20:21], exec
	s_or_b64 s[6:7], s[0:1], s[6:7]
	s_mov_b64 s[22:23], s[20:21]
	s_andn2_b64 exec, exec, s[16:17]
	s_cbranch_execz .LBB1238_31
.LBB1238_27:                            ; =>This Inner Loop Header: Depth=1
	flat_load_ushort v34, v[24:25]
	flat_load_ushort v35, v[22:23]
	s_or_b64 s[20:21], s[20:21], exec
	s_mov_b64 s[24:25], 0
	s_waitcnt vmcnt(0) lgkmcnt(0)
	v_cmp_nlt_f16_e64 s[0:1], v34, v35
	s_and_saveexec_b64 s[26:27], s[0:1]
; %bb.28:                               ;   in Loop: Header=BB1238_27 Depth=1
	v_cmp_ngt_f16_e64 s[0:1], v34, v35
	s_and_b64 s[22:23], s[0:1], s[22:23]
	s_andn2_b64 s[20:21], s[20:21], exec
	s_and_b64 s[22:23], s[22:23], exec
	s_or_b64 s[20:21], s[20:21], s[22:23]
	s_and_b64 s[24:25], s[0:1], exec
; %bb.29:                               ;   in Loop: Header=BB1238_27 Depth=1
	s_or_b64 exec, exec, s[26:27]
	s_mov_b64 s[0:1], -1
	s_or_b64 s[18:19], s[18:19], exec
	s_and_saveexec_b64 s[22:23], s[24:25]
	s_cbranch_execz .LBB1238_26
; %bb.30:                               ;   in Loop: Header=BB1238_27 Depth=1
	v_lshl_add_u64 v[30:31], v[30:31], 0, -1
	v_cmp_eq_u64_e64 s[0:1], 0, v[30:31]
	v_lshl_add_u64 v[22:23], v[22:23], 0, 2
	v_lshl_add_u64 v[24:25], v[24:25], 0, 2
	s_andn2_b64 s[18:19], s[18:19], exec
	s_orn2_b64 s[0:1], s[0:1], exec
	s_branch .LBB1238_26
.LBB1238_31:
	s_or_b64 exec, exec, s[16:17]
	s_and_saveexec_b64 s[0:1], s[14:15]
	s_xor_b64 s[0:1], exec, s[0:1]
; %bb.32:
	v_cndmask_b32_e64 v23, v15, v17, s[6:7]
	v_cndmask_b32_e64 v22, v14, v16, s[6:7]
	;; [unrolled: 1-line block ×4, first 2 shown]
	v_mov_b64_e32 v[14:15], v[22:23]
; %bb.33:
	s_or_b64 exec, exec, s[0:1]
	s_or_b64 exec, exec, s[4:5]
	s_and_saveexec_b64 s[4:5], vcc
	s_cbranch_execz .LBB1238_8
.LBB1238_34:
	v_mul_lo_u32 v24, v11, v6
	v_mul_lo_u32 v25, v10, v7
	v_mad_u64_u32 v[22:23], s[0:1], v10, v6, 0
	v_add3_u32 v23, v23, v25, v24
	v_mul_lo_u32 v30, v13, v6
	v_mul_lo_u32 v31, v12, v7
	v_mad_u64_u32 v[24:25], s[0:1], v12, v6, 0
	v_add3_u32 v25, v25, v31, v30
	v_lshl_add_u64 v[22:23], v[22:23], 1, v[8:9]
	v_lshl_add_u64 v[24:25], v[24:25], 1, v[8:9]
	s_mov_b64 s[14:15], 0
	v_mov_b64_e32 v[30:31], v[6:7]
                                        ; implicit-def: $sgpr6_sgpr7
                                        ; implicit-def: $sgpr16_sgpr17
                                        ; implicit-def: $sgpr18_sgpr19
                                        ; implicit-def: $sgpr20_sgpr21
                                        ; implicit-def: $sgpr22_sgpr23
	s_branch .LBB1238_36
.LBB1238_35:                            ;   in Loop: Header=BB1238_36 Depth=1
	s_or_b64 exec, exec, s[22:23]
	s_and_b64 s[0:1], exec, s[0:1]
	s_or_b64 s[14:15], s[0:1], s[14:15]
	s_andn2_b64 s[0:1], s[16:17], exec
	s_and_b64 s[16:17], s[18:19], exec
	s_or_b64 s[16:17], s[0:1], s[16:17]
	s_andn2_b64 s[0:1], s[6:7], exec
	s_and_b64 s[6:7], s[20:21], exec
	s_or_b64 s[6:7], s[0:1], s[6:7]
	s_mov_b64 s[22:23], s[20:21]
	s_andn2_b64 exec, exec, s[14:15]
	s_cbranch_execz .LBB1238_40
.LBB1238_36:                            ; =>This Inner Loop Header: Depth=1
	flat_load_ushort v34, v[24:25]
	flat_load_ushort v35, v[22:23]
	s_or_b64 s[20:21], s[20:21], exec
	s_mov_b64 s[24:25], 0
	s_waitcnt vmcnt(0) lgkmcnt(0)
	v_cmp_nlt_f16_e64 s[0:1], v34, v35
	s_and_saveexec_b64 s[26:27], s[0:1]
; %bb.37:                               ;   in Loop: Header=BB1238_36 Depth=1
	v_cmp_ngt_f16_e64 s[0:1], v34, v35
	s_and_b64 s[22:23], s[0:1], s[22:23]
	s_andn2_b64 s[20:21], s[20:21], exec
	s_and_b64 s[22:23], s[22:23], exec
	s_or_b64 s[20:21], s[20:21], s[22:23]
	s_and_b64 s[24:25], s[0:1], exec
; %bb.38:                               ;   in Loop: Header=BB1238_36 Depth=1
	s_or_b64 exec, exec, s[26:27]
	s_mov_b64 s[0:1], -1
	s_or_b64 s[18:19], s[18:19], exec
	s_and_saveexec_b64 s[22:23], s[24:25]
	s_cbranch_execz .LBB1238_35
; %bb.39:                               ;   in Loop: Header=BB1238_36 Depth=1
	v_lshl_add_u64 v[30:31], v[30:31], 0, -1
	v_cmp_eq_u64_e64 s[0:1], 0, v[30:31]
	v_lshl_add_u64 v[22:23], v[22:23], 0, 2
	v_lshl_add_u64 v[24:25], v[24:25], 0, 2
	s_andn2_b64 s[18:19], s[18:19], exec
	s_orn2_b64 s[0:1], s[0:1], exec
	s_branch .LBB1238_35
.LBB1238_40:
	s_or_b64 exec, exec, s[14:15]
	s_and_saveexec_b64 s[0:1], s[16:17]
	s_xor_b64 s[0:1], exec, s[0:1]
; %bb.41:
	v_cndmask_b32_e64 v23, v11, v13, s[6:7]
	v_cndmask_b32_e64 v22, v10, v12, s[6:7]
	;; [unrolled: 1-line block ×4, first 2 shown]
	v_mov_b64_e32 v[10:11], v[22:23]
; %bb.42:
	s_or_b64 exec, exec, s[0:1]
	v_mul_lo_u32 v24, v1, v6
	v_mul_lo_u32 v25, v0, v7
	v_mad_u64_u32 v[22:23], s[0:1], v0, v6, 0
	v_add3_u32 v23, v23, v25, v24
	v_mul_lo_u32 v30, v3, v6
	v_mul_lo_u32 v31, v2, v7
	v_mad_u64_u32 v[24:25], s[0:1], v2, v6, 0
	v_add3_u32 v25, v25, v31, v30
	v_lshl_add_u64 v[22:23], v[22:23], 1, v[8:9]
	v_lshl_add_u64 v[24:25], v[24:25], 1, v[8:9]
	s_mov_b64 s[16:17], 0
	v_mov_b64_e32 v[30:31], v[6:7]
                                        ; implicit-def: $sgpr6_sgpr7
                                        ; implicit-def: $sgpr14_sgpr15
                                        ; implicit-def: $sgpr18_sgpr19
                                        ; implicit-def: $sgpr20_sgpr21
                                        ; implicit-def: $sgpr22_sgpr23
	s_branch .LBB1238_44
.LBB1238_43:                            ;   in Loop: Header=BB1238_44 Depth=1
	s_or_b64 exec, exec, s[22:23]
	s_and_b64 s[0:1], exec, s[0:1]
	s_or_b64 s[16:17], s[0:1], s[16:17]
	s_andn2_b64 s[0:1], s[14:15], exec
	s_and_b64 s[14:15], s[18:19], exec
	s_or_b64 s[14:15], s[0:1], s[14:15]
	s_andn2_b64 s[0:1], s[6:7], exec
	s_and_b64 s[6:7], s[20:21], exec
	s_or_b64 s[6:7], s[0:1], s[6:7]
	s_mov_b64 s[22:23], s[20:21]
	s_andn2_b64 exec, exec, s[16:17]
	s_cbranch_execz .LBB1238_48
.LBB1238_44:                            ; =>This Inner Loop Header: Depth=1
	flat_load_ushort v34, v[24:25]
	flat_load_ushort v35, v[22:23]
	s_or_b64 s[20:21], s[20:21], exec
	s_mov_b64 s[24:25], 0
	s_waitcnt vmcnt(0) lgkmcnt(0)
	v_cmp_nlt_f16_e64 s[0:1], v34, v35
	s_and_saveexec_b64 s[26:27], s[0:1]
; %bb.45:                               ;   in Loop: Header=BB1238_44 Depth=1
	v_cmp_ngt_f16_e64 s[0:1], v34, v35
	s_and_b64 s[22:23], s[0:1], s[22:23]
	s_andn2_b64 s[20:21], s[20:21], exec
	s_and_b64 s[22:23], s[22:23], exec
	s_or_b64 s[20:21], s[20:21], s[22:23]
	s_and_b64 s[24:25], s[0:1], exec
; %bb.46:                               ;   in Loop: Header=BB1238_44 Depth=1
	s_or_b64 exec, exec, s[26:27]
	s_mov_b64 s[0:1], -1
	s_or_b64 s[18:19], s[18:19], exec
	s_and_saveexec_b64 s[22:23], s[24:25]
	s_cbranch_execz .LBB1238_43
; %bb.47:                               ;   in Loop: Header=BB1238_44 Depth=1
	v_lshl_add_u64 v[30:31], v[30:31], 0, -1
	v_cmp_eq_u64_e64 s[0:1], 0, v[30:31]
	v_lshl_add_u64 v[22:23], v[22:23], 0, 2
	v_lshl_add_u64 v[24:25], v[24:25], 0, 2
	s_andn2_b64 s[18:19], s[18:19], exec
	s_orn2_b64 s[0:1], s[0:1], exec
	s_branch .LBB1238_43
.LBB1238_48:
	s_or_b64 exec, exec, s[16:17]
	s_and_saveexec_b64 s[0:1], s[14:15]
	s_xor_b64 s[0:1], exec, s[0:1]
; %bb.49:
	v_cndmask_b32_e64 v23, v1, v3, s[6:7]
	v_cndmask_b32_e64 v22, v0, v2, s[6:7]
	;; [unrolled: 1-line block ×4, first 2 shown]
	v_mov_b64_e32 v[0:1], v[22:23]
; %bb.50:
	s_or_b64 exec, exec, s[0:1]
	s_or_b64 exec, exec, s[4:5]
	s_and_saveexec_b64 s[0:1], vcc
	s_xor_b64 s[4:5], exec, s[0:1]
	s_cbranch_execz .LBB1238_9
.LBB1238_51:
	v_mul_lo_u32 v24, v21, v6
	v_mul_lo_u32 v25, v20, v7
	v_mad_u64_u32 v[22:23], s[0:1], v20, v6, 0
	v_add3_u32 v23, v23, v25, v24
	v_mul_lo_u32 v30, v15, v6
	v_mul_lo_u32 v31, v14, v7
	v_mad_u64_u32 v[24:25], s[0:1], v14, v6, 0
	v_add3_u32 v25, v25, v31, v30
	v_lshl_add_u64 v[22:23], v[22:23], 1, v[8:9]
	v_lshl_add_u64 v[24:25], v[24:25], 1, v[8:9]
	s_mov_b64 s[14:15], 0
	v_mov_b64_e32 v[30:31], v[6:7]
                                        ; implicit-def: $sgpr6_sgpr7
                                        ; implicit-def: $sgpr16_sgpr17
                                        ; implicit-def: $sgpr18_sgpr19
                                        ; implicit-def: $sgpr20_sgpr21
                                        ; implicit-def: $sgpr22_sgpr23
	s_branch .LBB1238_53
.LBB1238_52:                            ;   in Loop: Header=BB1238_53 Depth=1
	s_or_b64 exec, exec, s[22:23]
	s_and_b64 s[0:1], exec, s[0:1]
	s_or_b64 s[14:15], s[0:1], s[14:15]
	s_andn2_b64 s[0:1], s[16:17], exec
	s_and_b64 s[16:17], s[18:19], exec
	s_or_b64 s[16:17], s[0:1], s[16:17]
	s_andn2_b64 s[0:1], s[6:7], exec
	s_and_b64 s[6:7], s[20:21], exec
	s_or_b64 s[6:7], s[0:1], s[6:7]
	s_mov_b64 s[22:23], s[20:21]
	s_andn2_b64 exec, exec, s[14:15]
	s_cbranch_execz .LBB1238_57
.LBB1238_53:                            ; =>This Inner Loop Header: Depth=1
	flat_load_ushort v34, v[24:25]
	flat_load_ushort v35, v[22:23]
	s_or_b64 s[20:21], s[20:21], exec
	s_mov_b64 s[24:25], 0
	s_waitcnt vmcnt(0) lgkmcnt(0)
	v_cmp_nlt_f16_e64 s[0:1], v34, v35
	s_and_saveexec_b64 s[26:27], s[0:1]
; %bb.54:                               ;   in Loop: Header=BB1238_53 Depth=1
	v_cmp_ngt_f16_e64 s[0:1], v34, v35
	s_and_b64 s[22:23], s[0:1], s[22:23]
	s_andn2_b64 s[20:21], s[20:21], exec
	s_and_b64 s[22:23], s[22:23], exec
	s_or_b64 s[20:21], s[20:21], s[22:23]
	s_and_b64 s[24:25], s[0:1], exec
; %bb.55:                               ;   in Loop: Header=BB1238_53 Depth=1
	s_or_b64 exec, exec, s[26:27]
	s_mov_b64 s[0:1], -1
	s_or_b64 s[18:19], s[18:19], exec
	s_and_saveexec_b64 s[22:23], s[24:25]
	s_cbranch_execz .LBB1238_52
; %bb.56:                               ;   in Loop: Header=BB1238_53 Depth=1
	v_lshl_add_u64 v[30:31], v[30:31], 0, -1
	v_cmp_eq_u64_e64 s[0:1], 0, v[30:31]
	v_lshl_add_u64 v[22:23], v[22:23], 0, 2
	v_lshl_add_u64 v[24:25], v[24:25], 0, 2
	s_andn2_b64 s[18:19], s[18:19], exec
	s_orn2_b64 s[0:1], s[0:1], exec
	s_branch .LBB1238_52
.LBB1238_57:
	s_or_b64 exec, exec, s[14:15]
	s_and_saveexec_b64 s[0:1], s[16:17]
	s_xor_b64 s[0:1], exec, s[0:1]
; %bb.58:
	v_cndmask_b32_e64 v23, v21, v15, s[6:7]
	v_cndmask_b32_e64 v22, v20, v14, s[6:7]
	v_cndmask_b32_e64 v15, v15, v21, s[6:7]
	v_cndmask_b32_e64 v14, v14, v20, s[6:7]
	v_mov_b64_e32 v[20:21], v[22:23]
; %bb.59:
	s_or_b64 exec, exec, s[0:1]
	v_mul_lo_u32 v24, v17, v6
	v_mul_lo_u32 v25, v16, v7
	v_mad_u64_u32 v[22:23], s[0:1], v16, v6, 0
	v_add3_u32 v23, v23, v25, v24
	v_mul_lo_u32 v30, v11, v6
	v_mul_lo_u32 v31, v10, v7
	v_mad_u64_u32 v[24:25], s[0:1], v10, v6, 0
	v_add3_u32 v25, v25, v31, v30
	v_lshl_add_u64 v[22:23], v[22:23], 1, v[8:9]
	v_lshl_add_u64 v[24:25], v[24:25], 1, v[8:9]
	s_mov_b64 s[16:17], 0
	v_mov_b64_e32 v[30:31], v[6:7]
                                        ; implicit-def: $sgpr6_sgpr7
                                        ; implicit-def: $sgpr14_sgpr15
                                        ; implicit-def: $sgpr18_sgpr19
                                        ; implicit-def: $sgpr20_sgpr21
                                        ; implicit-def: $sgpr22_sgpr23
	s_branch .LBB1238_61
.LBB1238_60:                            ;   in Loop: Header=BB1238_61 Depth=1
	s_or_b64 exec, exec, s[22:23]
	s_and_b64 s[0:1], exec, s[0:1]
	s_or_b64 s[16:17], s[0:1], s[16:17]
	s_andn2_b64 s[0:1], s[14:15], exec
	s_and_b64 s[14:15], s[18:19], exec
	s_or_b64 s[14:15], s[0:1], s[14:15]
	s_andn2_b64 s[0:1], s[6:7], exec
	s_and_b64 s[6:7], s[20:21], exec
	s_or_b64 s[6:7], s[0:1], s[6:7]
	s_mov_b64 s[22:23], s[20:21]
	s_andn2_b64 exec, exec, s[16:17]
	s_cbranch_execz .LBB1238_65
.LBB1238_61:                            ; =>This Inner Loop Header: Depth=1
	flat_load_ushort v34, v[24:25]
	flat_load_ushort v35, v[22:23]
	s_or_b64 s[20:21], s[20:21], exec
	s_mov_b64 s[24:25], 0
	s_waitcnt vmcnt(0) lgkmcnt(0)
	v_cmp_nlt_f16_e64 s[0:1], v34, v35
	s_and_saveexec_b64 s[26:27], s[0:1]
; %bb.62:                               ;   in Loop: Header=BB1238_61 Depth=1
	v_cmp_ngt_f16_e64 s[0:1], v34, v35
	s_and_b64 s[22:23], s[0:1], s[22:23]
	s_andn2_b64 s[20:21], s[20:21], exec
	s_and_b64 s[22:23], s[22:23], exec
	s_or_b64 s[20:21], s[20:21], s[22:23]
	s_and_b64 s[24:25], s[0:1], exec
; %bb.63:                               ;   in Loop: Header=BB1238_61 Depth=1
	s_or_b64 exec, exec, s[26:27]
	s_mov_b64 s[0:1], -1
	s_or_b64 s[18:19], s[18:19], exec
	s_and_saveexec_b64 s[22:23], s[24:25]
	s_cbranch_execz .LBB1238_60
; %bb.64:                               ;   in Loop: Header=BB1238_61 Depth=1
	v_lshl_add_u64 v[30:31], v[30:31], 0, -1
	v_cmp_eq_u64_e64 s[0:1], 0, v[30:31]
	v_lshl_add_u64 v[22:23], v[22:23], 0, 2
	v_lshl_add_u64 v[24:25], v[24:25], 0, 2
	s_andn2_b64 s[18:19], s[18:19], exec
	s_orn2_b64 s[0:1], s[0:1], exec
	s_branch .LBB1238_60
.LBB1238_65:
	s_or_b64 exec, exec, s[16:17]
	s_and_saveexec_b64 s[0:1], s[14:15]
	s_xor_b64 s[0:1], exec, s[0:1]
; %bb.66:
	v_cndmask_b32_e64 v23, v17, v11, s[6:7]
	v_cndmask_b32_e64 v22, v16, v10, s[6:7]
	;; [unrolled: 1-line block ×4, first 2 shown]
	v_mov_b64_e32 v[16:17], v[22:23]
; %bb.67:
	s_or_b64 exec, exec, s[0:1]
	s_or_b64 exec, exec, s[4:5]
	s_and_saveexec_b64 s[4:5], vcc
	s_cbranch_execz .LBB1238_10
.LBB1238_68:
	v_mul_lo_u32 v24, v13, v6
	v_mul_lo_u32 v25, v12, v7
	v_mad_u64_u32 v[22:23], s[0:1], v12, v6, 0
	v_add3_u32 v23, v23, v25, v24
	v_mul_lo_u32 v30, v1, v6
	v_mul_lo_u32 v31, v0, v7
	v_mad_u64_u32 v[24:25], s[0:1], v0, v6, 0
	v_add3_u32 v25, v25, v31, v30
	v_lshl_add_u64 v[22:23], v[22:23], 1, v[8:9]
	v_lshl_add_u64 v[24:25], v[24:25], 1, v[8:9]
	s_mov_b64 s[14:15], 0
	v_mov_b64_e32 v[30:31], v[6:7]
                                        ; implicit-def: $sgpr6_sgpr7
                                        ; implicit-def: $sgpr16_sgpr17
                                        ; implicit-def: $sgpr18_sgpr19
                                        ; implicit-def: $sgpr20_sgpr21
                                        ; implicit-def: $sgpr22_sgpr23
	s_branch .LBB1238_70
.LBB1238_69:                            ;   in Loop: Header=BB1238_70 Depth=1
	s_or_b64 exec, exec, s[22:23]
	s_and_b64 s[0:1], exec, s[0:1]
	s_or_b64 s[14:15], s[0:1], s[14:15]
	s_andn2_b64 s[0:1], s[16:17], exec
	s_and_b64 s[16:17], s[18:19], exec
	s_or_b64 s[16:17], s[0:1], s[16:17]
	s_andn2_b64 s[0:1], s[6:7], exec
	s_and_b64 s[6:7], s[20:21], exec
	s_or_b64 s[6:7], s[0:1], s[6:7]
	s_mov_b64 s[22:23], s[20:21]
	s_andn2_b64 exec, exec, s[14:15]
	s_cbranch_execz .LBB1238_74
.LBB1238_70:                            ; =>This Inner Loop Header: Depth=1
	flat_load_ushort v34, v[24:25]
	flat_load_ushort v35, v[22:23]
	s_or_b64 s[20:21], s[20:21], exec
	s_mov_b64 s[24:25], 0
	s_waitcnt vmcnt(0) lgkmcnt(0)
	v_cmp_nlt_f16_e64 s[0:1], v34, v35
	s_and_saveexec_b64 s[26:27], s[0:1]
; %bb.71:                               ;   in Loop: Header=BB1238_70 Depth=1
	v_cmp_ngt_f16_e64 s[0:1], v34, v35
	s_and_b64 s[22:23], s[0:1], s[22:23]
	s_andn2_b64 s[20:21], s[20:21], exec
	s_and_b64 s[22:23], s[22:23], exec
	s_or_b64 s[20:21], s[20:21], s[22:23]
	s_and_b64 s[24:25], s[0:1], exec
; %bb.72:                               ;   in Loop: Header=BB1238_70 Depth=1
	s_or_b64 exec, exec, s[26:27]
	s_mov_b64 s[0:1], -1
	s_or_b64 s[18:19], s[18:19], exec
	s_and_saveexec_b64 s[22:23], s[24:25]
	s_cbranch_execz .LBB1238_69
; %bb.73:                               ;   in Loop: Header=BB1238_70 Depth=1
	v_lshl_add_u64 v[30:31], v[30:31], 0, -1
	v_cmp_eq_u64_e64 s[0:1], 0, v[30:31]
	v_lshl_add_u64 v[22:23], v[22:23], 0, 2
	v_lshl_add_u64 v[24:25], v[24:25], 0, 2
	s_andn2_b64 s[18:19], s[18:19], exec
	s_orn2_b64 s[0:1], s[0:1], exec
	s_branch .LBB1238_69
.LBB1238_74:
	s_or_b64 exec, exec, s[14:15]
	s_and_saveexec_b64 s[0:1], s[16:17]
	s_xor_b64 s[0:1], exec, s[0:1]
; %bb.75:
	v_cndmask_b32_e64 v23, v13, v1, s[6:7]
	v_cndmask_b32_e64 v22, v12, v0, s[6:7]
	;; [unrolled: 1-line block ×4, first 2 shown]
	v_mov_b64_e32 v[12:13], v[22:23]
; %bb.76:
	s_or_b64 exec, exec, s[0:1]
	v_mul_lo_u32 v24, v19, v6
	v_mul_lo_u32 v25, v18, v7
	v_mad_u64_u32 v[22:23], s[0:1], v18, v6, 0
	v_add3_u32 v23, v23, v25, v24
	v_mul_lo_u32 v30, v21, v6
	v_mul_lo_u32 v31, v20, v7
	v_mad_u64_u32 v[24:25], s[0:1], v20, v6, 0
	v_add3_u32 v25, v25, v31, v30
	v_lshl_add_u64 v[22:23], v[22:23], 1, v[8:9]
	v_lshl_add_u64 v[24:25], v[24:25], 1, v[8:9]
	s_mov_b64 s[16:17], 0
	v_mov_b64_e32 v[30:31], v[6:7]
                                        ; implicit-def: $sgpr6_sgpr7
                                        ; implicit-def: $sgpr14_sgpr15
                                        ; implicit-def: $sgpr18_sgpr19
                                        ; implicit-def: $sgpr20_sgpr21
                                        ; implicit-def: $sgpr22_sgpr23
	s_branch .LBB1238_78
.LBB1238_77:                            ;   in Loop: Header=BB1238_78 Depth=1
	s_or_b64 exec, exec, s[22:23]
	s_and_b64 s[0:1], exec, s[0:1]
	s_or_b64 s[16:17], s[0:1], s[16:17]
	s_andn2_b64 s[0:1], s[14:15], exec
	s_and_b64 s[14:15], s[18:19], exec
	s_or_b64 s[14:15], s[0:1], s[14:15]
	s_andn2_b64 s[0:1], s[6:7], exec
	s_and_b64 s[6:7], s[20:21], exec
	s_or_b64 s[6:7], s[0:1], s[6:7]
	s_mov_b64 s[22:23], s[20:21]
	s_andn2_b64 exec, exec, s[16:17]
	s_cbranch_execz .LBB1238_82
.LBB1238_78:                            ; =>This Inner Loop Header: Depth=1
	flat_load_ushort v34, v[24:25]
	flat_load_ushort v35, v[22:23]
	s_or_b64 s[20:21], s[20:21], exec
	s_mov_b64 s[24:25], 0
	s_waitcnt vmcnt(0) lgkmcnt(0)
	v_cmp_nlt_f16_e64 s[0:1], v34, v35
	s_and_saveexec_b64 s[26:27], s[0:1]
; %bb.79:                               ;   in Loop: Header=BB1238_78 Depth=1
	v_cmp_ngt_f16_e64 s[0:1], v34, v35
	s_and_b64 s[22:23], s[0:1], s[22:23]
	s_andn2_b64 s[20:21], s[20:21], exec
	s_and_b64 s[22:23], s[22:23], exec
	s_or_b64 s[20:21], s[20:21], s[22:23]
	s_and_b64 s[24:25], s[0:1], exec
; %bb.80:                               ;   in Loop: Header=BB1238_78 Depth=1
	s_or_b64 exec, exec, s[26:27]
	s_mov_b64 s[0:1], -1
	s_or_b64 s[18:19], s[18:19], exec
	s_and_saveexec_b64 s[22:23], s[24:25]
	s_cbranch_execz .LBB1238_77
; %bb.81:                               ;   in Loop: Header=BB1238_78 Depth=1
	v_lshl_add_u64 v[30:31], v[30:31], 0, -1
	v_cmp_eq_u64_e64 s[0:1], 0, v[30:31]
	v_lshl_add_u64 v[22:23], v[22:23], 0, 2
	v_lshl_add_u64 v[24:25], v[24:25], 0, 2
	s_andn2_b64 s[18:19], s[18:19], exec
	s_orn2_b64 s[0:1], s[0:1], exec
	s_branch .LBB1238_77
.LBB1238_82:
	s_or_b64 exec, exec, s[16:17]
	s_and_saveexec_b64 s[0:1], s[14:15]
	s_xor_b64 s[0:1], exec, s[0:1]
; %bb.83:
	v_cndmask_b32_e64 v23, v21, v19, s[6:7]
	v_cndmask_b32_e64 v22, v20, v18, s[6:7]
	;; [unrolled: 1-line block ×4, first 2 shown]
	v_mov_b64_e32 v[20:21], v[22:23]
; %bb.84:
	s_or_b64 exec, exec, s[0:1]
	s_or_b64 exec, exec, s[4:5]
	s_and_saveexec_b64 s[4:5], vcc
	s_cbranch_execz .LBB1238_11
.LBB1238_85:
	v_mul_lo_u32 v24, v15, v6
	v_mul_lo_u32 v25, v14, v7
	v_mad_u64_u32 v[22:23], s[0:1], v14, v6, 0
	v_add3_u32 v23, v23, v25, v24
	v_mul_lo_u32 v30, v17, v6
	v_mul_lo_u32 v31, v16, v7
	v_mad_u64_u32 v[24:25], s[0:1], v16, v6, 0
	v_add3_u32 v25, v25, v31, v30
	v_lshl_add_u64 v[22:23], v[22:23], 1, v[8:9]
	v_lshl_add_u64 v[24:25], v[24:25], 1, v[8:9]
	s_mov_b64 s[14:15], 0
	v_mov_b64_e32 v[30:31], v[6:7]
                                        ; implicit-def: $sgpr6_sgpr7
                                        ; implicit-def: $sgpr16_sgpr17
                                        ; implicit-def: $sgpr18_sgpr19
                                        ; implicit-def: $sgpr20_sgpr21
                                        ; implicit-def: $sgpr22_sgpr23
	s_branch .LBB1238_87
.LBB1238_86:                            ;   in Loop: Header=BB1238_87 Depth=1
	s_or_b64 exec, exec, s[22:23]
	s_and_b64 s[0:1], exec, s[0:1]
	s_or_b64 s[14:15], s[0:1], s[14:15]
	s_andn2_b64 s[0:1], s[16:17], exec
	s_and_b64 s[16:17], s[18:19], exec
	s_or_b64 s[16:17], s[0:1], s[16:17]
	s_andn2_b64 s[0:1], s[6:7], exec
	s_and_b64 s[6:7], s[20:21], exec
	s_or_b64 s[6:7], s[0:1], s[6:7]
	s_mov_b64 s[22:23], s[20:21]
	s_andn2_b64 exec, exec, s[14:15]
	s_cbranch_execz .LBB1238_91
.LBB1238_87:                            ; =>This Inner Loop Header: Depth=1
	flat_load_ushort v34, v[24:25]
	flat_load_ushort v35, v[22:23]
	s_or_b64 s[20:21], s[20:21], exec
	s_mov_b64 s[24:25], 0
	s_waitcnt vmcnt(0) lgkmcnt(0)
	v_cmp_nlt_f16_e64 s[0:1], v34, v35
	s_and_saveexec_b64 s[26:27], s[0:1]
; %bb.88:                               ;   in Loop: Header=BB1238_87 Depth=1
	v_cmp_ngt_f16_e64 s[0:1], v34, v35
	s_and_b64 s[22:23], s[0:1], s[22:23]
	s_andn2_b64 s[20:21], s[20:21], exec
	s_and_b64 s[22:23], s[22:23], exec
	s_or_b64 s[20:21], s[20:21], s[22:23]
	s_and_b64 s[24:25], s[0:1], exec
; %bb.89:                               ;   in Loop: Header=BB1238_87 Depth=1
	s_or_b64 exec, exec, s[26:27]
	s_mov_b64 s[0:1], -1
	s_or_b64 s[18:19], s[18:19], exec
	s_and_saveexec_b64 s[22:23], s[24:25]
	s_cbranch_execz .LBB1238_86
; %bb.90:                               ;   in Loop: Header=BB1238_87 Depth=1
	v_lshl_add_u64 v[30:31], v[30:31], 0, -1
	v_cmp_eq_u64_e64 s[0:1], 0, v[30:31]
	v_lshl_add_u64 v[22:23], v[22:23], 0, 2
	v_lshl_add_u64 v[24:25], v[24:25], 0, 2
	s_andn2_b64 s[18:19], s[18:19], exec
	s_orn2_b64 s[0:1], s[0:1], exec
	s_branch .LBB1238_86
.LBB1238_91:
	s_or_b64 exec, exec, s[14:15]
	s_and_saveexec_b64 s[0:1], s[16:17]
	s_xor_b64 s[0:1], exec, s[0:1]
; %bb.92:
	v_cndmask_b32_e64 v23, v15, v17, s[6:7]
	v_cndmask_b32_e64 v22, v14, v16, s[6:7]
	;; [unrolled: 1-line block ×4, first 2 shown]
	v_mov_b64_e32 v[14:15], v[22:23]
; %bb.93:
	s_or_b64 exec, exec, s[0:1]
	v_mul_lo_u32 v24, v11, v6
	v_mul_lo_u32 v25, v10, v7
	v_mad_u64_u32 v[22:23], s[0:1], v10, v6, 0
	v_add3_u32 v23, v23, v25, v24
	v_mul_lo_u32 v30, v13, v6
	v_mul_lo_u32 v31, v12, v7
	v_mad_u64_u32 v[24:25], s[0:1], v12, v6, 0
	v_add3_u32 v25, v25, v31, v30
	v_lshl_add_u64 v[22:23], v[22:23], 1, v[8:9]
	v_lshl_add_u64 v[24:25], v[24:25], 1, v[8:9]
	s_mov_b64 s[16:17], 0
	v_mov_b64_e32 v[30:31], v[6:7]
                                        ; implicit-def: $sgpr6_sgpr7
                                        ; implicit-def: $sgpr14_sgpr15
                                        ; implicit-def: $sgpr18_sgpr19
                                        ; implicit-def: $sgpr20_sgpr21
                                        ; implicit-def: $sgpr22_sgpr23
	s_branch .LBB1238_95
.LBB1238_94:                            ;   in Loop: Header=BB1238_95 Depth=1
	s_or_b64 exec, exec, s[22:23]
	s_and_b64 s[0:1], exec, s[0:1]
	s_or_b64 s[16:17], s[0:1], s[16:17]
	s_andn2_b64 s[0:1], s[14:15], exec
	s_and_b64 s[14:15], s[18:19], exec
	s_or_b64 s[14:15], s[0:1], s[14:15]
	s_andn2_b64 s[0:1], s[6:7], exec
	s_and_b64 s[6:7], s[20:21], exec
	s_or_b64 s[6:7], s[0:1], s[6:7]
	s_mov_b64 s[22:23], s[20:21]
	s_andn2_b64 exec, exec, s[16:17]
	s_cbranch_execz .LBB1238_99
.LBB1238_95:                            ; =>This Inner Loop Header: Depth=1
	flat_load_ushort v34, v[24:25]
	flat_load_ushort v35, v[22:23]
	s_or_b64 s[20:21], s[20:21], exec
	s_mov_b64 s[24:25], 0
	s_waitcnt vmcnt(0) lgkmcnt(0)
	v_cmp_nlt_f16_e64 s[0:1], v34, v35
	s_and_saveexec_b64 s[26:27], s[0:1]
; %bb.96:                               ;   in Loop: Header=BB1238_95 Depth=1
	v_cmp_ngt_f16_e64 s[0:1], v34, v35
	s_and_b64 s[22:23], s[0:1], s[22:23]
	s_andn2_b64 s[20:21], s[20:21], exec
	s_and_b64 s[22:23], s[22:23], exec
	s_or_b64 s[20:21], s[20:21], s[22:23]
	s_and_b64 s[24:25], s[0:1], exec
; %bb.97:                               ;   in Loop: Header=BB1238_95 Depth=1
	s_or_b64 exec, exec, s[26:27]
	s_mov_b64 s[0:1], -1
	s_or_b64 s[18:19], s[18:19], exec
	s_and_saveexec_b64 s[22:23], s[24:25]
	s_cbranch_execz .LBB1238_94
; %bb.98:                               ;   in Loop: Header=BB1238_95 Depth=1
	v_lshl_add_u64 v[30:31], v[30:31], 0, -1
	v_cmp_eq_u64_e64 s[0:1], 0, v[30:31]
	v_lshl_add_u64 v[22:23], v[22:23], 0, 2
	v_lshl_add_u64 v[24:25], v[24:25], 0, 2
	s_andn2_b64 s[18:19], s[18:19], exec
	s_orn2_b64 s[0:1], s[0:1], exec
	s_branch .LBB1238_94
.LBB1238_99:
	s_or_b64 exec, exec, s[16:17]
	s_and_saveexec_b64 s[0:1], s[14:15]
	s_xor_b64 s[0:1], exec, s[0:1]
; %bb.100:
	v_cndmask_b32_e64 v23, v11, v13, s[6:7]
	v_cndmask_b32_e64 v22, v10, v12, s[6:7]
	;; [unrolled: 1-line block ×4, first 2 shown]
	v_mov_b64_e32 v[10:11], v[22:23]
; %bb.101:
	s_or_b64 exec, exec, s[0:1]
	s_or_b64 exec, exec, s[4:5]
	s_and_saveexec_b64 s[4:5], vcc
	s_cbranch_execz .LBB1238_12
.LBB1238_102:
	v_mul_lo_u32 v24, v1, v6
	v_mul_lo_u32 v25, v0, v7
	v_mad_u64_u32 v[22:23], s[0:1], v0, v6, 0
	v_add3_u32 v23, v23, v25, v24
	v_mul_lo_u32 v30, v3, v6
	v_mul_lo_u32 v31, v2, v7
	v_mad_u64_u32 v[24:25], s[0:1], v2, v6, 0
	v_add3_u32 v25, v25, v31, v30
	v_lshl_add_u64 v[22:23], v[22:23], 1, v[8:9]
	v_lshl_add_u64 v[24:25], v[24:25], 1, v[8:9]
	s_mov_b64 s[14:15], 0
	v_mov_b64_e32 v[30:31], v[6:7]
                                        ; implicit-def: $sgpr6_sgpr7
                                        ; implicit-def: $sgpr16_sgpr17
                                        ; implicit-def: $sgpr18_sgpr19
                                        ; implicit-def: $sgpr20_sgpr21
                                        ; implicit-def: $sgpr22_sgpr23
	s_branch .LBB1238_104
.LBB1238_103:                           ;   in Loop: Header=BB1238_104 Depth=1
	s_or_b64 exec, exec, s[22:23]
	s_and_b64 s[0:1], exec, s[0:1]
	s_or_b64 s[14:15], s[0:1], s[14:15]
	s_andn2_b64 s[0:1], s[16:17], exec
	s_and_b64 s[16:17], s[18:19], exec
	s_or_b64 s[16:17], s[0:1], s[16:17]
	s_andn2_b64 s[0:1], s[6:7], exec
	s_and_b64 s[6:7], s[20:21], exec
	s_or_b64 s[6:7], s[0:1], s[6:7]
	s_mov_b64 s[22:23], s[20:21]
	s_andn2_b64 exec, exec, s[14:15]
	s_cbranch_execz .LBB1238_108
.LBB1238_104:                           ; =>This Inner Loop Header: Depth=1
	flat_load_ushort v34, v[24:25]
	flat_load_ushort v35, v[22:23]
	s_or_b64 s[20:21], s[20:21], exec
	s_mov_b64 s[24:25], 0
	s_waitcnt vmcnt(0) lgkmcnt(0)
	v_cmp_nlt_f16_e64 s[0:1], v34, v35
	s_and_saveexec_b64 s[26:27], s[0:1]
; %bb.105:                              ;   in Loop: Header=BB1238_104 Depth=1
	v_cmp_ngt_f16_e64 s[0:1], v34, v35
	s_and_b64 s[22:23], s[0:1], s[22:23]
	s_andn2_b64 s[20:21], s[20:21], exec
	s_and_b64 s[22:23], s[22:23], exec
	s_or_b64 s[20:21], s[20:21], s[22:23]
	s_and_b64 s[24:25], s[0:1], exec
; %bb.106:                              ;   in Loop: Header=BB1238_104 Depth=1
	s_or_b64 exec, exec, s[26:27]
	s_mov_b64 s[0:1], -1
	s_or_b64 s[18:19], s[18:19], exec
	s_and_saveexec_b64 s[22:23], s[24:25]
	s_cbranch_execz .LBB1238_103
; %bb.107:                              ;   in Loop: Header=BB1238_104 Depth=1
	v_lshl_add_u64 v[30:31], v[30:31], 0, -1
	v_cmp_eq_u64_e64 s[0:1], 0, v[30:31]
	v_lshl_add_u64 v[22:23], v[22:23], 0, 2
	v_lshl_add_u64 v[24:25], v[24:25], 0, 2
	s_andn2_b64 s[18:19], s[18:19], exec
	s_orn2_b64 s[0:1], s[0:1], exec
	s_branch .LBB1238_103
.LBB1238_108:
	s_or_b64 exec, exec, s[14:15]
	s_and_saveexec_b64 s[0:1], s[16:17]
	s_xor_b64 s[0:1], exec, s[0:1]
; %bb.109:
	v_cndmask_b32_e64 v23, v1, v3, s[6:7]
	v_cndmask_b32_e64 v22, v0, v2, s[6:7]
	;; [unrolled: 1-line block ×4, first 2 shown]
	v_mov_b64_e32 v[0:1], v[22:23]
; %bb.110:
	s_or_b64 exec, exec, s[0:1]
	v_mul_lo_u32 v24, v21, v6
	v_mul_lo_u32 v25, v20, v7
	v_mad_u64_u32 v[22:23], s[0:1], v20, v6, 0
	v_add3_u32 v23, v23, v25, v24
	v_mul_lo_u32 v30, v15, v6
	v_mul_lo_u32 v31, v14, v7
	v_mad_u64_u32 v[24:25], s[0:1], v14, v6, 0
	v_add3_u32 v25, v25, v31, v30
	v_lshl_add_u64 v[22:23], v[22:23], 1, v[8:9]
	v_lshl_add_u64 v[24:25], v[24:25], 1, v[8:9]
	s_mov_b64 s[16:17], 0
	v_mov_b64_e32 v[30:31], v[6:7]
                                        ; implicit-def: $sgpr6_sgpr7
                                        ; implicit-def: $sgpr14_sgpr15
                                        ; implicit-def: $sgpr18_sgpr19
                                        ; implicit-def: $sgpr20_sgpr21
                                        ; implicit-def: $sgpr22_sgpr23
	s_branch .LBB1238_112
.LBB1238_111:                           ;   in Loop: Header=BB1238_112 Depth=1
	s_or_b64 exec, exec, s[22:23]
	s_and_b64 s[0:1], exec, s[0:1]
	s_or_b64 s[16:17], s[0:1], s[16:17]
	s_andn2_b64 s[0:1], s[14:15], exec
	s_and_b64 s[14:15], s[18:19], exec
	s_or_b64 s[14:15], s[0:1], s[14:15]
	s_andn2_b64 s[0:1], s[6:7], exec
	s_and_b64 s[6:7], s[20:21], exec
	s_or_b64 s[6:7], s[0:1], s[6:7]
	s_mov_b64 s[22:23], s[20:21]
	s_andn2_b64 exec, exec, s[16:17]
	s_cbranch_execz .LBB1238_116
.LBB1238_112:                           ; =>This Inner Loop Header: Depth=1
	flat_load_ushort v34, v[24:25]
	flat_load_ushort v35, v[22:23]
	s_or_b64 s[20:21], s[20:21], exec
	s_mov_b64 s[24:25], 0
	s_waitcnt vmcnt(0) lgkmcnt(0)
	v_cmp_nlt_f16_e64 s[0:1], v34, v35
	s_and_saveexec_b64 s[26:27], s[0:1]
; %bb.113:                              ;   in Loop: Header=BB1238_112 Depth=1
	v_cmp_ngt_f16_e64 s[0:1], v34, v35
	s_and_b64 s[22:23], s[0:1], s[22:23]
	s_andn2_b64 s[20:21], s[20:21], exec
	s_and_b64 s[22:23], s[22:23], exec
	s_or_b64 s[20:21], s[20:21], s[22:23]
	s_and_b64 s[24:25], s[0:1], exec
; %bb.114:                              ;   in Loop: Header=BB1238_112 Depth=1
	s_or_b64 exec, exec, s[26:27]
	s_mov_b64 s[0:1], -1
	s_or_b64 s[18:19], s[18:19], exec
	s_and_saveexec_b64 s[22:23], s[24:25]
	s_cbranch_execz .LBB1238_111
; %bb.115:                              ;   in Loop: Header=BB1238_112 Depth=1
	v_lshl_add_u64 v[30:31], v[30:31], 0, -1
	v_cmp_eq_u64_e64 s[0:1], 0, v[30:31]
	v_lshl_add_u64 v[22:23], v[22:23], 0, 2
	v_lshl_add_u64 v[24:25], v[24:25], 0, 2
	s_andn2_b64 s[18:19], s[18:19], exec
	s_orn2_b64 s[0:1], s[0:1], exec
	s_branch .LBB1238_111
.LBB1238_116:
	s_or_b64 exec, exec, s[16:17]
	s_and_saveexec_b64 s[0:1], s[14:15]
	s_xor_b64 s[0:1], exec, s[0:1]
; %bb.117:
	v_cndmask_b32_e64 v23, v21, v15, s[6:7]
	v_cndmask_b32_e64 v22, v20, v14, s[6:7]
	;; [unrolled: 1-line block ×4, first 2 shown]
	v_mov_b64_e32 v[20:21], v[22:23]
; %bb.118:
	s_or_b64 exec, exec, s[0:1]
	s_or_b64 exec, exec, s[4:5]
	s_and_saveexec_b64 s[4:5], vcc
	s_cbranch_execz .LBB1238_13
.LBB1238_119:
	v_mul_lo_u32 v24, v17, v6
	v_mul_lo_u32 v25, v16, v7
	v_mad_u64_u32 v[22:23], s[0:1], v16, v6, 0
	v_add3_u32 v23, v23, v25, v24
	v_mul_lo_u32 v30, v11, v6
	v_mul_lo_u32 v31, v10, v7
	v_mad_u64_u32 v[24:25], s[0:1], v10, v6, 0
	v_add3_u32 v25, v25, v31, v30
	v_lshl_add_u64 v[22:23], v[22:23], 1, v[8:9]
	v_lshl_add_u64 v[24:25], v[24:25], 1, v[8:9]
	s_mov_b64 s[14:15], 0
	v_mov_b64_e32 v[30:31], v[6:7]
                                        ; implicit-def: $sgpr6_sgpr7
                                        ; implicit-def: $sgpr16_sgpr17
                                        ; implicit-def: $sgpr18_sgpr19
                                        ; implicit-def: $sgpr20_sgpr21
                                        ; implicit-def: $sgpr22_sgpr23
	s_branch .LBB1238_121
.LBB1238_120:                           ;   in Loop: Header=BB1238_121 Depth=1
	s_or_b64 exec, exec, s[22:23]
	s_and_b64 s[0:1], exec, s[0:1]
	s_or_b64 s[14:15], s[0:1], s[14:15]
	s_andn2_b64 s[0:1], s[16:17], exec
	s_and_b64 s[16:17], s[18:19], exec
	s_or_b64 s[16:17], s[0:1], s[16:17]
	s_andn2_b64 s[0:1], s[6:7], exec
	s_and_b64 s[6:7], s[20:21], exec
	s_or_b64 s[6:7], s[0:1], s[6:7]
	s_mov_b64 s[22:23], s[20:21]
	s_andn2_b64 exec, exec, s[14:15]
	s_cbranch_execz .LBB1238_125
.LBB1238_121:                           ; =>This Inner Loop Header: Depth=1
	flat_load_ushort v34, v[24:25]
	flat_load_ushort v35, v[22:23]
	s_or_b64 s[20:21], s[20:21], exec
	s_mov_b64 s[24:25], 0
	s_waitcnt vmcnt(0) lgkmcnt(0)
	v_cmp_nlt_f16_e64 s[0:1], v34, v35
	s_and_saveexec_b64 s[26:27], s[0:1]
; %bb.122:                              ;   in Loop: Header=BB1238_121 Depth=1
	v_cmp_ngt_f16_e64 s[0:1], v34, v35
	s_and_b64 s[22:23], s[0:1], s[22:23]
	s_andn2_b64 s[20:21], s[20:21], exec
	s_and_b64 s[22:23], s[22:23], exec
	s_or_b64 s[20:21], s[20:21], s[22:23]
	s_and_b64 s[24:25], s[0:1], exec
; %bb.123:                              ;   in Loop: Header=BB1238_121 Depth=1
	s_or_b64 exec, exec, s[26:27]
	s_mov_b64 s[0:1], -1
	s_or_b64 s[18:19], s[18:19], exec
	s_and_saveexec_b64 s[22:23], s[24:25]
	s_cbranch_execz .LBB1238_120
; %bb.124:                              ;   in Loop: Header=BB1238_121 Depth=1
	v_lshl_add_u64 v[30:31], v[30:31], 0, -1
	v_cmp_eq_u64_e64 s[0:1], 0, v[30:31]
	v_lshl_add_u64 v[22:23], v[22:23], 0, 2
	v_lshl_add_u64 v[24:25], v[24:25], 0, 2
	s_andn2_b64 s[18:19], s[18:19], exec
	s_orn2_b64 s[0:1], s[0:1], exec
	s_branch .LBB1238_120
.LBB1238_125:
	s_or_b64 exec, exec, s[14:15]
	s_and_saveexec_b64 s[0:1], s[16:17]
	s_xor_b64 s[0:1], exec, s[0:1]
; %bb.126:
	v_cndmask_b32_e64 v23, v17, v11, s[6:7]
	v_cndmask_b32_e64 v22, v16, v10, s[6:7]
	;; [unrolled: 1-line block ×4, first 2 shown]
	v_mov_b64_e32 v[16:17], v[22:23]
; %bb.127:
	s_or_b64 exec, exec, s[0:1]
	v_mul_lo_u32 v24, v13, v6
	v_mul_lo_u32 v25, v12, v7
	v_mad_u64_u32 v[22:23], s[0:1], v12, v6, 0
	v_add3_u32 v23, v23, v25, v24
	v_mul_lo_u32 v30, v1, v6
	v_mul_lo_u32 v31, v0, v7
	v_mad_u64_u32 v[24:25], s[0:1], v0, v6, 0
	v_add3_u32 v25, v25, v31, v30
	v_lshl_add_u64 v[22:23], v[22:23], 1, v[8:9]
	v_lshl_add_u64 v[24:25], v[24:25], 1, v[8:9]
	s_mov_b64 s[16:17], 0
	v_mov_b64_e32 v[30:31], v[6:7]
                                        ; implicit-def: $sgpr6_sgpr7
                                        ; implicit-def: $sgpr14_sgpr15
                                        ; implicit-def: $sgpr18_sgpr19
                                        ; implicit-def: $sgpr20_sgpr21
                                        ; implicit-def: $sgpr22_sgpr23
	s_branch .LBB1238_129
.LBB1238_128:                           ;   in Loop: Header=BB1238_129 Depth=1
	s_or_b64 exec, exec, s[22:23]
	s_and_b64 s[0:1], exec, s[0:1]
	s_or_b64 s[16:17], s[0:1], s[16:17]
	s_andn2_b64 s[0:1], s[14:15], exec
	s_and_b64 s[14:15], s[18:19], exec
	s_or_b64 s[14:15], s[0:1], s[14:15]
	s_andn2_b64 s[0:1], s[6:7], exec
	s_and_b64 s[6:7], s[20:21], exec
	s_or_b64 s[6:7], s[0:1], s[6:7]
	s_mov_b64 s[22:23], s[20:21]
	s_andn2_b64 exec, exec, s[16:17]
	s_cbranch_execz .LBB1238_133
.LBB1238_129:                           ; =>This Inner Loop Header: Depth=1
	flat_load_ushort v34, v[24:25]
	flat_load_ushort v35, v[22:23]
	s_or_b64 s[20:21], s[20:21], exec
	s_mov_b64 s[24:25], 0
	s_waitcnt vmcnt(0) lgkmcnt(0)
	v_cmp_nlt_f16_e64 s[0:1], v34, v35
	s_and_saveexec_b64 s[26:27], s[0:1]
; %bb.130:                              ;   in Loop: Header=BB1238_129 Depth=1
	v_cmp_ngt_f16_e64 s[0:1], v34, v35
	s_and_b64 s[22:23], s[0:1], s[22:23]
	s_andn2_b64 s[20:21], s[20:21], exec
	s_and_b64 s[22:23], s[22:23], exec
	s_or_b64 s[20:21], s[20:21], s[22:23]
	s_and_b64 s[24:25], s[0:1], exec
; %bb.131:                              ;   in Loop: Header=BB1238_129 Depth=1
	s_or_b64 exec, exec, s[26:27]
	s_mov_b64 s[0:1], -1
	s_or_b64 s[18:19], s[18:19], exec
	s_and_saveexec_b64 s[22:23], s[24:25]
	s_cbranch_execz .LBB1238_128
; %bb.132:                              ;   in Loop: Header=BB1238_129 Depth=1
	v_lshl_add_u64 v[30:31], v[30:31], 0, -1
	v_cmp_eq_u64_e64 s[0:1], 0, v[30:31]
	v_lshl_add_u64 v[22:23], v[22:23], 0, 2
	v_lshl_add_u64 v[24:25], v[24:25], 0, 2
	s_andn2_b64 s[18:19], s[18:19], exec
	s_orn2_b64 s[0:1], s[0:1], exec
	s_branch .LBB1238_128
.LBB1238_133:
	s_or_b64 exec, exec, s[16:17]
	s_and_saveexec_b64 s[0:1], s[14:15]
	s_xor_b64 s[0:1], exec, s[0:1]
; %bb.134:
	v_cndmask_b32_e64 v23, v13, v1, s[6:7]
	v_cndmask_b32_e64 v22, v12, v0, s[6:7]
	;; [unrolled: 1-line block ×4, first 2 shown]
	v_mov_b64_e32 v[12:13], v[22:23]
; %bb.135:
	s_or_b64 exec, exec, s[0:1]
	s_or_b64 exec, exec, s[4:5]
	s_and_saveexec_b64 s[4:5], vcc
	s_cbranch_execz .LBB1238_14
.LBB1238_136:
	v_mul_lo_u32 v24, v19, v6
	v_mul_lo_u32 v25, v18, v7
	v_mad_u64_u32 v[22:23], s[0:1], v18, v6, 0
	v_add3_u32 v23, v23, v25, v24
	v_mul_lo_u32 v30, v21, v6
	v_mul_lo_u32 v31, v20, v7
	v_mad_u64_u32 v[24:25], s[0:1], v20, v6, 0
	v_add3_u32 v25, v25, v31, v30
	v_lshl_add_u64 v[22:23], v[22:23], 1, v[8:9]
	v_lshl_add_u64 v[24:25], v[24:25], 1, v[8:9]
	s_mov_b64 s[14:15], 0
	v_mov_b64_e32 v[30:31], v[6:7]
                                        ; implicit-def: $sgpr6_sgpr7
                                        ; implicit-def: $sgpr16_sgpr17
                                        ; implicit-def: $sgpr18_sgpr19
                                        ; implicit-def: $sgpr20_sgpr21
                                        ; implicit-def: $sgpr22_sgpr23
	s_branch .LBB1238_138
.LBB1238_137:                           ;   in Loop: Header=BB1238_138 Depth=1
	s_or_b64 exec, exec, s[22:23]
	s_and_b64 s[0:1], exec, s[0:1]
	s_or_b64 s[14:15], s[0:1], s[14:15]
	s_andn2_b64 s[0:1], s[16:17], exec
	s_and_b64 s[16:17], s[18:19], exec
	s_or_b64 s[16:17], s[0:1], s[16:17]
	s_andn2_b64 s[0:1], s[6:7], exec
	s_and_b64 s[6:7], s[20:21], exec
	s_or_b64 s[6:7], s[0:1], s[6:7]
	s_mov_b64 s[22:23], s[20:21]
	s_andn2_b64 exec, exec, s[14:15]
	s_cbranch_execz .LBB1238_142
.LBB1238_138:                           ; =>This Inner Loop Header: Depth=1
	flat_load_ushort v34, v[24:25]
	flat_load_ushort v35, v[22:23]
	s_or_b64 s[20:21], s[20:21], exec
	s_mov_b64 s[24:25], 0
	s_waitcnt vmcnt(0) lgkmcnt(0)
	v_cmp_nlt_f16_e64 s[0:1], v34, v35
	s_and_saveexec_b64 s[26:27], s[0:1]
; %bb.139:                              ;   in Loop: Header=BB1238_138 Depth=1
	v_cmp_ngt_f16_e64 s[0:1], v34, v35
	s_and_b64 s[22:23], s[0:1], s[22:23]
	s_andn2_b64 s[20:21], s[20:21], exec
	s_and_b64 s[22:23], s[22:23], exec
	s_or_b64 s[20:21], s[20:21], s[22:23]
	s_and_b64 s[24:25], s[0:1], exec
; %bb.140:                              ;   in Loop: Header=BB1238_138 Depth=1
	s_or_b64 exec, exec, s[26:27]
	s_mov_b64 s[0:1], -1
	s_or_b64 s[18:19], s[18:19], exec
	s_and_saveexec_b64 s[22:23], s[24:25]
	s_cbranch_execz .LBB1238_137
; %bb.141:                              ;   in Loop: Header=BB1238_138 Depth=1
	v_lshl_add_u64 v[30:31], v[30:31], 0, -1
	v_cmp_eq_u64_e64 s[0:1], 0, v[30:31]
	v_lshl_add_u64 v[22:23], v[22:23], 0, 2
	v_lshl_add_u64 v[24:25], v[24:25], 0, 2
	s_andn2_b64 s[18:19], s[18:19], exec
	s_orn2_b64 s[0:1], s[0:1], exec
	s_branch .LBB1238_137
.LBB1238_142:
	s_or_b64 exec, exec, s[14:15]
	s_and_saveexec_b64 s[0:1], s[16:17]
	s_xor_b64 s[0:1], exec, s[0:1]
; %bb.143:
	v_cndmask_b32_e64 v23, v21, v19, s[6:7]
	v_cndmask_b32_e64 v22, v20, v18, s[6:7]
	;; [unrolled: 1-line block ×4, first 2 shown]
	v_mov_b64_e32 v[20:21], v[22:23]
; %bb.144:
	s_or_b64 exec, exec, s[0:1]
	v_mul_lo_u32 v24, v15, v6
	v_mul_lo_u32 v25, v14, v7
	v_mad_u64_u32 v[22:23], s[0:1], v14, v6, 0
	v_add3_u32 v23, v23, v25, v24
	v_mul_lo_u32 v30, v17, v6
	v_mul_lo_u32 v31, v16, v7
	v_mad_u64_u32 v[24:25], s[0:1], v16, v6, 0
	v_add3_u32 v25, v25, v31, v30
	v_lshl_add_u64 v[22:23], v[22:23], 1, v[8:9]
	v_lshl_add_u64 v[24:25], v[24:25], 1, v[8:9]
	s_mov_b64 s[16:17], 0
	v_mov_b64_e32 v[30:31], v[6:7]
                                        ; implicit-def: $sgpr6_sgpr7
                                        ; implicit-def: $sgpr14_sgpr15
                                        ; implicit-def: $sgpr18_sgpr19
                                        ; implicit-def: $sgpr20_sgpr21
                                        ; implicit-def: $sgpr22_sgpr23
	s_branch .LBB1238_146
.LBB1238_145:                           ;   in Loop: Header=BB1238_146 Depth=1
	s_or_b64 exec, exec, s[22:23]
	s_and_b64 s[0:1], exec, s[0:1]
	s_or_b64 s[16:17], s[0:1], s[16:17]
	s_andn2_b64 s[0:1], s[14:15], exec
	s_and_b64 s[14:15], s[18:19], exec
	s_or_b64 s[14:15], s[0:1], s[14:15]
	s_andn2_b64 s[0:1], s[6:7], exec
	s_and_b64 s[6:7], s[20:21], exec
	s_or_b64 s[6:7], s[0:1], s[6:7]
	s_mov_b64 s[22:23], s[20:21]
	s_andn2_b64 exec, exec, s[16:17]
	s_cbranch_execz .LBB1238_150
.LBB1238_146:                           ; =>This Inner Loop Header: Depth=1
	flat_load_ushort v34, v[24:25]
	flat_load_ushort v35, v[22:23]
	s_or_b64 s[20:21], s[20:21], exec
	s_mov_b64 s[24:25], 0
	s_waitcnt vmcnt(0) lgkmcnt(0)
	v_cmp_nlt_f16_e64 s[0:1], v34, v35
	s_and_saveexec_b64 s[26:27], s[0:1]
; %bb.147:                              ;   in Loop: Header=BB1238_146 Depth=1
	v_cmp_ngt_f16_e64 s[0:1], v34, v35
	s_and_b64 s[22:23], s[0:1], s[22:23]
	s_andn2_b64 s[20:21], s[20:21], exec
	s_and_b64 s[22:23], s[22:23], exec
	s_or_b64 s[20:21], s[20:21], s[22:23]
	s_and_b64 s[24:25], s[0:1], exec
; %bb.148:                              ;   in Loop: Header=BB1238_146 Depth=1
	s_or_b64 exec, exec, s[26:27]
	s_mov_b64 s[0:1], -1
	s_or_b64 s[18:19], s[18:19], exec
	s_and_saveexec_b64 s[22:23], s[24:25]
	s_cbranch_execz .LBB1238_145
; %bb.149:                              ;   in Loop: Header=BB1238_146 Depth=1
	v_lshl_add_u64 v[30:31], v[30:31], 0, -1
	v_cmp_eq_u64_e64 s[0:1], 0, v[30:31]
	v_lshl_add_u64 v[22:23], v[22:23], 0, 2
	v_lshl_add_u64 v[24:25], v[24:25], 0, 2
	s_andn2_b64 s[18:19], s[18:19], exec
	s_orn2_b64 s[0:1], s[0:1], exec
	s_branch .LBB1238_145
.LBB1238_150:
	s_or_b64 exec, exec, s[16:17]
	s_and_saveexec_b64 s[0:1], s[14:15]
	s_xor_b64 s[0:1], exec, s[0:1]
; %bb.151:
	v_cndmask_b32_e64 v23, v15, v17, s[6:7]
	v_cndmask_b32_e64 v22, v14, v16, s[6:7]
	;; [unrolled: 1-line block ×4, first 2 shown]
	v_mov_b64_e32 v[14:15], v[22:23]
; %bb.152:
	s_or_b64 exec, exec, s[0:1]
	s_or_b64 exec, exec, s[4:5]
	s_and_saveexec_b64 s[4:5], vcc
	s_cbranch_execz .LBB1238_15
.LBB1238_153:
	v_mul_lo_u32 v24, v11, v6
	v_mul_lo_u32 v25, v10, v7
	v_mad_u64_u32 v[22:23], s[0:1], v10, v6, 0
	v_add3_u32 v23, v23, v25, v24
	v_mul_lo_u32 v30, v13, v6
	v_mul_lo_u32 v31, v12, v7
	v_mad_u64_u32 v[24:25], s[0:1], v12, v6, 0
	v_add3_u32 v25, v25, v31, v30
	v_lshl_add_u64 v[22:23], v[22:23], 1, v[8:9]
	v_lshl_add_u64 v[24:25], v[24:25], 1, v[8:9]
	s_mov_b64 s[14:15], 0
	v_mov_b64_e32 v[30:31], v[6:7]
                                        ; implicit-def: $sgpr6_sgpr7
                                        ; implicit-def: $sgpr16_sgpr17
                                        ; implicit-def: $sgpr18_sgpr19
                                        ; implicit-def: $sgpr20_sgpr21
                                        ; implicit-def: $sgpr22_sgpr23
	s_branch .LBB1238_155
.LBB1238_154:                           ;   in Loop: Header=BB1238_155 Depth=1
	s_or_b64 exec, exec, s[22:23]
	s_and_b64 s[0:1], exec, s[0:1]
	s_or_b64 s[14:15], s[0:1], s[14:15]
	s_andn2_b64 s[0:1], s[16:17], exec
	s_and_b64 s[16:17], s[18:19], exec
	s_or_b64 s[16:17], s[0:1], s[16:17]
	s_andn2_b64 s[0:1], s[6:7], exec
	s_and_b64 s[6:7], s[20:21], exec
	s_or_b64 s[6:7], s[0:1], s[6:7]
	s_mov_b64 s[22:23], s[20:21]
	s_andn2_b64 exec, exec, s[14:15]
	s_cbranch_execz .LBB1238_159
.LBB1238_155:                           ; =>This Inner Loop Header: Depth=1
	flat_load_ushort v34, v[24:25]
	flat_load_ushort v35, v[22:23]
	s_or_b64 s[20:21], s[20:21], exec
	s_mov_b64 s[24:25], 0
	s_waitcnt vmcnt(0) lgkmcnt(0)
	v_cmp_nlt_f16_e64 s[0:1], v34, v35
	s_and_saveexec_b64 s[26:27], s[0:1]
; %bb.156:                              ;   in Loop: Header=BB1238_155 Depth=1
	v_cmp_ngt_f16_e64 s[0:1], v34, v35
	s_and_b64 s[22:23], s[0:1], s[22:23]
	s_andn2_b64 s[20:21], s[20:21], exec
	s_and_b64 s[22:23], s[22:23], exec
	s_or_b64 s[20:21], s[20:21], s[22:23]
	s_and_b64 s[24:25], s[0:1], exec
; %bb.157:                              ;   in Loop: Header=BB1238_155 Depth=1
	s_or_b64 exec, exec, s[26:27]
	s_mov_b64 s[0:1], -1
	s_or_b64 s[18:19], s[18:19], exec
	s_and_saveexec_b64 s[22:23], s[24:25]
	s_cbranch_execz .LBB1238_154
; %bb.158:                              ;   in Loop: Header=BB1238_155 Depth=1
	v_lshl_add_u64 v[30:31], v[30:31], 0, -1
	v_cmp_eq_u64_e64 s[0:1], 0, v[30:31]
	v_lshl_add_u64 v[22:23], v[22:23], 0, 2
	v_lshl_add_u64 v[24:25], v[24:25], 0, 2
	s_andn2_b64 s[18:19], s[18:19], exec
	s_orn2_b64 s[0:1], s[0:1], exec
	s_branch .LBB1238_154
.LBB1238_159:
	s_or_b64 exec, exec, s[14:15]
	s_and_saveexec_b64 s[0:1], s[16:17]
	s_xor_b64 s[0:1], exec, s[0:1]
; %bb.160:
	v_cndmask_b32_e64 v23, v11, v13, s[6:7]
	v_cndmask_b32_e64 v22, v10, v12, s[6:7]
	;; [unrolled: 1-line block ×4, first 2 shown]
	v_mov_b64_e32 v[10:11], v[22:23]
; %bb.161:
	s_or_b64 exec, exec, s[0:1]
	v_mul_lo_u32 v24, v1, v6
	v_mul_lo_u32 v25, v0, v7
	v_mad_u64_u32 v[22:23], s[0:1], v0, v6, 0
	v_add3_u32 v23, v23, v25, v24
	v_mul_lo_u32 v30, v3, v6
	v_mul_lo_u32 v31, v2, v7
	v_mad_u64_u32 v[24:25], s[0:1], v2, v6, 0
	v_add3_u32 v25, v25, v31, v30
	v_lshl_add_u64 v[22:23], v[22:23], 1, v[8:9]
	v_lshl_add_u64 v[24:25], v[24:25], 1, v[8:9]
	s_mov_b64 s[16:17], 0
	v_mov_b64_e32 v[30:31], v[6:7]
                                        ; implicit-def: $sgpr6_sgpr7
                                        ; implicit-def: $sgpr14_sgpr15
                                        ; implicit-def: $sgpr18_sgpr19
                                        ; implicit-def: $sgpr20_sgpr21
                                        ; implicit-def: $sgpr22_sgpr23
	s_branch .LBB1238_163
.LBB1238_162:                           ;   in Loop: Header=BB1238_163 Depth=1
	s_or_b64 exec, exec, s[22:23]
	s_and_b64 s[0:1], exec, s[0:1]
	s_or_b64 s[16:17], s[0:1], s[16:17]
	s_andn2_b64 s[0:1], s[14:15], exec
	s_and_b64 s[14:15], s[18:19], exec
	s_or_b64 s[14:15], s[0:1], s[14:15]
	s_andn2_b64 s[0:1], s[6:7], exec
	s_and_b64 s[6:7], s[20:21], exec
	s_or_b64 s[6:7], s[0:1], s[6:7]
	s_mov_b64 s[22:23], s[20:21]
	s_andn2_b64 exec, exec, s[16:17]
	s_cbranch_execz .LBB1238_167
.LBB1238_163:                           ; =>This Inner Loop Header: Depth=1
	flat_load_ushort v34, v[24:25]
	flat_load_ushort v35, v[22:23]
	s_or_b64 s[20:21], s[20:21], exec
	s_mov_b64 s[24:25], 0
	s_waitcnt vmcnt(0) lgkmcnt(0)
	v_cmp_nlt_f16_e64 s[0:1], v34, v35
	s_and_saveexec_b64 s[26:27], s[0:1]
; %bb.164:                              ;   in Loop: Header=BB1238_163 Depth=1
	v_cmp_ngt_f16_e64 s[0:1], v34, v35
	s_and_b64 s[22:23], s[0:1], s[22:23]
	s_andn2_b64 s[20:21], s[20:21], exec
	s_and_b64 s[22:23], s[22:23], exec
	s_or_b64 s[20:21], s[20:21], s[22:23]
	s_and_b64 s[24:25], s[0:1], exec
; %bb.165:                              ;   in Loop: Header=BB1238_163 Depth=1
	s_or_b64 exec, exec, s[26:27]
	s_mov_b64 s[0:1], -1
	s_or_b64 s[18:19], s[18:19], exec
	s_and_saveexec_b64 s[22:23], s[24:25]
	s_cbranch_execz .LBB1238_162
; %bb.166:                              ;   in Loop: Header=BB1238_163 Depth=1
	v_lshl_add_u64 v[30:31], v[30:31], 0, -1
	v_cmp_eq_u64_e64 s[0:1], 0, v[30:31]
	v_lshl_add_u64 v[22:23], v[22:23], 0, 2
	v_lshl_add_u64 v[24:25], v[24:25], 0, 2
	s_andn2_b64 s[18:19], s[18:19], exec
	s_orn2_b64 s[0:1], s[0:1], exec
	s_branch .LBB1238_162
.LBB1238_167:
	s_or_b64 exec, exec, s[16:17]
	s_and_saveexec_b64 s[0:1], s[14:15]
	s_xor_b64 s[0:1], exec, s[0:1]
; %bb.168:
	v_cndmask_b32_e64 v23, v1, v3, s[6:7]
	v_cndmask_b32_e64 v22, v0, v2, s[6:7]
	;; [unrolled: 1-line block ×4, first 2 shown]
	v_mov_b64_e32 v[0:1], v[22:23]
; %bb.169:
	s_or_b64 exec, exec, s[0:1]
	s_or_b64 exec, exec, s[4:5]
	s_and_saveexec_b64 s[4:5], vcc
	s_cbranch_execz .LBB1238_16
.LBB1238_170:
	v_mul_lo_u32 v24, v21, v6
	v_mul_lo_u32 v25, v20, v7
	v_mad_u64_u32 v[22:23], s[0:1], v20, v6, 0
	v_add3_u32 v23, v23, v25, v24
	v_mul_lo_u32 v30, v15, v6
	v_mul_lo_u32 v31, v14, v7
	v_mad_u64_u32 v[24:25], s[0:1], v14, v6, 0
	v_add3_u32 v25, v25, v31, v30
	v_lshl_add_u64 v[22:23], v[22:23], 1, v[8:9]
	v_lshl_add_u64 v[24:25], v[24:25], 1, v[8:9]
	s_mov_b64 s[14:15], 0
	v_mov_b64_e32 v[30:31], v[6:7]
                                        ; implicit-def: $sgpr6_sgpr7
                                        ; implicit-def: $sgpr16_sgpr17
                                        ; implicit-def: $sgpr18_sgpr19
                                        ; implicit-def: $sgpr20_sgpr21
                                        ; implicit-def: $sgpr22_sgpr23
	s_branch .LBB1238_172
.LBB1238_171:                           ;   in Loop: Header=BB1238_172 Depth=1
	s_or_b64 exec, exec, s[22:23]
	s_and_b64 s[0:1], exec, s[0:1]
	s_or_b64 s[14:15], s[0:1], s[14:15]
	s_andn2_b64 s[0:1], s[16:17], exec
	s_and_b64 s[16:17], s[18:19], exec
	s_or_b64 s[16:17], s[0:1], s[16:17]
	s_andn2_b64 s[0:1], s[6:7], exec
	s_and_b64 s[6:7], s[20:21], exec
	s_or_b64 s[6:7], s[0:1], s[6:7]
	s_mov_b64 s[22:23], s[20:21]
	s_andn2_b64 exec, exec, s[14:15]
	s_cbranch_execz .LBB1238_176
.LBB1238_172:                           ; =>This Inner Loop Header: Depth=1
	flat_load_ushort v34, v[24:25]
	flat_load_ushort v35, v[22:23]
	s_or_b64 s[20:21], s[20:21], exec
	s_mov_b64 s[24:25], 0
	s_waitcnt vmcnt(0) lgkmcnt(0)
	v_cmp_nlt_f16_e64 s[0:1], v34, v35
	s_and_saveexec_b64 s[26:27], s[0:1]
; %bb.173:                              ;   in Loop: Header=BB1238_172 Depth=1
	v_cmp_ngt_f16_e64 s[0:1], v34, v35
	s_and_b64 s[22:23], s[0:1], s[22:23]
	s_andn2_b64 s[20:21], s[20:21], exec
	s_and_b64 s[22:23], s[22:23], exec
	s_or_b64 s[20:21], s[20:21], s[22:23]
	s_and_b64 s[24:25], s[0:1], exec
; %bb.174:                              ;   in Loop: Header=BB1238_172 Depth=1
	s_or_b64 exec, exec, s[26:27]
	s_mov_b64 s[0:1], -1
	s_or_b64 s[18:19], s[18:19], exec
	s_and_saveexec_b64 s[22:23], s[24:25]
	s_cbranch_execz .LBB1238_171
; %bb.175:                              ;   in Loop: Header=BB1238_172 Depth=1
	v_lshl_add_u64 v[30:31], v[30:31], 0, -1
	v_cmp_eq_u64_e64 s[0:1], 0, v[30:31]
	v_lshl_add_u64 v[22:23], v[22:23], 0, 2
	v_lshl_add_u64 v[24:25], v[24:25], 0, 2
	s_andn2_b64 s[18:19], s[18:19], exec
	s_orn2_b64 s[0:1], s[0:1], exec
	s_branch .LBB1238_171
.LBB1238_176:
	s_or_b64 exec, exec, s[14:15]
	s_and_saveexec_b64 s[0:1], s[16:17]
	s_xor_b64 s[0:1], exec, s[0:1]
; %bb.177:
	v_cndmask_b32_e64 v23, v21, v15, s[6:7]
	v_cndmask_b32_e64 v22, v20, v14, s[6:7]
	;; [unrolled: 1-line block ×4, first 2 shown]
	v_mov_b64_e32 v[20:21], v[22:23]
; %bb.178:
	s_or_b64 exec, exec, s[0:1]
	v_mul_lo_u32 v24, v17, v6
	v_mul_lo_u32 v25, v16, v7
	v_mad_u64_u32 v[22:23], s[0:1], v16, v6, 0
	v_add3_u32 v23, v23, v25, v24
	v_mul_lo_u32 v30, v11, v6
	v_mul_lo_u32 v31, v10, v7
	v_mad_u64_u32 v[24:25], s[0:1], v10, v6, 0
	v_add3_u32 v25, v25, v31, v30
	v_lshl_add_u64 v[22:23], v[22:23], 1, v[8:9]
	v_lshl_add_u64 v[24:25], v[24:25], 1, v[8:9]
	s_mov_b64 s[16:17], 0
	v_mov_b64_e32 v[30:31], v[6:7]
                                        ; implicit-def: $sgpr6_sgpr7
                                        ; implicit-def: $sgpr14_sgpr15
                                        ; implicit-def: $sgpr18_sgpr19
                                        ; implicit-def: $sgpr20_sgpr21
                                        ; implicit-def: $sgpr22_sgpr23
	s_branch .LBB1238_180
.LBB1238_179:                           ;   in Loop: Header=BB1238_180 Depth=1
	s_or_b64 exec, exec, s[22:23]
	s_and_b64 s[0:1], exec, s[0:1]
	s_or_b64 s[16:17], s[0:1], s[16:17]
	s_andn2_b64 s[0:1], s[14:15], exec
	s_and_b64 s[14:15], s[18:19], exec
	s_or_b64 s[14:15], s[0:1], s[14:15]
	s_andn2_b64 s[0:1], s[6:7], exec
	s_and_b64 s[6:7], s[20:21], exec
	s_or_b64 s[6:7], s[0:1], s[6:7]
	s_mov_b64 s[22:23], s[20:21]
	s_andn2_b64 exec, exec, s[16:17]
	s_cbranch_execz .LBB1238_184
.LBB1238_180:                           ; =>This Inner Loop Header: Depth=1
	flat_load_ushort v34, v[24:25]
	flat_load_ushort v35, v[22:23]
	s_or_b64 s[20:21], s[20:21], exec
	s_mov_b64 s[24:25], 0
	s_waitcnt vmcnt(0) lgkmcnt(0)
	v_cmp_nlt_f16_e64 s[0:1], v34, v35
	s_and_saveexec_b64 s[26:27], s[0:1]
; %bb.181:                              ;   in Loop: Header=BB1238_180 Depth=1
	v_cmp_ngt_f16_e64 s[0:1], v34, v35
	s_and_b64 s[22:23], s[0:1], s[22:23]
	s_andn2_b64 s[20:21], s[20:21], exec
	s_and_b64 s[22:23], s[22:23], exec
	s_or_b64 s[20:21], s[20:21], s[22:23]
	s_and_b64 s[24:25], s[0:1], exec
; %bb.182:                              ;   in Loop: Header=BB1238_180 Depth=1
	s_or_b64 exec, exec, s[26:27]
	s_mov_b64 s[0:1], -1
	s_or_b64 s[18:19], s[18:19], exec
	s_and_saveexec_b64 s[22:23], s[24:25]
	s_cbranch_execz .LBB1238_179
; %bb.183:                              ;   in Loop: Header=BB1238_180 Depth=1
	v_lshl_add_u64 v[30:31], v[30:31], 0, -1
	v_cmp_eq_u64_e64 s[0:1], 0, v[30:31]
	v_lshl_add_u64 v[22:23], v[22:23], 0, 2
	v_lshl_add_u64 v[24:25], v[24:25], 0, 2
	s_andn2_b64 s[18:19], s[18:19], exec
	s_orn2_b64 s[0:1], s[0:1], exec
	s_branch .LBB1238_179
.LBB1238_184:
	s_or_b64 exec, exec, s[16:17]
	s_and_saveexec_b64 s[0:1], s[14:15]
	s_xor_b64 s[0:1], exec, s[0:1]
; %bb.185:
	v_cndmask_b32_e64 v23, v17, v11, s[6:7]
	v_cndmask_b32_e64 v22, v16, v10, s[6:7]
	;; [unrolled: 1-line block ×4, first 2 shown]
	v_mov_b64_e32 v[16:17], v[22:23]
; %bb.186:
	s_or_b64 exec, exec, s[0:1]
	s_or_b64 exec, exec, s[4:5]
	s_and_saveexec_b64 s[4:5], vcc
	s_cbranch_execz .LBB1238_252
.LBB1238_187:
	v_mul_lo_u32 v24, v13, v6
	v_mul_lo_u32 v25, v12, v7
	v_mad_u64_u32 v[22:23], s[0:1], v12, v6, 0
	v_add3_u32 v23, v23, v25, v24
	v_mul_lo_u32 v30, v1, v6
	v_mul_lo_u32 v31, v0, v7
	v_mad_u64_u32 v[24:25], s[0:1], v0, v6, 0
	v_add3_u32 v25, v25, v31, v30
	v_lshl_add_u64 v[22:23], v[22:23], 1, v[8:9]
	v_lshl_add_u64 v[24:25], v[24:25], 1, v[8:9]
	s_mov_b64 s[14:15], 0
	v_mov_b64_e32 v[30:31], v[6:7]
                                        ; implicit-def: $sgpr6_sgpr7
                                        ; implicit-def: $sgpr16_sgpr17
                                        ; implicit-def: $sgpr18_sgpr19
                                        ; implicit-def: $sgpr20_sgpr21
                                        ; implicit-def: $sgpr22_sgpr23
	s_branch .LBB1238_189
.LBB1238_188:                           ;   in Loop: Header=BB1238_189 Depth=1
	s_or_b64 exec, exec, s[22:23]
	s_and_b64 s[0:1], exec, s[0:1]
	s_or_b64 s[14:15], s[0:1], s[14:15]
	s_andn2_b64 s[0:1], s[16:17], exec
	s_and_b64 s[16:17], s[18:19], exec
	s_or_b64 s[16:17], s[0:1], s[16:17]
	s_andn2_b64 s[0:1], s[6:7], exec
	s_and_b64 s[6:7], s[20:21], exec
	s_or_b64 s[6:7], s[0:1], s[6:7]
	s_mov_b64 s[22:23], s[20:21]
	s_andn2_b64 exec, exec, s[14:15]
	s_cbranch_execz .LBB1238_193
.LBB1238_189:                           ; =>This Inner Loop Header: Depth=1
	flat_load_ushort v34, v[24:25]
	flat_load_ushort v35, v[22:23]
	s_or_b64 s[20:21], s[20:21], exec
	s_mov_b64 s[24:25], 0
	s_waitcnt vmcnt(0) lgkmcnt(0)
	v_cmp_nlt_f16_e64 s[0:1], v34, v35
	s_and_saveexec_b64 s[26:27], s[0:1]
; %bb.190:                              ;   in Loop: Header=BB1238_189 Depth=1
	v_cmp_ngt_f16_e64 s[0:1], v34, v35
	s_and_b64 s[22:23], s[0:1], s[22:23]
	s_andn2_b64 s[20:21], s[20:21], exec
	s_and_b64 s[22:23], s[22:23], exec
	s_or_b64 s[20:21], s[20:21], s[22:23]
	s_and_b64 s[24:25], s[0:1], exec
; %bb.191:                              ;   in Loop: Header=BB1238_189 Depth=1
	s_or_b64 exec, exec, s[26:27]
	s_mov_b64 s[0:1], -1
	s_or_b64 s[18:19], s[18:19], exec
	s_and_saveexec_b64 s[22:23], s[24:25]
	s_cbranch_execz .LBB1238_188
; %bb.192:                              ;   in Loop: Header=BB1238_189 Depth=1
	v_lshl_add_u64 v[30:31], v[30:31], 0, -1
	v_cmp_eq_u64_e64 s[0:1], 0, v[30:31]
	v_lshl_add_u64 v[22:23], v[22:23], 0, 2
	v_lshl_add_u64 v[24:25], v[24:25], 0, 2
	s_andn2_b64 s[18:19], s[18:19], exec
	s_orn2_b64 s[0:1], s[0:1], exec
	s_branch .LBB1238_188
.LBB1238_193:
	s_or_b64 exec, exec, s[14:15]
	s_and_saveexec_b64 s[0:1], s[16:17]
	s_xor_b64 s[0:1], exec, s[0:1]
; %bb.194:
	v_cndmask_b32_e64 v23, v13, v1, s[6:7]
	v_cndmask_b32_e64 v22, v12, v0, s[6:7]
	;; [unrolled: 1-line block ×4, first 2 shown]
	v_mov_b64_e32 v[12:13], v[22:23]
; %bb.195:
	s_or_b64 exec, exec, s[0:1]
	v_mul_lo_u32 v24, v19, v6
	v_mul_lo_u32 v25, v18, v7
	v_mad_u64_u32 v[22:23], s[0:1], v18, v6, 0
	v_add3_u32 v23, v23, v25, v24
	v_mul_lo_u32 v30, v21, v6
	v_mul_lo_u32 v31, v20, v7
	v_mad_u64_u32 v[24:25], s[0:1], v20, v6, 0
	v_add3_u32 v25, v25, v31, v30
	v_lshl_add_u64 v[22:23], v[22:23], 1, v[8:9]
	v_lshl_add_u64 v[24:25], v[24:25], 1, v[8:9]
	s_mov_b64 s[14:15], 0
	v_mov_b64_e32 v[30:31], v[6:7]
                                        ; implicit-def: $sgpr6_sgpr7
                                        ; implicit-def: $sgpr16_sgpr17
                                        ; implicit-def: $sgpr18_sgpr19
                                        ; implicit-def: $sgpr20_sgpr21
                                        ; implicit-def: $sgpr22_sgpr23
	s_branch .LBB1238_197
.LBB1238_196:                           ;   in Loop: Header=BB1238_197 Depth=1
	s_or_b64 exec, exec, s[22:23]
	s_and_b64 s[0:1], exec, s[0:1]
	s_or_b64 s[14:15], s[0:1], s[14:15]
	s_andn2_b64 s[0:1], s[16:17], exec
	s_and_b64 s[16:17], s[18:19], exec
	s_or_b64 s[16:17], s[0:1], s[16:17]
	s_andn2_b64 s[0:1], s[6:7], exec
	s_and_b64 s[6:7], s[20:21], exec
	s_or_b64 s[6:7], s[0:1], s[6:7]
	s_mov_b64 s[22:23], s[20:21]
	s_andn2_b64 exec, exec, s[14:15]
	s_cbranch_execz .LBB1238_201
.LBB1238_197:                           ; =>This Inner Loop Header: Depth=1
	flat_load_ushort v34, v[24:25]
	flat_load_ushort v35, v[22:23]
	s_or_b64 s[20:21], s[20:21], exec
	s_mov_b64 s[24:25], 0
	s_waitcnt vmcnt(0) lgkmcnt(0)
	v_cmp_nlt_f16_e64 s[0:1], v34, v35
	s_and_saveexec_b64 s[26:27], s[0:1]
; %bb.198:                              ;   in Loop: Header=BB1238_197 Depth=1
	v_cmp_ngt_f16_e64 s[0:1], v34, v35
	s_and_b64 s[22:23], s[0:1], s[22:23]
	s_andn2_b64 s[20:21], s[20:21], exec
	s_and_b64 s[22:23], s[22:23], exec
	s_or_b64 s[20:21], s[20:21], s[22:23]
	s_and_b64 s[24:25], s[0:1], exec
; %bb.199:                              ;   in Loop: Header=BB1238_197 Depth=1
	s_or_b64 exec, exec, s[26:27]
	s_mov_b64 s[0:1], -1
	s_or_b64 s[18:19], s[18:19], exec
	s_and_saveexec_b64 s[22:23], s[24:25]
	s_cbranch_execz .LBB1238_196
; %bb.200:                              ;   in Loop: Header=BB1238_197 Depth=1
	v_lshl_add_u64 v[30:31], v[30:31], 0, -1
	v_cmp_eq_u64_e64 s[0:1], 0, v[30:31]
	v_lshl_add_u64 v[22:23], v[22:23], 0, 2
	v_lshl_add_u64 v[24:25], v[24:25], 0, 2
	s_andn2_b64 s[18:19], s[18:19], exec
	s_orn2_b64 s[0:1], s[0:1], exec
	s_branch .LBB1238_196
.LBB1238_201:
	s_or_b64 exec, exec, s[14:15]
	s_and_saveexec_b64 s[0:1], s[16:17]
	s_xor_b64 s[0:1], exec, s[0:1]
; %bb.202:
	v_cndmask_b32_e64 v23, v21, v19, s[6:7]
	v_cndmask_b32_e64 v22, v20, v18, s[6:7]
	;; [unrolled: 1-line block ×4, first 2 shown]
	v_mov_b64_e32 v[20:21], v[22:23]
; %bb.203:
	s_or_b64 exec, exec, s[0:1]
	v_mul_lo_u32 v24, v15, v6
	v_mul_lo_u32 v25, v14, v7
	v_mad_u64_u32 v[22:23], s[0:1], v14, v6, 0
	v_add3_u32 v23, v23, v25, v24
	v_mul_lo_u32 v30, v17, v6
	v_mul_lo_u32 v31, v16, v7
	v_mad_u64_u32 v[24:25], s[0:1], v16, v6, 0
	v_add3_u32 v25, v25, v31, v30
	v_lshl_add_u64 v[22:23], v[22:23], 1, v[8:9]
	v_lshl_add_u64 v[24:25], v[24:25], 1, v[8:9]
	s_mov_b64 s[14:15], 0
	v_mov_b64_e32 v[30:31], v[6:7]
                                        ; implicit-def: $sgpr6_sgpr7
                                        ; implicit-def: $sgpr16_sgpr17
                                        ; implicit-def: $sgpr18_sgpr19
                                        ; implicit-def: $sgpr20_sgpr21
                                        ; implicit-def: $sgpr22_sgpr23
	s_branch .LBB1238_205
.LBB1238_204:                           ;   in Loop: Header=BB1238_205 Depth=1
	s_or_b64 exec, exec, s[22:23]
	s_and_b64 s[0:1], exec, s[0:1]
	s_or_b64 s[14:15], s[0:1], s[14:15]
	s_andn2_b64 s[0:1], s[16:17], exec
	s_and_b64 s[16:17], s[18:19], exec
	s_or_b64 s[16:17], s[0:1], s[16:17]
	s_andn2_b64 s[0:1], s[6:7], exec
	s_and_b64 s[6:7], s[20:21], exec
	s_or_b64 s[6:7], s[0:1], s[6:7]
	s_mov_b64 s[22:23], s[20:21]
	s_andn2_b64 exec, exec, s[14:15]
	s_cbranch_execz .LBB1238_209
.LBB1238_205:                           ; =>This Inner Loop Header: Depth=1
	flat_load_ushort v34, v[24:25]
	flat_load_ushort v35, v[22:23]
	s_or_b64 s[20:21], s[20:21], exec
	s_mov_b64 s[24:25], 0
	s_waitcnt vmcnt(0) lgkmcnt(0)
	v_cmp_nlt_f16_e64 s[0:1], v34, v35
	s_and_saveexec_b64 s[26:27], s[0:1]
; %bb.206:                              ;   in Loop: Header=BB1238_205 Depth=1
	v_cmp_ngt_f16_e64 s[0:1], v34, v35
	s_and_b64 s[22:23], s[0:1], s[22:23]
	s_andn2_b64 s[20:21], s[20:21], exec
	s_and_b64 s[22:23], s[22:23], exec
	s_or_b64 s[20:21], s[20:21], s[22:23]
	s_and_b64 s[24:25], s[0:1], exec
; %bb.207:                              ;   in Loop: Header=BB1238_205 Depth=1
	s_or_b64 exec, exec, s[26:27]
	s_mov_b64 s[0:1], -1
	s_or_b64 s[18:19], s[18:19], exec
	s_and_saveexec_b64 s[22:23], s[24:25]
	s_cbranch_execz .LBB1238_204
; %bb.208:                              ;   in Loop: Header=BB1238_205 Depth=1
	v_lshl_add_u64 v[30:31], v[30:31], 0, -1
	v_cmp_eq_u64_e64 s[0:1], 0, v[30:31]
	v_lshl_add_u64 v[22:23], v[22:23], 0, 2
	v_lshl_add_u64 v[24:25], v[24:25], 0, 2
	s_andn2_b64 s[18:19], s[18:19], exec
	s_orn2_b64 s[0:1], s[0:1], exec
	s_branch .LBB1238_204
.LBB1238_209:
	s_or_b64 exec, exec, s[14:15]
	s_and_saveexec_b64 s[0:1], s[16:17]
	s_xor_b64 s[0:1], exec, s[0:1]
; %bb.210:
	v_cndmask_b32_e64 v23, v15, v17, s[6:7]
	v_cndmask_b32_e64 v22, v14, v16, s[6:7]
	;; [unrolled: 1-line block ×4, first 2 shown]
	v_mov_b64_e32 v[14:15], v[22:23]
; %bb.211:
	s_or_b64 exec, exec, s[0:1]
	v_mul_lo_u32 v24, v11, v6
	v_mul_lo_u32 v25, v10, v7
	v_mad_u64_u32 v[22:23], s[0:1], v10, v6, 0
	v_add3_u32 v23, v23, v25, v24
	v_mul_lo_u32 v30, v13, v6
	v_mul_lo_u32 v31, v12, v7
	v_mad_u64_u32 v[24:25], s[0:1], v12, v6, 0
	v_add3_u32 v25, v25, v31, v30
	v_lshl_add_u64 v[22:23], v[22:23], 1, v[8:9]
	v_lshl_add_u64 v[24:25], v[24:25], 1, v[8:9]
	s_mov_b64 s[14:15], 0
	v_mov_b64_e32 v[30:31], v[6:7]
                                        ; implicit-def: $sgpr6_sgpr7
                                        ; implicit-def: $sgpr16_sgpr17
                                        ; implicit-def: $sgpr18_sgpr19
                                        ; implicit-def: $sgpr20_sgpr21
                                        ; implicit-def: $sgpr22_sgpr23
	s_branch .LBB1238_213
.LBB1238_212:                           ;   in Loop: Header=BB1238_213 Depth=1
	s_or_b64 exec, exec, s[22:23]
	s_and_b64 s[0:1], exec, s[0:1]
	s_or_b64 s[14:15], s[0:1], s[14:15]
	s_andn2_b64 s[0:1], s[16:17], exec
	s_and_b64 s[16:17], s[18:19], exec
	s_or_b64 s[16:17], s[0:1], s[16:17]
	s_andn2_b64 s[0:1], s[6:7], exec
	s_and_b64 s[6:7], s[20:21], exec
	s_or_b64 s[6:7], s[0:1], s[6:7]
	s_mov_b64 s[22:23], s[20:21]
	s_andn2_b64 exec, exec, s[14:15]
	s_cbranch_execz .LBB1238_217
.LBB1238_213:                           ; =>This Inner Loop Header: Depth=1
	flat_load_ushort v34, v[24:25]
	flat_load_ushort v35, v[22:23]
	s_or_b64 s[20:21], s[20:21], exec
	s_mov_b64 s[24:25], 0
	s_waitcnt vmcnt(0) lgkmcnt(0)
	v_cmp_nlt_f16_e64 s[0:1], v34, v35
	s_and_saveexec_b64 s[26:27], s[0:1]
; %bb.214:                              ;   in Loop: Header=BB1238_213 Depth=1
	v_cmp_ngt_f16_e64 s[0:1], v34, v35
	s_and_b64 s[22:23], s[0:1], s[22:23]
	s_andn2_b64 s[20:21], s[20:21], exec
	s_and_b64 s[22:23], s[22:23], exec
	s_or_b64 s[20:21], s[20:21], s[22:23]
	s_and_b64 s[24:25], s[0:1], exec
; %bb.215:                              ;   in Loop: Header=BB1238_213 Depth=1
	s_or_b64 exec, exec, s[26:27]
	s_mov_b64 s[0:1], -1
	s_or_b64 s[18:19], s[18:19], exec
	s_and_saveexec_b64 s[22:23], s[24:25]
	s_cbranch_execz .LBB1238_212
; %bb.216:                              ;   in Loop: Header=BB1238_213 Depth=1
	v_lshl_add_u64 v[30:31], v[30:31], 0, -1
	v_cmp_eq_u64_e64 s[0:1], 0, v[30:31]
	v_lshl_add_u64 v[22:23], v[22:23], 0, 2
	v_lshl_add_u64 v[24:25], v[24:25], 0, 2
	s_andn2_b64 s[18:19], s[18:19], exec
	s_orn2_b64 s[0:1], s[0:1], exec
	s_branch .LBB1238_212
.LBB1238_217:
	s_or_b64 exec, exec, s[14:15]
	s_and_saveexec_b64 s[0:1], s[16:17]
	s_xor_b64 s[0:1], exec, s[0:1]
; %bb.218:
	v_cndmask_b32_e64 v23, v11, v13, s[6:7]
	v_cndmask_b32_e64 v22, v10, v12, s[6:7]
	;; [unrolled: 1-line block ×4, first 2 shown]
	v_mov_b64_e32 v[10:11], v[22:23]
; %bb.219:
	s_or_b64 exec, exec, s[0:1]
	v_mul_lo_u32 v24, v1, v6
	v_mul_lo_u32 v25, v0, v7
	v_mad_u64_u32 v[22:23], s[0:1], v0, v6, 0
	v_add3_u32 v23, v23, v25, v24
	v_mul_lo_u32 v30, v3, v6
	v_mul_lo_u32 v31, v2, v7
	v_mad_u64_u32 v[24:25], s[0:1], v2, v6, 0
	v_add3_u32 v25, v25, v31, v30
	v_lshl_add_u64 v[22:23], v[22:23], 1, v[8:9]
	v_lshl_add_u64 v[24:25], v[24:25], 1, v[8:9]
	s_mov_b64 s[14:15], 0
	v_mov_b64_e32 v[30:31], v[6:7]
                                        ; implicit-def: $sgpr6_sgpr7
                                        ; implicit-def: $sgpr16_sgpr17
                                        ; implicit-def: $sgpr18_sgpr19
                                        ; implicit-def: $sgpr20_sgpr21
                                        ; implicit-def: $sgpr22_sgpr23
	s_branch .LBB1238_221
.LBB1238_220:                           ;   in Loop: Header=BB1238_221 Depth=1
	s_or_b64 exec, exec, s[22:23]
	s_and_b64 s[0:1], exec, s[0:1]
	s_or_b64 s[14:15], s[0:1], s[14:15]
	s_andn2_b64 s[0:1], s[16:17], exec
	s_and_b64 s[16:17], s[18:19], exec
	s_or_b64 s[16:17], s[0:1], s[16:17]
	s_andn2_b64 s[0:1], s[6:7], exec
	s_and_b64 s[6:7], s[20:21], exec
	s_or_b64 s[6:7], s[0:1], s[6:7]
	s_mov_b64 s[22:23], s[20:21]
	s_andn2_b64 exec, exec, s[14:15]
	s_cbranch_execz .LBB1238_225
.LBB1238_221:                           ; =>This Inner Loop Header: Depth=1
	flat_load_ushort v34, v[24:25]
	flat_load_ushort v35, v[22:23]
	s_or_b64 s[20:21], s[20:21], exec
	s_mov_b64 s[24:25], 0
	s_waitcnt vmcnt(0) lgkmcnt(0)
	v_cmp_nlt_f16_e64 s[0:1], v34, v35
	s_and_saveexec_b64 s[26:27], s[0:1]
; %bb.222:                              ;   in Loop: Header=BB1238_221 Depth=1
	v_cmp_ngt_f16_e64 s[0:1], v34, v35
	s_and_b64 s[22:23], s[0:1], s[22:23]
	s_andn2_b64 s[20:21], s[20:21], exec
	s_and_b64 s[22:23], s[22:23], exec
	s_or_b64 s[20:21], s[20:21], s[22:23]
	s_and_b64 s[24:25], s[0:1], exec
; %bb.223:                              ;   in Loop: Header=BB1238_221 Depth=1
	s_or_b64 exec, exec, s[26:27]
	s_mov_b64 s[0:1], -1
	s_or_b64 s[18:19], s[18:19], exec
	s_and_saveexec_b64 s[22:23], s[24:25]
	s_cbranch_execz .LBB1238_220
; %bb.224:                              ;   in Loop: Header=BB1238_221 Depth=1
	v_lshl_add_u64 v[30:31], v[30:31], 0, -1
	v_cmp_eq_u64_e64 s[0:1], 0, v[30:31]
	v_lshl_add_u64 v[22:23], v[22:23], 0, 2
	v_lshl_add_u64 v[24:25], v[24:25], 0, 2
	s_andn2_b64 s[18:19], s[18:19], exec
	s_orn2_b64 s[0:1], s[0:1], exec
	s_branch .LBB1238_220
.LBB1238_225:
	s_or_b64 exec, exec, s[14:15]
	s_and_saveexec_b64 s[0:1], s[16:17]
	s_xor_b64 s[0:1], exec, s[0:1]
; %bb.226:
	v_cndmask_b32_e64 v23, v1, v3, s[6:7]
	v_cndmask_b32_e64 v22, v0, v2, s[6:7]
	;; [unrolled: 1-line block ×4, first 2 shown]
	v_mov_b64_e32 v[0:1], v[22:23]
; %bb.227:
	s_or_b64 exec, exec, s[0:1]
	v_mul_lo_u32 v24, v21, v6
	v_mul_lo_u32 v25, v20, v7
	v_mad_u64_u32 v[22:23], s[0:1], v20, v6, 0
	v_add3_u32 v23, v23, v25, v24
	v_mul_lo_u32 v30, v15, v6
	v_mul_lo_u32 v31, v14, v7
	v_mad_u64_u32 v[24:25], s[0:1], v14, v6, 0
	v_add3_u32 v25, v25, v31, v30
	v_lshl_add_u64 v[22:23], v[22:23], 1, v[8:9]
	v_lshl_add_u64 v[24:25], v[24:25], 1, v[8:9]
	s_mov_b64 s[14:15], 0
	v_mov_b64_e32 v[30:31], v[6:7]
                                        ; implicit-def: $sgpr6_sgpr7
                                        ; implicit-def: $sgpr16_sgpr17
                                        ; implicit-def: $sgpr18_sgpr19
                                        ; implicit-def: $sgpr20_sgpr21
                                        ; implicit-def: $sgpr22_sgpr23
	s_branch .LBB1238_229
.LBB1238_228:                           ;   in Loop: Header=BB1238_229 Depth=1
	s_or_b64 exec, exec, s[22:23]
	s_and_b64 s[0:1], exec, s[0:1]
	s_or_b64 s[14:15], s[0:1], s[14:15]
	s_andn2_b64 s[0:1], s[16:17], exec
	s_and_b64 s[16:17], s[18:19], exec
	s_or_b64 s[16:17], s[0:1], s[16:17]
	s_andn2_b64 s[0:1], s[6:7], exec
	s_and_b64 s[6:7], s[20:21], exec
	s_or_b64 s[6:7], s[0:1], s[6:7]
	s_mov_b64 s[22:23], s[20:21]
	s_andn2_b64 exec, exec, s[14:15]
	s_cbranch_execz .LBB1238_233
.LBB1238_229:                           ; =>This Inner Loop Header: Depth=1
	flat_load_ushort v34, v[24:25]
	flat_load_ushort v35, v[22:23]
	s_or_b64 s[20:21], s[20:21], exec
	s_mov_b64 s[24:25], 0
	s_waitcnt vmcnt(0) lgkmcnt(0)
	v_cmp_nlt_f16_e64 s[0:1], v34, v35
	s_and_saveexec_b64 s[26:27], s[0:1]
; %bb.230:                              ;   in Loop: Header=BB1238_229 Depth=1
	v_cmp_ngt_f16_e64 s[0:1], v34, v35
	s_and_b64 s[22:23], s[0:1], s[22:23]
	s_andn2_b64 s[20:21], s[20:21], exec
	s_and_b64 s[22:23], s[22:23], exec
	s_or_b64 s[20:21], s[20:21], s[22:23]
	s_and_b64 s[24:25], s[0:1], exec
; %bb.231:                              ;   in Loop: Header=BB1238_229 Depth=1
	s_or_b64 exec, exec, s[26:27]
	s_mov_b64 s[0:1], -1
	s_or_b64 s[18:19], s[18:19], exec
	s_and_saveexec_b64 s[22:23], s[24:25]
	s_cbranch_execz .LBB1238_228
; %bb.232:                              ;   in Loop: Header=BB1238_229 Depth=1
	v_lshl_add_u64 v[30:31], v[30:31], 0, -1
	v_cmp_eq_u64_e64 s[0:1], 0, v[30:31]
	v_lshl_add_u64 v[22:23], v[22:23], 0, 2
	v_lshl_add_u64 v[24:25], v[24:25], 0, 2
	s_andn2_b64 s[18:19], s[18:19], exec
	s_orn2_b64 s[0:1], s[0:1], exec
	s_branch .LBB1238_228
.LBB1238_233:
	s_or_b64 exec, exec, s[14:15]
	s_and_saveexec_b64 s[0:1], s[16:17]
	s_xor_b64 s[0:1], exec, s[0:1]
; %bb.234:
	v_cndmask_b32_e64 v23, v21, v15, s[6:7]
	v_cndmask_b32_e64 v22, v20, v14, s[6:7]
	;; [unrolled: 1-line block ×4, first 2 shown]
	v_mov_b64_e32 v[20:21], v[22:23]
; %bb.235:
	s_or_b64 exec, exec, s[0:1]
	v_mul_lo_u32 v24, v17, v6
	v_mul_lo_u32 v25, v16, v7
	v_mad_u64_u32 v[22:23], s[0:1], v16, v6, 0
	v_add3_u32 v23, v23, v25, v24
	v_mul_lo_u32 v30, v11, v6
	v_mul_lo_u32 v31, v10, v7
	v_mad_u64_u32 v[24:25], s[0:1], v10, v6, 0
	v_add3_u32 v25, v25, v31, v30
	v_lshl_add_u64 v[22:23], v[22:23], 1, v[8:9]
	v_lshl_add_u64 v[24:25], v[24:25], 1, v[8:9]
	s_mov_b64 s[14:15], 0
	v_mov_b64_e32 v[30:31], v[6:7]
                                        ; implicit-def: $sgpr6_sgpr7
                                        ; implicit-def: $sgpr16_sgpr17
                                        ; implicit-def: $sgpr18_sgpr19
                                        ; implicit-def: $sgpr20_sgpr21
                                        ; implicit-def: $sgpr22_sgpr23
	s_branch .LBB1238_237
.LBB1238_236:                           ;   in Loop: Header=BB1238_237 Depth=1
	s_or_b64 exec, exec, s[22:23]
	s_and_b64 s[0:1], exec, s[0:1]
	s_or_b64 s[14:15], s[0:1], s[14:15]
	s_andn2_b64 s[0:1], s[16:17], exec
	s_and_b64 s[16:17], s[18:19], exec
	s_or_b64 s[16:17], s[0:1], s[16:17]
	s_andn2_b64 s[0:1], s[6:7], exec
	s_and_b64 s[6:7], s[20:21], exec
	s_or_b64 s[6:7], s[0:1], s[6:7]
	s_mov_b64 s[22:23], s[20:21]
	s_andn2_b64 exec, exec, s[14:15]
	s_cbranch_execz .LBB1238_241
.LBB1238_237:                           ; =>This Inner Loop Header: Depth=1
	flat_load_ushort v34, v[24:25]
	flat_load_ushort v35, v[22:23]
	s_or_b64 s[20:21], s[20:21], exec
	s_mov_b64 s[24:25], 0
	s_waitcnt vmcnt(0) lgkmcnt(0)
	v_cmp_nlt_f16_e64 s[0:1], v34, v35
	s_and_saveexec_b64 s[26:27], s[0:1]
; %bb.238:                              ;   in Loop: Header=BB1238_237 Depth=1
	v_cmp_ngt_f16_e64 s[0:1], v34, v35
	s_and_b64 s[22:23], s[0:1], s[22:23]
	s_andn2_b64 s[20:21], s[20:21], exec
	s_and_b64 s[22:23], s[22:23], exec
	s_or_b64 s[20:21], s[20:21], s[22:23]
	s_and_b64 s[24:25], s[0:1], exec
; %bb.239:                              ;   in Loop: Header=BB1238_237 Depth=1
	s_or_b64 exec, exec, s[26:27]
	s_mov_b64 s[0:1], -1
	s_or_b64 s[18:19], s[18:19], exec
	s_and_saveexec_b64 s[22:23], s[24:25]
	s_cbranch_execz .LBB1238_236
; %bb.240:                              ;   in Loop: Header=BB1238_237 Depth=1
	v_lshl_add_u64 v[30:31], v[30:31], 0, -1
	v_cmp_eq_u64_e64 s[0:1], 0, v[30:31]
	v_lshl_add_u64 v[22:23], v[22:23], 0, 2
	v_lshl_add_u64 v[24:25], v[24:25], 0, 2
	s_andn2_b64 s[18:19], s[18:19], exec
	s_orn2_b64 s[0:1], s[0:1], exec
	s_branch .LBB1238_236
.LBB1238_241:
	s_or_b64 exec, exec, s[14:15]
	s_and_saveexec_b64 s[0:1], s[16:17]
	s_xor_b64 s[0:1], exec, s[0:1]
; %bb.242:
	v_cndmask_b32_e64 v23, v17, v11, s[6:7]
	v_cndmask_b32_e64 v22, v16, v10, s[6:7]
	v_cndmask_b32_e64 v11, v11, v17, s[6:7]
	v_cndmask_b32_e64 v10, v10, v16, s[6:7]
	v_mov_b64_e32 v[16:17], v[22:23]
; %bb.243:
	s_or_b64 exec, exec, s[0:1]
	v_mul_lo_u32 v24, v13, v6
	v_mul_lo_u32 v25, v12, v7
	v_mad_u64_u32 v[22:23], s[0:1], v12, v6, 0
	v_add3_u32 v23, v23, v25, v24
	v_mul_lo_u32 v30, v1, v6
	v_mul_lo_u32 v31, v0, v7
	v_mad_u64_u32 v[24:25], s[0:1], v0, v6, 0
	v_add3_u32 v25, v25, v31, v30
	v_lshl_add_u64 v[22:23], v[22:23], 1, v[8:9]
	v_lshl_add_u64 v[24:25], v[24:25], 1, v[8:9]
	s_mov_b64 s[16:17], 0
	v_mov_b64_e32 v[30:31], v[6:7]
                                        ; implicit-def: $sgpr6_sgpr7
                                        ; implicit-def: $sgpr14_sgpr15
                                        ; implicit-def: $sgpr18_sgpr19
                                        ; implicit-def: $sgpr20_sgpr21
                                        ; implicit-def: $sgpr22_sgpr23
	s_branch .LBB1238_245
.LBB1238_244:                           ;   in Loop: Header=BB1238_245 Depth=1
	s_or_b64 exec, exec, s[22:23]
	s_and_b64 s[0:1], exec, s[0:1]
	s_or_b64 s[16:17], s[0:1], s[16:17]
	s_andn2_b64 s[0:1], s[14:15], exec
	s_and_b64 s[14:15], s[18:19], exec
	s_or_b64 s[14:15], s[0:1], s[14:15]
	s_andn2_b64 s[0:1], s[6:7], exec
	s_and_b64 s[6:7], s[20:21], exec
	s_or_b64 s[6:7], s[0:1], s[6:7]
	s_mov_b64 s[22:23], s[20:21]
	s_andn2_b64 exec, exec, s[16:17]
	s_cbranch_execz .LBB1238_249
.LBB1238_245:                           ; =>This Inner Loop Header: Depth=1
	flat_load_ushort v34, v[24:25]
	flat_load_ushort v35, v[22:23]
	s_or_b64 s[20:21], s[20:21], exec
	s_mov_b64 s[24:25], 0
	s_waitcnt vmcnt(0) lgkmcnt(0)
	v_cmp_nlt_f16_e64 s[0:1], v34, v35
	s_and_saveexec_b64 s[26:27], s[0:1]
; %bb.246:                              ;   in Loop: Header=BB1238_245 Depth=1
	v_cmp_ngt_f16_e64 s[0:1], v34, v35
	s_and_b64 s[22:23], s[0:1], s[22:23]
	s_andn2_b64 s[20:21], s[20:21], exec
	s_and_b64 s[22:23], s[22:23], exec
	s_or_b64 s[20:21], s[20:21], s[22:23]
	s_and_b64 s[24:25], s[0:1], exec
; %bb.247:                              ;   in Loop: Header=BB1238_245 Depth=1
	s_or_b64 exec, exec, s[26:27]
	s_mov_b64 s[0:1], -1
	s_or_b64 s[18:19], s[18:19], exec
	s_and_saveexec_b64 s[22:23], s[24:25]
	s_cbranch_execz .LBB1238_244
; %bb.248:                              ;   in Loop: Header=BB1238_245 Depth=1
	v_lshl_add_u64 v[30:31], v[30:31], 0, -1
	v_cmp_eq_u64_e64 s[0:1], 0, v[30:31]
	v_lshl_add_u64 v[22:23], v[22:23], 0, 2
	v_lshl_add_u64 v[24:25], v[24:25], 0, 2
	s_andn2_b64 s[18:19], s[18:19], exec
	s_orn2_b64 s[0:1], s[0:1], exec
	s_branch .LBB1238_244
.LBB1238_249:
	s_or_b64 exec, exec, s[16:17]
	s_and_saveexec_b64 s[0:1], s[14:15]
	s_xor_b64 s[0:1], exec, s[0:1]
; %bb.250:
	v_cndmask_b32_e64 v23, v13, v1, s[6:7]
	v_cndmask_b32_e64 v22, v12, v0, s[6:7]
	;; [unrolled: 1-line block ×4, first 2 shown]
	v_mov_b64_e32 v[12:13], v[22:23]
; %bb.251:
	s_or_b64 exec, exec, s[0:1]
.LBB1238_252:
	s_or_b64 exec, exec, s[4:5]
.LBB1238_253:
	s_or_b64 exec, exec, s[2:3]
	s_mov_b64 s[0:1], src_shared_base
	v_mbcnt_lo_u32_b32 v22, -1, 0
	v_mov_b32_e32 v31, 0
	v_mbcnt_hi_u32_b32 v24, -1, v22
	v_and_b32_e32 v30, 0xfffffe00, v33
	v_mov_b32_e32 v23, s1
	v_mov_b32_e32 v22, v31
	s_movk_i32 s0, 0x800
	v_lshl_add_u64 v[22:23], v[30:31], 3, v[22:23]
	v_lshlrev_b32_e32 v80, 3, v24
	v_sub_u32_e64 v71, s0, v30 clamp
	v_lshl_add_u32 v81, v24, 6, v22
	v_or_b32_e32 v24, 8, v80
	v_min_u32_e32 v97, v71, v24
	v_add_u32_e32 v24, 8, v97
	v_and_b32_e32 v99, 0x3f0, v80
	v_min_u32_e32 v98, v71, v24
	v_and_b32_e32 v24, 8, v80
	v_min_u32_e32 v100, v71, v24
	v_sub_u32_e32 v24, v97, v99
	v_sub_u32_e32 v25, v98, v97
	v_sub_u32_e64 v101, v100, v25 clamp
	v_min_u32_e32 v82, v100, v24
	v_add_u32_e32 v55, 0x800, v32
	v_add_u32_e32 v64, 8, v54
	;; [unrolled: 1-line block ×8, first 2 shown]
	v_cmp_lt_u32_e64 s[0:1], v101, v82
	ds_write2_b64 v81, v[18:19], v[20:21] offset1:1
	ds_write2_b64 v81, v[14:15], v[16:17] offset0:2 offset1:3
	ds_write2_b64 v81, v[10:11], v[12:13] offset0:4 offset1:5
	ds_write2_b64 v81, v[0:1], v[2:3] offset0:6 offset1:7
	; wave barrier
	s_and_saveexec_b64 s[2:3], s[0:1]
	s_cbranch_execz .LBB1238_265
; %bb.254:
	v_lshlrev_b32_e32 v30, 3, v99
	v_lshl_add_u64 v[24:25], v[22:23], 0, v[30:31]
	v_lshlrev_b32_e32 v30, 3, v97
	v_lshl_add_u64 v[30:31], v[22:23], 0, v[30:31]
	v_lshlrev_b64 v[32:33], 1, v[6:7]
	s_mov_b64 s[4:5], 0
	s_branch .LBB1238_257
.LBB1238_255:                           ;   in Loop: Header=BB1238_257 Depth=1
	s_or_b64 exec, exec, s[14:15]
	s_and_b64 s[0:1], s[16:17], exec
.LBB1238_256:                           ;   in Loop: Header=BB1238_257 Depth=1
	s_or_b64 exec, exec, s[6:7]
	v_add_u32_e32 v31, 1, v25
	v_cndmask_b32_e64 v82, v82, v25, s[0:1]
	v_cndmask_b32_e64 v101, v31, v101, s[0:1]
	v_cmp_ge_u32_e64 s[0:1], v101, v82
	s_or_b64 s[4:5], s[0:1], s[4:5]
	s_andn2_b64 exec, exec, s[4:5]
	s_cbranch_execz .LBB1238_264
.LBB1238_257:                           ; =>This Loop Header: Depth=1
                                        ;     Child Loop BB1238_260 Depth 2
	v_add_u32_e32 v25, v82, v101
	v_lshrrev_b32_e32 v25, 1, v25
	s_mov_b64 s[0:1], 0
	s_and_saveexec_b64 s[6:7], vcc
	s_cbranch_execz .LBB1238_256
; %bb.258:                              ;   in Loop: Header=BB1238_257 Depth=1
	v_lshl_add_u32 v31, v25, 3, v24
	ds_read_b64 v[34:35], v31
	v_xad_u32 v31, v25, -1, v100
	v_lshl_add_u32 v31, v31, 3, v30
	ds_read_b64 v[36:37], v31
	s_mov_b64 s[14:15], 0
	s_waitcnt lgkmcnt(1)
	v_mul_lo_u32 v31, v32, v35
	v_mul_lo_u32 v38, v33, v34
	v_mad_u64_u32 v[34:35], s[0:1], v32, v34, v[8:9]
	v_add3_u32 v35, v38, v35, v31
	s_waitcnt lgkmcnt(0)
	v_mul_lo_u32 v31, v32, v37
	v_mul_lo_u32 v38, v33, v36
	v_mad_u64_u32 v[36:37], s[0:1], v32, v36, v[8:9]
	v_add3_u32 v37, v38, v37, v31
	v_mov_b64_e32 v[38:39], v[6:7]
                                        ; implicit-def: $sgpr16_sgpr17
                                        ; implicit-def: $sgpr18_sgpr19
                                        ; implicit-def: $sgpr24_sgpr25
	s_branch .LBB1238_260
.LBB1238_259:                           ;   in Loop: Header=BB1238_260 Depth=2
	s_or_b64 exec, exec, s[24:25]
	s_and_b64 s[0:1], exec, s[22:23]
	s_or_b64 s[14:15], s[0:1], s[14:15]
	s_andn2_b64 s[0:1], s[16:17], exec
	s_and_b64 s[16:17], s[18:19], exec
	s_or_b64 s[16:17], s[0:1], s[16:17]
	s_mov_b64 s[24:25], s[20:21]
	s_andn2_b64 exec, exec, s[14:15]
	s_cbranch_execz .LBB1238_255
.LBB1238_260:                           ;   Parent Loop BB1238_257 Depth=1
                                        ; =>  This Inner Loop Header: Depth=2
	flat_load_ushort v31, v[36:37]
	flat_load_ushort v83, v[34:35]
	s_mov_b64 s[22:23], -1
	s_mov_b64 s[26:27], 0
	s_mov_b64 s[20:21], -1
	s_waitcnt vmcnt(0) lgkmcnt(0)
	v_cmp_nlt_f16_e64 s[0:1], v31, v83
	s_and_saveexec_b64 s[28:29], s[0:1]
; %bb.261:                              ;   in Loop: Header=BB1238_260 Depth=2
	v_cmp_ngt_f16_e64 s[0:1], v31, v83
	s_and_b64 s[20:21], s[0:1], s[24:25]
	s_orn2_b64 s[20:21], s[20:21], exec
	s_and_b64 s[26:27], s[0:1], exec
; %bb.262:                              ;   in Loop: Header=BB1238_260 Depth=2
	s_or_b64 exec, exec, s[28:29]
	s_andn2_b64 s[0:1], s[18:19], exec
	s_and_b64 s[18:19], s[20:21], exec
	s_or_b64 s[18:19], s[0:1], s[18:19]
	s_and_saveexec_b64 s[24:25], s[26:27]
	s_cbranch_execz .LBB1238_259
; %bb.263:                              ;   in Loop: Header=BB1238_260 Depth=2
	v_lshl_add_u64 v[38:39], v[38:39], 0, -1
	v_cmp_eq_u64_e64 s[0:1], 0, v[38:39]
	v_lshl_add_u64 v[34:35], v[34:35], 0, 2
	v_lshl_add_u64 v[36:37], v[36:37], 0, 2
	s_andn2_b64 s[18:19], s[18:19], exec
	s_orn2_b64 s[22:23], s[0:1], exec
	s_branch .LBB1238_259
.LBB1238_264:
	s_or_b64 exec, exec, s[4:5]
.LBB1238_265:
	s_or_b64 exec, exec, s[2:3]
	v_add_u32_e32 v24, v97, v100
	v_add_u32_e32 v25, v101, v99
	v_sub_u32_e32 v30, v24, v101
	v_cmp_le_u32_e64 s[2:3], v25, v97
	v_cmp_le_u32_e64 s[4:5], v30, v98
	v_add_u32_e32 v82, 8, v81
	v_add_u32_e32 v83, 16, v81
	;; [unrolled: 1-line block ×7, first 2 shown]
	v_cmp_gt_i64_e64 s[0:1], 1, v[6:7]
	s_or_b64 s[2:3], s[2:3], s[4:5]
	s_and_saveexec_b64 s[14:15], s[2:3]
	s_cbranch_execz .LBB1238_349
; %bb.266:
	v_cmp_ge_u32_e64 s[2:3], v25, v97
	v_cmp_lt_u32_e64 s[4:5], v25, v97
                                        ; implicit-def: $vgpr0_vgpr1
	s_and_saveexec_b64 s[6:7], s[4:5]
; %bb.267:
	v_lshl_add_u32 v0, v25, 3, v22
	ds_read_b64 v[0:1], v0
; %bb.268:
	s_or_b64 exec, exec, s[6:7]
	v_cmp_ge_u32_e64 s[4:5], v30, v98
	v_cmp_lt_u32_e64 s[6:7], v30, v98
                                        ; implicit-def: $vgpr2_vgpr3
	s_and_saveexec_b64 s[16:17], s[6:7]
; %bb.269:
	v_lshl_add_u32 v2, v30, 3, v22
	ds_read_b64 v[2:3], v2
; %bb.270:
	s_or_b64 exec, exec, s[16:17]
	s_or_b64 s[6:7], s[2:3], s[4:5]
	s_xor_b64 s[2:3], s[2:3], -1
	s_nor_b64 s[16:17], s[6:7], s[0:1]
	s_or_b64 s[4:5], s[4:5], s[2:3]
	s_and_saveexec_b64 s[6:7], s[16:17]
	s_cbranch_execz .LBB1238_278
; %bb.271:
	s_waitcnt lgkmcnt(0)
	v_mul_lo_u32 v12, v1, v6
	v_mul_lo_u32 v13, v0, v7
	v_mad_u64_u32 v[10:11], s[2:3], v0, v6, 0
	v_add3_u32 v11, v11, v13, v12
	v_mul_lo_u32 v14, v3, v6
	v_mul_lo_u32 v15, v2, v7
	v_mad_u64_u32 v[12:13], s[2:3], v2, v6, 0
	v_add3_u32 v13, v13, v15, v14
	v_lshl_add_u64 v[10:11], v[10:11], 1, v[8:9]
	v_lshl_add_u64 v[12:13], v[12:13], 1, v[8:9]
	s_mov_b64 s[16:17], 0
	v_mov_b64_e32 v[14:15], v[6:7]
                                        ; implicit-def: $sgpr18_sgpr19
                                        ; implicit-def: $sgpr20_sgpr21
                                        ; implicit-def: $sgpr26_sgpr27
	s_branch .LBB1238_273
.LBB1238_272:                           ;   in Loop: Header=BB1238_273 Depth=1
	s_or_b64 exec, exec, s[26:27]
	s_and_b64 s[2:3], exec, s[24:25]
	s_or_b64 s[16:17], s[2:3], s[16:17]
	s_andn2_b64 s[2:3], s[18:19], exec
	s_and_b64 s[18:19], s[20:21], exec
	s_or_b64 s[18:19], s[2:3], s[18:19]
	s_mov_b64 s[26:27], s[22:23]
	s_andn2_b64 exec, exec, s[16:17]
	s_cbranch_execz .LBB1238_277
.LBB1238_273:                           ; =>This Inner Loop Header: Depth=1
	flat_load_ushort v16, v[12:13]
	flat_load_ushort v17, v[10:11]
	s_mov_b64 s[24:25], -1
	s_mov_b64 s[28:29], 0
	s_mov_b64 s[22:23], -1
	s_waitcnt vmcnt(0) lgkmcnt(0)
	v_cmp_nlt_f16_e64 s[2:3], v16, v17
	s_and_saveexec_b64 s[40:41], s[2:3]
; %bb.274:                              ;   in Loop: Header=BB1238_273 Depth=1
	v_cmp_ngt_f16_e64 s[2:3], v16, v17
	s_and_b64 s[22:23], s[2:3], s[26:27]
	s_orn2_b64 s[22:23], s[22:23], exec
	s_and_b64 s[28:29], s[2:3], exec
; %bb.275:                              ;   in Loop: Header=BB1238_273 Depth=1
	s_or_b64 exec, exec, s[40:41]
	s_andn2_b64 s[2:3], s[20:21], exec
	s_and_b64 s[20:21], s[22:23], exec
	s_or_b64 s[20:21], s[2:3], s[20:21]
	s_and_saveexec_b64 s[26:27], s[28:29]
	s_cbranch_execz .LBB1238_272
; %bb.276:                              ;   in Loop: Header=BB1238_273 Depth=1
	v_lshl_add_u64 v[14:15], v[14:15], 0, -1
	v_cmp_eq_u64_e64 s[2:3], 0, v[14:15]
	v_lshl_add_u64 v[10:11], v[10:11], 0, 2
	v_lshl_add_u64 v[12:13], v[12:13], 0, 2
	s_andn2_b64 s[20:21], s[20:21], exec
	s_orn2_b64 s[24:25], s[2:3], exec
	s_branch .LBB1238_272
.LBB1238_277:
	s_or_b64 exec, exec, s[16:17]
	s_xor_b64 s[2:3], s[18:19], -1
	s_andn2_b64 s[4:5], s[4:5], exec
	s_and_b64 s[2:3], s[2:3], exec
	s_or_b64 s[4:5], s[4:5], s[2:3]
.LBB1238_278:
	s_or_b64 exec, exec, s[6:7]
	v_cndmask_b32_e64 v10, v30, v25, s[4:5]
	v_cndmask_b32_e64 v11, v98, v97, s[4:5]
	v_add_u32_e32 v12, 1, v10
	v_add_u32_e32 v10, -1, v11
	v_min_u32_e32 v10, v12, v10
	v_lshl_add_u32 v10, v10, 3, v22
	ds_read_b64 v[10:11], v10
	v_cndmask_b32_e64 v16, v12, v30, s[4:5]
	v_cndmask_b32_e64 v17, v25, v12, s[4:5]
	v_cmp_lt_u32_e64 s[2:3], v16, v98
	s_mov_b64 s[16:17], -1
	s_waitcnt lgkmcnt(0)
	v_cndmask_b32_e64 v18, v11, v3, s[4:5]
	v_cndmask_b32_e64 v19, v10, v2, s[4:5]
	;; [unrolled: 1-line block ×4, first 2 shown]
	s_mov_b64 s[6:7], -1
	s_and_saveexec_b64 s[18:19], s[2:3]
	s_cbranch_execz .LBB1238_288
; %bb.279:
	v_cmp_lt_u32_e64 s[6:7], v17, v97
	s_xor_b64 s[2:3], s[0:1], -1
	s_and_b64 s[2:3], s[6:7], s[2:3]
	s_and_saveexec_b64 s[20:21], s[2:3]
	s_cbranch_execz .LBB1238_287
; %bb.280:
	v_mul_lo_u32 v12, v20, v6
	v_mul_lo_u32 v13, v24, v7
	v_mad_u64_u32 v[10:11], s[2:3], v24, v6, 0
	v_add3_u32 v11, v11, v13, v12
	v_mul_lo_u32 v14, v18, v6
	v_mul_lo_u32 v15, v19, v7
	v_mad_u64_u32 v[12:13], s[2:3], v19, v6, 0
	v_add3_u32 v13, v13, v15, v14
	v_lshl_add_u64 v[10:11], v[10:11], 1, v[8:9]
	v_lshl_add_u64 v[12:13], v[12:13], 1, v[8:9]
	s_mov_b64 s[22:23], 0
	v_mov_b64_e32 v[14:15], v[6:7]
                                        ; implicit-def: $sgpr24_sgpr25
                                        ; implicit-def: $sgpr26_sgpr27
                                        ; implicit-def: $sgpr42_sgpr43
	s_branch .LBB1238_282
.LBB1238_281:                           ;   in Loop: Header=BB1238_282 Depth=1
	s_or_b64 exec, exec, s[42:43]
	s_and_b64 s[2:3], exec, s[40:41]
	s_or_b64 s[22:23], s[2:3], s[22:23]
	s_andn2_b64 s[2:3], s[24:25], exec
	s_and_b64 s[24:25], s[26:27], exec
	s_or_b64 s[24:25], s[2:3], s[24:25]
	s_mov_b64 s[42:43], s[28:29]
	s_andn2_b64 exec, exec, s[22:23]
	s_cbranch_execz .LBB1238_286
.LBB1238_282:                           ; =>This Inner Loop Header: Depth=1
	flat_load_ushort v21, v[12:13]
	flat_load_ushort v25, v[10:11]
	s_mov_b64 s[40:41], -1
	s_mov_b64 s[44:45], 0
	s_mov_b64 s[28:29], -1
	s_waitcnt vmcnt(0) lgkmcnt(0)
	v_cmp_nlt_f16_e64 s[2:3], v21, v25
	s_and_saveexec_b64 s[46:47], s[2:3]
; %bb.283:                              ;   in Loop: Header=BB1238_282 Depth=1
	v_cmp_ngt_f16_e64 s[2:3], v21, v25
	s_and_b64 s[28:29], s[2:3], s[42:43]
	s_orn2_b64 s[28:29], s[28:29], exec
	s_and_b64 s[44:45], s[2:3], exec
; %bb.284:                              ;   in Loop: Header=BB1238_282 Depth=1
	s_or_b64 exec, exec, s[46:47]
	s_andn2_b64 s[2:3], s[26:27], exec
	s_and_b64 s[26:27], s[28:29], exec
	s_or_b64 s[26:27], s[2:3], s[26:27]
	s_and_saveexec_b64 s[42:43], s[44:45]
	s_cbranch_execz .LBB1238_281
; %bb.285:                              ;   in Loop: Header=BB1238_282 Depth=1
	v_lshl_add_u64 v[14:15], v[14:15], 0, -1
	v_cmp_eq_u64_e64 s[2:3], 0, v[14:15]
	v_lshl_add_u64 v[10:11], v[10:11], 0, 2
	v_lshl_add_u64 v[12:13], v[12:13], 0, 2
	s_andn2_b64 s[26:27], s[26:27], exec
	s_orn2_b64 s[40:41], s[2:3], exec
	s_branch .LBB1238_281
.LBB1238_286:
	s_or_b64 exec, exec, s[22:23]
	s_xor_b64 s[2:3], s[24:25], -1
	s_andn2_b64 s[6:7], s[6:7], exec
	s_and_b64 s[2:3], s[2:3], exec
	s_or_b64 s[6:7], s[6:7], s[2:3]
.LBB1238_287:
	s_or_b64 exec, exec, s[20:21]
	s_orn2_b64 s[6:7], s[6:7], exec
.LBB1238_288:
	s_or_b64 exec, exec, s[18:19]
	v_cndmask_b32_e64 v10, v16, v17, s[6:7]
	v_cndmask_b32_e64 v11, v98, v97, s[6:7]
	v_add_u32_e32 v12, 1, v10
	v_add_u32_e32 v10, -1, v11
	v_min_u32_e32 v10, v12, v10
	v_lshl_add_u32 v10, v10, 3, v22
	ds_read_b64 v[10:11], v10
	v_cndmask_b32_e64 v34, v12, v16, s[6:7]
	v_cndmask_b32_e64 v35, v17, v12, s[6:7]
	v_cmp_lt_u32_e64 s[2:3], v34, v98
	s_waitcnt lgkmcnt(0)
	v_cndmask_b32_e64 v21, v11, v18, s[6:7]
	v_cndmask_b32_e64 v25, v10, v19, s[6:7]
	;; [unrolled: 1-line block ×4, first 2 shown]
	s_and_saveexec_b64 s[18:19], s[2:3]
	s_cbranch_execz .LBB1238_298
; %bb.289:
	v_cmp_lt_u32_e64 s[16:17], v35, v97
	s_xor_b64 s[2:3], s[0:1], -1
	s_and_b64 s[2:3], s[16:17], s[2:3]
	s_and_saveexec_b64 s[20:21], s[2:3]
	s_cbranch_execz .LBB1238_297
; %bb.290:
	v_mul_lo_u32 v12, v30, v6
	v_mul_lo_u32 v13, v31, v7
	v_mad_u64_u32 v[10:11], s[2:3], v31, v6, 0
	v_add3_u32 v11, v11, v13, v12
	v_mul_lo_u32 v14, v21, v6
	v_mul_lo_u32 v15, v25, v7
	v_mad_u64_u32 v[12:13], s[2:3], v25, v6, 0
	v_add3_u32 v13, v13, v15, v14
	v_lshl_add_u64 v[10:11], v[10:11], 1, v[8:9]
	v_lshl_add_u64 v[12:13], v[12:13], 1, v[8:9]
	s_mov_b64 s[22:23], 0
	v_mov_b64_e32 v[14:15], v[6:7]
                                        ; implicit-def: $sgpr24_sgpr25
                                        ; implicit-def: $sgpr26_sgpr27
                                        ; implicit-def: $sgpr42_sgpr43
	s_branch .LBB1238_292
.LBB1238_291:                           ;   in Loop: Header=BB1238_292 Depth=1
	s_or_b64 exec, exec, s[42:43]
	s_and_b64 s[2:3], exec, s[40:41]
	s_or_b64 s[22:23], s[2:3], s[22:23]
	s_andn2_b64 s[2:3], s[24:25], exec
	s_and_b64 s[24:25], s[26:27], exec
	s_or_b64 s[24:25], s[2:3], s[24:25]
	s_mov_b64 s[42:43], s[28:29]
	s_andn2_b64 exec, exec, s[22:23]
	s_cbranch_execz .LBB1238_296
.LBB1238_292:                           ; =>This Inner Loop Header: Depth=1
	flat_load_ushort v16, v[12:13]
	flat_load_ushort v17, v[10:11]
	s_mov_b64 s[40:41], -1
	s_mov_b64 s[44:45], 0
	s_mov_b64 s[28:29], -1
	s_waitcnt vmcnt(0) lgkmcnt(0)
	v_cmp_nlt_f16_e64 s[2:3], v16, v17
	s_and_saveexec_b64 s[46:47], s[2:3]
; %bb.293:                              ;   in Loop: Header=BB1238_292 Depth=1
	v_cmp_ngt_f16_e64 s[2:3], v16, v17
	s_and_b64 s[28:29], s[2:3], s[42:43]
	s_orn2_b64 s[28:29], s[28:29], exec
	s_and_b64 s[44:45], s[2:3], exec
; %bb.294:                              ;   in Loop: Header=BB1238_292 Depth=1
	s_or_b64 exec, exec, s[46:47]
	s_andn2_b64 s[2:3], s[26:27], exec
	s_and_b64 s[26:27], s[28:29], exec
	s_or_b64 s[26:27], s[2:3], s[26:27]
	s_and_saveexec_b64 s[42:43], s[44:45]
	s_cbranch_execz .LBB1238_291
; %bb.295:                              ;   in Loop: Header=BB1238_292 Depth=1
	v_lshl_add_u64 v[14:15], v[14:15], 0, -1
	v_cmp_eq_u64_e64 s[2:3], 0, v[14:15]
	v_lshl_add_u64 v[10:11], v[10:11], 0, 2
	v_lshl_add_u64 v[12:13], v[12:13], 0, 2
	s_andn2_b64 s[26:27], s[26:27], exec
	s_orn2_b64 s[40:41], s[2:3], exec
	s_branch .LBB1238_291
.LBB1238_296:
	s_or_b64 exec, exec, s[22:23]
	s_xor_b64 s[2:3], s[24:25], -1
	s_andn2_b64 s[16:17], s[16:17], exec
	s_and_b64 s[2:3], s[2:3], exec
	s_or_b64 s[16:17], s[16:17], s[2:3]
.LBB1238_297:
	s_or_b64 exec, exec, s[20:21]
	s_orn2_b64 s[16:17], s[16:17], exec
.LBB1238_298:
	s_or_b64 exec, exec, s[18:19]
	v_cndmask_b32_e64 v10, v34, v35, s[16:17]
	v_cndmask_b32_e64 v11, v98, v97, s[16:17]
	v_add_u32_e32 v12, 1, v10
	v_add_u32_e32 v10, -1, v11
	v_min_u32_e32 v10, v12, v10
	v_lshl_add_u32 v10, v10, 3, v22
	ds_read_b64 v[10:11], v10
	v_cndmask_b32_e64 v38, v12, v34, s[16:17]
	v_cndmask_b32_e64 v39, v35, v12, s[16:17]
	v_cmp_lt_u32_e64 s[2:3], v38, v98
	s_mov_b64 s[20:21], -1
	s_waitcnt lgkmcnt(0)
	v_cndmask_b32_e64 v16, v11, v21, s[16:17]
	v_cndmask_b32_e64 v32, v10, v25, s[16:17]
	;; [unrolled: 1-line block ×4, first 2 shown]
	s_mov_b64 s[18:19], -1
	s_and_saveexec_b64 s[22:23], s[2:3]
	s_cbranch_execz .LBB1238_308
; %bb.299:
	v_cmp_lt_u32_e64 s[18:19], v39, v97
	s_xor_b64 s[2:3], s[0:1], -1
	s_and_b64 s[2:3], s[18:19], s[2:3]
	s_and_saveexec_b64 s[24:25], s[2:3]
	s_cbranch_execz .LBB1238_307
; %bb.300:
	v_mul_lo_u32 v12, v17, v6
	v_mul_lo_u32 v13, v33, v7
	v_mad_u64_u32 v[10:11], s[2:3], v33, v6, 0
	v_add3_u32 v11, v11, v13, v12
	v_mul_lo_u32 v14, v16, v6
	v_mul_lo_u32 v15, v32, v7
	v_mad_u64_u32 v[12:13], s[2:3], v32, v6, 0
	v_add3_u32 v13, v13, v15, v14
	v_lshl_add_u64 v[10:11], v[10:11], 1, v[8:9]
	v_lshl_add_u64 v[12:13], v[12:13], 1, v[8:9]
	s_mov_b64 s[26:27], 0
	v_mov_b64_e32 v[14:15], v[6:7]
                                        ; implicit-def: $sgpr28_sgpr29
                                        ; implicit-def: $sgpr40_sgpr41
                                        ; implicit-def: $sgpr46_sgpr47
	s_branch .LBB1238_302
.LBB1238_301:                           ;   in Loop: Header=BB1238_302 Depth=1
	s_or_b64 exec, exec, s[46:47]
	s_and_b64 s[2:3], exec, s[44:45]
	s_or_b64 s[26:27], s[2:3], s[26:27]
	s_andn2_b64 s[2:3], s[28:29], exec
	s_and_b64 s[28:29], s[40:41], exec
	s_or_b64 s[28:29], s[2:3], s[28:29]
	s_mov_b64 s[46:47], s[42:43]
	s_andn2_b64 exec, exec, s[26:27]
	s_cbranch_execz .LBB1238_306
.LBB1238_302:                           ; =>This Inner Loop Header: Depth=1
	flat_load_ushort v34, v[12:13]
	flat_load_ushort v35, v[10:11]
	s_mov_b64 s[44:45], -1
	s_mov_b64 s[56:57], 0
	s_mov_b64 s[42:43], -1
	s_waitcnt vmcnt(0) lgkmcnt(0)
	v_cmp_nlt_f16_e64 s[2:3], v34, v35
	s_and_saveexec_b64 s[58:59], s[2:3]
; %bb.303:                              ;   in Loop: Header=BB1238_302 Depth=1
	v_cmp_ngt_f16_e64 s[2:3], v34, v35
	s_and_b64 s[42:43], s[2:3], s[46:47]
	s_orn2_b64 s[42:43], s[42:43], exec
	s_and_b64 s[56:57], s[2:3], exec
; %bb.304:                              ;   in Loop: Header=BB1238_302 Depth=1
	s_or_b64 exec, exec, s[58:59]
	s_andn2_b64 s[2:3], s[40:41], exec
	s_and_b64 s[40:41], s[42:43], exec
	s_or_b64 s[40:41], s[2:3], s[40:41]
	s_and_saveexec_b64 s[46:47], s[56:57]
	s_cbranch_execz .LBB1238_301
; %bb.305:                              ;   in Loop: Header=BB1238_302 Depth=1
	v_lshl_add_u64 v[14:15], v[14:15], 0, -1
	v_cmp_eq_u64_e64 s[2:3], 0, v[14:15]
	v_lshl_add_u64 v[10:11], v[10:11], 0, 2
	v_lshl_add_u64 v[12:13], v[12:13], 0, 2
	s_andn2_b64 s[40:41], s[40:41], exec
	s_orn2_b64 s[44:45], s[2:3], exec
	s_branch .LBB1238_301
.LBB1238_306:
	s_or_b64 exec, exec, s[26:27]
	s_xor_b64 s[2:3], s[28:29], -1
	s_andn2_b64 s[18:19], s[18:19], exec
	s_and_b64 s[2:3], s[2:3], exec
	s_or_b64 s[18:19], s[18:19], s[2:3]
.LBB1238_307:
	s_or_b64 exec, exec, s[24:25]
	s_orn2_b64 s[18:19], s[18:19], exec
.LBB1238_308:
	s_or_b64 exec, exec, s[22:23]
	v_cndmask_b32_e64 v10, v38, v39, s[18:19]
	v_cndmask_b32_e64 v11, v98, v97, s[18:19]
	v_add_u32_e32 v12, 1, v10
	v_add_u32_e32 v10, -1, v11
	v_min_u32_e32 v10, v12, v10
	v_lshl_add_u32 v10, v10, 3, v22
	ds_read_b64 v[10:11], v10
	v_cndmask_b32_e64 v101, v12, v38, s[18:19]
	v_cndmask_b32_e64 v102, v39, v12, s[18:19]
	v_cmp_lt_u32_e64 s[2:3], v101, v98
	s_waitcnt lgkmcnt(0)
	v_cndmask_b32_e64 v34, v11, v16, s[18:19]
	v_cndmask_b32_e64 v35, v10, v32, s[18:19]
	;; [unrolled: 1-line block ×4, first 2 shown]
	s_and_saveexec_b64 s[22:23], s[2:3]
	s_cbranch_execz .LBB1238_318
; %bb.309:
	v_cmp_lt_u32_e64 s[20:21], v102, v97
	s_xor_b64 s[2:3], s[0:1], -1
	s_and_b64 s[2:3], s[20:21], s[2:3]
	s_and_saveexec_b64 s[24:25], s[2:3]
	s_cbranch_execz .LBB1238_317
; %bb.310:
	v_mul_lo_u32 v12, v36, v6
	v_mul_lo_u32 v13, v37, v7
	v_mad_u64_u32 v[10:11], s[2:3], v37, v6, 0
	v_add3_u32 v11, v11, v13, v12
	v_mul_lo_u32 v14, v34, v6
	v_mul_lo_u32 v15, v35, v7
	v_mad_u64_u32 v[12:13], s[2:3], v35, v6, 0
	v_add3_u32 v13, v13, v15, v14
	v_lshl_add_u64 v[10:11], v[10:11], 1, v[8:9]
	v_lshl_add_u64 v[12:13], v[12:13], 1, v[8:9]
	s_mov_b64 s[26:27], 0
	v_mov_b64_e32 v[14:15], v[6:7]
                                        ; implicit-def: $sgpr28_sgpr29
                                        ; implicit-def: $sgpr40_sgpr41
                                        ; implicit-def: $sgpr46_sgpr47
	s_branch .LBB1238_312
.LBB1238_311:                           ;   in Loop: Header=BB1238_312 Depth=1
	s_or_b64 exec, exec, s[46:47]
	s_and_b64 s[2:3], exec, s[44:45]
	s_or_b64 s[26:27], s[2:3], s[26:27]
	s_andn2_b64 s[2:3], s[28:29], exec
	s_and_b64 s[28:29], s[40:41], exec
	s_or_b64 s[28:29], s[2:3], s[28:29]
	s_mov_b64 s[46:47], s[42:43]
	s_andn2_b64 exec, exec, s[26:27]
	s_cbranch_execz .LBB1238_316
.LBB1238_312:                           ; =>This Inner Loop Header: Depth=1
	flat_load_ushort v38, v[12:13]
	flat_load_ushort v39, v[10:11]
	s_mov_b64 s[44:45], -1
	s_mov_b64 s[56:57], 0
	s_mov_b64 s[42:43], -1
	s_waitcnt vmcnt(0) lgkmcnt(0)
	v_cmp_nlt_f16_e64 s[2:3], v38, v39
	s_and_saveexec_b64 s[58:59], s[2:3]
; %bb.313:                              ;   in Loop: Header=BB1238_312 Depth=1
	v_cmp_ngt_f16_e64 s[2:3], v38, v39
	s_and_b64 s[42:43], s[2:3], s[46:47]
	s_orn2_b64 s[42:43], s[42:43], exec
	s_and_b64 s[56:57], s[2:3], exec
; %bb.314:                              ;   in Loop: Header=BB1238_312 Depth=1
	s_or_b64 exec, exec, s[58:59]
	s_andn2_b64 s[2:3], s[40:41], exec
	s_and_b64 s[40:41], s[42:43], exec
	s_or_b64 s[40:41], s[2:3], s[40:41]
	s_and_saveexec_b64 s[46:47], s[56:57]
	s_cbranch_execz .LBB1238_311
; %bb.315:                              ;   in Loop: Header=BB1238_312 Depth=1
	v_lshl_add_u64 v[14:15], v[14:15], 0, -1
	v_cmp_eq_u64_e64 s[2:3], 0, v[14:15]
	v_lshl_add_u64 v[10:11], v[10:11], 0, 2
	v_lshl_add_u64 v[12:13], v[12:13], 0, 2
	s_andn2_b64 s[40:41], s[40:41], exec
	s_orn2_b64 s[44:45], s[2:3], exec
	s_branch .LBB1238_311
.LBB1238_316:
	s_or_b64 exec, exec, s[26:27]
	s_xor_b64 s[2:3], s[28:29], -1
	s_andn2_b64 s[20:21], s[20:21], exec
	s_and_b64 s[2:3], s[2:3], exec
	s_or_b64 s[20:21], s[20:21], s[2:3]
.LBB1238_317:
	s_or_b64 exec, exec, s[24:25]
	s_orn2_b64 s[20:21], s[20:21], exec
.LBB1238_318:
	s_or_b64 exec, exec, s[22:23]
	v_cndmask_b32_e64 v10, v101, v102, s[20:21]
	v_cndmask_b32_e64 v11, v98, v97, s[20:21]
	v_add_u32_e32 v12, 1, v10
	v_add_u32_e32 v10, -1, v11
	v_min_u32_e32 v10, v12, v10
	v_lshl_add_u32 v10, v10, 3, v22
	ds_read_b64 v[10:11], v10
	v_cndmask_b32_e64 v103, v12, v101, s[20:21]
	v_cndmask_b32_e64 v115, v102, v12, s[20:21]
	v_cmp_lt_u32_e64 s[2:3], v103, v98
	s_mov_b64 s[22:23], -1
	s_waitcnt lgkmcnt(0)
	v_cndmask_b32_e64 v38, v11, v34, s[20:21]
	v_cndmask_b32_e64 v39, v10, v35, s[20:21]
	;; [unrolled: 1-line block ×4, first 2 shown]
	s_mov_b64 s[24:25], -1
	s_and_saveexec_b64 s[26:27], s[2:3]
	s_cbranch_execz .LBB1238_328
; %bb.319:
	v_cmp_lt_u32_e64 s[24:25], v115, v97
	s_xor_b64 s[2:3], s[0:1], -1
	s_and_b64 s[2:3], s[24:25], s[2:3]
	s_and_saveexec_b64 s[28:29], s[2:3]
	s_cbranch_execz .LBB1238_327
; %bb.320:
	v_mul_lo_u32 v12, v99, v6
	v_mul_lo_u32 v13, v100, v7
	v_mad_u64_u32 v[10:11], s[2:3], v100, v6, 0
	v_add3_u32 v11, v11, v13, v12
	v_mul_lo_u32 v14, v38, v6
	v_mul_lo_u32 v15, v39, v7
	v_mad_u64_u32 v[12:13], s[2:3], v39, v6, 0
	v_add3_u32 v13, v13, v15, v14
	v_lshl_add_u64 v[10:11], v[10:11], 1, v[8:9]
	v_lshl_add_u64 v[12:13], v[12:13], 1, v[8:9]
	s_mov_b64 s[40:41], 0
	v_mov_b64_e32 v[14:15], v[6:7]
                                        ; implicit-def: $sgpr42_sgpr43
                                        ; implicit-def: $sgpr44_sgpr45
                                        ; implicit-def: $sgpr58_sgpr59
	s_branch .LBB1238_322
.LBB1238_321:                           ;   in Loop: Header=BB1238_322 Depth=1
	s_or_b64 exec, exec, s[58:59]
	s_and_b64 s[2:3], exec, s[56:57]
	s_or_b64 s[40:41], s[2:3], s[40:41]
	s_andn2_b64 s[2:3], s[42:43], exec
	s_and_b64 s[42:43], s[44:45], exec
	s_or_b64 s[42:43], s[2:3], s[42:43]
	s_mov_b64 s[58:59], s[46:47]
	s_andn2_b64 exec, exec, s[40:41]
	s_cbranch_execz .LBB1238_326
.LBB1238_322:                           ; =>This Inner Loop Header: Depth=1
	flat_load_ushort v101, v[12:13]
	flat_load_ushort v102, v[10:11]
	s_mov_b64 s[56:57], -1
	s_mov_b64 s[60:61], 0
	s_mov_b64 s[46:47], -1
	s_waitcnt vmcnt(0) lgkmcnt(0)
	v_cmp_nlt_f16_e64 s[2:3], v101, v102
	s_and_saveexec_b64 s[62:63], s[2:3]
; %bb.323:                              ;   in Loop: Header=BB1238_322 Depth=1
	v_cmp_ngt_f16_e64 s[2:3], v101, v102
	s_and_b64 s[46:47], s[2:3], s[58:59]
	s_orn2_b64 s[46:47], s[46:47], exec
	s_and_b64 s[60:61], s[2:3], exec
; %bb.324:                              ;   in Loop: Header=BB1238_322 Depth=1
	s_or_b64 exec, exec, s[62:63]
	s_andn2_b64 s[2:3], s[44:45], exec
	s_and_b64 s[44:45], s[46:47], exec
	s_or_b64 s[44:45], s[2:3], s[44:45]
	s_and_saveexec_b64 s[58:59], s[60:61]
	s_cbranch_execz .LBB1238_321
; %bb.325:                              ;   in Loop: Header=BB1238_322 Depth=1
	v_lshl_add_u64 v[14:15], v[14:15], 0, -1
	v_cmp_eq_u64_e64 s[2:3], 0, v[14:15]
	v_lshl_add_u64 v[10:11], v[10:11], 0, 2
	v_lshl_add_u64 v[12:13], v[12:13], 0, 2
	s_andn2_b64 s[44:45], s[44:45], exec
	s_orn2_b64 s[56:57], s[2:3], exec
	s_branch .LBB1238_321
.LBB1238_326:
	s_or_b64 exec, exec, s[40:41]
	s_xor_b64 s[2:3], s[42:43], -1
	s_andn2_b64 s[24:25], s[24:25], exec
	s_and_b64 s[2:3], s[2:3], exec
	s_or_b64 s[24:25], s[24:25], s[2:3]
.LBB1238_327:
	s_or_b64 exec, exec, s[28:29]
	s_orn2_b64 s[24:25], s[24:25], exec
.LBB1238_328:
	s_or_b64 exec, exec, s[26:27]
	v_cndmask_b32_e64 v10, v103, v115, s[24:25]
	v_cndmask_b32_e64 v11, v98, v97, s[24:25]
	v_add_u32_e32 v12, 1, v10
	v_add_u32_e32 v10, -1, v11
	v_min_u32_e32 v10, v12, v10
	v_lshl_add_u32 v10, v10, 3, v22
	ds_read_b64 v[10:11], v10
	v_cndmask_b32_e64 v112, v12, v103, s[24:25]
	v_cndmask_b32_e64 v103, v115, v12, s[24:25]
	v_cmp_lt_u32_e64 s[2:3], v112, v98
	s_waitcnt lgkmcnt(0)
	v_cndmask_b32_e64 v101, v11, v38, s[24:25]
	v_cndmask_b32_e64 v102, v10, v39, s[24:25]
	;; [unrolled: 1-line block ×4, first 2 shown]
	s_and_saveexec_b64 s[26:27], s[2:3]
	s_cbranch_execz .LBB1238_338
; %bb.329:
	v_cmp_lt_u32_e64 s[22:23], v103, v97
	s_xor_b64 s[2:3], s[0:1], -1
	s_and_b64 s[2:3], s[22:23], s[2:3]
	s_and_saveexec_b64 s[28:29], s[2:3]
	s_cbranch_execz .LBB1238_337
; %bb.330:
	v_mul_lo_u32 v12, v113, v6
	v_mul_lo_u32 v13, v114, v7
	v_mad_u64_u32 v[10:11], s[2:3], v114, v6, 0
	v_add3_u32 v11, v11, v13, v12
	v_mul_lo_u32 v14, v101, v6
	v_mul_lo_u32 v15, v102, v7
	v_mad_u64_u32 v[12:13], s[2:3], v102, v6, 0
	v_add3_u32 v13, v13, v15, v14
	v_lshl_add_u64 v[10:11], v[10:11], 1, v[8:9]
	v_lshl_add_u64 v[12:13], v[12:13], 1, v[8:9]
	s_mov_b64 s[40:41], 0
	v_mov_b64_e32 v[14:15], v[6:7]
                                        ; implicit-def: $sgpr42_sgpr43
                                        ; implicit-def: $sgpr44_sgpr45
                                        ; implicit-def: $sgpr58_sgpr59
	s_branch .LBB1238_332
.LBB1238_331:                           ;   in Loop: Header=BB1238_332 Depth=1
	s_or_b64 exec, exec, s[58:59]
	s_and_b64 s[2:3], exec, s[56:57]
	s_or_b64 s[40:41], s[2:3], s[40:41]
	s_andn2_b64 s[2:3], s[42:43], exec
	s_and_b64 s[42:43], s[44:45], exec
	s_or_b64 s[42:43], s[2:3], s[42:43]
	s_mov_b64 s[58:59], s[46:47]
	s_andn2_b64 exec, exec, s[40:41]
	s_cbranch_execz .LBB1238_336
.LBB1238_332:                           ; =>This Inner Loop Header: Depth=1
	flat_load_ushort v115, v[12:13]
	flat_load_ushort v116, v[10:11]
	s_mov_b64 s[56:57], -1
	s_mov_b64 s[60:61], 0
	s_mov_b64 s[46:47], -1
	s_waitcnt vmcnt(0) lgkmcnt(0)
	v_cmp_nlt_f16_e64 s[2:3], v115, v116
	s_and_saveexec_b64 s[62:63], s[2:3]
; %bb.333:                              ;   in Loop: Header=BB1238_332 Depth=1
	v_cmp_ngt_f16_e64 s[2:3], v115, v116
	s_and_b64 s[46:47], s[2:3], s[58:59]
	s_orn2_b64 s[46:47], s[46:47], exec
	s_and_b64 s[60:61], s[2:3], exec
; %bb.334:                              ;   in Loop: Header=BB1238_332 Depth=1
	s_or_b64 exec, exec, s[62:63]
	s_andn2_b64 s[2:3], s[44:45], exec
	s_and_b64 s[44:45], s[46:47], exec
	s_or_b64 s[44:45], s[2:3], s[44:45]
	s_and_saveexec_b64 s[58:59], s[60:61]
	s_cbranch_execz .LBB1238_331
; %bb.335:                              ;   in Loop: Header=BB1238_332 Depth=1
	v_lshl_add_u64 v[14:15], v[14:15], 0, -1
	v_cmp_eq_u64_e64 s[2:3], 0, v[14:15]
	v_lshl_add_u64 v[10:11], v[10:11], 0, 2
	v_lshl_add_u64 v[12:13], v[12:13], 0, 2
	s_andn2_b64 s[44:45], s[44:45], exec
	s_orn2_b64 s[56:57], s[2:3], exec
	s_branch .LBB1238_331
.LBB1238_336:
	s_or_b64 exec, exec, s[40:41]
	s_xor_b64 s[2:3], s[42:43], -1
	s_andn2_b64 s[22:23], s[22:23], exec
	s_and_b64 s[2:3], s[2:3], exec
	s_or_b64 s[22:23], s[22:23], s[2:3]
.LBB1238_337:
	s_or_b64 exec, exec, s[28:29]
	s_orn2_b64 s[22:23], s[22:23], exec
.LBB1238_338:
	s_or_b64 exec, exec, s[26:27]
	v_cndmask_b32_e64 v15, v21, v30, s[16:17]
	v_cndmask_b32_e64 v21, v18, v20, s[6:7]
	;; [unrolled: 1-line block ×5, first 2 shown]
	v_add_u32_e32 v30, 1, v18
	v_add_u32_e32 v18, -1, v19
	v_min_u32_e32 v18, v30, v18
	v_lshl_add_u32 v18, v18, 3, v22
	v_cndmask_b32_e64 v14, v25, v31, s[16:17]
	ds_read_b64 v[24:25], v18
	v_cndmask_b32_e64 v31, v30, v112, s[22:23]
	v_cndmask_b32_e64 v13, v38, v99, s[24:25]
	;; [unrolled: 1-line block ×11, first 2 shown]
	s_waitcnt lgkmcnt(0)
	v_cndmask_b32_e64 v3, v113, v25, s[22:23]
	v_cndmask_b32_e64 v2, v114, v24, s[22:23]
	v_cmp_lt_u32_e64 s[2:3], v31, v98
	s_and_saveexec_b64 s[4:5], s[2:3]
	s_cbranch_execz .LBB1238_348
; %bb.339:
	v_cndmask_b32_e64 v35, v24, v102, s[22:23]
	v_cndmask_b32_e64 v24, v103, v30, s[22:23]
	;; [unrolled: 1-line block ×3, first 2 shown]
	v_cmp_ge_u32_e64 s[2:3], v24, v97
	s_nor_b64 s[16:17], s[2:3], s[0:1]
	s_nop 0
	v_cndmask_b32_e64 v25, v3, v34, s[2:3]
	v_cndmask_b32_e64 v24, v2, v35, s[2:3]
	s_and_saveexec_b64 s[6:7], s[16:17]
	s_cbranch_execz .LBB1238_347
; %bb.340:
	v_mul_lo_u32 v30, v3, v6
	v_mul_lo_u32 v31, v2, v7
	v_mad_u64_u32 v[24:25], s[2:3], v2, v6, 0
	v_add3_u32 v25, v25, v31, v30
	v_mul_lo_u32 v32, v34, v6
	v_mul_lo_u32 v33, v35, v7
	v_mad_u64_u32 v[30:31], s[2:3], v35, v6, 0
	v_add3_u32 v31, v31, v33, v32
	v_lshl_add_u64 v[24:25], v[24:25], 1, v[8:9]
	v_lshl_add_u64 v[30:31], v[30:31], 1, v[8:9]
	s_mov_b64 s[16:17], 0
	v_mov_b64_e32 v[32:33], v[6:7]
                                        ; implicit-def: $sgpr18_sgpr19
                                        ; implicit-def: $sgpr20_sgpr21
                                        ; implicit-def: $sgpr24_sgpr25
	s_branch .LBB1238_342
.LBB1238_341:                           ;   in Loop: Header=BB1238_342 Depth=1
	s_or_b64 exec, exec, s[24:25]
	s_and_b64 s[2:3], exec, s[2:3]
	s_or_b64 s[16:17], s[2:3], s[16:17]
	s_andn2_b64 s[2:3], s[18:19], exec
	s_and_b64 s[18:19], s[20:21], exec
	s_or_b64 s[18:19], s[2:3], s[18:19]
	s_mov_b64 s[24:25], s[22:23]
	s_andn2_b64 exec, exec, s[16:17]
	s_cbranch_execz .LBB1238_346
.LBB1238_342:                           ; =>This Inner Loop Header: Depth=1
	flat_load_ushort v36, v[30:31]
	flat_load_ushort v37, v[24:25]
	s_mov_b64 s[26:27], 0
	s_mov_b64 s[22:23], -1
	s_waitcnt vmcnt(0) lgkmcnt(0)
	v_cmp_nlt_f16_e64 s[2:3], v36, v37
	s_and_saveexec_b64 s[28:29], s[2:3]
; %bb.343:                              ;   in Loop: Header=BB1238_342 Depth=1
	v_cmp_ngt_f16_e64 s[2:3], v36, v37
	s_and_b64 s[22:23], s[2:3], s[24:25]
	s_orn2_b64 s[22:23], s[22:23], exec
	s_and_b64 s[26:27], s[2:3], exec
; %bb.344:                              ;   in Loop: Header=BB1238_342 Depth=1
	s_or_b64 exec, exec, s[28:29]
	s_andn2_b64 s[20:21], s[20:21], exec
	s_and_b64 s[24:25], s[22:23], exec
	s_mov_b64 s[2:3], -1
	s_or_b64 s[20:21], s[20:21], s[24:25]
	s_and_saveexec_b64 s[24:25], s[26:27]
	s_cbranch_execz .LBB1238_341
; %bb.345:                              ;   in Loop: Header=BB1238_342 Depth=1
	v_lshl_add_u64 v[32:33], v[32:33], 0, -1
	v_cmp_eq_u64_e64 s[2:3], 0, v[32:33]
	v_lshl_add_u64 v[24:25], v[24:25], 0, 2
	v_lshl_add_u64 v[30:31], v[30:31], 0, 2
	s_andn2_b64 s[20:21], s[20:21], exec
	s_orn2_b64 s[2:3], s[2:3], exec
	s_branch .LBB1238_341
.LBB1238_346:
	s_or_b64 exec, exec, s[16:17]
	v_cndmask_b32_e64 v25, v3, v34, s[18:19]
	v_cndmask_b32_e64 v24, v2, v35, s[18:19]
.LBB1238_347:
	s_or_b64 exec, exec, s[6:7]
	v_mov_b64_e32 v[2:3], v[24:25]
.LBB1238_348:
	s_or_b64 exec, exec, s[4:5]
.LBB1238_349:
	s_or_b64 exec, exec, s[14:15]
	v_and_b32_e32 v99, 0x3e0, v80
	v_or_b32_e32 v24, 16, v99
	v_min_u32_e32 v97, v71, v24
	v_add_u32_e32 v24, 16, v97
	v_min_u32_e32 v98, v71, v24
	v_and_b32_e32 v24, 24, v80
	v_min_u32_e32 v100, v71, v24
	v_sub_u32_e32 v24, v97, v99
	v_sub_u32_e32 v25, v98, v97
	v_sub_u32_e64 v101, v100, v25 clamp
	v_min_u32_e32 v102, v100, v24
	v_cmp_lt_u32_e64 s[2:3], v101, v102
	; wave barrier
	ds_write_b64 v81, v[18:19]
	ds_write_b64 v82, v[20:21]
	;; [unrolled: 1-line block ×8, first 2 shown]
	; wave barrier
	s_and_saveexec_b64 s[4:5], s[2:3]
	s_cbranch_execz .LBB1238_361
; %bb.350:
	v_lshlrev_b32_e32 v30, 3, v99
	v_mov_b32_e32 v31, 0
	v_lshl_add_u64 v[24:25], v[22:23], 0, v[30:31]
	v_lshlrev_b32_e32 v30, 3, v97
	v_lshl_add_u64 v[30:31], v[22:23], 0, v[30:31]
	v_lshlrev_b64 v[32:33], 1, v[6:7]
	s_mov_b64 s[6:7], 0
	s_branch .LBB1238_353
.LBB1238_351:                           ;   in Loop: Header=BB1238_353 Depth=1
	s_or_b64 exec, exec, s[16:17]
	s_and_b64 s[2:3], s[18:19], exec
.LBB1238_352:                           ;   in Loop: Header=BB1238_353 Depth=1
	s_or_b64 exec, exec, s[14:15]
	v_add_u32_e32 v31, 1, v25
	v_cndmask_b32_e64 v102, v102, v25, s[2:3]
	v_cndmask_b32_e64 v101, v31, v101, s[2:3]
	v_cmp_ge_u32_e64 s[2:3], v101, v102
	s_or_b64 s[6:7], s[2:3], s[6:7]
	s_andn2_b64 exec, exec, s[6:7]
	s_cbranch_execz .LBB1238_360
.LBB1238_353:                           ; =>This Loop Header: Depth=1
                                        ;     Child Loop BB1238_356 Depth 2
	v_add_u32_e32 v25, v102, v101
	v_lshrrev_b32_e32 v25, 1, v25
	s_mov_b64 s[2:3], 0
	s_and_saveexec_b64 s[14:15], vcc
	s_cbranch_execz .LBB1238_352
; %bb.354:                              ;   in Loop: Header=BB1238_353 Depth=1
	v_lshl_add_u32 v31, v25, 3, v24
	ds_read_b64 v[34:35], v31
	v_xad_u32 v31, v25, -1, v100
	v_lshl_add_u32 v31, v31, 3, v30
	ds_read_b64 v[36:37], v31
	s_mov_b64 s[16:17], 0
	s_waitcnt lgkmcnt(1)
	v_mul_lo_u32 v31, v32, v35
	v_mul_lo_u32 v38, v33, v34
	v_mad_u64_u32 v[34:35], s[2:3], v32, v34, v[8:9]
	v_add3_u32 v35, v38, v35, v31
	s_waitcnt lgkmcnt(0)
	v_mul_lo_u32 v31, v32, v37
	v_mul_lo_u32 v38, v33, v36
	v_mad_u64_u32 v[36:37], s[2:3], v32, v36, v[8:9]
	v_add3_u32 v37, v38, v37, v31
	v_mov_b64_e32 v[38:39], v[6:7]
                                        ; implicit-def: $sgpr18_sgpr19
                                        ; implicit-def: $sgpr20_sgpr21
                                        ; implicit-def: $sgpr26_sgpr27
	s_branch .LBB1238_356
.LBB1238_355:                           ;   in Loop: Header=BB1238_356 Depth=2
	s_or_b64 exec, exec, s[26:27]
	s_and_b64 s[2:3], exec, s[24:25]
	s_or_b64 s[16:17], s[2:3], s[16:17]
	s_andn2_b64 s[2:3], s[18:19], exec
	s_and_b64 s[18:19], s[20:21], exec
	s_or_b64 s[18:19], s[2:3], s[18:19]
	s_mov_b64 s[26:27], s[22:23]
	s_andn2_b64 exec, exec, s[16:17]
	s_cbranch_execz .LBB1238_351
.LBB1238_356:                           ;   Parent Loop BB1238_353 Depth=1
                                        ; =>  This Inner Loop Header: Depth=2
	flat_load_ushort v31, v[36:37]
	flat_load_ushort v103, v[34:35]
	s_mov_b64 s[24:25], -1
	s_mov_b64 s[28:29], 0
	s_mov_b64 s[22:23], -1
	s_waitcnt vmcnt(0) lgkmcnt(0)
	v_cmp_nlt_f16_e64 s[2:3], v31, v103
	s_and_saveexec_b64 s[40:41], s[2:3]
; %bb.357:                              ;   in Loop: Header=BB1238_356 Depth=2
	v_cmp_ngt_f16_e64 s[2:3], v31, v103
	s_and_b64 s[22:23], s[2:3], s[26:27]
	s_orn2_b64 s[22:23], s[22:23], exec
	s_and_b64 s[28:29], s[2:3], exec
; %bb.358:                              ;   in Loop: Header=BB1238_356 Depth=2
	s_or_b64 exec, exec, s[40:41]
	s_andn2_b64 s[2:3], s[20:21], exec
	s_and_b64 s[20:21], s[22:23], exec
	s_or_b64 s[20:21], s[2:3], s[20:21]
	s_and_saveexec_b64 s[26:27], s[28:29]
	s_cbranch_execz .LBB1238_355
; %bb.359:                              ;   in Loop: Header=BB1238_356 Depth=2
	v_lshl_add_u64 v[38:39], v[38:39], 0, -1
	v_cmp_eq_u64_e64 s[2:3], 0, v[38:39]
	v_lshl_add_u64 v[34:35], v[34:35], 0, 2
	v_lshl_add_u64 v[36:37], v[36:37], 0, 2
	s_andn2_b64 s[20:21], s[20:21], exec
	s_orn2_b64 s[24:25], s[2:3], exec
	s_branch .LBB1238_355
.LBB1238_360:
	s_or_b64 exec, exec, s[6:7]
.LBB1238_361:
	s_or_b64 exec, exec, s[4:5]
	v_add_u32_e32 v24, v97, v100
	v_add_u32_e32 v25, v101, v99
	v_sub_u32_e32 v30, v24, v101
	v_cmp_le_u32_e64 s[2:3], v25, v97
	v_cmp_le_u32_e64 s[4:5], v30, v98
	s_or_b64 s[2:3], s[2:3], s[4:5]
	s_and_saveexec_b64 s[14:15], s[2:3]
	s_cbranch_execz .LBB1238_445
; %bb.362:
	v_cmp_ge_u32_e64 s[2:3], v25, v97
	v_cmp_lt_u32_e64 s[4:5], v25, v97
                                        ; implicit-def: $vgpr0_vgpr1
	s_and_saveexec_b64 s[6:7], s[4:5]
; %bb.363:
	v_lshl_add_u32 v0, v25, 3, v22
	ds_read_b64 v[0:1], v0
; %bb.364:
	s_or_b64 exec, exec, s[6:7]
	v_cmp_ge_u32_e64 s[4:5], v30, v98
	v_cmp_lt_u32_e64 s[6:7], v30, v98
                                        ; implicit-def: $vgpr2_vgpr3
	s_and_saveexec_b64 s[16:17], s[6:7]
; %bb.365:
	v_lshl_add_u32 v2, v30, 3, v22
	ds_read_b64 v[2:3], v2
; %bb.366:
	s_or_b64 exec, exec, s[16:17]
	s_or_b64 s[6:7], s[2:3], s[4:5]
	s_xor_b64 s[2:3], s[2:3], -1
	s_nor_b64 s[16:17], s[6:7], s[0:1]
	s_or_b64 s[4:5], s[4:5], s[2:3]
	s_and_saveexec_b64 s[6:7], s[16:17]
	s_cbranch_execz .LBB1238_374
; %bb.367:
	s_waitcnt lgkmcnt(0)
	v_mul_lo_u32 v12, v1, v6
	v_mul_lo_u32 v13, v0, v7
	v_mad_u64_u32 v[10:11], s[2:3], v0, v6, 0
	v_add3_u32 v11, v11, v13, v12
	v_mul_lo_u32 v14, v3, v6
	v_mul_lo_u32 v15, v2, v7
	v_mad_u64_u32 v[12:13], s[2:3], v2, v6, 0
	v_add3_u32 v13, v13, v15, v14
	v_lshl_add_u64 v[10:11], v[10:11], 1, v[8:9]
	v_lshl_add_u64 v[12:13], v[12:13], 1, v[8:9]
	s_mov_b64 s[16:17], 0
	v_mov_b64_e32 v[14:15], v[6:7]
                                        ; implicit-def: $sgpr18_sgpr19
                                        ; implicit-def: $sgpr20_sgpr21
                                        ; implicit-def: $sgpr26_sgpr27
	s_branch .LBB1238_369
.LBB1238_368:                           ;   in Loop: Header=BB1238_369 Depth=1
	s_or_b64 exec, exec, s[26:27]
	s_and_b64 s[2:3], exec, s[24:25]
	s_or_b64 s[16:17], s[2:3], s[16:17]
	s_andn2_b64 s[2:3], s[18:19], exec
	s_and_b64 s[18:19], s[20:21], exec
	s_or_b64 s[18:19], s[2:3], s[18:19]
	s_mov_b64 s[26:27], s[22:23]
	s_andn2_b64 exec, exec, s[16:17]
	s_cbranch_execz .LBB1238_373
.LBB1238_369:                           ; =>This Inner Loop Header: Depth=1
	flat_load_ushort v16, v[12:13]
	flat_load_ushort v17, v[10:11]
	s_mov_b64 s[24:25], -1
	s_mov_b64 s[28:29], 0
	s_mov_b64 s[22:23], -1
	s_waitcnt vmcnt(0) lgkmcnt(0)
	v_cmp_nlt_f16_e64 s[2:3], v16, v17
	s_and_saveexec_b64 s[40:41], s[2:3]
; %bb.370:                              ;   in Loop: Header=BB1238_369 Depth=1
	v_cmp_ngt_f16_e64 s[2:3], v16, v17
	s_and_b64 s[22:23], s[2:3], s[26:27]
	s_orn2_b64 s[22:23], s[22:23], exec
	s_and_b64 s[28:29], s[2:3], exec
; %bb.371:                              ;   in Loop: Header=BB1238_369 Depth=1
	s_or_b64 exec, exec, s[40:41]
	s_andn2_b64 s[2:3], s[20:21], exec
	s_and_b64 s[20:21], s[22:23], exec
	s_or_b64 s[20:21], s[2:3], s[20:21]
	s_and_saveexec_b64 s[26:27], s[28:29]
	s_cbranch_execz .LBB1238_368
; %bb.372:                              ;   in Loop: Header=BB1238_369 Depth=1
	v_lshl_add_u64 v[14:15], v[14:15], 0, -1
	v_cmp_eq_u64_e64 s[2:3], 0, v[14:15]
	v_lshl_add_u64 v[10:11], v[10:11], 0, 2
	v_lshl_add_u64 v[12:13], v[12:13], 0, 2
	s_andn2_b64 s[20:21], s[20:21], exec
	s_orn2_b64 s[24:25], s[2:3], exec
	s_branch .LBB1238_368
.LBB1238_373:
	s_or_b64 exec, exec, s[16:17]
	s_xor_b64 s[2:3], s[18:19], -1
	s_andn2_b64 s[4:5], s[4:5], exec
	s_and_b64 s[2:3], s[2:3], exec
	s_or_b64 s[4:5], s[4:5], s[2:3]
.LBB1238_374:
	s_or_b64 exec, exec, s[6:7]
	v_cndmask_b32_e64 v10, v30, v25, s[4:5]
	v_cndmask_b32_e64 v11, v98, v97, s[4:5]
	v_add_u32_e32 v12, 1, v10
	v_add_u32_e32 v10, -1, v11
	v_min_u32_e32 v10, v12, v10
	v_lshl_add_u32 v10, v10, 3, v22
	ds_read_b64 v[10:11], v10
	v_cndmask_b32_e64 v16, v12, v30, s[4:5]
	v_cndmask_b32_e64 v17, v25, v12, s[4:5]
	v_cmp_lt_u32_e64 s[2:3], v16, v98
	s_mov_b64 s[16:17], -1
	s_waitcnt lgkmcnt(0)
	v_cndmask_b32_e64 v18, v11, v3, s[4:5]
	v_cndmask_b32_e64 v19, v10, v2, s[4:5]
	;; [unrolled: 1-line block ×4, first 2 shown]
	s_mov_b64 s[6:7], -1
	s_and_saveexec_b64 s[18:19], s[2:3]
	s_cbranch_execz .LBB1238_384
; %bb.375:
	v_cmp_lt_u32_e64 s[6:7], v17, v97
	s_xor_b64 s[2:3], s[0:1], -1
	s_and_b64 s[2:3], s[6:7], s[2:3]
	s_and_saveexec_b64 s[20:21], s[2:3]
	s_cbranch_execz .LBB1238_383
; %bb.376:
	v_mul_lo_u32 v12, v20, v6
	v_mul_lo_u32 v13, v24, v7
	v_mad_u64_u32 v[10:11], s[2:3], v24, v6, 0
	v_add3_u32 v11, v11, v13, v12
	v_mul_lo_u32 v14, v18, v6
	v_mul_lo_u32 v15, v19, v7
	v_mad_u64_u32 v[12:13], s[2:3], v19, v6, 0
	v_add3_u32 v13, v13, v15, v14
	v_lshl_add_u64 v[10:11], v[10:11], 1, v[8:9]
	v_lshl_add_u64 v[12:13], v[12:13], 1, v[8:9]
	s_mov_b64 s[22:23], 0
	v_mov_b64_e32 v[14:15], v[6:7]
                                        ; implicit-def: $sgpr24_sgpr25
                                        ; implicit-def: $sgpr26_sgpr27
                                        ; implicit-def: $sgpr42_sgpr43
	s_branch .LBB1238_378
.LBB1238_377:                           ;   in Loop: Header=BB1238_378 Depth=1
	s_or_b64 exec, exec, s[42:43]
	s_and_b64 s[2:3], exec, s[40:41]
	s_or_b64 s[22:23], s[2:3], s[22:23]
	s_andn2_b64 s[2:3], s[24:25], exec
	s_and_b64 s[24:25], s[26:27], exec
	s_or_b64 s[24:25], s[2:3], s[24:25]
	s_mov_b64 s[42:43], s[28:29]
	s_andn2_b64 exec, exec, s[22:23]
	s_cbranch_execz .LBB1238_382
.LBB1238_378:                           ; =>This Inner Loop Header: Depth=1
	flat_load_ushort v21, v[12:13]
	flat_load_ushort v25, v[10:11]
	s_mov_b64 s[40:41], -1
	s_mov_b64 s[44:45], 0
	s_mov_b64 s[28:29], -1
	s_waitcnt vmcnt(0) lgkmcnt(0)
	v_cmp_nlt_f16_e64 s[2:3], v21, v25
	s_and_saveexec_b64 s[46:47], s[2:3]
; %bb.379:                              ;   in Loop: Header=BB1238_378 Depth=1
	v_cmp_ngt_f16_e64 s[2:3], v21, v25
	s_and_b64 s[28:29], s[2:3], s[42:43]
	s_orn2_b64 s[28:29], s[28:29], exec
	s_and_b64 s[44:45], s[2:3], exec
; %bb.380:                              ;   in Loop: Header=BB1238_378 Depth=1
	s_or_b64 exec, exec, s[46:47]
	s_andn2_b64 s[2:3], s[26:27], exec
	s_and_b64 s[26:27], s[28:29], exec
	s_or_b64 s[26:27], s[2:3], s[26:27]
	s_and_saveexec_b64 s[42:43], s[44:45]
	s_cbranch_execz .LBB1238_377
; %bb.381:                              ;   in Loop: Header=BB1238_378 Depth=1
	v_lshl_add_u64 v[14:15], v[14:15], 0, -1
	v_cmp_eq_u64_e64 s[2:3], 0, v[14:15]
	v_lshl_add_u64 v[10:11], v[10:11], 0, 2
	v_lshl_add_u64 v[12:13], v[12:13], 0, 2
	s_andn2_b64 s[26:27], s[26:27], exec
	s_orn2_b64 s[40:41], s[2:3], exec
	s_branch .LBB1238_377
.LBB1238_382:
	s_or_b64 exec, exec, s[22:23]
	s_xor_b64 s[2:3], s[24:25], -1
	s_andn2_b64 s[6:7], s[6:7], exec
	s_and_b64 s[2:3], s[2:3], exec
	s_or_b64 s[6:7], s[6:7], s[2:3]
.LBB1238_383:
	s_or_b64 exec, exec, s[20:21]
	s_orn2_b64 s[6:7], s[6:7], exec
.LBB1238_384:
	s_or_b64 exec, exec, s[18:19]
	v_cndmask_b32_e64 v10, v16, v17, s[6:7]
	v_cndmask_b32_e64 v11, v98, v97, s[6:7]
	v_add_u32_e32 v12, 1, v10
	v_add_u32_e32 v10, -1, v11
	v_min_u32_e32 v10, v12, v10
	v_lshl_add_u32 v10, v10, 3, v22
	ds_read_b64 v[10:11], v10
	v_cndmask_b32_e64 v34, v12, v16, s[6:7]
	v_cndmask_b32_e64 v35, v17, v12, s[6:7]
	v_cmp_lt_u32_e64 s[2:3], v34, v98
	s_waitcnt lgkmcnt(0)
	v_cndmask_b32_e64 v21, v11, v18, s[6:7]
	v_cndmask_b32_e64 v25, v10, v19, s[6:7]
	;; [unrolled: 1-line block ×4, first 2 shown]
	s_and_saveexec_b64 s[18:19], s[2:3]
	s_cbranch_execz .LBB1238_394
; %bb.385:
	v_cmp_lt_u32_e64 s[16:17], v35, v97
	s_xor_b64 s[2:3], s[0:1], -1
	s_and_b64 s[2:3], s[16:17], s[2:3]
	s_and_saveexec_b64 s[20:21], s[2:3]
	s_cbranch_execz .LBB1238_393
; %bb.386:
	v_mul_lo_u32 v12, v30, v6
	v_mul_lo_u32 v13, v31, v7
	v_mad_u64_u32 v[10:11], s[2:3], v31, v6, 0
	v_add3_u32 v11, v11, v13, v12
	v_mul_lo_u32 v14, v21, v6
	v_mul_lo_u32 v15, v25, v7
	v_mad_u64_u32 v[12:13], s[2:3], v25, v6, 0
	v_add3_u32 v13, v13, v15, v14
	v_lshl_add_u64 v[10:11], v[10:11], 1, v[8:9]
	v_lshl_add_u64 v[12:13], v[12:13], 1, v[8:9]
	s_mov_b64 s[22:23], 0
	v_mov_b64_e32 v[14:15], v[6:7]
                                        ; implicit-def: $sgpr24_sgpr25
                                        ; implicit-def: $sgpr26_sgpr27
                                        ; implicit-def: $sgpr42_sgpr43
	s_branch .LBB1238_388
.LBB1238_387:                           ;   in Loop: Header=BB1238_388 Depth=1
	s_or_b64 exec, exec, s[42:43]
	s_and_b64 s[2:3], exec, s[40:41]
	s_or_b64 s[22:23], s[2:3], s[22:23]
	s_andn2_b64 s[2:3], s[24:25], exec
	s_and_b64 s[24:25], s[26:27], exec
	s_or_b64 s[24:25], s[2:3], s[24:25]
	s_mov_b64 s[42:43], s[28:29]
	s_andn2_b64 exec, exec, s[22:23]
	s_cbranch_execz .LBB1238_392
.LBB1238_388:                           ; =>This Inner Loop Header: Depth=1
	flat_load_ushort v16, v[12:13]
	flat_load_ushort v17, v[10:11]
	s_mov_b64 s[40:41], -1
	s_mov_b64 s[44:45], 0
	s_mov_b64 s[28:29], -1
	s_waitcnt vmcnt(0) lgkmcnt(0)
	v_cmp_nlt_f16_e64 s[2:3], v16, v17
	s_and_saveexec_b64 s[46:47], s[2:3]
; %bb.389:                              ;   in Loop: Header=BB1238_388 Depth=1
	v_cmp_ngt_f16_e64 s[2:3], v16, v17
	s_and_b64 s[28:29], s[2:3], s[42:43]
	s_orn2_b64 s[28:29], s[28:29], exec
	s_and_b64 s[44:45], s[2:3], exec
; %bb.390:                              ;   in Loop: Header=BB1238_388 Depth=1
	s_or_b64 exec, exec, s[46:47]
	s_andn2_b64 s[2:3], s[26:27], exec
	s_and_b64 s[26:27], s[28:29], exec
	s_or_b64 s[26:27], s[2:3], s[26:27]
	s_and_saveexec_b64 s[42:43], s[44:45]
	s_cbranch_execz .LBB1238_387
; %bb.391:                              ;   in Loop: Header=BB1238_388 Depth=1
	v_lshl_add_u64 v[14:15], v[14:15], 0, -1
	v_cmp_eq_u64_e64 s[2:3], 0, v[14:15]
	v_lshl_add_u64 v[10:11], v[10:11], 0, 2
	v_lshl_add_u64 v[12:13], v[12:13], 0, 2
	s_andn2_b64 s[26:27], s[26:27], exec
	s_orn2_b64 s[40:41], s[2:3], exec
	s_branch .LBB1238_387
.LBB1238_392:
	s_or_b64 exec, exec, s[22:23]
	s_xor_b64 s[2:3], s[24:25], -1
	s_andn2_b64 s[16:17], s[16:17], exec
	s_and_b64 s[2:3], s[2:3], exec
	s_or_b64 s[16:17], s[16:17], s[2:3]
.LBB1238_393:
	s_or_b64 exec, exec, s[20:21]
	s_orn2_b64 s[16:17], s[16:17], exec
.LBB1238_394:
	s_or_b64 exec, exec, s[18:19]
	v_cndmask_b32_e64 v10, v34, v35, s[16:17]
	v_cndmask_b32_e64 v11, v98, v97, s[16:17]
	v_add_u32_e32 v12, 1, v10
	v_add_u32_e32 v10, -1, v11
	v_min_u32_e32 v10, v12, v10
	v_lshl_add_u32 v10, v10, 3, v22
	ds_read_b64 v[10:11], v10
	v_cndmask_b32_e64 v38, v12, v34, s[16:17]
	v_cndmask_b32_e64 v39, v35, v12, s[16:17]
	v_cmp_lt_u32_e64 s[2:3], v38, v98
	s_mov_b64 s[20:21], -1
	s_waitcnt lgkmcnt(0)
	v_cndmask_b32_e64 v16, v11, v21, s[16:17]
	v_cndmask_b32_e64 v32, v10, v25, s[16:17]
	;; [unrolled: 1-line block ×4, first 2 shown]
	s_mov_b64 s[18:19], -1
	s_and_saveexec_b64 s[22:23], s[2:3]
	s_cbranch_execz .LBB1238_404
; %bb.395:
	v_cmp_lt_u32_e64 s[18:19], v39, v97
	s_xor_b64 s[2:3], s[0:1], -1
	s_and_b64 s[2:3], s[18:19], s[2:3]
	s_and_saveexec_b64 s[24:25], s[2:3]
	s_cbranch_execz .LBB1238_403
; %bb.396:
	v_mul_lo_u32 v12, v17, v6
	v_mul_lo_u32 v13, v33, v7
	v_mad_u64_u32 v[10:11], s[2:3], v33, v6, 0
	v_add3_u32 v11, v11, v13, v12
	v_mul_lo_u32 v14, v16, v6
	v_mul_lo_u32 v15, v32, v7
	v_mad_u64_u32 v[12:13], s[2:3], v32, v6, 0
	v_add3_u32 v13, v13, v15, v14
	v_lshl_add_u64 v[10:11], v[10:11], 1, v[8:9]
	v_lshl_add_u64 v[12:13], v[12:13], 1, v[8:9]
	s_mov_b64 s[26:27], 0
	v_mov_b64_e32 v[14:15], v[6:7]
                                        ; implicit-def: $sgpr28_sgpr29
                                        ; implicit-def: $sgpr40_sgpr41
                                        ; implicit-def: $sgpr46_sgpr47
	s_branch .LBB1238_398
.LBB1238_397:                           ;   in Loop: Header=BB1238_398 Depth=1
	s_or_b64 exec, exec, s[46:47]
	s_and_b64 s[2:3], exec, s[44:45]
	s_or_b64 s[26:27], s[2:3], s[26:27]
	s_andn2_b64 s[2:3], s[28:29], exec
	s_and_b64 s[28:29], s[40:41], exec
	s_or_b64 s[28:29], s[2:3], s[28:29]
	s_mov_b64 s[46:47], s[42:43]
	s_andn2_b64 exec, exec, s[26:27]
	s_cbranch_execz .LBB1238_402
.LBB1238_398:                           ; =>This Inner Loop Header: Depth=1
	flat_load_ushort v34, v[12:13]
	flat_load_ushort v35, v[10:11]
	s_mov_b64 s[44:45], -1
	s_mov_b64 s[56:57], 0
	s_mov_b64 s[42:43], -1
	s_waitcnt vmcnt(0) lgkmcnt(0)
	v_cmp_nlt_f16_e64 s[2:3], v34, v35
	s_and_saveexec_b64 s[58:59], s[2:3]
; %bb.399:                              ;   in Loop: Header=BB1238_398 Depth=1
	v_cmp_ngt_f16_e64 s[2:3], v34, v35
	s_and_b64 s[42:43], s[2:3], s[46:47]
	s_orn2_b64 s[42:43], s[42:43], exec
	s_and_b64 s[56:57], s[2:3], exec
; %bb.400:                              ;   in Loop: Header=BB1238_398 Depth=1
	s_or_b64 exec, exec, s[58:59]
	s_andn2_b64 s[2:3], s[40:41], exec
	s_and_b64 s[40:41], s[42:43], exec
	s_or_b64 s[40:41], s[2:3], s[40:41]
	s_and_saveexec_b64 s[46:47], s[56:57]
	s_cbranch_execz .LBB1238_397
; %bb.401:                              ;   in Loop: Header=BB1238_398 Depth=1
	v_lshl_add_u64 v[14:15], v[14:15], 0, -1
	v_cmp_eq_u64_e64 s[2:3], 0, v[14:15]
	v_lshl_add_u64 v[10:11], v[10:11], 0, 2
	v_lshl_add_u64 v[12:13], v[12:13], 0, 2
	s_andn2_b64 s[40:41], s[40:41], exec
	s_orn2_b64 s[44:45], s[2:3], exec
	s_branch .LBB1238_397
.LBB1238_402:
	s_or_b64 exec, exec, s[26:27]
	s_xor_b64 s[2:3], s[28:29], -1
	s_andn2_b64 s[18:19], s[18:19], exec
	s_and_b64 s[2:3], s[2:3], exec
	s_or_b64 s[18:19], s[18:19], s[2:3]
.LBB1238_403:
	s_or_b64 exec, exec, s[24:25]
	s_orn2_b64 s[18:19], s[18:19], exec
.LBB1238_404:
	s_or_b64 exec, exec, s[22:23]
	v_cndmask_b32_e64 v10, v38, v39, s[18:19]
	v_cndmask_b32_e64 v11, v98, v97, s[18:19]
	v_add_u32_e32 v12, 1, v10
	v_add_u32_e32 v10, -1, v11
	v_min_u32_e32 v10, v12, v10
	v_lshl_add_u32 v10, v10, 3, v22
	ds_read_b64 v[10:11], v10
	v_cndmask_b32_e64 v101, v12, v38, s[18:19]
	v_cndmask_b32_e64 v102, v39, v12, s[18:19]
	v_cmp_lt_u32_e64 s[2:3], v101, v98
	s_waitcnt lgkmcnt(0)
	v_cndmask_b32_e64 v34, v11, v16, s[18:19]
	v_cndmask_b32_e64 v35, v10, v32, s[18:19]
	;; [unrolled: 1-line block ×4, first 2 shown]
	s_and_saveexec_b64 s[22:23], s[2:3]
	s_cbranch_execz .LBB1238_414
; %bb.405:
	v_cmp_lt_u32_e64 s[20:21], v102, v97
	s_xor_b64 s[2:3], s[0:1], -1
	s_and_b64 s[2:3], s[20:21], s[2:3]
	s_and_saveexec_b64 s[24:25], s[2:3]
	s_cbranch_execz .LBB1238_413
; %bb.406:
	v_mul_lo_u32 v12, v36, v6
	v_mul_lo_u32 v13, v37, v7
	v_mad_u64_u32 v[10:11], s[2:3], v37, v6, 0
	v_add3_u32 v11, v11, v13, v12
	v_mul_lo_u32 v14, v34, v6
	v_mul_lo_u32 v15, v35, v7
	v_mad_u64_u32 v[12:13], s[2:3], v35, v6, 0
	v_add3_u32 v13, v13, v15, v14
	v_lshl_add_u64 v[10:11], v[10:11], 1, v[8:9]
	v_lshl_add_u64 v[12:13], v[12:13], 1, v[8:9]
	s_mov_b64 s[26:27], 0
	v_mov_b64_e32 v[14:15], v[6:7]
                                        ; implicit-def: $sgpr28_sgpr29
                                        ; implicit-def: $sgpr40_sgpr41
                                        ; implicit-def: $sgpr46_sgpr47
	s_branch .LBB1238_408
.LBB1238_407:                           ;   in Loop: Header=BB1238_408 Depth=1
	s_or_b64 exec, exec, s[46:47]
	s_and_b64 s[2:3], exec, s[44:45]
	s_or_b64 s[26:27], s[2:3], s[26:27]
	s_andn2_b64 s[2:3], s[28:29], exec
	s_and_b64 s[28:29], s[40:41], exec
	s_or_b64 s[28:29], s[2:3], s[28:29]
	s_mov_b64 s[46:47], s[42:43]
	s_andn2_b64 exec, exec, s[26:27]
	s_cbranch_execz .LBB1238_412
.LBB1238_408:                           ; =>This Inner Loop Header: Depth=1
	flat_load_ushort v38, v[12:13]
	flat_load_ushort v39, v[10:11]
	s_mov_b64 s[44:45], -1
	s_mov_b64 s[56:57], 0
	s_mov_b64 s[42:43], -1
	s_waitcnt vmcnt(0) lgkmcnt(0)
	v_cmp_nlt_f16_e64 s[2:3], v38, v39
	s_and_saveexec_b64 s[58:59], s[2:3]
; %bb.409:                              ;   in Loop: Header=BB1238_408 Depth=1
	v_cmp_ngt_f16_e64 s[2:3], v38, v39
	s_and_b64 s[42:43], s[2:3], s[46:47]
	s_orn2_b64 s[42:43], s[42:43], exec
	s_and_b64 s[56:57], s[2:3], exec
; %bb.410:                              ;   in Loop: Header=BB1238_408 Depth=1
	s_or_b64 exec, exec, s[58:59]
	s_andn2_b64 s[2:3], s[40:41], exec
	s_and_b64 s[40:41], s[42:43], exec
	s_or_b64 s[40:41], s[2:3], s[40:41]
	s_and_saveexec_b64 s[46:47], s[56:57]
	s_cbranch_execz .LBB1238_407
; %bb.411:                              ;   in Loop: Header=BB1238_408 Depth=1
	v_lshl_add_u64 v[14:15], v[14:15], 0, -1
	v_cmp_eq_u64_e64 s[2:3], 0, v[14:15]
	v_lshl_add_u64 v[10:11], v[10:11], 0, 2
	v_lshl_add_u64 v[12:13], v[12:13], 0, 2
	s_andn2_b64 s[40:41], s[40:41], exec
	s_orn2_b64 s[44:45], s[2:3], exec
	s_branch .LBB1238_407
.LBB1238_412:
	s_or_b64 exec, exec, s[26:27]
	s_xor_b64 s[2:3], s[28:29], -1
	s_andn2_b64 s[20:21], s[20:21], exec
	s_and_b64 s[2:3], s[2:3], exec
	s_or_b64 s[20:21], s[20:21], s[2:3]
.LBB1238_413:
	s_or_b64 exec, exec, s[24:25]
	s_orn2_b64 s[20:21], s[20:21], exec
.LBB1238_414:
	s_or_b64 exec, exec, s[22:23]
	v_cndmask_b32_e64 v10, v101, v102, s[20:21]
	v_cndmask_b32_e64 v11, v98, v97, s[20:21]
	v_add_u32_e32 v12, 1, v10
	v_add_u32_e32 v10, -1, v11
	v_min_u32_e32 v10, v12, v10
	v_lshl_add_u32 v10, v10, 3, v22
	ds_read_b64 v[10:11], v10
	v_cndmask_b32_e64 v103, v12, v101, s[20:21]
	v_cndmask_b32_e64 v115, v102, v12, s[20:21]
	v_cmp_lt_u32_e64 s[2:3], v103, v98
	s_mov_b64 s[22:23], -1
	s_waitcnt lgkmcnt(0)
	v_cndmask_b32_e64 v38, v11, v34, s[20:21]
	v_cndmask_b32_e64 v39, v10, v35, s[20:21]
	;; [unrolled: 1-line block ×4, first 2 shown]
	s_mov_b64 s[24:25], -1
	s_and_saveexec_b64 s[26:27], s[2:3]
	s_cbranch_execz .LBB1238_424
; %bb.415:
	v_cmp_lt_u32_e64 s[24:25], v115, v97
	s_xor_b64 s[2:3], s[0:1], -1
	s_and_b64 s[2:3], s[24:25], s[2:3]
	s_and_saveexec_b64 s[28:29], s[2:3]
	s_cbranch_execz .LBB1238_423
; %bb.416:
	v_mul_lo_u32 v12, v99, v6
	v_mul_lo_u32 v13, v100, v7
	v_mad_u64_u32 v[10:11], s[2:3], v100, v6, 0
	v_add3_u32 v11, v11, v13, v12
	v_mul_lo_u32 v14, v38, v6
	v_mul_lo_u32 v15, v39, v7
	v_mad_u64_u32 v[12:13], s[2:3], v39, v6, 0
	v_add3_u32 v13, v13, v15, v14
	v_lshl_add_u64 v[10:11], v[10:11], 1, v[8:9]
	v_lshl_add_u64 v[12:13], v[12:13], 1, v[8:9]
	s_mov_b64 s[40:41], 0
	v_mov_b64_e32 v[14:15], v[6:7]
                                        ; implicit-def: $sgpr42_sgpr43
                                        ; implicit-def: $sgpr44_sgpr45
                                        ; implicit-def: $sgpr58_sgpr59
	s_branch .LBB1238_418
.LBB1238_417:                           ;   in Loop: Header=BB1238_418 Depth=1
	s_or_b64 exec, exec, s[58:59]
	s_and_b64 s[2:3], exec, s[56:57]
	s_or_b64 s[40:41], s[2:3], s[40:41]
	s_andn2_b64 s[2:3], s[42:43], exec
	s_and_b64 s[42:43], s[44:45], exec
	s_or_b64 s[42:43], s[2:3], s[42:43]
	s_mov_b64 s[58:59], s[46:47]
	s_andn2_b64 exec, exec, s[40:41]
	s_cbranch_execz .LBB1238_422
.LBB1238_418:                           ; =>This Inner Loop Header: Depth=1
	flat_load_ushort v101, v[12:13]
	flat_load_ushort v102, v[10:11]
	s_mov_b64 s[56:57], -1
	s_mov_b64 s[60:61], 0
	s_mov_b64 s[46:47], -1
	s_waitcnt vmcnt(0) lgkmcnt(0)
	v_cmp_nlt_f16_e64 s[2:3], v101, v102
	s_and_saveexec_b64 s[62:63], s[2:3]
; %bb.419:                              ;   in Loop: Header=BB1238_418 Depth=1
	v_cmp_ngt_f16_e64 s[2:3], v101, v102
	s_and_b64 s[46:47], s[2:3], s[58:59]
	s_orn2_b64 s[46:47], s[46:47], exec
	s_and_b64 s[60:61], s[2:3], exec
; %bb.420:                              ;   in Loop: Header=BB1238_418 Depth=1
	s_or_b64 exec, exec, s[62:63]
	s_andn2_b64 s[2:3], s[44:45], exec
	s_and_b64 s[44:45], s[46:47], exec
	s_or_b64 s[44:45], s[2:3], s[44:45]
	s_and_saveexec_b64 s[58:59], s[60:61]
	s_cbranch_execz .LBB1238_417
; %bb.421:                              ;   in Loop: Header=BB1238_418 Depth=1
	v_lshl_add_u64 v[14:15], v[14:15], 0, -1
	v_cmp_eq_u64_e64 s[2:3], 0, v[14:15]
	v_lshl_add_u64 v[10:11], v[10:11], 0, 2
	v_lshl_add_u64 v[12:13], v[12:13], 0, 2
	s_andn2_b64 s[44:45], s[44:45], exec
	s_orn2_b64 s[56:57], s[2:3], exec
	s_branch .LBB1238_417
.LBB1238_422:
	s_or_b64 exec, exec, s[40:41]
	s_xor_b64 s[2:3], s[42:43], -1
	s_andn2_b64 s[24:25], s[24:25], exec
	s_and_b64 s[2:3], s[2:3], exec
	s_or_b64 s[24:25], s[24:25], s[2:3]
.LBB1238_423:
	s_or_b64 exec, exec, s[28:29]
	s_orn2_b64 s[24:25], s[24:25], exec
.LBB1238_424:
	s_or_b64 exec, exec, s[26:27]
	v_cndmask_b32_e64 v10, v103, v115, s[24:25]
	v_cndmask_b32_e64 v11, v98, v97, s[24:25]
	v_add_u32_e32 v12, 1, v10
	v_add_u32_e32 v10, -1, v11
	v_min_u32_e32 v10, v12, v10
	v_lshl_add_u32 v10, v10, 3, v22
	ds_read_b64 v[10:11], v10
	v_cndmask_b32_e64 v112, v12, v103, s[24:25]
	v_cndmask_b32_e64 v103, v115, v12, s[24:25]
	v_cmp_lt_u32_e64 s[2:3], v112, v98
	s_waitcnt lgkmcnt(0)
	v_cndmask_b32_e64 v101, v11, v38, s[24:25]
	v_cndmask_b32_e64 v102, v10, v39, s[24:25]
	;; [unrolled: 1-line block ×4, first 2 shown]
	s_and_saveexec_b64 s[26:27], s[2:3]
	s_cbranch_execz .LBB1238_434
; %bb.425:
	v_cmp_lt_u32_e64 s[22:23], v103, v97
	s_xor_b64 s[2:3], s[0:1], -1
	s_and_b64 s[2:3], s[22:23], s[2:3]
	s_and_saveexec_b64 s[28:29], s[2:3]
	s_cbranch_execz .LBB1238_433
; %bb.426:
	v_mul_lo_u32 v12, v113, v6
	v_mul_lo_u32 v13, v114, v7
	v_mad_u64_u32 v[10:11], s[2:3], v114, v6, 0
	v_add3_u32 v11, v11, v13, v12
	v_mul_lo_u32 v14, v101, v6
	v_mul_lo_u32 v15, v102, v7
	v_mad_u64_u32 v[12:13], s[2:3], v102, v6, 0
	v_add3_u32 v13, v13, v15, v14
	v_lshl_add_u64 v[10:11], v[10:11], 1, v[8:9]
	v_lshl_add_u64 v[12:13], v[12:13], 1, v[8:9]
	s_mov_b64 s[40:41], 0
	v_mov_b64_e32 v[14:15], v[6:7]
                                        ; implicit-def: $sgpr42_sgpr43
                                        ; implicit-def: $sgpr44_sgpr45
                                        ; implicit-def: $sgpr58_sgpr59
	s_branch .LBB1238_428
.LBB1238_427:                           ;   in Loop: Header=BB1238_428 Depth=1
	s_or_b64 exec, exec, s[58:59]
	s_and_b64 s[2:3], exec, s[56:57]
	s_or_b64 s[40:41], s[2:3], s[40:41]
	s_andn2_b64 s[2:3], s[42:43], exec
	s_and_b64 s[42:43], s[44:45], exec
	s_or_b64 s[42:43], s[2:3], s[42:43]
	s_mov_b64 s[58:59], s[46:47]
	s_andn2_b64 exec, exec, s[40:41]
	s_cbranch_execz .LBB1238_432
.LBB1238_428:                           ; =>This Inner Loop Header: Depth=1
	flat_load_ushort v115, v[12:13]
	flat_load_ushort v116, v[10:11]
	s_mov_b64 s[56:57], -1
	s_mov_b64 s[60:61], 0
	s_mov_b64 s[46:47], -1
	s_waitcnt vmcnt(0) lgkmcnt(0)
	v_cmp_nlt_f16_e64 s[2:3], v115, v116
	s_and_saveexec_b64 s[62:63], s[2:3]
; %bb.429:                              ;   in Loop: Header=BB1238_428 Depth=1
	v_cmp_ngt_f16_e64 s[2:3], v115, v116
	s_and_b64 s[46:47], s[2:3], s[58:59]
	s_orn2_b64 s[46:47], s[46:47], exec
	s_and_b64 s[60:61], s[2:3], exec
; %bb.430:                              ;   in Loop: Header=BB1238_428 Depth=1
	s_or_b64 exec, exec, s[62:63]
	s_andn2_b64 s[2:3], s[44:45], exec
	s_and_b64 s[44:45], s[46:47], exec
	s_or_b64 s[44:45], s[2:3], s[44:45]
	s_and_saveexec_b64 s[58:59], s[60:61]
	s_cbranch_execz .LBB1238_427
; %bb.431:                              ;   in Loop: Header=BB1238_428 Depth=1
	v_lshl_add_u64 v[14:15], v[14:15], 0, -1
	v_cmp_eq_u64_e64 s[2:3], 0, v[14:15]
	v_lshl_add_u64 v[10:11], v[10:11], 0, 2
	v_lshl_add_u64 v[12:13], v[12:13], 0, 2
	s_andn2_b64 s[44:45], s[44:45], exec
	s_orn2_b64 s[56:57], s[2:3], exec
	s_branch .LBB1238_427
.LBB1238_432:
	s_or_b64 exec, exec, s[40:41]
	s_xor_b64 s[2:3], s[42:43], -1
	s_andn2_b64 s[22:23], s[22:23], exec
	s_and_b64 s[2:3], s[2:3], exec
	s_or_b64 s[22:23], s[22:23], s[2:3]
.LBB1238_433:
	s_or_b64 exec, exec, s[28:29]
	s_orn2_b64 s[22:23], s[22:23], exec
.LBB1238_434:
	s_or_b64 exec, exec, s[26:27]
	v_cndmask_b32_e64 v15, v21, v30, s[16:17]
	v_cndmask_b32_e64 v21, v18, v20, s[6:7]
	;; [unrolled: 1-line block ×5, first 2 shown]
	v_add_u32_e32 v30, 1, v18
	v_add_u32_e32 v18, -1, v19
	v_min_u32_e32 v18, v30, v18
	v_lshl_add_u32 v18, v18, 3, v22
	v_cndmask_b32_e64 v14, v25, v31, s[16:17]
	ds_read_b64 v[24:25], v18
	v_cndmask_b32_e64 v31, v30, v112, s[22:23]
	v_cndmask_b32_e64 v13, v38, v99, s[24:25]
	;; [unrolled: 1-line block ×11, first 2 shown]
	s_waitcnt lgkmcnt(0)
	v_cndmask_b32_e64 v3, v113, v25, s[22:23]
	v_cndmask_b32_e64 v2, v114, v24, s[22:23]
	v_cmp_lt_u32_e64 s[2:3], v31, v98
	s_and_saveexec_b64 s[4:5], s[2:3]
	s_cbranch_execz .LBB1238_444
; %bb.435:
	v_cndmask_b32_e64 v35, v24, v102, s[22:23]
	v_cndmask_b32_e64 v24, v103, v30, s[22:23]
	;; [unrolled: 1-line block ×3, first 2 shown]
	v_cmp_ge_u32_e64 s[2:3], v24, v97
	s_nor_b64 s[16:17], s[2:3], s[0:1]
	s_nop 0
	v_cndmask_b32_e64 v25, v3, v34, s[2:3]
	v_cndmask_b32_e64 v24, v2, v35, s[2:3]
	s_and_saveexec_b64 s[6:7], s[16:17]
	s_cbranch_execz .LBB1238_443
; %bb.436:
	v_mul_lo_u32 v30, v3, v6
	v_mul_lo_u32 v31, v2, v7
	v_mad_u64_u32 v[24:25], s[2:3], v2, v6, 0
	v_add3_u32 v25, v25, v31, v30
	v_mul_lo_u32 v32, v34, v6
	v_mul_lo_u32 v33, v35, v7
	v_mad_u64_u32 v[30:31], s[2:3], v35, v6, 0
	v_add3_u32 v31, v31, v33, v32
	v_lshl_add_u64 v[24:25], v[24:25], 1, v[8:9]
	v_lshl_add_u64 v[30:31], v[30:31], 1, v[8:9]
	s_mov_b64 s[16:17], 0
	v_mov_b64_e32 v[32:33], v[6:7]
                                        ; implicit-def: $sgpr18_sgpr19
                                        ; implicit-def: $sgpr20_sgpr21
                                        ; implicit-def: $sgpr24_sgpr25
	s_branch .LBB1238_438
.LBB1238_437:                           ;   in Loop: Header=BB1238_438 Depth=1
	s_or_b64 exec, exec, s[24:25]
	s_and_b64 s[2:3], exec, s[2:3]
	s_or_b64 s[16:17], s[2:3], s[16:17]
	s_andn2_b64 s[2:3], s[18:19], exec
	s_and_b64 s[18:19], s[20:21], exec
	s_or_b64 s[18:19], s[2:3], s[18:19]
	s_mov_b64 s[24:25], s[22:23]
	s_andn2_b64 exec, exec, s[16:17]
	s_cbranch_execz .LBB1238_442
.LBB1238_438:                           ; =>This Inner Loop Header: Depth=1
	flat_load_ushort v36, v[30:31]
	flat_load_ushort v37, v[24:25]
	s_mov_b64 s[26:27], 0
	s_mov_b64 s[22:23], -1
	s_waitcnt vmcnt(0) lgkmcnt(0)
	v_cmp_nlt_f16_e64 s[2:3], v36, v37
	s_and_saveexec_b64 s[28:29], s[2:3]
; %bb.439:                              ;   in Loop: Header=BB1238_438 Depth=1
	v_cmp_ngt_f16_e64 s[2:3], v36, v37
	s_and_b64 s[22:23], s[2:3], s[24:25]
	s_orn2_b64 s[22:23], s[22:23], exec
	s_and_b64 s[26:27], s[2:3], exec
; %bb.440:                              ;   in Loop: Header=BB1238_438 Depth=1
	s_or_b64 exec, exec, s[28:29]
	s_andn2_b64 s[20:21], s[20:21], exec
	s_and_b64 s[24:25], s[22:23], exec
	s_mov_b64 s[2:3], -1
	s_or_b64 s[20:21], s[20:21], s[24:25]
	s_and_saveexec_b64 s[24:25], s[26:27]
	s_cbranch_execz .LBB1238_437
; %bb.441:                              ;   in Loop: Header=BB1238_438 Depth=1
	v_lshl_add_u64 v[32:33], v[32:33], 0, -1
	v_cmp_eq_u64_e64 s[2:3], 0, v[32:33]
	v_lshl_add_u64 v[24:25], v[24:25], 0, 2
	v_lshl_add_u64 v[30:31], v[30:31], 0, 2
	s_andn2_b64 s[20:21], s[20:21], exec
	s_orn2_b64 s[2:3], s[2:3], exec
	s_branch .LBB1238_437
.LBB1238_442:
	s_or_b64 exec, exec, s[16:17]
	v_cndmask_b32_e64 v25, v3, v34, s[18:19]
	v_cndmask_b32_e64 v24, v2, v35, s[18:19]
.LBB1238_443:
	s_or_b64 exec, exec, s[6:7]
	v_mov_b64_e32 v[2:3], v[24:25]
.LBB1238_444:
	s_or_b64 exec, exec, s[4:5]
.LBB1238_445:
	s_or_b64 exec, exec, s[14:15]
	v_and_b32_e32 v99, 0x3c0, v80
	v_or_b32_e32 v24, 32, v99
	v_min_u32_e32 v97, v71, v24
	v_add_u32_e32 v24, 32, v97
	v_min_u32_e32 v98, v71, v24
	v_and_b32_e32 v24, 56, v80
	v_min_u32_e32 v100, v71, v24
	v_sub_u32_e32 v24, v97, v99
	v_sub_u32_e32 v25, v98, v97
	v_sub_u32_e64 v101, v100, v25 clamp
	v_min_u32_e32 v102, v100, v24
	v_cmp_lt_u32_e64 s[2:3], v101, v102
	; wave barrier
	ds_write_b64 v81, v[18:19]
	ds_write_b64 v82, v[20:21]
	;; [unrolled: 1-line block ×8, first 2 shown]
	; wave barrier
	s_and_saveexec_b64 s[4:5], s[2:3]
	s_cbranch_execz .LBB1238_457
; %bb.446:
	v_lshlrev_b32_e32 v30, 3, v99
	v_mov_b32_e32 v31, 0
	v_lshl_add_u64 v[24:25], v[22:23], 0, v[30:31]
	v_lshlrev_b32_e32 v30, 3, v97
	v_lshl_add_u64 v[30:31], v[22:23], 0, v[30:31]
	v_lshlrev_b64 v[32:33], 1, v[6:7]
	s_mov_b64 s[6:7], 0
	s_branch .LBB1238_449
.LBB1238_447:                           ;   in Loop: Header=BB1238_449 Depth=1
	s_or_b64 exec, exec, s[16:17]
	s_and_b64 s[2:3], s[18:19], exec
.LBB1238_448:                           ;   in Loop: Header=BB1238_449 Depth=1
	s_or_b64 exec, exec, s[14:15]
	v_add_u32_e32 v31, 1, v25
	v_cndmask_b32_e64 v102, v102, v25, s[2:3]
	v_cndmask_b32_e64 v101, v31, v101, s[2:3]
	v_cmp_ge_u32_e64 s[2:3], v101, v102
	s_or_b64 s[6:7], s[2:3], s[6:7]
	s_andn2_b64 exec, exec, s[6:7]
	s_cbranch_execz .LBB1238_456
.LBB1238_449:                           ; =>This Loop Header: Depth=1
                                        ;     Child Loop BB1238_452 Depth 2
	v_add_u32_e32 v25, v102, v101
	v_lshrrev_b32_e32 v25, 1, v25
	s_mov_b64 s[2:3], 0
	s_and_saveexec_b64 s[14:15], vcc
	s_cbranch_execz .LBB1238_448
; %bb.450:                              ;   in Loop: Header=BB1238_449 Depth=1
	v_lshl_add_u32 v31, v25, 3, v24
	ds_read_b64 v[34:35], v31
	v_xad_u32 v31, v25, -1, v100
	v_lshl_add_u32 v31, v31, 3, v30
	ds_read_b64 v[36:37], v31
	s_mov_b64 s[16:17], 0
	s_waitcnt lgkmcnt(1)
	v_mul_lo_u32 v31, v32, v35
	v_mul_lo_u32 v38, v33, v34
	v_mad_u64_u32 v[34:35], s[2:3], v32, v34, v[8:9]
	v_add3_u32 v35, v38, v35, v31
	s_waitcnt lgkmcnt(0)
	v_mul_lo_u32 v31, v32, v37
	v_mul_lo_u32 v38, v33, v36
	v_mad_u64_u32 v[36:37], s[2:3], v32, v36, v[8:9]
	v_add3_u32 v37, v38, v37, v31
	v_mov_b64_e32 v[38:39], v[6:7]
                                        ; implicit-def: $sgpr18_sgpr19
                                        ; implicit-def: $sgpr20_sgpr21
                                        ; implicit-def: $sgpr26_sgpr27
	s_branch .LBB1238_452
.LBB1238_451:                           ;   in Loop: Header=BB1238_452 Depth=2
	s_or_b64 exec, exec, s[26:27]
	s_and_b64 s[2:3], exec, s[24:25]
	s_or_b64 s[16:17], s[2:3], s[16:17]
	s_andn2_b64 s[2:3], s[18:19], exec
	s_and_b64 s[18:19], s[20:21], exec
	s_or_b64 s[18:19], s[2:3], s[18:19]
	s_mov_b64 s[26:27], s[22:23]
	s_andn2_b64 exec, exec, s[16:17]
	s_cbranch_execz .LBB1238_447
.LBB1238_452:                           ;   Parent Loop BB1238_449 Depth=1
                                        ; =>  This Inner Loop Header: Depth=2
	flat_load_ushort v31, v[36:37]
	flat_load_ushort v103, v[34:35]
	s_mov_b64 s[24:25], -1
	s_mov_b64 s[28:29], 0
	s_mov_b64 s[22:23], -1
	s_waitcnt vmcnt(0) lgkmcnt(0)
	v_cmp_nlt_f16_e64 s[2:3], v31, v103
	s_and_saveexec_b64 s[40:41], s[2:3]
; %bb.453:                              ;   in Loop: Header=BB1238_452 Depth=2
	v_cmp_ngt_f16_e64 s[2:3], v31, v103
	s_and_b64 s[22:23], s[2:3], s[26:27]
	s_orn2_b64 s[22:23], s[22:23], exec
	s_and_b64 s[28:29], s[2:3], exec
; %bb.454:                              ;   in Loop: Header=BB1238_452 Depth=2
	s_or_b64 exec, exec, s[40:41]
	s_andn2_b64 s[2:3], s[20:21], exec
	s_and_b64 s[20:21], s[22:23], exec
	s_or_b64 s[20:21], s[2:3], s[20:21]
	s_and_saveexec_b64 s[26:27], s[28:29]
	s_cbranch_execz .LBB1238_451
; %bb.455:                              ;   in Loop: Header=BB1238_452 Depth=2
	v_lshl_add_u64 v[38:39], v[38:39], 0, -1
	v_cmp_eq_u64_e64 s[2:3], 0, v[38:39]
	v_lshl_add_u64 v[34:35], v[34:35], 0, 2
	v_lshl_add_u64 v[36:37], v[36:37], 0, 2
	s_andn2_b64 s[20:21], s[20:21], exec
	s_orn2_b64 s[24:25], s[2:3], exec
	s_branch .LBB1238_451
.LBB1238_456:
	s_or_b64 exec, exec, s[6:7]
.LBB1238_457:
	s_or_b64 exec, exec, s[4:5]
	v_add_u32_e32 v24, v97, v100
	v_add_u32_e32 v25, v101, v99
	v_sub_u32_e32 v30, v24, v101
	v_cmp_le_u32_e64 s[2:3], v25, v97
	v_cmp_le_u32_e64 s[4:5], v30, v98
	s_or_b64 s[2:3], s[2:3], s[4:5]
	s_and_saveexec_b64 s[14:15], s[2:3]
	s_cbranch_execz .LBB1238_541
; %bb.458:
	v_cmp_ge_u32_e64 s[2:3], v25, v97
	v_cmp_lt_u32_e64 s[4:5], v25, v97
                                        ; implicit-def: $vgpr0_vgpr1
	s_and_saveexec_b64 s[6:7], s[4:5]
; %bb.459:
	v_lshl_add_u32 v0, v25, 3, v22
	ds_read_b64 v[0:1], v0
; %bb.460:
	s_or_b64 exec, exec, s[6:7]
	v_cmp_ge_u32_e64 s[4:5], v30, v98
	v_cmp_lt_u32_e64 s[6:7], v30, v98
                                        ; implicit-def: $vgpr2_vgpr3
	s_and_saveexec_b64 s[16:17], s[6:7]
; %bb.461:
	v_lshl_add_u32 v2, v30, 3, v22
	ds_read_b64 v[2:3], v2
; %bb.462:
	s_or_b64 exec, exec, s[16:17]
	s_or_b64 s[6:7], s[2:3], s[4:5]
	s_xor_b64 s[2:3], s[2:3], -1
	s_nor_b64 s[16:17], s[6:7], s[0:1]
	s_or_b64 s[4:5], s[4:5], s[2:3]
	s_and_saveexec_b64 s[6:7], s[16:17]
	s_cbranch_execz .LBB1238_470
; %bb.463:
	s_waitcnt lgkmcnt(0)
	v_mul_lo_u32 v12, v1, v6
	v_mul_lo_u32 v13, v0, v7
	v_mad_u64_u32 v[10:11], s[2:3], v0, v6, 0
	v_add3_u32 v11, v11, v13, v12
	v_mul_lo_u32 v14, v3, v6
	v_mul_lo_u32 v15, v2, v7
	v_mad_u64_u32 v[12:13], s[2:3], v2, v6, 0
	v_add3_u32 v13, v13, v15, v14
	v_lshl_add_u64 v[10:11], v[10:11], 1, v[8:9]
	v_lshl_add_u64 v[12:13], v[12:13], 1, v[8:9]
	s_mov_b64 s[16:17], 0
	v_mov_b64_e32 v[14:15], v[6:7]
                                        ; implicit-def: $sgpr18_sgpr19
                                        ; implicit-def: $sgpr20_sgpr21
                                        ; implicit-def: $sgpr26_sgpr27
	s_branch .LBB1238_465
.LBB1238_464:                           ;   in Loop: Header=BB1238_465 Depth=1
	s_or_b64 exec, exec, s[26:27]
	s_and_b64 s[2:3], exec, s[24:25]
	s_or_b64 s[16:17], s[2:3], s[16:17]
	s_andn2_b64 s[2:3], s[18:19], exec
	s_and_b64 s[18:19], s[20:21], exec
	s_or_b64 s[18:19], s[2:3], s[18:19]
	s_mov_b64 s[26:27], s[22:23]
	s_andn2_b64 exec, exec, s[16:17]
	s_cbranch_execz .LBB1238_469
.LBB1238_465:                           ; =>This Inner Loop Header: Depth=1
	flat_load_ushort v16, v[12:13]
	flat_load_ushort v17, v[10:11]
	s_mov_b64 s[24:25], -1
	s_mov_b64 s[28:29], 0
	s_mov_b64 s[22:23], -1
	s_waitcnt vmcnt(0) lgkmcnt(0)
	v_cmp_nlt_f16_e64 s[2:3], v16, v17
	s_and_saveexec_b64 s[40:41], s[2:3]
; %bb.466:                              ;   in Loop: Header=BB1238_465 Depth=1
	v_cmp_ngt_f16_e64 s[2:3], v16, v17
	s_and_b64 s[22:23], s[2:3], s[26:27]
	s_orn2_b64 s[22:23], s[22:23], exec
	s_and_b64 s[28:29], s[2:3], exec
; %bb.467:                              ;   in Loop: Header=BB1238_465 Depth=1
	s_or_b64 exec, exec, s[40:41]
	s_andn2_b64 s[2:3], s[20:21], exec
	s_and_b64 s[20:21], s[22:23], exec
	s_or_b64 s[20:21], s[2:3], s[20:21]
	s_and_saveexec_b64 s[26:27], s[28:29]
	s_cbranch_execz .LBB1238_464
; %bb.468:                              ;   in Loop: Header=BB1238_465 Depth=1
	v_lshl_add_u64 v[14:15], v[14:15], 0, -1
	v_cmp_eq_u64_e64 s[2:3], 0, v[14:15]
	v_lshl_add_u64 v[10:11], v[10:11], 0, 2
	v_lshl_add_u64 v[12:13], v[12:13], 0, 2
	s_andn2_b64 s[20:21], s[20:21], exec
	s_orn2_b64 s[24:25], s[2:3], exec
	s_branch .LBB1238_464
.LBB1238_469:
	s_or_b64 exec, exec, s[16:17]
	s_xor_b64 s[2:3], s[18:19], -1
	s_andn2_b64 s[4:5], s[4:5], exec
	s_and_b64 s[2:3], s[2:3], exec
	s_or_b64 s[4:5], s[4:5], s[2:3]
.LBB1238_470:
	s_or_b64 exec, exec, s[6:7]
	v_cndmask_b32_e64 v10, v30, v25, s[4:5]
	v_cndmask_b32_e64 v11, v98, v97, s[4:5]
	v_add_u32_e32 v12, 1, v10
	v_add_u32_e32 v10, -1, v11
	v_min_u32_e32 v10, v12, v10
	v_lshl_add_u32 v10, v10, 3, v22
	ds_read_b64 v[10:11], v10
	v_cndmask_b32_e64 v16, v12, v30, s[4:5]
	v_cndmask_b32_e64 v17, v25, v12, s[4:5]
	v_cmp_lt_u32_e64 s[2:3], v16, v98
	s_mov_b64 s[16:17], -1
	s_waitcnt lgkmcnt(0)
	v_cndmask_b32_e64 v18, v11, v3, s[4:5]
	v_cndmask_b32_e64 v19, v10, v2, s[4:5]
	;; [unrolled: 1-line block ×4, first 2 shown]
	s_mov_b64 s[6:7], -1
	s_and_saveexec_b64 s[18:19], s[2:3]
	s_cbranch_execz .LBB1238_480
; %bb.471:
	v_cmp_lt_u32_e64 s[6:7], v17, v97
	s_xor_b64 s[2:3], s[0:1], -1
	s_and_b64 s[2:3], s[6:7], s[2:3]
	s_and_saveexec_b64 s[20:21], s[2:3]
	s_cbranch_execz .LBB1238_479
; %bb.472:
	v_mul_lo_u32 v12, v20, v6
	v_mul_lo_u32 v13, v24, v7
	v_mad_u64_u32 v[10:11], s[2:3], v24, v6, 0
	v_add3_u32 v11, v11, v13, v12
	v_mul_lo_u32 v14, v18, v6
	v_mul_lo_u32 v15, v19, v7
	v_mad_u64_u32 v[12:13], s[2:3], v19, v6, 0
	v_add3_u32 v13, v13, v15, v14
	v_lshl_add_u64 v[10:11], v[10:11], 1, v[8:9]
	v_lshl_add_u64 v[12:13], v[12:13], 1, v[8:9]
	s_mov_b64 s[22:23], 0
	v_mov_b64_e32 v[14:15], v[6:7]
                                        ; implicit-def: $sgpr24_sgpr25
                                        ; implicit-def: $sgpr26_sgpr27
                                        ; implicit-def: $sgpr42_sgpr43
	s_branch .LBB1238_474
.LBB1238_473:                           ;   in Loop: Header=BB1238_474 Depth=1
	s_or_b64 exec, exec, s[42:43]
	s_and_b64 s[2:3], exec, s[40:41]
	s_or_b64 s[22:23], s[2:3], s[22:23]
	s_andn2_b64 s[2:3], s[24:25], exec
	s_and_b64 s[24:25], s[26:27], exec
	s_or_b64 s[24:25], s[2:3], s[24:25]
	s_mov_b64 s[42:43], s[28:29]
	s_andn2_b64 exec, exec, s[22:23]
	s_cbranch_execz .LBB1238_478
.LBB1238_474:                           ; =>This Inner Loop Header: Depth=1
	flat_load_ushort v21, v[12:13]
	flat_load_ushort v25, v[10:11]
	s_mov_b64 s[40:41], -1
	s_mov_b64 s[44:45], 0
	s_mov_b64 s[28:29], -1
	s_waitcnt vmcnt(0) lgkmcnt(0)
	v_cmp_nlt_f16_e64 s[2:3], v21, v25
	s_and_saveexec_b64 s[46:47], s[2:3]
; %bb.475:                              ;   in Loop: Header=BB1238_474 Depth=1
	v_cmp_ngt_f16_e64 s[2:3], v21, v25
	s_and_b64 s[28:29], s[2:3], s[42:43]
	s_orn2_b64 s[28:29], s[28:29], exec
	s_and_b64 s[44:45], s[2:3], exec
; %bb.476:                              ;   in Loop: Header=BB1238_474 Depth=1
	s_or_b64 exec, exec, s[46:47]
	s_andn2_b64 s[2:3], s[26:27], exec
	s_and_b64 s[26:27], s[28:29], exec
	s_or_b64 s[26:27], s[2:3], s[26:27]
	s_and_saveexec_b64 s[42:43], s[44:45]
	s_cbranch_execz .LBB1238_473
; %bb.477:                              ;   in Loop: Header=BB1238_474 Depth=1
	v_lshl_add_u64 v[14:15], v[14:15], 0, -1
	v_cmp_eq_u64_e64 s[2:3], 0, v[14:15]
	v_lshl_add_u64 v[10:11], v[10:11], 0, 2
	v_lshl_add_u64 v[12:13], v[12:13], 0, 2
	s_andn2_b64 s[26:27], s[26:27], exec
	s_orn2_b64 s[40:41], s[2:3], exec
	s_branch .LBB1238_473
.LBB1238_478:
	s_or_b64 exec, exec, s[22:23]
	s_xor_b64 s[2:3], s[24:25], -1
	s_andn2_b64 s[6:7], s[6:7], exec
	s_and_b64 s[2:3], s[2:3], exec
	s_or_b64 s[6:7], s[6:7], s[2:3]
.LBB1238_479:
	s_or_b64 exec, exec, s[20:21]
	s_orn2_b64 s[6:7], s[6:7], exec
.LBB1238_480:
	s_or_b64 exec, exec, s[18:19]
	v_cndmask_b32_e64 v10, v16, v17, s[6:7]
	v_cndmask_b32_e64 v11, v98, v97, s[6:7]
	v_add_u32_e32 v12, 1, v10
	v_add_u32_e32 v10, -1, v11
	v_min_u32_e32 v10, v12, v10
	v_lshl_add_u32 v10, v10, 3, v22
	ds_read_b64 v[10:11], v10
	v_cndmask_b32_e64 v34, v12, v16, s[6:7]
	v_cndmask_b32_e64 v35, v17, v12, s[6:7]
	v_cmp_lt_u32_e64 s[2:3], v34, v98
	s_waitcnt lgkmcnt(0)
	v_cndmask_b32_e64 v21, v11, v18, s[6:7]
	v_cndmask_b32_e64 v25, v10, v19, s[6:7]
	;; [unrolled: 1-line block ×4, first 2 shown]
	s_and_saveexec_b64 s[18:19], s[2:3]
	s_cbranch_execz .LBB1238_490
; %bb.481:
	v_cmp_lt_u32_e64 s[16:17], v35, v97
	s_xor_b64 s[2:3], s[0:1], -1
	s_and_b64 s[2:3], s[16:17], s[2:3]
	s_and_saveexec_b64 s[20:21], s[2:3]
	s_cbranch_execz .LBB1238_489
; %bb.482:
	v_mul_lo_u32 v12, v30, v6
	v_mul_lo_u32 v13, v31, v7
	v_mad_u64_u32 v[10:11], s[2:3], v31, v6, 0
	v_add3_u32 v11, v11, v13, v12
	v_mul_lo_u32 v14, v21, v6
	v_mul_lo_u32 v15, v25, v7
	v_mad_u64_u32 v[12:13], s[2:3], v25, v6, 0
	v_add3_u32 v13, v13, v15, v14
	v_lshl_add_u64 v[10:11], v[10:11], 1, v[8:9]
	v_lshl_add_u64 v[12:13], v[12:13], 1, v[8:9]
	s_mov_b64 s[22:23], 0
	v_mov_b64_e32 v[14:15], v[6:7]
                                        ; implicit-def: $sgpr24_sgpr25
                                        ; implicit-def: $sgpr26_sgpr27
                                        ; implicit-def: $sgpr42_sgpr43
	s_branch .LBB1238_484
.LBB1238_483:                           ;   in Loop: Header=BB1238_484 Depth=1
	s_or_b64 exec, exec, s[42:43]
	s_and_b64 s[2:3], exec, s[40:41]
	s_or_b64 s[22:23], s[2:3], s[22:23]
	s_andn2_b64 s[2:3], s[24:25], exec
	s_and_b64 s[24:25], s[26:27], exec
	s_or_b64 s[24:25], s[2:3], s[24:25]
	s_mov_b64 s[42:43], s[28:29]
	s_andn2_b64 exec, exec, s[22:23]
	s_cbranch_execz .LBB1238_488
.LBB1238_484:                           ; =>This Inner Loop Header: Depth=1
	flat_load_ushort v16, v[12:13]
	flat_load_ushort v17, v[10:11]
	s_mov_b64 s[40:41], -1
	s_mov_b64 s[44:45], 0
	s_mov_b64 s[28:29], -1
	s_waitcnt vmcnt(0) lgkmcnt(0)
	v_cmp_nlt_f16_e64 s[2:3], v16, v17
	s_and_saveexec_b64 s[46:47], s[2:3]
; %bb.485:                              ;   in Loop: Header=BB1238_484 Depth=1
	v_cmp_ngt_f16_e64 s[2:3], v16, v17
	s_and_b64 s[28:29], s[2:3], s[42:43]
	s_orn2_b64 s[28:29], s[28:29], exec
	s_and_b64 s[44:45], s[2:3], exec
; %bb.486:                              ;   in Loop: Header=BB1238_484 Depth=1
	s_or_b64 exec, exec, s[46:47]
	s_andn2_b64 s[2:3], s[26:27], exec
	s_and_b64 s[26:27], s[28:29], exec
	s_or_b64 s[26:27], s[2:3], s[26:27]
	s_and_saveexec_b64 s[42:43], s[44:45]
	s_cbranch_execz .LBB1238_483
; %bb.487:                              ;   in Loop: Header=BB1238_484 Depth=1
	v_lshl_add_u64 v[14:15], v[14:15], 0, -1
	v_cmp_eq_u64_e64 s[2:3], 0, v[14:15]
	v_lshl_add_u64 v[10:11], v[10:11], 0, 2
	v_lshl_add_u64 v[12:13], v[12:13], 0, 2
	s_andn2_b64 s[26:27], s[26:27], exec
	s_orn2_b64 s[40:41], s[2:3], exec
	s_branch .LBB1238_483
.LBB1238_488:
	s_or_b64 exec, exec, s[22:23]
	s_xor_b64 s[2:3], s[24:25], -1
	s_andn2_b64 s[16:17], s[16:17], exec
	s_and_b64 s[2:3], s[2:3], exec
	s_or_b64 s[16:17], s[16:17], s[2:3]
.LBB1238_489:
	s_or_b64 exec, exec, s[20:21]
	s_orn2_b64 s[16:17], s[16:17], exec
.LBB1238_490:
	s_or_b64 exec, exec, s[18:19]
	v_cndmask_b32_e64 v10, v34, v35, s[16:17]
	v_cndmask_b32_e64 v11, v98, v97, s[16:17]
	v_add_u32_e32 v12, 1, v10
	v_add_u32_e32 v10, -1, v11
	v_min_u32_e32 v10, v12, v10
	v_lshl_add_u32 v10, v10, 3, v22
	ds_read_b64 v[10:11], v10
	v_cndmask_b32_e64 v38, v12, v34, s[16:17]
	v_cndmask_b32_e64 v39, v35, v12, s[16:17]
	v_cmp_lt_u32_e64 s[2:3], v38, v98
	s_mov_b64 s[20:21], -1
	s_waitcnt lgkmcnt(0)
	v_cndmask_b32_e64 v16, v11, v21, s[16:17]
	v_cndmask_b32_e64 v32, v10, v25, s[16:17]
	;; [unrolled: 1-line block ×4, first 2 shown]
	s_mov_b64 s[18:19], -1
	s_and_saveexec_b64 s[22:23], s[2:3]
	s_cbranch_execz .LBB1238_500
; %bb.491:
	v_cmp_lt_u32_e64 s[18:19], v39, v97
	s_xor_b64 s[2:3], s[0:1], -1
	s_and_b64 s[2:3], s[18:19], s[2:3]
	s_and_saveexec_b64 s[24:25], s[2:3]
	s_cbranch_execz .LBB1238_499
; %bb.492:
	v_mul_lo_u32 v12, v17, v6
	v_mul_lo_u32 v13, v33, v7
	v_mad_u64_u32 v[10:11], s[2:3], v33, v6, 0
	v_add3_u32 v11, v11, v13, v12
	v_mul_lo_u32 v14, v16, v6
	v_mul_lo_u32 v15, v32, v7
	v_mad_u64_u32 v[12:13], s[2:3], v32, v6, 0
	v_add3_u32 v13, v13, v15, v14
	v_lshl_add_u64 v[10:11], v[10:11], 1, v[8:9]
	v_lshl_add_u64 v[12:13], v[12:13], 1, v[8:9]
	s_mov_b64 s[26:27], 0
	v_mov_b64_e32 v[14:15], v[6:7]
                                        ; implicit-def: $sgpr28_sgpr29
                                        ; implicit-def: $sgpr40_sgpr41
                                        ; implicit-def: $sgpr46_sgpr47
	s_branch .LBB1238_494
.LBB1238_493:                           ;   in Loop: Header=BB1238_494 Depth=1
	s_or_b64 exec, exec, s[46:47]
	s_and_b64 s[2:3], exec, s[44:45]
	s_or_b64 s[26:27], s[2:3], s[26:27]
	s_andn2_b64 s[2:3], s[28:29], exec
	s_and_b64 s[28:29], s[40:41], exec
	s_or_b64 s[28:29], s[2:3], s[28:29]
	s_mov_b64 s[46:47], s[42:43]
	s_andn2_b64 exec, exec, s[26:27]
	s_cbranch_execz .LBB1238_498
.LBB1238_494:                           ; =>This Inner Loop Header: Depth=1
	flat_load_ushort v34, v[12:13]
	flat_load_ushort v35, v[10:11]
	s_mov_b64 s[44:45], -1
	s_mov_b64 s[56:57], 0
	s_mov_b64 s[42:43], -1
	s_waitcnt vmcnt(0) lgkmcnt(0)
	v_cmp_nlt_f16_e64 s[2:3], v34, v35
	s_and_saveexec_b64 s[58:59], s[2:3]
; %bb.495:                              ;   in Loop: Header=BB1238_494 Depth=1
	v_cmp_ngt_f16_e64 s[2:3], v34, v35
	s_and_b64 s[42:43], s[2:3], s[46:47]
	s_orn2_b64 s[42:43], s[42:43], exec
	s_and_b64 s[56:57], s[2:3], exec
; %bb.496:                              ;   in Loop: Header=BB1238_494 Depth=1
	s_or_b64 exec, exec, s[58:59]
	s_andn2_b64 s[2:3], s[40:41], exec
	s_and_b64 s[40:41], s[42:43], exec
	s_or_b64 s[40:41], s[2:3], s[40:41]
	s_and_saveexec_b64 s[46:47], s[56:57]
	s_cbranch_execz .LBB1238_493
; %bb.497:                              ;   in Loop: Header=BB1238_494 Depth=1
	v_lshl_add_u64 v[14:15], v[14:15], 0, -1
	v_cmp_eq_u64_e64 s[2:3], 0, v[14:15]
	v_lshl_add_u64 v[10:11], v[10:11], 0, 2
	v_lshl_add_u64 v[12:13], v[12:13], 0, 2
	s_andn2_b64 s[40:41], s[40:41], exec
	s_orn2_b64 s[44:45], s[2:3], exec
	s_branch .LBB1238_493
.LBB1238_498:
	s_or_b64 exec, exec, s[26:27]
	s_xor_b64 s[2:3], s[28:29], -1
	s_andn2_b64 s[18:19], s[18:19], exec
	s_and_b64 s[2:3], s[2:3], exec
	s_or_b64 s[18:19], s[18:19], s[2:3]
.LBB1238_499:
	s_or_b64 exec, exec, s[24:25]
	s_orn2_b64 s[18:19], s[18:19], exec
.LBB1238_500:
	s_or_b64 exec, exec, s[22:23]
	v_cndmask_b32_e64 v10, v38, v39, s[18:19]
	v_cndmask_b32_e64 v11, v98, v97, s[18:19]
	v_add_u32_e32 v12, 1, v10
	v_add_u32_e32 v10, -1, v11
	v_min_u32_e32 v10, v12, v10
	v_lshl_add_u32 v10, v10, 3, v22
	ds_read_b64 v[10:11], v10
	v_cndmask_b32_e64 v101, v12, v38, s[18:19]
	v_cndmask_b32_e64 v102, v39, v12, s[18:19]
	v_cmp_lt_u32_e64 s[2:3], v101, v98
	s_waitcnt lgkmcnt(0)
	v_cndmask_b32_e64 v34, v11, v16, s[18:19]
	v_cndmask_b32_e64 v35, v10, v32, s[18:19]
	;; [unrolled: 1-line block ×4, first 2 shown]
	s_and_saveexec_b64 s[22:23], s[2:3]
	s_cbranch_execz .LBB1238_510
; %bb.501:
	v_cmp_lt_u32_e64 s[20:21], v102, v97
	s_xor_b64 s[2:3], s[0:1], -1
	s_and_b64 s[2:3], s[20:21], s[2:3]
	s_and_saveexec_b64 s[24:25], s[2:3]
	s_cbranch_execz .LBB1238_509
; %bb.502:
	v_mul_lo_u32 v12, v36, v6
	v_mul_lo_u32 v13, v37, v7
	v_mad_u64_u32 v[10:11], s[2:3], v37, v6, 0
	v_add3_u32 v11, v11, v13, v12
	v_mul_lo_u32 v14, v34, v6
	v_mul_lo_u32 v15, v35, v7
	v_mad_u64_u32 v[12:13], s[2:3], v35, v6, 0
	v_add3_u32 v13, v13, v15, v14
	v_lshl_add_u64 v[10:11], v[10:11], 1, v[8:9]
	v_lshl_add_u64 v[12:13], v[12:13], 1, v[8:9]
	s_mov_b64 s[26:27], 0
	v_mov_b64_e32 v[14:15], v[6:7]
                                        ; implicit-def: $sgpr28_sgpr29
                                        ; implicit-def: $sgpr40_sgpr41
                                        ; implicit-def: $sgpr46_sgpr47
	s_branch .LBB1238_504
.LBB1238_503:                           ;   in Loop: Header=BB1238_504 Depth=1
	s_or_b64 exec, exec, s[46:47]
	s_and_b64 s[2:3], exec, s[44:45]
	s_or_b64 s[26:27], s[2:3], s[26:27]
	s_andn2_b64 s[2:3], s[28:29], exec
	s_and_b64 s[28:29], s[40:41], exec
	s_or_b64 s[28:29], s[2:3], s[28:29]
	s_mov_b64 s[46:47], s[42:43]
	s_andn2_b64 exec, exec, s[26:27]
	s_cbranch_execz .LBB1238_508
.LBB1238_504:                           ; =>This Inner Loop Header: Depth=1
	flat_load_ushort v38, v[12:13]
	flat_load_ushort v39, v[10:11]
	s_mov_b64 s[44:45], -1
	s_mov_b64 s[56:57], 0
	s_mov_b64 s[42:43], -1
	s_waitcnt vmcnt(0) lgkmcnt(0)
	v_cmp_nlt_f16_e64 s[2:3], v38, v39
	s_and_saveexec_b64 s[58:59], s[2:3]
; %bb.505:                              ;   in Loop: Header=BB1238_504 Depth=1
	v_cmp_ngt_f16_e64 s[2:3], v38, v39
	s_and_b64 s[42:43], s[2:3], s[46:47]
	s_orn2_b64 s[42:43], s[42:43], exec
	s_and_b64 s[56:57], s[2:3], exec
; %bb.506:                              ;   in Loop: Header=BB1238_504 Depth=1
	s_or_b64 exec, exec, s[58:59]
	s_andn2_b64 s[2:3], s[40:41], exec
	s_and_b64 s[40:41], s[42:43], exec
	s_or_b64 s[40:41], s[2:3], s[40:41]
	s_and_saveexec_b64 s[46:47], s[56:57]
	s_cbranch_execz .LBB1238_503
; %bb.507:                              ;   in Loop: Header=BB1238_504 Depth=1
	v_lshl_add_u64 v[14:15], v[14:15], 0, -1
	v_cmp_eq_u64_e64 s[2:3], 0, v[14:15]
	v_lshl_add_u64 v[10:11], v[10:11], 0, 2
	v_lshl_add_u64 v[12:13], v[12:13], 0, 2
	s_andn2_b64 s[40:41], s[40:41], exec
	s_orn2_b64 s[44:45], s[2:3], exec
	s_branch .LBB1238_503
.LBB1238_508:
	s_or_b64 exec, exec, s[26:27]
	s_xor_b64 s[2:3], s[28:29], -1
	s_andn2_b64 s[20:21], s[20:21], exec
	s_and_b64 s[2:3], s[2:3], exec
	s_or_b64 s[20:21], s[20:21], s[2:3]
.LBB1238_509:
	s_or_b64 exec, exec, s[24:25]
	s_orn2_b64 s[20:21], s[20:21], exec
.LBB1238_510:
	s_or_b64 exec, exec, s[22:23]
	v_cndmask_b32_e64 v10, v101, v102, s[20:21]
	v_cndmask_b32_e64 v11, v98, v97, s[20:21]
	v_add_u32_e32 v12, 1, v10
	v_add_u32_e32 v10, -1, v11
	v_min_u32_e32 v10, v12, v10
	v_lshl_add_u32 v10, v10, 3, v22
	ds_read_b64 v[10:11], v10
	v_cndmask_b32_e64 v103, v12, v101, s[20:21]
	v_cndmask_b32_e64 v115, v102, v12, s[20:21]
	v_cmp_lt_u32_e64 s[2:3], v103, v98
	s_mov_b64 s[22:23], -1
	s_waitcnt lgkmcnt(0)
	v_cndmask_b32_e64 v38, v11, v34, s[20:21]
	v_cndmask_b32_e64 v39, v10, v35, s[20:21]
	;; [unrolled: 1-line block ×4, first 2 shown]
	s_mov_b64 s[24:25], -1
	s_and_saveexec_b64 s[26:27], s[2:3]
	s_cbranch_execz .LBB1238_520
; %bb.511:
	v_cmp_lt_u32_e64 s[24:25], v115, v97
	s_xor_b64 s[2:3], s[0:1], -1
	s_and_b64 s[2:3], s[24:25], s[2:3]
	s_and_saveexec_b64 s[28:29], s[2:3]
	s_cbranch_execz .LBB1238_519
; %bb.512:
	v_mul_lo_u32 v12, v99, v6
	v_mul_lo_u32 v13, v100, v7
	v_mad_u64_u32 v[10:11], s[2:3], v100, v6, 0
	v_add3_u32 v11, v11, v13, v12
	v_mul_lo_u32 v14, v38, v6
	v_mul_lo_u32 v15, v39, v7
	v_mad_u64_u32 v[12:13], s[2:3], v39, v6, 0
	v_add3_u32 v13, v13, v15, v14
	v_lshl_add_u64 v[10:11], v[10:11], 1, v[8:9]
	v_lshl_add_u64 v[12:13], v[12:13], 1, v[8:9]
	s_mov_b64 s[40:41], 0
	v_mov_b64_e32 v[14:15], v[6:7]
                                        ; implicit-def: $sgpr42_sgpr43
                                        ; implicit-def: $sgpr44_sgpr45
                                        ; implicit-def: $sgpr58_sgpr59
	s_branch .LBB1238_514
.LBB1238_513:                           ;   in Loop: Header=BB1238_514 Depth=1
	s_or_b64 exec, exec, s[58:59]
	s_and_b64 s[2:3], exec, s[56:57]
	s_or_b64 s[40:41], s[2:3], s[40:41]
	s_andn2_b64 s[2:3], s[42:43], exec
	s_and_b64 s[42:43], s[44:45], exec
	s_or_b64 s[42:43], s[2:3], s[42:43]
	s_mov_b64 s[58:59], s[46:47]
	s_andn2_b64 exec, exec, s[40:41]
	s_cbranch_execz .LBB1238_518
.LBB1238_514:                           ; =>This Inner Loop Header: Depth=1
	flat_load_ushort v101, v[12:13]
	flat_load_ushort v102, v[10:11]
	s_mov_b64 s[56:57], -1
	s_mov_b64 s[60:61], 0
	s_mov_b64 s[46:47], -1
	s_waitcnt vmcnt(0) lgkmcnt(0)
	v_cmp_nlt_f16_e64 s[2:3], v101, v102
	s_and_saveexec_b64 s[62:63], s[2:3]
; %bb.515:                              ;   in Loop: Header=BB1238_514 Depth=1
	v_cmp_ngt_f16_e64 s[2:3], v101, v102
	s_and_b64 s[46:47], s[2:3], s[58:59]
	s_orn2_b64 s[46:47], s[46:47], exec
	s_and_b64 s[60:61], s[2:3], exec
; %bb.516:                              ;   in Loop: Header=BB1238_514 Depth=1
	s_or_b64 exec, exec, s[62:63]
	s_andn2_b64 s[2:3], s[44:45], exec
	s_and_b64 s[44:45], s[46:47], exec
	s_or_b64 s[44:45], s[2:3], s[44:45]
	s_and_saveexec_b64 s[58:59], s[60:61]
	s_cbranch_execz .LBB1238_513
; %bb.517:                              ;   in Loop: Header=BB1238_514 Depth=1
	v_lshl_add_u64 v[14:15], v[14:15], 0, -1
	v_cmp_eq_u64_e64 s[2:3], 0, v[14:15]
	v_lshl_add_u64 v[10:11], v[10:11], 0, 2
	v_lshl_add_u64 v[12:13], v[12:13], 0, 2
	s_andn2_b64 s[44:45], s[44:45], exec
	s_orn2_b64 s[56:57], s[2:3], exec
	s_branch .LBB1238_513
.LBB1238_518:
	s_or_b64 exec, exec, s[40:41]
	s_xor_b64 s[2:3], s[42:43], -1
	s_andn2_b64 s[24:25], s[24:25], exec
	s_and_b64 s[2:3], s[2:3], exec
	s_or_b64 s[24:25], s[24:25], s[2:3]
.LBB1238_519:
	s_or_b64 exec, exec, s[28:29]
	s_orn2_b64 s[24:25], s[24:25], exec
.LBB1238_520:
	s_or_b64 exec, exec, s[26:27]
	v_cndmask_b32_e64 v10, v103, v115, s[24:25]
	v_cndmask_b32_e64 v11, v98, v97, s[24:25]
	v_add_u32_e32 v12, 1, v10
	v_add_u32_e32 v10, -1, v11
	v_min_u32_e32 v10, v12, v10
	v_lshl_add_u32 v10, v10, 3, v22
	ds_read_b64 v[10:11], v10
	v_cndmask_b32_e64 v112, v12, v103, s[24:25]
	v_cndmask_b32_e64 v103, v115, v12, s[24:25]
	v_cmp_lt_u32_e64 s[2:3], v112, v98
	s_waitcnt lgkmcnt(0)
	v_cndmask_b32_e64 v101, v11, v38, s[24:25]
	v_cndmask_b32_e64 v102, v10, v39, s[24:25]
	;; [unrolled: 1-line block ×4, first 2 shown]
	s_and_saveexec_b64 s[26:27], s[2:3]
	s_cbranch_execz .LBB1238_530
; %bb.521:
	v_cmp_lt_u32_e64 s[22:23], v103, v97
	s_xor_b64 s[2:3], s[0:1], -1
	s_and_b64 s[2:3], s[22:23], s[2:3]
	s_and_saveexec_b64 s[28:29], s[2:3]
	s_cbranch_execz .LBB1238_529
; %bb.522:
	v_mul_lo_u32 v12, v113, v6
	v_mul_lo_u32 v13, v114, v7
	v_mad_u64_u32 v[10:11], s[2:3], v114, v6, 0
	v_add3_u32 v11, v11, v13, v12
	v_mul_lo_u32 v14, v101, v6
	v_mul_lo_u32 v15, v102, v7
	v_mad_u64_u32 v[12:13], s[2:3], v102, v6, 0
	v_add3_u32 v13, v13, v15, v14
	v_lshl_add_u64 v[10:11], v[10:11], 1, v[8:9]
	v_lshl_add_u64 v[12:13], v[12:13], 1, v[8:9]
	s_mov_b64 s[40:41], 0
	v_mov_b64_e32 v[14:15], v[6:7]
                                        ; implicit-def: $sgpr42_sgpr43
                                        ; implicit-def: $sgpr44_sgpr45
                                        ; implicit-def: $sgpr58_sgpr59
	s_branch .LBB1238_524
.LBB1238_523:                           ;   in Loop: Header=BB1238_524 Depth=1
	s_or_b64 exec, exec, s[58:59]
	s_and_b64 s[2:3], exec, s[56:57]
	s_or_b64 s[40:41], s[2:3], s[40:41]
	s_andn2_b64 s[2:3], s[42:43], exec
	s_and_b64 s[42:43], s[44:45], exec
	s_or_b64 s[42:43], s[2:3], s[42:43]
	s_mov_b64 s[58:59], s[46:47]
	s_andn2_b64 exec, exec, s[40:41]
	s_cbranch_execz .LBB1238_528
.LBB1238_524:                           ; =>This Inner Loop Header: Depth=1
	flat_load_ushort v115, v[12:13]
	flat_load_ushort v116, v[10:11]
	s_mov_b64 s[56:57], -1
	s_mov_b64 s[60:61], 0
	s_mov_b64 s[46:47], -1
	s_waitcnt vmcnt(0) lgkmcnt(0)
	v_cmp_nlt_f16_e64 s[2:3], v115, v116
	s_and_saveexec_b64 s[62:63], s[2:3]
; %bb.525:                              ;   in Loop: Header=BB1238_524 Depth=1
	v_cmp_ngt_f16_e64 s[2:3], v115, v116
	s_and_b64 s[46:47], s[2:3], s[58:59]
	s_orn2_b64 s[46:47], s[46:47], exec
	s_and_b64 s[60:61], s[2:3], exec
; %bb.526:                              ;   in Loop: Header=BB1238_524 Depth=1
	s_or_b64 exec, exec, s[62:63]
	s_andn2_b64 s[2:3], s[44:45], exec
	s_and_b64 s[44:45], s[46:47], exec
	s_or_b64 s[44:45], s[2:3], s[44:45]
	s_and_saveexec_b64 s[58:59], s[60:61]
	s_cbranch_execz .LBB1238_523
; %bb.527:                              ;   in Loop: Header=BB1238_524 Depth=1
	v_lshl_add_u64 v[14:15], v[14:15], 0, -1
	v_cmp_eq_u64_e64 s[2:3], 0, v[14:15]
	v_lshl_add_u64 v[10:11], v[10:11], 0, 2
	v_lshl_add_u64 v[12:13], v[12:13], 0, 2
	s_andn2_b64 s[44:45], s[44:45], exec
	s_orn2_b64 s[56:57], s[2:3], exec
	s_branch .LBB1238_523
.LBB1238_528:
	s_or_b64 exec, exec, s[40:41]
	s_xor_b64 s[2:3], s[42:43], -1
	s_andn2_b64 s[22:23], s[22:23], exec
	s_and_b64 s[2:3], s[2:3], exec
	s_or_b64 s[22:23], s[22:23], s[2:3]
.LBB1238_529:
	s_or_b64 exec, exec, s[28:29]
	s_orn2_b64 s[22:23], s[22:23], exec
.LBB1238_530:
	s_or_b64 exec, exec, s[26:27]
	v_cndmask_b32_e64 v15, v21, v30, s[16:17]
	v_cndmask_b32_e64 v21, v18, v20, s[6:7]
	;; [unrolled: 1-line block ×5, first 2 shown]
	v_add_u32_e32 v30, 1, v18
	v_add_u32_e32 v18, -1, v19
	v_min_u32_e32 v18, v30, v18
	v_lshl_add_u32 v18, v18, 3, v22
	v_cndmask_b32_e64 v14, v25, v31, s[16:17]
	ds_read_b64 v[24:25], v18
	v_cndmask_b32_e64 v31, v30, v112, s[22:23]
	v_cndmask_b32_e64 v13, v38, v99, s[24:25]
	;; [unrolled: 1-line block ×11, first 2 shown]
	s_waitcnt lgkmcnt(0)
	v_cndmask_b32_e64 v3, v113, v25, s[22:23]
	v_cndmask_b32_e64 v2, v114, v24, s[22:23]
	v_cmp_lt_u32_e64 s[2:3], v31, v98
	s_and_saveexec_b64 s[4:5], s[2:3]
	s_cbranch_execz .LBB1238_540
; %bb.531:
	v_cndmask_b32_e64 v35, v24, v102, s[22:23]
	v_cndmask_b32_e64 v24, v103, v30, s[22:23]
	;; [unrolled: 1-line block ×3, first 2 shown]
	v_cmp_ge_u32_e64 s[2:3], v24, v97
	s_nor_b64 s[16:17], s[2:3], s[0:1]
	s_nop 0
	v_cndmask_b32_e64 v25, v3, v34, s[2:3]
	v_cndmask_b32_e64 v24, v2, v35, s[2:3]
	s_and_saveexec_b64 s[6:7], s[16:17]
	s_cbranch_execz .LBB1238_539
; %bb.532:
	v_mul_lo_u32 v30, v3, v6
	v_mul_lo_u32 v31, v2, v7
	v_mad_u64_u32 v[24:25], s[2:3], v2, v6, 0
	v_add3_u32 v25, v25, v31, v30
	v_mul_lo_u32 v32, v34, v6
	v_mul_lo_u32 v33, v35, v7
	v_mad_u64_u32 v[30:31], s[2:3], v35, v6, 0
	v_add3_u32 v31, v31, v33, v32
	v_lshl_add_u64 v[24:25], v[24:25], 1, v[8:9]
	v_lshl_add_u64 v[30:31], v[30:31], 1, v[8:9]
	s_mov_b64 s[16:17], 0
	v_mov_b64_e32 v[32:33], v[6:7]
                                        ; implicit-def: $sgpr18_sgpr19
                                        ; implicit-def: $sgpr20_sgpr21
                                        ; implicit-def: $sgpr24_sgpr25
	s_branch .LBB1238_534
.LBB1238_533:                           ;   in Loop: Header=BB1238_534 Depth=1
	s_or_b64 exec, exec, s[24:25]
	s_and_b64 s[2:3], exec, s[2:3]
	s_or_b64 s[16:17], s[2:3], s[16:17]
	s_andn2_b64 s[2:3], s[18:19], exec
	s_and_b64 s[18:19], s[20:21], exec
	s_or_b64 s[18:19], s[2:3], s[18:19]
	s_mov_b64 s[24:25], s[22:23]
	s_andn2_b64 exec, exec, s[16:17]
	s_cbranch_execz .LBB1238_538
.LBB1238_534:                           ; =>This Inner Loop Header: Depth=1
	flat_load_ushort v36, v[30:31]
	flat_load_ushort v37, v[24:25]
	s_mov_b64 s[26:27], 0
	s_mov_b64 s[22:23], -1
	s_waitcnt vmcnt(0) lgkmcnt(0)
	v_cmp_nlt_f16_e64 s[2:3], v36, v37
	s_and_saveexec_b64 s[28:29], s[2:3]
; %bb.535:                              ;   in Loop: Header=BB1238_534 Depth=1
	v_cmp_ngt_f16_e64 s[2:3], v36, v37
	s_and_b64 s[22:23], s[2:3], s[24:25]
	s_orn2_b64 s[22:23], s[22:23], exec
	s_and_b64 s[26:27], s[2:3], exec
; %bb.536:                              ;   in Loop: Header=BB1238_534 Depth=1
	s_or_b64 exec, exec, s[28:29]
	s_andn2_b64 s[20:21], s[20:21], exec
	s_and_b64 s[24:25], s[22:23], exec
	s_mov_b64 s[2:3], -1
	s_or_b64 s[20:21], s[20:21], s[24:25]
	s_and_saveexec_b64 s[24:25], s[26:27]
	s_cbranch_execz .LBB1238_533
; %bb.537:                              ;   in Loop: Header=BB1238_534 Depth=1
	v_lshl_add_u64 v[32:33], v[32:33], 0, -1
	v_cmp_eq_u64_e64 s[2:3], 0, v[32:33]
	v_lshl_add_u64 v[24:25], v[24:25], 0, 2
	v_lshl_add_u64 v[30:31], v[30:31], 0, 2
	s_andn2_b64 s[20:21], s[20:21], exec
	s_orn2_b64 s[2:3], s[2:3], exec
	s_branch .LBB1238_533
.LBB1238_538:
	s_or_b64 exec, exec, s[16:17]
	v_cndmask_b32_e64 v25, v3, v34, s[18:19]
	v_cndmask_b32_e64 v24, v2, v35, s[18:19]
.LBB1238_539:
	s_or_b64 exec, exec, s[6:7]
	v_mov_b64_e32 v[2:3], v[24:25]
.LBB1238_540:
	s_or_b64 exec, exec, s[4:5]
.LBB1238_541:
	s_or_b64 exec, exec, s[14:15]
	; wave barrier
	ds_write_b64 v81, v[18:19]
	ds_write_b64 v82, v[20:21]
	;; [unrolled: 1-line block ×8, first 2 shown]
	v_and_b32_e32 v83, 0x380, v80
	v_or_b32_e32 v24, 64, v83
	v_min_u32_e32 v81, v71, v24
	v_add_u32_e32 v24, 64, v81
	v_min_u32_e32 v82, v71, v24
	v_and_b32_e32 v24, 0x78, v80
	v_min_u32_e32 v71, v71, v24
	v_sub_u32_e32 v24, v81, v83
	v_sub_u32_e32 v25, v82, v81
	v_sub_u32_e64 v80, v71, v25 clamp
	v_min_u32_e32 v84, v71, v24
	v_cmp_lt_u32_e64 s[2:3], v80, v84
	; wave barrier
	s_and_saveexec_b64 s[4:5], s[2:3]
	s_cbranch_execz .LBB1238_553
; %bb.542:
	v_lshlrev_b32_e32 v30, 3, v83
	v_mov_b32_e32 v31, 0
	v_lshl_add_u64 v[24:25], v[22:23], 0, v[30:31]
	v_lshlrev_b32_e32 v30, 3, v81
	v_lshl_add_u64 v[30:31], v[22:23], 0, v[30:31]
	v_lshlrev_b64 v[32:33], 1, v[6:7]
	s_mov_b64 s[6:7], 0
	s_branch .LBB1238_545
.LBB1238_543:                           ;   in Loop: Header=BB1238_545 Depth=1
	s_or_b64 exec, exec, s[16:17]
	s_and_b64 s[2:3], s[18:19], exec
.LBB1238_544:                           ;   in Loop: Header=BB1238_545 Depth=1
	s_or_b64 exec, exec, s[14:15]
	v_add_u32_e32 v25, 1, v23
	v_cndmask_b32_e64 v84, v84, v23, s[2:3]
	v_cndmask_b32_e64 v80, v25, v80, s[2:3]
	v_cmp_ge_u32_e64 s[2:3], v80, v84
	s_or_b64 s[6:7], s[2:3], s[6:7]
	s_andn2_b64 exec, exec, s[6:7]
	s_cbranch_execz .LBB1238_552
.LBB1238_545:                           ; =>This Loop Header: Depth=1
                                        ;     Child Loop BB1238_548 Depth 2
	v_add_u32_e32 v23, v84, v80
	v_lshrrev_b32_e32 v23, 1, v23
	s_mov_b64 s[2:3], 0
	s_and_saveexec_b64 s[14:15], vcc
	s_cbranch_execz .LBB1238_544
; %bb.546:                              ;   in Loop: Header=BB1238_545 Depth=1
	v_lshl_add_u32 v25, v23, 3, v24
	ds_read_b64 v[34:35], v25
	v_xad_u32 v25, v23, -1, v71
	v_lshl_add_u32 v25, v25, 3, v30
	ds_read_b64 v[36:37], v25
	s_mov_b64 s[16:17], 0
	s_waitcnt lgkmcnt(1)
	v_mul_lo_u32 v25, v32, v35
	v_mul_lo_u32 v31, v33, v34
	v_mad_u64_u32 v[34:35], s[2:3], v32, v34, v[8:9]
	v_add3_u32 v35, v31, v35, v25
	s_waitcnt lgkmcnt(0)
	v_mul_lo_u32 v25, v32, v37
	v_mul_lo_u32 v31, v33, v36
	v_mad_u64_u32 v[36:37], s[2:3], v32, v36, v[8:9]
	v_add3_u32 v37, v31, v37, v25
	v_mov_b64_e32 v[38:39], v[6:7]
                                        ; implicit-def: $sgpr18_sgpr19
                                        ; implicit-def: $sgpr20_sgpr21
                                        ; implicit-def: $sgpr26_sgpr27
	s_branch .LBB1238_548
.LBB1238_547:                           ;   in Loop: Header=BB1238_548 Depth=2
	s_or_b64 exec, exec, s[26:27]
	s_and_b64 s[2:3], exec, s[24:25]
	s_or_b64 s[16:17], s[2:3], s[16:17]
	s_andn2_b64 s[2:3], s[18:19], exec
	s_and_b64 s[18:19], s[20:21], exec
	s_or_b64 s[18:19], s[2:3], s[18:19]
	s_mov_b64 s[26:27], s[22:23]
	s_andn2_b64 exec, exec, s[16:17]
	s_cbranch_execz .LBB1238_543
.LBB1238_548:                           ;   Parent Loop BB1238_545 Depth=1
                                        ; =>  This Inner Loop Header: Depth=2
	flat_load_ushort v25, v[36:37]
	flat_load_ushort v31, v[34:35]
	s_mov_b64 s[24:25], -1
	s_mov_b64 s[28:29], 0
	s_mov_b64 s[22:23], -1
	s_waitcnt vmcnt(0) lgkmcnt(0)
	v_cmp_nlt_f16_e64 s[2:3], v25, v31
	s_and_saveexec_b64 s[40:41], s[2:3]
; %bb.549:                              ;   in Loop: Header=BB1238_548 Depth=2
	v_cmp_ngt_f16_e64 s[2:3], v25, v31
	s_and_b64 s[22:23], s[2:3], s[26:27]
	s_orn2_b64 s[22:23], s[22:23], exec
	s_and_b64 s[28:29], s[2:3], exec
; %bb.550:                              ;   in Loop: Header=BB1238_548 Depth=2
	s_or_b64 exec, exec, s[40:41]
	s_andn2_b64 s[2:3], s[20:21], exec
	s_and_b64 s[20:21], s[22:23], exec
	s_or_b64 s[20:21], s[2:3], s[20:21]
	s_and_saveexec_b64 s[26:27], s[28:29]
	s_cbranch_execz .LBB1238_547
; %bb.551:                              ;   in Loop: Header=BB1238_548 Depth=2
	v_lshl_add_u64 v[38:39], v[38:39], 0, -1
	v_cmp_eq_u64_e64 s[2:3], 0, v[38:39]
	v_lshl_add_u64 v[34:35], v[34:35], 0, 2
	v_lshl_add_u64 v[36:37], v[36:37], 0, 2
	s_andn2_b64 s[20:21], s[20:21], exec
	s_orn2_b64 s[24:25], s[2:3], exec
	s_branch .LBB1238_547
.LBB1238_552:
	s_or_b64 exec, exec, s[6:7]
.LBB1238_553:
	s_or_b64 exec, exec, s[4:5]
	v_add_u32_e32 v23, v81, v71
	v_add_u32_e32 v24, v80, v83
	v_sub_u32_e32 v25, v23, v80
	v_cmp_le_u32_e64 s[2:3], v24, v81
	v_cmp_le_u32_e64 s[4:5], v25, v82
	s_or_b64 s[2:3], s[2:3], s[4:5]
	s_and_saveexec_b64 s[14:15], s[2:3]
	s_cbranch_execz .LBB1238_637
; %bb.554:
	v_cmp_ge_u32_e64 s[2:3], v24, v81
	v_cmp_lt_u32_e64 s[4:5], v24, v81
                                        ; implicit-def: $vgpr0_vgpr1
	s_and_saveexec_b64 s[6:7], s[4:5]
; %bb.555:
	v_lshl_add_u32 v0, v24, 3, v22
	ds_read_b64 v[0:1], v0
; %bb.556:
	s_or_b64 exec, exec, s[6:7]
	v_cmp_ge_u32_e64 s[4:5], v25, v82
	v_cmp_lt_u32_e64 s[6:7], v25, v82
                                        ; implicit-def: $vgpr2_vgpr3
	s_and_saveexec_b64 s[16:17], s[6:7]
; %bb.557:
	v_lshl_add_u32 v2, v25, 3, v22
	ds_read_b64 v[2:3], v2
; %bb.558:
	s_or_b64 exec, exec, s[16:17]
	s_or_b64 s[6:7], s[2:3], s[4:5]
	s_xor_b64 s[2:3], s[2:3], -1
	s_nor_b64 s[16:17], s[6:7], s[0:1]
	s_or_b64 s[4:5], s[4:5], s[2:3]
	s_and_saveexec_b64 s[6:7], s[16:17]
	s_cbranch_execz .LBB1238_566
; %bb.559:
	s_waitcnt lgkmcnt(0)
	v_mul_lo_u32 v12, v1, v6
	v_mul_lo_u32 v13, v0, v7
	v_mad_u64_u32 v[10:11], s[2:3], v0, v6, 0
	v_add3_u32 v11, v11, v13, v12
	v_mul_lo_u32 v14, v3, v6
	v_mul_lo_u32 v15, v2, v7
	v_mad_u64_u32 v[12:13], s[2:3], v2, v6, 0
	v_add3_u32 v13, v13, v15, v14
	v_lshl_add_u64 v[10:11], v[10:11], 1, v[8:9]
	v_lshl_add_u64 v[12:13], v[12:13], 1, v[8:9]
	s_mov_b64 s[16:17], 0
	v_mov_b64_e32 v[14:15], v[6:7]
                                        ; implicit-def: $sgpr18_sgpr19
                                        ; implicit-def: $sgpr20_sgpr21
                                        ; implicit-def: $sgpr26_sgpr27
	s_branch .LBB1238_561
.LBB1238_560:                           ;   in Loop: Header=BB1238_561 Depth=1
	s_or_b64 exec, exec, s[26:27]
	s_and_b64 s[2:3], exec, s[24:25]
	s_or_b64 s[16:17], s[2:3], s[16:17]
	s_andn2_b64 s[2:3], s[18:19], exec
	s_and_b64 s[18:19], s[20:21], exec
	s_or_b64 s[18:19], s[2:3], s[18:19]
	s_mov_b64 s[26:27], s[22:23]
	s_andn2_b64 exec, exec, s[16:17]
	s_cbranch_execz .LBB1238_565
.LBB1238_561:                           ; =>This Inner Loop Header: Depth=1
	flat_load_ushort v16, v[12:13]
	flat_load_ushort v17, v[10:11]
	s_mov_b64 s[24:25], -1
	s_mov_b64 s[28:29], 0
	s_mov_b64 s[22:23], -1
	s_waitcnt vmcnt(0) lgkmcnt(0)
	v_cmp_nlt_f16_e64 s[2:3], v16, v17
	s_and_saveexec_b64 s[40:41], s[2:3]
; %bb.562:                              ;   in Loop: Header=BB1238_561 Depth=1
	v_cmp_ngt_f16_e64 s[2:3], v16, v17
	s_and_b64 s[22:23], s[2:3], s[26:27]
	s_orn2_b64 s[22:23], s[22:23], exec
	s_and_b64 s[28:29], s[2:3], exec
; %bb.563:                              ;   in Loop: Header=BB1238_561 Depth=1
	s_or_b64 exec, exec, s[40:41]
	s_andn2_b64 s[2:3], s[20:21], exec
	s_and_b64 s[20:21], s[22:23], exec
	s_or_b64 s[20:21], s[2:3], s[20:21]
	s_and_saveexec_b64 s[26:27], s[28:29]
	s_cbranch_execz .LBB1238_560
; %bb.564:                              ;   in Loop: Header=BB1238_561 Depth=1
	v_lshl_add_u64 v[14:15], v[14:15], 0, -1
	v_cmp_eq_u64_e64 s[2:3], 0, v[14:15]
	v_lshl_add_u64 v[10:11], v[10:11], 0, 2
	v_lshl_add_u64 v[12:13], v[12:13], 0, 2
	s_andn2_b64 s[20:21], s[20:21], exec
	s_orn2_b64 s[24:25], s[2:3], exec
	s_branch .LBB1238_560
.LBB1238_565:
	s_or_b64 exec, exec, s[16:17]
	s_xor_b64 s[2:3], s[18:19], -1
	s_andn2_b64 s[4:5], s[4:5], exec
	s_and_b64 s[2:3], s[2:3], exec
	s_or_b64 s[4:5], s[4:5], s[2:3]
.LBB1238_566:
	s_or_b64 exec, exec, s[6:7]
	v_cndmask_b32_e64 v10, v25, v24, s[4:5]
	v_cndmask_b32_e64 v11, v82, v81, s[4:5]
	v_add_u32_e32 v12, 1, v10
	v_add_u32_e32 v10, -1, v11
	v_min_u32_e32 v10, v12, v10
	v_lshl_add_u32 v10, v10, 3, v22
	ds_read_b64 v[10:11], v10
	v_cndmask_b32_e64 v16, v12, v25, s[4:5]
	v_cndmask_b32_e64 v17, v24, v12, s[4:5]
	v_cmp_lt_u32_e64 s[2:3], v16, v82
	s_mov_b64 s[16:17], -1
	s_waitcnt lgkmcnt(0)
	v_cndmask_b32_e64 v18, v11, v3, s[4:5]
	v_cndmask_b32_e64 v19, v10, v2, s[4:5]
	;; [unrolled: 1-line block ×4, first 2 shown]
	s_mov_b64 s[6:7], -1
	s_and_saveexec_b64 s[18:19], s[2:3]
	s_cbranch_execz .LBB1238_576
; %bb.567:
	v_cmp_lt_u32_e64 s[6:7], v17, v81
	s_xor_b64 s[2:3], s[0:1], -1
	s_and_b64 s[2:3], s[6:7], s[2:3]
	s_and_saveexec_b64 s[20:21], s[2:3]
	s_cbranch_execz .LBB1238_575
; %bb.568:
	v_mul_lo_u32 v12, v20, v6
	v_mul_lo_u32 v13, v23, v7
	v_mad_u64_u32 v[10:11], s[2:3], v23, v6, 0
	v_add3_u32 v11, v11, v13, v12
	v_mul_lo_u32 v14, v18, v6
	v_mul_lo_u32 v15, v19, v7
	v_mad_u64_u32 v[12:13], s[2:3], v19, v6, 0
	v_add3_u32 v13, v13, v15, v14
	v_lshl_add_u64 v[10:11], v[10:11], 1, v[8:9]
	v_lshl_add_u64 v[12:13], v[12:13], 1, v[8:9]
	s_mov_b64 s[22:23], 0
	v_mov_b64_e32 v[14:15], v[6:7]
                                        ; implicit-def: $sgpr24_sgpr25
                                        ; implicit-def: $sgpr26_sgpr27
                                        ; implicit-def: $sgpr42_sgpr43
	s_branch .LBB1238_570
.LBB1238_569:                           ;   in Loop: Header=BB1238_570 Depth=1
	s_or_b64 exec, exec, s[42:43]
	s_and_b64 s[2:3], exec, s[40:41]
	s_or_b64 s[22:23], s[2:3], s[22:23]
	s_andn2_b64 s[2:3], s[24:25], exec
	s_and_b64 s[24:25], s[26:27], exec
	s_or_b64 s[24:25], s[2:3], s[24:25]
	s_mov_b64 s[42:43], s[28:29]
	s_andn2_b64 exec, exec, s[22:23]
	s_cbranch_execz .LBB1238_574
.LBB1238_570:                           ; =>This Inner Loop Header: Depth=1
	flat_load_ushort v21, v[12:13]
	flat_load_ushort v24, v[10:11]
	s_mov_b64 s[40:41], -1
	s_mov_b64 s[44:45], 0
	s_mov_b64 s[28:29], -1
	s_waitcnt vmcnt(0) lgkmcnt(0)
	v_cmp_nlt_f16_e64 s[2:3], v21, v24
	s_and_saveexec_b64 s[46:47], s[2:3]
; %bb.571:                              ;   in Loop: Header=BB1238_570 Depth=1
	v_cmp_ngt_f16_e64 s[2:3], v21, v24
	s_and_b64 s[28:29], s[2:3], s[42:43]
	s_orn2_b64 s[28:29], s[28:29], exec
	s_and_b64 s[44:45], s[2:3], exec
; %bb.572:                              ;   in Loop: Header=BB1238_570 Depth=1
	s_or_b64 exec, exec, s[46:47]
	s_andn2_b64 s[2:3], s[26:27], exec
	s_and_b64 s[26:27], s[28:29], exec
	s_or_b64 s[26:27], s[2:3], s[26:27]
	s_and_saveexec_b64 s[42:43], s[44:45]
	s_cbranch_execz .LBB1238_569
; %bb.573:                              ;   in Loop: Header=BB1238_570 Depth=1
	v_lshl_add_u64 v[14:15], v[14:15], 0, -1
	v_cmp_eq_u64_e64 s[2:3], 0, v[14:15]
	v_lshl_add_u64 v[10:11], v[10:11], 0, 2
	v_lshl_add_u64 v[12:13], v[12:13], 0, 2
	s_andn2_b64 s[26:27], s[26:27], exec
	s_orn2_b64 s[40:41], s[2:3], exec
	s_branch .LBB1238_569
.LBB1238_574:
	s_or_b64 exec, exec, s[22:23]
	s_xor_b64 s[2:3], s[24:25], -1
	s_andn2_b64 s[6:7], s[6:7], exec
	s_and_b64 s[2:3], s[2:3], exec
	s_or_b64 s[6:7], s[6:7], s[2:3]
.LBB1238_575:
	s_or_b64 exec, exec, s[20:21]
	s_orn2_b64 s[6:7], s[6:7], exec
.LBB1238_576:
	s_or_b64 exec, exec, s[18:19]
	v_cndmask_b32_e64 v10, v16, v17, s[6:7]
	v_cndmask_b32_e64 v11, v82, v81, s[6:7]
	v_add_u32_e32 v12, 1, v10
	v_add_u32_e32 v10, -1, v11
	v_min_u32_e32 v10, v12, v10
	v_lshl_add_u32 v10, v10, 3, v22
	ds_read_b64 v[10:11], v10
	v_cndmask_b32_e64 v33, v12, v16, s[6:7]
	v_cndmask_b32_e64 v34, v17, v12, s[6:7]
	v_cmp_lt_u32_e64 s[2:3], v33, v82
	s_waitcnt lgkmcnt(0)
	v_cndmask_b32_e64 v21, v11, v18, s[6:7]
	v_cndmask_b32_e64 v24, v10, v19, s[6:7]
	;; [unrolled: 1-line block ×4, first 2 shown]
	s_and_saveexec_b64 s[18:19], s[2:3]
	s_cbranch_execz .LBB1238_586
; %bb.577:
	v_cmp_lt_u32_e64 s[16:17], v34, v81
	s_xor_b64 s[2:3], s[0:1], -1
	s_and_b64 s[2:3], s[16:17], s[2:3]
	s_and_saveexec_b64 s[20:21], s[2:3]
	s_cbranch_execz .LBB1238_585
; %bb.578:
	v_mul_lo_u32 v12, v25, v6
	v_mul_lo_u32 v13, v30, v7
	v_mad_u64_u32 v[10:11], s[2:3], v30, v6, 0
	v_add3_u32 v11, v11, v13, v12
	v_mul_lo_u32 v14, v21, v6
	v_mul_lo_u32 v15, v24, v7
	v_mad_u64_u32 v[12:13], s[2:3], v24, v6, 0
	v_add3_u32 v13, v13, v15, v14
	v_lshl_add_u64 v[10:11], v[10:11], 1, v[8:9]
	v_lshl_add_u64 v[12:13], v[12:13], 1, v[8:9]
	s_mov_b64 s[22:23], 0
	v_mov_b64_e32 v[14:15], v[6:7]
                                        ; implicit-def: $sgpr24_sgpr25
                                        ; implicit-def: $sgpr26_sgpr27
                                        ; implicit-def: $sgpr42_sgpr43
	s_branch .LBB1238_580
.LBB1238_579:                           ;   in Loop: Header=BB1238_580 Depth=1
	s_or_b64 exec, exec, s[42:43]
	s_and_b64 s[2:3], exec, s[40:41]
	s_or_b64 s[22:23], s[2:3], s[22:23]
	s_andn2_b64 s[2:3], s[24:25], exec
	s_and_b64 s[24:25], s[26:27], exec
	s_or_b64 s[24:25], s[2:3], s[24:25]
	s_mov_b64 s[42:43], s[28:29]
	s_andn2_b64 exec, exec, s[22:23]
	s_cbranch_execz .LBB1238_584
.LBB1238_580:                           ; =>This Inner Loop Header: Depth=1
	flat_load_ushort v16, v[12:13]
	flat_load_ushort v17, v[10:11]
	s_mov_b64 s[40:41], -1
	s_mov_b64 s[44:45], 0
	s_mov_b64 s[28:29], -1
	s_waitcnt vmcnt(0) lgkmcnt(0)
	v_cmp_nlt_f16_e64 s[2:3], v16, v17
	s_and_saveexec_b64 s[46:47], s[2:3]
; %bb.581:                              ;   in Loop: Header=BB1238_580 Depth=1
	v_cmp_ngt_f16_e64 s[2:3], v16, v17
	s_and_b64 s[28:29], s[2:3], s[42:43]
	s_orn2_b64 s[28:29], s[28:29], exec
	s_and_b64 s[44:45], s[2:3], exec
; %bb.582:                              ;   in Loop: Header=BB1238_580 Depth=1
	s_or_b64 exec, exec, s[46:47]
	s_andn2_b64 s[2:3], s[26:27], exec
	s_and_b64 s[26:27], s[28:29], exec
	s_or_b64 s[26:27], s[2:3], s[26:27]
	s_and_saveexec_b64 s[42:43], s[44:45]
	s_cbranch_execz .LBB1238_579
; %bb.583:                              ;   in Loop: Header=BB1238_580 Depth=1
	v_lshl_add_u64 v[14:15], v[14:15], 0, -1
	v_cmp_eq_u64_e64 s[2:3], 0, v[14:15]
	v_lshl_add_u64 v[10:11], v[10:11], 0, 2
	v_lshl_add_u64 v[12:13], v[12:13], 0, 2
	s_andn2_b64 s[26:27], s[26:27], exec
	s_orn2_b64 s[40:41], s[2:3], exec
	s_branch .LBB1238_579
.LBB1238_584:
	s_or_b64 exec, exec, s[22:23]
	s_xor_b64 s[2:3], s[24:25], -1
	s_andn2_b64 s[16:17], s[16:17], exec
	s_and_b64 s[2:3], s[2:3], exec
	s_or_b64 s[16:17], s[16:17], s[2:3]
.LBB1238_585:
	s_or_b64 exec, exec, s[20:21]
	s_orn2_b64 s[16:17], s[16:17], exec
.LBB1238_586:
	s_or_b64 exec, exec, s[18:19]
	v_cndmask_b32_e64 v10, v33, v34, s[16:17]
	v_cndmask_b32_e64 v11, v82, v81, s[16:17]
	v_add_u32_e32 v12, 1, v10
	v_add_u32_e32 v10, -1, v11
	v_min_u32_e32 v10, v12, v10
	v_lshl_add_u32 v10, v10, 3, v22
	ds_read_b64 v[10:11], v10
	v_cndmask_b32_e64 v37, v12, v33, s[16:17]
	v_cndmask_b32_e64 v38, v34, v12, s[16:17]
	v_cmp_lt_u32_e64 s[2:3], v37, v82
	s_mov_b64 s[20:21], -1
	s_waitcnt lgkmcnt(0)
	v_cndmask_b32_e64 v16, v11, v21, s[16:17]
	v_cndmask_b32_e64 v31, v10, v24, s[16:17]
	;; [unrolled: 1-line block ×4, first 2 shown]
	s_mov_b64 s[18:19], -1
	s_and_saveexec_b64 s[22:23], s[2:3]
	s_cbranch_execz .LBB1238_596
; %bb.587:
	v_cmp_lt_u32_e64 s[18:19], v38, v81
	s_xor_b64 s[2:3], s[0:1], -1
	s_and_b64 s[2:3], s[18:19], s[2:3]
	s_and_saveexec_b64 s[24:25], s[2:3]
	s_cbranch_execz .LBB1238_595
; %bb.588:
	v_mul_lo_u32 v12, v17, v6
	v_mul_lo_u32 v13, v32, v7
	v_mad_u64_u32 v[10:11], s[2:3], v32, v6, 0
	v_add3_u32 v11, v11, v13, v12
	v_mul_lo_u32 v14, v16, v6
	v_mul_lo_u32 v15, v31, v7
	v_mad_u64_u32 v[12:13], s[2:3], v31, v6, 0
	v_add3_u32 v13, v13, v15, v14
	v_lshl_add_u64 v[10:11], v[10:11], 1, v[8:9]
	v_lshl_add_u64 v[12:13], v[12:13], 1, v[8:9]
	s_mov_b64 s[26:27], 0
	v_mov_b64_e32 v[14:15], v[6:7]
                                        ; implicit-def: $sgpr28_sgpr29
                                        ; implicit-def: $sgpr40_sgpr41
                                        ; implicit-def: $sgpr46_sgpr47
	s_branch .LBB1238_590
.LBB1238_589:                           ;   in Loop: Header=BB1238_590 Depth=1
	s_or_b64 exec, exec, s[46:47]
	s_and_b64 s[2:3], exec, s[44:45]
	s_or_b64 s[26:27], s[2:3], s[26:27]
	s_andn2_b64 s[2:3], s[28:29], exec
	s_and_b64 s[28:29], s[40:41], exec
	s_or_b64 s[28:29], s[2:3], s[28:29]
	s_mov_b64 s[46:47], s[42:43]
	s_andn2_b64 exec, exec, s[26:27]
	s_cbranch_execz .LBB1238_594
.LBB1238_590:                           ; =>This Inner Loop Header: Depth=1
	flat_load_ushort v33, v[12:13]
	flat_load_ushort v34, v[10:11]
	s_mov_b64 s[44:45], -1
	s_mov_b64 s[56:57], 0
	s_mov_b64 s[42:43], -1
	s_waitcnt vmcnt(0) lgkmcnt(0)
	v_cmp_nlt_f16_e64 s[2:3], v33, v34
	s_and_saveexec_b64 s[58:59], s[2:3]
; %bb.591:                              ;   in Loop: Header=BB1238_590 Depth=1
	v_cmp_ngt_f16_e64 s[2:3], v33, v34
	s_and_b64 s[42:43], s[2:3], s[46:47]
	s_orn2_b64 s[42:43], s[42:43], exec
	s_and_b64 s[56:57], s[2:3], exec
; %bb.592:                              ;   in Loop: Header=BB1238_590 Depth=1
	s_or_b64 exec, exec, s[58:59]
	s_andn2_b64 s[2:3], s[40:41], exec
	s_and_b64 s[40:41], s[42:43], exec
	s_or_b64 s[40:41], s[2:3], s[40:41]
	s_and_saveexec_b64 s[46:47], s[56:57]
	s_cbranch_execz .LBB1238_589
; %bb.593:                              ;   in Loop: Header=BB1238_590 Depth=1
	v_lshl_add_u64 v[14:15], v[14:15], 0, -1
	v_cmp_eq_u64_e64 s[2:3], 0, v[14:15]
	v_lshl_add_u64 v[10:11], v[10:11], 0, 2
	v_lshl_add_u64 v[12:13], v[12:13], 0, 2
	s_andn2_b64 s[40:41], s[40:41], exec
	s_orn2_b64 s[44:45], s[2:3], exec
	s_branch .LBB1238_589
.LBB1238_594:
	s_or_b64 exec, exec, s[26:27]
	s_xor_b64 s[2:3], s[28:29], -1
	s_andn2_b64 s[18:19], s[18:19], exec
	s_and_b64 s[2:3], s[2:3], exec
	s_or_b64 s[18:19], s[18:19], s[2:3]
.LBB1238_595:
	s_or_b64 exec, exec, s[24:25]
	s_orn2_b64 s[18:19], s[18:19], exec
.LBB1238_596:
	s_or_b64 exec, exec, s[22:23]
	v_cndmask_b32_e64 v10, v37, v38, s[18:19]
	v_cndmask_b32_e64 v11, v82, v81, s[18:19]
	v_add_u32_e32 v12, 1, v10
	v_add_u32_e32 v10, -1, v11
	v_min_u32_e32 v10, v12, v10
	v_lshl_add_u32 v10, v10, 3, v22
	ds_read_b64 v[10:11], v10
	v_cndmask_b32_e64 v80, v12, v37, s[18:19]
	v_cndmask_b32_e64 v83, v38, v12, s[18:19]
	v_cmp_lt_u32_e64 s[2:3], v80, v82
	s_waitcnt lgkmcnt(0)
	v_cndmask_b32_e64 v33, v11, v16, s[18:19]
	v_cndmask_b32_e64 v34, v10, v31, s[18:19]
	;; [unrolled: 1-line block ×4, first 2 shown]
	s_and_saveexec_b64 s[22:23], s[2:3]
	s_cbranch_execz .LBB1238_606
; %bb.597:
	v_cmp_lt_u32_e64 s[20:21], v83, v81
	s_xor_b64 s[2:3], s[0:1], -1
	s_and_b64 s[2:3], s[20:21], s[2:3]
	s_and_saveexec_b64 s[24:25], s[2:3]
	s_cbranch_execz .LBB1238_605
; %bb.598:
	v_mul_lo_u32 v12, v35, v6
	v_mul_lo_u32 v13, v36, v7
	v_mad_u64_u32 v[10:11], s[2:3], v36, v6, 0
	v_add3_u32 v11, v11, v13, v12
	v_mul_lo_u32 v14, v33, v6
	v_mul_lo_u32 v15, v34, v7
	v_mad_u64_u32 v[12:13], s[2:3], v34, v6, 0
	v_add3_u32 v13, v13, v15, v14
	v_lshl_add_u64 v[10:11], v[10:11], 1, v[8:9]
	v_lshl_add_u64 v[12:13], v[12:13], 1, v[8:9]
	s_mov_b64 s[26:27], 0
	v_mov_b64_e32 v[14:15], v[6:7]
                                        ; implicit-def: $sgpr28_sgpr29
                                        ; implicit-def: $sgpr40_sgpr41
                                        ; implicit-def: $sgpr46_sgpr47
	s_branch .LBB1238_600
.LBB1238_599:                           ;   in Loop: Header=BB1238_600 Depth=1
	s_or_b64 exec, exec, s[46:47]
	s_and_b64 s[2:3], exec, s[44:45]
	s_or_b64 s[26:27], s[2:3], s[26:27]
	s_andn2_b64 s[2:3], s[28:29], exec
	s_and_b64 s[28:29], s[40:41], exec
	s_or_b64 s[28:29], s[2:3], s[28:29]
	s_mov_b64 s[46:47], s[42:43]
	s_andn2_b64 exec, exec, s[26:27]
	s_cbranch_execz .LBB1238_604
.LBB1238_600:                           ; =>This Inner Loop Header: Depth=1
	flat_load_ushort v37, v[12:13]
	flat_load_ushort v38, v[10:11]
	s_mov_b64 s[44:45], -1
	s_mov_b64 s[56:57], 0
	s_mov_b64 s[42:43], -1
	s_waitcnt vmcnt(0) lgkmcnt(0)
	v_cmp_nlt_f16_e64 s[2:3], v37, v38
	s_and_saveexec_b64 s[58:59], s[2:3]
; %bb.601:                              ;   in Loop: Header=BB1238_600 Depth=1
	v_cmp_ngt_f16_e64 s[2:3], v37, v38
	s_and_b64 s[42:43], s[2:3], s[46:47]
	s_orn2_b64 s[42:43], s[42:43], exec
	s_and_b64 s[56:57], s[2:3], exec
; %bb.602:                              ;   in Loop: Header=BB1238_600 Depth=1
	s_or_b64 exec, exec, s[58:59]
	s_andn2_b64 s[2:3], s[40:41], exec
	s_and_b64 s[40:41], s[42:43], exec
	s_or_b64 s[40:41], s[2:3], s[40:41]
	s_and_saveexec_b64 s[46:47], s[56:57]
	s_cbranch_execz .LBB1238_599
; %bb.603:                              ;   in Loop: Header=BB1238_600 Depth=1
	v_lshl_add_u64 v[14:15], v[14:15], 0, -1
	v_cmp_eq_u64_e64 s[2:3], 0, v[14:15]
	v_lshl_add_u64 v[10:11], v[10:11], 0, 2
	v_lshl_add_u64 v[12:13], v[12:13], 0, 2
	s_andn2_b64 s[40:41], s[40:41], exec
	s_orn2_b64 s[44:45], s[2:3], exec
	s_branch .LBB1238_599
.LBB1238_604:
	s_or_b64 exec, exec, s[26:27]
	s_xor_b64 s[2:3], s[28:29], -1
	s_andn2_b64 s[20:21], s[20:21], exec
	s_and_b64 s[2:3], s[2:3], exec
	s_or_b64 s[20:21], s[20:21], s[2:3]
.LBB1238_605:
	s_or_b64 exec, exec, s[24:25]
	s_orn2_b64 s[20:21], s[20:21], exec
.LBB1238_606:
	s_or_b64 exec, exec, s[22:23]
	v_cndmask_b32_e64 v10, v80, v83, s[20:21]
	v_cndmask_b32_e64 v11, v82, v81, s[20:21]
	v_add_u32_e32 v12, 1, v10
	v_add_u32_e32 v10, -1, v11
	v_min_u32_e32 v10, v12, v10
	v_lshl_add_u32 v10, v10, 3, v22
	ds_read_b64 v[10:11], v10
	v_cndmask_b32_e64 v84, v12, v80, s[20:21]
	v_cndmask_b32_e64 v96, v83, v12, s[20:21]
	v_cmp_lt_u32_e64 s[2:3], v84, v82
	s_mov_b64 s[22:23], -1
	s_waitcnt lgkmcnt(0)
	v_cndmask_b32_e64 v37, v11, v33, s[20:21]
	v_cndmask_b32_e64 v38, v10, v34, s[20:21]
	;; [unrolled: 1-line block ×4, first 2 shown]
	s_mov_b64 s[24:25], -1
	s_and_saveexec_b64 s[26:27], s[2:3]
	s_cbranch_execz .LBB1238_616
; %bb.607:
	v_cmp_lt_u32_e64 s[24:25], v96, v81
	s_xor_b64 s[2:3], s[0:1], -1
	s_and_b64 s[2:3], s[24:25], s[2:3]
	s_and_saveexec_b64 s[28:29], s[2:3]
	s_cbranch_execz .LBB1238_615
; %bb.608:
	v_mul_lo_u32 v12, v39, v6
	v_mul_lo_u32 v13, v71, v7
	v_mad_u64_u32 v[10:11], s[2:3], v71, v6, 0
	v_add3_u32 v11, v11, v13, v12
	v_mul_lo_u32 v14, v37, v6
	v_mul_lo_u32 v15, v38, v7
	v_mad_u64_u32 v[12:13], s[2:3], v38, v6, 0
	v_add3_u32 v13, v13, v15, v14
	v_lshl_add_u64 v[10:11], v[10:11], 1, v[8:9]
	v_lshl_add_u64 v[12:13], v[12:13], 1, v[8:9]
	s_mov_b64 s[40:41], 0
	v_mov_b64_e32 v[14:15], v[6:7]
                                        ; implicit-def: $sgpr42_sgpr43
                                        ; implicit-def: $sgpr44_sgpr45
                                        ; implicit-def: $sgpr58_sgpr59
	s_branch .LBB1238_610
.LBB1238_609:                           ;   in Loop: Header=BB1238_610 Depth=1
	s_or_b64 exec, exec, s[58:59]
	s_and_b64 s[2:3], exec, s[56:57]
	s_or_b64 s[40:41], s[2:3], s[40:41]
	s_andn2_b64 s[2:3], s[42:43], exec
	s_and_b64 s[42:43], s[44:45], exec
	s_or_b64 s[42:43], s[2:3], s[42:43]
	s_mov_b64 s[58:59], s[46:47]
	s_andn2_b64 exec, exec, s[40:41]
	s_cbranch_execz .LBB1238_614
.LBB1238_610:                           ; =>This Inner Loop Header: Depth=1
	flat_load_ushort v80, v[12:13]
	flat_load_ushort v83, v[10:11]
	s_mov_b64 s[56:57], -1
	s_mov_b64 s[60:61], 0
	s_mov_b64 s[46:47], -1
	s_waitcnt vmcnt(0) lgkmcnt(0)
	v_cmp_nlt_f16_e64 s[2:3], v80, v83
	s_and_saveexec_b64 s[62:63], s[2:3]
; %bb.611:                              ;   in Loop: Header=BB1238_610 Depth=1
	v_cmp_ngt_f16_e64 s[2:3], v80, v83
	s_and_b64 s[46:47], s[2:3], s[58:59]
	s_orn2_b64 s[46:47], s[46:47], exec
	s_and_b64 s[60:61], s[2:3], exec
; %bb.612:                              ;   in Loop: Header=BB1238_610 Depth=1
	s_or_b64 exec, exec, s[62:63]
	s_andn2_b64 s[2:3], s[44:45], exec
	s_and_b64 s[44:45], s[46:47], exec
	s_or_b64 s[44:45], s[2:3], s[44:45]
	s_and_saveexec_b64 s[58:59], s[60:61]
	s_cbranch_execz .LBB1238_609
; %bb.613:                              ;   in Loop: Header=BB1238_610 Depth=1
	v_lshl_add_u64 v[14:15], v[14:15], 0, -1
	v_cmp_eq_u64_e64 s[2:3], 0, v[14:15]
	v_lshl_add_u64 v[10:11], v[10:11], 0, 2
	v_lshl_add_u64 v[12:13], v[12:13], 0, 2
	s_andn2_b64 s[44:45], s[44:45], exec
	s_orn2_b64 s[56:57], s[2:3], exec
	s_branch .LBB1238_609
.LBB1238_614:
	s_or_b64 exec, exec, s[40:41]
	s_xor_b64 s[2:3], s[42:43], -1
	s_andn2_b64 s[24:25], s[24:25], exec
	s_and_b64 s[2:3], s[2:3], exec
	s_or_b64 s[24:25], s[24:25], s[2:3]
.LBB1238_615:
	s_or_b64 exec, exec, s[28:29]
	s_orn2_b64 s[24:25], s[24:25], exec
.LBB1238_616:
	s_or_b64 exec, exec, s[26:27]
	v_cndmask_b32_e64 v10, v84, v96, s[24:25]
	v_cndmask_b32_e64 v11, v82, v81, s[24:25]
	v_add_u32_e32 v12, 1, v10
	v_add_u32_e32 v10, -1, v11
	v_min_u32_e32 v10, v12, v10
	v_lshl_add_u32 v10, v10, 3, v22
	ds_read_b64 v[10:11], v10
	v_cndmask_b32_e64 v85, v12, v84, s[24:25]
	v_cndmask_b32_e64 v84, v96, v12, s[24:25]
	v_cmp_lt_u32_e64 s[2:3], v85, v82
	s_waitcnt lgkmcnt(0)
	v_cndmask_b32_e64 v80, v11, v37, s[24:25]
	v_cndmask_b32_e64 v83, v10, v38, s[24:25]
	;; [unrolled: 1-line block ×4, first 2 shown]
	s_and_saveexec_b64 s[26:27], s[2:3]
	s_cbranch_execz .LBB1238_626
; %bb.617:
	v_cmp_lt_u32_e64 s[22:23], v84, v81
	s_xor_b64 s[2:3], s[0:1], -1
	s_and_b64 s[2:3], s[22:23], s[2:3]
	s_and_saveexec_b64 s[28:29], s[2:3]
	s_cbranch_execz .LBB1238_625
; %bb.618:
	v_mul_lo_u32 v12, v86, v6
	v_mul_lo_u32 v13, v87, v7
	v_mad_u64_u32 v[10:11], s[2:3], v87, v6, 0
	v_add3_u32 v11, v11, v13, v12
	v_mul_lo_u32 v14, v80, v6
	v_mul_lo_u32 v15, v83, v7
	v_mad_u64_u32 v[12:13], s[2:3], v83, v6, 0
	v_add3_u32 v13, v13, v15, v14
	v_lshl_add_u64 v[10:11], v[10:11], 1, v[8:9]
	v_lshl_add_u64 v[12:13], v[12:13], 1, v[8:9]
	s_mov_b64 s[40:41], 0
	v_mov_b64_e32 v[14:15], v[6:7]
                                        ; implicit-def: $sgpr42_sgpr43
                                        ; implicit-def: $sgpr44_sgpr45
                                        ; implicit-def: $sgpr58_sgpr59
	s_branch .LBB1238_620
.LBB1238_619:                           ;   in Loop: Header=BB1238_620 Depth=1
	s_or_b64 exec, exec, s[58:59]
	s_and_b64 s[2:3], exec, s[56:57]
	s_or_b64 s[40:41], s[2:3], s[40:41]
	s_andn2_b64 s[2:3], s[42:43], exec
	s_and_b64 s[42:43], s[44:45], exec
	s_or_b64 s[42:43], s[2:3], s[42:43]
	s_mov_b64 s[58:59], s[46:47]
	s_andn2_b64 exec, exec, s[40:41]
	s_cbranch_execz .LBB1238_624
.LBB1238_620:                           ; =>This Inner Loop Header: Depth=1
	flat_load_ushort v96, v[12:13]
	flat_load_ushort v97, v[10:11]
	s_mov_b64 s[56:57], -1
	s_mov_b64 s[60:61], 0
	s_mov_b64 s[46:47], -1
	s_waitcnt vmcnt(0) lgkmcnt(0)
	v_cmp_nlt_f16_e64 s[2:3], v96, v97
	s_and_saveexec_b64 s[62:63], s[2:3]
; %bb.621:                              ;   in Loop: Header=BB1238_620 Depth=1
	v_cmp_ngt_f16_e64 s[2:3], v96, v97
	s_and_b64 s[46:47], s[2:3], s[58:59]
	s_orn2_b64 s[46:47], s[46:47], exec
	s_and_b64 s[60:61], s[2:3], exec
; %bb.622:                              ;   in Loop: Header=BB1238_620 Depth=1
	s_or_b64 exec, exec, s[62:63]
	s_andn2_b64 s[2:3], s[44:45], exec
	s_and_b64 s[44:45], s[46:47], exec
	s_or_b64 s[44:45], s[2:3], s[44:45]
	s_and_saveexec_b64 s[58:59], s[60:61]
	s_cbranch_execz .LBB1238_619
; %bb.623:                              ;   in Loop: Header=BB1238_620 Depth=1
	v_lshl_add_u64 v[14:15], v[14:15], 0, -1
	v_cmp_eq_u64_e64 s[2:3], 0, v[14:15]
	v_lshl_add_u64 v[10:11], v[10:11], 0, 2
	v_lshl_add_u64 v[12:13], v[12:13], 0, 2
	s_andn2_b64 s[44:45], s[44:45], exec
	s_orn2_b64 s[56:57], s[2:3], exec
	s_branch .LBB1238_619
.LBB1238_624:
	s_or_b64 exec, exec, s[40:41]
	s_xor_b64 s[2:3], s[42:43], -1
	s_andn2_b64 s[22:23], s[22:23], exec
	s_and_b64 s[2:3], s[2:3], exec
	s_or_b64 s[22:23], s[22:23], s[2:3]
.LBB1238_625:
	s_or_b64 exec, exec, s[28:29]
	s_orn2_b64 s[22:23], s[22:23], exec
.LBB1238_626:
	s_or_b64 exec, exec, s[26:27]
	v_cndmask_b32_e64 v15, v21, v25, s[16:17]
	v_cndmask_b32_e64 v21, v18, v20, s[6:7]
	v_cndmask_b32_e64 v20, v19, v23, s[6:7]
	v_cndmask_b32_e64 v18, v85, v84, s[22:23]
	v_cndmask_b32_e64 v19, v82, v81, s[22:23]
	v_cndmask_b32_e64 v14, v24, v30, s[16:17]
	v_add_u32_e32 v24, 1, v18
	v_add_u32_e32 v18, -1, v19
	v_min_u32_e32 v18, v24, v18
	v_lshl_add_u32 v18, v18, 3, v22
	ds_read_b64 v[22:23], v18
	v_cndmask_b32_e64 v25, v24, v85, s[22:23]
	v_cndmask_b32_e64 v13, v37, v39, s[24:25]
	;; [unrolled: 1-line block ×11, first 2 shown]
	s_waitcnt lgkmcnt(0)
	v_cndmask_b32_e64 v3, v86, v23, s[22:23]
	v_cndmask_b32_e64 v2, v87, v22, s[22:23]
	v_cmp_lt_u32_e64 s[2:3], v25, v82
	s_and_saveexec_b64 s[4:5], s[2:3]
	s_cbranch_execz .LBB1238_636
; %bb.627:
	v_cndmask_b32_e64 v33, v22, v83, s[22:23]
	v_cndmask_b32_e64 v22, v84, v24, s[22:23]
	;; [unrolled: 1-line block ×3, first 2 shown]
	v_cmp_ge_u32_e64 s[2:3], v22, v81
	s_nor_b64 s[16:17], s[2:3], s[0:1]
	s_nop 0
	v_cndmask_b32_e64 v23, v3, v32, s[2:3]
	v_cndmask_b32_e64 v22, v2, v33, s[2:3]
	s_and_saveexec_b64 s[6:7], s[16:17]
	s_cbranch_execz .LBB1238_635
; %bb.628:
	v_mul_lo_u32 v24, v3, v6
	v_mul_lo_u32 v25, v2, v7
	v_mad_u64_u32 v[22:23], s[2:3], v2, v6, 0
	v_add3_u32 v23, v23, v25, v24
	v_mul_lo_u32 v30, v32, v6
	v_mul_lo_u32 v31, v33, v7
	v_mad_u64_u32 v[24:25], s[2:3], v33, v6, 0
	v_add3_u32 v25, v25, v31, v30
	v_lshl_add_u64 v[22:23], v[22:23], 1, v[8:9]
	v_lshl_add_u64 v[24:25], v[24:25], 1, v[8:9]
	s_mov_b64 s[16:17], 0
	v_mov_b64_e32 v[30:31], v[6:7]
                                        ; implicit-def: $sgpr18_sgpr19
                                        ; implicit-def: $sgpr20_sgpr21
                                        ; implicit-def: $sgpr24_sgpr25
	s_branch .LBB1238_630
.LBB1238_629:                           ;   in Loop: Header=BB1238_630 Depth=1
	s_or_b64 exec, exec, s[24:25]
	s_and_b64 s[2:3], exec, s[2:3]
	s_or_b64 s[16:17], s[2:3], s[16:17]
	s_andn2_b64 s[2:3], s[18:19], exec
	s_and_b64 s[18:19], s[20:21], exec
	s_or_b64 s[18:19], s[2:3], s[18:19]
	s_mov_b64 s[24:25], s[22:23]
	s_andn2_b64 exec, exec, s[16:17]
	s_cbranch_execz .LBB1238_634
.LBB1238_630:                           ; =>This Inner Loop Header: Depth=1
	flat_load_ushort v34, v[24:25]
	flat_load_ushort v35, v[22:23]
	s_mov_b64 s[26:27], 0
	s_mov_b64 s[22:23], -1
	s_waitcnt vmcnt(0) lgkmcnt(0)
	v_cmp_nlt_f16_e64 s[2:3], v34, v35
	s_and_saveexec_b64 s[28:29], s[2:3]
; %bb.631:                              ;   in Loop: Header=BB1238_630 Depth=1
	v_cmp_ngt_f16_e64 s[2:3], v34, v35
	s_and_b64 s[22:23], s[2:3], s[24:25]
	s_orn2_b64 s[22:23], s[22:23], exec
	s_and_b64 s[26:27], s[2:3], exec
; %bb.632:                              ;   in Loop: Header=BB1238_630 Depth=1
	s_or_b64 exec, exec, s[28:29]
	s_andn2_b64 s[20:21], s[20:21], exec
	s_and_b64 s[24:25], s[22:23], exec
	s_mov_b64 s[2:3], -1
	s_or_b64 s[20:21], s[20:21], s[24:25]
	s_and_saveexec_b64 s[24:25], s[26:27]
	s_cbranch_execz .LBB1238_629
; %bb.633:                              ;   in Loop: Header=BB1238_630 Depth=1
	v_lshl_add_u64 v[30:31], v[30:31], 0, -1
	v_cmp_eq_u64_e64 s[2:3], 0, v[30:31]
	v_lshl_add_u64 v[22:23], v[22:23], 0, 2
	v_lshl_add_u64 v[24:25], v[24:25], 0, 2
	s_andn2_b64 s[20:21], s[20:21], exec
	s_orn2_b64 s[2:3], s[2:3], exec
	s_branch .LBB1238_629
.LBB1238_634:
	s_or_b64 exec, exec, s[16:17]
	v_cndmask_b32_e64 v23, v3, v32, s[18:19]
	v_cndmask_b32_e64 v22, v2, v33, s[18:19]
.LBB1238_635:
	s_or_b64 exec, exec, s[6:7]
	v_mov_b64_e32 v[2:3], v[22:23]
.LBB1238_636:
	s_or_b64 exec, exec, s[4:5]
.LBB1238_637:
	s_or_b64 exec, exec, s[14:15]
	v_lshlrev_b32_e32 v25, 3, v28
	v_add_u32_e32 v31, 8, v25
	v_add_u32_e32 v38, 16, v25
	;; [unrolled: 1-line block ×7, first 2 shown]
	v_lshlrev_b64 v[22:23], 1, v[6:7]
	s_movk_i32 s72, 0x80
	; wave barrier
	s_waitcnt lgkmcnt(0)
	s_barrier
.LBB1238_638:                           ; =>This Loop Header: Depth=1
                                        ;     Child Loop BB1238_642 Depth 2
                                        ;       Child Loop BB1238_645 Depth 3
                                        ;     Child Loop BB1238_658 Depth 2
                                        ;     Child Loop BB1238_667 Depth 2
	;; [unrolled: 1-line block ×8, first 2 shown]
	s_lshl_b32 s73, s72, 1
	s_sub_i32 s3, 0, s73
	v_and_b32_e32 v85, s3, v28
	v_add_u32_e32 v24, s72, v85
	v_min_u32_e32 v83, 0x800, v24
	s_add_i32 s2, s73, -1
	v_add_u32_e32 v24, s72, v83
	v_min_u32_e32 v84, 0x800, v24
	v_and_b32_e32 v24, s2, v28
	v_min_u32_e32 v86, 0x800, v24
	v_sub_u32_e32 v24, v83, v85
	v_sub_u32_e32 v30, v84, v83
	v_sub_u32_e64 v87, v86, v30 clamp
	v_min_u32_e32 v96, v86, v24
	v_cmp_lt_u32_e64 s[2:3], v87, v96
	ds_write_b64 v25, v[18:19]
	ds_write_b64 v31, v[20:21]
	;; [unrolled: 1-line block ×8, first 2 shown]
	s_waitcnt lgkmcnt(0)
	s_barrier
	s_and_saveexec_b64 s[4:5], s[2:3]
	s_cbranch_execz .LBB1238_650
; %bb.639:                              ;   in Loop: Header=BB1238_638 Depth=1
	v_lshlrev_b32_e32 v24, 3, v85
	v_lshlrev_b32_e32 v30, 3, v83
	s_mov_b64 s[6:7], 0
	s_branch .LBB1238_642
.LBB1238_640:                           ;   in Loop: Header=BB1238_642 Depth=2
	s_or_b64 exec, exec, s[16:17]
	s_and_b64 s[2:3], s[18:19], exec
.LBB1238_641:                           ;   in Loop: Header=BB1238_642 Depth=2
	s_or_b64 exec, exec, s[14:15]
	v_add_u32_e32 v32, 1, v97
	v_cndmask_b32_e64 v96, v96, v97, s[2:3]
	v_cndmask_b32_e64 v87, v32, v87, s[2:3]
	v_cmp_ge_u32_e64 s[2:3], v87, v96
	s_or_b64 s[6:7], s[2:3], s[6:7]
	s_andn2_b64 exec, exec, s[6:7]
	s_cbranch_execz .LBB1238_649
.LBB1238_642:                           ;   Parent Loop BB1238_638 Depth=1
                                        ; =>  This Loop Header: Depth=2
                                        ;       Child Loop BB1238_645 Depth 3
	v_add_u32_e32 v32, v96, v87
	v_lshrrev_b32_e32 v97, 1, v32
	s_mov_b64 s[2:3], 0
	s_and_saveexec_b64 s[14:15], vcc
	s_cbranch_execz .LBB1238_641
; %bb.643:                              ;   in Loop: Header=BB1238_642 Depth=2
	v_lshl_add_u32 v32, v97, 3, v24
	v_xad_u32 v34, v97, -1, v86
	ds_read_b64 v[32:33], v32
	v_lshl_add_u32 v34, v34, 3, v30
	ds_read_b64 v[34:35], v34
	s_mov_b64 s[16:17], 0
                                        ; implicit-def: $sgpr18_sgpr19
                                        ; implicit-def: $sgpr20_sgpr21
                                        ; implicit-def: $sgpr26_sgpr27
	s_waitcnt lgkmcnt(1)
	v_mul_lo_u32 v36, v22, v33
	v_mul_lo_u32 v37, v23, v32
	v_mad_u64_u32 v[32:33], s[2:3], v22, v32, v[8:9]
	v_add3_u32 v33, v37, v33, v36
	s_waitcnt lgkmcnt(0)
	v_mul_lo_u32 v36, v22, v35
	v_mul_lo_u32 v37, v23, v34
	v_mad_u64_u32 v[34:35], s[2:3], v22, v34, v[8:9]
	v_add3_u32 v35, v37, v35, v36
	v_mov_b64_e32 v[36:37], v[6:7]
	s_branch .LBB1238_645
.LBB1238_644:                           ;   in Loop: Header=BB1238_645 Depth=3
	s_or_b64 exec, exec, s[26:27]
	s_and_b64 s[2:3], exec, s[24:25]
	s_or_b64 s[16:17], s[2:3], s[16:17]
	s_andn2_b64 s[2:3], s[18:19], exec
	s_and_b64 s[18:19], s[20:21], exec
	s_or_b64 s[18:19], s[2:3], s[18:19]
	s_mov_b64 s[26:27], s[22:23]
	s_andn2_b64 exec, exec, s[16:17]
	s_cbranch_execz .LBB1238_640
.LBB1238_645:                           ;   Parent Loop BB1238_638 Depth=1
                                        ;     Parent Loop BB1238_642 Depth=2
                                        ; =>    This Inner Loop Header: Depth=3
	flat_load_ushort v98, v[34:35]
	flat_load_ushort v99, v[32:33]
	s_mov_b64 s[24:25], -1
	s_mov_b64 s[28:29], 0
	s_mov_b64 s[22:23], -1
	s_waitcnt vmcnt(0) lgkmcnt(0)
	v_cmp_nlt_f16_e64 s[2:3], v98, v99
	s_and_saveexec_b64 s[40:41], s[2:3]
; %bb.646:                              ;   in Loop: Header=BB1238_645 Depth=3
	v_cmp_ngt_f16_e64 s[2:3], v98, v99
	s_and_b64 s[22:23], s[2:3], s[26:27]
	s_orn2_b64 s[22:23], s[22:23], exec
	s_and_b64 s[28:29], s[2:3], exec
; %bb.647:                              ;   in Loop: Header=BB1238_645 Depth=3
	s_or_b64 exec, exec, s[40:41]
	s_andn2_b64 s[2:3], s[20:21], exec
	s_and_b64 s[20:21], s[22:23], exec
	s_or_b64 s[20:21], s[2:3], s[20:21]
	s_and_saveexec_b64 s[26:27], s[28:29]
	s_cbranch_execz .LBB1238_644
; %bb.648:                              ;   in Loop: Header=BB1238_645 Depth=3
	v_lshl_add_u64 v[36:37], v[36:37], 0, -1
	v_cmp_eq_u64_e64 s[2:3], 0, v[36:37]
	v_lshl_add_u64 v[32:33], v[32:33], 0, 2
	v_lshl_add_u64 v[34:35], v[34:35], 0, 2
	s_andn2_b64 s[20:21], s[20:21], exec
	s_orn2_b64 s[24:25], s[2:3], exec
	s_branch .LBB1238_644
.LBB1238_649:                           ;   in Loop: Header=BB1238_638 Depth=1
	s_or_b64 exec, exec, s[6:7]
.LBB1238_650:                           ;   in Loop: Header=BB1238_638 Depth=1
	s_or_b64 exec, exec, s[4:5]
	v_sub_u32_e32 v24, v86, v87
	v_add_u32_e32 v32, v87, v85
	v_add_u32_e32 v33, v24, v83
	v_cmp_le_u32_e64 s[2:3], v32, v83
	v_cmp_le_u32_e64 s[4:5], v33, v84
	s_or_b64 s[2:3], s[2:3], s[4:5]
	s_and_saveexec_b64 s[14:15], s[2:3]
	s_cbranch_execz .LBB1238_734
; %bb.651:                              ;   in Loop: Header=BB1238_638 Depth=1
	v_cmp_ge_u32_e64 s[2:3], v32, v83
	v_cmp_lt_u32_e64 s[4:5], v32, v83
                                        ; implicit-def: $vgpr0_vgpr1
	s_and_saveexec_b64 s[6:7], s[4:5]
; %bb.652:                              ;   in Loop: Header=BB1238_638 Depth=1
	v_lshlrev_b32_e32 v0, 3, v32
	ds_read_b64 v[0:1], v0
; %bb.653:                              ;   in Loop: Header=BB1238_638 Depth=1
	s_or_b64 exec, exec, s[6:7]
	v_cmp_ge_u32_e64 s[4:5], v33, v84
	v_cmp_lt_u32_e64 s[6:7], v33, v84
                                        ; implicit-def: $vgpr18_vgpr19
	s_and_saveexec_b64 s[16:17], s[6:7]
; %bb.654:                              ;   in Loop: Header=BB1238_638 Depth=1
	v_lshlrev_b32_e32 v2, 3, v33
	ds_read_b64 v[18:19], v2
; %bb.655:                              ;   in Loop: Header=BB1238_638 Depth=1
	s_or_b64 exec, exec, s[16:17]
	s_or_b64 s[6:7], s[2:3], s[4:5]
	s_xor_b64 s[2:3], s[2:3], -1
	s_nor_b64 s[16:17], s[6:7], s[0:1]
	s_or_b64 s[4:5], s[4:5], s[2:3]
	s_and_saveexec_b64 s[6:7], s[16:17]
	s_cbranch_execz .LBB1238_663
; %bb.656:                              ;   in Loop: Header=BB1238_638 Depth=1
	s_waitcnt lgkmcnt(0)
	v_mad_u64_u32 v[2:3], s[2:3], v22, v0, v[8:9]
	v_mul_lo_u32 v10, v22, v1
	v_mul_lo_u32 v11, v23, v0
	v_add3_u32 v3, v11, v3, v10
	v_mad_u64_u32 v[10:11], s[2:3], v22, v18, v[8:9]
	v_mul_lo_u32 v12, v22, v19
	v_mul_lo_u32 v13, v23, v18
	v_add3_u32 v11, v13, v11, v12
	s_mov_b64 s[16:17], 0
	v_mov_b64_e32 v[12:13], v[6:7]
                                        ; implicit-def: $sgpr18_sgpr19
                                        ; implicit-def: $sgpr20_sgpr21
                                        ; implicit-def: $sgpr26_sgpr27
	s_branch .LBB1238_658
.LBB1238_657:                           ;   in Loop: Header=BB1238_658 Depth=2
	s_or_b64 exec, exec, s[26:27]
	s_and_b64 s[2:3], exec, s[24:25]
	s_or_b64 s[16:17], s[2:3], s[16:17]
	s_andn2_b64 s[2:3], s[18:19], exec
	s_and_b64 s[18:19], s[20:21], exec
	s_or_b64 s[18:19], s[2:3], s[18:19]
	s_mov_b64 s[26:27], s[22:23]
	s_andn2_b64 exec, exec, s[16:17]
	s_cbranch_execz .LBB1238_662
.LBB1238_658:                           ;   Parent Loop BB1238_638 Depth=1
                                        ; =>  This Inner Loop Header: Depth=2
	flat_load_ushort v14, v[10:11]
	flat_load_ushort v15, v[2:3]
	s_mov_b64 s[24:25], -1
	s_mov_b64 s[28:29], 0
	s_mov_b64 s[22:23], -1
	s_waitcnt vmcnt(0) lgkmcnt(0)
	v_cmp_nlt_f16_e64 s[2:3], v14, v15
	s_and_saveexec_b64 s[40:41], s[2:3]
; %bb.659:                              ;   in Loop: Header=BB1238_658 Depth=2
	v_cmp_ngt_f16_e64 s[2:3], v14, v15
	s_and_b64 s[22:23], s[2:3], s[26:27]
	s_orn2_b64 s[22:23], s[22:23], exec
	s_and_b64 s[28:29], s[2:3], exec
; %bb.660:                              ;   in Loop: Header=BB1238_658 Depth=2
	s_or_b64 exec, exec, s[40:41]
	s_andn2_b64 s[2:3], s[20:21], exec
	s_and_b64 s[20:21], s[22:23], exec
	s_or_b64 s[20:21], s[2:3], s[20:21]
	s_and_saveexec_b64 s[26:27], s[28:29]
	s_cbranch_execz .LBB1238_657
; %bb.661:                              ;   in Loop: Header=BB1238_658 Depth=2
	v_lshl_add_u64 v[12:13], v[12:13], 0, -1
	v_cmp_eq_u64_e64 s[2:3], 0, v[12:13]
	v_lshl_add_u64 v[2:3], v[2:3], 0, 2
	v_lshl_add_u64 v[10:11], v[10:11], 0, 2
	s_andn2_b64 s[20:21], s[20:21], exec
	s_orn2_b64 s[24:25], s[2:3], exec
	s_branch .LBB1238_657
.LBB1238_662:                           ;   in Loop: Header=BB1238_638 Depth=1
	s_or_b64 exec, exec, s[16:17]
	s_xor_b64 s[2:3], s[18:19], -1
	s_andn2_b64 s[4:5], s[4:5], exec
	s_and_b64 s[2:3], s[2:3], exec
	s_or_b64 s[4:5], s[4:5], s[2:3]
.LBB1238_663:                           ;   in Loop: Header=BB1238_638 Depth=1
	s_or_b64 exec, exec, s[6:7]
	v_cndmask_b32_e64 v2, v33, v32, s[4:5]
	v_cndmask_b32_e64 v3, v84, v83, s[4:5]
	v_add_u32_e32 v10, 1, v2
	v_add_u32_e32 v2, -1, v3
	v_min_u32_e32 v2, v10, v2
	v_lshlrev_b32_e32 v2, 3, v2
	ds_read_b64 v[2:3], v2
	v_cndmask_b32_e64 v14, v10, v33, s[4:5]
	v_cndmask_b32_e64 v15, v32, v10, s[4:5]
	v_cmp_lt_u32_e64 s[2:3], v14, v84
	s_mov_b64 s[16:17], -1
	s_waitcnt lgkmcnt(0)
	v_cndmask_b32_e64 v20, v3, v19, s[4:5]
	v_cndmask_b32_e64 v24, v2, v18, s[4:5]
	;; [unrolled: 1-line block ×4, first 2 shown]
	s_mov_b64 s[6:7], -1
	s_and_saveexec_b64 s[18:19], s[2:3]
	s_cbranch_execz .LBB1238_673
; %bb.664:                              ;   in Loop: Header=BB1238_638 Depth=1
	v_cmp_lt_u32_e64 s[6:7], v15, v83
	s_xor_b64 s[2:3], s[0:1], -1
	s_and_b64 s[2:3], s[6:7], s[2:3]
	s_and_saveexec_b64 s[20:21], s[2:3]
	s_cbranch_execz .LBB1238_672
; %bb.665:                              ;   in Loop: Header=BB1238_638 Depth=1
	v_mad_u64_u32 v[2:3], s[2:3], v22, v30, v[8:9]
	v_mul_lo_u32 v10, v22, v21
	v_mul_lo_u32 v11, v23, v30
	v_add3_u32 v3, v11, v3, v10
	v_mad_u64_u32 v[10:11], s[2:3], v22, v24, v[8:9]
	v_mul_lo_u32 v12, v22, v20
	v_mul_lo_u32 v13, v23, v24
	v_add3_u32 v11, v13, v11, v12
	s_mov_b64 s[22:23], 0
	v_mov_b64_e32 v[12:13], v[6:7]
                                        ; implicit-def: $sgpr24_sgpr25
                                        ; implicit-def: $sgpr26_sgpr27
                                        ; implicit-def: $sgpr42_sgpr43
	s_branch .LBB1238_667
.LBB1238_666:                           ;   in Loop: Header=BB1238_667 Depth=2
	s_or_b64 exec, exec, s[42:43]
	s_and_b64 s[2:3], exec, s[40:41]
	s_or_b64 s[22:23], s[2:3], s[22:23]
	s_andn2_b64 s[2:3], s[24:25], exec
	s_and_b64 s[24:25], s[26:27], exec
	s_or_b64 s[24:25], s[2:3], s[24:25]
	s_mov_b64 s[42:43], s[28:29]
	s_andn2_b64 exec, exec, s[22:23]
	s_cbranch_execz .LBB1238_671
.LBB1238_667:                           ;   Parent Loop BB1238_638 Depth=1
                                        ; =>  This Inner Loop Header: Depth=2
	flat_load_ushort v16, v[10:11]
	flat_load_ushort v17, v[2:3]
	s_mov_b64 s[40:41], -1
	s_mov_b64 s[44:45], 0
	s_mov_b64 s[28:29], -1
	s_waitcnt vmcnt(0) lgkmcnt(0)
	v_cmp_nlt_f16_e64 s[2:3], v16, v17
	s_and_saveexec_b64 s[46:47], s[2:3]
; %bb.668:                              ;   in Loop: Header=BB1238_667 Depth=2
	v_cmp_ngt_f16_e64 s[2:3], v16, v17
	s_and_b64 s[28:29], s[2:3], s[42:43]
	s_orn2_b64 s[28:29], s[28:29], exec
	s_and_b64 s[44:45], s[2:3], exec
; %bb.669:                              ;   in Loop: Header=BB1238_667 Depth=2
	s_or_b64 exec, exec, s[46:47]
	s_andn2_b64 s[2:3], s[26:27], exec
	s_and_b64 s[26:27], s[28:29], exec
	s_or_b64 s[26:27], s[2:3], s[26:27]
	s_and_saveexec_b64 s[42:43], s[44:45]
	s_cbranch_execz .LBB1238_666
; %bb.670:                              ;   in Loop: Header=BB1238_667 Depth=2
	v_lshl_add_u64 v[12:13], v[12:13], 0, -1
	v_cmp_eq_u64_e64 s[2:3], 0, v[12:13]
	v_lshl_add_u64 v[2:3], v[2:3], 0, 2
	v_lshl_add_u64 v[10:11], v[10:11], 0, 2
	s_andn2_b64 s[26:27], s[26:27], exec
	s_orn2_b64 s[40:41], s[2:3], exec
	s_branch .LBB1238_666
.LBB1238_671:                           ;   in Loop: Header=BB1238_638 Depth=1
	s_or_b64 exec, exec, s[22:23]
	s_xor_b64 s[2:3], s[24:25], -1
	s_andn2_b64 s[6:7], s[6:7], exec
	s_and_b64 s[2:3], s[2:3], exec
	s_or_b64 s[6:7], s[6:7], s[2:3]
.LBB1238_672:                           ;   in Loop: Header=BB1238_638 Depth=1
	s_or_b64 exec, exec, s[20:21]
	s_orn2_b64 s[6:7], s[6:7], exec
.LBB1238_673:                           ;   in Loop: Header=BB1238_638 Depth=1
	s_or_b64 exec, exec, s[18:19]
	v_cndmask_b32_e64 v2, v14, v15, s[6:7]
	v_cndmask_b32_e64 v3, v84, v83, s[6:7]
	v_add_u32_e32 v10, 1, v2
	v_add_u32_e32 v2, -1, v3
	v_min_u32_e32 v2, v10, v2
	v_lshlrev_b32_e32 v2, 3, v2
	ds_read_b64 v[2:3], v2
	v_cndmask_b32_e64 v14, v10, v14, s[6:7]
	v_cndmask_b32_e64 v15, v15, v10, s[6:7]
	v_cmp_lt_u32_e64 s[2:3], v14, v84
	s_waitcnt lgkmcnt(0)
	v_cndmask_b32_e64 v32, v3, v20, s[6:7]
	v_cndmask_b32_e64 v33, v2, v24, s[6:7]
	;; [unrolled: 1-line block ×4, first 2 shown]
	s_and_saveexec_b64 s[18:19], s[2:3]
	s_cbranch_execz .LBB1238_683
; %bb.674:                              ;   in Loop: Header=BB1238_638 Depth=1
	v_cmp_lt_u32_e64 s[16:17], v15, v83
	s_xor_b64 s[2:3], s[0:1], -1
	s_and_b64 s[2:3], s[16:17], s[2:3]
	s_and_saveexec_b64 s[20:21], s[2:3]
	s_cbranch_execz .LBB1238_682
; %bb.675:                              ;   in Loop: Header=BB1238_638 Depth=1
	v_mad_u64_u32 v[2:3], s[2:3], v22, v35, v[8:9]
	v_mul_lo_u32 v10, v22, v34
	v_mul_lo_u32 v11, v23, v35
	v_add3_u32 v3, v11, v3, v10
	v_mad_u64_u32 v[10:11], s[2:3], v22, v33, v[8:9]
	v_mul_lo_u32 v12, v22, v32
	v_mul_lo_u32 v13, v23, v33
	v_add3_u32 v11, v13, v11, v12
	s_mov_b64 s[22:23], 0
	v_mov_b64_e32 v[12:13], v[6:7]
                                        ; implicit-def: $sgpr24_sgpr25
                                        ; implicit-def: $sgpr26_sgpr27
                                        ; implicit-def: $sgpr42_sgpr43
	s_branch .LBB1238_677
.LBB1238_676:                           ;   in Loop: Header=BB1238_677 Depth=2
	s_or_b64 exec, exec, s[42:43]
	s_and_b64 s[2:3], exec, s[40:41]
	s_or_b64 s[22:23], s[2:3], s[22:23]
	s_andn2_b64 s[2:3], s[24:25], exec
	s_and_b64 s[24:25], s[26:27], exec
	s_or_b64 s[24:25], s[2:3], s[24:25]
	s_mov_b64 s[42:43], s[28:29]
	s_andn2_b64 exec, exec, s[22:23]
	s_cbranch_execz .LBB1238_681
.LBB1238_677:                           ;   Parent Loop BB1238_638 Depth=1
                                        ; =>  This Inner Loop Header: Depth=2
	flat_load_ushort v16, v[10:11]
	flat_load_ushort v17, v[2:3]
	s_mov_b64 s[40:41], -1
	s_mov_b64 s[44:45], 0
	s_mov_b64 s[28:29], -1
	s_waitcnt vmcnt(0) lgkmcnt(0)
	v_cmp_nlt_f16_e64 s[2:3], v16, v17
	s_and_saveexec_b64 s[46:47], s[2:3]
; %bb.678:                              ;   in Loop: Header=BB1238_677 Depth=2
	v_cmp_ngt_f16_e64 s[2:3], v16, v17
	s_and_b64 s[28:29], s[2:3], s[42:43]
	s_orn2_b64 s[28:29], s[28:29], exec
	s_and_b64 s[44:45], s[2:3], exec
; %bb.679:                              ;   in Loop: Header=BB1238_677 Depth=2
	s_or_b64 exec, exec, s[46:47]
	s_andn2_b64 s[2:3], s[26:27], exec
	s_and_b64 s[26:27], s[28:29], exec
	s_or_b64 s[26:27], s[2:3], s[26:27]
	s_and_saveexec_b64 s[42:43], s[44:45]
	s_cbranch_execz .LBB1238_676
; %bb.680:                              ;   in Loop: Header=BB1238_677 Depth=2
	v_lshl_add_u64 v[12:13], v[12:13], 0, -1
	v_cmp_eq_u64_e64 s[2:3], 0, v[12:13]
	v_lshl_add_u64 v[2:3], v[2:3], 0, 2
	v_lshl_add_u64 v[10:11], v[10:11], 0, 2
	s_andn2_b64 s[26:27], s[26:27], exec
	s_orn2_b64 s[40:41], s[2:3], exec
	s_branch .LBB1238_676
.LBB1238_681:                           ;   in Loop: Header=BB1238_638 Depth=1
	s_or_b64 exec, exec, s[22:23]
	s_xor_b64 s[2:3], s[24:25], -1
	s_andn2_b64 s[16:17], s[16:17], exec
	s_and_b64 s[2:3], s[2:3], exec
	s_or_b64 s[16:17], s[16:17], s[2:3]
.LBB1238_682:                           ;   in Loop: Header=BB1238_638 Depth=1
	s_or_b64 exec, exec, s[20:21]
	s_orn2_b64 s[16:17], s[16:17], exec
.LBB1238_683:                           ;   in Loop: Header=BB1238_638 Depth=1
	s_or_b64 exec, exec, s[18:19]
	v_cndmask_b32_e64 v2, v14, v15, s[16:17]
	v_cndmask_b32_e64 v3, v84, v83, s[16:17]
	v_add_u32_e32 v10, 1, v2
	v_add_u32_e32 v2, -1, v3
	v_min_u32_e32 v2, v10, v2
	v_lshlrev_b32_e32 v2, 3, v2
	ds_read_b64 v[2:3], v2
	v_cndmask_b32_e64 v14, v10, v14, s[16:17]
	v_cndmask_b32_e64 v15, v15, v10, s[16:17]
	v_cmp_lt_u32_e64 s[2:3], v14, v84
	s_mov_b64 s[20:21], -1
	s_waitcnt lgkmcnt(0)
	v_cndmask_b32_e64 v16, v3, v32, s[16:17]
	v_cndmask_b32_e64 v36, v2, v33, s[16:17]
	;; [unrolled: 1-line block ×4, first 2 shown]
	s_mov_b64 s[18:19], -1
	s_and_saveexec_b64 s[22:23], s[2:3]
	s_cbranch_execz .LBB1238_693
; %bb.684:                              ;   in Loop: Header=BB1238_638 Depth=1
	v_cmp_lt_u32_e64 s[18:19], v15, v83
	s_xor_b64 s[2:3], s[0:1], -1
	s_and_b64 s[2:3], s[18:19], s[2:3]
	s_and_saveexec_b64 s[24:25], s[2:3]
	s_cbranch_execz .LBB1238_692
; %bb.685:                              ;   in Loop: Header=BB1238_638 Depth=1
	v_mad_u64_u32 v[2:3], s[2:3], v22, v37, v[8:9]
	v_mul_lo_u32 v10, v22, v17
	v_mul_lo_u32 v11, v23, v37
	v_add3_u32 v3, v11, v3, v10
	v_mad_u64_u32 v[10:11], s[2:3], v22, v36, v[8:9]
	v_mul_lo_u32 v12, v22, v16
	v_mul_lo_u32 v13, v23, v36
	v_add3_u32 v11, v13, v11, v12
	s_mov_b64 s[26:27], 0
	v_mov_b64_e32 v[12:13], v[6:7]
                                        ; implicit-def: $sgpr28_sgpr29
                                        ; implicit-def: $sgpr40_sgpr41
                                        ; implicit-def: $sgpr46_sgpr47
	s_branch .LBB1238_687
.LBB1238_686:                           ;   in Loop: Header=BB1238_687 Depth=2
	s_or_b64 exec, exec, s[46:47]
	s_and_b64 s[2:3], exec, s[44:45]
	s_or_b64 s[26:27], s[2:3], s[26:27]
	s_andn2_b64 s[2:3], s[28:29], exec
	s_and_b64 s[28:29], s[40:41], exec
	s_or_b64 s[28:29], s[2:3], s[28:29]
	s_mov_b64 s[46:47], s[42:43]
	s_andn2_b64 exec, exec, s[26:27]
	s_cbranch_execz .LBB1238_691
.LBB1238_687:                           ;   Parent Loop BB1238_638 Depth=1
                                        ; =>  This Inner Loop Header: Depth=2
	flat_load_ushort v85, v[10:11]
	flat_load_ushort v86, v[2:3]
	s_mov_b64 s[44:45], -1
	s_mov_b64 s[56:57], 0
	s_mov_b64 s[42:43], -1
	s_waitcnt vmcnt(0) lgkmcnt(0)
	v_cmp_nlt_f16_e64 s[2:3], v85, v86
	s_and_saveexec_b64 s[58:59], s[2:3]
; %bb.688:                              ;   in Loop: Header=BB1238_687 Depth=2
	v_cmp_ngt_f16_e64 s[2:3], v85, v86
	s_and_b64 s[42:43], s[2:3], s[46:47]
	s_orn2_b64 s[42:43], s[42:43], exec
	s_and_b64 s[56:57], s[2:3], exec
; %bb.689:                              ;   in Loop: Header=BB1238_687 Depth=2
	s_or_b64 exec, exec, s[58:59]
	s_andn2_b64 s[2:3], s[40:41], exec
	s_and_b64 s[40:41], s[42:43], exec
	s_or_b64 s[40:41], s[2:3], s[40:41]
	s_and_saveexec_b64 s[46:47], s[56:57]
	s_cbranch_execz .LBB1238_686
; %bb.690:                              ;   in Loop: Header=BB1238_687 Depth=2
	v_lshl_add_u64 v[12:13], v[12:13], 0, -1
	v_cmp_eq_u64_e64 s[2:3], 0, v[12:13]
	v_lshl_add_u64 v[2:3], v[2:3], 0, 2
	v_lshl_add_u64 v[10:11], v[10:11], 0, 2
	s_andn2_b64 s[40:41], s[40:41], exec
	s_orn2_b64 s[44:45], s[2:3], exec
	s_branch .LBB1238_686
.LBB1238_691:                           ;   in Loop: Header=BB1238_638 Depth=1
	s_or_b64 exec, exec, s[26:27]
	s_xor_b64 s[2:3], s[28:29], -1
	s_andn2_b64 s[18:19], s[18:19], exec
	s_and_b64 s[2:3], s[2:3], exec
	s_or_b64 s[18:19], s[18:19], s[2:3]
.LBB1238_692:                           ;   in Loop: Header=BB1238_638 Depth=1
	s_or_b64 exec, exec, s[24:25]
	s_orn2_b64 s[18:19], s[18:19], exec
.LBB1238_693:                           ;   in Loop: Header=BB1238_638 Depth=1
	s_or_b64 exec, exec, s[22:23]
	v_cndmask_b32_e64 v2, v14, v15, s[18:19]
	v_cndmask_b32_e64 v3, v84, v83, s[18:19]
	v_add_u32_e32 v10, 1, v2
	v_add_u32_e32 v2, -1, v3
	v_min_u32_e32 v2, v10, v2
	v_lshlrev_b32_e32 v2, 3, v2
	ds_read_b64 v[2:3], v2
	v_cndmask_b32_e64 v14, v10, v14, s[18:19]
	v_cndmask_b32_e64 v15, v15, v10, s[18:19]
	v_cmp_lt_u32_e64 s[2:3], v14, v84
	s_waitcnt lgkmcnt(0)
	v_cndmask_b32_e64 v85, v3, v16, s[18:19]
	v_cndmask_b32_e64 v86, v2, v36, s[18:19]
	;; [unrolled: 1-line block ×4, first 2 shown]
	s_and_saveexec_b64 s[22:23], s[2:3]
	s_cbranch_execz .LBB1238_703
; %bb.694:                              ;   in Loop: Header=BB1238_638 Depth=1
	v_cmp_lt_u32_e64 s[20:21], v15, v83
	s_xor_b64 s[2:3], s[0:1], -1
	s_and_b64 s[2:3], s[20:21], s[2:3]
	s_and_saveexec_b64 s[24:25], s[2:3]
	s_cbranch_execz .LBB1238_702
; %bb.695:                              ;   in Loop: Header=BB1238_638 Depth=1
	v_mad_u64_u32 v[2:3], s[2:3], v22, v96, v[8:9]
	v_mul_lo_u32 v10, v22, v87
	v_mul_lo_u32 v11, v23, v96
	v_add3_u32 v3, v11, v3, v10
	v_mad_u64_u32 v[10:11], s[2:3], v22, v86, v[8:9]
	v_mul_lo_u32 v12, v22, v85
	v_mul_lo_u32 v13, v23, v86
	v_add3_u32 v11, v13, v11, v12
	s_mov_b64 s[26:27], 0
	v_mov_b64_e32 v[12:13], v[6:7]
                                        ; implicit-def: $sgpr28_sgpr29
                                        ; implicit-def: $sgpr40_sgpr41
                                        ; implicit-def: $sgpr46_sgpr47
	s_branch .LBB1238_697
.LBB1238_696:                           ;   in Loop: Header=BB1238_697 Depth=2
	s_or_b64 exec, exec, s[46:47]
	s_and_b64 s[2:3], exec, s[44:45]
	s_or_b64 s[26:27], s[2:3], s[26:27]
	s_andn2_b64 s[2:3], s[28:29], exec
	s_and_b64 s[28:29], s[40:41], exec
	s_or_b64 s[28:29], s[2:3], s[28:29]
	s_mov_b64 s[46:47], s[42:43]
	s_andn2_b64 exec, exec, s[26:27]
	s_cbranch_execz .LBB1238_701
.LBB1238_697:                           ;   Parent Loop BB1238_638 Depth=1
                                        ; =>  This Inner Loop Header: Depth=2
	flat_load_ushort v97, v[10:11]
	flat_load_ushort v98, v[2:3]
	s_mov_b64 s[44:45], -1
	s_mov_b64 s[56:57], 0
	s_mov_b64 s[42:43], -1
	s_waitcnt vmcnt(0) lgkmcnt(0)
	v_cmp_nlt_f16_e64 s[2:3], v97, v98
	s_and_saveexec_b64 s[58:59], s[2:3]
; %bb.698:                              ;   in Loop: Header=BB1238_697 Depth=2
	v_cmp_ngt_f16_e64 s[2:3], v97, v98
	s_and_b64 s[42:43], s[2:3], s[46:47]
	s_orn2_b64 s[42:43], s[42:43], exec
	s_and_b64 s[56:57], s[2:3], exec
; %bb.699:                              ;   in Loop: Header=BB1238_697 Depth=2
	s_or_b64 exec, exec, s[58:59]
	s_andn2_b64 s[2:3], s[40:41], exec
	s_and_b64 s[40:41], s[42:43], exec
	s_or_b64 s[40:41], s[2:3], s[40:41]
	s_and_saveexec_b64 s[46:47], s[56:57]
	s_cbranch_execz .LBB1238_696
; %bb.700:                              ;   in Loop: Header=BB1238_697 Depth=2
	v_lshl_add_u64 v[12:13], v[12:13], 0, -1
	v_cmp_eq_u64_e64 s[2:3], 0, v[12:13]
	v_lshl_add_u64 v[2:3], v[2:3], 0, 2
	v_lshl_add_u64 v[10:11], v[10:11], 0, 2
	s_andn2_b64 s[40:41], s[40:41], exec
	s_orn2_b64 s[44:45], s[2:3], exec
	s_branch .LBB1238_696
.LBB1238_701:                           ;   in Loop: Header=BB1238_638 Depth=1
	s_or_b64 exec, exec, s[26:27]
	s_xor_b64 s[2:3], s[28:29], -1
	s_andn2_b64 s[20:21], s[20:21], exec
	s_and_b64 s[2:3], s[2:3], exec
	s_or_b64 s[20:21], s[20:21], s[2:3]
.LBB1238_702:                           ;   in Loop: Header=BB1238_638 Depth=1
	s_or_b64 exec, exec, s[24:25]
	s_orn2_b64 s[20:21], s[20:21], exec
.LBB1238_703:                           ;   in Loop: Header=BB1238_638 Depth=1
	s_or_b64 exec, exec, s[22:23]
	v_cndmask_b32_e64 v2, v14, v15, s[20:21]
	v_cndmask_b32_e64 v3, v84, v83, s[20:21]
	v_add_u32_e32 v10, 1, v2
	v_add_u32_e32 v2, -1, v3
	v_min_u32_e32 v2, v10, v2
	v_lshlrev_b32_e32 v2, 3, v2
	ds_read_b64 v[2:3], v2
	v_cndmask_b32_e64 v14, v10, v14, s[20:21]
	v_cndmask_b32_e64 v15, v15, v10, s[20:21]
	v_cmp_lt_u32_e64 s[2:3], v14, v84
	s_mov_b64 s[22:23], -1
	s_waitcnt lgkmcnt(0)
	v_cndmask_b32_e64 v97, v3, v85, s[20:21]
	v_cndmask_b32_e64 v98, v2, v86, s[20:21]
	;; [unrolled: 1-line block ×4, first 2 shown]
	s_mov_b64 s[24:25], -1
	s_and_saveexec_b64 s[26:27], s[2:3]
	s_cbranch_execz .LBB1238_713
; %bb.704:                              ;   in Loop: Header=BB1238_638 Depth=1
	v_cmp_lt_u32_e64 s[24:25], v15, v83
	s_xor_b64 s[2:3], s[0:1], -1
	s_and_b64 s[2:3], s[24:25], s[2:3]
	s_and_saveexec_b64 s[28:29], s[2:3]
	s_cbranch_execz .LBB1238_712
; %bb.705:                              ;   in Loop: Header=BB1238_638 Depth=1
	v_mad_u64_u32 v[2:3], s[2:3], v22, v100, v[8:9]
	v_mul_lo_u32 v10, v22, v99
	v_mul_lo_u32 v11, v23, v100
	v_add3_u32 v3, v11, v3, v10
	v_mad_u64_u32 v[10:11], s[2:3], v22, v98, v[8:9]
	v_mul_lo_u32 v12, v22, v97
	v_mul_lo_u32 v13, v23, v98
	v_add3_u32 v11, v13, v11, v12
	s_mov_b64 s[40:41], 0
	v_mov_b64_e32 v[12:13], v[6:7]
                                        ; implicit-def: $sgpr42_sgpr43
                                        ; implicit-def: $sgpr44_sgpr45
                                        ; implicit-def: $sgpr58_sgpr59
	s_branch .LBB1238_707
.LBB1238_706:                           ;   in Loop: Header=BB1238_707 Depth=2
	s_or_b64 exec, exec, s[58:59]
	s_and_b64 s[2:3], exec, s[56:57]
	s_or_b64 s[40:41], s[2:3], s[40:41]
	s_andn2_b64 s[2:3], s[42:43], exec
	s_and_b64 s[42:43], s[44:45], exec
	s_or_b64 s[42:43], s[2:3], s[42:43]
	s_mov_b64 s[58:59], s[46:47]
	s_andn2_b64 exec, exec, s[40:41]
	s_cbranch_execz .LBB1238_711
.LBB1238_707:                           ;   Parent Loop BB1238_638 Depth=1
                                        ; =>  This Inner Loop Header: Depth=2
	flat_load_ushort v101, v[10:11]
	flat_load_ushort v102, v[2:3]
	s_mov_b64 s[56:57], -1
	s_mov_b64 s[60:61], 0
	s_mov_b64 s[46:47], -1
	s_waitcnt vmcnt(0) lgkmcnt(0)
	v_cmp_nlt_f16_e64 s[2:3], v101, v102
	s_and_saveexec_b64 s[62:63], s[2:3]
; %bb.708:                              ;   in Loop: Header=BB1238_707 Depth=2
	v_cmp_ngt_f16_e64 s[2:3], v101, v102
	s_and_b64 s[46:47], s[2:3], s[58:59]
	s_orn2_b64 s[46:47], s[46:47], exec
	s_and_b64 s[60:61], s[2:3], exec
; %bb.709:                              ;   in Loop: Header=BB1238_707 Depth=2
	s_or_b64 exec, exec, s[62:63]
	s_andn2_b64 s[2:3], s[44:45], exec
	s_and_b64 s[44:45], s[46:47], exec
	s_or_b64 s[44:45], s[2:3], s[44:45]
	s_and_saveexec_b64 s[58:59], s[60:61]
	s_cbranch_execz .LBB1238_706
; %bb.710:                              ;   in Loop: Header=BB1238_707 Depth=2
	v_lshl_add_u64 v[12:13], v[12:13], 0, -1
	v_cmp_eq_u64_e64 s[2:3], 0, v[12:13]
	v_lshl_add_u64 v[2:3], v[2:3], 0, 2
	v_lshl_add_u64 v[10:11], v[10:11], 0, 2
	s_andn2_b64 s[44:45], s[44:45], exec
	s_orn2_b64 s[56:57], s[2:3], exec
	s_branch .LBB1238_706
.LBB1238_711:                           ;   in Loop: Header=BB1238_638 Depth=1
	s_or_b64 exec, exec, s[40:41]
	s_xor_b64 s[2:3], s[42:43], -1
	s_andn2_b64 s[24:25], s[24:25], exec
	s_and_b64 s[2:3], s[2:3], exec
	s_or_b64 s[24:25], s[24:25], s[2:3]
.LBB1238_712:                           ;   in Loop: Header=BB1238_638 Depth=1
	s_or_b64 exec, exec, s[28:29]
	s_orn2_b64 s[24:25], s[24:25], exec
.LBB1238_713:                           ;   in Loop: Header=BB1238_638 Depth=1
	s_or_b64 exec, exec, s[26:27]
	v_cndmask_b32_e64 v2, v14, v15, s[24:25]
	v_cndmask_b32_e64 v3, v84, v83, s[24:25]
	v_add_u32_e32 v10, 1, v2
	v_add_u32_e32 v2, -1, v3
	v_min_u32_e32 v2, v10, v2
	v_lshlrev_b32_e32 v2, 3, v2
	ds_read_b64 v[2:3], v2
	v_cndmask_b32_e64 v113, v10, v14, s[24:25]
	v_cndmask_b32_e64 v14, v15, v10, s[24:25]
	v_cmp_lt_u32_e64 s[2:3], v113, v84
	s_waitcnt lgkmcnt(0)
	v_cndmask_b32_e64 v101, v3, v97, s[24:25]
	v_cndmask_b32_e64 v102, v2, v98, s[24:25]
	;; [unrolled: 1-line block ×4, first 2 shown]
	s_and_saveexec_b64 s[26:27], s[2:3]
	s_cbranch_execz .LBB1238_723
; %bb.714:                              ;   in Loop: Header=BB1238_638 Depth=1
	v_cmp_lt_u32_e64 s[22:23], v14, v83
	s_xor_b64 s[2:3], s[0:1], -1
	s_and_b64 s[2:3], s[22:23], s[2:3]
	s_and_saveexec_b64 s[28:29], s[2:3]
	s_cbranch_execz .LBB1238_722
; %bb.715:                              ;   in Loop: Header=BB1238_638 Depth=1
	v_mad_u64_u32 v[2:3], s[2:3], v22, v112, v[8:9]
	v_mul_lo_u32 v10, v22, v103
	v_mul_lo_u32 v11, v23, v112
	v_add3_u32 v3, v11, v3, v10
	v_mad_u64_u32 v[10:11], s[2:3], v22, v102, v[8:9]
	v_mul_lo_u32 v12, v22, v101
	v_mul_lo_u32 v13, v23, v102
	v_add3_u32 v11, v13, v11, v12
	s_mov_b64 s[40:41], 0
	v_mov_b64_e32 v[12:13], v[6:7]
                                        ; implicit-def: $sgpr42_sgpr43
                                        ; implicit-def: $sgpr44_sgpr45
                                        ; implicit-def: $sgpr58_sgpr59
	s_branch .LBB1238_717
.LBB1238_716:                           ;   in Loop: Header=BB1238_717 Depth=2
	s_or_b64 exec, exec, s[58:59]
	s_and_b64 s[2:3], exec, s[56:57]
	s_or_b64 s[40:41], s[2:3], s[40:41]
	s_andn2_b64 s[2:3], s[42:43], exec
	s_and_b64 s[42:43], s[44:45], exec
	s_or_b64 s[42:43], s[2:3], s[42:43]
	s_mov_b64 s[58:59], s[46:47]
	s_andn2_b64 exec, exec, s[40:41]
	s_cbranch_execz .LBB1238_721
.LBB1238_717:                           ;   Parent Loop BB1238_638 Depth=1
                                        ; =>  This Inner Loop Header: Depth=2
	flat_load_ushort v15, v[10:11]
	flat_load_ushort v114, v[2:3]
	s_mov_b64 s[56:57], -1
	s_mov_b64 s[60:61], 0
	s_mov_b64 s[46:47], -1
	s_waitcnt vmcnt(0) lgkmcnt(0)
	v_cmp_nlt_f16_e64 s[2:3], v15, v114
	s_and_saveexec_b64 s[62:63], s[2:3]
; %bb.718:                              ;   in Loop: Header=BB1238_717 Depth=2
	v_cmp_ngt_f16_e64 s[2:3], v15, v114
	s_and_b64 s[46:47], s[2:3], s[58:59]
	s_orn2_b64 s[46:47], s[46:47], exec
	s_and_b64 s[60:61], s[2:3], exec
; %bb.719:                              ;   in Loop: Header=BB1238_717 Depth=2
	s_or_b64 exec, exec, s[62:63]
	s_andn2_b64 s[2:3], s[44:45], exec
	s_and_b64 s[44:45], s[46:47], exec
	s_or_b64 s[44:45], s[2:3], s[44:45]
	s_and_saveexec_b64 s[58:59], s[60:61]
	s_cbranch_execz .LBB1238_716
; %bb.720:                              ;   in Loop: Header=BB1238_717 Depth=2
	v_lshl_add_u64 v[12:13], v[12:13], 0, -1
	v_cmp_eq_u64_e64 s[2:3], 0, v[12:13]
	v_lshl_add_u64 v[2:3], v[2:3], 0, 2
	v_lshl_add_u64 v[10:11], v[10:11], 0, 2
	s_andn2_b64 s[44:45], s[44:45], exec
	s_orn2_b64 s[56:57], s[2:3], exec
	s_branch .LBB1238_716
.LBB1238_721:                           ;   in Loop: Header=BB1238_638 Depth=1
	s_or_b64 exec, exec, s[40:41]
	s_xor_b64 s[2:3], s[42:43], -1
	s_andn2_b64 s[22:23], s[22:23], exec
	s_and_b64 s[2:3], s[2:3], exec
	s_or_b64 s[22:23], s[22:23], s[2:3]
.LBB1238_722:                           ;   in Loop: Header=BB1238_638 Depth=1
	s_or_b64 exec, exec, s[28:29]
	s_orn2_b64 s[22:23], s[22:23], exec
.LBB1238_723:                           ;   in Loop: Header=BB1238_638 Depth=1
	s_or_b64 exec, exec, s[26:27]
	v_cndmask_b32_e64 v2, v113, v14, s[22:23]
	v_cndmask_b32_e64 v3, v84, v83, s[22:23]
	v_add_u32_e32 v12, 1, v2
	v_add_u32_e32 v2, -1, v3
	v_min_u32_e32 v2, v12, v2
	v_lshlrev_b32_e32 v2, 3, v2
	ds_read_b64 v[10:11], v2
	v_cndmask_b32_e64 v13, v12, v113, s[22:23]
	v_cmp_lt_u32_e64 s[2:3], v13, v84
	s_waitcnt lgkmcnt(0)
	v_cndmask_b32_e64 v3, v103, v11, s[22:23]
	v_cndmask_b32_e64 v2, v112, v10, s[22:23]
	s_and_saveexec_b64 s[26:27], s[2:3]
	s_cbranch_execz .LBB1238_733
; %bb.724:                              ;   in Loop: Header=BB1238_638 Depth=1
	v_cndmask_b32_e64 v113, v10, v102, s[22:23]
	v_cndmask_b32_e64 v10, v14, v12, s[22:23]
	;; [unrolled: 1-line block ×3, first 2 shown]
	v_cmp_ge_u32_e64 s[2:3], v10, v83
	s_nor_b64 s[40:41], s[2:3], s[0:1]
	s_nop 0
	v_cndmask_b32_e64 v11, v3, v84, s[2:3]
	v_cndmask_b32_e64 v10, v2, v113, s[2:3]
	s_and_saveexec_b64 s[28:29], s[40:41]
	s_cbranch_execz .LBB1238_732
; %bb.725:                              ;   in Loop: Header=BB1238_638 Depth=1
	v_mad_u64_u32 v[10:11], s[2:3], v22, v2, v[8:9]
	v_mul_lo_u32 v12, v22, v3
	v_mul_lo_u32 v13, v23, v2
	v_add3_u32 v11, v13, v11, v12
	v_mad_u64_u32 v[12:13], s[2:3], v22, v113, v[8:9]
	v_mul_lo_u32 v14, v22, v84
	v_mul_lo_u32 v15, v23, v113
	v_add3_u32 v13, v15, v13, v14
	s_mov_b64 s[40:41], 0
	v_mov_b64_e32 v[14:15], v[6:7]
                                        ; implicit-def: $sgpr42_sgpr43
                                        ; implicit-def: $sgpr44_sgpr45
                                        ; implicit-def: $sgpr58_sgpr59
	s_branch .LBB1238_727
.LBB1238_726:                           ;   in Loop: Header=BB1238_727 Depth=2
	s_or_b64 exec, exec, s[58:59]
	s_and_b64 s[2:3], exec, s[56:57]
	s_or_b64 s[40:41], s[2:3], s[40:41]
	s_andn2_b64 s[2:3], s[42:43], exec
	s_and_b64 s[42:43], s[44:45], exec
	s_or_b64 s[42:43], s[2:3], s[42:43]
	s_mov_b64 s[58:59], s[46:47]
	s_andn2_b64 exec, exec, s[40:41]
	s_cbranch_execz .LBB1238_731
.LBB1238_727:                           ;   Parent Loop BB1238_638 Depth=1
                                        ; =>  This Inner Loop Header: Depth=2
	flat_load_ushort v83, v[12:13]
	flat_load_ushort v114, v[10:11]
	s_mov_b64 s[56:57], -1
	s_mov_b64 s[60:61], 0
	s_mov_b64 s[46:47], -1
	s_waitcnt vmcnt(0) lgkmcnt(0)
	v_cmp_nlt_f16_e64 s[2:3], v83, v114
	s_and_saveexec_b64 s[62:63], s[2:3]
; %bb.728:                              ;   in Loop: Header=BB1238_727 Depth=2
	v_cmp_ngt_f16_e64 s[2:3], v83, v114
	s_and_b64 s[46:47], s[2:3], s[58:59]
	s_orn2_b64 s[46:47], s[46:47], exec
	s_and_b64 s[60:61], s[2:3], exec
; %bb.729:                              ;   in Loop: Header=BB1238_727 Depth=2
	s_or_b64 exec, exec, s[62:63]
	s_andn2_b64 s[2:3], s[44:45], exec
	s_and_b64 s[44:45], s[46:47], exec
	s_or_b64 s[44:45], s[2:3], s[44:45]
	s_and_saveexec_b64 s[58:59], s[60:61]
	s_cbranch_execz .LBB1238_726
; %bb.730:                              ;   in Loop: Header=BB1238_727 Depth=2
	v_lshl_add_u64 v[14:15], v[14:15], 0, -1
	v_cmp_eq_u64_e64 s[2:3], 0, v[14:15]
	v_lshl_add_u64 v[10:11], v[10:11], 0, 2
	v_lshl_add_u64 v[12:13], v[12:13], 0, 2
	s_andn2_b64 s[44:45], s[44:45], exec
	s_orn2_b64 s[56:57], s[2:3], exec
	s_branch .LBB1238_726
.LBB1238_731:                           ;   in Loop: Header=BB1238_638 Depth=1
	s_or_b64 exec, exec, s[40:41]
	v_cndmask_b32_e64 v11, v3, v84, s[42:43]
	v_cndmask_b32_e64 v10, v2, v113, s[42:43]
.LBB1238_732:                           ;   in Loop: Header=BB1238_638 Depth=1
	s_or_b64 exec, exec, s[28:29]
	v_mov_b64_e32 v[2:3], v[10:11]
.LBB1238_733:                           ;   in Loop: Header=BB1238_638 Depth=1
	s_or_b64 exec, exec, s[26:27]
	v_cndmask_b32_e64 v13, v97, v99, s[24:25]
	v_cndmask_b32_e64 v12, v98, v100, s[24:25]
	;; [unrolled: 1-line block ×14, first 2 shown]
.LBB1238_734:                           ;   in Loop: Header=BB1238_638 Depth=1
	s_or_b64 exec, exec, s[14:15]
	s_cmpk_lt_u32 s72, 0x400
	s_barrier
	s_cbranch_scc0 .LBB1238_736
; %bb.735:                              ;   in Loop: Header=BB1238_638 Depth=1
	s_mov_b32 s72, s73
	s_branch .LBB1238_638
.LBB1238_736:
	s_barrier
	ds_write_b64 v54, v[18:19]
	ds_write_b64 v64, v[20:21]
	;; [unrolled: 1-line block ×8, first 2 shown]
	s_waitcnt lgkmcnt(0)
	s_barrier
	ds_read_b64 v[0:1], v29
	ds_read_b64 v[2:3], v55
	;; [unrolled: 1-line block ×8, first 2 shown]
	v_mov_b32_e32 v29, 0
	v_lshl_add_u64 v[18:19], v[4:5], 0, v[28:29]
	s_movk_i32 s0, 0x1000
	s_waitcnt lgkmcnt(7)
	flat_store_dwordx2 v[18:19], v[0:1]
	s_waitcnt lgkmcnt(0)
	flat_store_dwordx2 v[18:19], v[2:3] offset:2048
	v_add_co_u32_e32 v0, vcc, s0, v18
	s_mov_b64 s[24:25], exec
	s_nop 0
	v_addc_co_u32_e32 v1, vcc, 0, v19, vcc
	flat_store_dwordx2 v[0:1], v[6:7]
	flat_store_dwordx2 v[0:1], v[8:9] offset:2048
	v_add_co_u32_e32 v0, vcc, 0x2000, v18
                                        ; implicit-def: $vgpr6_vgpr7
                                        ; implicit-def: $vgpr2_vgpr3
                                        ; implicit-def: $vgpr8_vgpr9
                                        ; implicit-def: $vgpr30
                                        ; implicit-def: $vgpr31
                                        ; implicit-def: $vgpr28
	s_nop 1
	v_addc_co_u32_e32 v1, vcc, 0, v19, vcc
	flat_store_dwordx2 v[0:1], v[10:11]
	flat_store_dwordx2 v[0:1], v[12:13] offset:2048
	v_add_co_u32_e32 v0, vcc, 0x3000, v18
                                        ; implicit-def: $vgpr10
	s_nop 1
	v_addc_co_u32_e32 v1, vcc, 0, v19, vcc
	flat_store_dwordx2 v[0:1], v[14:15]
                                        ; implicit-def: $vgpr0
                                        ; implicit-def: $vgpr1
	s_andn2_saveexec_b64 s[26:27], s[10:11]
	s_cbranch_execz .LBB1238_2
.LBB1238_737:
	v_cmp_lt_u32_e32 vcc, v26, v0
                                        ; implicit-def: $vgpr18_vgpr19
	s_and_saveexec_b64 s[0:1], vcc
	s_cbranch_execz .LBB1238_739
; %bb.738:
	v_mov_b32_e32 v29, 0
	v_lshl_add_u64 v[12:13], v[2:3], 0, v[28:29]
	flat_load_dwordx2 v[18:19], v[12:13]
.LBB1238_739:
	s_or_b64 exec, exec, s[0:1]
	v_add_u32_e32 v11, 0x100, v26
	v_cmp_lt_u32_e64 s[0:1], v11, v0
                                        ; implicit-def: $vgpr20_vgpr21
	s_and_saveexec_b64 s[2:3], s[0:1]
	s_cbranch_execz .LBB1238_741
; %bb.740:
	v_mov_b32_e32 v29, 0
	v_lshl_add_u64 v[12:13], v[2:3], 0, v[28:29]
	flat_load_dwordx2 v[20:21], v[12:13] offset:2048
.LBB1238_741:
	s_or_b64 exec, exec, s[2:3]
	v_add_u32_e32 v12, 0x200, v26
	v_cmp_lt_u32_e64 s[2:3], v12, v0
                                        ; implicit-def: $vgpr22_vgpr23
	s_and_saveexec_b64 s[4:5], s[2:3]
	s_cbranch_execz .LBB1238_743
; %bb.742:
	v_lshlrev_b32_e32 v14, 3, v12
	v_mov_b32_e32 v15, 0
	v_lshl_add_u64 v[14:15], v[2:3], 0, v[14:15]
	flat_load_dwordx2 v[22:23], v[14:15]
.LBB1238_743:
	s_or_b64 exec, exec, s[4:5]
	v_add_u32_e32 v13, 0x300, v26
	v_cmp_lt_u32_e64 s[4:5], v13, v0
                                        ; implicit-def: $vgpr24_vgpr25
	s_and_saveexec_b64 s[6:7], s[4:5]
	s_cbranch_execz .LBB1238_745
; %bb.744:
	v_lshlrev_b32_e32 v14, 3, v13
	v_mov_b32_e32 v15, 0
	v_lshl_add_u64 v[14:15], v[2:3], 0, v[14:15]
	flat_load_dwordx2 v[24:25], v[14:15]
.LBB1238_745:
	s_or_b64 exec, exec, s[6:7]
	v_or_b32_e32 v14, 0x400, v26
	v_cmp_lt_u32_e64 s[6:7], v14, v0
                                        ; implicit-def: $vgpr32_vgpr33
	s_and_saveexec_b64 s[10:11], s[6:7]
	s_cbranch_execz .LBB1238_747
; %bb.746:
	v_lshlrev_b32_e32 v16, 3, v14
	v_mov_b32_e32 v17, 0
	v_lshl_add_u64 v[16:17], v[2:3], 0, v[16:17]
	flat_load_dwordx2 v[32:33], v[16:17]
.LBB1238_747:
	s_or_b64 exec, exec, s[10:11]
	v_add_u32_e32 v15, 0x500, v26
	v_cmp_lt_u32_e64 s[10:11], v15, v0
                                        ; implicit-def: $vgpr34_vgpr35
	s_and_saveexec_b64 s[14:15], s[10:11]
	s_cbranch_execz .LBB1238_749
; %bb.748:
	v_lshlrev_b32_e32 v16, 3, v15
	v_mov_b32_e32 v17, 0
	v_lshl_add_u64 v[16:17], v[2:3], 0, v[16:17]
	flat_load_dwordx2 v[34:35], v[16:17]
.LBB1238_749:
	s_or_b64 exec, exec, s[14:15]
	v_add_u32_e32 v16, 0x600, v26
	v_cmp_lt_u32_e64 s[22:23], v16, v0
                                        ; implicit-def: $vgpr38_vgpr39
	s_and_saveexec_b64 s[14:15], s[22:23]
	s_cbranch_execz .LBB1238_751
; %bb.750:
	v_lshlrev_b32_e32 v36, 3, v16
	v_mov_b32_e32 v37, 0
	v_lshl_add_u64 v[36:37], v[2:3], 0, v[36:37]
	flat_load_dwordx2 v[38:39], v[36:37]
.LBB1238_751:
	s_or_b64 exec, exec, s[14:15]
	v_add_u32_e32 v17, 0x700, v26
	v_cmp_lt_u32_e64 s[14:15], v17, v0
                                        ; implicit-def: $vgpr48_vgpr49
	s_and_saveexec_b64 s[16:17], s[14:15]
	s_cbranch_execz .LBB1238_753
; %bb.752:
	v_lshlrev_b32_e32 v36, 3, v17
	v_mov_b32_e32 v37, 0
	v_lshl_add_u64 v[2:3], v[2:3], 0, v[36:37]
	flat_load_dwordx2 v[48:49], v[2:3]
.LBB1238_753:
	s_or_b64 exec, exec, s[16:17]
	v_lshrrev_b32_e32 v2, 5, v13
	v_add_lshl_u32 v29, v2, v13, 3
	v_lshrrev_b32_e32 v2, 5, v14
	v_add_lshl_u32 v52, v2, v14, 3
	;; [unrolled: 2-line block ×7, first 2 shown]
	v_add_lshl_u32 v55, v2, v17, 3
	v_add_lshl_u32 v64, v10, v28, 3
	s_waitcnt vmcnt(0) lgkmcnt(0)
	ds_write_b64 v27, v[18:19]
	ds_write_b64 v36, v[20:21] offset:2048
	ds_write_b64 v1, v[22:23]
	ds_write_b64 v29, v[24:25]
	;; [unrolled: 1-line block ×6, first 2 shown]
	s_waitcnt lgkmcnt(0)
	s_barrier
	ds_read2_b64 v[22:25], v64 offset1:1
	ds_read2_b64 v[18:21], v64 offset0:2 offset1:3
	ds_read2_b64 v[14:17], v64 offset0:4 offset1:5
	;; [unrolled: 1-line block ×3, first 2 shown]
	s_waitcnt lgkmcnt(0)
	s_barrier
	s_load_dwordx2 s[16:17], s[8:9], 0x0
	v_mov_b32_e32 v2, 0
	s_mov_b64 s[28:29], 0
	s_waitcnt lgkmcnt(0)
	s_cmp_lt_u32 s12, s16
	s_cselect_b32 s16, 12, 18
	s_cmp_lt_u32 s13, s17
	s_cselect_b32 s12, 14, 20
	s_add_u32 s12, s8, s12
	s_addc_u32 s13, s9, 0
	s_add_u32 s8, s8, s16
	s_addc_u32 s9, s9, 0
	global_load_ushort v3, v2, s[12:13]
	global_load_ushort v32, v2, s[8:9]
	v_cmp_lt_i64_e64 s[16:17], 0, v[6:7]
	v_cmp_gt_i64_e64 s[8:9], 1, v[6:7]
	s_waitcnt vmcnt(1)
	v_mad_u32_u24 v2, v31, v3, v30
	s_waitcnt vmcnt(0)
	v_mul_lo_u32 v2, v2, v32
	v_add_lshl_u32 v34, v2, v26, 3
	v_sub_u32_e64 v35, v0, v34 clamp
	v_cmp_lt_u32_e64 s[12:13], 1, v35
	s_and_b64 s[18:19], s[12:13], s[16:17]
	s_and_saveexec_b64 s[20:21], s[18:19]
	s_cbranch_execz .LBB1238_763
; %bb.754:
	v_mul_lo_u32 v30, v23, v6
	v_mul_lo_u32 v31, v22, v7
	v_mad_u64_u32 v[2:3], s[12:13], v22, v6, 0
	v_add3_u32 v3, v3, v31, v30
	v_mul_lo_u32 v32, v25, v6
	v_mul_lo_u32 v33, v24, v7
	v_mad_u64_u32 v[30:31], s[12:13], v24, v6, 0
	v_add3_u32 v31, v31, v33, v32
	v_lshl_add_u64 v[2:3], v[2:3], 1, v[8:9]
	v_lshl_add_u64 v[30:31], v[30:31], 1, v[8:9]
	v_mov_b64_e32 v[32:33], v[6:7]
                                        ; implicit-def: $sgpr40_sgpr41
                                        ; implicit-def: $sgpr42_sgpr43
                                        ; implicit-def: $sgpr44_sgpr45
                                        ; implicit-def: $sgpr46_sgpr47
                                        ; implicit-def: $sgpr56_sgpr57
	s_branch .LBB1238_756
.LBB1238_755:                           ;   in Loop: Header=BB1238_756 Depth=1
	s_or_b64 exec, exec, s[56:57]
	s_and_b64 s[12:13], exec, s[12:13]
	s_or_b64 s[28:29], s[12:13], s[28:29]
	s_andn2_b64 s[12:13], s[42:43], exec
	s_and_b64 s[42:43], s[44:45], exec
	s_or_b64 s[42:43], s[12:13], s[42:43]
	s_andn2_b64 s[12:13], s[40:41], exec
	s_and_b64 s[40:41], s[46:47], exec
	s_or_b64 s[40:41], s[12:13], s[40:41]
	s_mov_b64 s[56:57], s[46:47]
	s_andn2_b64 exec, exec, s[28:29]
	s_cbranch_execz .LBB1238_760
.LBB1238_756:                           ; =>This Inner Loop Header: Depth=1
	flat_load_ushort v37, v[30:31]
	flat_load_ushort v38, v[2:3]
	s_mov_b64 s[58:59], 0
	s_or_b64 s[46:47], s[46:47], exec
	s_waitcnt vmcnt(0) lgkmcnt(0)
	v_cmp_nlt_f16_e64 s[12:13], v37, v38
	s_and_saveexec_b64 s[60:61], s[12:13]
; %bb.757:                              ;   in Loop: Header=BB1238_756 Depth=1
	v_cmp_ngt_f16_e64 s[12:13], v37, v38
	s_and_b64 s[56:57], s[12:13], s[56:57]
	s_andn2_b64 s[46:47], s[46:47], exec
	s_and_b64 s[56:57], s[56:57], exec
	s_or_b64 s[46:47], s[46:47], s[56:57]
	s_and_b64 s[58:59], s[12:13], exec
; %bb.758:                              ;   in Loop: Header=BB1238_756 Depth=1
	s_or_b64 exec, exec, s[60:61]
	s_mov_b64 s[12:13], -1
	s_or_b64 s[44:45], s[44:45], exec
	s_and_saveexec_b64 s[56:57], s[58:59]
	s_cbranch_execz .LBB1238_755
; %bb.759:                              ;   in Loop: Header=BB1238_756 Depth=1
	v_lshl_add_u64 v[32:33], v[32:33], 0, -1
	v_cmp_eq_u64_e64 s[12:13], 0, v[32:33]
	v_lshl_add_u64 v[2:3], v[2:3], 0, 2
	v_lshl_add_u64 v[30:31], v[30:31], 0, 2
	s_andn2_b64 s[44:45], s[44:45], exec
	s_orn2_b64 s[12:13], s[12:13], exec
	s_branch .LBB1238_755
.LBB1238_760:
	s_or_b64 exec, exec, s[28:29]
	s_and_saveexec_b64 s[12:13], s[42:43]
	s_xor_b64 s[12:13], exec, s[12:13]
; %bb.761:
	v_cndmask_b32_e64 v3, v25, v23, s[40:41]
	v_cndmask_b32_e64 v2, v24, v22, s[40:41]
	;; [unrolled: 1-line block ×4, first 2 shown]
	v_mov_b64_e32 v[24:25], v[2:3]
; %bb.762:
	s_or_b64 exec, exec, s[12:13]
.LBB1238_763:
	s_or_b64 exec, exec, s[20:21]
	v_cmp_lt_u32_e64 s[12:13], 3, v35
	s_xor_b64 s[28:29], s[8:9], -1
	v_add_u32_e32 v65, 0x800, v36
	v_add_u32_e32 v66, 8, v64
	;; [unrolled: 1-line block ×8, first 2 shown]
	s_and_b64 s[20:21], s[12:13], s[28:29]
	s_and_saveexec_b64 s[40:41], s[20:21]
	s_cbranch_execz .LBB1238_773
; %bb.764:
	v_mul_lo_u32 v30, v19, v6
	v_mul_lo_u32 v31, v18, v7
	v_mad_u64_u32 v[2:3], s[12:13], v18, v6, 0
	v_add3_u32 v3, v3, v31, v30
	v_mul_lo_u32 v32, v21, v6
	v_mul_lo_u32 v33, v20, v7
	v_mad_u64_u32 v[30:31], s[12:13], v20, v6, 0
	v_add3_u32 v31, v31, v33, v32
	v_lshl_add_u64 v[2:3], v[2:3], 1, v[8:9]
	v_lshl_add_u64 v[30:31], v[30:31], 1, v[8:9]
	s_mov_b64 s[44:45], 0
	v_mov_b64_e32 v[32:33], v[6:7]
                                        ; implicit-def: $sgpr42_sgpr43
                                        ; implicit-def: $sgpr46_sgpr47
                                        ; implicit-def: $sgpr56_sgpr57
                                        ; implicit-def: $sgpr58_sgpr59
                                        ; implicit-def: $sgpr60_sgpr61
	s_branch .LBB1238_766
.LBB1238_765:                           ;   in Loop: Header=BB1238_766 Depth=1
	s_or_b64 exec, exec, s[60:61]
	s_and_b64 s[12:13], exec, s[12:13]
	s_or_b64 s[44:45], s[12:13], s[44:45]
	s_andn2_b64 s[12:13], s[46:47], exec
	s_and_b64 s[46:47], s[56:57], exec
	s_or_b64 s[46:47], s[12:13], s[46:47]
	s_andn2_b64 s[12:13], s[42:43], exec
	s_and_b64 s[42:43], s[58:59], exec
	s_or_b64 s[42:43], s[12:13], s[42:43]
	s_mov_b64 s[60:61], s[58:59]
	s_andn2_b64 exec, exec, s[44:45]
	s_cbranch_execz .LBB1238_770
.LBB1238_766:                           ; =>This Inner Loop Header: Depth=1
	flat_load_ushort v36, v[30:31]
	flat_load_ushort v37, v[2:3]
	s_or_b64 s[58:59], s[58:59], exec
	s_mov_b64 s[62:63], 0
	s_waitcnt vmcnt(0) lgkmcnt(0)
	v_cmp_nlt_f16_e64 s[12:13], v36, v37
	s_and_saveexec_b64 s[72:73], s[12:13]
; %bb.767:                              ;   in Loop: Header=BB1238_766 Depth=1
	v_cmp_ngt_f16_e64 s[12:13], v36, v37
	s_and_b64 s[60:61], s[12:13], s[60:61]
	s_andn2_b64 s[58:59], s[58:59], exec
	s_and_b64 s[60:61], s[60:61], exec
	s_or_b64 s[58:59], s[58:59], s[60:61]
	s_and_b64 s[62:63], s[12:13], exec
; %bb.768:                              ;   in Loop: Header=BB1238_766 Depth=1
	s_or_b64 exec, exec, s[72:73]
	s_mov_b64 s[12:13], -1
	s_or_b64 s[56:57], s[56:57], exec
	s_and_saveexec_b64 s[60:61], s[62:63]
	s_cbranch_execz .LBB1238_765
; %bb.769:                              ;   in Loop: Header=BB1238_766 Depth=1
	v_lshl_add_u64 v[32:33], v[32:33], 0, -1
	v_cmp_eq_u64_e64 s[12:13], 0, v[32:33]
	v_lshl_add_u64 v[2:3], v[2:3], 0, 2
	v_lshl_add_u64 v[30:31], v[30:31], 0, 2
	s_andn2_b64 s[56:57], s[56:57], exec
	s_orn2_b64 s[12:13], s[12:13], exec
	s_branch .LBB1238_765
.LBB1238_770:
	s_or_b64 exec, exec, s[44:45]
	s_and_saveexec_b64 s[12:13], s[46:47]
	s_xor_b64 s[12:13], exec, s[12:13]
; %bb.771:
	v_cndmask_b32_e64 v3, v19, v21, s[42:43]
	v_cndmask_b32_e64 v2, v18, v20, s[42:43]
	;; [unrolled: 1-line block ×4, first 2 shown]
	v_mov_b64_e32 v[18:19], v[2:3]
; %bb.772:
	s_or_b64 exec, exec, s[12:13]
.LBB1238_773:
	s_or_b64 exec, exec, s[40:41]
	v_cmp_lt_u32_e64 s[12:13], 5, v35
	s_and_b64 s[40:41], s[12:13], s[28:29]
	s_and_saveexec_b64 s[42:43], s[40:41]
	s_cbranch_execz .LBB1238_783
; %bb.774:
	v_mul_lo_u32 v30, v15, v6
	v_mul_lo_u32 v31, v14, v7
	v_mad_u64_u32 v[2:3], s[12:13], v14, v6, 0
	v_add3_u32 v3, v3, v31, v30
	v_mul_lo_u32 v32, v17, v6
	v_mul_lo_u32 v33, v16, v7
	v_mad_u64_u32 v[30:31], s[12:13], v16, v6, 0
	v_add3_u32 v31, v31, v33, v32
	v_lshl_add_u64 v[2:3], v[2:3], 1, v[8:9]
	v_lshl_add_u64 v[30:31], v[30:31], 1, v[8:9]
	s_mov_b64 s[46:47], 0
	v_mov_b64_e32 v[32:33], v[6:7]
                                        ; implicit-def: $sgpr44_sgpr45
                                        ; implicit-def: $sgpr56_sgpr57
                                        ; implicit-def: $sgpr58_sgpr59
                                        ; implicit-def: $sgpr60_sgpr61
                                        ; implicit-def: $sgpr62_sgpr63
	s_branch .LBB1238_776
.LBB1238_775:                           ;   in Loop: Header=BB1238_776 Depth=1
	s_or_b64 exec, exec, s[62:63]
	s_and_b64 s[12:13], exec, s[12:13]
	s_or_b64 s[46:47], s[12:13], s[46:47]
	s_andn2_b64 s[12:13], s[56:57], exec
	s_and_b64 s[56:57], s[58:59], exec
	s_or_b64 s[56:57], s[12:13], s[56:57]
	s_andn2_b64 s[12:13], s[44:45], exec
	s_and_b64 s[44:45], s[60:61], exec
	s_or_b64 s[44:45], s[12:13], s[44:45]
	s_mov_b64 s[62:63], s[60:61]
	s_andn2_b64 exec, exec, s[46:47]
	s_cbranch_execz .LBB1238_780
.LBB1238_776:                           ; =>This Inner Loop Header: Depth=1
	flat_load_ushort v36, v[30:31]
	flat_load_ushort v37, v[2:3]
	s_or_b64 s[60:61], s[60:61], exec
	s_mov_b64 s[72:73], 0
	s_waitcnt vmcnt(0) lgkmcnt(0)
	v_cmp_nlt_f16_e64 s[12:13], v36, v37
	s_and_saveexec_b64 s[74:75], s[12:13]
; %bb.777:                              ;   in Loop: Header=BB1238_776 Depth=1
	v_cmp_ngt_f16_e64 s[12:13], v36, v37
	s_and_b64 s[62:63], s[12:13], s[62:63]
	s_andn2_b64 s[60:61], s[60:61], exec
	s_and_b64 s[62:63], s[62:63], exec
	s_or_b64 s[60:61], s[60:61], s[62:63]
	s_and_b64 s[72:73], s[12:13], exec
; %bb.778:                              ;   in Loop: Header=BB1238_776 Depth=1
	s_or_b64 exec, exec, s[74:75]
	s_mov_b64 s[12:13], -1
	s_or_b64 s[58:59], s[58:59], exec
	s_and_saveexec_b64 s[62:63], s[72:73]
	s_cbranch_execz .LBB1238_775
; %bb.779:                              ;   in Loop: Header=BB1238_776 Depth=1
	v_lshl_add_u64 v[32:33], v[32:33], 0, -1
	v_cmp_eq_u64_e64 s[12:13], 0, v[32:33]
	v_lshl_add_u64 v[2:3], v[2:3], 0, 2
	v_lshl_add_u64 v[30:31], v[30:31], 0, 2
	s_andn2_b64 s[58:59], s[58:59], exec
	s_orn2_b64 s[12:13], s[12:13], exec
	s_branch .LBB1238_775
.LBB1238_780:
	s_or_b64 exec, exec, s[46:47]
	s_and_saveexec_b64 s[12:13], s[56:57]
	s_xor_b64 s[12:13], exec, s[12:13]
; %bb.781:
	v_cndmask_b32_e64 v3, v15, v17, s[44:45]
	v_cndmask_b32_e64 v2, v14, v16, s[44:45]
	;; [unrolled: 1-line block ×4, first 2 shown]
	v_mov_b64_e32 v[14:15], v[2:3]
; %bb.782:
	s_or_b64 exec, exec, s[12:13]
.LBB1238_783:
	s_or_b64 exec, exec, s[42:43]
	v_cmp_lt_u32_e64 s[12:13], 7, v35
	s_and_b64 s[42:43], s[12:13], s[28:29]
	s_and_saveexec_b64 s[44:45], s[42:43]
	s_cbranch_execz .LBB1238_793
; %bb.784:
	v_mul_lo_u32 v30, v11, v6
	v_mul_lo_u32 v31, v10, v7
	v_mad_u64_u32 v[2:3], s[12:13], v10, v6, 0
	v_add3_u32 v3, v3, v31, v30
	v_mul_lo_u32 v32, v13, v6
	v_mul_lo_u32 v33, v12, v7
	v_mad_u64_u32 v[30:31], s[12:13], v12, v6, 0
	v_add3_u32 v31, v31, v33, v32
	v_lshl_add_u64 v[2:3], v[2:3], 1, v[8:9]
	v_lshl_add_u64 v[30:31], v[30:31], 1, v[8:9]
	s_mov_b64 s[56:57], 0
	v_mov_b64_e32 v[32:33], v[6:7]
                                        ; implicit-def: $sgpr46_sgpr47
                                        ; implicit-def: $sgpr58_sgpr59
                                        ; implicit-def: $sgpr60_sgpr61
                                        ; implicit-def: $sgpr62_sgpr63
                                        ; implicit-def: $sgpr72_sgpr73
	s_branch .LBB1238_786
.LBB1238_785:                           ;   in Loop: Header=BB1238_786 Depth=1
	s_or_b64 exec, exec, s[72:73]
	s_and_b64 s[12:13], exec, s[12:13]
	s_or_b64 s[56:57], s[12:13], s[56:57]
	s_andn2_b64 s[12:13], s[58:59], exec
	s_and_b64 s[58:59], s[60:61], exec
	s_or_b64 s[58:59], s[12:13], s[58:59]
	s_andn2_b64 s[12:13], s[46:47], exec
	s_and_b64 s[46:47], s[62:63], exec
	s_or_b64 s[46:47], s[12:13], s[46:47]
	s_mov_b64 s[72:73], s[62:63]
	s_andn2_b64 exec, exec, s[56:57]
	s_cbranch_execz .LBB1238_790
.LBB1238_786:                           ; =>This Inner Loop Header: Depth=1
	flat_load_ushort v36, v[30:31]
	flat_load_ushort v37, v[2:3]
	s_or_b64 s[62:63], s[62:63], exec
	s_mov_b64 s[74:75], 0
	s_waitcnt vmcnt(0) lgkmcnt(0)
	v_cmp_nlt_f16_e64 s[12:13], v36, v37
	s_and_saveexec_b64 s[76:77], s[12:13]
; %bb.787:                              ;   in Loop: Header=BB1238_786 Depth=1
	v_cmp_ngt_f16_e64 s[12:13], v36, v37
	s_and_b64 s[72:73], s[12:13], s[72:73]
	s_andn2_b64 s[62:63], s[62:63], exec
	s_and_b64 s[72:73], s[72:73], exec
	s_or_b64 s[62:63], s[62:63], s[72:73]
	s_and_b64 s[74:75], s[12:13], exec
; %bb.788:                              ;   in Loop: Header=BB1238_786 Depth=1
	s_or_b64 exec, exec, s[76:77]
	s_mov_b64 s[12:13], -1
	s_or_b64 s[60:61], s[60:61], exec
	s_and_saveexec_b64 s[72:73], s[74:75]
	s_cbranch_execz .LBB1238_785
; %bb.789:                              ;   in Loop: Header=BB1238_786 Depth=1
	v_lshl_add_u64 v[32:33], v[32:33], 0, -1
	v_cmp_eq_u64_e64 s[12:13], 0, v[32:33]
	v_lshl_add_u64 v[2:3], v[2:3], 0, 2
	v_lshl_add_u64 v[30:31], v[30:31], 0, 2
	s_andn2_b64 s[60:61], s[60:61], exec
	s_orn2_b64 s[12:13], s[12:13], exec
	s_branch .LBB1238_785
.LBB1238_790:
	s_or_b64 exec, exec, s[56:57]
	s_and_saveexec_b64 s[12:13], s[58:59]
	s_xor_b64 s[12:13], exec, s[12:13]
; %bb.791:
	v_cndmask_b32_e64 v3, v11, v13, s[46:47]
	v_cndmask_b32_e64 v2, v10, v12, s[46:47]
	;; [unrolled: 1-line block ×4, first 2 shown]
	v_mov_b64_e32 v[10:11], v[2:3]
; %bb.792:
	s_or_b64 exec, exec, s[12:13]
.LBB1238_793:
	s_or_b64 exec, exec, s[44:45]
	v_cmp_lt_u32_e64 s[12:13], 2, v35
	s_and_b64 s[44:45], s[12:13], s[28:29]
	s_and_saveexec_b64 s[12:13], s[44:45]
	s_xor_b64 s[46:47], exec, s[12:13]
	s_cbranch_execz .LBB1238_803
; %bb.794:
	v_mul_lo_u32 v30, v25, v6
	v_mul_lo_u32 v31, v24, v7
	v_mad_u64_u32 v[2:3], s[12:13], v24, v6, 0
	v_add3_u32 v3, v3, v31, v30
	v_mul_lo_u32 v32, v19, v6
	v_mul_lo_u32 v33, v18, v7
	v_mad_u64_u32 v[30:31], s[12:13], v18, v6, 0
	v_add3_u32 v31, v31, v33, v32
	v_lshl_add_u64 v[2:3], v[2:3], 1, v[8:9]
	v_lshl_add_u64 v[30:31], v[30:31], 1, v[8:9]
	s_mov_b64 s[58:59], 0
	v_mov_b64_e32 v[32:33], v[6:7]
                                        ; implicit-def: $sgpr56_sgpr57
                                        ; implicit-def: $sgpr60_sgpr61
                                        ; implicit-def: $sgpr62_sgpr63
                                        ; implicit-def: $sgpr72_sgpr73
                                        ; implicit-def: $sgpr74_sgpr75
	s_branch .LBB1238_796
.LBB1238_795:                           ;   in Loop: Header=BB1238_796 Depth=1
	s_or_b64 exec, exec, s[74:75]
	s_and_b64 s[12:13], exec, s[12:13]
	s_or_b64 s[58:59], s[12:13], s[58:59]
	s_andn2_b64 s[12:13], s[60:61], exec
	s_and_b64 s[60:61], s[62:63], exec
	s_or_b64 s[60:61], s[12:13], s[60:61]
	s_andn2_b64 s[12:13], s[56:57], exec
	s_and_b64 s[56:57], s[72:73], exec
	s_or_b64 s[56:57], s[12:13], s[56:57]
	s_mov_b64 s[74:75], s[72:73]
	s_andn2_b64 exec, exec, s[58:59]
	s_cbranch_execz .LBB1238_800
.LBB1238_796:                           ; =>This Inner Loop Header: Depth=1
	flat_load_ushort v36, v[30:31]
	flat_load_ushort v37, v[2:3]
	s_or_b64 s[72:73], s[72:73], exec
	s_mov_b64 s[76:77], 0
	s_waitcnt vmcnt(0) lgkmcnt(0)
	v_cmp_nlt_f16_e64 s[12:13], v36, v37
	s_and_saveexec_b64 s[78:79], s[12:13]
; %bb.797:                              ;   in Loop: Header=BB1238_796 Depth=1
	v_cmp_ngt_f16_e64 s[12:13], v36, v37
	s_and_b64 s[74:75], s[12:13], s[74:75]
	s_andn2_b64 s[72:73], s[72:73], exec
	s_and_b64 s[74:75], s[74:75], exec
	s_or_b64 s[72:73], s[72:73], s[74:75]
	s_and_b64 s[76:77], s[12:13], exec
; %bb.798:                              ;   in Loop: Header=BB1238_796 Depth=1
	s_or_b64 exec, exec, s[78:79]
	s_mov_b64 s[12:13], -1
	s_or_b64 s[62:63], s[62:63], exec
	s_and_saveexec_b64 s[74:75], s[76:77]
	s_cbranch_execz .LBB1238_795
; %bb.799:                              ;   in Loop: Header=BB1238_796 Depth=1
	v_lshl_add_u64 v[32:33], v[32:33], 0, -1
	v_cmp_eq_u64_e64 s[12:13], 0, v[32:33]
	v_lshl_add_u64 v[2:3], v[2:3], 0, 2
	v_lshl_add_u64 v[30:31], v[30:31], 0, 2
	s_andn2_b64 s[62:63], s[62:63], exec
	s_orn2_b64 s[12:13], s[12:13], exec
	s_branch .LBB1238_795
.LBB1238_800:
	s_or_b64 exec, exec, s[58:59]
	s_and_saveexec_b64 s[12:13], s[60:61]
	s_xor_b64 s[12:13], exec, s[12:13]
; %bb.801:
	v_cndmask_b32_e64 v3, v25, v19, s[56:57]
	v_cndmask_b32_e64 v2, v24, v18, s[56:57]
	;; [unrolled: 1-line block ×4, first 2 shown]
	v_mov_b64_e32 v[24:25], v[2:3]
; %bb.802:
	s_or_b64 exec, exec, s[12:13]
.LBB1238_803:
	s_or_b64 exec, exec, s[46:47]
	v_cmp_lt_u32_e64 s[12:13], 4, v35
	s_and_b64 s[46:47], s[12:13], s[28:29]
	s_and_saveexec_b64 s[56:57], s[46:47]
	s_cbranch_execz .LBB1238_813
; %bb.804:
	v_mul_lo_u32 v30, v21, v6
	v_mul_lo_u32 v31, v20, v7
	v_mad_u64_u32 v[2:3], s[12:13], v20, v6, 0
	v_add3_u32 v3, v3, v31, v30
	v_mul_lo_u32 v32, v15, v6
	v_mul_lo_u32 v33, v14, v7
	v_mad_u64_u32 v[30:31], s[12:13], v14, v6, 0
	v_add3_u32 v31, v31, v33, v32
	v_lshl_add_u64 v[2:3], v[2:3], 1, v[8:9]
	v_lshl_add_u64 v[30:31], v[30:31], 1, v[8:9]
	s_mov_b64 s[60:61], 0
	v_mov_b64_e32 v[32:33], v[6:7]
                                        ; implicit-def: $sgpr58_sgpr59
                                        ; implicit-def: $sgpr62_sgpr63
                                        ; implicit-def: $sgpr72_sgpr73
                                        ; implicit-def: $sgpr74_sgpr75
                                        ; implicit-def: $sgpr76_sgpr77
	s_branch .LBB1238_806
.LBB1238_805:                           ;   in Loop: Header=BB1238_806 Depth=1
	s_or_b64 exec, exec, s[76:77]
	s_and_b64 s[12:13], exec, s[12:13]
	s_or_b64 s[60:61], s[12:13], s[60:61]
	s_andn2_b64 s[12:13], s[62:63], exec
	s_and_b64 s[62:63], s[72:73], exec
	s_or_b64 s[62:63], s[12:13], s[62:63]
	s_andn2_b64 s[12:13], s[58:59], exec
	s_and_b64 s[58:59], s[74:75], exec
	s_or_b64 s[58:59], s[12:13], s[58:59]
	s_mov_b64 s[76:77], s[74:75]
	s_andn2_b64 exec, exec, s[60:61]
	s_cbranch_execz .LBB1238_810
.LBB1238_806:                           ; =>This Inner Loop Header: Depth=1
	flat_load_ushort v36, v[30:31]
	flat_load_ushort v37, v[2:3]
	s_or_b64 s[74:75], s[74:75], exec
	s_mov_b64 s[78:79], 0
	s_waitcnt vmcnt(0) lgkmcnt(0)
	v_cmp_nlt_f16_e64 s[12:13], v36, v37
	s_and_saveexec_b64 s[88:89], s[12:13]
; %bb.807:                              ;   in Loop: Header=BB1238_806 Depth=1
	v_cmp_ngt_f16_e64 s[12:13], v36, v37
	s_and_b64 s[76:77], s[12:13], s[76:77]
	s_andn2_b64 s[74:75], s[74:75], exec
	s_and_b64 s[76:77], s[76:77], exec
	s_or_b64 s[74:75], s[74:75], s[76:77]
	s_and_b64 s[78:79], s[12:13], exec
; %bb.808:                              ;   in Loop: Header=BB1238_806 Depth=1
	s_or_b64 exec, exec, s[88:89]
	s_mov_b64 s[12:13], -1
	s_or_b64 s[72:73], s[72:73], exec
	s_and_saveexec_b64 s[76:77], s[78:79]
	s_cbranch_execz .LBB1238_805
; %bb.809:                              ;   in Loop: Header=BB1238_806 Depth=1
	v_lshl_add_u64 v[32:33], v[32:33], 0, -1
	v_cmp_eq_u64_e64 s[12:13], 0, v[32:33]
	v_lshl_add_u64 v[2:3], v[2:3], 0, 2
	v_lshl_add_u64 v[30:31], v[30:31], 0, 2
	s_andn2_b64 s[72:73], s[72:73], exec
	s_orn2_b64 s[12:13], s[12:13], exec
	s_branch .LBB1238_805
.LBB1238_810:
	s_or_b64 exec, exec, s[60:61]
	s_and_saveexec_b64 s[12:13], s[62:63]
	s_xor_b64 s[12:13], exec, s[12:13]
; %bb.811:
	v_cndmask_b32_e64 v3, v21, v15, s[58:59]
	v_cndmask_b32_e64 v2, v20, v14, s[58:59]
	;; [unrolled: 1-line block ×4, first 2 shown]
	v_mov_b64_e32 v[20:21], v[2:3]
; %bb.812:
	s_or_b64 exec, exec, s[12:13]
.LBB1238_813:
	s_or_b64 exec, exec, s[56:57]
	v_cmp_lt_u32_e64 s[12:13], 6, v35
	s_and_b64 s[56:57], s[12:13], s[28:29]
	s_and_saveexec_b64 s[58:59], s[56:57]
	s_cbranch_execnz .LBB1238_835
; %bb.814:
	s_or_b64 exec, exec, s[58:59]
	s_and_saveexec_b64 s[58:59], s[18:19]
	s_cbranch_execnz .LBB1238_844
.LBB1238_815:
	s_or_b64 exec, exec, s[58:59]
	s_and_saveexec_b64 s[58:59], s[20:21]
	s_cbranch_execnz .LBB1238_853
.LBB1238_816:
	s_or_b64 exec, exec, s[58:59]
	s_and_saveexec_b64 s[58:59], s[40:41]
	s_cbranch_execnz .LBB1238_862
.LBB1238_817:
	s_or_b64 exec, exec, s[58:59]
	s_and_saveexec_b64 s[58:59], s[42:43]
	s_cbranch_execnz .LBB1238_871
.LBB1238_818:
	s_or_b64 exec, exec, s[58:59]
	s_and_saveexec_b64 s[58:59], s[44:45]
	s_cbranch_execnz .LBB1238_880
.LBB1238_819:
	s_or_b64 exec, exec, s[58:59]
	s_and_saveexec_b64 s[58:59], s[46:47]
	s_cbranch_execnz .LBB1238_889
.LBB1238_820:
	s_or_b64 exec, exec, s[58:59]
	s_and_saveexec_b64 s[58:59], s[56:57]
	s_cbranch_execnz .LBB1238_898
.LBB1238_821:
	s_or_b64 exec, exec, s[58:59]
	s_and_saveexec_b64 s[58:59], s[18:19]
	s_cbranch_execnz .LBB1238_907
.LBB1238_822:
	s_or_b64 exec, exec, s[58:59]
	s_and_saveexec_b64 s[58:59], s[20:21]
	s_cbranch_execnz .LBB1238_916
.LBB1238_823:
	s_or_b64 exec, exec, s[58:59]
	s_and_saveexec_b64 s[58:59], s[40:41]
	s_cbranch_execnz .LBB1238_925
.LBB1238_824:
	s_or_b64 exec, exec, s[58:59]
	s_and_saveexec_b64 s[58:59], s[42:43]
	s_cbranch_execnz .LBB1238_934
.LBB1238_825:
	s_or_b64 exec, exec, s[58:59]
	s_and_saveexec_b64 s[58:59], s[44:45]
	s_cbranch_execnz .LBB1238_943
.LBB1238_826:
	s_or_b64 exec, exec, s[58:59]
	s_and_saveexec_b64 s[58:59], s[46:47]
	s_cbranch_execnz .LBB1238_952
.LBB1238_827:
	s_or_b64 exec, exec, s[58:59]
	s_and_saveexec_b64 s[58:59], s[56:57]
	s_cbranch_execnz .LBB1238_961
.LBB1238_828:
	s_or_b64 exec, exec, s[58:59]
	s_and_saveexec_b64 s[58:59], s[18:19]
	s_cbranch_execnz .LBB1238_970
.LBB1238_829:
	s_or_b64 exec, exec, s[58:59]
	s_and_saveexec_b64 s[18:19], s[20:21]
	s_cbranch_execnz .LBB1238_979
.LBB1238_830:
	s_or_b64 exec, exec, s[18:19]
	s_and_saveexec_b64 s[18:19], s[40:41]
	s_cbranch_execnz .LBB1238_988
.LBB1238_831:
	s_or_b64 exec, exec, s[18:19]
	s_and_saveexec_b64 s[18:19], s[42:43]
	s_cbranch_execnz .LBB1238_997
.LBB1238_832:
	s_or_b64 exec, exec, s[18:19]
	s_and_saveexec_b64 s[18:19], s[44:45]
	s_cbranch_execnz .LBB1238_1006
.LBB1238_833:
	s_or_b64 exec, exec, s[18:19]
	s_and_saveexec_b64 s[18:19], s[46:47]
	s_cbranch_execnz .LBB1238_1015
.LBB1238_834:
	s_or_b64 exec, exec, s[18:19]
	s_and_saveexec_b64 s[18:19], s[56:57]
	s_cbranch_execnz .LBB1238_1024
	s_branch .LBB1238_1033
.LBB1238_835:
	v_mul_lo_u32 v30, v17, v6
	v_mul_lo_u32 v31, v16, v7
	v_mad_u64_u32 v[2:3], s[12:13], v16, v6, 0
	v_add3_u32 v3, v3, v31, v30
	v_mul_lo_u32 v32, v11, v6
	v_mul_lo_u32 v33, v10, v7
	v_mad_u64_u32 v[30:31], s[12:13], v10, v6, 0
	v_add3_u32 v31, v31, v33, v32
	v_lshl_add_u64 v[2:3], v[2:3], 1, v[8:9]
	v_lshl_add_u64 v[30:31], v[30:31], 1, v[8:9]
	s_mov_b64 s[62:63], 0
	v_mov_b64_e32 v[32:33], v[6:7]
                                        ; implicit-def: $sgpr60_sgpr61
                                        ; implicit-def: $sgpr72_sgpr73
                                        ; implicit-def: $sgpr74_sgpr75
                                        ; implicit-def: $sgpr76_sgpr77
                                        ; implicit-def: $sgpr78_sgpr79
	s_branch .LBB1238_837
.LBB1238_836:                           ;   in Loop: Header=BB1238_837 Depth=1
	s_or_b64 exec, exec, s[78:79]
	s_and_b64 s[12:13], exec, s[12:13]
	s_or_b64 s[62:63], s[12:13], s[62:63]
	s_andn2_b64 s[12:13], s[72:73], exec
	s_and_b64 s[72:73], s[74:75], exec
	s_or_b64 s[72:73], s[12:13], s[72:73]
	s_andn2_b64 s[12:13], s[60:61], exec
	s_and_b64 s[60:61], s[76:77], exec
	s_or_b64 s[60:61], s[12:13], s[60:61]
	s_mov_b64 s[78:79], s[76:77]
	s_andn2_b64 exec, exec, s[62:63]
	s_cbranch_execz .LBB1238_841
.LBB1238_837:                           ; =>This Inner Loop Header: Depth=1
	flat_load_ushort v35, v[30:31]
	flat_load_ushort v36, v[2:3]
	s_or_b64 s[76:77], s[76:77], exec
	s_mov_b64 s[88:89], 0
	s_waitcnt vmcnt(0) lgkmcnt(0)
	v_cmp_nlt_f16_e64 s[12:13], v35, v36
	s_and_saveexec_b64 s[90:91], s[12:13]
; %bb.838:                              ;   in Loop: Header=BB1238_837 Depth=1
	v_cmp_ngt_f16_e64 s[12:13], v35, v36
	s_and_b64 s[78:79], s[12:13], s[78:79]
	s_andn2_b64 s[76:77], s[76:77], exec
	s_and_b64 s[78:79], s[78:79], exec
	s_or_b64 s[76:77], s[76:77], s[78:79]
	s_and_b64 s[88:89], s[12:13], exec
; %bb.839:                              ;   in Loop: Header=BB1238_837 Depth=1
	s_or_b64 exec, exec, s[90:91]
	s_mov_b64 s[12:13], -1
	s_or_b64 s[74:75], s[74:75], exec
	s_and_saveexec_b64 s[78:79], s[88:89]
	s_cbranch_execz .LBB1238_836
; %bb.840:                              ;   in Loop: Header=BB1238_837 Depth=1
	v_lshl_add_u64 v[32:33], v[32:33], 0, -1
	v_cmp_eq_u64_e64 s[12:13], 0, v[32:33]
	v_lshl_add_u64 v[2:3], v[2:3], 0, 2
	v_lshl_add_u64 v[30:31], v[30:31], 0, 2
	s_andn2_b64 s[74:75], s[74:75], exec
	s_orn2_b64 s[12:13], s[12:13], exec
	s_branch .LBB1238_836
.LBB1238_841:
	s_or_b64 exec, exec, s[62:63]
	s_and_saveexec_b64 s[12:13], s[72:73]
	s_xor_b64 s[12:13], exec, s[12:13]
; %bb.842:
	v_cndmask_b32_e64 v3, v17, v11, s[60:61]
	v_cndmask_b32_e64 v2, v16, v10, s[60:61]
	;; [unrolled: 1-line block ×4, first 2 shown]
	v_mov_b64_e32 v[16:17], v[2:3]
; %bb.843:
	s_or_b64 exec, exec, s[12:13]
	s_or_b64 exec, exec, s[58:59]
	s_and_saveexec_b64 s[58:59], s[18:19]
	s_cbranch_execz .LBB1238_815
.LBB1238_844:
	v_mul_lo_u32 v30, v23, v6
	v_mul_lo_u32 v31, v22, v7
	v_mad_u64_u32 v[2:3], s[12:13], v22, v6, 0
	v_add3_u32 v3, v3, v31, v30
	v_mul_lo_u32 v32, v25, v6
	v_mul_lo_u32 v33, v24, v7
	v_mad_u64_u32 v[30:31], s[12:13], v24, v6, 0
	v_add3_u32 v31, v31, v33, v32
	v_lshl_add_u64 v[2:3], v[2:3], 1, v[8:9]
	v_lshl_add_u64 v[30:31], v[30:31], 1, v[8:9]
	s_mov_b64 s[62:63], 0
	v_mov_b64_e32 v[32:33], v[6:7]
                                        ; implicit-def: $sgpr60_sgpr61
                                        ; implicit-def: $sgpr72_sgpr73
                                        ; implicit-def: $sgpr74_sgpr75
                                        ; implicit-def: $sgpr76_sgpr77
                                        ; implicit-def: $sgpr78_sgpr79
	s_branch .LBB1238_846
.LBB1238_845:                           ;   in Loop: Header=BB1238_846 Depth=1
	s_or_b64 exec, exec, s[78:79]
	s_and_b64 s[12:13], exec, s[12:13]
	s_or_b64 s[62:63], s[12:13], s[62:63]
	s_andn2_b64 s[12:13], s[72:73], exec
	s_and_b64 s[72:73], s[74:75], exec
	s_or_b64 s[72:73], s[12:13], s[72:73]
	s_andn2_b64 s[12:13], s[60:61], exec
	s_and_b64 s[60:61], s[76:77], exec
	s_or_b64 s[60:61], s[12:13], s[60:61]
	s_mov_b64 s[78:79], s[76:77]
	s_andn2_b64 exec, exec, s[62:63]
	s_cbranch_execz .LBB1238_850
.LBB1238_846:                           ; =>This Inner Loop Header: Depth=1
	flat_load_ushort v35, v[30:31]
	flat_load_ushort v36, v[2:3]
	s_or_b64 s[76:77], s[76:77], exec
	s_mov_b64 s[88:89], 0
	s_waitcnt vmcnt(0) lgkmcnt(0)
	v_cmp_nlt_f16_e64 s[12:13], v35, v36
	s_and_saveexec_b64 s[90:91], s[12:13]
; %bb.847:                              ;   in Loop: Header=BB1238_846 Depth=1
	v_cmp_ngt_f16_e64 s[12:13], v35, v36
	s_and_b64 s[78:79], s[12:13], s[78:79]
	s_andn2_b64 s[76:77], s[76:77], exec
	s_and_b64 s[78:79], s[78:79], exec
	s_or_b64 s[76:77], s[76:77], s[78:79]
	s_and_b64 s[88:89], s[12:13], exec
; %bb.848:                              ;   in Loop: Header=BB1238_846 Depth=1
	s_or_b64 exec, exec, s[90:91]
	s_mov_b64 s[12:13], -1
	s_or_b64 s[74:75], s[74:75], exec
	s_and_saveexec_b64 s[78:79], s[88:89]
	s_cbranch_execz .LBB1238_845
; %bb.849:                              ;   in Loop: Header=BB1238_846 Depth=1
	v_lshl_add_u64 v[32:33], v[32:33], 0, -1
	v_cmp_eq_u64_e64 s[12:13], 0, v[32:33]
	v_lshl_add_u64 v[2:3], v[2:3], 0, 2
	v_lshl_add_u64 v[30:31], v[30:31], 0, 2
	s_andn2_b64 s[74:75], s[74:75], exec
	s_orn2_b64 s[12:13], s[12:13], exec
	s_branch .LBB1238_845
.LBB1238_850:
	s_or_b64 exec, exec, s[62:63]
	s_and_saveexec_b64 s[12:13], s[72:73]
	s_xor_b64 s[12:13], exec, s[12:13]
; %bb.851:
	v_cndmask_b32_e64 v3, v25, v23, s[60:61]
	v_cndmask_b32_e64 v2, v24, v22, s[60:61]
	;; [unrolled: 1-line block ×4, first 2 shown]
	v_mov_b64_e32 v[24:25], v[2:3]
; %bb.852:
	s_or_b64 exec, exec, s[12:13]
	s_or_b64 exec, exec, s[58:59]
	s_and_saveexec_b64 s[58:59], s[20:21]
	s_cbranch_execz .LBB1238_816
.LBB1238_853:
	v_mul_lo_u32 v30, v19, v6
	v_mul_lo_u32 v31, v18, v7
	v_mad_u64_u32 v[2:3], s[12:13], v18, v6, 0
	v_add3_u32 v3, v3, v31, v30
	v_mul_lo_u32 v32, v21, v6
	v_mul_lo_u32 v33, v20, v7
	v_mad_u64_u32 v[30:31], s[12:13], v20, v6, 0
	v_add3_u32 v31, v31, v33, v32
	v_lshl_add_u64 v[2:3], v[2:3], 1, v[8:9]
	v_lshl_add_u64 v[30:31], v[30:31], 1, v[8:9]
	s_mov_b64 s[62:63], 0
	v_mov_b64_e32 v[32:33], v[6:7]
                                        ; implicit-def: $sgpr60_sgpr61
                                        ; implicit-def: $sgpr72_sgpr73
                                        ; implicit-def: $sgpr74_sgpr75
                                        ; implicit-def: $sgpr76_sgpr77
                                        ; implicit-def: $sgpr78_sgpr79
	s_branch .LBB1238_855
.LBB1238_854:                           ;   in Loop: Header=BB1238_855 Depth=1
	s_or_b64 exec, exec, s[78:79]
	s_and_b64 s[12:13], exec, s[12:13]
	s_or_b64 s[62:63], s[12:13], s[62:63]
	s_andn2_b64 s[12:13], s[72:73], exec
	s_and_b64 s[72:73], s[74:75], exec
	s_or_b64 s[72:73], s[12:13], s[72:73]
	s_andn2_b64 s[12:13], s[60:61], exec
	s_and_b64 s[60:61], s[76:77], exec
	s_or_b64 s[60:61], s[12:13], s[60:61]
	s_mov_b64 s[78:79], s[76:77]
	s_andn2_b64 exec, exec, s[62:63]
	s_cbranch_execz .LBB1238_859
.LBB1238_855:                           ; =>This Inner Loop Header: Depth=1
	flat_load_ushort v35, v[30:31]
	flat_load_ushort v36, v[2:3]
	s_or_b64 s[76:77], s[76:77], exec
	s_mov_b64 s[88:89], 0
	s_waitcnt vmcnt(0) lgkmcnt(0)
	v_cmp_nlt_f16_e64 s[12:13], v35, v36
	s_and_saveexec_b64 s[90:91], s[12:13]
; %bb.856:                              ;   in Loop: Header=BB1238_855 Depth=1
	v_cmp_ngt_f16_e64 s[12:13], v35, v36
	s_and_b64 s[78:79], s[12:13], s[78:79]
	s_andn2_b64 s[76:77], s[76:77], exec
	s_and_b64 s[78:79], s[78:79], exec
	s_or_b64 s[76:77], s[76:77], s[78:79]
	s_and_b64 s[88:89], s[12:13], exec
; %bb.857:                              ;   in Loop: Header=BB1238_855 Depth=1
	s_or_b64 exec, exec, s[90:91]
	s_mov_b64 s[12:13], -1
	s_or_b64 s[74:75], s[74:75], exec
	s_and_saveexec_b64 s[78:79], s[88:89]
	s_cbranch_execz .LBB1238_854
; %bb.858:                              ;   in Loop: Header=BB1238_855 Depth=1
	v_lshl_add_u64 v[32:33], v[32:33], 0, -1
	v_cmp_eq_u64_e64 s[12:13], 0, v[32:33]
	v_lshl_add_u64 v[2:3], v[2:3], 0, 2
	v_lshl_add_u64 v[30:31], v[30:31], 0, 2
	s_andn2_b64 s[74:75], s[74:75], exec
	s_orn2_b64 s[12:13], s[12:13], exec
	s_branch .LBB1238_854
.LBB1238_859:
	s_or_b64 exec, exec, s[62:63]
	s_and_saveexec_b64 s[12:13], s[72:73]
	s_xor_b64 s[12:13], exec, s[12:13]
; %bb.860:
	v_cndmask_b32_e64 v3, v19, v21, s[60:61]
	v_cndmask_b32_e64 v2, v18, v20, s[60:61]
	;; [unrolled: 1-line block ×4, first 2 shown]
	v_mov_b64_e32 v[18:19], v[2:3]
; %bb.861:
	s_or_b64 exec, exec, s[12:13]
	s_or_b64 exec, exec, s[58:59]
	s_and_saveexec_b64 s[58:59], s[40:41]
	s_cbranch_execz .LBB1238_817
.LBB1238_862:
	v_mul_lo_u32 v30, v15, v6
	v_mul_lo_u32 v31, v14, v7
	v_mad_u64_u32 v[2:3], s[12:13], v14, v6, 0
	v_add3_u32 v3, v3, v31, v30
	v_mul_lo_u32 v32, v17, v6
	v_mul_lo_u32 v33, v16, v7
	v_mad_u64_u32 v[30:31], s[12:13], v16, v6, 0
	v_add3_u32 v31, v31, v33, v32
	v_lshl_add_u64 v[2:3], v[2:3], 1, v[8:9]
	v_lshl_add_u64 v[30:31], v[30:31], 1, v[8:9]
	s_mov_b64 s[62:63], 0
	v_mov_b64_e32 v[32:33], v[6:7]
                                        ; implicit-def: $sgpr60_sgpr61
                                        ; implicit-def: $sgpr72_sgpr73
                                        ; implicit-def: $sgpr74_sgpr75
                                        ; implicit-def: $sgpr76_sgpr77
                                        ; implicit-def: $sgpr78_sgpr79
	s_branch .LBB1238_864
.LBB1238_863:                           ;   in Loop: Header=BB1238_864 Depth=1
	s_or_b64 exec, exec, s[78:79]
	s_and_b64 s[12:13], exec, s[12:13]
	s_or_b64 s[62:63], s[12:13], s[62:63]
	s_andn2_b64 s[12:13], s[72:73], exec
	s_and_b64 s[72:73], s[74:75], exec
	s_or_b64 s[72:73], s[12:13], s[72:73]
	s_andn2_b64 s[12:13], s[60:61], exec
	s_and_b64 s[60:61], s[76:77], exec
	s_or_b64 s[60:61], s[12:13], s[60:61]
	s_mov_b64 s[78:79], s[76:77]
	s_andn2_b64 exec, exec, s[62:63]
	s_cbranch_execz .LBB1238_868
.LBB1238_864:                           ; =>This Inner Loop Header: Depth=1
	flat_load_ushort v35, v[30:31]
	flat_load_ushort v36, v[2:3]
	s_or_b64 s[76:77], s[76:77], exec
	s_mov_b64 s[88:89], 0
	s_waitcnt vmcnt(0) lgkmcnt(0)
	v_cmp_nlt_f16_e64 s[12:13], v35, v36
	s_and_saveexec_b64 s[90:91], s[12:13]
; %bb.865:                              ;   in Loop: Header=BB1238_864 Depth=1
	v_cmp_ngt_f16_e64 s[12:13], v35, v36
	s_and_b64 s[78:79], s[12:13], s[78:79]
	s_andn2_b64 s[76:77], s[76:77], exec
	s_and_b64 s[78:79], s[78:79], exec
	s_or_b64 s[76:77], s[76:77], s[78:79]
	s_and_b64 s[88:89], s[12:13], exec
; %bb.866:                              ;   in Loop: Header=BB1238_864 Depth=1
	s_or_b64 exec, exec, s[90:91]
	s_mov_b64 s[12:13], -1
	s_or_b64 s[74:75], s[74:75], exec
	s_and_saveexec_b64 s[78:79], s[88:89]
	s_cbranch_execz .LBB1238_863
; %bb.867:                              ;   in Loop: Header=BB1238_864 Depth=1
	v_lshl_add_u64 v[32:33], v[32:33], 0, -1
	v_cmp_eq_u64_e64 s[12:13], 0, v[32:33]
	v_lshl_add_u64 v[2:3], v[2:3], 0, 2
	v_lshl_add_u64 v[30:31], v[30:31], 0, 2
	s_andn2_b64 s[74:75], s[74:75], exec
	s_orn2_b64 s[12:13], s[12:13], exec
	s_branch .LBB1238_863
.LBB1238_868:
	s_or_b64 exec, exec, s[62:63]
	s_and_saveexec_b64 s[12:13], s[72:73]
	s_xor_b64 s[12:13], exec, s[12:13]
; %bb.869:
	v_cndmask_b32_e64 v3, v15, v17, s[60:61]
	v_cndmask_b32_e64 v2, v14, v16, s[60:61]
	;; [unrolled: 1-line block ×4, first 2 shown]
	v_mov_b64_e32 v[14:15], v[2:3]
; %bb.870:
	s_or_b64 exec, exec, s[12:13]
	s_or_b64 exec, exec, s[58:59]
	s_and_saveexec_b64 s[58:59], s[42:43]
	s_cbranch_execz .LBB1238_818
.LBB1238_871:
	v_mul_lo_u32 v30, v11, v6
	v_mul_lo_u32 v31, v10, v7
	v_mad_u64_u32 v[2:3], s[12:13], v10, v6, 0
	v_add3_u32 v3, v3, v31, v30
	v_mul_lo_u32 v32, v13, v6
	v_mul_lo_u32 v33, v12, v7
	v_mad_u64_u32 v[30:31], s[12:13], v12, v6, 0
	v_add3_u32 v31, v31, v33, v32
	v_lshl_add_u64 v[2:3], v[2:3], 1, v[8:9]
	v_lshl_add_u64 v[30:31], v[30:31], 1, v[8:9]
	s_mov_b64 s[62:63], 0
	v_mov_b64_e32 v[32:33], v[6:7]
                                        ; implicit-def: $sgpr60_sgpr61
                                        ; implicit-def: $sgpr72_sgpr73
                                        ; implicit-def: $sgpr74_sgpr75
                                        ; implicit-def: $sgpr76_sgpr77
                                        ; implicit-def: $sgpr78_sgpr79
	s_branch .LBB1238_873
.LBB1238_872:                           ;   in Loop: Header=BB1238_873 Depth=1
	s_or_b64 exec, exec, s[78:79]
	s_and_b64 s[12:13], exec, s[12:13]
	s_or_b64 s[62:63], s[12:13], s[62:63]
	s_andn2_b64 s[12:13], s[72:73], exec
	s_and_b64 s[72:73], s[74:75], exec
	s_or_b64 s[72:73], s[12:13], s[72:73]
	s_andn2_b64 s[12:13], s[60:61], exec
	s_and_b64 s[60:61], s[76:77], exec
	s_or_b64 s[60:61], s[12:13], s[60:61]
	s_mov_b64 s[78:79], s[76:77]
	s_andn2_b64 exec, exec, s[62:63]
	s_cbranch_execz .LBB1238_877
.LBB1238_873:                           ; =>This Inner Loop Header: Depth=1
	flat_load_ushort v35, v[30:31]
	flat_load_ushort v36, v[2:3]
	s_or_b64 s[76:77], s[76:77], exec
	s_mov_b64 s[88:89], 0
	s_waitcnt vmcnt(0) lgkmcnt(0)
	v_cmp_nlt_f16_e64 s[12:13], v35, v36
	s_and_saveexec_b64 s[90:91], s[12:13]
; %bb.874:                              ;   in Loop: Header=BB1238_873 Depth=1
	v_cmp_ngt_f16_e64 s[12:13], v35, v36
	s_and_b64 s[78:79], s[12:13], s[78:79]
	s_andn2_b64 s[76:77], s[76:77], exec
	s_and_b64 s[78:79], s[78:79], exec
	s_or_b64 s[76:77], s[76:77], s[78:79]
	s_and_b64 s[88:89], s[12:13], exec
; %bb.875:                              ;   in Loop: Header=BB1238_873 Depth=1
	s_or_b64 exec, exec, s[90:91]
	s_mov_b64 s[12:13], -1
	s_or_b64 s[74:75], s[74:75], exec
	s_and_saveexec_b64 s[78:79], s[88:89]
	s_cbranch_execz .LBB1238_872
; %bb.876:                              ;   in Loop: Header=BB1238_873 Depth=1
	v_lshl_add_u64 v[32:33], v[32:33], 0, -1
	v_cmp_eq_u64_e64 s[12:13], 0, v[32:33]
	v_lshl_add_u64 v[2:3], v[2:3], 0, 2
	v_lshl_add_u64 v[30:31], v[30:31], 0, 2
	s_andn2_b64 s[74:75], s[74:75], exec
	s_orn2_b64 s[12:13], s[12:13], exec
	s_branch .LBB1238_872
.LBB1238_877:
	s_or_b64 exec, exec, s[62:63]
	s_and_saveexec_b64 s[12:13], s[72:73]
	s_xor_b64 s[12:13], exec, s[12:13]
; %bb.878:
	v_cndmask_b32_e64 v3, v11, v13, s[60:61]
	v_cndmask_b32_e64 v2, v10, v12, s[60:61]
	;; [unrolled: 1-line block ×4, first 2 shown]
	v_mov_b64_e32 v[10:11], v[2:3]
; %bb.879:
	s_or_b64 exec, exec, s[12:13]
	s_or_b64 exec, exec, s[58:59]
	s_and_saveexec_b64 s[58:59], s[44:45]
	s_cbranch_execz .LBB1238_819
.LBB1238_880:
	v_mul_lo_u32 v30, v25, v6
	v_mul_lo_u32 v31, v24, v7
	v_mad_u64_u32 v[2:3], s[12:13], v24, v6, 0
	v_add3_u32 v3, v3, v31, v30
	v_mul_lo_u32 v32, v19, v6
	v_mul_lo_u32 v33, v18, v7
	v_mad_u64_u32 v[30:31], s[12:13], v18, v6, 0
	v_add3_u32 v31, v31, v33, v32
	v_lshl_add_u64 v[2:3], v[2:3], 1, v[8:9]
	v_lshl_add_u64 v[30:31], v[30:31], 1, v[8:9]
	s_mov_b64 s[62:63], 0
	v_mov_b64_e32 v[32:33], v[6:7]
                                        ; implicit-def: $sgpr60_sgpr61
                                        ; implicit-def: $sgpr72_sgpr73
                                        ; implicit-def: $sgpr74_sgpr75
                                        ; implicit-def: $sgpr76_sgpr77
                                        ; implicit-def: $sgpr78_sgpr79
	s_branch .LBB1238_882
.LBB1238_881:                           ;   in Loop: Header=BB1238_882 Depth=1
	s_or_b64 exec, exec, s[78:79]
	s_and_b64 s[12:13], exec, s[12:13]
	s_or_b64 s[62:63], s[12:13], s[62:63]
	s_andn2_b64 s[12:13], s[72:73], exec
	s_and_b64 s[72:73], s[74:75], exec
	s_or_b64 s[72:73], s[12:13], s[72:73]
	s_andn2_b64 s[12:13], s[60:61], exec
	s_and_b64 s[60:61], s[76:77], exec
	s_or_b64 s[60:61], s[12:13], s[60:61]
	s_mov_b64 s[78:79], s[76:77]
	s_andn2_b64 exec, exec, s[62:63]
	s_cbranch_execz .LBB1238_886
.LBB1238_882:                           ; =>This Inner Loop Header: Depth=1
	flat_load_ushort v35, v[30:31]
	flat_load_ushort v36, v[2:3]
	s_or_b64 s[76:77], s[76:77], exec
	s_mov_b64 s[88:89], 0
	s_waitcnt vmcnt(0) lgkmcnt(0)
	v_cmp_nlt_f16_e64 s[12:13], v35, v36
	s_and_saveexec_b64 s[90:91], s[12:13]
; %bb.883:                              ;   in Loop: Header=BB1238_882 Depth=1
	v_cmp_ngt_f16_e64 s[12:13], v35, v36
	s_and_b64 s[78:79], s[12:13], s[78:79]
	s_andn2_b64 s[76:77], s[76:77], exec
	s_and_b64 s[78:79], s[78:79], exec
	s_or_b64 s[76:77], s[76:77], s[78:79]
	s_and_b64 s[88:89], s[12:13], exec
; %bb.884:                              ;   in Loop: Header=BB1238_882 Depth=1
	s_or_b64 exec, exec, s[90:91]
	s_mov_b64 s[12:13], -1
	s_or_b64 s[74:75], s[74:75], exec
	s_and_saveexec_b64 s[78:79], s[88:89]
	s_cbranch_execz .LBB1238_881
; %bb.885:                              ;   in Loop: Header=BB1238_882 Depth=1
	v_lshl_add_u64 v[32:33], v[32:33], 0, -1
	v_cmp_eq_u64_e64 s[12:13], 0, v[32:33]
	v_lshl_add_u64 v[2:3], v[2:3], 0, 2
	v_lshl_add_u64 v[30:31], v[30:31], 0, 2
	s_andn2_b64 s[74:75], s[74:75], exec
	s_orn2_b64 s[12:13], s[12:13], exec
	s_branch .LBB1238_881
.LBB1238_886:
	s_or_b64 exec, exec, s[62:63]
	s_and_saveexec_b64 s[12:13], s[72:73]
	s_xor_b64 s[12:13], exec, s[12:13]
; %bb.887:
	v_cndmask_b32_e64 v3, v25, v19, s[60:61]
	v_cndmask_b32_e64 v2, v24, v18, s[60:61]
	v_cndmask_b32_e64 v19, v19, v25, s[60:61]
	v_cndmask_b32_e64 v18, v18, v24, s[60:61]
	v_mov_b64_e32 v[24:25], v[2:3]
; %bb.888:
	s_or_b64 exec, exec, s[12:13]
	s_or_b64 exec, exec, s[58:59]
	s_and_saveexec_b64 s[58:59], s[46:47]
	s_cbranch_execz .LBB1238_820
.LBB1238_889:
	v_mul_lo_u32 v30, v21, v6
	v_mul_lo_u32 v31, v20, v7
	v_mad_u64_u32 v[2:3], s[12:13], v20, v6, 0
	v_add3_u32 v3, v3, v31, v30
	v_mul_lo_u32 v32, v15, v6
	v_mul_lo_u32 v33, v14, v7
	v_mad_u64_u32 v[30:31], s[12:13], v14, v6, 0
	v_add3_u32 v31, v31, v33, v32
	v_lshl_add_u64 v[2:3], v[2:3], 1, v[8:9]
	v_lshl_add_u64 v[30:31], v[30:31], 1, v[8:9]
	s_mov_b64 s[62:63], 0
	v_mov_b64_e32 v[32:33], v[6:7]
                                        ; implicit-def: $sgpr60_sgpr61
                                        ; implicit-def: $sgpr72_sgpr73
                                        ; implicit-def: $sgpr74_sgpr75
                                        ; implicit-def: $sgpr76_sgpr77
                                        ; implicit-def: $sgpr78_sgpr79
	s_branch .LBB1238_891
.LBB1238_890:                           ;   in Loop: Header=BB1238_891 Depth=1
	s_or_b64 exec, exec, s[78:79]
	s_and_b64 s[12:13], exec, s[12:13]
	s_or_b64 s[62:63], s[12:13], s[62:63]
	s_andn2_b64 s[12:13], s[72:73], exec
	s_and_b64 s[72:73], s[74:75], exec
	s_or_b64 s[72:73], s[12:13], s[72:73]
	s_andn2_b64 s[12:13], s[60:61], exec
	s_and_b64 s[60:61], s[76:77], exec
	s_or_b64 s[60:61], s[12:13], s[60:61]
	s_mov_b64 s[78:79], s[76:77]
	s_andn2_b64 exec, exec, s[62:63]
	s_cbranch_execz .LBB1238_895
.LBB1238_891:                           ; =>This Inner Loop Header: Depth=1
	flat_load_ushort v35, v[30:31]
	flat_load_ushort v36, v[2:3]
	s_or_b64 s[76:77], s[76:77], exec
	s_mov_b64 s[88:89], 0
	s_waitcnt vmcnt(0) lgkmcnt(0)
	v_cmp_nlt_f16_e64 s[12:13], v35, v36
	s_and_saveexec_b64 s[90:91], s[12:13]
; %bb.892:                              ;   in Loop: Header=BB1238_891 Depth=1
	v_cmp_ngt_f16_e64 s[12:13], v35, v36
	s_and_b64 s[78:79], s[12:13], s[78:79]
	s_andn2_b64 s[76:77], s[76:77], exec
	s_and_b64 s[78:79], s[78:79], exec
	s_or_b64 s[76:77], s[76:77], s[78:79]
	s_and_b64 s[88:89], s[12:13], exec
; %bb.893:                              ;   in Loop: Header=BB1238_891 Depth=1
	s_or_b64 exec, exec, s[90:91]
	s_mov_b64 s[12:13], -1
	s_or_b64 s[74:75], s[74:75], exec
	s_and_saveexec_b64 s[78:79], s[88:89]
	s_cbranch_execz .LBB1238_890
; %bb.894:                              ;   in Loop: Header=BB1238_891 Depth=1
	v_lshl_add_u64 v[32:33], v[32:33], 0, -1
	v_cmp_eq_u64_e64 s[12:13], 0, v[32:33]
	v_lshl_add_u64 v[2:3], v[2:3], 0, 2
	v_lshl_add_u64 v[30:31], v[30:31], 0, 2
	s_andn2_b64 s[74:75], s[74:75], exec
	s_orn2_b64 s[12:13], s[12:13], exec
	s_branch .LBB1238_890
.LBB1238_895:
	s_or_b64 exec, exec, s[62:63]
	s_and_saveexec_b64 s[12:13], s[72:73]
	s_xor_b64 s[12:13], exec, s[12:13]
; %bb.896:
	v_cndmask_b32_e64 v3, v21, v15, s[60:61]
	v_cndmask_b32_e64 v2, v20, v14, s[60:61]
	;; [unrolled: 1-line block ×4, first 2 shown]
	v_mov_b64_e32 v[20:21], v[2:3]
; %bb.897:
	s_or_b64 exec, exec, s[12:13]
	s_or_b64 exec, exec, s[58:59]
	s_and_saveexec_b64 s[58:59], s[56:57]
	s_cbranch_execz .LBB1238_821
.LBB1238_898:
	v_mul_lo_u32 v30, v17, v6
	v_mul_lo_u32 v31, v16, v7
	v_mad_u64_u32 v[2:3], s[12:13], v16, v6, 0
	v_add3_u32 v3, v3, v31, v30
	v_mul_lo_u32 v32, v11, v6
	v_mul_lo_u32 v33, v10, v7
	v_mad_u64_u32 v[30:31], s[12:13], v10, v6, 0
	v_add3_u32 v31, v31, v33, v32
	v_lshl_add_u64 v[2:3], v[2:3], 1, v[8:9]
	v_lshl_add_u64 v[30:31], v[30:31], 1, v[8:9]
	s_mov_b64 s[62:63], 0
	v_mov_b64_e32 v[32:33], v[6:7]
                                        ; implicit-def: $sgpr60_sgpr61
                                        ; implicit-def: $sgpr72_sgpr73
                                        ; implicit-def: $sgpr74_sgpr75
                                        ; implicit-def: $sgpr76_sgpr77
                                        ; implicit-def: $sgpr78_sgpr79
	s_branch .LBB1238_900
.LBB1238_899:                           ;   in Loop: Header=BB1238_900 Depth=1
	s_or_b64 exec, exec, s[78:79]
	s_and_b64 s[12:13], exec, s[12:13]
	s_or_b64 s[62:63], s[12:13], s[62:63]
	s_andn2_b64 s[12:13], s[72:73], exec
	s_and_b64 s[72:73], s[74:75], exec
	s_or_b64 s[72:73], s[12:13], s[72:73]
	s_andn2_b64 s[12:13], s[60:61], exec
	s_and_b64 s[60:61], s[76:77], exec
	s_or_b64 s[60:61], s[12:13], s[60:61]
	s_mov_b64 s[78:79], s[76:77]
	s_andn2_b64 exec, exec, s[62:63]
	s_cbranch_execz .LBB1238_904
.LBB1238_900:                           ; =>This Inner Loop Header: Depth=1
	flat_load_ushort v35, v[30:31]
	flat_load_ushort v36, v[2:3]
	s_or_b64 s[76:77], s[76:77], exec
	s_mov_b64 s[88:89], 0
	s_waitcnt vmcnt(0) lgkmcnt(0)
	v_cmp_nlt_f16_e64 s[12:13], v35, v36
	s_and_saveexec_b64 s[90:91], s[12:13]
; %bb.901:                              ;   in Loop: Header=BB1238_900 Depth=1
	v_cmp_ngt_f16_e64 s[12:13], v35, v36
	s_and_b64 s[78:79], s[12:13], s[78:79]
	s_andn2_b64 s[76:77], s[76:77], exec
	s_and_b64 s[78:79], s[78:79], exec
	s_or_b64 s[76:77], s[76:77], s[78:79]
	s_and_b64 s[88:89], s[12:13], exec
; %bb.902:                              ;   in Loop: Header=BB1238_900 Depth=1
	s_or_b64 exec, exec, s[90:91]
	s_mov_b64 s[12:13], -1
	s_or_b64 s[74:75], s[74:75], exec
	s_and_saveexec_b64 s[78:79], s[88:89]
	s_cbranch_execz .LBB1238_899
; %bb.903:                              ;   in Loop: Header=BB1238_900 Depth=1
	v_lshl_add_u64 v[32:33], v[32:33], 0, -1
	v_cmp_eq_u64_e64 s[12:13], 0, v[32:33]
	v_lshl_add_u64 v[2:3], v[2:3], 0, 2
	v_lshl_add_u64 v[30:31], v[30:31], 0, 2
	s_andn2_b64 s[74:75], s[74:75], exec
	s_orn2_b64 s[12:13], s[12:13], exec
	s_branch .LBB1238_899
.LBB1238_904:
	s_or_b64 exec, exec, s[62:63]
	s_and_saveexec_b64 s[12:13], s[72:73]
	s_xor_b64 s[12:13], exec, s[12:13]
; %bb.905:
	v_cndmask_b32_e64 v3, v17, v11, s[60:61]
	v_cndmask_b32_e64 v2, v16, v10, s[60:61]
	;; [unrolled: 1-line block ×4, first 2 shown]
	v_mov_b64_e32 v[16:17], v[2:3]
; %bb.906:
	s_or_b64 exec, exec, s[12:13]
	s_or_b64 exec, exec, s[58:59]
	s_and_saveexec_b64 s[58:59], s[18:19]
	s_cbranch_execz .LBB1238_822
.LBB1238_907:
	v_mul_lo_u32 v30, v23, v6
	v_mul_lo_u32 v31, v22, v7
	v_mad_u64_u32 v[2:3], s[12:13], v22, v6, 0
	v_add3_u32 v3, v3, v31, v30
	v_mul_lo_u32 v32, v25, v6
	v_mul_lo_u32 v33, v24, v7
	v_mad_u64_u32 v[30:31], s[12:13], v24, v6, 0
	v_add3_u32 v31, v31, v33, v32
	v_lshl_add_u64 v[2:3], v[2:3], 1, v[8:9]
	v_lshl_add_u64 v[30:31], v[30:31], 1, v[8:9]
	s_mov_b64 s[62:63], 0
	v_mov_b64_e32 v[32:33], v[6:7]
                                        ; implicit-def: $sgpr60_sgpr61
                                        ; implicit-def: $sgpr72_sgpr73
                                        ; implicit-def: $sgpr74_sgpr75
                                        ; implicit-def: $sgpr76_sgpr77
                                        ; implicit-def: $sgpr78_sgpr79
	s_branch .LBB1238_909
.LBB1238_908:                           ;   in Loop: Header=BB1238_909 Depth=1
	s_or_b64 exec, exec, s[78:79]
	s_and_b64 s[12:13], exec, s[12:13]
	s_or_b64 s[62:63], s[12:13], s[62:63]
	s_andn2_b64 s[12:13], s[72:73], exec
	s_and_b64 s[72:73], s[74:75], exec
	s_or_b64 s[72:73], s[12:13], s[72:73]
	s_andn2_b64 s[12:13], s[60:61], exec
	s_and_b64 s[60:61], s[76:77], exec
	s_or_b64 s[60:61], s[12:13], s[60:61]
	s_mov_b64 s[78:79], s[76:77]
	s_andn2_b64 exec, exec, s[62:63]
	s_cbranch_execz .LBB1238_913
.LBB1238_909:                           ; =>This Inner Loop Header: Depth=1
	flat_load_ushort v35, v[30:31]
	flat_load_ushort v36, v[2:3]
	s_or_b64 s[76:77], s[76:77], exec
	s_mov_b64 s[88:89], 0
	s_waitcnt vmcnt(0) lgkmcnt(0)
	v_cmp_nlt_f16_e64 s[12:13], v35, v36
	s_and_saveexec_b64 s[90:91], s[12:13]
; %bb.910:                              ;   in Loop: Header=BB1238_909 Depth=1
	v_cmp_ngt_f16_e64 s[12:13], v35, v36
	s_and_b64 s[78:79], s[12:13], s[78:79]
	s_andn2_b64 s[76:77], s[76:77], exec
	s_and_b64 s[78:79], s[78:79], exec
	s_or_b64 s[76:77], s[76:77], s[78:79]
	s_and_b64 s[88:89], s[12:13], exec
; %bb.911:                              ;   in Loop: Header=BB1238_909 Depth=1
	s_or_b64 exec, exec, s[90:91]
	s_mov_b64 s[12:13], -1
	s_or_b64 s[74:75], s[74:75], exec
	s_and_saveexec_b64 s[78:79], s[88:89]
	s_cbranch_execz .LBB1238_908
; %bb.912:                              ;   in Loop: Header=BB1238_909 Depth=1
	v_lshl_add_u64 v[32:33], v[32:33], 0, -1
	v_cmp_eq_u64_e64 s[12:13], 0, v[32:33]
	v_lshl_add_u64 v[2:3], v[2:3], 0, 2
	v_lshl_add_u64 v[30:31], v[30:31], 0, 2
	s_andn2_b64 s[74:75], s[74:75], exec
	s_orn2_b64 s[12:13], s[12:13], exec
	s_branch .LBB1238_908
.LBB1238_913:
	s_or_b64 exec, exec, s[62:63]
	s_and_saveexec_b64 s[12:13], s[72:73]
	s_xor_b64 s[12:13], exec, s[12:13]
; %bb.914:
	v_cndmask_b32_e64 v3, v25, v23, s[60:61]
	v_cndmask_b32_e64 v2, v24, v22, s[60:61]
	;; [unrolled: 1-line block ×4, first 2 shown]
	v_mov_b64_e32 v[24:25], v[2:3]
; %bb.915:
	s_or_b64 exec, exec, s[12:13]
	s_or_b64 exec, exec, s[58:59]
	s_and_saveexec_b64 s[58:59], s[20:21]
	s_cbranch_execz .LBB1238_823
.LBB1238_916:
	v_mul_lo_u32 v30, v19, v6
	v_mul_lo_u32 v31, v18, v7
	v_mad_u64_u32 v[2:3], s[12:13], v18, v6, 0
	v_add3_u32 v3, v3, v31, v30
	v_mul_lo_u32 v32, v21, v6
	v_mul_lo_u32 v33, v20, v7
	v_mad_u64_u32 v[30:31], s[12:13], v20, v6, 0
	v_add3_u32 v31, v31, v33, v32
	v_lshl_add_u64 v[2:3], v[2:3], 1, v[8:9]
	v_lshl_add_u64 v[30:31], v[30:31], 1, v[8:9]
	s_mov_b64 s[62:63], 0
	v_mov_b64_e32 v[32:33], v[6:7]
                                        ; implicit-def: $sgpr60_sgpr61
                                        ; implicit-def: $sgpr72_sgpr73
                                        ; implicit-def: $sgpr74_sgpr75
                                        ; implicit-def: $sgpr76_sgpr77
                                        ; implicit-def: $sgpr78_sgpr79
	s_branch .LBB1238_918
.LBB1238_917:                           ;   in Loop: Header=BB1238_918 Depth=1
	s_or_b64 exec, exec, s[78:79]
	s_and_b64 s[12:13], exec, s[12:13]
	s_or_b64 s[62:63], s[12:13], s[62:63]
	s_andn2_b64 s[12:13], s[72:73], exec
	s_and_b64 s[72:73], s[74:75], exec
	s_or_b64 s[72:73], s[12:13], s[72:73]
	s_andn2_b64 s[12:13], s[60:61], exec
	s_and_b64 s[60:61], s[76:77], exec
	s_or_b64 s[60:61], s[12:13], s[60:61]
	s_mov_b64 s[78:79], s[76:77]
	s_andn2_b64 exec, exec, s[62:63]
	s_cbranch_execz .LBB1238_922
.LBB1238_918:                           ; =>This Inner Loop Header: Depth=1
	flat_load_ushort v35, v[30:31]
	flat_load_ushort v36, v[2:3]
	s_or_b64 s[76:77], s[76:77], exec
	s_mov_b64 s[88:89], 0
	s_waitcnt vmcnt(0) lgkmcnt(0)
	v_cmp_nlt_f16_e64 s[12:13], v35, v36
	s_and_saveexec_b64 s[90:91], s[12:13]
; %bb.919:                              ;   in Loop: Header=BB1238_918 Depth=1
	v_cmp_ngt_f16_e64 s[12:13], v35, v36
	s_and_b64 s[78:79], s[12:13], s[78:79]
	s_andn2_b64 s[76:77], s[76:77], exec
	s_and_b64 s[78:79], s[78:79], exec
	s_or_b64 s[76:77], s[76:77], s[78:79]
	s_and_b64 s[88:89], s[12:13], exec
; %bb.920:                              ;   in Loop: Header=BB1238_918 Depth=1
	s_or_b64 exec, exec, s[90:91]
	s_mov_b64 s[12:13], -1
	s_or_b64 s[74:75], s[74:75], exec
	s_and_saveexec_b64 s[78:79], s[88:89]
	s_cbranch_execz .LBB1238_917
; %bb.921:                              ;   in Loop: Header=BB1238_918 Depth=1
	v_lshl_add_u64 v[32:33], v[32:33], 0, -1
	v_cmp_eq_u64_e64 s[12:13], 0, v[32:33]
	v_lshl_add_u64 v[2:3], v[2:3], 0, 2
	v_lshl_add_u64 v[30:31], v[30:31], 0, 2
	s_andn2_b64 s[74:75], s[74:75], exec
	s_orn2_b64 s[12:13], s[12:13], exec
	s_branch .LBB1238_917
.LBB1238_922:
	s_or_b64 exec, exec, s[62:63]
	s_and_saveexec_b64 s[12:13], s[72:73]
	s_xor_b64 s[12:13], exec, s[12:13]
; %bb.923:
	v_cndmask_b32_e64 v3, v19, v21, s[60:61]
	v_cndmask_b32_e64 v2, v18, v20, s[60:61]
	;; [unrolled: 1-line block ×4, first 2 shown]
	v_mov_b64_e32 v[18:19], v[2:3]
; %bb.924:
	s_or_b64 exec, exec, s[12:13]
	s_or_b64 exec, exec, s[58:59]
	s_and_saveexec_b64 s[58:59], s[40:41]
	s_cbranch_execz .LBB1238_824
.LBB1238_925:
	v_mul_lo_u32 v30, v15, v6
	v_mul_lo_u32 v31, v14, v7
	v_mad_u64_u32 v[2:3], s[12:13], v14, v6, 0
	v_add3_u32 v3, v3, v31, v30
	v_mul_lo_u32 v32, v17, v6
	v_mul_lo_u32 v33, v16, v7
	v_mad_u64_u32 v[30:31], s[12:13], v16, v6, 0
	v_add3_u32 v31, v31, v33, v32
	v_lshl_add_u64 v[2:3], v[2:3], 1, v[8:9]
	v_lshl_add_u64 v[30:31], v[30:31], 1, v[8:9]
	s_mov_b64 s[62:63], 0
	v_mov_b64_e32 v[32:33], v[6:7]
                                        ; implicit-def: $sgpr60_sgpr61
                                        ; implicit-def: $sgpr72_sgpr73
                                        ; implicit-def: $sgpr74_sgpr75
                                        ; implicit-def: $sgpr76_sgpr77
                                        ; implicit-def: $sgpr78_sgpr79
	s_branch .LBB1238_927
.LBB1238_926:                           ;   in Loop: Header=BB1238_927 Depth=1
	s_or_b64 exec, exec, s[78:79]
	s_and_b64 s[12:13], exec, s[12:13]
	s_or_b64 s[62:63], s[12:13], s[62:63]
	s_andn2_b64 s[12:13], s[72:73], exec
	s_and_b64 s[72:73], s[74:75], exec
	s_or_b64 s[72:73], s[12:13], s[72:73]
	s_andn2_b64 s[12:13], s[60:61], exec
	s_and_b64 s[60:61], s[76:77], exec
	s_or_b64 s[60:61], s[12:13], s[60:61]
	s_mov_b64 s[78:79], s[76:77]
	s_andn2_b64 exec, exec, s[62:63]
	s_cbranch_execz .LBB1238_931
.LBB1238_927:                           ; =>This Inner Loop Header: Depth=1
	flat_load_ushort v35, v[30:31]
	flat_load_ushort v36, v[2:3]
	s_or_b64 s[76:77], s[76:77], exec
	s_mov_b64 s[88:89], 0
	s_waitcnt vmcnt(0) lgkmcnt(0)
	v_cmp_nlt_f16_e64 s[12:13], v35, v36
	s_and_saveexec_b64 s[90:91], s[12:13]
; %bb.928:                              ;   in Loop: Header=BB1238_927 Depth=1
	v_cmp_ngt_f16_e64 s[12:13], v35, v36
	s_and_b64 s[78:79], s[12:13], s[78:79]
	s_andn2_b64 s[76:77], s[76:77], exec
	s_and_b64 s[78:79], s[78:79], exec
	s_or_b64 s[76:77], s[76:77], s[78:79]
	s_and_b64 s[88:89], s[12:13], exec
; %bb.929:                              ;   in Loop: Header=BB1238_927 Depth=1
	s_or_b64 exec, exec, s[90:91]
	s_mov_b64 s[12:13], -1
	s_or_b64 s[74:75], s[74:75], exec
	s_and_saveexec_b64 s[78:79], s[88:89]
	s_cbranch_execz .LBB1238_926
; %bb.930:                              ;   in Loop: Header=BB1238_927 Depth=1
	v_lshl_add_u64 v[32:33], v[32:33], 0, -1
	v_cmp_eq_u64_e64 s[12:13], 0, v[32:33]
	v_lshl_add_u64 v[2:3], v[2:3], 0, 2
	v_lshl_add_u64 v[30:31], v[30:31], 0, 2
	s_andn2_b64 s[74:75], s[74:75], exec
	s_orn2_b64 s[12:13], s[12:13], exec
	s_branch .LBB1238_926
.LBB1238_931:
	s_or_b64 exec, exec, s[62:63]
	s_and_saveexec_b64 s[12:13], s[72:73]
	s_xor_b64 s[12:13], exec, s[12:13]
; %bb.932:
	v_cndmask_b32_e64 v3, v15, v17, s[60:61]
	v_cndmask_b32_e64 v2, v14, v16, s[60:61]
	;; [unrolled: 1-line block ×4, first 2 shown]
	v_mov_b64_e32 v[14:15], v[2:3]
; %bb.933:
	s_or_b64 exec, exec, s[12:13]
	s_or_b64 exec, exec, s[58:59]
	s_and_saveexec_b64 s[58:59], s[42:43]
	s_cbranch_execz .LBB1238_825
.LBB1238_934:
	v_mul_lo_u32 v30, v11, v6
	v_mul_lo_u32 v31, v10, v7
	v_mad_u64_u32 v[2:3], s[12:13], v10, v6, 0
	v_add3_u32 v3, v3, v31, v30
	v_mul_lo_u32 v32, v13, v6
	v_mul_lo_u32 v33, v12, v7
	v_mad_u64_u32 v[30:31], s[12:13], v12, v6, 0
	v_add3_u32 v31, v31, v33, v32
	v_lshl_add_u64 v[2:3], v[2:3], 1, v[8:9]
	v_lshl_add_u64 v[30:31], v[30:31], 1, v[8:9]
	s_mov_b64 s[62:63], 0
	v_mov_b64_e32 v[32:33], v[6:7]
                                        ; implicit-def: $sgpr60_sgpr61
                                        ; implicit-def: $sgpr72_sgpr73
                                        ; implicit-def: $sgpr74_sgpr75
                                        ; implicit-def: $sgpr76_sgpr77
                                        ; implicit-def: $sgpr78_sgpr79
	s_branch .LBB1238_936
.LBB1238_935:                           ;   in Loop: Header=BB1238_936 Depth=1
	s_or_b64 exec, exec, s[78:79]
	s_and_b64 s[12:13], exec, s[12:13]
	s_or_b64 s[62:63], s[12:13], s[62:63]
	s_andn2_b64 s[12:13], s[72:73], exec
	s_and_b64 s[72:73], s[74:75], exec
	s_or_b64 s[72:73], s[12:13], s[72:73]
	s_andn2_b64 s[12:13], s[60:61], exec
	s_and_b64 s[60:61], s[76:77], exec
	s_or_b64 s[60:61], s[12:13], s[60:61]
	s_mov_b64 s[78:79], s[76:77]
	s_andn2_b64 exec, exec, s[62:63]
	s_cbranch_execz .LBB1238_940
.LBB1238_936:                           ; =>This Inner Loop Header: Depth=1
	flat_load_ushort v35, v[30:31]
	flat_load_ushort v36, v[2:3]
	s_or_b64 s[76:77], s[76:77], exec
	s_mov_b64 s[88:89], 0
	s_waitcnt vmcnt(0) lgkmcnt(0)
	v_cmp_nlt_f16_e64 s[12:13], v35, v36
	s_and_saveexec_b64 s[90:91], s[12:13]
; %bb.937:                              ;   in Loop: Header=BB1238_936 Depth=1
	v_cmp_ngt_f16_e64 s[12:13], v35, v36
	s_and_b64 s[78:79], s[12:13], s[78:79]
	s_andn2_b64 s[76:77], s[76:77], exec
	s_and_b64 s[78:79], s[78:79], exec
	s_or_b64 s[76:77], s[76:77], s[78:79]
	s_and_b64 s[88:89], s[12:13], exec
; %bb.938:                              ;   in Loop: Header=BB1238_936 Depth=1
	s_or_b64 exec, exec, s[90:91]
	s_mov_b64 s[12:13], -1
	s_or_b64 s[74:75], s[74:75], exec
	s_and_saveexec_b64 s[78:79], s[88:89]
	s_cbranch_execz .LBB1238_935
; %bb.939:                              ;   in Loop: Header=BB1238_936 Depth=1
	v_lshl_add_u64 v[32:33], v[32:33], 0, -1
	v_cmp_eq_u64_e64 s[12:13], 0, v[32:33]
	v_lshl_add_u64 v[2:3], v[2:3], 0, 2
	v_lshl_add_u64 v[30:31], v[30:31], 0, 2
	s_andn2_b64 s[74:75], s[74:75], exec
	s_orn2_b64 s[12:13], s[12:13], exec
	s_branch .LBB1238_935
.LBB1238_940:
	s_or_b64 exec, exec, s[62:63]
	s_and_saveexec_b64 s[12:13], s[72:73]
	s_xor_b64 s[12:13], exec, s[12:13]
; %bb.941:
	v_cndmask_b32_e64 v3, v11, v13, s[60:61]
	v_cndmask_b32_e64 v2, v10, v12, s[60:61]
	;; [unrolled: 1-line block ×4, first 2 shown]
	v_mov_b64_e32 v[10:11], v[2:3]
; %bb.942:
	s_or_b64 exec, exec, s[12:13]
	s_or_b64 exec, exec, s[58:59]
	s_and_saveexec_b64 s[58:59], s[44:45]
	s_cbranch_execz .LBB1238_826
.LBB1238_943:
	v_mul_lo_u32 v30, v25, v6
	v_mul_lo_u32 v31, v24, v7
	v_mad_u64_u32 v[2:3], s[12:13], v24, v6, 0
	v_add3_u32 v3, v3, v31, v30
	v_mul_lo_u32 v32, v19, v6
	v_mul_lo_u32 v33, v18, v7
	v_mad_u64_u32 v[30:31], s[12:13], v18, v6, 0
	v_add3_u32 v31, v31, v33, v32
	v_lshl_add_u64 v[2:3], v[2:3], 1, v[8:9]
	v_lshl_add_u64 v[30:31], v[30:31], 1, v[8:9]
	s_mov_b64 s[62:63], 0
	v_mov_b64_e32 v[32:33], v[6:7]
                                        ; implicit-def: $sgpr60_sgpr61
                                        ; implicit-def: $sgpr72_sgpr73
                                        ; implicit-def: $sgpr74_sgpr75
                                        ; implicit-def: $sgpr76_sgpr77
                                        ; implicit-def: $sgpr78_sgpr79
	s_branch .LBB1238_945
.LBB1238_944:                           ;   in Loop: Header=BB1238_945 Depth=1
	s_or_b64 exec, exec, s[78:79]
	s_and_b64 s[12:13], exec, s[12:13]
	s_or_b64 s[62:63], s[12:13], s[62:63]
	s_andn2_b64 s[12:13], s[72:73], exec
	s_and_b64 s[72:73], s[74:75], exec
	s_or_b64 s[72:73], s[12:13], s[72:73]
	s_andn2_b64 s[12:13], s[60:61], exec
	s_and_b64 s[60:61], s[76:77], exec
	s_or_b64 s[60:61], s[12:13], s[60:61]
	s_mov_b64 s[78:79], s[76:77]
	s_andn2_b64 exec, exec, s[62:63]
	s_cbranch_execz .LBB1238_949
.LBB1238_945:                           ; =>This Inner Loop Header: Depth=1
	flat_load_ushort v35, v[30:31]
	flat_load_ushort v36, v[2:3]
	s_or_b64 s[76:77], s[76:77], exec
	s_mov_b64 s[88:89], 0
	s_waitcnt vmcnt(0) lgkmcnt(0)
	v_cmp_nlt_f16_e64 s[12:13], v35, v36
	s_and_saveexec_b64 s[90:91], s[12:13]
; %bb.946:                              ;   in Loop: Header=BB1238_945 Depth=1
	v_cmp_ngt_f16_e64 s[12:13], v35, v36
	s_and_b64 s[78:79], s[12:13], s[78:79]
	s_andn2_b64 s[76:77], s[76:77], exec
	s_and_b64 s[78:79], s[78:79], exec
	s_or_b64 s[76:77], s[76:77], s[78:79]
	s_and_b64 s[88:89], s[12:13], exec
; %bb.947:                              ;   in Loop: Header=BB1238_945 Depth=1
	s_or_b64 exec, exec, s[90:91]
	s_mov_b64 s[12:13], -1
	s_or_b64 s[74:75], s[74:75], exec
	s_and_saveexec_b64 s[78:79], s[88:89]
	s_cbranch_execz .LBB1238_944
; %bb.948:                              ;   in Loop: Header=BB1238_945 Depth=1
	v_lshl_add_u64 v[32:33], v[32:33], 0, -1
	v_cmp_eq_u64_e64 s[12:13], 0, v[32:33]
	v_lshl_add_u64 v[2:3], v[2:3], 0, 2
	v_lshl_add_u64 v[30:31], v[30:31], 0, 2
	s_andn2_b64 s[74:75], s[74:75], exec
	s_orn2_b64 s[12:13], s[12:13], exec
	s_branch .LBB1238_944
.LBB1238_949:
	s_or_b64 exec, exec, s[62:63]
	s_and_saveexec_b64 s[12:13], s[72:73]
	s_xor_b64 s[12:13], exec, s[12:13]
; %bb.950:
	v_cndmask_b32_e64 v3, v25, v19, s[60:61]
	v_cndmask_b32_e64 v2, v24, v18, s[60:61]
	;; [unrolled: 1-line block ×4, first 2 shown]
	v_mov_b64_e32 v[24:25], v[2:3]
; %bb.951:
	s_or_b64 exec, exec, s[12:13]
	s_or_b64 exec, exec, s[58:59]
	s_and_saveexec_b64 s[58:59], s[46:47]
	s_cbranch_execz .LBB1238_827
.LBB1238_952:
	v_mul_lo_u32 v30, v21, v6
	v_mul_lo_u32 v31, v20, v7
	v_mad_u64_u32 v[2:3], s[12:13], v20, v6, 0
	v_add3_u32 v3, v3, v31, v30
	v_mul_lo_u32 v32, v15, v6
	v_mul_lo_u32 v33, v14, v7
	v_mad_u64_u32 v[30:31], s[12:13], v14, v6, 0
	v_add3_u32 v31, v31, v33, v32
	v_lshl_add_u64 v[2:3], v[2:3], 1, v[8:9]
	v_lshl_add_u64 v[30:31], v[30:31], 1, v[8:9]
	s_mov_b64 s[62:63], 0
	v_mov_b64_e32 v[32:33], v[6:7]
                                        ; implicit-def: $sgpr60_sgpr61
                                        ; implicit-def: $sgpr72_sgpr73
                                        ; implicit-def: $sgpr74_sgpr75
                                        ; implicit-def: $sgpr76_sgpr77
                                        ; implicit-def: $sgpr78_sgpr79
	s_branch .LBB1238_954
.LBB1238_953:                           ;   in Loop: Header=BB1238_954 Depth=1
	s_or_b64 exec, exec, s[78:79]
	s_and_b64 s[12:13], exec, s[12:13]
	s_or_b64 s[62:63], s[12:13], s[62:63]
	s_andn2_b64 s[12:13], s[72:73], exec
	s_and_b64 s[72:73], s[74:75], exec
	s_or_b64 s[72:73], s[12:13], s[72:73]
	s_andn2_b64 s[12:13], s[60:61], exec
	s_and_b64 s[60:61], s[76:77], exec
	s_or_b64 s[60:61], s[12:13], s[60:61]
	s_mov_b64 s[78:79], s[76:77]
	s_andn2_b64 exec, exec, s[62:63]
	s_cbranch_execz .LBB1238_958
.LBB1238_954:                           ; =>This Inner Loop Header: Depth=1
	flat_load_ushort v35, v[30:31]
	flat_load_ushort v36, v[2:3]
	s_or_b64 s[76:77], s[76:77], exec
	s_mov_b64 s[88:89], 0
	s_waitcnt vmcnt(0) lgkmcnt(0)
	v_cmp_nlt_f16_e64 s[12:13], v35, v36
	s_and_saveexec_b64 s[90:91], s[12:13]
; %bb.955:                              ;   in Loop: Header=BB1238_954 Depth=1
	v_cmp_ngt_f16_e64 s[12:13], v35, v36
	s_and_b64 s[78:79], s[12:13], s[78:79]
	s_andn2_b64 s[76:77], s[76:77], exec
	s_and_b64 s[78:79], s[78:79], exec
	s_or_b64 s[76:77], s[76:77], s[78:79]
	s_and_b64 s[88:89], s[12:13], exec
; %bb.956:                              ;   in Loop: Header=BB1238_954 Depth=1
	s_or_b64 exec, exec, s[90:91]
	s_mov_b64 s[12:13], -1
	s_or_b64 s[74:75], s[74:75], exec
	s_and_saveexec_b64 s[78:79], s[88:89]
	s_cbranch_execz .LBB1238_953
; %bb.957:                              ;   in Loop: Header=BB1238_954 Depth=1
	v_lshl_add_u64 v[32:33], v[32:33], 0, -1
	v_cmp_eq_u64_e64 s[12:13], 0, v[32:33]
	v_lshl_add_u64 v[2:3], v[2:3], 0, 2
	v_lshl_add_u64 v[30:31], v[30:31], 0, 2
	s_andn2_b64 s[74:75], s[74:75], exec
	s_orn2_b64 s[12:13], s[12:13], exec
	s_branch .LBB1238_953
.LBB1238_958:
	s_or_b64 exec, exec, s[62:63]
	s_and_saveexec_b64 s[12:13], s[72:73]
	s_xor_b64 s[12:13], exec, s[12:13]
; %bb.959:
	v_cndmask_b32_e64 v3, v21, v15, s[60:61]
	v_cndmask_b32_e64 v2, v20, v14, s[60:61]
	;; [unrolled: 1-line block ×4, first 2 shown]
	v_mov_b64_e32 v[20:21], v[2:3]
; %bb.960:
	s_or_b64 exec, exec, s[12:13]
	s_or_b64 exec, exec, s[58:59]
	s_and_saveexec_b64 s[58:59], s[56:57]
	s_cbranch_execz .LBB1238_828
.LBB1238_961:
	v_mul_lo_u32 v30, v17, v6
	v_mul_lo_u32 v31, v16, v7
	v_mad_u64_u32 v[2:3], s[12:13], v16, v6, 0
	v_add3_u32 v3, v3, v31, v30
	v_mul_lo_u32 v32, v11, v6
	v_mul_lo_u32 v33, v10, v7
	v_mad_u64_u32 v[30:31], s[12:13], v10, v6, 0
	v_add3_u32 v31, v31, v33, v32
	v_lshl_add_u64 v[2:3], v[2:3], 1, v[8:9]
	v_lshl_add_u64 v[30:31], v[30:31], 1, v[8:9]
	s_mov_b64 s[62:63], 0
	v_mov_b64_e32 v[32:33], v[6:7]
                                        ; implicit-def: $sgpr60_sgpr61
                                        ; implicit-def: $sgpr72_sgpr73
                                        ; implicit-def: $sgpr74_sgpr75
                                        ; implicit-def: $sgpr76_sgpr77
                                        ; implicit-def: $sgpr78_sgpr79
	s_branch .LBB1238_963
.LBB1238_962:                           ;   in Loop: Header=BB1238_963 Depth=1
	s_or_b64 exec, exec, s[78:79]
	s_and_b64 s[12:13], exec, s[12:13]
	s_or_b64 s[62:63], s[12:13], s[62:63]
	s_andn2_b64 s[12:13], s[72:73], exec
	s_and_b64 s[72:73], s[74:75], exec
	s_or_b64 s[72:73], s[12:13], s[72:73]
	s_andn2_b64 s[12:13], s[60:61], exec
	s_and_b64 s[60:61], s[76:77], exec
	s_or_b64 s[60:61], s[12:13], s[60:61]
	s_mov_b64 s[78:79], s[76:77]
	s_andn2_b64 exec, exec, s[62:63]
	s_cbranch_execz .LBB1238_967
.LBB1238_963:                           ; =>This Inner Loop Header: Depth=1
	flat_load_ushort v35, v[30:31]
	flat_load_ushort v36, v[2:3]
	s_or_b64 s[76:77], s[76:77], exec
	s_mov_b64 s[88:89], 0
	s_waitcnt vmcnt(0) lgkmcnt(0)
	v_cmp_nlt_f16_e64 s[12:13], v35, v36
	s_and_saveexec_b64 s[90:91], s[12:13]
; %bb.964:                              ;   in Loop: Header=BB1238_963 Depth=1
	v_cmp_ngt_f16_e64 s[12:13], v35, v36
	s_and_b64 s[78:79], s[12:13], s[78:79]
	s_andn2_b64 s[76:77], s[76:77], exec
	s_and_b64 s[78:79], s[78:79], exec
	s_or_b64 s[76:77], s[76:77], s[78:79]
	s_and_b64 s[88:89], s[12:13], exec
; %bb.965:                              ;   in Loop: Header=BB1238_963 Depth=1
	s_or_b64 exec, exec, s[90:91]
	s_mov_b64 s[12:13], -1
	s_or_b64 s[74:75], s[74:75], exec
	s_and_saveexec_b64 s[78:79], s[88:89]
	s_cbranch_execz .LBB1238_962
; %bb.966:                              ;   in Loop: Header=BB1238_963 Depth=1
	v_lshl_add_u64 v[32:33], v[32:33], 0, -1
	v_cmp_eq_u64_e64 s[12:13], 0, v[32:33]
	v_lshl_add_u64 v[2:3], v[2:3], 0, 2
	v_lshl_add_u64 v[30:31], v[30:31], 0, 2
	s_andn2_b64 s[74:75], s[74:75], exec
	s_orn2_b64 s[12:13], s[12:13], exec
	s_branch .LBB1238_962
.LBB1238_967:
	s_or_b64 exec, exec, s[62:63]
	s_and_saveexec_b64 s[12:13], s[72:73]
	s_xor_b64 s[12:13], exec, s[12:13]
; %bb.968:
	v_cndmask_b32_e64 v3, v17, v11, s[60:61]
	v_cndmask_b32_e64 v2, v16, v10, s[60:61]
	;; [unrolled: 1-line block ×4, first 2 shown]
	v_mov_b64_e32 v[16:17], v[2:3]
; %bb.969:
	s_or_b64 exec, exec, s[12:13]
	s_or_b64 exec, exec, s[58:59]
	s_and_saveexec_b64 s[58:59], s[18:19]
	s_cbranch_execz .LBB1238_829
.LBB1238_970:
	v_mul_lo_u32 v30, v23, v6
	v_mul_lo_u32 v31, v22, v7
	v_mad_u64_u32 v[2:3], s[12:13], v22, v6, 0
	v_add3_u32 v3, v3, v31, v30
	v_mul_lo_u32 v32, v25, v6
	v_mul_lo_u32 v33, v24, v7
	v_mad_u64_u32 v[30:31], s[12:13], v24, v6, 0
	v_add3_u32 v31, v31, v33, v32
	v_lshl_add_u64 v[2:3], v[2:3], 1, v[8:9]
	v_lshl_add_u64 v[30:31], v[30:31], 1, v[8:9]
	s_mov_b64 s[60:61], 0
	v_mov_b64_e32 v[32:33], v[6:7]
                                        ; implicit-def: $sgpr18_sgpr19
                                        ; implicit-def: $sgpr62_sgpr63
                                        ; implicit-def: $sgpr72_sgpr73
                                        ; implicit-def: $sgpr74_sgpr75
                                        ; implicit-def: $sgpr76_sgpr77
	s_branch .LBB1238_972
.LBB1238_971:                           ;   in Loop: Header=BB1238_972 Depth=1
	s_or_b64 exec, exec, s[76:77]
	s_and_b64 s[12:13], exec, s[12:13]
	s_or_b64 s[60:61], s[12:13], s[60:61]
	s_andn2_b64 s[12:13], s[62:63], exec
	s_and_b64 s[62:63], s[72:73], exec
	s_or_b64 s[62:63], s[12:13], s[62:63]
	s_andn2_b64 s[12:13], s[18:19], exec
	s_and_b64 s[18:19], s[74:75], exec
	s_or_b64 s[18:19], s[12:13], s[18:19]
	s_mov_b64 s[76:77], s[74:75]
	s_andn2_b64 exec, exec, s[60:61]
	s_cbranch_execz .LBB1238_976
.LBB1238_972:                           ; =>This Inner Loop Header: Depth=1
	flat_load_ushort v35, v[30:31]
	flat_load_ushort v36, v[2:3]
	s_or_b64 s[74:75], s[74:75], exec
	s_mov_b64 s[78:79], 0
	s_waitcnt vmcnt(0) lgkmcnt(0)
	v_cmp_nlt_f16_e64 s[12:13], v35, v36
	s_and_saveexec_b64 s[88:89], s[12:13]
; %bb.973:                              ;   in Loop: Header=BB1238_972 Depth=1
	v_cmp_ngt_f16_e64 s[12:13], v35, v36
	s_and_b64 s[76:77], s[12:13], s[76:77]
	s_andn2_b64 s[74:75], s[74:75], exec
	s_and_b64 s[76:77], s[76:77], exec
	s_or_b64 s[74:75], s[74:75], s[76:77]
	s_and_b64 s[78:79], s[12:13], exec
; %bb.974:                              ;   in Loop: Header=BB1238_972 Depth=1
	s_or_b64 exec, exec, s[88:89]
	s_mov_b64 s[12:13], -1
	s_or_b64 s[72:73], s[72:73], exec
	s_and_saveexec_b64 s[76:77], s[78:79]
	s_cbranch_execz .LBB1238_971
; %bb.975:                              ;   in Loop: Header=BB1238_972 Depth=1
	v_lshl_add_u64 v[32:33], v[32:33], 0, -1
	v_cmp_eq_u64_e64 s[12:13], 0, v[32:33]
	v_lshl_add_u64 v[2:3], v[2:3], 0, 2
	v_lshl_add_u64 v[30:31], v[30:31], 0, 2
	s_andn2_b64 s[72:73], s[72:73], exec
	s_orn2_b64 s[12:13], s[12:13], exec
	s_branch .LBB1238_971
.LBB1238_976:
	s_or_b64 exec, exec, s[60:61]
	s_and_saveexec_b64 s[12:13], s[62:63]
	s_xor_b64 s[12:13], exec, s[12:13]
; %bb.977:
	v_cndmask_b32_e64 v3, v25, v23, s[18:19]
	v_cndmask_b32_e64 v2, v24, v22, s[18:19]
	;; [unrolled: 1-line block ×4, first 2 shown]
	v_mov_b64_e32 v[24:25], v[2:3]
; %bb.978:
	s_or_b64 exec, exec, s[12:13]
	s_or_b64 exec, exec, s[58:59]
	s_and_saveexec_b64 s[18:19], s[20:21]
	s_cbranch_execz .LBB1238_830
.LBB1238_979:
	v_mul_lo_u32 v30, v19, v6
	v_mul_lo_u32 v31, v18, v7
	v_mad_u64_u32 v[2:3], s[12:13], v18, v6, 0
	v_add3_u32 v3, v3, v31, v30
	v_mul_lo_u32 v32, v21, v6
	v_mul_lo_u32 v33, v20, v7
	v_mad_u64_u32 v[30:31], s[12:13], v20, v6, 0
	v_add3_u32 v31, v31, v33, v32
	v_lshl_add_u64 v[2:3], v[2:3], 1, v[8:9]
	v_lshl_add_u64 v[30:31], v[30:31], 1, v[8:9]
	s_mov_b64 s[58:59], 0
	v_mov_b64_e32 v[32:33], v[6:7]
                                        ; implicit-def: $sgpr20_sgpr21
                                        ; implicit-def: $sgpr60_sgpr61
                                        ; implicit-def: $sgpr62_sgpr63
                                        ; implicit-def: $sgpr72_sgpr73
                                        ; implicit-def: $sgpr74_sgpr75
	s_branch .LBB1238_981
.LBB1238_980:                           ;   in Loop: Header=BB1238_981 Depth=1
	s_or_b64 exec, exec, s[74:75]
	s_and_b64 s[12:13], exec, s[12:13]
	s_or_b64 s[58:59], s[12:13], s[58:59]
	s_andn2_b64 s[12:13], s[60:61], exec
	s_and_b64 s[60:61], s[62:63], exec
	s_or_b64 s[60:61], s[12:13], s[60:61]
	s_andn2_b64 s[12:13], s[20:21], exec
	s_and_b64 s[20:21], s[72:73], exec
	s_or_b64 s[20:21], s[12:13], s[20:21]
	s_mov_b64 s[74:75], s[72:73]
	s_andn2_b64 exec, exec, s[58:59]
	s_cbranch_execz .LBB1238_985
.LBB1238_981:                           ; =>This Inner Loop Header: Depth=1
	flat_load_ushort v35, v[30:31]
	flat_load_ushort v36, v[2:3]
	s_or_b64 s[72:73], s[72:73], exec
	s_mov_b64 s[76:77], 0
	s_waitcnt vmcnt(0) lgkmcnt(0)
	v_cmp_nlt_f16_e64 s[12:13], v35, v36
	s_and_saveexec_b64 s[78:79], s[12:13]
; %bb.982:                              ;   in Loop: Header=BB1238_981 Depth=1
	v_cmp_ngt_f16_e64 s[12:13], v35, v36
	s_and_b64 s[74:75], s[12:13], s[74:75]
	s_andn2_b64 s[72:73], s[72:73], exec
	s_and_b64 s[74:75], s[74:75], exec
	s_or_b64 s[72:73], s[72:73], s[74:75]
	s_and_b64 s[76:77], s[12:13], exec
; %bb.983:                              ;   in Loop: Header=BB1238_981 Depth=1
	s_or_b64 exec, exec, s[78:79]
	s_mov_b64 s[12:13], -1
	s_or_b64 s[62:63], s[62:63], exec
	s_and_saveexec_b64 s[74:75], s[76:77]
	s_cbranch_execz .LBB1238_980
; %bb.984:                              ;   in Loop: Header=BB1238_981 Depth=1
	v_lshl_add_u64 v[32:33], v[32:33], 0, -1
	v_cmp_eq_u64_e64 s[12:13], 0, v[32:33]
	v_lshl_add_u64 v[2:3], v[2:3], 0, 2
	v_lshl_add_u64 v[30:31], v[30:31], 0, 2
	s_andn2_b64 s[62:63], s[62:63], exec
	s_orn2_b64 s[12:13], s[12:13], exec
	s_branch .LBB1238_980
.LBB1238_985:
	s_or_b64 exec, exec, s[58:59]
	s_and_saveexec_b64 s[12:13], s[60:61]
	s_xor_b64 s[12:13], exec, s[12:13]
; %bb.986:
	v_cndmask_b32_e64 v3, v19, v21, s[20:21]
	v_cndmask_b32_e64 v2, v18, v20, s[20:21]
	;; [unrolled: 1-line block ×4, first 2 shown]
	v_mov_b64_e32 v[18:19], v[2:3]
; %bb.987:
	s_or_b64 exec, exec, s[12:13]
	s_or_b64 exec, exec, s[18:19]
	s_and_saveexec_b64 s[18:19], s[40:41]
	s_cbranch_execz .LBB1238_831
.LBB1238_988:
	v_mul_lo_u32 v30, v15, v6
	v_mul_lo_u32 v31, v14, v7
	v_mad_u64_u32 v[2:3], s[12:13], v14, v6, 0
	v_add3_u32 v3, v3, v31, v30
	v_mul_lo_u32 v32, v17, v6
	v_mul_lo_u32 v33, v16, v7
	v_mad_u64_u32 v[30:31], s[12:13], v16, v6, 0
	v_add3_u32 v31, v31, v33, v32
	v_lshl_add_u64 v[2:3], v[2:3], 1, v[8:9]
	v_lshl_add_u64 v[30:31], v[30:31], 1, v[8:9]
	s_mov_b64 s[40:41], 0
	v_mov_b64_e32 v[32:33], v[6:7]
                                        ; implicit-def: $sgpr20_sgpr21
                                        ; implicit-def: $sgpr58_sgpr59
                                        ; implicit-def: $sgpr60_sgpr61
                                        ; implicit-def: $sgpr62_sgpr63
                                        ; implicit-def: $sgpr72_sgpr73
	s_branch .LBB1238_990
.LBB1238_989:                           ;   in Loop: Header=BB1238_990 Depth=1
	s_or_b64 exec, exec, s[72:73]
	s_and_b64 s[12:13], exec, s[12:13]
	s_or_b64 s[40:41], s[12:13], s[40:41]
	s_andn2_b64 s[12:13], s[58:59], exec
	s_and_b64 s[58:59], s[60:61], exec
	s_or_b64 s[58:59], s[12:13], s[58:59]
	s_andn2_b64 s[12:13], s[20:21], exec
	s_and_b64 s[20:21], s[62:63], exec
	s_or_b64 s[20:21], s[12:13], s[20:21]
	s_mov_b64 s[72:73], s[62:63]
	s_andn2_b64 exec, exec, s[40:41]
	s_cbranch_execz .LBB1238_994
.LBB1238_990:                           ; =>This Inner Loop Header: Depth=1
	flat_load_ushort v35, v[30:31]
	flat_load_ushort v36, v[2:3]
	s_or_b64 s[62:63], s[62:63], exec
	s_mov_b64 s[74:75], 0
	s_waitcnt vmcnt(0) lgkmcnt(0)
	v_cmp_nlt_f16_e64 s[12:13], v35, v36
	s_and_saveexec_b64 s[76:77], s[12:13]
; %bb.991:                              ;   in Loop: Header=BB1238_990 Depth=1
	v_cmp_ngt_f16_e64 s[12:13], v35, v36
	s_and_b64 s[72:73], s[12:13], s[72:73]
	s_andn2_b64 s[62:63], s[62:63], exec
	s_and_b64 s[72:73], s[72:73], exec
	s_or_b64 s[62:63], s[62:63], s[72:73]
	s_and_b64 s[74:75], s[12:13], exec
; %bb.992:                              ;   in Loop: Header=BB1238_990 Depth=1
	s_or_b64 exec, exec, s[76:77]
	s_mov_b64 s[12:13], -1
	s_or_b64 s[60:61], s[60:61], exec
	s_and_saveexec_b64 s[72:73], s[74:75]
	s_cbranch_execz .LBB1238_989
; %bb.993:                              ;   in Loop: Header=BB1238_990 Depth=1
	v_lshl_add_u64 v[32:33], v[32:33], 0, -1
	v_cmp_eq_u64_e64 s[12:13], 0, v[32:33]
	v_lshl_add_u64 v[2:3], v[2:3], 0, 2
	v_lshl_add_u64 v[30:31], v[30:31], 0, 2
	s_andn2_b64 s[60:61], s[60:61], exec
	s_orn2_b64 s[12:13], s[12:13], exec
	s_branch .LBB1238_989
.LBB1238_994:
	s_or_b64 exec, exec, s[40:41]
	s_and_saveexec_b64 s[12:13], s[58:59]
	s_xor_b64 s[12:13], exec, s[12:13]
; %bb.995:
	v_cndmask_b32_e64 v3, v15, v17, s[20:21]
	v_cndmask_b32_e64 v2, v14, v16, s[20:21]
	;; [unrolled: 1-line block ×4, first 2 shown]
	v_mov_b64_e32 v[14:15], v[2:3]
; %bb.996:
	s_or_b64 exec, exec, s[12:13]
	s_or_b64 exec, exec, s[18:19]
	s_and_saveexec_b64 s[18:19], s[42:43]
	s_cbranch_execz .LBB1238_832
.LBB1238_997:
	v_mul_lo_u32 v30, v11, v6
	v_mul_lo_u32 v31, v10, v7
	v_mad_u64_u32 v[2:3], s[12:13], v10, v6, 0
	v_add3_u32 v3, v3, v31, v30
	v_mul_lo_u32 v32, v13, v6
	v_mul_lo_u32 v33, v12, v7
	v_mad_u64_u32 v[30:31], s[12:13], v12, v6, 0
	v_add3_u32 v31, v31, v33, v32
	v_lshl_add_u64 v[2:3], v[2:3], 1, v[8:9]
	v_lshl_add_u64 v[30:31], v[30:31], 1, v[8:9]
	s_mov_b64 s[40:41], 0
	v_mov_b64_e32 v[32:33], v[6:7]
                                        ; implicit-def: $sgpr20_sgpr21
                                        ; implicit-def: $sgpr42_sgpr43
                                        ; implicit-def: $sgpr58_sgpr59
                                        ; implicit-def: $sgpr60_sgpr61
                                        ; implicit-def: $sgpr62_sgpr63
	s_branch .LBB1238_999
.LBB1238_998:                           ;   in Loop: Header=BB1238_999 Depth=1
	s_or_b64 exec, exec, s[62:63]
	s_and_b64 s[12:13], exec, s[12:13]
	s_or_b64 s[40:41], s[12:13], s[40:41]
	s_andn2_b64 s[12:13], s[42:43], exec
	s_and_b64 s[42:43], s[58:59], exec
	s_or_b64 s[42:43], s[12:13], s[42:43]
	s_andn2_b64 s[12:13], s[20:21], exec
	s_and_b64 s[20:21], s[60:61], exec
	s_or_b64 s[20:21], s[12:13], s[20:21]
	s_mov_b64 s[62:63], s[60:61]
	s_andn2_b64 exec, exec, s[40:41]
	s_cbranch_execz .LBB1238_1003
.LBB1238_999:                           ; =>This Inner Loop Header: Depth=1
	flat_load_ushort v35, v[30:31]
	flat_load_ushort v36, v[2:3]
	s_or_b64 s[60:61], s[60:61], exec
	s_mov_b64 s[72:73], 0
	s_waitcnt vmcnt(0) lgkmcnt(0)
	v_cmp_nlt_f16_e64 s[12:13], v35, v36
	s_and_saveexec_b64 s[74:75], s[12:13]
; %bb.1000:                             ;   in Loop: Header=BB1238_999 Depth=1
	v_cmp_ngt_f16_e64 s[12:13], v35, v36
	s_and_b64 s[62:63], s[12:13], s[62:63]
	s_andn2_b64 s[60:61], s[60:61], exec
	s_and_b64 s[62:63], s[62:63], exec
	s_or_b64 s[60:61], s[60:61], s[62:63]
	s_and_b64 s[72:73], s[12:13], exec
; %bb.1001:                             ;   in Loop: Header=BB1238_999 Depth=1
	s_or_b64 exec, exec, s[74:75]
	s_mov_b64 s[12:13], -1
	s_or_b64 s[58:59], s[58:59], exec
	s_and_saveexec_b64 s[62:63], s[72:73]
	s_cbranch_execz .LBB1238_998
; %bb.1002:                             ;   in Loop: Header=BB1238_999 Depth=1
	v_lshl_add_u64 v[32:33], v[32:33], 0, -1
	v_cmp_eq_u64_e64 s[12:13], 0, v[32:33]
	v_lshl_add_u64 v[2:3], v[2:3], 0, 2
	v_lshl_add_u64 v[30:31], v[30:31], 0, 2
	s_andn2_b64 s[58:59], s[58:59], exec
	s_orn2_b64 s[12:13], s[12:13], exec
	s_branch .LBB1238_998
.LBB1238_1003:
	s_or_b64 exec, exec, s[40:41]
	s_and_saveexec_b64 s[12:13], s[42:43]
	s_xor_b64 s[12:13], exec, s[12:13]
; %bb.1004:
	v_cndmask_b32_e64 v3, v11, v13, s[20:21]
	v_cndmask_b32_e64 v2, v10, v12, s[20:21]
	;; [unrolled: 1-line block ×4, first 2 shown]
	v_mov_b64_e32 v[10:11], v[2:3]
; %bb.1005:
	s_or_b64 exec, exec, s[12:13]
	s_or_b64 exec, exec, s[18:19]
	s_and_saveexec_b64 s[18:19], s[44:45]
	s_cbranch_execz .LBB1238_833
.LBB1238_1006:
	v_mul_lo_u32 v30, v25, v6
	v_mul_lo_u32 v31, v24, v7
	v_mad_u64_u32 v[2:3], s[12:13], v24, v6, 0
	v_add3_u32 v3, v3, v31, v30
	v_mul_lo_u32 v32, v19, v6
	v_mul_lo_u32 v33, v18, v7
	v_mad_u64_u32 v[30:31], s[12:13], v18, v6, 0
	v_add3_u32 v31, v31, v33, v32
	v_lshl_add_u64 v[2:3], v[2:3], 1, v[8:9]
	v_lshl_add_u64 v[30:31], v[30:31], 1, v[8:9]
	s_mov_b64 s[40:41], 0
	v_mov_b64_e32 v[32:33], v[6:7]
                                        ; implicit-def: $sgpr20_sgpr21
                                        ; implicit-def: $sgpr42_sgpr43
                                        ; implicit-def: $sgpr44_sgpr45
                                        ; implicit-def: $sgpr58_sgpr59
                                        ; implicit-def: $sgpr60_sgpr61
	s_branch .LBB1238_1008
.LBB1238_1007:                          ;   in Loop: Header=BB1238_1008 Depth=1
	s_or_b64 exec, exec, s[60:61]
	s_and_b64 s[12:13], exec, s[12:13]
	s_or_b64 s[40:41], s[12:13], s[40:41]
	s_andn2_b64 s[12:13], s[42:43], exec
	s_and_b64 s[42:43], s[44:45], exec
	s_or_b64 s[42:43], s[12:13], s[42:43]
	s_andn2_b64 s[12:13], s[20:21], exec
	s_and_b64 s[20:21], s[58:59], exec
	s_or_b64 s[20:21], s[12:13], s[20:21]
	s_mov_b64 s[60:61], s[58:59]
	s_andn2_b64 exec, exec, s[40:41]
	s_cbranch_execz .LBB1238_1012
.LBB1238_1008:                          ; =>This Inner Loop Header: Depth=1
	flat_load_ushort v35, v[30:31]
	flat_load_ushort v36, v[2:3]
	s_or_b64 s[58:59], s[58:59], exec
	s_mov_b64 s[62:63], 0
	s_waitcnt vmcnt(0) lgkmcnt(0)
	v_cmp_nlt_f16_e64 s[12:13], v35, v36
	s_and_saveexec_b64 s[72:73], s[12:13]
; %bb.1009:                             ;   in Loop: Header=BB1238_1008 Depth=1
	v_cmp_ngt_f16_e64 s[12:13], v35, v36
	s_and_b64 s[60:61], s[12:13], s[60:61]
	s_andn2_b64 s[58:59], s[58:59], exec
	s_and_b64 s[60:61], s[60:61], exec
	s_or_b64 s[58:59], s[58:59], s[60:61]
	s_and_b64 s[62:63], s[12:13], exec
; %bb.1010:                             ;   in Loop: Header=BB1238_1008 Depth=1
	s_or_b64 exec, exec, s[72:73]
	s_mov_b64 s[12:13], -1
	s_or_b64 s[44:45], s[44:45], exec
	s_and_saveexec_b64 s[60:61], s[62:63]
	s_cbranch_execz .LBB1238_1007
; %bb.1011:                             ;   in Loop: Header=BB1238_1008 Depth=1
	v_lshl_add_u64 v[32:33], v[32:33], 0, -1
	v_cmp_eq_u64_e64 s[12:13], 0, v[32:33]
	v_lshl_add_u64 v[2:3], v[2:3], 0, 2
	v_lshl_add_u64 v[30:31], v[30:31], 0, 2
	s_andn2_b64 s[44:45], s[44:45], exec
	s_orn2_b64 s[12:13], s[12:13], exec
	s_branch .LBB1238_1007
.LBB1238_1012:
	s_or_b64 exec, exec, s[40:41]
	s_and_saveexec_b64 s[12:13], s[42:43]
	s_xor_b64 s[12:13], exec, s[12:13]
; %bb.1013:
	v_cndmask_b32_e64 v3, v25, v19, s[20:21]
	v_cndmask_b32_e64 v2, v24, v18, s[20:21]
	;; [unrolled: 1-line block ×4, first 2 shown]
	v_mov_b64_e32 v[24:25], v[2:3]
; %bb.1014:
	s_or_b64 exec, exec, s[12:13]
	s_or_b64 exec, exec, s[18:19]
	s_and_saveexec_b64 s[18:19], s[46:47]
	s_cbranch_execz .LBB1238_834
.LBB1238_1015:
	v_mul_lo_u32 v30, v21, v6
	v_mul_lo_u32 v31, v20, v7
	v_mad_u64_u32 v[2:3], s[12:13], v20, v6, 0
	v_add3_u32 v3, v3, v31, v30
	v_mul_lo_u32 v32, v15, v6
	v_mul_lo_u32 v33, v14, v7
	v_mad_u64_u32 v[30:31], s[12:13], v14, v6, 0
	v_add3_u32 v31, v31, v33, v32
	v_lshl_add_u64 v[2:3], v[2:3], 1, v[8:9]
	v_lshl_add_u64 v[30:31], v[30:31], 1, v[8:9]
	s_mov_b64 s[40:41], 0
	v_mov_b64_e32 v[32:33], v[6:7]
                                        ; implicit-def: $sgpr20_sgpr21
                                        ; implicit-def: $sgpr42_sgpr43
                                        ; implicit-def: $sgpr44_sgpr45
                                        ; implicit-def: $sgpr46_sgpr47
                                        ; implicit-def: $sgpr58_sgpr59
	s_branch .LBB1238_1017
.LBB1238_1016:                          ;   in Loop: Header=BB1238_1017 Depth=1
	s_or_b64 exec, exec, s[58:59]
	s_and_b64 s[12:13], exec, s[12:13]
	s_or_b64 s[40:41], s[12:13], s[40:41]
	s_andn2_b64 s[12:13], s[42:43], exec
	s_and_b64 s[42:43], s[44:45], exec
	s_or_b64 s[42:43], s[12:13], s[42:43]
	s_andn2_b64 s[12:13], s[20:21], exec
	s_and_b64 s[20:21], s[46:47], exec
	s_or_b64 s[20:21], s[12:13], s[20:21]
	s_mov_b64 s[58:59], s[46:47]
	s_andn2_b64 exec, exec, s[40:41]
	s_cbranch_execz .LBB1238_1021
.LBB1238_1017:                          ; =>This Inner Loop Header: Depth=1
	flat_load_ushort v35, v[30:31]
	flat_load_ushort v36, v[2:3]
	s_or_b64 s[46:47], s[46:47], exec
	s_mov_b64 s[60:61], 0
	s_waitcnt vmcnt(0) lgkmcnt(0)
	v_cmp_nlt_f16_e64 s[12:13], v35, v36
	s_and_saveexec_b64 s[62:63], s[12:13]
; %bb.1018:                             ;   in Loop: Header=BB1238_1017 Depth=1
	v_cmp_ngt_f16_e64 s[12:13], v35, v36
	s_and_b64 s[58:59], s[12:13], s[58:59]
	s_andn2_b64 s[46:47], s[46:47], exec
	s_and_b64 s[58:59], s[58:59], exec
	s_or_b64 s[46:47], s[46:47], s[58:59]
	s_and_b64 s[60:61], s[12:13], exec
; %bb.1019:                             ;   in Loop: Header=BB1238_1017 Depth=1
	s_or_b64 exec, exec, s[62:63]
	s_mov_b64 s[12:13], -1
	s_or_b64 s[44:45], s[44:45], exec
	s_and_saveexec_b64 s[58:59], s[60:61]
	s_cbranch_execz .LBB1238_1016
; %bb.1020:                             ;   in Loop: Header=BB1238_1017 Depth=1
	v_lshl_add_u64 v[32:33], v[32:33], 0, -1
	v_cmp_eq_u64_e64 s[12:13], 0, v[32:33]
	v_lshl_add_u64 v[2:3], v[2:3], 0, 2
	v_lshl_add_u64 v[30:31], v[30:31], 0, 2
	s_andn2_b64 s[44:45], s[44:45], exec
	s_orn2_b64 s[12:13], s[12:13], exec
	s_branch .LBB1238_1016
.LBB1238_1021:
	s_or_b64 exec, exec, s[40:41]
	s_and_saveexec_b64 s[12:13], s[42:43]
	s_xor_b64 s[12:13], exec, s[12:13]
; %bb.1022:
	v_cndmask_b32_e64 v3, v21, v15, s[20:21]
	v_cndmask_b32_e64 v2, v20, v14, s[20:21]
	;; [unrolled: 1-line block ×4, first 2 shown]
	v_mov_b64_e32 v[20:21], v[2:3]
; %bb.1023:
	s_or_b64 exec, exec, s[12:13]
	s_or_b64 exec, exec, s[18:19]
	s_and_saveexec_b64 s[18:19], s[56:57]
	s_cbranch_execz .LBB1238_1033
.LBB1238_1024:
	v_mul_lo_u32 v30, v17, v6
	v_mul_lo_u32 v31, v16, v7
	v_mad_u64_u32 v[2:3], s[12:13], v16, v6, 0
	v_add3_u32 v3, v3, v31, v30
	v_mul_lo_u32 v32, v11, v6
	v_mul_lo_u32 v33, v10, v7
	v_mad_u64_u32 v[30:31], s[12:13], v10, v6, 0
	v_add3_u32 v31, v31, v33, v32
	v_lshl_add_u64 v[2:3], v[2:3], 1, v[8:9]
	v_lshl_add_u64 v[30:31], v[30:31], 1, v[8:9]
	s_mov_b64 s[40:41], 0
	v_mov_b64_e32 v[32:33], v[6:7]
                                        ; implicit-def: $sgpr20_sgpr21
                                        ; implicit-def: $sgpr42_sgpr43
                                        ; implicit-def: $sgpr44_sgpr45
                                        ; implicit-def: $sgpr46_sgpr47
                                        ; implicit-def: $sgpr56_sgpr57
	s_branch .LBB1238_1026
.LBB1238_1025:                          ;   in Loop: Header=BB1238_1026 Depth=1
	s_or_b64 exec, exec, s[56:57]
	s_and_b64 s[12:13], exec, s[12:13]
	s_or_b64 s[40:41], s[12:13], s[40:41]
	s_andn2_b64 s[12:13], s[42:43], exec
	s_and_b64 s[42:43], s[44:45], exec
	s_or_b64 s[42:43], s[12:13], s[42:43]
	s_andn2_b64 s[12:13], s[20:21], exec
	s_and_b64 s[20:21], s[46:47], exec
	s_or_b64 s[20:21], s[12:13], s[20:21]
	s_mov_b64 s[56:57], s[46:47]
	s_andn2_b64 exec, exec, s[40:41]
	s_cbranch_execz .LBB1238_1030
.LBB1238_1026:                          ; =>This Inner Loop Header: Depth=1
	flat_load_ushort v35, v[30:31]
	flat_load_ushort v36, v[2:3]
	s_or_b64 s[46:47], s[46:47], exec
	s_mov_b64 s[58:59], 0
	s_waitcnt vmcnt(0) lgkmcnt(0)
	v_cmp_nlt_f16_e64 s[12:13], v35, v36
	s_and_saveexec_b64 s[60:61], s[12:13]
; %bb.1027:                             ;   in Loop: Header=BB1238_1026 Depth=1
	v_cmp_ngt_f16_e64 s[12:13], v35, v36
	s_and_b64 s[56:57], s[12:13], s[56:57]
	s_andn2_b64 s[46:47], s[46:47], exec
	s_and_b64 s[56:57], s[56:57], exec
	s_or_b64 s[46:47], s[46:47], s[56:57]
	s_and_b64 s[58:59], s[12:13], exec
; %bb.1028:                             ;   in Loop: Header=BB1238_1026 Depth=1
	s_or_b64 exec, exec, s[60:61]
	s_mov_b64 s[12:13], -1
	s_or_b64 s[44:45], s[44:45], exec
	s_and_saveexec_b64 s[56:57], s[58:59]
	s_cbranch_execz .LBB1238_1025
; %bb.1029:                             ;   in Loop: Header=BB1238_1026 Depth=1
	v_lshl_add_u64 v[32:33], v[32:33], 0, -1
	v_cmp_eq_u64_e64 s[12:13], 0, v[32:33]
	v_lshl_add_u64 v[2:3], v[2:3], 0, 2
	v_lshl_add_u64 v[30:31], v[30:31], 0, 2
	s_andn2_b64 s[44:45], s[44:45], exec
	s_orn2_b64 s[12:13], s[12:13], exec
	s_branch .LBB1238_1025
.LBB1238_1030:
	s_or_b64 exec, exec, s[40:41]
	s_and_saveexec_b64 s[12:13], s[42:43]
	s_xor_b64 s[12:13], exec, s[12:13]
; %bb.1031:
	v_cndmask_b32_e64 v3, v17, v11, s[20:21]
	v_cndmask_b32_e64 v2, v16, v10, s[20:21]
	;; [unrolled: 1-line block ×4, first 2 shown]
	v_mov_b64_e32 v[16:17], v[2:3]
; %bb.1032:
	s_or_b64 exec, exec, s[12:13]
.LBB1238_1033:
	s_or_b64 exec, exec, s[18:19]
	v_mbcnt_lo_u32_b32 v2, -1, 0
	s_mov_b64 s[12:13], src_shared_base
	v_mbcnt_hi_u32_b32 v32, -1, v2
	v_mov_b32_e32 v35, 0
	v_and_b32_e32 v34, 0xfffffe00, v34
	v_mov_b32_e32 v3, s13
	v_mov_b32_e32 v2, v35
	v_lshlrev_b32_e32 v51, 3, v32
	v_sub_u32_e64 v50, v0, v34 clamp
	v_lshl_add_u64 v[30:31], v[34:35], 3, v[2:3]
	v_or_b32_e32 v2, 8, v51
	v_min_u32_e32 v97, v50, v2
	v_add_u32_e32 v2, 8, v97
	v_and_b32_e32 v99, 0x3f0, v51
	v_min_u32_e32 v98, v50, v2
	v_and_b32_e32 v2, 8, v51
	v_min_u32_e32 v100, v50, v2
	v_sub_u32_e32 v2, v97, v99
	v_sub_u32_e32 v3, v98, v97
	v_sub_u32_e64 v101, v100, v3 clamp
	v_min_u32_e32 v82, v100, v2
	v_lshl_add_u32 v81, v32, 6, v30
	v_cmp_lt_u32_e64 s[12:13], v101, v82
	v_lshlrev_b64 v[2:3], 1, v[6:7]
	ds_write2_b64 v81, v[22:23], v[24:25] offset1:1
	ds_write2_b64 v81, v[18:19], v[20:21] offset0:2 offset1:3
	ds_write2_b64 v81, v[14:15], v[16:17] offset0:4 offset1:5
	;; [unrolled: 1-line block ×3, first 2 shown]
	; wave barrier
	s_and_saveexec_b64 s[18:19], s[12:13]
	s_cbranch_execz .LBB1238_1045
; %bb.1034:
	v_lshlrev_b32_e32 v34, 3, v99
	v_lshl_add_u64 v[32:33], v[30:31], 0, v[34:35]
	v_lshlrev_b32_e32 v34, 3, v97
	v_lshl_add_u64 v[34:35], v[30:31], 0, v[34:35]
	s_mov_b64 s[20:21], 0
	s_branch .LBB1238_1037
.LBB1238_1035:                          ;   in Loop: Header=BB1238_1037 Depth=1
	s_or_b64 exec, exec, s[42:43]
	s_and_b64 s[12:13], s[44:45], exec
.LBB1238_1036:                          ;   in Loop: Header=BB1238_1037 Depth=1
	s_or_b64 exec, exec, s[40:41]
	v_add_u32_e32 v35, 1, v33
	v_cndmask_b32_e64 v82, v82, v33, s[12:13]
	v_cndmask_b32_e64 v101, v35, v101, s[12:13]
	v_cmp_ge_u32_e64 s[12:13], v101, v82
	s_or_b64 s[20:21], s[12:13], s[20:21]
	s_andn2_b64 exec, exec, s[20:21]
	s_cbranch_execz .LBB1238_1044
.LBB1238_1037:                          ; =>This Loop Header: Depth=1
                                        ;     Child Loop BB1238_1040 Depth 2
	v_add_u32_e32 v33, v82, v101
	v_lshrrev_b32_e32 v33, 1, v33
	s_mov_b64 s[12:13], 0
	s_and_saveexec_b64 s[40:41], s[16:17]
	s_cbranch_execz .LBB1238_1036
; %bb.1038:                             ;   in Loop: Header=BB1238_1037 Depth=1
	v_lshl_add_u32 v35, v33, 3, v32
	ds_read_b64 v[36:37], v35
	v_xad_u32 v35, v33, -1, v100
	v_lshl_add_u32 v35, v35, 3, v34
	ds_read_b64 v[38:39], v35
	s_mov_b64 s[42:43], 0
	s_waitcnt lgkmcnt(1)
	v_mul_lo_u32 v35, v2, v37
	v_mul_lo_u32 v48, v3, v36
	v_mad_u64_u32 v[36:37], s[12:13], v2, v36, v[8:9]
	v_add3_u32 v37, v48, v37, v35
	s_waitcnt lgkmcnt(0)
	v_mul_lo_u32 v35, v2, v39
	v_mul_lo_u32 v48, v3, v38
	v_mad_u64_u32 v[38:39], s[12:13], v2, v38, v[8:9]
	v_add3_u32 v39, v48, v39, v35
	v_mov_b64_e32 v[48:49], v[6:7]
                                        ; implicit-def: $sgpr44_sgpr45
                                        ; implicit-def: $sgpr46_sgpr47
                                        ; implicit-def: $sgpr60_sgpr61
	s_branch .LBB1238_1040
.LBB1238_1039:                          ;   in Loop: Header=BB1238_1040 Depth=2
	s_or_b64 exec, exec, s[60:61]
	s_and_b64 s[12:13], exec, s[58:59]
	s_or_b64 s[42:43], s[12:13], s[42:43]
	s_andn2_b64 s[12:13], s[44:45], exec
	s_and_b64 s[44:45], s[46:47], exec
	s_or_b64 s[44:45], s[12:13], s[44:45]
	s_mov_b64 s[60:61], s[56:57]
	s_andn2_b64 exec, exec, s[42:43]
	s_cbranch_execz .LBB1238_1035
.LBB1238_1040:                          ;   Parent Loop BB1238_1037 Depth=1
                                        ; =>  This Inner Loop Header: Depth=2
	flat_load_ushort v35, v[38:39]
	flat_load_ushort v83, v[36:37]
	s_mov_b64 s[58:59], -1
	s_mov_b64 s[62:63], 0
	s_mov_b64 s[56:57], -1
	s_waitcnt vmcnt(0) lgkmcnt(0)
	v_cmp_nlt_f16_e64 s[12:13], v35, v83
	s_and_saveexec_b64 s[72:73], s[12:13]
; %bb.1041:                             ;   in Loop: Header=BB1238_1040 Depth=2
	v_cmp_ngt_f16_e64 s[12:13], v35, v83
	s_and_b64 s[56:57], s[12:13], s[60:61]
	s_orn2_b64 s[56:57], s[56:57], exec
	s_and_b64 s[62:63], s[12:13], exec
; %bb.1042:                             ;   in Loop: Header=BB1238_1040 Depth=2
	s_or_b64 exec, exec, s[72:73]
	s_andn2_b64 s[12:13], s[46:47], exec
	s_and_b64 s[46:47], s[56:57], exec
	s_or_b64 s[46:47], s[12:13], s[46:47]
	s_and_saveexec_b64 s[60:61], s[62:63]
	s_cbranch_execz .LBB1238_1039
; %bb.1043:                             ;   in Loop: Header=BB1238_1040 Depth=2
	v_lshl_add_u64 v[48:49], v[48:49], 0, -1
	v_cmp_eq_u64_e64 s[12:13], 0, v[48:49]
	v_lshl_add_u64 v[36:37], v[36:37], 0, 2
	v_lshl_add_u64 v[38:39], v[38:39], 0, 2
	s_andn2_b64 s[46:47], s[46:47], exec
	s_orn2_b64 s[58:59], s[12:13], exec
	s_branch .LBB1238_1039
.LBB1238_1044:
	s_or_b64 exec, exec, s[20:21]
.LBB1238_1045:
	s_or_b64 exec, exec, s[18:19]
	v_add_u32_e32 v32, v97, v100
	v_add_u32_e32 v33, v101, v99
	v_sub_u32_e32 v34, v32, v101
	v_cmp_le_u32_e64 s[12:13], v33, v97
	v_cmp_le_u32_e64 s[18:19], v34, v98
	v_add_u32_e32 v82, 8, v81
	v_add_u32_e32 v83, 16, v81
	;; [unrolled: 1-line block ×7, first 2 shown]
	s_or_b64 s[12:13], s[12:13], s[18:19]
	s_and_saveexec_b64 s[40:41], s[12:13]
	s_cbranch_execz .LBB1238_1129
; %bb.1046:
	v_cmp_ge_u32_e64 s[18:19], v33, v97
	v_cmp_lt_u32_e64 s[12:13], v33, v97
                                        ; implicit-def: $vgpr10_vgpr11
	s_and_saveexec_b64 s[20:21], s[12:13]
; %bb.1047:
	v_lshl_add_u32 v10, v33, 3, v30
	ds_read_b64 v[10:11], v10
; %bb.1048:
	s_or_b64 exec, exec, s[20:21]
	v_cmp_ge_u32_e64 s[20:21], v34, v98
	v_cmp_lt_u32_e64 s[12:13], v34, v98
                                        ; implicit-def: $vgpr12_vgpr13
	s_and_saveexec_b64 s[42:43], s[12:13]
; %bb.1049:
	v_lshl_add_u32 v12, v34, 3, v30
	ds_read_b64 v[12:13], v12
; %bb.1050:
	s_or_b64 exec, exec, s[42:43]
	s_or_b64 s[12:13], s[18:19], s[20:21]
	s_xor_b64 s[18:19], s[18:19], -1
	s_nor_b64 s[12:13], s[12:13], s[8:9]
	s_or_b64 s[18:19], s[20:21], s[18:19]
	s_and_saveexec_b64 s[20:21], s[12:13]
	s_cbranch_execz .LBB1238_1058
; %bb.1051:
	s_waitcnt lgkmcnt(0)
	v_mul_lo_u32 v16, v11, v6
	v_mul_lo_u32 v17, v10, v7
	v_mad_u64_u32 v[14:15], s[12:13], v10, v6, 0
	v_add3_u32 v15, v15, v17, v16
	v_mul_lo_u32 v18, v13, v6
	v_mul_lo_u32 v19, v12, v7
	v_mad_u64_u32 v[16:17], s[12:13], v12, v6, 0
	v_add3_u32 v17, v17, v19, v18
	v_lshl_add_u64 v[14:15], v[14:15], 1, v[8:9]
	v_lshl_add_u64 v[16:17], v[16:17], 1, v[8:9]
	s_mov_b64 s[42:43], 0
	v_mov_b64_e32 v[18:19], v[6:7]
                                        ; implicit-def: $sgpr44_sgpr45
                                        ; implicit-def: $sgpr46_sgpr47
                                        ; implicit-def: $sgpr60_sgpr61
	s_branch .LBB1238_1053
.LBB1238_1052:                          ;   in Loop: Header=BB1238_1053 Depth=1
	s_or_b64 exec, exec, s[60:61]
	s_and_b64 s[12:13], exec, s[58:59]
	s_or_b64 s[42:43], s[12:13], s[42:43]
	s_andn2_b64 s[12:13], s[44:45], exec
	s_and_b64 s[44:45], s[46:47], exec
	s_or_b64 s[44:45], s[12:13], s[44:45]
	s_mov_b64 s[60:61], s[56:57]
	s_andn2_b64 exec, exec, s[42:43]
	s_cbranch_execz .LBB1238_1057
.LBB1238_1053:                          ; =>This Inner Loop Header: Depth=1
	flat_load_ushort v20, v[16:17]
	flat_load_ushort v21, v[14:15]
	s_mov_b64 s[58:59], -1
	s_mov_b64 s[62:63], 0
	s_mov_b64 s[56:57], -1
	s_waitcnt vmcnt(0) lgkmcnt(0)
	v_cmp_nlt_f16_e64 s[12:13], v20, v21
	s_and_saveexec_b64 s[72:73], s[12:13]
; %bb.1054:                             ;   in Loop: Header=BB1238_1053 Depth=1
	v_cmp_ngt_f16_e64 s[12:13], v20, v21
	s_and_b64 s[56:57], s[12:13], s[60:61]
	s_orn2_b64 s[56:57], s[56:57], exec
	s_and_b64 s[62:63], s[12:13], exec
; %bb.1055:                             ;   in Loop: Header=BB1238_1053 Depth=1
	s_or_b64 exec, exec, s[72:73]
	s_andn2_b64 s[12:13], s[46:47], exec
	s_and_b64 s[46:47], s[56:57], exec
	s_or_b64 s[46:47], s[12:13], s[46:47]
	s_and_saveexec_b64 s[60:61], s[62:63]
	s_cbranch_execz .LBB1238_1052
; %bb.1056:                             ;   in Loop: Header=BB1238_1053 Depth=1
	v_lshl_add_u64 v[18:19], v[18:19], 0, -1
	v_cmp_eq_u64_e64 s[12:13], 0, v[18:19]
	v_lshl_add_u64 v[14:15], v[14:15], 0, 2
	v_lshl_add_u64 v[16:17], v[16:17], 0, 2
	s_andn2_b64 s[46:47], s[46:47], exec
	s_orn2_b64 s[58:59], s[12:13], exec
	s_branch .LBB1238_1052
.LBB1238_1057:
	s_or_b64 exec, exec, s[42:43]
	s_xor_b64 s[12:13], s[44:45], -1
	s_andn2_b64 s[18:19], s[18:19], exec
	s_and_b64 s[12:13], s[12:13], exec
	s_or_b64 s[18:19], s[18:19], s[12:13]
.LBB1238_1058:
	s_or_b64 exec, exec, s[20:21]
	v_cndmask_b32_e64 v14, v34, v33, s[18:19]
	v_cndmask_b32_e64 v15, v98, v97, s[18:19]
	v_add_u32_e32 v16, 1, v14
	v_add_u32_e32 v14, -1, v15
	v_min_u32_e32 v14, v16, v14
	v_lshl_add_u32 v14, v14, 3, v30
	ds_read_b64 v[14:15], v14
	v_cndmask_b32_e64 v20, v16, v34, s[18:19]
	v_cndmask_b32_e64 v21, v33, v16, s[18:19]
	v_cmp_lt_u32_e64 s[12:13], v20, v98
	s_mov_b64 s[42:43], -1
	s_waitcnt lgkmcnt(0)
	v_cndmask_b32_e64 v22, v15, v13, s[18:19]
	v_cndmask_b32_e64 v23, v14, v12, s[18:19]
	;; [unrolled: 1-line block ×4, first 2 shown]
	s_mov_b64 s[20:21], -1
	s_and_saveexec_b64 s[44:45], s[12:13]
	s_cbranch_execz .LBB1238_1068
; %bb.1059:
	v_cmp_lt_u32_e64 s[20:21], v21, v97
	s_and_b64 s[12:13], s[20:21], s[28:29]
	s_and_saveexec_b64 s[46:47], s[12:13]
	s_cbranch_execz .LBB1238_1067
; %bb.1060:
	v_mul_lo_u32 v16, v24, v6
	v_mul_lo_u32 v17, v32, v7
	v_mad_u64_u32 v[14:15], s[12:13], v32, v6, 0
	v_add3_u32 v15, v15, v17, v16
	v_mul_lo_u32 v18, v22, v6
	v_mul_lo_u32 v19, v23, v7
	v_mad_u64_u32 v[16:17], s[12:13], v23, v6, 0
	v_add3_u32 v17, v17, v19, v18
	v_lshl_add_u64 v[14:15], v[14:15], 1, v[8:9]
	v_lshl_add_u64 v[16:17], v[16:17], 1, v[8:9]
	s_mov_b64 s[56:57], 0
	v_mov_b64_e32 v[18:19], v[6:7]
                                        ; implicit-def: $sgpr58_sgpr59
                                        ; implicit-def: $sgpr60_sgpr61
                                        ; implicit-def: $sgpr74_sgpr75
	s_branch .LBB1238_1062
.LBB1238_1061:                          ;   in Loop: Header=BB1238_1062 Depth=1
	s_or_b64 exec, exec, s[74:75]
	s_and_b64 s[12:13], exec, s[72:73]
	s_or_b64 s[56:57], s[12:13], s[56:57]
	s_andn2_b64 s[12:13], s[58:59], exec
	s_and_b64 s[58:59], s[60:61], exec
	s_or_b64 s[58:59], s[12:13], s[58:59]
	s_mov_b64 s[74:75], s[62:63]
	s_andn2_b64 exec, exec, s[56:57]
	s_cbranch_execz .LBB1238_1066
.LBB1238_1062:                          ; =>This Inner Loop Header: Depth=1
	flat_load_ushort v25, v[16:17]
	flat_load_ushort v33, v[14:15]
	s_mov_b64 s[72:73], -1
	s_mov_b64 s[76:77], 0
	s_mov_b64 s[62:63], -1
	s_waitcnt vmcnt(0) lgkmcnt(0)
	v_cmp_nlt_f16_e64 s[12:13], v25, v33
	s_and_saveexec_b64 s[78:79], s[12:13]
; %bb.1063:                             ;   in Loop: Header=BB1238_1062 Depth=1
	v_cmp_ngt_f16_e64 s[12:13], v25, v33
	s_and_b64 s[62:63], s[12:13], s[74:75]
	s_orn2_b64 s[62:63], s[62:63], exec
	s_and_b64 s[76:77], s[12:13], exec
; %bb.1064:                             ;   in Loop: Header=BB1238_1062 Depth=1
	s_or_b64 exec, exec, s[78:79]
	s_andn2_b64 s[12:13], s[60:61], exec
	s_and_b64 s[60:61], s[62:63], exec
	s_or_b64 s[60:61], s[12:13], s[60:61]
	s_and_saveexec_b64 s[74:75], s[76:77]
	s_cbranch_execz .LBB1238_1061
; %bb.1065:                             ;   in Loop: Header=BB1238_1062 Depth=1
	v_lshl_add_u64 v[18:19], v[18:19], 0, -1
	v_cmp_eq_u64_e64 s[12:13], 0, v[18:19]
	v_lshl_add_u64 v[14:15], v[14:15], 0, 2
	v_lshl_add_u64 v[16:17], v[16:17], 0, 2
	s_andn2_b64 s[60:61], s[60:61], exec
	s_orn2_b64 s[72:73], s[12:13], exec
	s_branch .LBB1238_1061
.LBB1238_1066:
	s_or_b64 exec, exec, s[56:57]
	s_xor_b64 s[12:13], s[58:59], -1
	s_andn2_b64 s[20:21], s[20:21], exec
	s_and_b64 s[12:13], s[12:13], exec
	s_or_b64 s[20:21], s[20:21], s[12:13]
.LBB1238_1067:
	s_or_b64 exec, exec, s[46:47]
	s_orn2_b64 s[20:21], s[20:21], exec
.LBB1238_1068:
	s_or_b64 exec, exec, s[44:45]
	v_cndmask_b32_e64 v14, v20, v21, s[20:21]
	v_cndmask_b32_e64 v15, v98, v97, s[20:21]
	v_add_u32_e32 v16, 1, v14
	v_add_u32_e32 v14, -1, v15
	v_min_u32_e32 v14, v16, v14
	v_lshl_add_u32 v14, v14, 3, v30
	ds_read_b64 v[14:15], v14
	v_cndmask_b32_e64 v38, v16, v20, s[20:21]
	v_cndmask_b32_e64 v39, v21, v16, s[20:21]
	v_cmp_lt_u32_e64 s[12:13], v38, v98
	s_waitcnt lgkmcnt(0)
	v_cndmask_b32_e64 v25, v15, v22, s[20:21]
	v_cndmask_b32_e64 v33, v14, v23, s[20:21]
	;; [unrolled: 1-line block ×4, first 2 shown]
	s_and_saveexec_b64 s[44:45], s[12:13]
	s_cbranch_execz .LBB1238_1078
; %bb.1069:
	v_cmp_lt_u32_e64 s[42:43], v39, v97
	s_and_b64 s[12:13], s[42:43], s[28:29]
	s_and_saveexec_b64 s[46:47], s[12:13]
	s_cbranch_execz .LBB1238_1077
; %bb.1070:
	v_mul_lo_u32 v16, v34, v6
	v_mul_lo_u32 v17, v35, v7
	v_mad_u64_u32 v[14:15], s[12:13], v35, v6, 0
	v_add3_u32 v15, v15, v17, v16
	v_mul_lo_u32 v18, v25, v6
	v_mul_lo_u32 v19, v33, v7
	v_mad_u64_u32 v[16:17], s[12:13], v33, v6, 0
	v_add3_u32 v17, v17, v19, v18
	v_lshl_add_u64 v[14:15], v[14:15], 1, v[8:9]
	v_lshl_add_u64 v[16:17], v[16:17], 1, v[8:9]
	s_mov_b64 s[56:57], 0
	v_mov_b64_e32 v[18:19], v[6:7]
                                        ; implicit-def: $sgpr58_sgpr59
                                        ; implicit-def: $sgpr60_sgpr61
                                        ; implicit-def: $sgpr74_sgpr75
	s_branch .LBB1238_1072
.LBB1238_1071:                          ;   in Loop: Header=BB1238_1072 Depth=1
	s_or_b64 exec, exec, s[74:75]
	s_and_b64 s[12:13], exec, s[72:73]
	s_or_b64 s[56:57], s[12:13], s[56:57]
	s_andn2_b64 s[12:13], s[58:59], exec
	s_and_b64 s[58:59], s[60:61], exec
	s_or_b64 s[58:59], s[12:13], s[58:59]
	s_mov_b64 s[74:75], s[62:63]
	s_andn2_b64 exec, exec, s[56:57]
	s_cbranch_execz .LBB1238_1076
.LBB1238_1072:                          ; =>This Inner Loop Header: Depth=1
	flat_load_ushort v20, v[16:17]
	flat_load_ushort v21, v[14:15]
	s_mov_b64 s[72:73], -1
	s_mov_b64 s[76:77], 0
	s_mov_b64 s[62:63], -1
	s_waitcnt vmcnt(0) lgkmcnt(0)
	v_cmp_nlt_f16_e64 s[12:13], v20, v21
	s_and_saveexec_b64 s[78:79], s[12:13]
; %bb.1073:                             ;   in Loop: Header=BB1238_1072 Depth=1
	v_cmp_ngt_f16_e64 s[12:13], v20, v21
	s_and_b64 s[62:63], s[12:13], s[74:75]
	s_orn2_b64 s[62:63], s[62:63], exec
	s_and_b64 s[76:77], s[12:13], exec
; %bb.1074:                             ;   in Loop: Header=BB1238_1072 Depth=1
	s_or_b64 exec, exec, s[78:79]
	s_andn2_b64 s[12:13], s[60:61], exec
	s_and_b64 s[60:61], s[62:63], exec
	s_or_b64 s[60:61], s[12:13], s[60:61]
	s_and_saveexec_b64 s[74:75], s[76:77]
	s_cbranch_execz .LBB1238_1071
; %bb.1075:                             ;   in Loop: Header=BB1238_1072 Depth=1
	v_lshl_add_u64 v[18:19], v[18:19], 0, -1
	v_cmp_eq_u64_e64 s[12:13], 0, v[18:19]
	v_lshl_add_u64 v[14:15], v[14:15], 0, 2
	v_lshl_add_u64 v[16:17], v[16:17], 0, 2
	s_andn2_b64 s[60:61], s[60:61], exec
	s_orn2_b64 s[72:73], s[12:13], exec
	s_branch .LBB1238_1071
.LBB1238_1076:
	s_or_b64 exec, exec, s[56:57]
	s_xor_b64 s[12:13], s[58:59], -1
	s_andn2_b64 s[42:43], s[42:43], exec
	s_and_b64 s[12:13], s[12:13], exec
	s_or_b64 s[42:43], s[42:43], s[12:13]
.LBB1238_1077:
	s_or_b64 exec, exec, s[46:47]
	s_orn2_b64 s[42:43], s[42:43], exec
.LBB1238_1078:
	s_or_b64 exec, exec, s[44:45]
	v_cndmask_b32_e64 v14, v38, v39, s[42:43]
	v_cndmask_b32_e64 v15, v98, v97, s[42:43]
	v_add_u32_e32 v16, 1, v14
	v_add_u32_e32 v14, -1, v15
	v_min_u32_e32 v14, v16, v14
	v_lshl_add_u32 v14, v14, 3, v30
	ds_read_b64 v[14:15], v14
	v_cndmask_b32_e64 v99, v16, v38, s[42:43]
	v_cndmask_b32_e64 v100, v39, v16, s[42:43]
	v_cmp_lt_u32_e64 s[12:13], v99, v98
	s_mov_b64 s[46:47], -1
	s_waitcnt lgkmcnt(0)
	v_cndmask_b32_e64 v20, v15, v25, s[42:43]
	v_cndmask_b32_e64 v36, v14, v33, s[42:43]
	v_cndmask_b32_e64 v21, v34, v15, s[42:43]
	v_cndmask_b32_e64 v37, v35, v14, s[42:43]
	s_mov_b64 s[44:45], -1
	s_and_saveexec_b64 s[56:57], s[12:13]
	s_cbranch_execz .LBB1238_1088
; %bb.1079:
	v_cmp_lt_u32_e64 s[44:45], v100, v97
	s_and_b64 s[12:13], s[44:45], s[28:29]
	s_and_saveexec_b64 s[58:59], s[12:13]
	s_cbranch_execz .LBB1238_1087
; %bb.1080:
	v_mul_lo_u32 v16, v21, v6
	v_mul_lo_u32 v17, v37, v7
	v_mad_u64_u32 v[14:15], s[12:13], v37, v6, 0
	v_add3_u32 v15, v15, v17, v16
	v_mul_lo_u32 v18, v20, v6
	v_mul_lo_u32 v19, v36, v7
	v_mad_u64_u32 v[16:17], s[12:13], v36, v6, 0
	v_add3_u32 v17, v17, v19, v18
	v_lshl_add_u64 v[14:15], v[14:15], 1, v[8:9]
	v_lshl_add_u64 v[16:17], v[16:17], 1, v[8:9]
	s_mov_b64 s[60:61], 0
	v_mov_b64_e32 v[18:19], v[6:7]
                                        ; implicit-def: $sgpr62_sgpr63
                                        ; implicit-def: $sgpr72_sgpr73
                                        ; implicit-def: $sgpr78_sgpr79
	s_branch .LBB1238_1082
.LBB1238_1081:                          ;   in Loop: Header=BB1238_1082 Depth=1
	s_or_b64 exec, exec, s[78:79]
	s_and_b64 s[12:13], exec, s[76:77]
	s_or_b64 s[60:61], s[12:13], s[60:61]
	s_andn2_b64 s[12:13], s[62:63], exec
	s_and_b64 s[62:63], s[72:73], exec
	s_or_b64 s[62:63], s[12:13], s[62:63]
	s_mov_b64 s[78:79], s[74:75]
	s_andn2_b64 exec, exec, s[60:61]
	s_cbranch_execz .LBB1238_1086
.LBB1238_1082:                          ; =>This Inner Loop Header: Depth=1
	flat_load_ushort v38, v[16:17]
	flat_load_ushort v39, v[14:15]
	s_mov_b64 s[76:77], -1
	s_mov_b64 s[88:89], 0
	s_mov_b64 s[74:75], -1
	s_waitcnt vmcnt(0) lgkmcnt(0)
	v_cmp_nlt_f16_e64 s[12:13], v38, v39
	s_and_saveexec_b64 s[90:91], s[12:13]
; %bb.1083:                             ;   in Loop: Header=BB1238_1082 Depth=1
	v_cmp_ngt_f16_e64 s[12:13], v38, v39
	s_and_b64 s[74:75], s[12:13], s[78:79]
	s_orn2_b64 s[74:75], s[74:75], exec
	s_and_b64 s[88:89], s[12:13], exec
; %bb.1084:                             ;   in Loop: Header=BB1238_1082 Depth=1
	s_or_b64 exec, exec, s[90:91]
	s_andn2_b64 s[12:13], s[72:73], exec
	s_and_b64 s[72:73], s[74:75], exec
	s_or_b64 s[72:73], s[12:13], s[72:73]
	s_and_saveexec_b64 s[78:79], s[88:89]
	s_cbranch_execz .LBB1238_1081
; %bb.1085:                             ;   in Loop: Header=BB1238_1082 Depth=1
	v_lshl_add_u64 v[18:19], v[18:19], 0, -1
	v_cmp_eq_u64_e64 s[12:13], 0, v[18:19]
	v_lshl_add_u64 v[14:15], v[14:15], 0, 2
	v_lshl_add_u64 v[16:17], v[16:17], 0, 2
	s_andn2_b64 s[72:73], s[72:73], exec
	s_orn2_b64 s[76:77], s[12:13], exec
	s_branch .LBB1238_1081
.LBB1238_1086:
	s_or_b64 exec, exec, s[60:61]
	s_xor_b64 s[12:13], s[62:63], -1
	s_andn2_b64 s[44:45], s[44:45], exec
	s_and_b64 s[12:13], s[12:13], exec
	s_or_b64 s[44:45], s[44:45], s[12:13]
.LBB1238_1087:
	s_or_b64 exec, exec, s[58:59]
	s_orn2_b64 s[44:45], s[44:45], exec
.LBB1238_1088:
	s_or_b64 exec, exec, s[56:57]
	v_cndmask_b32_e64 v14, v99, v100, s[44:45]
	v_cndmask_b32_e64 v15, v98, v97, s[44:45]
	v_add_u32_e32 v16, 1, v14
	v_add_u32_e32 v14, -1, v15
	v_min_u32_e32 v14, v16, v14
	v_lshl_add_u32 v14, v14, 3, v30
	ds_read_b64 v[14:15], v14
	v_cndmask_b32_e64 v103, v16, v99, s[44:45]
	v_cndmask_b32_e64 v112, v100, v16, s[44:45]
	v_cmp_lt_u32_e64 s[12:13], v103, v98
	s_waitcnt lgkmcnt(0)
	v_cndmask_b32_e64 v38, v15, v20, s[44:45]
	v_cndmask_b32_e64 v39, v14, v36, s[44:45]
	;; [unrolled: 1-line block ×4, first 2 shown]
	s_and_saveexec_b64 s[56:57], s[12:13]
	s_cbranch_execz .LBB1238_1098
; %bb.1089:
	v_cmp_lt_u32_e64 s[46:47], v112, v97
	s_and_b64 s[12:13], s[46:47], s[28:29]
	s_and_saveexec_b64 s[58:59], s[12:13]
	s_cbranch_execz .LBB1238_1097
; %bb.1090:
	v_mul_lo_u32 v16, v48, v6
	v_mul_lo_u32 v17, v49, v7
	v_mad_u64_u32 v[14:15], s[12:13], v49, v6, 0
	v_add3_u32 v15, v15, v17, v16
	v_mul_lo_u32 v18, v38, v6
	v_mul_lo_u32 v19, v39, v7
	v_mad_u64_u32 v[16:17], s[12:13], v39, v6, 0
	v_add3_u32 v17, v17, v19, v18
	v_lshl_add_u64 v[14:15], v[14:15], 1, v[8:9]
	v_lshl_add_u64 v[16:17], v[16:17], 1, v[8:9]
	s_mov_b64 s[60:61], 0
	v_mov_b64_e32 v[18:19], v[6:7]
                                        ; implicit-def: $sgpr62_sgpr63
                                        ; implicit-def: $sgpr72_sgpr73
                                        ; implicit-def: $sgpr78_sgpr79
	s_branch .LBB1238_1092
.LBB1238_1091:                          ;   in Loop: Header=BB1238_1092 Depth=1
	s_or_b64 exec, exec, s[78:79]
	s_and_b64 s[12:13], exec, s[76:77]
	s_or_b64 s[60:61], s[12:13], s[60:61]
	s_andn2_b64 s[12:13], s[62:63], exec
	s_and_b64 s[62:63], s[72:73], exec
	s_or_b64 s[62:63], s[12:13], s[62:63]
	s_mov_b64 s[78:79], s[74:75]
	s_andn2_b64 exec, exec, s[60:61]
	s_cbranch_execz .LBB1238_1096
.LBB1238_1092:                          ; =>This Inner Loop Header: Depth=1
	flat_load_ushort v99, v[16:17]
	flat_load_ushort v100, v[14:15]
	s_mov_b64 s[76:77], -1
	s_mov_b64 s[88:89], 0
	s_mov_b64 s[74:75], -1
	s_waitcnt vmcnt(0) lgkmcnt(0)
	v_cmp_nlt_f16_e64 s[12:13], v99, v100
	s_and_saveexec_b64 s[90:91], s[12:13]
; %bb.1093:                             ;   in Loop: Header=BB1238_1092 Depth=1
	v_cmp_ngt_f16_e64 s[12:13], v99, v100
	s_and_b64 s[74:75], s[12:13], s[78:79]
	s_orn2_b64 s[74:75], s[74:75], exec
	s_and_b64 s[88:89], s[12:13], exec
; %bb.1094:                             ;   in Loop: Header=BB1238_1092 Depth=1
	s_or_b64 exec, exec, s[90:91]
	s_andn2_b64 s[12:13], s[72:73], exec
	s_and_b64 s[72:73], s[74:75], exec
	s_or_b64 s[72:73], s[12:13], s[72:73]
	s_and_saveexec_b64 s[78:79], s[88:89]
	s_cbranch_execz .LBB1238_1091
; %bb.1095:                             ;   in Loop: Header=BB1238_1092 Depth=1
	v_lshl_add_u64 v[18:19], v[18:19], 0, -1
	v_cmp_eq_u64_e64 s[12:13], 0, v[18:19]
	v_lshl_add_u64 v[14:15], v[14:15], 0, 2
	v_lshl_add_u64 v[16:17], v[16:17], 0, 2
	s_andn2_b64 s[72:73], s[72:73], exec
	s_orn2_b64 s[76:77], s[12:13], exec
	s_branch .LBB1238_1091
.LBB1238_1096:
	s_or_b64 exec, exec, s[60:61]
	s_xor_b64 s[12:13], s[62:63], -1
	s_andn2_b64 s[46:47], s[46:47], exec
	s_and_b64 s[12:13], s[12:13], exec
	s_or_b64 s[46:47], s[46:47], s[12:13]
.LBB1238_1097:
	s_or_b64 exec, exec, s[58:59]
	s_orn2_b64 s[46:47], s[46:47], exec
.LBB1238_1098:
	s_or_b64 exec, exec, s[56:57]
	v_cndmask_b32_e64 v14, v103, v112, s[46:47]
	v_cndmask_b32_e64 v15, v98, v97, s[46:47]
	v_add_u32_e32 v16, 1, v14
	v_add_u32_e32 v14, -1, v15
	v_min_u32_e32 v14, v16, v14
	v_lshl_add_u32 v14, v14, 3, v30
	ds_read_b64 v[14:15], v14
	v_cndmask_b32_e64 v113, v16, v103, s[46:47]
	v_cndmask_b32_e64 v117, v112, v16, s[46:47]
	v_cmp_lt_u32_e64 s[12:13], v113, v98
	s_mov_b64 s[56:57], -1
	s_waitcnt lgkmcnt(0)
	v_cndmask_b32_e64 v99, v15, v38, s[46:47]
	v_cndmask_b32_e64 v100, v14, v39, s[46:47]
	;; [unrolled: 1-line block ×4, first 2 shown]
	s_mov_b64 s[58:59], -1
	s_and_saveexec_b64 s[60:61], s[12:13]
	s_cbranch_execz .LBB1238_1108
; %bb.1099:
	v_cmp_lt_u32_e64 s[58:59], v117, v97
	s_and_b64 s[12:13], s[58:59], s[28:29]
	s_and_saveexec_b64 s[62:63], s[12:13]
	s_cbranch_execz .LBB1238_1107
; %bb.1100:
	v_mul_lo_u32 v16, v101, v6
	v_mul_lo_u32 v17, v102, v7
	v_mad_u64_u32 v[14:15], s[12:13], v102, v6, 0
	v_add3_u32 v15, v15, v17, v16
	v_mul_lo_u32 v18, v99, v6
	v_mul_lo_u32 v19, v100, v7
	v_mad_u64_u32 v[16:17], s[12:13], v100, v6, 0
	v_add3_u32 v17, v17, v19, v18
	v_lshl_add_u64 v[14:15], v[14:15], 1, v[8:9]
	v_lshl_add_u64 v[16:17], v[16:17], 1, v[8:9]
	s_mov_b64 s[72:73], 0
	v_mov_b64_e32 v[18:19], v[6:7]
                                        ; implicit-def: $sgpr74_sgpr75
                                        ; implicit-def: $sgpr76_sgpr77
                                        ; implicit-def: $sgpr90_sgpr91
	s_branch .LBB1238_1102
.LBB1238_1101:                          ;   in Loop: Header=BB1238_1102 Depth=1
	s_or_b64 exec, exec, s[90:91]
	s_and_b64 s[12:13], exec, s[88:89]
	s_or_b64 s[72:73], s[12:13], s[72:73]
	s_andn2_b64 s[12:13], s[74:75], exec
	s_and_b64 s[74:75], s[76:77], exec
	s_or_b64 s[74:75], s[12:13], s[74:75]
	s_mov_b64 s[90:91], s[78:79]
	s_andn2_b64 exec, exec, s[72:73]
	s_cbranch_execz .LBB1238_1106
.LBB1238_1102:                          ; =>This Inner Loop Header: Depth=1
	flat_load_ushort v103, v[16:17]
	flat_load_ushort v112, v[14:15]
	s_mov_b64 s[88:89], -1
	s_mov_b64 s[92:93], 0
	s_mov_b64 s[78:79], -1
	s_waitcnt vmcnt(0) lgkmcnt(0)
	v_cmp_nlt_f16_e64 s[12:13], v103, v112
	s_and_saveexec_b64 s[94:95], s[12:13]
; %bb.1103:                             ;   in Loop: Header=BB1238_1102 Depth=1
	v_cmp_ngt_f16_e64 s[12:13], v103, v112
	s_and_b64 s[78:79], s[12:13], s[90:91]
	s_orn2_b64 s[78:79], s[78:79], exec
	s_and_b64 s[92:93], s[12:13], exec
; %bb.1104:                             ;   in Loop: Header=BB1238_1102 Depth=1
	s_or_b64 exec, exec, s[94:95]
	s_andn2_b64 s[12:13], s[76:77], exec
	s_and_b64 s[76:77], s[78:79], exec
	s_or_b64 s[76:77], s[12:13], s[76:77]
	s_and_saveexec_b64 s[90:91], s[92:93]
	s_cbranch_execz .LBB1238_1101
; %bb.1105:                             ;   in Loop: Header=BB1238_1102 Depth=1
	v_lshl_add_u64 v[18:19], v[18:19], 0, -1
	v_cmp_eq_u64_e64 s[12:13], 0, v[18:19]
	v_lshl_add_u64 v[14:15], v[14:15], 0, 2
	v_lshl_add_u64 v[16:17], v[16:17], 0, 2
	s_andn2_b64 s[76:77], s[76:77], exec
	s_orn2_b64 s[88:89], s[12:13], exec
	s_branch .LBB1238_1101
.LBB1238_1106:
	s_or_b64 exec, exec, s[72:73]
	s_xor_b64 s[12:13], s[74:75], -1
	s_andn2_b64 s[58:59], s[58:59], exec
	s_and_b64 s[12:13], s[12:13], exec
	s_or_b64 s[58:59], s[58:59], s[12:13]
.LBB1238_1107:
	s_or_b64 exec, exec, s[62:63]
	s_orn2_b64 s[58:59], s[58:59], exec
.LBB1238_1108:
	s_or_b64 exec, exec, s[60:61]
	v_cndmask_b32_e64 v14, v113, v117, s[58:59]
	v_cndmask_b32_e64 v15, v98, v97, s[58:59]
	v_add_u32_e32 v16, 1, v14
	v_add_u32_e32 v14, -1, v15
	v_min_u32_e32 v14, v16, v14
	v_lshl_add_u32 v14, v14, 3, v30
	ds_read_b64 v[14:15], v14
	v_cndmask_b32_e64 v114, v16, v113, s[58:59]
	v_cndmask_b32_e64 v113, v117, v16, s[58:59]
	v_cmp_lt_u32_e64 s[12:13], v114, v98
	s_waitcnt lgkmcnt(0)
	v_cndmask_b32_e64 v103, v15, v99, s[58:59]
	v_cndmask_b32_e64 v112, v14, v100, s[58:59]
	;; [unrolled: 1-line block ×4, first 2 shown]
	s_and_saveexec_b64 s[60:61], s[12:13]
	s_cbranch_execz .LBB1238_1118
; %bb.1109:
	v_cmp_lt_u32_e64 s[56:57], v113, v97
	s_and_b64 s[12:13], s[56:57], s[28:29]
	s_and_saveexec_b64 s[62:63], s[12:13]
	s_cbranch_execz .LBB1238_1117
; %bb.1110:
	v_mul_lo_u32 v16, v115, v6
	v_mul_lo_u32 v17, v116, v7
	v_mad_u64_u32 v[14:15], s[12:13], v116, v6, 0
	v_add3_u32 v15, v15, v17, v16
	v_mul_lo_u32 v18, v103, v6
	v_mul_lo_u32 v19, v112, v7
	v_mad_u64_u32 v[16:17], s[12:13], v112, v6, 0
	v_add3_u32 v17, v17, v19, v18
	v_lshl_add_u64 v[14:15], v[14:15], 1, v[8:9]
	v_lshl_add_u64 v[16:17], v[16:17], 1, v[8:9]
	s_mov_b64 s[72:73], 0
	v_mov_b64_e32 v[18:19], v[6:7]
                                        ; implicit-def: $sgpr74_sgpr75
                                        ; implicit-def: $sgpr76_sgpr77
                                        ; implicit-def: $sgpr90_sgpr91
	s_branch .LBB1238_1112
.LBB1238_1111:                          ;   in Loop: Header=BB1238_1112 Depth=1
	s_or_b64 exec, exec, s[90:91]
	s_and_b64 s[12:13], exec, s[88:89]
	s_or_b64 s[72:73], s[12:13], s[72:73]
	s_andn2_b64 s[12:13], s[74:75], exec
	s_and_b64 s[74:75], s[76:77], exec
	s_or_b64 s[74:75], s[12:13], s[74:75]
	s_mov_b64 s[90:91], s[78:79]
	s_andn2_b64 exec, exec, s[72:73]
	s_cbranch_execz .LBB1238_1116
.LBB1238_1112:                          ; =>This Inner Loop Header: Depth=1
	flat_load_ushort v117, v[16:17]
	flat_load_ushort v118, v[14:15]
	s_mov_b64 s[88:89], -1
	s_mov_b64 s[92:93], 0
	s_mov_b64 s[78:79], -1
	s_waitcnt vmcnt(0) lgkmcnt(0)
	v_cmp_nlt_f16_e64 s[12:13], v117, v118
	s_and_saveexec_b64 s[94:95], s[12:13]
; %bb.1113:                             ;   in Loop: Header=BB1238_1112 Depth=1
	v_cmp_ngt_f16_e64 s[12:13], v117, v118
	s_and_b64 s[78:79], s[12:13], s[90:91]
	s_orn2_b64 s[78:79], s[78:79], exec
	s_and_b64 s[92:93], s[12:13], exec
; %bb.1114:                             ;   in Loop: Header=BB1238_1112 Depth=1
	s_or_b64 exec, exec, s[94:95]
	s_andn2_b64 s[12:13], s[76:77], exec
	s_and_b64 s[76:77], s[78:79], exec
	s_or_b64 s[76:77], s[12:13], s[76:77]
	s_and_saveexec_b64 s[90:91], s[92:93]
	s_cbranch_execz .LBB1238_1111
; %bb.1115:                             ;   in Loop: Header=BB1238_1112 Depth=1
	v_lshl_add_u64 v[18:19], v[18:19], 0, -1
	v_cmp_eq_u64_e64 s[12:13], 0, v[18:19]
	v_lshl_add_u64 v[14:15], v[14:15], 0, 2
	v_lshl_add_u64 v[16:17], v[16:17], 0, 2
	s_andn2_b64 s[76:77], s[76:77], exec
	s_orn2_b64 s[88:89], s[12:13], exec
	s_branch .LBB1238_1111
.LBB1238_1116:
	s_or_b64 exec, exec, s[72:73]
	s_xor_b64 s[12:13], s[74:75], -1
	s_andn2_b64 s[56:57], s[56:57], exec
	s_and_b64 s[12:13], s[12:13], exec
	s_or_b64 s[56:57], s[56:57], s[12:13]
.LBB1238_1117:
	s_or_b64 exec, exec, s[62:63]
	s_orn2_b64 s[56:57], s[56:57], exec
.LBB1238_1118:
	s_or_b64 exec, exec, s[60:61]
	v_cndmask_b32_e64 v19, v25, v34, s[42:43]
	v_cndmask_b32_e64 v25, v22, v24, s[20:21]
	;; [unrolled: 1-line block ×5, first 2 shown]
	v_add_u32_e32 v34, 1, v22
	v_add_u32_e32 v22, -1, v23
	v_min_u32_e32 v22, v34, v22
	v_lshl_add_u32 v22, v22, 3, v30
	v_cndmask_b32_e64 v18, v33, v35, s[42:43]
	ds_read_b64 v[32:33], v22
	v_cndmask_b32_e64 v35, v34, v114, s[56:57]
	v_cndmask_b32_e64 v17, v99, v101, s[58:59]
	v_cndmask_b32_e64 v16, v100, v102, s[58:59]
	v_cndmask_b32_e64 v15, v38, v48, s[46:47]
	v_cndmask_b32_e64 v14, v39, v49, s[46:47]
	v_cndmask_b32_e64 v21, v20, v21, s[44:45]
	v_cndmask_b32_e64 v20, v36, v37, s[44:45]
	v_cndmask_b32_e64 v23, v13, v11, s[18:19]
	v_cndmask_b32_e64 v22, v12, v10, s[18:19]
	v_cndmask_b32_e64 v11, v103, v115, s[56:57]
	v_cndmask_b32_e64 v10, v112, v116, s[56:57]
	s_waitcnt lgkmcnt(0)
	v_cndmask_b32_e64 v13, v115, v33, s[56:57]
	v_cndmask_b32_e64 v12, v116, v32, s[56:57]
	v_cmp_lt_u32_e64 s[12:13], v35, v98
	s_and_saveexec_b64 s[18:19], s[12:13]
	s_cbranch_execz .LBB1238_1128
; %bb.1119:
	v_cndmask_b32_e64 v39, v32, v112, s[56:57]
	v_cndmask_b32_e64 v32, v113, v34, s[56:57]
	;; [unrolled: 1-line block ×3, first 2 shown]
	v_cmp_ge_u32_e64 s[12:13], v32, v97
	s_nor_b64 s[42:43], s[12:13], s[8:9]
	s_nop 0
	v_cndmask_b32_e64 v33, v13, v38, s[12:13]
	v_cndmask_b32_e64 v32, v12, v39, s[12:13]
	s_and_saveexec_b64 s[20:21], s[42:43]
	s_cbranch_execz .LBB1238_1127
; %bb.1120:
	v_mul_lo_u32 v34, v13, v6
	v_mul_lo_u32 v35, v12, v7
	v_mad_u64_u32 v[32:33], s[12:13], v12, v6, 0
	v_add3_u32 v33, v33, v35, v34
	v_mul_lo_u32 v36, v38, v6
	v_mul_lo_u32 v37, v39, v7
	v_mad_u64_u32 v[34:35], s[12:13], v39, v6, 0
	v_add3_u32 v35, v35, v37, v36
	v_lshl_add_u64 v[32:33], v[32:33], 1, v[8:9]
	v_lshl_add_u64 v[34:35], v[34:35], 1, v[8:9]
	s_mov_b64 s[42:43], 0
	v_mov_b64_e32 v[36:37], v[6:7]
                                        ; implicit-def: $sgpr44_sgpr45
                                        ; implicit-def: $sgpr46_sgpr47
                                        ; implicit-def: $sgpr58_sgpr59
	s_branch .LBB1238_1122
.LBB1238_1121:                          ;   in Loop: Header=BB1238_1122 Depth=1
	s_or_b64 exec, exec, s[58:59]
	s_and_b64 s[12:13], exec, s[12:13]
	s_or_b64 s[42:43], s[12:13], s[42:43]
	s_andn2_b64 s[12:13], s[44:45], exec
	s_and_b64 s[44:45], s[46:47], exec
	s_or_b64 s[44:45], s[12:13], s[44:45]
	s_mov_b64 s[58:59], s[56:57]
	s_andn2_b64 exec, exec, s[42:43]
	s_cbranch_execz .LBB1238_1126
.LBB1238_1122:                          ; =>This Inner Loop Header: Depth=1
	flat_load_ushort v48, v[34:35]
	flat_load_ushort v49, v[32:33]
	s_mov_b64 s[60:61], 0
	s_mov_b64 s[56:57], -1
	s_waitcnt vmcnt(0) lgkmcnt(0)
	v_cmp_nlt_f16_e64 s[12:13], v48, v49
	s_and_saveexec_b64 s[62:63], s[12:13]
; %bb.1123:                             ;   in Loop: Header=BB1238_1122 Depth=1
	v_cmp_ngt_f16_e64 s[12:13], v48, v49
	s_and_b64 s[56:57], s[12:13], s[58:59]
	s_orn2_b64 s[56:57], s[56:57], exec
	s_and_b64 s[60:61], s[12:13], exec
; %bb.1124:                             ;   in Loop: Header=BB1238_1122 Depth=1
	s_or_b64 exec, exec, s[62:63]
	s_andn2_b64 s[46:47], s[46:47], exec
	s_and_b64 s[58:59], s[56:57], exec
	s_mov_b64 s[12:13], -1
	s_or_b64 s[46:47], s[46:47], s[58:59]
	s_and_saveexec_b64 s[58:59], s[60:61]
	s_cbranch_execz .LBB1238_1121
; %bb.1125:                             ;   in Loop: Header=BB1238_1122 Depth=1
	v_lshl_add_u64 v[36:37], v[36:37], 0, -1
	v_cmp_eq_u64_e64 s[12:13], 0, v[36:37]
	v_lshl_add_u64 v[32:33], v[32:33], 0, 2
	v_lshl_add_u64 v[34:35], v[34:35], 0, 2
	s_andn2_b64 s[46:47], s[46:47], exec
	s_orn2_b64 s[12:13], s[12:13], exec
	s_branch .LBB1238_1121
.LBB1238_1126:
	s_or_b64 exec, exec, s[42:43]
	v_cndmask_b32_e64 v33, v13, v38, s[44:45]
	v_cndmask_b32_e64 v32, v12, v39, s[44:45]
.LBB1238_1127:
	s_or_b64 exec, exec, s[20:21]
	v_mov_b64_e32 v[12:13], v[32:33]
.LBB1238_1128:
	s_or_b64 exec, exec, s[18:19]
.LBB1238_1129:
	s_or_b64 exec, exec, s[40:41]
	v_and_b32_e32 v99, 0x3e0, v51
	v_or_b32_e32 v32, 16, v99
	v_min_u32_e32 v97, v50, v32
	v_add_u32_e32 v32, 16, v97
	v_min_u32_e32 v98, v50, v32
	v_and_b32_e32 v32, 24, v51
	v_min_u32_e32 v100, v50, v32
	v_sub_u32_e32 v32, v97, v99
	v_sub_u32_e32 v33, v98, v97
	v_sub_u32_e64 v101, v100, v33 clamp
	v_min_u32_e32 v102, v100, v32
	v_cmp_lt_u32_e64 s[12:13], v101, v102
	; wave barrier
	ds_write_b64 v81, v[22:23]
	ds_write_b64 v82, v[24:25]
	;; [unrolled: 1-line block ×8, first 2 shown]
	; wave barrier
	s_and_saveexec_b64 s[18:19], s[12:13]
	s_cbranch_execz .LBB1238_1141
; %bb.1130:
	v_lshlrev_b32_e32 v34, 3, v99
	v_mov_b32_e32 v35, 0
	v_lshl_add_u64 v[32:33], v[30:31], 0, v[34:35]
	v_lshlrev_b32_e32 v34, 3, v97
	v_lshl_add_u64 v[34:35], v[30:31], 0, v[34:35]
	s_mov_b64 s[20:21], 0
	s_branch .LBB1238_1133
.LBB1238_1131:                          ;   in Loop: Header=BB1238_1133 Depth=1
	s_or_b64 exec, exec, s[42:43]
	s_and_b64 s[12:13], s[44:45], exec
.LBB1238_1132:                          ;   in Loop: Header=BB1238_1133 Depth=1
	s_or_b64 exec, exec, s[40:41]
	v_add_u32_e32 v35, 1, v33
	v_cndmask_b32_e64 v102, v102, v33, s[12:13]
	v_cndmask_b32_e64 v101, v35, v101, s[12:13]
	v_cmp_ge_u32_e64 s[12:13], v101, v102
	s_or_b64 s[20:21], s[12:13], s[20:21]
	s_andn2_b64 exec, exec, s[20:21]
	s_cbranch_execz .LBB1238_1140
.LBB1238_1133:                          ; =>This Loop Header: Depth=1
                                        ;     Child Loop BB1238_1136 Depth 2
	v_add_u32_e32 v33, v102, v101
	v_lshrrev_b32_e32 v33, 1, v33
	s_mov_b64 s[12:13], 0
	s_and_saveexec_b64 s[40:41], s[16:17]
	s_cbranch_execz .LBB1238_1132
; %bb.1134:                             ;   in Loop: Header=BB1238_1133 Depth=1
	v_lshl_add_u32 v35, v33, 3, v32
	ds_read_b64 v[36:37], v35
	v_xad_u32 v35, v33, -1, v100
	v_lshl_add_u32 v35, v35, 3, v34
	ds_read_b64 v[38:39], v35
	s_mov_b64 s[42:43], 0
	s_waitcnt lgkmcnt(1)
	v_mul_lo_u32 v35, v2, v37
	v_mul_lo_u32 v48, v3, v36
	v_mad_u64_u32 v[36:37], s[12:13], v2, v36, v[8:9]
	v_add3_u32 v37, v48, v37, v35
	s_waitcnt lgkmcnt(0)
	v_mul_lo_u32 v35, v2, v39
	v_mul_lo_u32 v48, v3, v38
	v_mad_u64_u32 v[38:39], s[12:13], v2, v38, v[8:9]
	v_add3_u32 v39, v48, v39, v35
	v_mov_b64_e32 v[48:49], v[6:7]
                                        ; implicit-def: $sgpr44_sgpr45
                                        ; implicit-def: $sgpr46_sgpr47
                                        ; implicit-def: $sgpr60_sgpr61
	s_branch .LBB1238_1136
.LBB1238_1135:                          ;   in Loop: Header=BB1238_1136 Depth=2
	s_or_b64 exec, exec, s[60:61]
	s_and_b64 s[12:13], exec, s[58:59]
	s_or_b64 s[42:43], s[12:13], s[42:43]
	s_andn2_b64 s[12:13], s[44:45], exec
	s_and_b64 s[44:45], s[46:47], exec
	s_or_b64 s[44:45], s[12:13], s[44:45]
	s_mov_b64 s[60:61], s[56:57]
	s_andn2_b64 exec, exec, s[42:43]
	s_cbranch_execz .LBB1238_1131
.LBB1238_1136:                          ;   Parent Loop BB1238_1133 Depth=1
                                        ; =>  This Inner Loop Header: Depth=2
	flat_load_ushort v35, v[38:39]
	flat_load_ushort v103, v[36:37]
	s_mov_b64 s[58:59], -1
	s_mov_b64 s[62:63], 0
	s_mov_b64 s[56:57], -1
	s_waitcnt vmcnt(0) lgkmcnt(0)
	v_cmp_nlt_f16_e64 s[12:13], v35, v103
	s_and_saveexec_b64 s[72:73], s[12:13]
; %bb.1137:                             ;   in Loop: Header=BB1238_1136 Depth=2
	v_cmp_ngt_f16_e64 s[12:13], v35, v103
	s_and_b64 s[56:57], s[12:13], s[60:61]
	s_orn2_b64 s[56:57], s[56:57], exec
	s_and_b64 s[62:63], s[12:13], exec
; %bb.1138:                             ;   in Loop: Header=BB1238_1136 Depth=2
	s_or_b64 exec, exec, s[72:73]
	s_andn2_b64 s[12:13], s[46:47], exec
	s_and_b64 s[46:47], s[56:57], exec
	s_or_b64 s[46:47], s[12:13], s[46:47]
	s_and_saveexec_b64 s[60:61], s[62:63]
	s_cbranch_execz .LBB1238_1135
; %bb.1139:                             ;   in Loop: Header=BB1238_1136 Depth=2
	v_lshl_add_u64 v[48:49], v[48:49], 0, -1
	v_cmp_eq_u64_e64 s[12:13], 0, v[48:49]
	v_lshl_add_u64 v[36:37], v[36:37], 0, 2
	v_lshl_add_u64 v[38:39], v[38:39], 0, 2
	s_andn2_b64 s[46:47], s[46:47], exec
	s_orn2_b64 s[58:59], s[12:13], exec
	s_branch .LBB1238_1135
.LBB1238_1140:
	s_or_b64 exec, exec, s[20:21]
.LBB1238_1141:
	s_or_b64 exec, exec, s[18:19]
	v_add_u32_e32 v32, v97, v100
	v_add_u32_e32 v33, v101, v99
	v_sub_u32_e32 v34, v32, v101
	v_cmp_le_u32_e64 s[12:13], v33, v97
	v_cmp_le_u32_e64 s[18:19], v34, v98
	s_or_b64 s[12:13], s[12:13], s[18:19]
	s_and_saveexec_b64 s[40:41], s[12:13]
	s_cbranch_execz .LBB1238_1225
; %bb.1142:
	v_cmp_ge_u32_e64 s[18:19], v33, v97
	v_cmp_lt_u32_e64 s[12:13], v33, v97
                                        ; implicit-def: $vgpr10_vgpr11
	s_and_saveexec_b64 s[20:21], s[12:13]
; %bb.1143:
	v_lshl_add_u32 v10, v33, 3, v30
	ds_read_b64 v[10:11], v10
; %bb.1144:
	s_or_b64 exec, exec, s[20:21]
	v_cmp_ge_u32_e64 s[20:21], v34, v98
	v_cmp_lt_u32_e64 s[12:13], v34, v98
                                        ; implicit-def: $vgpr12_vgpr13
	s_and_saveexec_b64 s[42:43], s[12:13]
; %bb.1145:
	v_lshl_add_u32 v12, v34, 3, v30
	ds_read_b64 v[12:13], v12
; %bb.1146:
	s_or_b64 exec, exec, s[42:43]
	s_or_b64 s[12:13], s[18:19], s[20:21]
	s_xor_b64 s[18:19], s[18:19], -1
	s_nor_b64 s[12:13], s[12:13], s[8:9]
	s_or_b64 s[18:19], s[20:21], s[18:19]
	s_and_saveexec_b64 s[20:21], s[12:13]
	s_cbranch_execz .LBB1238_1154
; %bb.1147:
	s_waitcnt lgkmcnt(0)
	v_mul_lo_u32 v16, v11, v6
	v_mul_lo_u32 v17, v10, v7
	v_mad_u64_u32 v[14:15], s[12:13], v10, v6, 0
	v_add3_u32 v15, v15, v17, v16
	v_mul_lo_u32 v18, v13, v6
	v_mul_lo_u32 v19, v12, v7
	v_mad_u64_u32 v[16:17], s[12:13], v12, v6, 0
	v_add3_u32 v17, v17, v19, v18
	v_lshl_add_u64 v[14:15], v[14:15], 1, v[8:9]
	v_lshl_add_u64 v[16:17], v[16:17], 1, v[8:9]
	s_mov_b64 s[42:43], 0
	v_mov_b64_e32 v[18:19], v[6:7]
                                        ; implicit-def: $sgpr44_sgpr45
                                        ; implicit-def: $sgpr46_sgpr47
                                        ; implicit-def: $sgpr60_sgpr61
	s_branch .LBB1238_1149
.LBB1238_1148:                          ;   in Loop: Header=BB1238_1149 Depth=1
	s_or_b64 exec, exec, s[60:61]
	s_and_b64 s[12:13], exec, s[58:59]
	s_or_b64 s[42:43], s[12:13], s[42:43]
	s_andn2_b64 s[12:13], s[44:45], exec
	s_and_b64 s[44:45], s[46:47], exec
	s_or_b64 s[44:45], s[12:13], s[44:45]
	s_mov_b64 s[60:61], s[56:57]
	s_andn2_b64 exec, exec, s[42:43]
	s_cbranch_execz .LBB1238_1153
.LBB1238_1149:                          ; =>This Inner Loop Header: Depth=1
	flat_load_ushort v20, v[16:17]
	flat_load_ushort v21, v[14:15]
	s_mov_b64 s[58:59], -1
	s_mov_b64 s[62:63], 0
	s_mov_b64 s[56:57], -1
	s_waitcnt vmcnt(0) lgkmcnt(0)
	v_cmp_nlt_f16_e64 s[12:13], v20, v21
	s_and_saveexec_b64 s[72:73], s[12:13]
; %bb.1150:                             ;   in Loop: Header=BB1238_1149 Depth=1
	v_cmp_ngt_f16_e64 s[12:13], v20, v21
	s_and_b64 s[56:57], s[12:13], s[60:61]
	s_orn2_b64 s[56:57], s[56:57], exec
	s_and_b64 s[62:63], s[12:13], exec
; %bb.1151:                             ;   in Loop: Header=BB1238_1149 Depth=1
	s_or_b64 exec, exec, s[72:73]
	s_andn2_b64 s[12:13], s[46:47], exec
	s_and_b64 s[46:47], s[56:57], exec
	s_or_b64 s[46:47], s[12:13], s[46:47]
	s_and_saveexec_b64 s[60:61], s[62:63]
	s_cbranch_execz .LBB1238_1148
; %bb.1152:                             ;   in Loop: Header=BB1238_1149 Depth=1
	v_lshl_add_u64 v[18:19], v[18:19], 0, -1
	v_cmp_eq_u64_e64 s[12:13], 0, v[18:19]
	v_lshl_add_u64 v[14:15], v[14:15], 0, 2
	v_lshl_add_u64 v[16:17], v[16:17], 0, 2
	s_andn2_b64 s[46:47], s[46:47], exec
	s_orn2_b64 s[58:59], s[12:13], exec
	s_branch .LBB1238_1148
.LBB1238_1153:
	s_or_b64 exec, exec, s[42:43]
	s_xor_b64 s[12:13], s[44:45], -1
	s_andn2_b64 s[18:19], s[18:19], exec
	s_and_b64 s[12:13], s[12:13], exec
	s_or_b64 s[18:19], s[18:19], s[12:13]
.LBB1238_1154:
	s_or_b64 exec, exec, s[20:21]
	v_cndmask_b32_e64 v14, v34, v33, s[18:19]
	v_cndmask_b32_e64 v15, v98, v97, s[18:19]
	v_add_u32_e32 v16, 1, v14
	v_add_u32_e32 v14, -1, v15
	v_min_u32_e32 v14, v16, v14
	v_lshl_add_u32 v14, v14, 3, v30
	ds_read_b64 v[14:15], v14
	v_cndmask_b32_e64 v20, v16, v34, s[18:19]
	v_cndmask_b32_e64 v21, v33, v16, s[18:19]
	v_cmp_lt_u32_e64 s[12:13], v20, v98
	s_mov_b64 s[42:43], -1
	s_waitcnt lgkmcnt(0)
	v_cndmask_b32_e64 v22, v15, v13, s[18:19]
	v_cndmask_b32_e64 v23, v14, v12, s[18:19]
	;; [unrolled: 1-line block ×4, first 2 shown]
	s_mov_b64 s[20:21], -1
	s_and_saveexec_b64 s[44:45], s[12:13]
	s_cbranch_execz .LBB1238_1164
; %bb.1155:
	v_cmp_lt_u32_e64 s[20:21], v21, v97
	s_and_b64 s[12:13], s[20:21], s[28:29]
	s_and_saveexec_b64 s[46:47], s[12:13]
	s_cbranch_execz .LBB1238_1163
; %bb.1156:
	v_mul_lo_u32 v16, v24, v6
	v_mul_lo_u32 v17, v32, v7
	v_mad_u64_u32 v[14:15], s[12:13], v32, v6, 0
	v_add3_u32 v15, v15, v17, v16
	v_mul_lo_u32 v18, v22, v6
	v_mul_lo_u32 v19, v23, v7
	v_mad_u64_u32 v[16:17], s[12:13], v23, v6, 0
	v_add3_u32 v17, v17, v19, v18
	v_lshl_add_u64 v[14:15], v[14:15], 1, v[8:9]
	v_lshl_add_u64 v[16:17], v[16:17], 1, v[8:9]
	s_mov_b64 s[56:57], 0
	v_mov_b64_e32 v[18:19], v[6:7]
                                        ; implicit-def: $sgpr58_sgpr59
                                        ; implicit-def: $sgpr60_sgpr61
                                        ; implicit-def: $sgpr74_sgpr75
	s_branch .LBB1238_1158
.LBB1238_1157:                          ;   in Loop: Header=BB1238_1158 Depth=1
	s_or_b64 exec, exec, s[74:75]
	s_and_b64 s[12:13], exec, s[72:73]
	s_or_b64 s[56:57], s[12:13], s[56:57]
	s_andn2_b64 s[12:13], s[58:59], exec
	s_and_b64 s[58:59], s[60:61], exec
	s_or_b64 s[58:59], s[12:13], s[58:59]
	s_mov_b64 s[74:75], s[62:63]
	s_andn2_b64 exec, exec, s[56:57]
	s_cbranch_execz .LBB1238_1162
.LBB1238_1158:                          ; =>This Inner Loop Header: Depth=1
	flat_load_ushort v25, v[16:17]
	flat_load_ushort v33, v[14:15]
	s_mov_b64 s[72:73], -1
	s_mov_b64 s[76:77], 0
	s_mov_b64 s[62:63], -1
	s_waitcnt vmcnt(0) lgkmcnt(0)
	v_cmp_nlt_f16_e64 s[12:13], v25, v33
	s_and_saveexec_b64 s[78:79], s[12:13]
; %bb.1159:                             ;   in Loop: Header=BB1238_1158 Depth=1
	v_cmp_ngt_f16_e64 s[12:13], v25, v33
	s_and_b64 s[62:63], s[12:13], s[74:75]
	s_orn2_b64 s[62:63], s[62:63], exec
	s_and_b64 s[76:77], s[12:13], exec
; %bb.1160:                             ;   in Loop: Header=BB1238_1158 Depth=1
	s_or_b64 exec, exec, s[78:79]
	s_andn2_b64 s[12:13], s[60:61], exec
	s_and_b64 s[60:61], s[62:63], exec
	s_or_b64 s[60:61], s[12:13], s[60:61]
	s_and_saveexec_b64 s[74:75], s[76:77]
	s_cbranch_execz .LBB1238_1157
; %bb.1161:                             ;   in Loop: Header=BB1238_1158 Depth=1
	v_lshl_add_u64 v[18:19], v[18:19], 0, -1
	v_cmp_eq_u64_e64 s[12:13], 0, v[18:19]
	v_lshl_add_u64 v[14:15], v[14:15], 0, 2
	v_lshl_add_u64 v[16:17], v[16:17], 0, 2
	s_andn2_b64 s[60:61], s[60:61], exec
	s_orn2_b64 s[72:73], s[12:13], exec
	s_branch .LBB1238_1157
.LBB1238_1162:
	s_or_b64 exec, exec, s[56:57]
	s_xor_b64 s[12:13], s[58:59], -1
	s_andn2_b64 s[20:21], s[20:21], exec
	s_and_b64 s[12:13], s[12:13], exec
	s_or_b64 s[20:21], s[20:21], s[12:13]
.LBB1238_1163:
	s_or_b64 exec, exec, s[46:47]
	s_orn2_b64 s[20:21], s[20:21], exec
.LBB1238_1164:
	s_or_b64 exec, exec, s[44:45]
	v_cndmask_b32_e64 v14, v20, v21, s[20:21]
	v_cndmask_b32_e64 v15, v98, v97, s[20:21]
	v_add_u32_e32 v16, 1, v14
	v_add_u32_e32 v14, -1, v15
	v_min_u32_e32 v14, v16, v14
	v_lshl_add_u32 v14, v14, 3, v30
	ds_read_b64 v[14:15], v14
	v_cndmask_b32_e64 v38, v16, v20, s[20:21]
	v_cndmask_b32_e64 v39, v21, v16, s[20:21]
	v_cmp_lt_u32_e64 s[12:13], v38, v98
	s_waitcnt lgkmcnt(0)
	v_cndmask_b32_e64 v25, v15, v22, s[20:21]
	v_cndmask_b32_e64 v33, v14, v23, s[20:21]
	;; [unrolled: 1-line block ×4, first 2 shown]
	s_and_saveexec_b64 s[44:45], s[12:13]
	s_cbranch_execz .LBB1238_1174
; %bb.1165:
	v_cmp_lt_u32_e64 s[42:43], v39, v97
	s_and_b64 s[12:13], s[42:43], s[28:29]
	s_and_saveexec_b64 s[46:47], s[12:13]
	s_cbranch_execz .LBB1238_1173
; %bb.1166:
	v_mul_lo_u32 v16, v34, v6
	v_mul_lo_u32 v17, v35, v7
	v_mad_u64_u32 v[14:15], s[12:13], v35, v6, 0
	v_add3_u32 v15, v15, v17, v16
	v_mul_lo_u32 v18, v25, v6
	v_mul_lo_u32 v19, v33, v7
	v_mad_u64_u32 v[16:17], s[12:13], v33, v6, 0
	v_add3_u32 v17, v17, v19, v18
	v_lshl_add_u64 v[14:15], v[14:15], 1, v[8:9]
	v_lshl_add_u64 v[16:17], v[16:17], 1, v[8:9]
	s_mov_b64 s[56:57], 0
	v_mov_b64_e32 v[18:19], v[6:7]
                                        ; implicit-def: $sgpr58_sgpr59
                                        ; implicit-def: $sgpr60_sgpr61
                                        ; implicit-def: $sgpr74_sgpr75
	s_branch .LBB1238_1168
.LBB1238_1167:                          ;   in Loop: Header=BB1238_1168 Depth=1
	s_or_b64 exec, exec, s[74:75]
	s_and_b64 s[12:13], exec, s[72:73]
	s_or_b64 s[56:57], s[12:13], s[56:57]
	s_andn2_b64 s[12:13], s[58:59], exec
	s_and_b64 s[58:59], s[60:61], exec
	s_or_b64 s[58:59], s[12:13], s[58:59]
	s_mov_b64 s[74:75], s[62:63]
	s_andn2_b64 exec, exec, s[56:57]
	s_cbranch_execz .LBB1238_1172
.LBB1238_1168:                          ; =>This Inner Loop Header: Depth=1
	flat_load_ushort v20, v[16:17]
	flat_load_ushort v21, v[14:15]
	s_mov_b64 s[72:73], -1
	s_mov_b64 s[76:77], 0
	s_mov_b64 s[62:63], -1
	s_waitcnt vmcnt(0) lgkmcnt(0)
	v_cmp_nlt_f16_e64 s[12:13], v20, v21
	s_and_saveexec_b64 s[78:79], s[12:13]
; %bb.1169:                             ;   in Loop: Header=BB1238_1168 Depth=1
	v_cmp_ngt_f16_e64 s[12:13], v20, v21
	s_and_b64 s[62:63], s[12:13], s[74:75]
	s_orn2_b64 s[62:63], s[62:63], exec
	s_and_b64 s[76:77], s[12:13], exec
; %bb.1170:                             ;   in Loop: Header=BB1238_1168 Depth=1
	s_or_b64 exec, exec, s[78:79]
	s_andn2_b64 s[12:13], s[60:61], exec
	s_and_b64 s[60:61], s[62:63], exec
	s_or_b64 s[60:61], s[12:13], s[60:61]
	s_and_saveexec_b64 s[74:75], s[76:77]
	s_cbranch_execz .LBB1238_1167
; %bb.1171:                             ;   in Loop: Header=BB1238_1168 Depth=1
	v_lshl_add_u64 v[18:19], v[18:19], 0, -1
	v_cmp_eq_u64_e64 s[12:13], 0, v[18:19]
	v_lshl_add_u64 v[14:15], v[14:15], 0, 2
	v_lshl_add_u64 v[16:17], v[16:17], 0, 2
	s_andn2_b64 s[60:61], s[60:61], exec
	s_orn2_b64 s[72:73], s[12:13], exec
	s_branch .LBB1238_1167
.LBB1238_1172:
	s_or_b64 exec, exec, s[56:57]
	s_xor_b64 s[12:13], s[58:59], -1
	s_andn2_b64 s[42:43], s[42:43], exec
	s_and_b64 s[12:13], s[12:13], exec
	s_or_b64 s[42:43], s[42:43], s[12:13]
.LBB1238_1173:
	s_or_b64 exec, exec, s[46:47]
	s_orn2_b64 s[42:43], s[42:43], exec
.LBB1238_1174:
	s_or_b64 exec, exec, s[44:45]
	v_cndmask_b32_e64 v14, v38, v39, s[42:43]
	v_cndmask_b32_e64 v15, v98, v97, s[42:43]
	v_add_u32_e32 v16, 1, v14
	v_add_u32_e32 v14, -1, v15
	v_min_u32_e32 v14, v16, v14
	v_lshl_add_u32 v14, v14, 3, v30
	ds_read_b64 v[14:15], v14
	v_cndmask_b32_e64 v99, v16, v38, s[42:43]
	v_cndmask_b32_e64 v100, v39, v16, s[42:43]
	v_cmp_lt_u32_e64 s[12:13], v99, v98
	s_mov_b64 s[46:47], -1
	s_waitcnt lgkmcnt(0)
	v_cndmask_b32_e64 v20, v15, v25, s[42:43]
	v_cndmask_b32_e64 v36, v14, v33, s[42:43]
	;; [unrolled: 1-line block ×4, first 2 shown]
	s_mov_b64 s[44:45], -1
	s_and_saveexec_b64 s[56:57], s[12:13]
	s_cbranch_execz .LBB1238_1184
; %bb.1175:
	v_cmp_lt_u32_e64 s[44:45], v100, v97
	s_and_b64 s[12:13], s[44:45], s[28:29]
	s_and_saveexec_b64 s[58:59], s[12:13]
	s_cbranch_execz .LBB1238_1183
; %bb.1176:
	v_mul_lo_u32 v16, v21, v6
	v_mul_lo_u32 v17, v37, v7
	v_mad_u64_u32 v[14:15], s[12:13], v37, v6, 0
	v_add3_u32 v15, v15, v17, v16
	v_mul_lo_u32 v18, v20, v6
	v_mul_lo_u32 v19, v36, v7
	v_mad_u64_u32 v[16:17], s[12:13], v36, v6, 0
	v_add3_u32 v17, v17, v19, v18
	v_lshl_add_u64 v[14:15], v[14:15], 1, v[8:9]
	v_lshl_add_u64 v[16:17], v[16:17], 1, v[8:9]
	s_mov_b64 s[60:61], 0
	v_mov_b64_e32 v[18:19], v[6:7]
                                        ; implicit-def: $sgpr62_sgpr63
                                        ; implicit-def: $sgpr72_sgpr73
                                        ; implicit-def: $sgpr78_sgpr79
	s_branch .LBB1238_1178
.LBB1238_1177:                          ;   in Loop: Header=BB1238_1178 Depth=1
	s_or_b64 exec, exec, s[78:79]
	s_and_b64 s[12:13], exec, s[76:77]
	s_or_b64 s[60:61], s[12:13], s[60:61]
	s_andn2_b64 s[12:13], s[62:63], exec
	s_and_b64 s[62:63], s[72:73], exec
	s_or_b64 s[62:63], s[12:13], s[62:63]
	s_mov_b64 s[78:79], s[74:75]
	s_andn2_b64 exec, exec, s[60:61]
	s_cbranch_execz .LBB1238_1182
.LBB1238_1178:                          ; =>This Inner Loop Header: Depth=1
	flat_load_ushort v38, v[16:17]
	flat_load_ushort v39, v[14:15]
	s_mov_b64 s[76:77], -1
	s_mov_b64 s[88:89], 0
	s_mov_b64 s[74:75], -1
	s_waitcnt vmcnt(0) lgkmcnt(0)
	v_cmp_nlt_f16_e64 s[12:13], v38, v39
	s_and_saveexec_b64 s[90:91], s[12:13]
; %bb.1179:                             ;   in Loop: Header=BB1238_1178 Depth=1
	v_cmp_ngt_f16_e64 s[12:13], v38, v39
	s_and_b64 s[74:75], s[12:13], s[78:79]
	s_orn2_b64 s[74:75], s[74:75], exec
	s_and_b64 s[88:89], s[12:13], exec
; %bb.1180:                             ;   in Loop: Header=BB1238_1178 Depth=1
	s_or_b64 exec, exec, s[90:91]
	s_andn2_b64 s[12:13], s[72:73], exec
	s_and_b64 s[72:73], s[74:75], exec
	s_or_b64 s[72:73], s[12:13], s[72:73]
	s_and_saveexec_b64 s[78:79], s[88:89]
	s_cbranch_execz .LBB1238_1177
; %bb.1181:                             ;   in Loop: Header=BB1238_1178 Depth=1
	v_lshl_add_u64 v[18:19], v[18:19], 0, -1
	v_cmp_eq_u64_e64 s[12:13], 0, v[18:19]
	v_lshl_add_u64 v[14:15], v[14:15], 0, 2
	v_lshl_add_u64 v[16:17], v[16:17], 0, 2
	s_andn2_b64 s[72:73], s[72:73], exec
	s_orn2_b64 s[76:77], s[12:13], exec
	s_branch .LBB1238_1177
.LBB1238_1182:
	s_or_b64 exec, exec, s[60:61]
	s_xor_b64 s[12:13], s[62:63], -1
	s_andn2_b64 s[44:45], s[44:45], exec
	s_and_b64 s[12:13], s[12:13], exec
	s_or_b64 s[44:45], s[44:45], s[12:13]
.LBB1238_1183:
	s_or_b64 exec, exec, s[58:59]
	s_orn2_b64 s[44:45], s[44:45], exec
.LBB1238_1184:
	s_or_b64 exec, exec, s[56:57]
	v_cndmask_b32_e64 v14, v99, v100, s[44:45]
	v_cndmask_b32_e64 v15, v98, v97, s[44:45]
	v_add_u32_e32 v16, 1, v14
	v_add_u32_e32 v14, -1, v15
	v_min_u32_e32 v14, v16, v14
	v_lshl_add_u32 v14, v14, 3, v30
	ds_read_b64 v[14:15], v14
	v_cndmask_b32_e64 v103, v16, v99, s[44:45]
	v_cndmask_b32_e64 v112, v100, v16, s[44:45]
	v_cmp_lt_u32_e64 s[12:13], v103, v98
	s_waitcnt lgkmcnt(0)
	v_cndmask_b32_e64 v38, v15, v20, s[44:45]
	v_cndmask_b32_e64 v39, v14, v36, s[44:45]
	;; [unrolled: 1-line block ×4, first 2 shown]
	s_and_saveexec_b64 s[56:57], s[12:13]
	s_cbranch_execz .LBB1238_1194
; %bb.1185:
	v_cmp_lt_u32_e64 s[46:47], v112, v97
	s_and_b64 s[12:13], s[46:47], s[28:29]
	s_and_saveexec_b64 s[58:59], s[12:13]
	s_cbranch_execz .LBB1238_1193
; %bb.1186:
	v_mul_lo_u32 v16, v48, v6
	v_mul_lo_u32 v17, v49, v7
	v_mad_u64_u32 v[14:15], s[12:13], v49, v6, 0
	v_add3_u32 v15, v15, v17, v16
	v_mul_lo_u32 v18, v38, v6
	v_mul_lo_u32 v19, v39, v7
	v_mad_u64_u32 v[16:17], s[12:13], v39, v6, 0
	v_add3_u32 v17, v17, v19, v18
	v_lshl_add_u64 v[14:15], v[14:15], 1, v[8:9]
	v_lshl_add_u64 v[16:17], v[16:17], 1, v[8:9]
	s_mov_b64 s[60:61], 0
	v_mov_b64_e32 v[18:19], v[6:7]
                                        ; implicit-def: $sgpr62_sgpr63
                                        ; implicit-def: $sgpr72_sgpr73
                                        ; implicit-def: $sgpr78_sgpr79
	s_branch .LBB1238_1188
.LBB1238_1187:                          ;   in Loop: Header=BB1238_1188 Depth=1
	s_or_b64 exec, exec, s[78:79]
	s_and_b64 s[12:13], exec, s[76:77]
	s_or_b64 s[60:61], s[12:13], s[60:61]
	s_andn2_b64 s[12:13], s[62:63], exec
	s_and_b64 s[62:63], s[72:73], exec
	s_or_b64 s[62:63], s[12:13], s[62:63]
	s_mov_b64 s[78:79], s[74:75]
	s_andn2_b64 exec, exec, s[60:61]
	s_cbranch_execz .LBB1238_1192
.LBB1238_1188:                          ; =>This Inner Loop Header: Depth=1
	flat_load_ushort v99, v[16:17]
	flat_load_ushort v100, v[14:15]
	s_mov_b64 s[76:77], -1
	s_mov_b64 s[88:89], 0
	s_mov_b64 s[74:75], -1
	s_waitcnt vmcnt(0) lgkmcnt(0)
	v_cmp_nlt_f16_e64 s[12:13], v99, v100
	s_and_saveexec_b64 s[90:91], s[12:13]
; %bb.1189:                             ;   in Loop: Header=BB1238_1188 Depth=1
	v_cmp_ngt_f16_e64 s[12:13], v99, v100
	s_and_b64 s[74:75], s[12:13], s[78:79]
	s_orn2_b64 s[74:75], s[74:75], exec
	s_and_b64 s[88:89], s[12:13], exec
; %bb.1190:                             ;   in Loop: Header=BB1238_1188 Depth=1
	s_or_b64 exec, exec, s[90:91]
	s_andn2_b64 s[12:13], s[72:73], exec
	s_and_b64 s[72:73], s[74:75], exec
	s_or_b64 s[72:73], s[12:13], s[72:73]
	s_and_saveexec_b64 s[78:79], s[88:89]
	s_cbranch_execz .LBB1238_1187
; %bb.1191:                             ;   in Loop: Header=BB1238_1188 Depth=1
	v_lshl_add_u64 v[18:19], v[18:19], 0, -1
	v_cmp_eq_u64_e64 s[12:13], 0, v[18:19]
	v_lshl_add_u64 v[14:15], v[14:15], 0, 2
	v_lshl_add_u64 v[16:17], v[16:17], 0, 2
	s_andn2_b64 s[72:73], s[72:73], exec
	s_orn2_b64 s[76:77], s[12:13], exec
	s_branch .LBB1238_1187
.LBB1238_1192:
	s_or_b64 exec, exec, s[60:61]
	s_xor_b64 s[12:13], s[62:63], -1
	s_andn2_b64 s[46:47], s[46:47], exec
	s_and_b64 s[12:13], s[12:13], exec
	s_or_b64 s[46:47], s[46:47], s[12:13]
.LBB1238_1193:
	s_or_b64 exec, exec, s[58:59]
	s_orn2_b64 s[46:47], s[46:47], exec
.LBB1238_1194:
	s_or_b64 exec, exec, s[56:57]
	v_cndmask_b32_e64 v14, v103, v112, s[46:47]
	v_cndmask_b32_e64 v15, v98, v97, s[46:47]
	v_add_u32_e32 v16, 1, v14
	v_add_u32_e32 v14, -1, v15
	v_min_u32_e32 v14, v16, v14
	v_lshl_add_u32 v14, v14, 3, v30
	ds_read_b64 v[14:15], v14
	v_cndmask_b32_e64 v113, v16, v103, s[46:47]
	v_cndmask_b32_e64 v117, v112, v16, s[46:47]
	v_cmp_lt_u32_e64 s[12:13], v113, v98
	s_mov_b64 s[56:57], -1
	s_waitcnt lgkmcnt(0)
	v_cndmask_b32_e64 v99, v15, v38, s[46:47]
	v_cndmask_b32_e64 v100, v14, v39, s[46:47]
	;; [unrolled: 1-line block ×4, first 2 shown]
	s_mov_b64 s[58:59], -1
	s_and_saveexec_b64 s[60:61], s[12:13]
	s_cbranch_execz .LBB1238_1204
; %bb.1195:
	v_cmp_lt_u32_e64 s[58:59], v117, v97
	s_and_b64 s[12:13], s[58:59], s[28:29]
	s_and_saveexec_b64 s[62:63], s[12:13]
	s_cbranch_execz .LBB1238_1203
; %bb.1196:
	v_mul_lo_u32 v16, v101, v6
	v_mul_lo_u32 v17, v102, v7
	v_mad_u64_u32 v[14:15], s[12:13], v102, v6, 0
	v_add3_u32 v15, v15, v17, v16
	v_mul_lo_u32 v18, v99, v6
	v_mul_lo_u32 v19, v100, v7
	v_mad_u64_u32 v[16:17], s[12:13], v100, v6, 0
	v_add3_u32 v17, v17, v19, v18
	v_lshl_add_u64 v[14:15], v[14:15], 1, v[8:9]
	v_lshl_add_u64 v[16:17], v[16:17], 1, v[8:9]
	s_mov_b64 s[72:73], 0
	v_mov_b64_e32 v[18:19], v[6:7]
                                        ; implicit-def: $sgpr74_sgpr75
                                        ; implicit-def: $sgpr76_sgpr77
                                        ; implicit-def: $sgpr90_sgpr91
	s_branch .LBB1238_1198
.LBB1238_1197:                          ;   in Loop: Header=BB1238_1198 Depth=1
	s_or_b64 exec, exec, s[90:91]
	s_and_b64 s[12:13], exec, s[88:89]
	s_or_b64 s[72:73], s[12:13], s[72:73]
	s_andn2_b64 s[12:13], s[74:75], exec
	s_and_b64 s[74:75], s[76:77], exec
	s_or_b64 s[74:75], s[12:13], s[74:75]
	s_mov_b64 s[90:91], s[78:79]
	s_andn2_b64 exec, exec, s[72:73]
	s_cbranch_execz .LBB1238_1202
.LBB1238_1198:                          ; =>This Inner Loop Header: Depth=1
	flat_load_ushort v103, v[16:17]
	flat_load_ushort v112, v[14:15]
	s_mov_b64 s[88:89], -1
	s_mov_b64 s[92:93], 0
	s_mov_b64 s[78:79], -1
	s_waitcnt vmcnt(0) lgkmcnt(0)
	v_cmp_nlt_f16_e64 s[12:13], v103, v112
	s_and_saveexec_b64 s[94:95], s[12:13]
; %bb.1199:                             ;   in Loop: Header=BB1238_1198 Depth=1
	v_cmp_ngt_f16_e64 s[12:13], v103, v112
	s_and_b64 s[78:79], s[12:13], s[90:91]
	s_orn2_b64 s[78:79], s[78:79], exec
	s_and_b64 s[92:93], s[12:13], exec
; %bb.1200:                             ;   in Loop: Header=BB1238_1198 Depth=1
	s_or_b64 exec, exec, s[94:95]
	s_andn2_b64 s[12:13], s[76:77], exec
	s_and_b64 s[76:77], s[78:79], exec
	s_or_b64 s[76:77], s[12:13], s[76:77]
	s_and_saveexec_b64 s[90:91], s[92:93]
	s_cbranch_execz .LBB1238_1197
; %bb.1201:                             ;   in Loop: Header=BB1238_1198 Depth=1
	v_lshl_add_u64 v[18:19], v[18:19], 0, -1
	v_cmp_eq_u64_e64 s[12:13], 0, v[18:19]
	v_lshl_add_u64 v[14:15], v[14:15], 0, 2
	v_lshl_add_u64 v[16:17], v[16:17], 0, 2
	s_andn2_b64 s[76:77], s[76:77], exec
	s_orn2_b64 s[88:89], s[12:13], exec
	s_branch .LBB1238_1197
.LBB1238_1202:
	s_or_b64 exec, exec, s[72:73]
	s_xor_b64 s[12:13], s[74:75], -1
	s_andn2_b64 s[58:59], s[58:59], exec
	s_and_b64 s[12:13], s[12:13], exec
	s_or_b64 s[58:59], s[58:59], s[12:13]
.LBB1238_1203:
	s_or_b64 exec, exec, s[62:63]
	s_orn2_b64 s[58:59], s[58:59], exec
.LBB1238_1204:
	s_or_b64 exec, exec, s[60:61]
	v_cndmask_b32_e64 v14, v113, v117, s[58:59]
	v_cndmask_b32_e64 v15, v98, v97, s[58:59]
	v_add_u32_e32 v16, 1, v14
	v_add_u32_e32 v14, -1, v15
	v_min_u32_e32 v14, v16, v14
	v_lshl_add_u32 v14, v14, 3, v30
	ds_read_b64 v[14:15], v14
	v_cndmask_b32_e64 v114, v16, v113, s[58:59]
	v_cndmask_b32_e64 v113, v117, v16, s[58:59]
	v_cmp_lt_u32_e64 s[12:13], v114, v98
	s_waitcnt lgkmcnt(0)
	v_cndmask_b32_e64 v103, v15, v99, s[58:59]
	v_cndmask_b32_e64 v112, v14, v100, s[58:59]
	;; [unrolled: 1-line block ×4, first 2 shown]
	s_and_saveexec_b64 s[60:61], s[12:13]
	s_cbranch_execz .LBB1238_1214
; %bb.1205:
	v_cmp_lt_u32_e64 s[56:57], v113, v97
	s_and_b64 s[12:13], s[56:57], s[28:29]
	s_and_saveexec_b64 s[62:63], s[12:13]
	s_cbranch_execz .LBB1238_1213
; %bb.1206:
	v_mul_lo_u32 v16, v115, v6
	v_mul_lo_u32 v17, v116, v7
	v_mad_u64_u32 v[14:15], s[12:13], v116, v6, 0
	v_add3_u32 v15, v15, v17, v16
	v_mul_lo_u32 v18, v103, v6
	v_mul_lo_u32 v19, v112, v7
	v_mad_u64_u32 v[16:17], s[12:13], v112, v6, 0
	v_add3_u32 v17, v17, v19, v18
	v_lshl_add_u64 v[14:15], v[14:15], 1, v[8:9]
	v_lshl_add_u64 v[16:17], v[16:17], 1, v[8:9]
	s_mov_b64 s[72:73], 0
	v_mov_b64_e32 v[18:19], v[6:7]
                                        ; implicit-def: $sgpr74_sgpr75
                                        ; implicit-def: $sgpr76_sgpr77
                                        ; implicit-def: $sgpr90_sgpr91
	s_branch .LBB1238_1208
.LBB1238_1207:                          ;   in Loop: Header=BB1238_1208 Depth=1
	s_or_b64 exec, exec, s[90:91]
	s_and_b64 s[12:13], exec, s[88:89]
	s_or_b64 s[72:73], s[12:13], s[72:73]
	s_andn2_b64 s[12:13], s[74:75], exec
	s_and_b64 s[74:75], s[76:77], exec
	s_or_b64 s[74:75], s[12:13], s[74:75]
	s_mov_b64 s[90:91], s[78:79]
	s_andn2_b64 exec, exec, s[72:73]
	s_cbranch_execz .LBB1238_1212
.LBB1238_1208:                          ; =>This Inner Loop Header: Depth=1
	flat_load_ushort v117, v[16:17]
	flat_load_ushort v118, v[14:15]
	s_mov_b64 s[88:89], -1
	s_mov_b64 s[92:93], 0
	s_mov_b64 s[78:79], -1
	s_waitcnt vmcnt(0) lgkmcnt(0)
	v_cmp_nlt_f16_e64 s[12:13], v117, v118
	s_and_saveexec_b64 s[94:95], s[12:13]
; %bb.1209:                             ;   in Loop: Header=BB1238_1208 Depth=1
	v_cmp_ngt_f16_e64 s[12:13], v117, v118
	s_and_b64 s[78:79], s[12:13], s[90:91]
	s_orn2_b64 s[78:79], s[78:79], exec
	s_and_b64 s[92:93], s[12:13], exec
; %bb.1210:                             ;   in Loop: Header=BB1238_1208 Depth=1
	s_or_b64 exec, exec, s[94:95]
	s_andn2_b64 s[12:13], s[76:77], exec
	s_and_b64 s[76:77], s[78:79], exec
	s_or_b64 s[76:77], s[12:13], s[76:77]
	s_and_saveexec_b64 s[90:91], s[92:93]
	s_cbranch_execz .LBB1238_1207
; %bb.1211:                             ;   in Loop: Header=BB1238_1208 Depth=1
	v_lshl_add_u64 v[18:19], v[18:19], 0, -1
	v_cmp_eq_u64_e64 s[12:13], 0, v[18:19]
	v_lshl_add_u64 v[14:15], v[14:15], 0, 2
	v_lshl_add_u64 v[16:17], v[16:17], 0, 2
	s_andn2_b64 s[76:77], s[76:77], exec
	s_orn2_b64 s[88:89], s[12:13], exec
	s_branch .LBB1238_1207
.LBB1238_1212:
	s_or_b64 exec, exec, s[72:73]
	s_xor_b64 s[12:13], s[74:75], -1
	s_andn2_b64 s[56:57], s[56:57], exec
	s_and_b64 s[12:13], s[12:13], exec
	s_or_b64 s[56:57], s[56:57], s[12:13]
.LBB1238_1213:
	s_or_b64 exec, exec, s[62:63]
	s_orn2_b64 s[56:57], s[56:57], exec
.LBB1238_1214:
	s_or_b64 exec, exec, s[60:61]
	v_cndmask_b32_e64 v19, v25, v34, s[42:43]
	v_cndmask_b32_e64 v25, v22, v24, s[20:21]
	;; [unrolled: 1-line block ×5, first 2 shown]
	v_add_u32_e32 v34, 1, v22
	v_add_u32_e32 v22, -1, v23
	v_min_u32_e32 v22, v34, v22
	v_lshl_add_u32 v22, v22, 3, v30
	v_cndmask_b32_e64 v18, v33, v35, s[42:43]
	ds_read_b64 v[32:33], v22
	v_cndmask_b32_e64 v35, v34, v114, s[56:57]
	v_cndmask_b32_e64 v17, v99, v101, s[58:59]
	;; [unrolled: 1-line block ×11, first 2 shown]
	s_waitcnt lgkmcnt(0)
	v_cndmask_b32_e64 v13, v115, v33, s[56:57]
	v_cndmask_b32_e64 v12, v116, v32, s[56:57]
	v_cmp_lt_u32_e64 s[12:13], v35, v98
	s_and_saveexec_b64 s[18:19], s[12:13]
	s_cbranch_execz .LBB1238_1224
; %bb.1215:
	v_cndmask_b32_e64 v39, v32, v112, s[56:57]
	v_cndmask_b32_e64 v32, v113, v34, s[56:57]
	;; [unrolled: 1-line block ×3, first 2 shown]
	v_cmp_ge_u32_e64 s[12:13], v32, v97
	s_nor_b64 s[42:43], s[12:13], s[8:9]
	s_nop 0
	v_cndmask_b32_e64 v33, v13, v38, s[12:13]
	v_cndmask_b32_e64 v32, v12, v39, s[12:13]
	s_and_saveexec_b64 s[20:21], s[42:43]
	s_cbranch_execz .LBB1238_1223
; %bb.1216:
	v_mul_lo_u32 v34, v13, v6
	v_mul_lo_u32 v35, v12, v7
	v_mad_u64_u32 v[32:33], s[12:13], v12, v6, 0
	v_add3_u32 v33, v33, v35, v34
	v_mul_lo_u32 v36, v38, v6
	v_mul_lo_u32 v37, v39, v7
	v_mad_u64_u32 v[34:35], s[12:13], v39, v6, 0
	v_add3_u32 v35, v35, v37, v36
	v_lshl_add_u64 v[32:33], v[32:33], 1, v[8:9]
	v_lshl_add_u64 v[34:35], v[34:35], 1, v[8:9]
	s_mov_b64 s[42:43], 0
	v_mov_b64_e32 v[36:37], v[6:7]
                                        ; implicit-def: $sgpr44_sgpr45
                                        ; implicit-def: $sgpr46_sgpr47
                                        ; implicit-def: $sgpr58_sgpr59
	s_branch .LBB1238_1218
.LBB1238_1217:                          ;   in Loop: Header=BB1238_1218 Depth=1
	s_or_b64 exec, exec, s[58:59]
	s_and_b64 s[12:13], exec, s[12:13]
	s_or_b64 s[42:43], s[12:13], s[42:43]
	s_andn2_b64 s[12:13], s[44:45], exec
	s_and_b64 s[44:45], s[46:47], exec
	s_or_b64 s[44:45], s[12:13], s[44:45]
	s_mov_b64 s[58:59], s[56:57]
	s_andn2_b64 exec, exec, s[42:43]
	s_cbranch_execz .LBB1238_1222
.LBB1238_1218:                          ; =>This Inner Loop Header: Depth=1
	flat_load_ushort v48, v[34:35]
	flat_load_ushort v49, v[32:33]
	s_mov_b64 s[60:61], 0
	s_mov_b64 s[56:57], -1
	s_waitcnt vmcnt(0) lgkmcnt(0)
	v_cmp_nlt_f16_e64 s[12:13], v48, v49
	s_and_saveexec_b64 s[62:63], s[12:13]
; %bb.1219:                             ;   in Loop: Header=BB1238_1218 Depth=1
	v_cmp_ngt_f16_e64 s[12:13], v48, v49
	s_and_b64 s[56:57], s[12:13], s[58:59]
	s_orn2_b64 s[56:57], s[56:57], exec
	s_and_b64 s[60:61], s[12:13], exec
; %bb.1220:                             ;   in Loop: Header=BB1238_1218 Depth=1
	s_or_b64 exec, exec, s[62:63]
	s_andn2_b64 s[46:47], s[46:47], exec
	s_and_b64 s[58:59], s[56:57], exec
	s_mov_b64 s[12:13], -1
	s_or_b64 s[46:47], s[46:47], s[58:59]
	s_and_saveexec_b64 s[58:59], s[60:61]
	s_cbranch_execz .LBB1238_1217
; %bb.1221:                             ;   in Loop: Header=BB1238_1218 Depth=1
	v_lshl_add_u64 v[36:37], v[36:37], 0, -1
	v_cmp_eq_u64_e64 s[12:13], 0, v[36:37]
	v_lshl_add_u64 v[32:33], v[32:33], 0, 2
	v_lshl_add_u64 v[34:35], v[34:35], 0, 2
	s_andn2_b64 s[46:47], s[46:47], exec
	s_orn2_b64 s[12:13], s[12:13], exec
	s_branch .LBB1238_1217
.LBB1238_1222:
	s_or_b64 exec, exec, s[42:43]
	v_cndmask_b32_e64 v33, v13, v38, s[44:45]
	v_cndmask_b32_e64 v32, v12, v39, s[44:45]
.LBB1238_1223:
	s_or_b64 exec, exec, s[20:21]
	v_mov_b64_e32 v[12:13], v[32:33]
.LBB1238_1224:
	s_or_b64 exec, exec, s[18:19]
.LBB1238_1225:
	s_or_b64 exec, exec, s[40:41]
	v_and_b32_e32 v99, 0x3c0, v51
	v_or_b32_e32 v32, 32, v99
	v_min_u32_e32 v97, v50, v32
	v_add_u32_e32 v32, 32, v97
	v_min_u32_e32 v98, v50, v32
	v_and_b32_e32 v32, 56, v51
	v_min_u32_e32 v100, v50, v32
	v_sub_u32_e32 v32, v97, v99
	v_sub_u32_e32 v33, v98, v97
	v_sub_u32_e64 v101, v100, v33 clamp
	v_min_u32_e32 v102, v100, v32
	v_cmp_lt_u32_e64 s[12:13], v101, v102
	; wave barrier
	ds_write_b64 v81, v[22:23]
	ds_write_b64 v82, v[24:25]
	;; [unrolled: 1-line block ×8, first 2 shown]
	; wave barrier
	s_and_saveexec_b64 s[18:19], s[12:13]
	s_cbranch_execz .LBB1238_1237
; %bb.1226:
	v_lshlrev_b32_e32 v34, 3, v99
	v_mov_b32_e32 v35, 0
	v_lshl_add_u64 v[32:33], v[30:31], 0, v[34:35]
	v_lshlrev_b32_e32 v34, 3, v97
	v_lshl_add_u64 v[34:35], v[30:31], 0, v[34:35]
	s_mov_b64 s[20:21], 0
	s_branch .LBB1238_1229
.LBB1238_1227:                          ;   in Loop: Header=BB1238_1229 Depth=1
	s_or_b64 exec, exec, s[42:43]
	s_and_b64 s[12:13], s[44:45], exec
.LBB1238_1228:                          ;   in Loop: Header=BB1238_1229 Depth=1
	s_or_b64 exec, exec, s[40:41]
	v_add_u32_e32 v35, 1, v33
	v_cndmask_b32_e64 v102, v102, v33, s[12:13]
	v_cndmask_b32_e64 v101, v35, v101, s[12:13]
	v_cmp_ge_u32_e64 s[12:13], v101, v102
	s_or_b64 s[20:21], s[12:13], s[20:21]
	s_andn2_b64 exec, exec, s[20:21]
	s_cbranch_execz .LBB1238_1236
.LBB1238_1229:                          ; =>This Loop Header: Depth=1
                                        ;     Child Loop BB1238_1232 Depth 2
	v_add_u32_e32 v33, v102, v101
	v_lshrrev_b32_e32 v33, 1, v33
	s_mov_b64 s[12:13], 0
	s_and_saveexec_b64 s[40:41], s[16:17]
	s_cbranch_execz .LBB1238_1228
; %bb.1230:                             ;   in Loop: Header=BB1238_1229 Depth=1
	v_lshl_add_u32 v35, v33, 3, v32
	ds_read_b64 v[36:37], v35
	v_xad_u32 v35, v33, -1, v100
	v_lshl_add_u32 v35, v35, 3, v34
	ds_read_b64 v[38:39], v35
	s_mov_b64 s[42:43], 0
	s_waitcnt lgkmcnt(1)
	v_mul_lo_u32 v35, v2, v37
	v_mul_lo_u32 v48, v3, v36
	v_mad_u64_u32 v[36:37], s[12:13], v2, v36, v[8:9]
	v_add3_u32 v37, v48, v37, v35
	s_waitcnt lgkmcnt(0)
	v_mul_lo_u32 v35, v2, v39
	v_mul_lo_u32 v48, v3, v38
	v_mad_u64_u32 v[38:39], s[12:13], v2, v38, v[8:9]
	v_add3_u32 v39, v48, v39, v35
	v_mov_b64_e32 v[48:49], v[6:7]
                                        ; implicit-def: $sgpr44_sgpr45
                                        ; implicit-def: $sgpr46_sgpr47
                                        ; implicit-def: $sgpr60_sgpr61
	s_branch .LBB1238_1232
.LBB1238_1231:                          ;   in Loop: Header=BB1238_1232 Depth=2
	s_or_b64 exec, exec, s[60:61]
	s_and_b64 s[12:13], exec, s[58:59]
	s_or_b64 s[42:43], s[12:13], s[42:43]
	s_andn2_b64 s[12:13], s[44:45], exec
	s_and_b64 s[44:45], s[46:47], exec
	s_or_b64 s[44:45], s[12:13], s[44:45]
	s_mov_b64 s[60:61], s[56:57]
	s_andn2_b64 exec, exec, s[42:43]
	s_cbranch_execz .LBB1238_1227
.LBB1238_1232:                          ;   Parent Loop BB1238_1229 Depth=1
                                        ; =>  This Inner Loop Header: Depth=2
	flat_load_ushort v35, v[38:39]
	flat_load_ushort v103, v[36:37]
	s_mov_b64 s[58:59], -1
	s_mov_b64 s[62:63], 0
	s_mov_b64 s[56:57], -1
	s_waitcnt vmcnt(0) lgkmcnt(0)
	v_cmp_nlt_f16_e64 s[12:13], v35, v103
	s_and_saveexec_b64 s[72:73], s[12:13]
; %bb.1233:                             ;   in Loop: Header=BB1238_1232 Depth=2
	v_cmp_ngt_f16_e64 s[12:13], v35, v103
	s_and_b64 s[56:57], s[12:13], s[60:61]
	s_orn2_b64 s[56:57], s[56:57], exec
	s_and_b64 s[62:63], s[12:13], exec
; %bb.1234:                             ;   in Loop: Header=BB1238_1232 Depth=2
	s_or_b64 exec, exec, s[72:73]
	s_andn2_b64 s[12:13], s[46:47], exec
	s_and_b64 s[46:47], s[56:57], exec
	s_or_b64 s[46:47], s[12:13], s[46:47]
	s_and_saveexec_b64 s[60:61], s[62:63]
	s_cbranch_execz .LBB1238_1231
; %bb.1235:                             ;   in Loop: Header=BB1238_1232 Depth=2
	v_lshl_add_u64 v[48:49], v[48:49], 0, -1
	v_cmp_eq_u64_e64 s[12:13], 0, v[48:49]
	v_lshl_add_u64 v[36:37], v[36:37], 0, 2
	v_lshl_add_u64 v[38:39], v[38:39], 0, 2
	s_andn2_b64 s[46:47], s[46:47], exec
	s_orn2_b64 s[58:59], s[12:13], exec
	s_branch .LBB1238_1231
.LBB1238_1236:
	s_or_b64 exec, exec, s[20:21]
.LBB1238_1237:
	s_or_b64 exec, exec, s[18:19]
	v_add_u32_e32 v32, v97, v100
	v_add_u32_e32 v33, v101, v99
	v_sub_u32_e32 v34, v32, v101
	v_cmp_le_u32_e64 s[12:13], v33, v97
	v_cmp_le_u32_e64 s[18:19], v34, v98
	s_or_b64 s[12:13], s[12:13], s[18:19]
	s_and_saveexec_b64 s[40:41], s[12:13]
	s_cbranch_execz .LBB1238_1321
; %bb.1238:
	v_cmp_ge_u32_e64 s[18:19], v33, v97
	v_cmp_lt_u32_e64 s[12:13], v33, v97
                                        ; implicit-def: $vgpr10_vgpr11
	s_and_saveexec_b64 s[20:21], s[12:13]
; %bb.1239:
	v_lshl_add_u32 v10, v33, 3, v30
	ds_read_b64 v[10:11], v10
; %bb.1240:
	s_or_b64 exec, exec, s[20:21]
	v_cmp_ge_u32_e64 s[20:21], v34, v98
	v_cmp_lt_u32_e64 s[12:13], v34, v98
                                        ; implicit-def: $vgpr12_vgpr13
	s_and_saveexec_b64 s[42:43], s[12:13]
; %bb.1241:
	v_lshl_add_u32 v12, v34, 3, v30
	ds_read_b64 v[12:13], v12
; %bb.1242:
	s_or_b64 exec, exec, s[42:43]
	s_or_b64 s[12:13], s[18:19], s[20:21]
	s_xor_b64 s[18:19], s[18:19], -1
	s_nor_b64 s[12:13], s[12:13], s[8:9]
	s_or_b64 s[18:19], s[20:21], s[18:19]
	s_and_saveexec_b64 s[20:21], s[12:13]
	s_cbranch_execz .LBB1238_1250
; %bb.1243:
	s_waitcnt lgkmcnt(0)
	v_mul_lo_u32 v16, v11, v6
	v_mul_lo_u32 v17, v10, v7
	v_mad_u64_u32 v[14:15], s[12:13], v10, v6, 0
	v_add3_u32 v15, v15, v17, v16
	v_mul_lo_u32 v18, v13, v6
	v_mul_lo_u32 v19, v12, v7
	v_mad_u64_u32 v[16:17], s[12:13], v12, v6, 0
	v_add3_u32 v17, v17, v19, v18
	v_lshl_add_u64 v[14:15], v[14:15], 1, v[8:9]
	v_lshl_add_u64 v[16:17], v[16:17], 1, v[8:9]
	s_mov_b64 s[42:43], 0
	v_mov_b64_e32 v[18:19], v[6:7]
                                        ; implicit-def: $sgpr44_sgpr45
                                        ; implicit-def: $sgpr46_sgpr47
                                        ; implicit-def: $sgpr60_sgpr61
	s_branch .LBB1238_1245
.LBB1238_1244:                          ;   in Loop: Header=BB1238_1245 Depth=1
	s_or_b64 exec, exec, s[60:61]
	s_and_b64 s[12:13], exec, s[58:59]
	s_or_b64 s[42:43], s[12:13], s[42:43]
	s_andn2_b64 s[12:13], s[44:45], exec
	s_and_b64 s[44:45], s[46:47], exec
	s_or_b64 s[44:45], s[12:13], s[44:45]
	s_mov_b64 s[60:61], s[56:57]
	s_andn2_b64 exec, exec, s[42:43]
	s_cbranch_execz .LBB1238_1249
.LBB1238_1245:                          ; =>This Inner Loop Header: Depth=1
	flat_load_ushort v20, v[16:17]
	flat_load_ushort v21, v[14:15]
	s_mov_b64 s[58:59], -1
	s_mov_b64 s[62:63], 0
	s_mov_b64 s[56:57], -1
	s_waitcnt vmcnt(0) lgkmcnt(0)
	v_cmp_nlt_f16_e64 s[12:13], v20, v21
	s_and_saveexec_b64 s[72:73], s[12:13]
; %bb.1246:                             ;   in Loop: Header=BB1238_1245 Depth=1
	v_cmp_ngt_f16_e64 s[12:13], v20, v21
	s_and_b64 s[56:57], s[12:13], s[60:61]
	s_orn2_b64 s[56:57], s[56:57], exec
	s_and_b64 s[62:63], s[12:13], exec
; %bb.1247:                             ;   in Loop: Header=BB1238_1245 Depth=1
	s_or_b64 exec, exec, s[72:73]
	s_andn2_b64 s[12:13], s[46:47], exec
	s_and_b64 s[46:47], s[56:57], exec
	s_or_b64 s[46:47], s[12:13], s[46:47]
	s_and_saveexec_b64 s[60:61], s[62:63]
	s_cbranch_execz .LBB1238_1244
; %bb.1248:                             ;   in Loop: Header=BB1238_1245 Depth=1
	v_lshl_add_u64 v[18:19], v[18:19], 0, -1
	v_cmp_eq_u64_e64 s[12:13], 0, v[18:19]
	v_lshl_add_u64 v[14:15], v[14:15], 0, 2
	v_lshl_add_u64 v[16:17], v[16:17], 0, 2
	s_andn2_b64 s[46:47], s[46:47], exec
	s_orn2_b64 s[58:59], s[12:13], exec
	s_branch .LBB1238_1244
.LBB1238_1249:
	s_or_b64 exec, exec, s[42:43]
	s_xor_b64 s[12:13], s[44:45], -1
	s_andn2_b64 s[18:19], s[18:19], exec
	s_and_b64 s[12:13], s[12:13], exec
	s_or_b64 s[18:19], s[18:19], s[12:13]
.LBB1238_1250:
	s_or_b64 exec, exec, s[20:21]
	v_cndmask_b32_e64 v14, v34, v33, s[18:19]
	v_cndmask_b32_e64 v15, v98, v97, s[18:19]
	v_add_u32_e32 v16, 1, v14
	v_add_u32_e32 v14, -1, v15
	v_min_u32_e32 v14, v16, v14
	v_lshl_add_u32 v14, v14, 3, v30
	ds_read_b64 v[14:15], v14
	v_cndmask_b32_e64 v20, v16, v34, s[18:19]
	v_cndmask_b32_e64 v21, v33, v16, s[18:19]
	v_cmp_lt_u32_e64 s[12:13], v20, v98
	s_mov_b64 s[42:43], -1
	s_waitcnt lgkmcnt(0)
	v_cndmask_b32_e64 v22, v15, v13, s[18:19]
	v_cndmask_b32_e64 v23, v14, v12, s[18:19]
	;; [unrolled: 1-line block ×4, first 2 shown]
	s_mov_b64 s[20:21], -1
	s_and_saveexec_b64 s[44:45], s[12:13]
	s_cbranch_execz .LBB1238_1260
; %bb.1251:
	v_cmp_lt_u32_e64 s[20:21], v21, v97
	s_and_b64 s[12:13], s[20:21], s[28:29]
	s_and_saveexec_b64 s[46:47], s[12:13]
	s_cbranch_execz .LBB1238_1259
; %bb.1252:
	v_mul_lo_u32 v16, v24, v6
	v_mul_lo_u32 v17, v32, v7
	v_mad_u64_u32 v[14:15], s[12:13], v32, v6, 0
	v_add3_u32 v15, v15, v17, v16
	v_mul_lo_u32 v18, v22, v6
	v_mul_lo_u32 v19, v23, v7
	v_mad_u64_u32 v[16:17], s[12:13], v23, v6, 0
	v_add3_u32 v17, v17, v19, v18
	v_lshl_add_u64 v[14:15], v[14:15], 1, v[8:9]
	v_lshl_add_u64 v[16:17], v[16:17], 1, v[8:9]
	s_mov_b64 s[56:57], 0
	v_mov_b64_e32 v[18:19], v[6:7]
                                        ; implicit-def: $sgpr58_sgpr59
                                        ; implicit-def: $sgpr60_sgpr61
                                        ; implicit-def: $sgpr74_sgpr75
	s_branch .LBB1238_1254
.LBB1238_1253:                          ;   in Loop: Header=BB1238_1254 Depth=1
	s_or_b64 exec, exec, s[74:75]
	s_and_b64 s[12:13], exec, s[72:73]
	s_or_b64 s[56:57], s[12:13], s[56:57]
	s_andn2_b64 s[12:13], s[58:59], exec
	s_and_b64 s[58:59], s[60:61], exec
	s_or_b64 s[58:59], s[12:13], s[58:59]
	s_mov_b64 s[74:75], s[62:63]
	s_andn2_b64 exec, exec, s[56:57]
	s_cbranch_execz .LBB1238_1258
.LBB1238_1254:                          ; =>This Inner Loop Header: Depth=1
	flat_load_ushort v25, v[16:17]
	flat_load_ushort v33, v[14:15]
	s_mov_b64 s[72:73], -1
	s_mov_b64 s[76:77], 0
	s_mov_b64 s[62:63], -1
	s_waitcnt vmcnt(0) lgkmcnt(0)
	v_cmp_nlt_f16_e64 s[12:13], v25, v33
	s_and_saveexec_b64 s[78:79], s[12:13]
; %bb.1255:                             ;   in Loop: Header=BB1238_1254 Depth=1
	v_cmp_ngt_f16_e64 s[12:13], v25, v33
	s_and_b64 s[62:63], s[12:13], s[74:75]
	s_orn2_b64 s[62:63], s[62:63], exec
	s_and_b64 s[76:77], s[12:13], exec
; %bb.1256:                             ;   in Loop: Header=BB1238_1254 Depth=1
	s_or_b64 exec, exec, s[78:79]
	s_andn2_b64 s[12:13], s[60:61], exec
	s_and_b64 s[60:61], s[62:63], exec
	s_or_b64 s[60:61], s[12:13], s[60:61]
	s_and_saveexec_b64 s[74:75], s[76:77]
	s_cbranch_execz .LBB1238_1253
; %bb.1257:                             ;   in Loop: Header=BB1238_1254 Depth=1
	v_lshl_add_u64 v[18:19], v[18:19], 0, -1
	v_cmp_eq_u64_e64 s[12:13], 0, v[18:19]
	v_lshl_add_u64 v[14:15], v[14:15], 0, 2
	v_lshl_add_u64 v[16:17], v[16:17], 0, 2
	s_andn2_b64 s[60:61], s[60:61], exec
	s_orn2_b64 s[72:73], s[12:13], exec
	s_branch .LBB1238_1253
.LBB1238_1258:
	s_or_b64 exec, exec, s[56:57]
	s_xor_b64 s[12:13], s[58:59], -1
	s_andn2_b64 s[20:21], s[20:21], exec
	s_and_b64 s[12:13], s[12:13], exec
	s_or_b64 s[20:21], s[20:21], s[12:13]
.LBB1238_1259:
	s_or_b64 exec, exec, s[46:47]
	s_orn2_b64 s[20:21], s[20:21], exec
.LBB1238_1260:
	s_or_b64 exec, exec, s[44:45]
	v_cndmask_b32_e64 v14, v20, v21, s[20:21]
	v_cndmask_b32_e64 v15, v98, v97, s[20:21]
	v_add_u32_e32 v16, 1, v14
	v_add_u32_e32 v14, -1, v15
	v_min_u32_e32 v14, v16, v14
	v_lshl_add_u32 v14, v14, 3, v30
	ds_read_b64 v[14:15], v14
	v_cndmask_b32_e64 v38, v16, v20, s[20:21]
	v_cndmask_b32_e64 v39, v21, v16, s[20:21]
	v_cmp_lt_u32_e64 s[12:13], v38, v98
	s_waitcnt lgkmcnt(0)
	v_cndmask_b32_e64 v25, v15, v22, s[20:21]
	v_cndmask_b32_e64 v33, v14, v23, s[20:21]
	;; [unrolled: 1-line block ×4, first 2 shown]
	s_and_saveexec_b64 s[44:45], s[12:13]
	s_cbranch_execz .LBB1238_1270
; %bb.1261:
	v_cmp_lt_u32_e64 s[42:43], v39, v97
	s_and_b64 s[12:13], s[42:43], s[28:29]
	s_and_saveexec_b64 s[46:47], s[12:13]
	s_cbranch_execz .LBB1238_1269
; %bb.1262:
	v_mul_lo_u32 v16, v34, v6
	v_mul_lo_u32 v17, v35, v7
	v_mad_u64_u32 v[14:15], s[12:13], v35, v6, 0
	v_add3_u32 v15, v15, v17, v16
	v_mul_lo_u32 v18, v25, v6
	v_mul_lo_u32 v19, v33, v7
	v_mad_u64_u32 v[16:17], s[12:13], v33, v6, 0
	v_add3_u32 v17, v17, v19, v18
	v_lshl_add_u64 v[14:15], v[14:15], 1, v[8:9]
	v_lshl_add_u64 v[16:17], v[16:17], 1, v[8:9]
	s_mov_b64 s[56:57], 0
	v_mov_b64_e32 v[18:19], v[6:7]
                                        ; implicit-def: $sgpr58_sgpr59
                                        ; implicit-def: $sgpr60_sgpr61
                                        ; implicit-def: $sgpr74_sgpr75
	s_branch .LBB1238_1264
.LBB1238_1263:                          ;   in Loop: Header=BB1238_1264 Depth=1
	s_or_b64 exec, exec, s[74:75]
	s_and_b64 s[12:13], exec, s[72:73]
	s_or_b64 s[56:57], s[12:13], s[56:57]
	s_andn2_b64 s[12:13], s[58:59], exec
	s_and_b64 s[58:59], s[60:61], exec
	s_or_b64 s[58:59], s[12:13], s[58:59]
	s_mov_b64 s[74:75], s[62:63]
	s_andn2_b64 exec, exec, s[56:57]
	s_cbranch_execz .LBB1238_1268
.LBB1238_1264:                          ; =>This Inner Loop Header: Depth=1
	flat_load_ushort v20, v[16:17]
	flat_load_ushort v21, v[14:15]
	s_mov_b64 s[72:73], -1
	s_mov_b64 s[76:77], 0
	s_mov_b64 s[62:63], -1
	s_waitcnt vmcnt(0) lgkmcnt(0)
	v_cmp_nlt_f16_e64 s[12:13], v20, v21
	s_and_saveexec_b64 s[78:79], s[12:13]
; %bb.1265:                             ;   in Loop: Header=BB1238_1264 Depth=1
	v_cmp_ngt_f16_e64 s[12:13], v20, v21
	s_and_b64 s[62:63], s[12:13], s[74:75]
	s_orn2_b64 s[62:63], s[62:63], exec
	s_and_b64 s[76:77], s[12:13], exec
; %bb.1266:                             ;   in Loop: Header=BB1238_1264 Depth=1
	s_or_b64 exec, exec, s[78:79]
	s_andn2_b64 s[12:13], s[60:61], exec
	s_and_b64 s[60:61], s[62:63], exec
	s_or_b64 s[60:61], s[12:13], s[60:61]
	s_and_saveexec_b64 s[74:75], s[76:77]
	s_cbranch_execz .LBB1238_1263
; %bb.1267:                             ;   in Loop: Header=BB1238_1264 Depth=1
	v_lshl_add_u64 v[18:19], v[18:19], 0, -1
	v_cmp_eq_u64_e64 s[12:13], 0, v[18:19]
	v_lshl_add_u64 v[14:15], v[14:15], 0, 2
	v_lshl_add_u64 v[16:17], v[16:17], 0, 2
	s_andn2_b64 s[60:61], s[60:61], exec
	s_orn2_b64 s[72:73], s[12:13], exec
	s_branch .LBB1238_1263
.LBB1238_1268:
	s_or_b64 exec, exec, s[56:57]
	s_xor_b64 s[12:13], s[58:59], -1
	s_andn2_b64 s[42:43], s[42:43], exec
	s_and_b64 s[12:13], s[12:13], exec
	s_or_b64 s[42:43], s[42:43], s[12:13]
.LBB1238_1269:
	s_or_b64 exec, exec, s[46:47]
	s_orn2_b64 s[42:43], s[42:43], exec
.LBB1238_1270:
	s_or_b64 exec, exec, s[44:45]
	v_cndmask_b32_e64 v14, v38, v39, s[42:43]
	v_cndmask_b32_e64 v15, v98, v97, s[42:43]
	v_add_u32_e32 v16, 1, v14
	v_add_u32_e32 v14, -1, v15
	v_min_u32_e32 v14, v16, v14
	v_lshl_add_u32 v14, v14, 3, v30
	ds_read_b64 v[14:15], v14
	v_cndmask_b32_e64 v99, v16, v38, s[42:43]
	v_cndmask_b32_e64 v100, v39, v16, s[42:43]
	v_cmp_lt_u32_e64 s[12:13], v99, v98
	s_mov_b64 s[46:47], -1
	s_waitcnt lgkmcnt(0)
	v_cndmask_b32_e64 v20, v15, v25, s[42:43]
	v_cndmask_b32_e64 v36, v14, v33, s[42:43]
	;; [unrolled: 1-line block ×4, first 2 shown]
	s_mov_b64 s[44:45], -1
	s_and_saveexec_b64 s[56:57], s[12:13]
	s_cbranch_execz .LBB1238_1280
; %bb.1271:
	v_cmp_lt_u32_e64 s[44:45], v100, v97
	s_and_b64 s[12:13], s[44:45], s[28:29]
	s_and_saveexec_b64 s[58:59], s[12:13]
	s_cbranch_execz .LBB1238_1279
; %bb.1272:
	v_mul_lo_u32 v16, v21, v6
	v_mul_lo_u32 v17, v37, v7
	v_mad_u64_u32 v[14:15], s[12:13], v37, v6, 0
	v_add3_u32 v15, v15, v17, v16
	v_mul_lo_u32 v18, v20, v6
	v_mul_lo_u32 v19, v36, v7
	v_mad_u64_u32 v[16:17], s[12:13], v36, v6, 0
	v_add3_u32 v17, v17, v19, v18
	v_lshl_add_u64 v[14:15], v[14:15], 1, v[8:9]
	v_lshl_add_u64 v[16:17], v[16:17], 1, v[8:9]
	s_mov_b64 s[60:61], 0
	v_mov_b64_e32 v[18:19], v[6:7]
                                        ; implicit-def: $sgpr62_sgpr63
                                        ; implicit-def: $sgpr72_sgpr73
                                        ; implicit-def: $sgpr78_sgpr79
	s_branch .LBB1238_1274
.LBB1238_1273:                          ;   in Loop: Header=BB1238_1274 Depth=1
	s_or_b64 exec, exec, s[78:79]
	s_and_b64 s[12:13], exec, s[76:77]
	s_or_b64 s[60:61], s[12:13], s[60:61]
	s_andn2_b64 s[12:13], s[62:63], exec
	s_and_b64 s[62:63], s[72:73], exec
	s_or_b64 s[62:63], s[12:13], s[62:63]
	s_mov_b64 s[78:79], s[74:75]
	s_andn2_b64 exec, exec, s[60:61]
	s_cbranch_execz .LBB1238_1278
.LBB1238_1274:                          ; =>This Inner Loop Header: Depth=1
	flat_load_ushort v38, v[16:17]
	flat_load_ushort v39, v[14:15]
	s_mov_b64 s[76:77], -1
	s_mov_b64 s[88:89], 0
	s_mov_b64 s[74:75], -1
	s_waitcnt vmcnt(0) lgkmcnt(0)
	v_cmp_nlt_f16_e64 s[12:13], v38, v39
	s_and_saveexec_b64 s[90:91], s[12:13]
; %bb.1275:                             ;   in Loop: Header=BB1238_1274 Depth=1
	v_cmp_ngt_f16_e64 s[12:13], v38, v39
	s_and_b64 s[74:75], s[12:13], s[78:79]
	s_orn2_b64 s[74:75], s[74:75], exec
	s_and_b64 s[88:89], s[12:13], exec
; %bb.1276:                             ;   in Loop: Header=BB1238_1274 Depth=1
	s_or_b64 exec, exec, s[90:91]
	s_andn2_b64 s[12:13], s[72:73], exec
	s_and_b64 s[72:73], s[74:75], exec
	s_or_b64 s[72:73], s[12:13], s[72:73]
	s_and_saveexec_b64 s[78:79], s[88:89]
	s_cbranch_execz .LBB1238_1273
; %bb.1277:                             ;   in Loop: Header=BB1238_1274 Depth=1
	v_lshl_add_u64 v[18:19], v[18:19], 0, -1
	v_cmp_eq_u64_e64 s[12:13], 0, v[18:19]
	v_lshl_add_u64 v[14:15], v[14:15], 0, 2
	v_lshl_add_u64 v[16:17], v[16:17], 0, 2
	s_andn2_b64 s[72:73], s[72:73], exec
	s_orn2_b64 s[76:77], s[12:13], exec
	s_branch .LBB1238_1273
.LBB1238_1278:
	s_or_b64 exec, exec, s[60:61]
	s_xor_b64 s[12:13], s[62:63], -1
	s_andn2_b64 s[44:45], s[44:45], exec
	s_and_b64 s[12:13], s[12:13], exec
	s_or_b64 s[44:45], s[44:45], s[12:13]
.LBB1238_1279:
	s_or_b64 exec, exec, s[58:59]
	s_orn2_b64 s[44:45], s[44:45], exec
.LBB1238_1280:
	s_or_b64 exec, exec, s[56:57]
	v_cndmask_b32_e64 v14, v99, v100, s[44:45]
	v_cndmask_b32_e64 v15, v98, v97, s[44:45]
	v_add_u32_e32 v16, 1, v14
	v_add_u32_e32 v14, -1, v15
	v_min_u32_e32 v14, v16, v14
	v_lshl_add_u32 v14, v14, 3, v30
	ds_read_b64 v[14:15], v14
	v_cndmask_b32_e64 v103, v16, v99, s[44:45]
	v_cndmask_b32_e64 v112, v100, v16, s[44:45]
	v_cmp_lt_u32_e64 s[12:13], v103, v98
	s_waitcnt lgkmcnt(0)
	v_cndmask_b32_e64 v38, v15, v20, s[44:45]
	v_cndmask_b32_e64 v39, v14, v36, s[44:45]
	;; [unrolled: 1-line block ×4, first 2 shown]
	s_and_saveexec_b64 s[56:57], s[12:13]
	s_cbranch_execz .LBB1238_1290
; %bb.1281:
	v_cmp_lt_u32_e64 s[46:47], v112, v97
	s_and_b64 s[12:13], s[46:47], s[28:29]
	s_and_saveexec_b64 s[58:59], s[12:13]
	s_cbranch_execz .LBB1238_1289
; %bb.1282:
	v_mul_lo_u32 v16, v48, v6
	v_mul_lo_u32 v17, v49, v7
	v_mad_u64_u32 v[14:15], s[12:13], v49, v6, 0
	v_add3_u32 v15, v15, v17, v16
	v_mul_lo_u32 v18, v38, v6
	v_mul_lo_u32 v19, v39, v7
	v_mad_u64_u32 v[16:17], s[12:13], v39, v6, 0
	v_add3_u32 v17, v17, v19, v18
	v_lshl_add_u64 v[14:15], v[14:15], 1, v[8:9]
	v_lshl_add_u64 v[16:17], v[16:17], 1, v[8:9]
	s_mov_b64 s[60:61], 0
	v_mov_b64_e32 v[18:19], v[6:7]
                                        ; implicit-def: $sgpr62_sgpr63
                                        ; implicit-def: $sgpr72_sgpr73
                                        ; implicit-def: $sgpr78_sgpr79
	s_branch .LBB1238_1284
.LBB1238_1283:                          ;   in Loop: Header=BB1238_1284 Depth=1
	s_or_b64 exec, exec, s[78:79]
	s_and_b64 s[12:13], exec, s[76:77]
	s_or_b64 s[60:61], s[12:13], s[60:61]
	s_andn2_b64 s[12:13], s[62:63], exec
	s_and_b64 s[62:63], s[72:73], exec
	s_or_b64 s[62:63], s[12:13], s[62:63]
	s_mov_b64 s[78:79], s[74:75]
	s_andn2_b64 exec, exec, s[60:61]
	s_cbranch_execz .LBB1238_1288
.LBB1238_1284:                          ; =>This Inner Loop Header: Depth=1
	flat_load_ushort v99, v[16:17]
	flat_load_ushort v100, v[14:15]
	s_mov_b64 s[76:77], -1
	s_mov_b64 s[88:89], 0
	s_mov_b64 s[74:75], -1
	s_waitcnt vmcnt(0) lgkmcnt(0)
	v_cmp_nlt_f16_e64 s[12:13], v99, v100
	s_and_saveexec_b64 s[90:91], s[12:13]
; %bb.1285:                             ;   in Loop: Header=BB1238_1284 Depth=1
	v_cmp_ngt_f16_e64 s[12:13], v99, v100
	s_and_b64 s[74:75], s[12:13], s[78:79]
	s_orn2_b64 s[74:75], s[74:75], exec
	s_and_b64 s[88:89], s[12:13], exec
; %bb.1286:                             ;   in Loop: Header=BB1238_1284 Depth=1
	s_or_b64 exec, exec, s[90:91]
	s_andn2_b64 s[12:13], s[72:73], exec
	s_and_b64 s[72:73], s[74:75], exec
	s_or_b64 s[72:73], s[12:13], s[72:73]
	s_and_saveexec_b64 s[78:79], s[88:89]
	s_cbranch_execz .LBB1238_1283
; %bb.1287:                             ;   in Loop: Header=BB1238_1284 Depth=1
	v_lshl_add_u64 v[18:19], v[18:19], 0, -1
	v_cmp_eq_u64_e64 s[12:13], 0, v[18:19]
	v_lshl_add_u64 v[14:15], v[14:15], 0, 2
	v_lshl_add_u64 v[16:17], v[16:17], 0, 2
	s_andn2_b64 s[72:73], s[72:73], exec
	s_orn2_b64 s[76:77], s[12:13], exec
	s_branch .LBB1238_1283
.LBB1238_1288:
	s_or_b64 exec, exec, s[60:61]
	s_xor_b64 s[12:13], s[62:63], -1
	s_andn2_b64 s[46:47], s[46:47], exec
	s_and_b64 s[12:13], s[12:13], exec
	s_or_b64 s[46:47], s[46:47], s[12:13]
.LBB1238_1289:
	s_or_b64 exec, exec, s[58:59]
	s_orn2_b64 s[46:47], s[46:47], exec
.LBB1238_1290:
	s_or_b64 exec, exec, s[56:57]
	v_cndmask_b32_e64 v14, v103, v112, s[46:47]
	v_cndmask_b32_e64 v15, v98, v97, s[46:47]
	v_add_u32_e32 v16, 1, v14
	v_add_u32_e32 v14, -1, v15
	v_min_u32_e32 v14, v16, v14
	v_lshl_add_u32 v14, v14, 3, v30
	ds_read_b64 v[14:15], v14
	v_cndmask_b32_e64 v113, v16, v103, s[46:47]
	v_cndmask_b32_e64 v117, v112, v16, s[46:47]
	v_cmp_lt_u32_e64 s[12:13], v113, v98
	s_mov_b64 s[56:57], -1
	s_waitcnt lgkmcnt(0)
	v_cndmask_b32_e64 v99, v15, v38, s[46:47]
	v_cndmask_b32_e64 v100, v14, v39, s[46:47]
	;; [unrolled: 1-line block ×4, first 2 shown]
	s_mov_b64 s[58:59], -1
	s_and_saveexec_b64 s[60:61], s[12:13]
	s_cbranch_execz .LBB1238_1300
; %bb.1291:
	v_cmp_lt_u32_e64 s[58:59], v117, v97
	s_and_b64 s[12:13], s[58:59], s[28:29]
	s_and_saveexec_b64 s[62:63], s[12:13]
	s_cbranch_execz .LBB1238_1299
; %bb.1292:
	v_mul_lo_u32 v16, v101, v6
	v_mul_lo_u32 v17, v102, v7
	v_mad_u64_u32 v[14:15], s[12:13], v102, v6, 0
	v_add3_u32 v15, v15, v17, v16
	v_mul_lo_u32 v18, v99, v6
	v_mul_lo_u32 v19, v100, v7
	v_mad_u64_u32 v[16:17], s[12:13], v100, v6, 0
	v_add3_u32 v17, v17, v19, v18
	v_lshl_add_u64 v[14:15], v[14:15], 1, v[8:9]
	v_lshl_add_u64 v[16:17], v[16:17], 1, v[8:9]
	s_mov_b64 s[72:73], 0
	v_mov_b64_e32 v[18:19], v[6:7]
                                        ; implicit-def: $sgpr74_sgpr75
                                        ; implicit-def: $sgpr76_sgpr77
                                        ; implicit-def: $sgpr90_sgpr91
	s_branch .LBB1238_1294
.LBB1238_1293:                          ;   in Loop: Header=BB1238_1294 Depth=1
	s_or_b64 exec, exec, s[90:91]
	s_and_b64 s[12:13], exec, s[88:89]
	s_or_b64 s[72:73], s[12:13], s[72:73]
	s_andn2_b64 s[12:13], s[74:75], exec
	s_and_b64 s[74:75], s[76:77], exec
	s_or_b64 s[74:75], s[12:13], s[74:75]
	s_mov_b64 s[90:91], s[78:79]
	s_andn2_b64 exec, exec, s[72:73]
	s_cbranch_execz .LBB1238_1298
.LBB1238_1294:                          ; =>This Inner Loop Header: Depth=1
	flat_load_ushort v103, v[16:17]
	flat_load_ushort v112, v[14:15]
	s_mov_b64 s[88:89], -1
	s_mov_b64 s[92:93], 0
	s_mov_b64 s[78:79], -1
	s_waitcnt vmcnt(0) lgkmcnt(0)
	v_cmp_nlt_f16_e64 s[12:13], v103, v112
	s_and_saveexec_b64 s[94:95], s[12:13]
; %bb.1295:                             ;   in Loop: Header=BB1238_1294 Depth=1
	v_cmp_ngt_f16_e64 s[12:13], v103, v112
	s_and_b64 s[78:79], s[12:13], s[90:91]
	s_orn2_b64 s[78:79], s[78:79], exec
	s_and_b64 s[92:93], s[12:13], exec
; %bb.1296:                             ;   in Loop: Header=BB1238_1294 Depth=1
	s_or_b64 exec, exec, s[94:95]
	s_andn2_b64 s[12:13], s[76:77], exec
	s_and_b64 s[76:77], s[78:79], exec
	s_or_b64 s[76:77], s[12:13], s[76:77]
	s_and_saveexec_b64 s[90:91], s[92:93]
	s_cbranch_execz .LBB1238_1293
; %bb.1297:                             ;   in Loop: Header=BB1238_1294 Depth=1
	v_lshl_add_u64 v[18:19], v[18:19], 0, -1
	v_cmp_eq_u64_e64 s[12:13], 0, v[18:19]
	v_lshl_add_u64 v[14:15], v[14:15], 0, 2
	v_lshl_add_u64 v[16:17], v[16:17], 0, 2
	s_andn2_b64 s[76:77], s[76:77], exec
	s_orn2_b64 s[88:89], s[12:13], exec
	s_branch .LBB1238_1293
.LBB1238_1298:
	s_or_b64 exec, exec, s[72:73]
	s_xor_b64 s[12:13], s[74:75], -1
	s_andn2_b64 s[58:59], s[58:59], exec
	s_and_b64 s[12:13], s[12:13], exec
	s_or_b64 s[58:59], s[58:59], s[12:13]
.LBB1238_1299:
	s_or_b64 exec, exec, s[62:63]
	s_orn2_b64 s[58:59], s[58:59], exec
.LBB1238_1300:
	s_or_b64 exec, exec, s[60:61]
	v_cndmask_b32_e64 v14, v113, v117, s[58:59]
	v_cndmask_b32_e64 v15, v98, v97, s[58:59]
	v_add_u32_e32 v16, 1, v14
	v_add_u32_e32 v14, -1, v15
	v_min_u32_e32 v14, v16, v14
	v_lshl_add_u32 v14, v14, 3, v30
	ds_read_b64 v[14:15], v14
	v_cndmask_b32_e64 v114, v16, v113, s[58:59]
	v_cndmask_b32_e64 v113, v117, v16, s[58:59]
	v_cmp_lt_u32_e64 s[12:13], v114, v98
	s_waitcnt lgkmcnt(0)
	v_cndmask_b32_e64 v103, v15, v99, s[58:59]
	v_cndmask_b32_e64 v112, v14, v100, s[58:59]
	v_cndmask_b32_e64 v115, v101, v15, s[58:59]
	v_cndmask_b32_e64 v116, v102, v14, s[58:59]
	s_and_saveexec_b64 s[60:61], s[12:13]
	s_cbranch_execz .LBB1238_1310
; %bb.1301:
	v_cmp_lt_u32_e64 s[56:57], v113, v97
	s_and_b64 s[12:13], s[56:57], s[28:29]
	s_and_saveexec_b64 s[62:63], s[12:13]
	s_cbranch_execz .LBB1238_1309
; %bb.1302:
	v_mul_lo_u32 v16, v115, v6
	v_mul_lo_u32 v17, v116, v7
	v_mad_u64_u32 v[14:15], s[12:13], v116, v6, 0
	v_add3_u32 v15, v15, v17, v16
	v_mul_lo_u32 v18, v103, v6
	v_mul_lo_u32 v19, v112, v7
	v_mad_u64_u32 v[16:17], s[12:13], v112, v6, 0
	v_add3_u32 v17, v17, v19, v18
	v_lshl_add_u64 v[14:15], v[14:15], 1, v[8:9]
	v_lshl_add_u64 v[16:17], v[16:17], 1, v[8:9]
	s_mov_b64 s[72:73], 0
	v_mov_b64_e32 v[18:19], v[6:7]
                                        ; implicit-def: $sgpr74_sgpr75
                                        ; implicit-def: $sgpr76_sgpr77
                                        ; implicit-def: $sgpr90_sgpr91
	s_branch .LBB1238_1304
.LBB1238_1303:                          ;   in Loop: Header=BB1238_1304 Depth=1
	s_or_b64 exec, exec, s[90:91]
	s_and_b64 s[12:13], exec, s[88:89]
	s_or_b64 s[72:73], s[12:13], s[72:73]
	s_andn2_b64 s[12:13], s[74:75], exec
	s_and_b64 s[74:75], s[76:77], exec
	s_or_b64 s[74:75], s[12:13], s[74:75]
	s_mov_b64 s[90:91], s[78:79]
	s_andn2_b64 exec, exec, s[72:73]
	s_cbranch_execz .LBB1238_1308
.LBB1238_1304:                          ; =>This Inner Loop Header: Depth=1
	flat_load_ushort v117, v[16:17]
	flat_load_ushort v118, v[14:15]
	s_mov_b64 s[88:89], -1
	s_mov_b64 s[92:93], 0
	s_mov_b64 s[78:79], -1
	s_waitcnt vmcnt(0) lgkmcnt(0)
	v_cmp_nlt_f16_e64 s[12:13], v117, v118
	s_and_saveexec_b64 s[94:95], s[12:13]
; %bb.1305:                             ;   in Loop: Header=BB1238_1304 Depth=1
	v_cmp_ngt_f16_e64 s[12:13], v117, v118
	s_and_b64 s[78:79], s[12:13], s[90:91]
	s_orn2_b64 s[78:79], s[78:79], exec
	s_and_b64 s[92:93], s[12:13], exec
; %bb.1306:                             ;   in Loop: Header=BB1238_1304 Depth=1
	s_or_b64 exec, exec, s[94:95]
	s_andn2_b64 s[12:13], s[76:77], exec
	s_and_b64 s[76:77], s[78:79], exec
	s_or_b64 s[76:77], s[12:13], s[76:77]
	s_and_saveexec_b64 s[90:91], s[92:93]
	s_cbranch_execz .LBB1238_1303
; %bb.1307:                             ;   in Loop: Header=BB1238_1304 Depth=1
	v_lshl_add_u64 v[18:19], v[18:19], 0, -1
	v_cmp_eq_u64_e64 s[12:13], 0, v[18:19]
	v_lshl_add_u64 v[14:15], v[14:15], 0, 2
	v_lshl_add_u64 v[16:17], v[16:17], 0, 2
	s_andn2_b64 s[76:77], s[76:77], exec
	s_orn2_b64 s[88:89], s[12:13], exec
	s_branch .LBB1238_1303
.LBB1238_1308:
	s_or_b64 exec, exec, s[72:73]
	s_xor_b64 s[12:13], s[74:75], -1
	s_andn2_b64 s[56:57], s[56:57], exec
	s_and_b64 s[12:13], s[12:13], exec
	s_or_b64 s[56:57], s[56:57], s[12:13]
.LBB1238_1309:
	s_or_b64 exec, exec, s[62:63]
	s_orn2_b64 s[56:57], s[56:57], exec
.LBB1238_1310:
	s_or_b64 exec, exec, s[60:61]
	v_cndmask_b32_e64 v19, v25, v34, s[42:43]
	v_cndmask_b32_e64 v25, v22, v24, s[20:21]
	;; [unrolled: 1-line block ×5, first 2 shown]
	v_add_u32_e32 v34, 1, v22
	v_add_u32_e32 v22, -1, v23
	v_min_u32_e32 v22, v34, v22
	v_lshl_add_u32 v22, v22, 3, v30
	v_cndmask_b32_e64 v18, v33, v35, s[42:43]
	ds_read_b64 v[32:33], v22
	v_cndmask_b32_e64 v35, v34, v114, s[56:57]
	v_cndmask_b32_e64 v17, v99, v101, s[58:59]
	;; [unrolled: 1-line block ×11, first 2 shown]
	s_waitcnt lgkmcnt(0)
	v_cndmask_b32_e64 v13, v115, v33, s[56:57]
	v_cndmask_b32_e64 v12, v116, v32, s[56:57]
	v_cmp_lt_u32_e64 s[12:13], v35, v98
	s_and_saveexec_b64 s[18:19], s[12:13]
	s_cbranch_execz .LBB1238_1320
; %bb.1311:
	v_cndmask_b32_e64 v39, v32, v112, s[56:57]
	v_cndmask_b32_e64 v32, v113, v34, s[56:57]
	;; [unrolled: 1-line block ×3, first 2 shown]
	v_cmp_ge_u32_e64 s[12:13], v32, v97
	s_nor_b64 s[42:43], s[12:13], s[8:9]
	s_nop 0
	v_cndmask_b32_e64 v33, v13, v38, s[12:13]
	v_cndmask_b32_e64 v32, v12, v39, s[12:13]
	s_and_saveexec_b64 s[20:21], s[42:43]
	s_cbranch_execz .LBB1238_1319
; %bb.1312:
	v_mul_lo_u32 v34, v13, v6
	v_mul_lo_u32 v35, v12, v7
	v_mad_u64_u32 v[32:33], s[12:13], v12, v6, 0
	v_add3_u32 v33, v33, v35, v34
	v_mul_lo_u32 v36, v38, v6
	v_mul_lo_u32 v37, v39, v7
	v_mad_u64_u32 v[34:35], s[12:13], v39, v6, 0
	v_add3_u32 v35, v35, v37, v36
	v_lshl_add_u64 v[32:33], v[32:33], 1, v[8:9]
	v_lshl_add_u64 v[34:35], v[34:35], 1, v[8:9]
	s_mov_b64 s[42:43], 0
	v_mov_b64_e32 v[36:37], v[6:7]
                                        ; implicit-def: $sgpr44_sgpr45
                                        ; implicit-def: $sgpr46_sgpr47
                                        ; implicit-def: $sgpr58_sgpr59
	s_branch .LBB1238_1314
.LBB1238_1313:                          ;   in Loop: Header=BB1238_1314 Depth=1
	s_or_b64 exec, exec, s[58:59]
	s_and_b64 s[12:13], exec, s[12:13]
	s_or_b64 s[42:43], s[12:13], s[42:43]
	s_andn2_b64 s[12:13], s[44:45], exec
	s_and_b64 s[44:45], s[46:47], exec
	s_or_b64 s[44:45], s[12:13], s[44:45]
	s_mov_b64 s[58:59], s[56:57]
	s_andn2_b64 exec, exec, s[42:43]
	s_cbranch_execz .LBB1238_1318
.LBB1238_1314:                          ; =>This Inner Loop Header: Depth=1
	flat_load_ushort v48, v[34:35]
	flat_load_ushort v49, v[32:33]
	s_mov_b64 s[60:61], 0
	s_mov_b64 s[56:57], -1
	s_waitcnt vmcnt(0) lgkmcnt(0)
	v_cmp_nlt_f16_e64 s[12:13], v48, v49
	s_and_saveexec_b64 s[62:63], s[12:13]
; %bb.1315:                             ;   in Loop: Header=BB1238_1314 Depth=1
	v_cmp_ngt_f16_e64 s[12:13], v48, v49
	s_and_b64 s[56:57], s[12:13], s[58:59]
	s_orn2_b64 s[56:57], s[56:57], exec
	s_and_b64 s[60:61], s[12:13], exec
; %bb.1316:                             ;   in Loop: Header=BB1238_1314 Depth=1
	s_or_b64 exec, exec, s[62:63]
	s_andn2_b64 s[46:47], s[46:47], exec
	s_and_b64 s[58:59], s[56:57], exec
	s_mov_b64 s[12:13], -1
	s_or_b64 s[46:47], s[46:47], s[58:59]
	s_and_saveexec_b64 s[58:59], s[60:61]
	s_cbranch_execz .LBB1238_1313
; %bb.1317:                             ;   in Loop: Header=BB1238_1314 Depth=1
	v_lshl_add_u64 v[36:37], v[36:37], 0, -1
	v_cmp_eq_u64_e64 s[12:13], 0, v[36:37]
	v_lshl_add_u64 v[32:33], v[32:33], 0, 2
	v_lshl_add_u64 v[34:35], v[34:35], 0, 2
	s_andn2_b64 s[46:47], s[46:47], exec
	s_orn2_b64 s[12:13], s[12:13], exec
	s_branch .LBB1238_1313
.LBB1238_1318:
	s_or_b64 exec, exec, s[42:43]
	v_cndmask_b32_e64 v33, v13, v38, s[44:45]
	v_cndmask_b32_e64 v32, v12, v39, s[44:45]
.LBB1238_1319:
	s_or_b64 exec, exec, s[20:21]
	v_mov_b64_e32 v[12:13], v[32:33]
.LBB1238_1320:
	s_or_b64 exec, exec, s[18:19]
.LBB1238_1321:
	s_or_b64 exec, exec, s[40:41]
	; wave barrier
	ds_write_b64 v81, v[22:23]
	ds_write_b64 v82, v[24:25]
	;; [unrolled: 1-line block ×8, first 2 shown]
	v_and_b32_e32 v83, 0x380, v51
	v_or_b32_e32 v32, 64, v83
	v_min_u32_e32 v81, v50, v32
	v_add_u32_e32 v32, 64, v81
	v_min_u32_e32 v82, v50, v32
	v_and_b32_e32 v32, 0x78, v51
	v_min_u32_e32 v50, v50, v32
	v_sub_u32_e32 v32, v81, v83
	v_sub_u32_e32 v33, v82, v81
	v_sub_u32_e64 v51, v50, v33 clamp
	v_min_u32_e32 v84, v50, v32
	v_cmp_lt_u32_e64 s[12:13], v51, v84
	; wave barrier
	s_and_saveexec_b64 s[18:19], s[12:13]
	s_cbranch_execz .LBB1238_1333
; %bb.1322:
	v_lshlrev_b32_e32 v34, 3, v83
	v_mov_b32_e32 v35, 0
	v_lshl_add_u64 v[32:33], v[30:31], 0, v[34:35]
	v_lshlrev_b32_e32 v34, 3, v81
	v_lshl_add_u64 v[34:35], v[30:31], 0, v[34:35]
	s_mov_b64 s[20:21], 0
	s_branch .LBB1238_1325
.LBB1238_1323:                          ;   in Loop: Header=BB1238_1325 Depth=1
	s_or_b64 exec, exec, s[42:43]
	s_and_b64 s[12:13], s[44:45], exec
.LBB1238_1324:                          ;   in Loop: Header=BB1238_1325 Depth=1
	s_or_b64 exec, exec, s[40:41]
	v_add_u32_e32 v33, 1, v31
	v_cndmask_b32_e64 v84, v84, v31, s[12:13]
	v_cndmask_b32_e64 v51, v33, v51, s[12:13]
	v_cmp_ge_u32_e64 s[12:13], v51, v84
	s_or_b64 s[20:21], s[12:13], s[20:21]
	s_andn2_b64 exec, exec, s[20:21]
	s_cbranch_execz .LBB1238_1332
.LBB1238_1325:                          ; =>This Loop Header: Depth=1
                                        ;     Child Loop BB1238_1328 Depth 2
	v_add_u32_e32 v31, v84, v51
	v_lshrrev_b32_e32 v31, 1, v31
	s_mov_b64 s[12:13], 0
	s_and_saveexec_b64 s[40:41], s[16:17]
	s_cbranch_execz .LBB1238_1324
; %bb.1326:                             ;   in Loop: Header=BB1238_1325 Depth=1
	v_lshl_add_u32 v33, v31, 3, v32
	ds_read_b64 v[36:37], v33
	v_xad_u32 v33, v31, -1, v50
	v_lshl_add_u32 v33, v33, 3, v34
	ds_read_b64 v[38:39], v33
	s_mov_b64 s[42:43], 0
	s_waitcnt lgkmcnt(1)
	v_mul_lo_u32 v33, v2, v37
	v_mul_lo_u32 v35, v3, v36
	v_mad_u64_u32 v[36:37], s[12:13], v2, v36, v[8:9]
	v_add3_u32 v37, v35, v37, v33
	s_waitcnt lgkmcnt(0)
	v_mul_lo_u32 v33, v2, v39
	v_mul_lo_u32 v35, v3, v38
	v_mad_u64_u32 v[38:39], s[12:13], v2, v38, v[8:9]
	v_add3_u32 v39, v35, v39, v33
	v_mov_b64_e32 v[48:49], v[6:7]
                                        ; implicit-def: $sgpr44_sgpr45
                                        ; implicit-def: $sgpr46_sgpr47
                                        ; implicit-def: $sgpr60_sgpr61
	s_branch .LBB1238_1328
.LBB1238_1327:                          ;   in Loop: Header=BB1238_1328 Depth=2
	s_or_b64 exec, exec, s[60:61]
	s_and_b64 s[12:13], exec, s[58:59]
	s_or_b64 s[42:43], s[12:13], s[42:43]
	s_andn2_b64 s[12:13], s[44:45], exec
	s_and_b64 s[44:45], s[46:47], exec
	s_or_b64 s[44:45], s[12:13], s[44:45]
	s_mov_b64 s[60:61], s[56:57]
	s_andn2_b64 exec, exec, s[42:43]
	s_cbranch_execz .LBB1238_1323
.LBB1238_1328:                          ;   Parent Loop BB1238_1325 Depth=1
                                        ; =>  This Inner Loop Header: Depth=2
	flat_load_ushort v33, v[38:39]
	flat_load_ushort v35, v[36:37]
	s_mov_b64 s[58:59], -1
	s_mov_b64 s[62:63], 0
	s_mov_b64 s[56:57], -1
	s_waitcnt vmcnt(0) lgkmcnt(0)
	v_cmp_nlt_f16_e64 s[12:13], v33, v35
	s_and_saveexec_b64 s[72:73], s[12:13]
; %bb.1329:                             ;   in Loop: Header=BB1238_1328 Depth=2
	v_cmp_ngt_f16_e64 s[12:13], v33, v35
	s_and_b64 s[56:57], s[12:13], s[60:61]
	s_orn2_b64 s[56:57], s[56:57], exec
	s_and_b64 s[62:63], s[12:13], exec
; %bb.1330:                             ;   in Loop: Header=BB1238_1328 Depth=2
	s_or_b64 exec, exec, s[72:73]
	s_andn2_b64 s[12:13], s[46:47], exec
	s_and_b64 s[46:47], s[56:57], exec
	s_or_b64 s[46:47], s[12:13], s[46:47]
	s_and_saveexec_b64 s[60:61], s[62:63]
	s_cbranch_execz .LBB1238_1327
; %bb.1331:                             ;   in Loop: Header=BB1238_1328 Depth=2
	v_lshl_add_u64 v[48:49], v[48:49], 0, -1
	v_cmp_eq_u64_e64 s[12:13], 0, v[48:49]
	v_lshl_add_u64 v[36:37], v[36:37], 0, 2
	v_lshl_add_u64 v[38:39], v[38:39], 0, 2
	s_andn2_b64 s[46:47], s[46:47], exec
	s_orn2_b64 s[58:59], s[12:13], exec
	s_branch .LBB1238_1327
.LBB1238_1332:
	s_or_b64 exec, exec, s[20:21]
.LBB1238_1333:
	s_or_b64 exec, exec, s[18:19]
	v_add_u32_e32 v31, v81, v50
	v_add_u32_e32 v32, v51, v83
	v_sub_u32_e32 v33, v31, v51
	v_cmp_le_u32_e64 s[12:13], v32, v81
	v_cmp_le_u32_e64 s[18:19], v33, v82
	s_or_b64 s[12:13], s[12:13], s[18:19]
	s_and_saveexec_b64 s[40:41], s[12:13]
	s_cbranch_execz .LBB1238_1417
; %bb.1334:
	v_cmp_ge_u32_e64 s[18:19], v32, v81
	v_cmp_lt_u32_e64 s[12:13], v32, v81
                                        ; implicit-def: $vgpr10_vgpr11
	s_and_saveexec_b64 s[20:21], s[12:13]
; %bb.1335:
	v_lshl_add_u32 v10, v32, 3, v30
	ds_read_b64 v[10:11], v10
; %bb.1336:
	s_or_b64 exec, exec, s[20:21]
	v_cmp_ge_u32_e64 s[20:21], v33, v82
	v_cmp_lt_u32_e64 s[12:13], v33, v82
                                        ; implicit-def: $vgpr12_vgpr13
	s_and_saveexec_b64 s[42:43], s[12:13]
; %bb.1337:
	v_lshl_add_u32 v12, v33, 3, v30
	ds_read_b64 v[12:13], v12
; %bb.1338:
	s_or_b64 exec, exec, s[42:43]
	s_or_b64 s[12:13], s[18:19], s[20:21]
	s_xor_b64 s[18:19], s[18:19], -1
	s_nor_b64 s[12:13], s[12:13], s[8:9]
	s_or_b64 s[18:19], s[20:21], s[18:19]
	s_and_saveexec_b64 s[20:21], s[12:13]
	s_cbranch_execz .LBB1238_1346
; %bb.1339:
	s_waitcnt lgkmcnt(0)
	v_mul_lo_u32 v16, v11, v6
	v_mul_lo_u32 v17, v10, v7
	v_mad_u64_u32 v[14:15], s[12:13], v10, v6, 0
	v_add3_u32 v15, v15, v17, v16
	v_mul_lo_u32 v18, v13, v6
	v_mul_lo_u32 v19, v12, v7
	v_mad_u64_u32 v[16:17], s[12:13], v12, v6, 0
	v_add3_u32 v17, v17, v19, v18
	v_lshl_add_u64 v[14:15], v[14:15], 1, v[8:9]
	v_lshl_add_u64 v[16:17], v[16:17], 1, v[8:9]
	s_mov_b64 s[42:43], 0
	v_mov_b64_e32 v[18:19], v[6:7]
                                        ; implicit-def: $sgpr44_sgpr45
                                        ; implicit-def: $sgpr46_sgpr47
                                        ; implicit-def: $sgpr60_sgpr61
	s_branch .LBB1238_1341
.LBB1238_1340:                          ;   in Loop: Header=BB1238_1341 Depth=1
	s_or_b64 exec, exec, s[60:61]
	s_and_b64 s[12:13], exec, s[58:59]
	s_or_b64 s[42:43], s[12:13], s[42:43]
	s_andn2_b64 s[12:13], s[44:45], exec
	s_and_b64 s[44:45], s[46:47], exec
	s_or_b64 s[44:45], s[12:13], s[44:45]
	s_mov_b64 s[60:61], s[56:57]
	s_andn2_b64 exec, exec, s[42:43]
	s_cbranch_execz .LBB1238_1345
.LBB1238_1341:                          ; =>This Inner Loop Header: Depth=1
	flat_load_ushort v20, v[16:17]
	flat_load_ushort v21, v[14:15]
	s_mov_b64 s[58:59], -1
	s_mov_b64 s[62:63], 0
	s_mov_b64 s[56:57], -1
	s_waitcnt vmcnt(0) lgkmcnt(0)
	v_cmp_nlt_f16_e64 s[12:13], v20, v21
	s_and_saveexec_b64 s[72:73], s[12:13]
; %bb.1342:                             ;   in Loop: Header=BB1238_1341 Depth=1
	v_cmp_ngt_f16_e64 s[12:13], v20, v21
	s_and_b64 s[56:57], s[12:13], s[60:61]
	s_orn2_b64 s[56:57], s[56:57], exec
	s_and_b64 s[62:63], s[12:13], exec
; %bb.1343:                             ;   in Loop: Header=BB1238_1341 Depth=1
	s_or_b64 exec, exec, s[72:73]
	s_andn2_b64 s[12:13], s[46:47], exec
	s_and_b64 s[46:47], s[56:57], exec
	s_or_b64 s[46:47], s[12:13], s[46:47]
	s_and_saveexec_b64 s[60:61], s[62:63]
	s_cbranch_execz .LBB1238_1340
; %bb.1344:                             ;   in Loop: Header=BB1238_1341 Depth=1
	v_lshl_add_u64 v[18:19], v[18:19], 0, -1
	v_cmp_eq_u64_e64 s[12:13], 0, v[18:19]
	v_lshl_add_u64 v[14:15], v[14:15], 0, 2
	v_lshl_add_u64 v[16:17], v[16:17], 0, 2
	s_andn2_b64 s[46:47], s[46:47], exec
	s_orn2_b64 s[58:59], s[12:13], exec
	s_branch .LBB1238_1340
.LBB1238_1345:
	s_or_b64 exec, exec, s[42:43]
	s_xor_b64 s[12:13], s[44:45], -1
	s_andn2_b64 s[18:19], s[18:19], exec
	s_and_b64 s[12:13], s[12:13], exec
	s_or_b64 s[18:19], s[18:19], s[12:13]
.LBB1238_1346:
	s_or_b64 exec, exec, s[20:21]
	v_cndmask_b32_e64 v14, v33, v32, s[18:19]
	v_cndmask_b32_e64 v15, v82, v81, s[18:19]
	v_add_u32_e32 v16, 1, v14
	v_add_u32_e32 v14, -1, v15
	v_min_u32_e32 v14, v16, v14
	v_lshl_add_u32 v14, v14, 3, v30
	ds_read_b64 v[14:15], v14
	v_cndmask_b32_e64 v20, v16, v33, s[18:19]
	v_cndmask_b32_e64 v21, v32, v16, s[18:19]
	v_cmp_lt_u32_e64 s[12:13], v20, v82
	s_mov_b64 s[42:43], -1
	s_waitcnt lgkmcnt(0)
	v_cndmask_b32_e64 v22, v15, v13, s[18:19]
	v_cndmask_b32_e64 v23, v14, v12, s[18:19]
	;; [unrolled: 1-line block ×4, first 2 shown]
	s_mov_b64 s[20:21], -1
	s_and_saveexec_b64 s[44:45], s[12:13]
	s_cbranch_execz .LBB1238_1356
; %bb.1347:
	v_cmp_lt_u32_e64 s[20:21], v21, v81
	s_and_b64 s[12:13], s[20:21], s[28:29]
	s_and_saveexec_b64 s[46:47], s[12:13]
	s_cbranch_execz .LBB1238_1355
; %bb.1348:
	v_mul_lo_u32 v16, v24, v6
	v_mul_lo_u32 v17, v31, v7
	v_mad_u64_u32 v[14:15], s[12:13], v31, v6, 0
	v_add3_u32 v15, v15, v17, v16
	v_mul_lo_u32 v18, v22, v6
	v_mul_lo_u32 v19, v23, v7
	v_mad_u64_u32 v[16:17], s[12:13], v23, v6, 0
	v_add3_u32 v17, v17, v19, v18
	v_lshl_add_u64 v[14:15], v[14:15], 1, v[8:9]
	v_lshl_add_u64 v[16:17], v[16:17], 1, v[8:9]
	s_mov_b64 s[56:57], 0
	v_mov_b64_e32 v[18:19], v[6:7]
                                        ; implicit-def: $sgpr58_sgpr59
                                        ; implicit-def: $sgpr60_sgpr61
                                        ; implicit-def: $sgpr74_sgpr75
	s_branch .LBB1238_1350
.LBB1238_1349:                          ;   in Loop: Header=BB1238_1350 Depth=1
	s_or_b64 exec, exec, s[74:75]
	s_and_b64 s[12:13], exec, s[72:73]
	s_or_b64 s[56:57], s[12:13], s[56:57]
	s_andn2_b64 s[12:13], s[58:59], exec
	s_and_b64 s[58:59], s[60:61], exec
	s_or_b64 s[58:59], s[12:13], s[58:59]
	s_mov_b64 s[74:75], s[62:63]
	s_andn2_b64 exec, exec, s[56:57]
	s_cbranch_execz .LBB1238_1354
.LBB1238_1350:                          ; =>This Inner Loop Header: Depth=1
	flat_load_ushort v25, v[16:17]
	flat_load_ushort v32, v[14:15]
	s_mov_b64 s[72:73], -1
	s_mov_b64 s[76:77], 0
	s_mov_b64 s[62:63], -1
	s_waitcnt vmcnt(0) lgkmcnt(0)
	v_cmp_nlt_f16_e64 s[12:13], v25, v32
	s_and_saveexec_b64 s[78:79], s[12:13]
; %bb.1351:                             ;   in Loop: Header=BB1238_1350 Depth=1
	v_cmp_ngt_f16_e64 s[12:13], v25, v32
	s_and_b64 s[62:63], s[12:13], s[74:75]
	s_orn2_b64 s[62:63], s[62:63], exec
	s_and_b64 s[76:77], s[12:13], exec
; %bb.1352:                             ;   in Loop: Header=BB1238_1350 Depth=1
	s_or_b64 exec, exec, s[78:79]
	s_andn2_b64 s[12:13], s[60:61], exec
	s_and_b64 s[60:61], s[62:63], exec
	s_or_b64 s[60:61], s[12:13], s[60:61]
	s_and_saveexec_b64 s[74:75], s[76:77]
	s_cbranch_execz .LBB1238_1349
; %bb.1353:                             ;   in Loop: Header=BB1238_1350 Depth=1
	v_lshl_add_u64 v[18:19], v[18:19], 0, -1
	v_cmp_eq_u64_e64 s[12:13], 0, v[18:19]
	v_lshl_add_u64 v[14:15], v[14:15], 0, 2
	v_lshl_add_u64 v[16:17], v[16:17], 0, 2
	s_andn2_b64 s[60:61], s[60:61], exec
	s_orn2_b64 s[72:73], s[12:13], exec
	s_branch .LBB1238_1349
.LBB1238_1354:
	s_or_b64 exec, exec, s[56:57]
	s_xor_b64 s[12:13], s[58:59], -1
	s_andn2_b64 s[20:21], s[20:21], exec
	s_and_b64 s[12:13], s[12:13], exec
	s_or_b64 s[20:21], s[20:21], s[12:13]
.LBB1238_1355:
	s_or_b64 exec, exec, s[46:47]
	s_orn2_b64 s[20:21], s[20:21], exec
.LBB1238_1356:
	s_or_b64 exec, exec, s[44:45]
	v_cndmask_b32_e64 v14, v20, v21, s[20:21]
	v_cndmask_b32_e64 v15, v82, v81, s[20:21]
	v_add_u32_e32 v16, 1, v14
	v_add_u32_e32 v14, -1, v15
	v_min_u32_e32 v14, v16, v14
	v_lshl_add_u32 v14, v14, 3, v30
	ds_read_b64 v[14:15], v14
	v_cndmask_b32_e64 v37, v16, v20, s[20:21]
	v_cndmask_b32_e64 v38, v21, v16, s[20:21]
	v_cmp_lt_u32_e64 s[12:13], v37, v82
	s_waitcnt lgkmcnt(0)
	v_cndmask_b32_e64 v25, v15, v22, s[20:21]
	v_cndmask_b32_e64 v32, v14, v23, s[20:21]
	;; [unrolled: 1-line block ×4, first 2 shown]
	s_and_saveexec_b64 s[44:45], s[12:13]
	s_cbranch_execz .LBB1238_1366
; %bb.1357:
	v_cmp_lt_u32_e64 s[42:43], v38, v81
	s_and_b64 s[12:13], s[42:43], s[28:29]
	s_and_saveexec_b64 s[46:47], s[12:13]
	s_cbranch_execz .LBB1238_1365
; %bb.1358:
	v_mul_lo_u32 v16, v33, v6
	v_mul_lo_u32 v17, v34, v7
	v_mad_u64_u32 v[14:15], s[12:13], v34, v6, 0
	v_add3_u32 v15, v15, v17, v16
	v_mul_lo_u32 v18, v25, v6
	v_mul_lo_u32 v19, v32, v7
	v_mad_u64_u32 v[16:17], s[12:13], v32, v6, 0
	v_add3_u32 v17, v17, v19, v18
	v_lshl_add_u64 v[14:15], v[14:15], 1, v[8:9]
	v_lshl_add_u64 v[16:17], v[16:17], 1, v[8:9]
	s_mov_b64 s[56:57], 0
	v_mov_b64_e32 v[18:19], v[6:7]
                                        ; implicit-def: $sgpr58_sgpr59
                                        ; implicit-def: $sgpr60_sgpr61
                                        ; implicit-def: $sgpr74_sgpr75
	s_branch .LBB1238_1360
.LBB1238_1359:                          ;   in Loop: Header=BB1238_1360 Depth=1
	s_or_b64 exec, exec, s[74:75]
	s_and_b64 s[12:13], exec, s[72:73]
	s_or_b64 s[56:57], s[12:13], s[56:57]
	s_andn2_b64 s[12:13], s[58:59], exec
	s_and_b64 s[58:59], s[60:61], exec
	s_or_b64 s[58:59], s[12:13], s[58:59]
	s_mov_b64 s[74:75], s[62:63]
	s_andn2_b64 exec, exec, s[56:57]
	s_cbranch_execz .LBB1238_1364
.LBB1238_1360:                          ; =>This Inner Loop Header: Depth=1
	flat_load_ushort v20, v[16:17]
	flat_load_ushort v21, v[14:15]
	s_mov_b64 s[72:73], -1
	s_mov_b64 s[76:77], 0
	s_mov_b64 s[62:63], -1
	s_waitcnt vmcnt(0) lgkmcnt(0)
	v_cmp_nlt_f16_e64 s[12:13], v20, v21
	s_and_saveexec_b64 s[78:79], s[12:13]
; %bb.1361:                             ;   in Loop: Header=BB1238_1360 Depth=1
	v_cmp_ngt_f16_e64 s[12:13], v20, v21
	s_and_b64 s[62:63], s[12:13], s[74:75]
	s_orn2_b64 s[62:63], s[62:63], exec
	s_and_b64 s[76:77], s[12:13], exec
; %bb.1362:                             ;   in Loop: Header=BB1238_1360 Depth=1
	s_or_b64 exec, exec, s[78:79]
	s_andn2_b64 s[12:13], s[60:61], exec
	s_and_b64 s[60:61], s[62:63], exec
	s_or_b64 s[60:61], s[12:13], s[60:61]
	s_and_saveexec_b64 s[74:75], s[76:77]
	s_cbranch_execz .LBB1238_1359
; %bb.1363:                             ;   in Loop: Header=BB1238_1360 Depth=1
	v_lshl_add_u64 v[18:19], v[18:19], 0, -1
	v_cmp_eq_u64_e64 s[12:13], 0, v[18:19]
	v_lshl_add_u64 v[14:15], v[14:15], 0, 2
	v_lshl_add_u64 v[16:17], v[16:17], 0, 2
	s_andn2_b64 s[60:61], s[60:61], exec
	s_orn2_b64 s[72:73], s[12:13], exec
	s_branch .LBB1238_1359
.LBB1238_1364:
	s_or_b64 exec, exec, s[56:57]
	s_xor_b64 s[12:13], s[58:59], -1
	s_andn2_b64 s[42:43], s[42:43], exec
	s_and_b64 s[12:13], s[12:13], exec
	s_or_b64 s[42:43], s[42:43], s[12:13]
.LBB1238_1365:
	s_or_b64 exec, exec, s[46:47]
	s_orn2_b64 s[42:43], s[42:43], exec
.LBB1238_1366:
	s_or_b64 exec, exec, s[44:45]
	v_cndmask_b32_e64 v14, v37, v38, s[42:43]
	v_cndmask_b32_e64 v15, v82, v81, s[42:43]
	v_add_u32_e32 v16, 1, v14
	v_add_u32_e32 v14, -1, v15
	v_min_u32_e32 v14, v16, v14
	v_lshl_add_u32 v14, v14, 3, v30
	ds_read_b64 v[14:15], v14
	v_cndmask_b32_e64 v49, v16, v37, s[42:43]
	v_cndmask_b32_e64 v50, v38, v16, s[42:43]
	v_cmp_lt_u32_e64 s[12:13], v49, v82
	s_mov_b64 s[46:47], -1
	s_waitcnt lgkmcnt(0)
	v_cndmask_b32_e64 v20, v15, v25, s[42:43]
	v_cndmask_b32_e64 v35, v14, v32, s[42:43]
	;; [unrolled: 1-line block ×4, first 2 shown]
	s_mov_b64 s[44:45], -1
	s_and_saveexec_b64 s[56:57], s[12:13]
	s_cbranch_execz .LBB1238_1376
; %bb.1367:
	v_cmp_lt_u32_e64 s[44:45], v50, v81
	s_and_b64 s[12:13], s[44:45], s[28:29]
	s_and_saveexec_b64 s[58:59], s[12:13]
	s_cbranch_execz .LBB1238_1375
; %bb.1368:
	v_mul_lo_u32 v16, v21, v6
	v_mul_lo_u32 v17, v36, v7
	v_mad_u64_u32 v[14:15], s[12:13], v36, v6, 0
	v_add3_u32 v15, v15, v17, v16
	v_mul_lo_u32 v18, v20, v6
	v_mul_lo_u32 v19, v35, v7
	v_mad_u64_u32 v[16:17], s[12:13], v35, v6, 0
	v_add3_u32 v17, v17, v19, v18
	v_lshl_add_u64 v[14:15], v[14:15], 1, v[8:9]
	v_lshl_add_u64 v[16:17], v[16:17], 1, v[8:9]
	s_mov_b64 s[60:61], 0
	v_mov_b64_e32 v[18:19], v[6:7]
                                        ; implicit-def: $sgpr62_sgpr63
                                        ; implicit-def: $sgpr72_sgpr73
                                        ; implicit-def: $sgpr78_sgpr79
	s_branch .LBB1238_1370
.LBB1238_1369:                          ;   in Loop: Header=BB1238_1370 Depth=1
	s_or_b64 exec, exec, s[78:79]
	s_and_b64 s[12:13], exec, s[76:77]
	s_or_b64 s[60:61], s[12:13], s[60:61]
	s_andn2_b64 s[12:13], s[62:63], exec
	s_and_b64 s[62:63], s[72:73], exec
	s_or_b64 s[62:63], s[12:13], s[62:63]
	s_mov_b64 s[78:79], s[74:75]
	s_andn2_b64 exec, exec, s[60:61]
	s_cbranch_execz .LBB1238_1374
.LBB1238_1370:                          ; =>This Inner Loop Header: Depth=1
	flat_load_ushort v37, v[16:17]
	flat_load_ushort v38, v[14:15]
	s_mov_b64 s[76:77], -1
	s_mov_b64 s[88:89], 0
	s_mov_b64 s[74:75], -1
	s_waitcnt vmcnt(0) lgkmcnt(0)
	v_cmp_nlt_f16_e64 s[12:13], v37, v38
	s_and_saveexec_b64 s[90:91], s[12:13]
; %bb.1371:                             ;   in Loop: Header=BB1238_1370 Depth=1
	v_cmp_ngt_f16_e64 s[12:13], v37, v38
	s_and_b64 s[74:75], s[12:13], s[78:79]
	s_orn2_b64 s[74:75], s[74:75], exec
	s_and_b64 s[88:89], s[12:13], exec
; %bb.1372:                             ;   in Loop: Header=BB1238_1370 Depth=1
	s_or_b64 exec, exec, s[90:91]
	s_andn2_b64 s[12:13], s[72:73], exec
	s_and_b64 s[72:73], s[74:75], exec
	s_or_b64 s[72:73], s[12:13], s[72:73]
	s_and_saveexec_b64 s[78:79], s[88:89]
	s_cbranch_execz .LBB1238_1369
; %bb.1373:                             ;   in Loop: Header=BB1238_1370 Depth=1
	v_lshl_add_u64 v[18:19], v[18:19], 0, -1
	v_cmp_eq_u64_e64 s[12:13], 0, v[18:19]
	v_lshl_add_u64 v[14:15], v[14:15], 0, 2
	v_lshl_add_u64 v[16:17], v[16:17], 0, 2
	s_andn2_b64 s[72:73], s[72:73], exec
	s_orn2_b64 s[76:77], s[12:13], exec
	s_branch .LBB1238_1369
.LBB1238_1374:
	s_or_b64 exec, exec, s[60:61]
	s_xor_b64 s[12:13], s[62:63], -1
	s_andn2_b64 s[44:45], s[44:45], exec
	s_and_b64 s[12:13], s[12:13], exec
	s_or_b64 s[44:45], s[44:45], s[12:13]
.LBB1238_1375:
	s_or_b64 exec, exec, s[58:59]
	s_orn2_b64 s[44:45], s[44:45], exec
.LBB1238_1376:
	s_or_b64 exec, exec, s[56:57]
	v_cndmask_b32_e64 v14, v49, v50, s[44:45]
	v_cndmask_b32_e64 v15, v82, v81, s[44:45]
	v_add_u32_e32 v16, 1, v14
	v_add_u32_e32 v14, -1, v15
	v_min_u32_e32 v14, v16, v14
	v_lshl_add_u32 v14, v14, 3, v30
	ds_read_b64 v[14:15], v14
	v_cndmask_b32_e64 v84, v16, v49, s[44:45]
	v_cndmask_b32_e64 v85, v50, v16, s[44:45]
	v_cmp_lt_u32_e64 s[12:13], v84, v82
	s_waitcnt lgkmcnt(0)
	v_cndmask_b32_e64 v37, v15, v20, s[44:45]
	v_cndmask_b32_e64 v38, v14, v35, s[44:45]
	v_cndmask_b32_e64 v39, v21, v15, s[44:45]
	v_cndmask_b32_e64 v48, v36, v14, s[44:45]
	s_and_saveexec_b64 s[56:57], s[12:13]
	s_cbranch_execz .LBB1238_1386
; %bb.1377:
	v_cmp_lt_u32_e64 s[46:47], v85, v81
	s_and_b64 s[12:13], s[46:47], s[28:29]
	s_and_saveexec_b64 s[58:59], s[12:13]
	s_cbranch_execz .LBB1238_1385
; %bb.1378:
	v_mul_lo_u32 v16, v39, v6
	v_mul_lo_u32 v17, v48, v7
	v_mad_u64_u32 v[14:15], s[12:13], v48, v6, 0
	v_add3_u32 v15, v15, v17, v16
	v_mul_lo_u32 v18, v37, v6
	v_mul_lo_u32 v19, v38, v7
	v_mad_u64_u32 v[16:17], s[12:13], v38, v6, 0
	v_add3_u32 v17, v17, v19, v18
	v_lshl_add_u64 v[14:15], v[14:15], 1, v[8:9]
	v_lshl_add_u64 v[16:17], v[16:17], 1, v[8:9]
	s_mov_b64 s[60:61], 0
	v_mov_b64_e32 v[18:19], v[6:7]
                                        ; implicit-def: $sgpr62_sgpr63
                                        ; implicit-def: $sgpr72_sgpr73
                                        ; implicit-def: $sgpr78_sgpr79
	s_branch .LBB1238_1380
.LBB1238_1379:                          ;   in Loop: Header=BB1238_1380 Depth=1
	s_or_b64 exec, exec, s[78:79]
	s_and_b64 s[12:13], exec, s[76:77]
	s_or_b64 s[60:61], s[12:13], s[60:61]
	s_andn2_b64 s[12:13], s[62:63], exec
	s_and_b64 s[62:63], s[72:73], exec
	s_or_b64 s[62:63], s[12:13], s[62:63]
	s_mov_b64 s[78:79], s[74:75]
	s_andn2_b64 exec, exec, s[60:61]
	s_cbranch_execz .LBB1238_1384
.LBB1238_1380:                          ; =>This Inner Loop Header: Depth=1
	flat_load_ushort v49, v[16:17]
	flat_load_ushort v50, v[14:15]
	s_mov_b64 s[76:77], -1
	s_mov_b64 s[88:89], 0
	s_mov_b64 s[74:75], -1
	s_waitcnt vmcnt(0) lgkmcnt(0)
	v_cmp_nlt_f16_e64 s[12:13], v49, v50
	s_and_saveexec_b64 s[90:91], s[12:13]
; %bb.1381:                             ;   in Loop: Header=BB1238_1380 Depth=1
	v_cmp_ngt_f16_e64 s[12:13], v49, v50
	s_and_b64 s[74:75], s[12:13], s[78:79]
	s_orn2_b64 s[74:75], s[74:75], exec
	s_and_b64 s[88:89], s[12:13], exec
; %bb.1382:                             ;   in Loop: Header=BB1238_1380 Depth=1
	s_or_b64 exec, exec, s[90:91]
	s_andn2_b64 s[12:13], s[72:73], exec
	s_and_b64 s[72:73], s[74:75], exec
	s_or_b64 s[72:73], s[12:13], s[72:73]
	s_and_saveexec_b64 s[78:79], s[88:89]
	s_cbranch_execz .LBB1238_1379
; %bb.1383:                             ;   in Loop: Header=BB1238_1380 Depth=1
	v_lshl_add_u64 v[18:19], v[18:19], 0, -1
	v_cmp_eq_u64_e64 s[12:13], 0, v[18:19]
	v_lshl_add_u64 v[14:15], v[14:15], 0, 2
	v_lshl_add_u64 v[16:17], v[16:17], 0, 2
	s_andn2_b64 s[72:73], s[72:73], exec
	s_orn2_b64 s[76:77], s[12:13], exec
	s_branch .LBB1238_1379
.LBB1238_1384:
	s_or_b64 exec, exec, s[60:61]
	s_xor_b64 s[12:13], s[62:63], -1
	s_andn2_b64 s[46:47], s[46:47], exec
	s_and_b64 s[12:13], s[12:13], exec
	s_or_b64 s[46:47], s[46:47], s[12:13]
.LBB1238_1385:
	s_or_b64 exec, exec, s[58:59]
	s_orn2_b64 s[46:47], s[46:47], exec
.LBB1238_1386:
	s_or_b64 exec, exec, s[56:57]
	v_cndmask_b32_e64 v14, v84, v85, s[46:47]
	v_cndmask_b32_e64 v15, v82, v81, s[46:47]
	v_add_u32_e32 v16, 1, v14
	v_add_u32_e32 v14, -1, v15
	v_min_u32_e32 v14, v16, v14
	v_lshl_add_u32 v14, v14, 3, v30
	ds_read_b64 v[14:15], v14
	v_cndmask_b32_e64 v86, v16, v84, s[46:47]
	v_cndmask_b32_e64 v98, v85, v16, s[46:47]
	v_cmp_lt_u32_e64 s[12:13], v86, v82
	s_mov_b64 s[56:57], -1
	s_waitcnt lgkmcnt(0)
	v_cndmask_b32_e64 v49, v15, v37, s[46:47]
	v_cndmask_b32_e64 v50, v14, v38, s[46:47]
	v_cndmask_b32_e64 v51, v39, v15, s[46:47]
	v_cndmask_b32_e64 v83, v48, v14, s[46:47]
	s_mov_b64 s[58:59], -1
	s_and_saveexec_b64 s[60:61], s[12:13]
	s_cbranch_execz .LBB1238_1396
; %bb.1387:
	v_cmp_lt_u32_e64 s[58:59], v98, v81
	s_and_b64 s[12:13], s[58:59], s[28:29]
	s_and_saveexec_b64 s[62:63], s[12:13]
	s_cbranch_execz .LBB1238_1395
; %bb.1388:
	v_mul_lo_u32 v16, v51, v6
	v_mul_lo_u32 v17, v83, v7
	v_mad_u64_u32 v[14:15], s[12:13], v83, v6, 0
	v_add3_u32 v15, v15, v17, v16
	v_mul_lo_u32 v18, v49, v6
	v_mul_lo_u32 v19, v50, v7
	v_mad_u64_u32 v[16:17], s[12:13], v50, v6, 0
	v_add3_u32 v17, v17, v19, v18
	v_lshl_add_u64 v[14:15], v[14:15], 1, v[8:9]
	v_lshl_add_u64 v[16:17], v[16:17], 1, v[8:9]
	s_mov_b64 s[72:73], 0
	v_mov_b64_e32 v[18:19], v[6:7]
                                        ; implicit-def: $sgpr74_sgpr75
                                        ; implicit-def: $sgpr76_sgpr77
                                        ; implicit-def: $sgpr90_sgpr91
	s_branch .LBB1238_1390
.LBB1238_1389:                          ;   in Loop: Header=BB1238_1390 Depth=1
	s_or_b64 exec, exec, s[90:91]
	s_and_b64 s[12:13], exec, s[88:89]
	s_or_b64 s[72:73], s[12:13], s[72:73]
	s_andn2_b64 s[12:13], s[74:75], exec
	s_and_b64 s[74:75], s[76:77], exec
	s_or_b64 s[74:75], s[12:13], s[74:75]
	s_mov_b64 s[90:91], s[78:79]
	s_andn2_b64 exec, exec, s[72:73]
	s_cbranch_execz .LBB1238_1394
.LBB1238_1390:                          ; =>This Inner Loop Header: Depth=1
	flat_load_ushort v84, v[16:17]
	flat_load_ushort v85, v[14:15]
	s_mov_b64 s[88:89], -1
	s_mov_b64 s[92:93], 0
	s_mov_b64 s[78:79], -1
	s_waitcnt vmcnt(0) lgkmcnt(0)
	v_cmp_nlt_f16_e64 s[12:13], v84, v85
	s_and_saveexec_b64 s[94:95], s[12:13]
; %bb.1391:                             ;   in Loop: Header=BB1238_1390 Depth=1
	v_cmp_ngt_f16_e64 s[12:13], v84, v85
	s_and_b64 s[78:79], s[12:13], s[90:91]
	s_orn2_b64 s[78:79], s[78:79], exec
	s_and_b64 s[92:93], s[12:13], exec
; %bb.1392:                             ;   in Loop: Header=BB1238_1390 Depth=1
	s_or_b64 exec, exec, s[94:95]
	s_andn2_b64 s[12:13], s[76:77], exec
	s_and_b64 s[76:77], s[78:79], exec
	s_or_b64 s[76:77], s[12:13], s[76:77]
	s_and_saveexec_b64 s[90:91], s[92:93]
	s_cbranch_execz .LBB1238_1389
; %bb.1393:                             ;   in Loop: Header=BB1238_1390 Depth=1
	v_lshl_add_u64 v[18:19], v[18:19], 0, -1
	v_cmp_eq_u64_e64 s[12:13], 0, v[18:19]
	v_lshl_add_u64 v[14:15], v[14:15], 0, 2
	v_lshl_add_u64 v[16:17], v[16:17], 0, 2
	s_andn2_b64 s[76:77], s[76:77], exec
	s_orn2_b64 s[88:89], s[12:13], exec
	s_branch .LBB1238_1389
.LBB1238_1394:
	s_or_b64 exec, exec, s[72:73]
	s_xor_b64 s[12:13], s[74:75], -1
	s_andn2_b64 s[58:59], s[58:59], exec
	s_and_b64 s[12:13], s[12:13], exec
	s_or_b64 s[58:59], s[58:59], s[12:13]
.LBB1238_1395:
	s_or_b64 exec, exec, s[62:63]
	s_orn2_b64 s[58:59], s[58:59], exec
.LBB1238_1396:
	s_or_b64 exec, exec, s[60:61]
	v_cndmask_b32_e64 v14, v86, v98, s[58:59]
	v_cndmask_b32_e64 v15, v82, v81, s[58:59]
	v_add_u32_e32 v16, 1, v14
	v_add_u32_e32 v14, -1, v15
	v_min_u32_e32 v14, v16, v14
	v_lshl_add_u32 v14, v14, 3, v30
	ds_read_b64 v[14:15], v14
	v_cndmask_b32_e64 v87, v16, v86, s[58:59]
	v_cndmask_b32_e64 v86, v98, v16, s[58:59]
	v_cmp_lt_u32_e64 s[12:13], v87, v82
	s_waitcnt lgkmcnt(0)
	v_cndmask_b32_e64 v84, v15, v49, s[58:59]
	v_cndmask_b32_e64 v85, v14, v50, s[58:59]
	;; [unrolled: 1-line block ×4, first 2 shown]
	s_and_saveexec_b64 s[60:61], s[12:13]
	s_cbranch_execz .LBB1238_1406
; %bb.1397:
	v_cmp_lt_u32_e64 s[56:57], v86, v81
	s_and_b64 s[12:13], s[56:57], s[28:29]
	s_and_saveexec_b64 s[62:63], s[12:13]
	s_cbranch_execz .LBB1238_1405
; %bb.1398:
	v_mul_lo_u32 v16, v96, v6
	v_mul_lo_u32 v17, v97, v7
	v_mad_u64_u32 v[14:15], s[12:13], v97, v6, 0
	v_add3_u32 v15, v15, v17, v16
	v_mul_lo_u32 v18, v84, v6
	v_mul_lo_u32 v19, v85, v7
	v_mad_u64_u32 v[16:17], s[12:13], v85, v6, 0
	v_add3_u32 v17, v17, v19, v18
	v_lshl_add_u64 v[14:15], v[14:15], 1, v[8:9]
	v_lshl_add_u64 v[16:17], v[16:17], 1, v[8:9]
	s_mov_b64 s[72:73], 0
	v_mov_b64_e32 v[18:19], v[6:7]
                                        ; implicit-def: $sgpr74_sgpr75
                                        ; implicit-def: $sgpr76_sgpr77
                                        ; implicit-def: $sgpr90_sgpr91
	s_branch .LBB1238_1400
.LBB1238_1399:                          ;   in Loop: Header=BB1238_1400 Depth=1
	s_or_b64 exec, exec, s[90:91]
	s_and_b64 s[12:13], exec, s[88:89]
	s_or_b64 s[72:73], s[12:13], s[72:73]
	s_andn2_b64 s[12:13], s[74:75], exec
	s_and_b64 s[74:75], s[76:77], exec
	s_or_b64 s[74:75], s[12:13], s[74:75]
	s_mov_b64 s[90:91], s[78:79]
	s_andn2_b64 exec, exec, s[72:73]
	s_cbranch_execz .LBB1238_1404
.LBB1238_1400:                          ; =>This Inner Loop Header: Depth=1
	flat_load_ushort v98, v[16:17]
	flat_load_ushort v99, v[14:15]
	s_mov_b64 s[88:89], -1
	s_mov_b64 s[92:93], 0
	s_mov_b64 s[78:79], -1
	s_waitcnt vmcnt(0) lgkmcnt(0)
	v_cmp_nlt_f16_e64 s[12:13], v98, v99
	s_and_saveexec_b64 s[94:95], s[12:13]
; %bb.1401:                             ;   in Loop: Header=BB1238_1400 Depth=1
	v_cmp_ngt_f16_e64 s[12:13], v98, v99
	s_and_b64 s[78:79], s[12:13], s[90:91]
	s_orn2_b64 s[78:79], s[78:79], exec
	s_and_b64 s[92:93], s[12:13], exec
; %bb.1402:                             ;   in Loop: Header=BB1238_1400 Depth=1
	s_or_b64 exec, exec, s[94:95]
	s_andn2_b64 s[12:13], s[76:77], exec
	s_and_b64 s[76:77], s[78:79], exec
	s_or_b64 s[76:77], s[12:13], s[76:77]
	s_and_saveexec_b64 s[90:91], s[92:93]
	s_cbranch_execz .LBB1238_1399
; %bb.1403:                             ;   in Loop: Header=BB1238_1400 Depth=1
	v_lshl_add_u64 v[18:19], v[18:19], 0, -1
	v_cmp_eq_u64_e64 s[12:13], 0, v[18:19]
	v_lshl_add_u64 v[14:15], v[14:15], 0, 2
	v_lshl_add_u64 v[16:17], v[16:17], 0, 2
	s_andn2_b64 s[76:77], s[76:77], exec
	s_orn2_b64 s[88:89], s[12:13], exec
	s_branch .LBB1238_1399
.LBB1238_1404:
	s_or_b64 exec, exec, s[72:73]
	s_xor_b64 s[12:13], s[74:75], -1
	s_andn2_b64 s[56:57], s[56:57], exec
	s_and_b64 s[12:13], s[12:13], exec
	s_or_b64 s[56:57], s[56:57], s[12:13]
.LBB1238_1405:
	s_or_b64 exec, exec, s[62:63]
	s_orn2_b64 s[56:57], s[56:57], exec
.LBB1238_1406:
	s_or_b64 exec, exec, s[60:61]
	v_cndmask_b32_e64 v19, v25, v33, s[42:43]
	v_cndmask_b32_e64 v25, v22, v24, s[20:21]
	;; [unrolled: 1-line block ×6, first 2 shown]
	v_add_u32_e32 v32, 1, v22
	v_add_u32_e32 v22, -1, v23
	v_min_u32_e32 v22, v32, v22
	v_lshl_add_u32 v22, v22, 3, v30
	ds_read_b64 v[30:31], v22
	v_cndmask_b32_e64 v33, v32, v87, s[56:57]
	v_cndmask_b32_e64 v17, v49, v51, s[58:59]
	;; [unrolled: 1-line block ×11, first 2 shown]
	s_waitcnt lgkmcnt(0)
	v_cndmask_b32_e64 v13, v96, v31, s[56:57]
	v_cndmask_b32_e64 v12, v97, v30, s[56:57]
	v_cmp_lt_u32_e64 s[12:13], v33, v82
	s_and_saveexec_b64 s[18:19], s[12:13]
	s_cbranch_execz .LBB1238_1416
; %bb.1407:
	v_cndmask_b32_e64 v37, v30, v85, s[56:57]
	v_cndmask_b32_e64 v30, v86, v32, s[56:57]
	;; [unrolled: 1-line block ×3, first 2 shown]
	v_cmp_ge_u32_e64 s[12:13], v30, v81
	s_nor_b64 s[42:43], s[12:13], s[8:9]
	s_nop 0
	v_cndmask_b32_e64 v31, v13, v36, s[12:13]
	v_cndmask_b32_e64 v30, v12, v37, s[12:13]
	s_and_saveexec_b64 s[20:21], s[42:43]
	s_cbranch_execz .LBB1238_1415
; %bb.1408:
	v_mul_lo_u32 v32, v13, v6
	v_mul_lo_u32 v33, v12, v7
	v_mad_u64_u32 v[30:31], s[12:13], v12, v6, 0
	v_add3_u32 v31, v31, v33, v32
	v_mul_lo_u32 v34, v36, v6
	v_mul_lo_u32 v35, v37, v7
	v_mad_u64_u32 v[32:33], s[12:13], v37, v6, 0
	v_add3_u32 v33, v33, v35, v34
	v_lshl_add_u64 v[30:31], v[30:31], 1, v[8:9]
	v_lshl_add_u64 v[32:33], v[32:33], 1, v[8:9]
	s_mov_b64 s[42:43], 0
	v_mov_b64_e32 v[34:35], v[6:7]
                                        ; implicit-def: $sgpr44_sgpr45
                                        ; implicit-def: $sgpr46_sgpr47
                                        ; implicit-def: $sgpr58_sgpr59
	s_branch .LBB1238_1410
.LBB1238_1409:                          ;   in Loop: Header=BB1238_1410 Depth=1
	s_or_b64 exec, exec, s[58:59]
	s_and_b64 s[12:13], exec, s[12:13]
	s_or_b64 s[42:43], s[12:13], s[42:43]
	s_andn2_b64 s[12:13], s[44:45], exec
	s_and_b64 s[44:45], s[46:47], exec
	s_or_b64 s[44:45], s[12:13], s[44:45]
	s_mov_b64 s[58:59], s[56:57]
	s_andn2_b64 exec, exec, s[42:43]
	s_cbranch_execz .LBB1238_1414
.LBB1238_1410:                          ; =>This Inner Loop Header: Depth=1
	flat_load_ushort v38, v[32:33]
	flat_load_ushort v39, v[30:31]
	s_mov_b64 s[60:61], 0
	s_mov_b64 s[56:57], -1
	s_waitcnt vmcnt(0) lgkmcnt(0)
	v_cmp_nlt_f16_e64 s[12:13], v38, v39
	s_and_saveexec_b64 s[62:63], s[12:13]
; %bb.1411:                             ;   in Loop: Header=BB1238_1410 Depth=1
	v_cmp_ngt_f16_e64 s[12:13], v38, v39
	s_and_b64 s[56:57], s[12:13], s[58:59]
	s_orn2_b64 s[56:57], s[56:57], exec
	s_and_b64 s[60:61], s[12:13], exec
; %bb.1412:                             ;   in Loop: Header=BB1238_1410 Depth=1
	s_or_b64 exec, exec, s[62:63]
	s_andn2_b64 s[46:47], s[46:47], exec
	s_and_b64 s[58:59], s[56:57], exec
	s_mov_b64 s[12:13], -1
	s_or_b64 s[46:47], s[46:47], s[58:59]
	s_and_saveexec_b64 s[58:59], s[60:61]
	s_cbranch_execz .LBB1238_1409
; %bb.1413:                             ;   in Loop: Header=BB1238_1410 Depth=1
	v_lshl_add_u64 v[34:35], v[34:35], 0, -1
	v_cmp_eq_u64_e64 s[12:13], 0, v[34:35]
	v_lshl_add_u64 v[30:31], v[30:31], 0, 2
	v_lshl_add_u64 v[32:33], v[32:33], 0, 2
	s_andn2_b64 s[46:47], s[46:47], exec
	s_orn2_b64 s[12:13], s[12:13], exec
	s_branch .LBB1238_1409
.LBB1238_1414:
	s_or_b64 exec, exec, s[42:43]
	v_cndmask_b32_e64 v31, v13, v36, s[44:45]
	v_cndmask_b32_e64 v30, v12, v37, s[44:45]
.LBB1238_1415:
	s_or_b64 exec, exec, s[20:21]
	v_mov_b64_e32 v[12:13], v[30:31]
.LBB1238_1416:
	s_or_b64 exec, exec, s[18:19]
.LBB1238_1417:
	s_or_b64 exec, exec, s[40:41]
	s_movk_i32 s36, 0x80
	v_cmp_lt_u32_e64 s[12:13], s36, v0
	; wave barrier
	s_waitcnt lgkmcnt(0)
	s_barrier
	s_and_saveexec_b64 s[40:41], s[12:13]
	s_cbranch_execz .LBB1238_1517
; %bb.1418:
	v_lshlrev_b32_e32 v35, 3, v28
	v_add_u32_e32 v81, 8, v35
	v_add_u32_e32 v82, 16, v35
	;; [unrolled: 1-line block ×7, first 2 shown]
	s_mov_b64 s[42:43], 0
	v_mov_b32_e32 v30, 0
	s_branch .LBB1238_1423
.LBB1238_1419:                          ;   in Loop: Header=BB1238_1423 Depth=1
	s_or_b64 exec, exec, s[76:77]
	v_cndmask_b32_e64 v15, v13, v96, s[78:79]
	v_cndmask_b32_e64 v14, v12, v114, s[78:79]
.LBB1238_1420:                          ;   in Loop: Header=BB1238_1423 Depth=1
	s_or_b64 exec, exec, s[74:75]
	v_mov_b64_e32 v[12:13], v[14:15]
.LBB1238_1421:                          ;   in Loop: Header=BB1238_1423 Depth=1
	s_or_b64 exec, exec, s[72:73]
	v_cndmask_b32_e64 v17, v98, v100, s[62:63]
	v_cndmask_b32_e64 v16, v99, v101, s[62:63]
	v_cndmask_b32_e64 v15, v49, v51, s[58:59]
	v_cndmask_b32_e64 v14, v50, v97, s[58:59]
	v_cndmask_b32_e64 v21, v20, v21, s[56:57]
	v_cndmask_b32_e64 v20, v39, v48, s[56:57]
	v_cndmask_b32_e64 v19, v34, v37, s[46:47]
	v_cndmask_b32_e64 v18, v36, v38, s[46:47]
	v_cndmask_b32_e64 v25, v24, v25, s[20:21]
	v_cndmask_b32_e64 v24, v31, v33, s[20:21]
	v_cndmask_b32_e64 v23, v23, v11, s[18:19]
	v_cndmask_b32_e64 v22, v22, v10, s[18:19]
	v_cndmask_b32_e64 v11, v102, v112, s[60:61]
	v_cndmask_b32_e64 v10, v103, v113, s[60:61]
.LBB1238_1422:                          ;   in Loop: Header=BB1238_1423 Depth=1
	s_or_b64 exec, exec, s[44:45]
	v_cmp_ge_u32_e64 s[12:13], s36, v0
	s_or_b64 s[42:43], s[12:13], s[42:43]
	s_barrier
	s_andn2_b64 exec, exec, s[42:43]
	s_cbranch_execz .LBB1238_1516
.LBB1238_1423:                          ; =>This Loop Header: Depth=1
                                        ;     Child Loop BB1238_1427 Depth 2
                                        ;       Child Loop BB1238_1430 Depth 3
                                        ;     Child Loop BB1238_1443 Depth 2
                                        ;     Child Loop BB1238_1452 Depth 2
	;; [unrolled: 1-line block ×8, first 2 shown]
	s_mov_b32 s12, s36
	s_lshl_b32 s36, s36, 1
	s_sub_i32 s18, 0, s36
	v_and_b32_e32 v97, s18, v28
	v_add_u32_e32 v31, s12, v97
	v_min_u32_e32 v32, v31, v0
	s_add_i32 s13, s36, -1
	v_add_u32_e32 v31, s12, v32
	v_min_u32_e32 v96, v31, v0
	v_and_b32_e32 v31, s13, v28
	v_min_u32_e32 v98, v31, v0
	v_sub_u32_e32 v31, v32, v97
	v_sub_u32_e32 v33, v96, v32
	v_sub_u32_e64 v99, v98, v33 clamp
	v_min_u32_e32 v100, v98, v31
	v_cmp_lt_u32_e64 s[12:13], v99, v100
	ds_write_b64 v35, v[22:23]
	ds_write_b64 v81, v[24:25]
	;; [unrolled: 1-line block ×8, first 2 shown]
	s_waitcnt lgkmcnt(0)
	s_barrier
	s_and_saveexec_b64 s[18:19], s[12:13]
	s_cbranch_execz .LBB1238_1435
; %bb.1424:                             ;   in Loop: Header=BB1238_1423 Depth=1
	s_mov_b64 s[12:13], src_shared_base
	v_mov_b32_e32 v31, s13
	v_mov_b32_e32 v33, v30
	v_lshlrev_b32_e32 v34, 3, v97
	v_lshl_add_u64 v[36:37], v[32:33], 3, v[30:31]
	s_mov_b64 s[20:21], 0
	s_branch .LBB1238_1427
.LBB1238_1425:                          ;   in Loop: Header=BB1238_1427 Depth=2
	s_or_b64 exec, exec, s[46:47]
	s_and_b64 s[12:13], s[56:57], exec
.LBB1238_1426:                          ;   in Loop: Header=BB1238_1427 Depth=2
	s_or_b64 exec, exec, s[44:45]
	v_add_u32_e32 v33, 1, v31
	v_cndmask_b32_e64 v100, v100, v31, s[12:13]
	v_cndmask_b32_e64 v99, v33, v99, s[12:13]
	v_cmp_ge_u32_e64 s[12:13], v99, v100
	s_or_b64 s[20:21], s[12:13], s[20:21]
	s_andn2_b64 exec, exec, s[20:21]
	s_cbranch_execz .LBB1238_1434
.LBB1238_1427:                          ;   Parent Loop BB1238_1423 Depth=1
                                        ; =>  This Loop Header: Depth=2
                                        ;       Child Loop BB1238_1430 Depth 3
	v_add_u32_e32 v31, v100, v99
	v_lshrrev_b32_e32 v31, 1, v31
	s_mov_b64 s[12:13], 0
	s_and_saveexec_b64 s[44:45], s[16:17]
	s_cbranch_execz .LBB1238_1426
; %bb.1428:                             ;   in Loop: Header=BB1238_1427 Depth=2
	v_lshl_add_u32 v33, v31, 3, v34
	ds_read_b64 v[38:39], v33
	v_xad_u32 v33, v31, -1, v98
	v_lshl_add_u32 v33, v33, 3, v36
	ds_read_b64 v[48:49], v33
	s_mov_b64 s[46:47], 0
	s_waitcnt lgkmcnt(1)
	v_mul_lo_u32 v33, v2, v39
	v_mul_lo_u32 v37, v3, v38
	v_mad_u64_u32 v[38:39], s[12:13], v2, v38, v[8:9]
	v_add3_u32 v39, v37, v39, v33
	s_waitcnt lgkmcnt(0)
	v_mul_lo_u32 v33, v2, v49
	v_mul_lo_u32 v37, v3, v48
	v_mad_u64_u32 v[48:49], s[12:13], v2, v48, v[8:9]
	v_add3_u32 v49, v37, v49, v33
	v_mov_b64_e32 v[50:51], v[6:7]
                                        ; implicit-def: $sgpr56_sgpr57
                                        ; implicit-def: $sgpr58_sgpr59
                                        ; implicit-def: $sgpr72_sgpr73
	s_branch .LBB1238_1430
.LBB1238_1429:                          ;   in Loop: Header=BB1238_1430 Depth=3
	s_or_b64 exec, exec, s[72:73]
	s_and_b64 s[12:13], exec, s[62:63]
	s_or_b64 s[46:47], s[12:13], s[46:47]
	s_andn2_b64 s[12:13], s[56:57], exec
	s_and_b64 s[56:57], s[58:59], exec
	s_or_b64 s[56:57], s[12:13], s[56:57]
	s_mov_b64 s[72:73], s[60:61]
	s_andn2_b64 exec, exec, s[46:47]
	s_cbranch_execz .LBB1238_1425
.LBB1238_1430:                          ;   Parent Loop BB1238_1423 Depth=1
                                        ;     Parent Loop BB1238_1427 Depth=2
                                        ; =>    This Inner Loop Header: Depth=3
	flat_load_ushort v33, v[48:49]
	flat_load_ushort v37, v[38:39]
	s_mov_b64 s[62:63], -1
	s_mov_b64 s[74:75], 0
	s_mov_b64 s[60:61], -1
	s_waitcnt vmcnt(0) lgkmcnt(0)
	v_cmp_nlt_f16_e64 s[12:13], v33, v37
	s_and_saveexec_b64 s[76:77], s[12:13]
; %bb.1431:                             ;   in Loop: Header=BB1238_1430 Depth=3
	v_cmp_ngt_f16_e64 s[12:13], v33, v37
	s_and_b64 s[60:61], s[12:13], s[72:73]
	s_orn2_b64 s[60:61], s[60:61], exec
	s_and_b64 s[74:75], s[12:13], exec
; %bb.1432:                             ;   in Loop: Header=BB1238_1430 Depth=3
	s_or_b64 exec, exec, s[76:77]
	s_andn2_b64 s[12:13], s[58:59], exec
	s_and_b64 s[58:59], s[60:61], exec
	s_or_b64 s[58:59], s[12:13], s[58:59]
	s_and_saveexec_b64 s[72:73], s[74:75]
	s_cbranch_execz .LBB1238_1429
; %bb.1433:                             ;   in Loop: Header=BB1238_1430 Depth=3
	v_lshl_add_u64 v[50:51], v[50:51], 0, -1
	v_cmp_eq_u64_e64 s[12:13], 0, v[50:51]
	v_lshl_add_u64 v[38:39], v[38:39], 0, 2
	v_lshl_add_u64 v[48:49], v[48:49], 0, 2
	s_andn2_b64 s[58:59], s[58:59], exec
	s_orn2_b64 s[62:63], s[12:13], exec
	s_branch .LBB1238_1429
.LBB1238_1434:                          ;   in Loop: Header=BB1238_1423 Depth=1
	s_or_b64 exec, exec, s[20:21]
.LBB1238_1435:                          ;   in Loop: Header=BB1238_1423 Depth=1
	s_or_b64 exec, exec, s[18:19]
	v_sub_u32_e32 v31, v98, v99
	v_add_u32_e32 v34, v99, v97
	v_add_u32_e32 v36, v31, v32
	v_cmp_le_u32_e64 s[12:13], v34, v32
	v_cmp_le_u32_e64 s[18:19], v36, v96
	s_or_b64 s[12:13], s[12:13], s[18:19]
	s_and_saveexec_b64 s[44:45], s[12:13]
	s_cbranch_execz .LBB1238_1422
; %bb.1436:                             ;   in Loop: Header=BB1238_1423 Depth=1
	v_cmp_ge_u32_e64 s[18:19], v34, v32
	v_cmp_lt_u32_e64 s[12:13], v34, v32
                                        ; implicit-def: $vgpr10_vgpr11
	s_and_saveexec_b64 s[20:21], s[12:13]
; %bb.1437:                             ;   in Loop: Header=BB1238_1423 Depth=1
	v_lshlrev_b32_e32 v10, 3, v34
	ds_read_b64 v[10:11], v10
; %bb.1438:                             ;   in Loop: Header=BB1238_1423 Depth=1
	s_or_b64 exec, exec, s[20:21]
	v_cmp_ge_u32_e64 s[20:21], v36, v96
	v_cmp_lt_u32_e64 s[12:13], v36, v96
                                        ; implicit-def: $vgpr22_vgpr23
	s_and_saveexec_b64 s[46:47], s[12:13]
; %bb.1439:                             ;   in Loop: Header=BB1238_1423 Depth=1
	v_lshlrev_b32_e32 v12, 3, v36
	ds_read_b64 v[22:23], v12
; %bb.1440:                             ;   in Loop: Header=BB1238_1423 Depth=1
	s_or_b64 exec, exec, s[46:47]
	s_or_b64 s[12:13], s[18:19], s[20:21]
	s_xor_b64 s[18:19], s[18:19], -1
	s_nor_b64 s[12:13], s[12:13], s[8:9]
	s_or_b64 s[18:19], s[20:21], s[18:19]
	s_and_saveexec_b64 s[20:21], s[12:13]
	s_cbranch_execz .LBB1238_1448
; %bb.1441:                             ;   in Loop: Header=BB1238_1423 Depth=1
	s_waitcnt lgkmcnt(0)
	v_mad_u64_u32 v[12:13], s[12:13], v2, v10, v[8:9]
	v_mul_lo_u32 v14, v2, v11
	v_mul_lo_u32 v15, v3, v10
	v_add3_u32 v13, v15, v13, v14
	v_mad_u64_u32 v[14:15], s[12:13], v2, v22, v[8:9]
	v_mul_lo_u32 v16, v2, v23
	v_mul_lo_u32 v17, v3, v22
	v_add3_u32 v15, v17, v15, v16
	s_mov_b64 s[46:47], 0
	v_mov_b64_e32 v[16:17], v[6:7]
                                        ; implicit-def: $sgpr56_sgpr57
                                        ; implicit-def: $sgpr58_sgpr59
                                        ; implicit-def: $sgpr72_sgpr73
	s_branch .LBB1238_1443
.LBB1238_1442:                          ;   in Loop: Header=BB1238_1443 Depth=2
	s_or_b64 exec, exec, s[72:73]
	s_and_b64 s[12:13], exec, s[62:63]
	s_or_b64 s[46:47], s[12:13], s[46:47]
	s_andn2_b64 s[12:13], s[56:57], exec
	s_and_b64 s[56:57], s[58:59], exec
	s_or_b64 s[56:57], s[12:13], s[56:57]
	s_mov_b64 s[72:73], s[60:61]
	s_andn2_b64 exec, exec, s[46:47]
	s_cbranch_execz .LBB1238_1447
.LBB1238_1443:                          ;   Parent Loop BB1238_1423 Depth=1
                                        ; =>  This Inner Loop Header: Depth=2
	flat_load_ushort v18, v[14:15]
	flat_load_ushort v19, v[12:13]
	s_mov_b64 s[62:63], -1
	s_mov_b64 s[74:75], 0
	s_mov_b64 s[60:61], -1
	s_waitcnt vmcnt(0) lgkmcnt(0)
	v_cmp_nlt_f16_e64 s[12:13], v18, v19
	s_and_saveexec_b64 s[76:77], s[12:13]
; %bb.1444:                             ;   in Loop: Header=BB1238_1443 Depth=2
	v_cmp_ngt_f16_e64 s[12:13], v18, v19
	s_and_b64 s[60:61], s[12:13], s[72:73]
	s_orn2_b64 s[60:61], s[60:61], exec
	s_and_b64 s[74:75], s[12:13], exec
; %bb.1445:                             ;   in Loop: Header=BB1238_1443 Depth=2
	s_or_b64 exec, exec, s[76:77]
	s_andn2_b64 s[12:13], s[58:59], exec
	s_and_b64 s[58:59], s[60:61], exec
	s_or_b64 s[58:59], s[12:13], s[58:59]
	s_and_saveexec_b64 s[72:73], s[74:75]
	s_cbranch_execz .LBB1238_1442
; %bb.1446:                             ;   in Loop: Header=BB1238_1443 Depth=2
	v_lshl_add_u64 v[16:17], v[16:17], 0, -1
	v_cmp_eq_u64_e64 s[12:13], 0, v[16:17]
	v_lshl_add_u64 v[12:13], v[12:13], 0, 2
	v_lshl_add_u64 v[14:15], v[14:15], 0, 2
	s_andn2_b64 s[58:59], s[58:59], exec
	s_orn2_b64 s[62:63], s[12:13], exec
	s_branch .LBB1238_1442
.LBB1238_1447:                          ;   in Loop: Header=BB1238_1423 Depth=1
	s_or_b64 exec, exec, s[46:47]
	s_xor_b64 s[12:13], s[56:57], -1
	s_andn2_b64 s[18:19], s[18:19], exec
	s_and_b64 s[12:13], s[12:13], exec
	s_or_b64 s[18:19], s[18:19], s[12:13]
.LBB1238_1448:                          ;   in Loop: Header=BB1238_1423 Depth=1
	s_or_b64 exec, exec, s[20:21]
	v_cndmask_b32_e64 v12, v36, v34, s[18:19]
	v_cndmask_b32_e64 v13, v96, v32, s[18:19]
	v_add_u32_e32 v14, 1, v12
	v_add_u32_e32 v12, -1, v13
	v_min_u32_e32 v12, v14, v12
	v_lshlrev_b32_e32 v12, 3, v12
	ds_read_b64 v[12:13], v12
	v_cndmask_b32_e64 v18, v14, v36, s[18:19]
	v_cndmask_b32_e64 v19, v34, v14, s[18:19]
	v_cmp_lt_u32_e64 s[12:13], v18, v96
	s_mov_b64 s[46:47], -1
	s_waitcnt lgkmcnt(0)
	v_cndmask_b32_e64 v24, v13, v23, s[18:19]
	v_cndmask_b32_e64 v31, v12, v22, s[18:19]
	;; [unrolled: 1-line block ×4, first 2 shown]
	s_mov_b64 s[20:21], -1
	s_and_saveexec_b64 s[56:57], s[12:13]
	s_cbranch_execz .LBB1238_1458
; %bb.1449:                             ;   in Loop: Header=BB1238_1423 Depth=1
	v_cmp_lt_u32_e64 s[20:21], v19, v32
	s_and_b64 s[12:13], s[20:21], s[28:29]
	s_and_saveexec_b64 s[58:59], s[12:13]
	s_cbranch_execz .LBB1238_1457
; %bb.1450:                             ;   in Loop: Header=BB1238_1423 Depth=1
	v_mad_u64_u32 v[12:13], s[12:13], v2, v33, v[8:9]
	v_mul_lo_u32 v14, v2, v25
	v_mul_lo_u32 v15, v3, v33
	v_add3_u32 v13, v15, v13, v14
	v_mad_u64_u32 v[14:15], s[12:13], v2, v31, v[8:9]
	v_mul_lo_u32 v16, v2, v24
	v_mul_lo_u32 v17, v3, v31
	v_add3_u32 v15, v17, v15, v16
	s_mov_b64 s[60:61], 0
	v_mov_b64_e32 v[16:17], v[6:7]
                                        ; implicit-def: $sgpr62_sgpr63
                                        ; implicit-def: $sgpr72_sgpr73
                                        ; implicit-def: $sgpr78_sgpr79
	s_branch .LBB1238_1452
.LBB1238_1451:                          ;   in Loop: Header=BB1238_1452 Depth=2
	s_or_b64 exec, exec, s[78:79]
	s_and_b64 s[12:13], exec, s[76:77]
	s_or_b64 s[60:61], s[12:13], s[60:61]
	s_andn2_b64 s[12:13], s[62:63], exec
	s_and_b64 s[62:63], s[72:73], exec
	s_or_b64 s[62:63], s[12:13], s[62:63]
	s_mov_b64 s[78:79], s[74:75]
	s_andn2_b64 exec, exec, s[60:61]
	s_cbranch_execz .LBB1238_1456
.LBB1238_1452:                          ;   Parent Loop BB1238_1423 Depth=1
                                        ; =>  This Inner Loop Header: Depth=2
	flat_load_ushort v20, v[14:15]
	flat_load_ushort v21, v[12:13]
	s_mov_b64 s[76:77], -1
	s_mov_b64 s[88:89], 0
	s_mov_b64 s[74:75], -1
	s_waitcnt vmcnt(0) lgkmcnt(0)
	v_cmp_nlt_f16_e64 s[12:13], v20, v21
	s_and_saveexec_b64 s[90:91], s[12:13]
; %bb.1453:                             ;   in Loop: Header=BB1238_1452 Depth=2
	v_cmp_ngt_f16_e64 s[12:13], v20, v21
	s_and_b64 s[74:75], s[12:13], s[78:79]
	s_orn2_b64 s[74:75], s[74:75], exec
	s_and_b64 s[88:89], s[12:13], exec
; %bb.1454:                             ;   in Loop: Header=BB1238_1452 Depth=2
	s_or_b64 exec, exec, s[90:91]
	s_andn2_b64 s[12:13], s[72:73], exec
	s_and_b64 s[72:73], s[74:75], exec
	s_or_b64 s[72:73], s[12:13], s[72:73]
	s_and_saveexec_b64 s[78:79], s[88:89]
	s_cbranch_execz .LBB1238_1451
; %bb.1455:                             ;   in Loop: Header=BB1238_1452 Depth=2
	v_lshl_add_u64 v[16:17], v[16:17], 0, -1
	v_cmp_eq_u64_e64 s[12:13], 0, v[16:17]
	v_lshl_add_u64 v[12:13], v[12:13], 0, 2
	v_lshl_add_u64 v[14:15], v[14:15], 0, 2
	s_andn2_b64 s[72:73], s[72:73], exec
	s_orn2_b64 s[76:77], s[12:13], exec
	s_branch .LBB1238_1451
.LBB1238_1456:                          ;   in Loop: Header=BB1238_1423 Depth=1
	s_or_b64 exec, exec, s[60:61]
	s_xor_b64 s[12:13], s[62:63], -1
	s_andn2_b64 s[20:21], s[20:21], exec
	s_and_b64 s[12:13], s[12:13], exec
	s_or_b64 s[20:21], s[20:21], s[12:13]
.LBB1238_1457:                          ;   in Loop: Header=BB1238_1423 Depth=1
	s_or_b64 exec, exec, s[58:59]
	s_orn2_b64 s[20:21], s[20:21], exec
.LBB1238_1458:                          ;   in Loop: Header=BB1238_1423 Depth=1
	s_or_b64 exec, exec, s[56:57]
	v_cndmask_b32_e64 v12, v18, v19, s[20:21]
	v_cndmask_b32_e64 v13, v96, v32, s[20:21]
	v_add_u32_e32 v14, 1, v12
	v_add_u32_e32 v12, -1, v13
	v_min_u32_e32 v12, v14, v12
	v_lshlrev_b32_e32 v12, 3, v12
	ds_read_b64 v[12:13], v12
	v_cndmask_b32_e64 v18, v14, v18, s[20:21]
	v_cndmask_b32_e64 v19, v19, v14, s[20:21]
	v_cmp_lt_u32_e64 s[12:13], v18, v96
	s_waitcnt lgkmcnt(0)
	v_cndmask_b32_e64 v34, v13, v24, s[20:21]
	v_cndmask_b32_e64 v36, v12, v31, s[20:21]
	;; [unrolled: 1-line block ×4, first 2 shown]
	s_and_saveexec_b64 s[56:57], s[12:13]
	s_cbranch_execz .LBB1238_1468
; %bb.1459:                             ;   in Loop: Header=BB1238_1423 Depth=1
	v_cmp_lt_u32_e64 s[46:47], v19, v32
	s_and_b64 s[12:13], s[46:47], s[28:29]
	s_and_saveexec_b64 s[58:59], s[12:13]
	s_cbranch_execz .LBB1238_1467
; %bb.1460:                             ;   in Loop: Header=BB1238_1423 Depth=1
	v_mad_u64_u32 v[12:13], s[12:13], v2, v38, v[8:9]
	v_mul_lo_u32 v14, v2, v37
	v_mul_lo_u32 v15, v3, v38
	v_add3_u32 v13, v15, v13, v14
	v_mad_u64_u32 v[14:15], s[12:13], v2, v36, v[8:9]
	v_mul_lo_u32 v16, v2, v34
	v_mul_lo_u32 v17, v3, v36
	v_add3_u32 v15, v17, v15, v16
	s_mov_b64 s[60:61], 0
	v_mov_b64_e32 v[16:17], v[6:7]
                                        ; implicit-def: $sgpr62_sgpr63
                                        ; implicit-def: $sgpr72_sgpr73
                                        ; implicit-def: $sgpr78_sgpr79
	s_branch .LBB1238_1462
.LBB1238_1461:                          ;   in Loop: Header=BB1238_1462 Depth=2
	s_or_b64 exec, exec, s[78:79]
	s_and_b64 s[12:13], exec, s[76:77]
	s_or_b64 s[60:61], s[12:13], s[60:61]
	s_andn2_b64 s[12:13], s[62:63], exec
	s_and_b64 s[62:63], s[72:73], exec
	s_or_b64 s[62:63], s[12:13], s[62:63]
	s_mov_b64 s[78:79], s[74:75]
	s_andn2_b64 exec, exec, s[60:61]
	s_cbranch_execz .LBB1238_1466
.LBB1238_1462:                          ;   Parent Loop BB1238_1423 Depth=1
                                        ; =>  This Inner Loop Header: Depth=2
	flat_load_ushort v20, v[14:15]
	flat_load_ushort v21, v[12:13]
	s_mov_b64 s[76:77], -1
	s_mov_b64 s[88:89], 0
	s_mov_b64 s[74:75], -1
	s_waitcnt vmcnt(0) lgkmcnt(0)
	v_cmp_nlt_f16_e64 s[12:13], v20, v21
	s_and_saveexec_b64 s[90:91], s[12:13]
; %bb.1463:                             ;   in Loop: Header=BB1238_1462 Depth=2
	v_cmp_ngt_f16_e64 s[12:13], v20, v21
	s_and_b64 s[74:75], s[12:13], s[78:79]
	s_orn2_b64 s[74:75], s[74:75], exec
	s_and_b64 s[88:89], s[12:13], exec
; %bb.1464:                             ;   in Loop: Header=BB1238_1462 Depth=2
	s_or_b64 exec, exec, s[90:91]
	s_andn2_b64 s[12:13], s[72:73], exec
	s_and_b64 s[72:73], s[74:75], exec
	s_or_b64 s[72:73], s[12:13], s[72:73]
	s_and_saveexec_b64 s[78:79], s[88:89]
	s_cbranch_execz .LBB1238_1461
; %bb.1465:                             ;   in Loop: Header=BB1238_1462 Depth=2
	v_lshl_add_u64 v[16:17], v[16:17], 0, -1
	v_cmp_eq_u64_e64 s[12:13], 0, v[16:17]
	v_lshl_add_u64 v[12:13], v[12:13], 0, 2
	v_lshl_add_u64 v[14:15], v[14:15], 0, 2
	s_andn2_b64 s[72:73], s[72:73], exec
	s_orn2_b64 s[76:77], s[12:13], exec
	s_branch .LBB1238_1461
.LBB1238_1466:                          ;   in Loop: Header=BB1238_1423 Depth=1
	s_or_b64 exec, exec, s[60:61]
	s_xor_b64 s[12:13], s[62:63], -1
	s_andn2_b64 s[46:47], s[46:47], exec
	s_and_b64 s[12:13], s[12:13], exec
	s_or_b64 s[46:47], s[46:47], s[12:13]
.LBB1238_1467:                          ;   in Loop: Header=BB1238_1423 Depth=1
	s_or_b64 exec, exec, s[58:59]
	s_orn2_b64 s[46:47], s[46:47], exec
.LBB1238_1468:                          ;   in Loop: Header=BB1238_1423 Depth=1
	s_or_b64 exec, exec, s[56:57]
	v_cndmask_b32_e64 v12, v18, v19, s[46:47]
	v_cndmask_b32_e64 v13, v96, v32, s[46:47]
	v_add_u32_e32 v14, 1, v12
	v_add_u32_e32 v12, -1, v13
	v_min_u32_e32 v12, v14, v12
	v_lshlrev_b32_e32 v12, 3, v12
	ds_read_b64 v[12:13], v12
	v_cndmask_b32_e64 v18, v14, v18, s[46:47]
	v_cndmask_b32_e64 v19, v19, v14, s[46:47]
	v_cmp_lt_u32_e64 s[12:13], v18, v96
	s_mov_b64 s[58:59], -1
	s_waitcnt lgkmcnt(0)
	v_cndmask_b32_e64 v20, v13, v34, s[46:47]
	v_cndmask_b32_e64 v39, v12, v36, s[46:47]
	;; [unrolled: 1-line block ×4, first 2 shown]
	s_mov_b64 s[56:57], -1
	s_and_saveexec_b64 s[60:61], s[12:13]
	s_cbranch_execz .LBB1238_1478
; %bb.1469:                             ;   in Loop: Header=BB1238_1423 Depth=1
	v_cmp_lt_u32_e64 s[56:57], v19, v32
	s_and_b64 s[12:13], s[56:57], s[28:29]
	s_and_saveexec_b64 s[62:63], s[12:13]
	s_cbranch_execz .LBB1238_1477
; %bb.1470:                             ;   in Loop: Header=BB1238_1423 Depth=1
	v_mad_u64_u32 v[12:13], s[12:13], v2, v48, v[8:9]
	v_mul_lo_u32 v14, v2, v21
	v_mul_lo_u32 v15, v3, v48
	v_add3_u32 v13, v15, v13, v14
	v_mad_u64_u32 v[14:15], s[12:13], v2, v39, v[8:9]
	v_mul_lo_u32 v16, v2, v20
	v_mul_lo_u32 v17, v3, v39
	v_add3_u32 v15, v17, v15, v16
	s_mov_b64 s[72:73], 0
	v_mov_b64_e32 v[16:17], v[6:7]
                                        ; implicit-def: $sgpr74_sgpr75
                                        ; implicit-def: $sgpr76_sgpr77
                                        ; implicit-def: $sgpr90_sgpr91
	s_branch .LBB1238_1472
.LBB1238_1471:                          ;   in Loop: Header=BB1238_1472 Depth=2
	s_or_b64 exec, exec, s[90:91]
	s_and_b64 s[12:13], exec, s[88:89]
	s_or_b64 s[72:73], s[12:13], s[72:73]
	s_andn2_b64 s[12:13], s[74:75], exec
	s_and_b64 s[74:75], s[76:77], exec
	s_or_b64 s[74:75], s[12:13], s[74:75]
	s_mov_b64 s[90:91], s[78:79]
	s_andn2_b64 exec, exec, s[72:73]
	s_cbranch_execz .LBB1238_1476
.LBB1238_1472:                          ;   Parent Loop BB1238_1423 Depth=1
                                        ; =>  This Inner Loop Header: Depth=2
	flat_load_ushort v49, v[14:15]
	flat_load_ushort v50, v[12:13]
	s_mov_b64 s[88:89], -1
	s_mov_b64 s[92:93], 0
	s_mov_b64 s[78:79], -1
	s_waitcnt vmcnt(0) lgkmcnt(0)
	v_cmp_nlt_f16_e64 s[12:13], v49, v50
	s_and_saveexec_b64 s[94:95], s[12:13]
; %bb.1473:                             ;   in Loop: Header=BB1238_1472 Depth=2
	v_cmp_ngt_f16_e64 s[12:13], v49, v50
	s_and_b64 s[78:79], s[12:13], s[90:91]
	s_orn2_b64 s[78:79], s[78:79], exec
	s_and_b64 s[92:93], s[12:13], exec
; %bb.1474:                             ;   in Loop: Header=BB1238_1472 Depth=2
	s_or_b64 exec, exec, s[94:95]
	s_andn2_b64 s[12:13], s[76:77], exec
	s_and_b64 s[76:77], s[78:79], exec
	s_or_b64 s[76:77], s[12:13], s[76:77]
	s_and_saveexec_b64 s[90:91], s[92:93]
	s_cbranch_execz .LBB1238_1471
; %bb.1475:                             ;   in Loop: Header=BB1238_1472 Depth=2
	v_lshl_add_u64 v[16:17], v[16:17], 0, -1
	v_cmp_eq_u64_e64 s[12:13], 0, v[16:17]
	v_lshl_add_u64 v[12:13], v[12:13], 0, 2
	v_lshl_add_u64 v[14:15], v[14:15], 0, 2
	s_andn2_b64 s[76:77], s[76:77], exec
	s_orn2_b64 s[88:89], s[12:13], exec
	s_branch .LBB1238_1471
.LBB1238_1476:                          ;   in Loop: Header=BB1238_1423 Depth=1
	s_or_b64 exec, exec, s[72:73]
	s_xor_b64 s[12:13], s[74:75], -1
	s_andn2_b64 s[56:57], s[56:57], exec
	s_and_b64 s[12:13], s[12:13], exec
	s_or_b64 s[56:57], s[56:57], s[12:13]
.LBB1238_1477:                          ;   in Loop: Header=BB1238_1423 Depth=1
	s_or_b64 exec, exec, s[62:63]
	s_orn2_b64 s[56:57], s[56:57], exec
.LBB1238_1478:                          ;   in Loop: Header=BB1238_1423 Depth=1
	s_or_b64 exec, exec, s[60:61]
	v_cndmask_b32_e64 v12, v18, v19, s[56:57]
	v_cndmask_b32_e64 v13, v96, v32, s[56:57]
	v_add_u32_e32 v14, 1, v12
	v_add_u32_e32 v12, -1, v13
	v_min_u32_e32 v12, v14, v12
	v_lshlrev_b32_e32 v12, 3, v12
	ds_read_b64 v[12:13], v12
	v_cndmask_b32_e64 v18, v14, v18, s[56:57]
	v_cndmask_b32_e64 v19, v19, v14, s[56:57]
	v_cmp_lt_u32_e64 s[12:13], v18, v96
	s_waitcnt lgkmcnt(0)
	v_cndmask_b32_e64 v49, v13, v20, s[56:57]
	v_cndmask_b32_e64 v50, v12, v39, s[56:57]
	;; [unrolled: 1-line block ×4, first 2 shown]
	s_and_saveexec_b64 s[60:61], s[12:13]
	s_cbranch_execz .LBB1238_1488
; %bb.1479:                             ;   in Loop: Header=BB1238_1423 Depth=1
	v_cmp_lt_u32_e64 s[58:59], v19, v32
	s_and_b64 s[12:13], s[58:59], s[28:29]
	s_and_saveexec_b64 s[62:63], s[12:13]
	s_cbranch_execz .LBB1238_1487
; %bb.1480:                             ;   in Loop: Header=BB1238_1423 Depth=1
	v_mad_u64_u32 v[12:13], s[12:13], v2, v97, v[8:9]
	v_mul_lo_u32 v14, v2, v51
	v_mul_lo_u32 v15, v3, v97
	v_add3_u32 v13, v15, v13, v14
	v_mad_u64_u32 v[14:15], s[12:13], v2, v50, v[8:9]
	v_mul_lo_u32 v16, v2, v49
	v_mul_lo_u32 v17, v3, v50
	v_add3_u32 v15, v17, v15, v16
	s_mov_b64 s[72:73], 0
	v_mov_b64_e32 v[16:17], v[6:7]
                                        ; implicit-def: $sgpr74_sgpr75
                                        ; implicit-def: $sgpr76_sgpr77
                                        ; implicit-def: $sgpr90_sgpr91
	s_branch .LBB1238_1482
.LBB1238_1481:                          ;   in Loop: Header=BB1238_1482 Depth=2
	s_or_b64 exec, exec, s[90:91]
	s_and_b64 s[12:13], exec, s[88:89]
	s_or_b64 s[72:73], s[12:13], s[72:73]
	s_andn2_b64 s[12:13], s[74:75], exec
	s_and_b64 s[74:75], s[76:77], exec
	s_or_b64 s[74:75], s[12:13], s[74:75]
	s_mov_b64 s[90:91], s[78:79]
	s_andn2_b64 exec, exec, s[72:73]
	s_cbranch_execz .LBB1238_1486
.LBB1238_1482:                          ;   Parent Loop BB1238_1423 Depth=1
                                        ; =>  This Inner Loop Header: Depth=2
	flat_load_ushort v98, v[14:15]
	flat_load_ushort v99, v[12:13]
	s_mov_b64 s[88:89], -1
	s_mov_b64 s[92:93], 0
	s_mov_b64 s[78:79], -1
	s_waitcnt vmcnt(0) lgkmcnt(0)
	v_cmp_nlt_f16_e64 s[12:13], v98, v99
	s_and_saveexec_b64 s[94:95], s[12:13]
; %bb.1483:                             ;   in Loop: Header=BB1238_1482 Depth=2
	v_cmp_ngt_f16_e64 s[12:13], v98, v99
	s_and_b64 s[78:79], s[12:13], s[90:91]
	s_orn2_b64 s[78:79], s[78:79], exec
	s_and_b64 s[92:93], s[12:13], exec
; %bb.1484:                             ;   in Loop: Header=BB1238_1482 Depth=2
	s_or_b64 exec, exec, s[94:95]
	s_andn2_b64 s[12:13], s[76:77], exec
	s_and_b64 s[76:77], s[78:79], exec
	s_or_b64 s[76:77], s[12:13], s[76:77]
	s_and_saveexec_b64 s[90:91], s[92:93]
	s_cbranch_execz .LBB1238_1481
; %bb.1485:                             ;   in Loop: Header=BB1238_1482 Depth=2
	v_lshl_add_u64 v[16:17], v[16:17], 0, -1
	v_cmp_eq_u64_e64 s[12:13], 0, v[16:17]
	v_lshl_add_u64 v[12:13], v[12:13], 0, 2
	v_lshl_add_u64 v[14:15], v[14:15], 0, 2
	s_andn2_b64 s[76:77], s[76:77], exec
	s_orn2_b64 s[88:89], s[12:13], exec
	s_branch .LBB1238_1481
.LBB1238_1486:                          ;   in Loop: Header=BB1238_1423 Depth=1
	s_or_b64 exec, exec, s[72:73]
	s_xor_b64 s[12:13], s[74:75], -1
	s_andn2_b64 s[58:59], s[58:59], exec
	s_and_b64 s[12:13], s[12:13], exec
	s_or_b64 s[58:59], s[58:59], s[12:13]
.LBB1238_1487:                          ;   in Loop: Header=BB1238_1423 Depth=1
	s_or_b64 exec, exec, s[62:63]
	s_orn2_b64 s[58:59], s[58:59], exec
.LBB1238_1488:                          ;   in Loop: Header=BB1238_1423 Depth=1
	s_or_b64 exec, exec, s[60:61]
	v_cndmask_b32_e64 v12, v18, v19, s[58:59]
	v_cndmask_b32_e64 v13, v96, v32, s[58:59]
	v_add_u32_e32 v14, 1, v12
	v_add_u32_e32 v12, -1, v13
	v_min_u32_e32 v12, v14, v12
	v_lshlrev_b32_e32 v12, 3, v12
	ds_read_b64 v[12:13], v12
	v_cndmask_b32_e64 v18, v14, v18, s[58:59]
	v_cndmask_b32_e64 v19, v19, v14, s[58:59]
	v_cmp_lt_u32_e64 s[12:13], v18, v96
	s_mov_b64 s[60:61], -1
	s_waitcnt lgkmcnt(0)
	v_cndmask_b32_e64 v98, v13, v49, s[58:59]
	v_cndmask_b32_e64 v99, v12, v50, s[58:59]
	v_cndmask_b32_e64 v100, v51, v13, s[58:59]
	v_cndmask_b32_e64 v101, v97, v12, s[58:59]
	s_mov_b64 s[62:63], -1
	s_and_saveexec_b64 s[72:73], s[12:13]
	s_cbranch_execz .LBB1238_1498
; %bb.1489:                             ;   in Loop: Header=BB1238_1423 Depth=1
	v_cmp_lt_u32_e64 s[62:63], v19, v32
	s_and_b64 s[12:13], s[62:63], s[28:29]
	s_and_saveexec_b64 s[74:75], s[12:13]
	s_cbranch_execz .LBB1238_1497
; %bb.1490:                             ;   in Loop: Header=BB1238_1423 Depth=1
	v_mad_u64_u32 v[12:13], s[12:13], v2, v101, v[8:9]
	v_mul_lo_u32 v14, v2, v100
	v_mul_lo_u32 v15, v3, v101
	v_add3_u32 v13, v15, v13, v14
	v_mad_u64_u32 v[14:15], s[12:13], v2, v99, v[8:9]
	v_mul_lo_u32 v16, v2, v98
	v_mul_lo_u32 v17, v3, v99
	v_add3_u32 v15, v17, v15, v16
	s_mov_b64 s[76:77], 0
	v_mov_b64_e32 v[16:17], v[6:7]
                                        ; implicit-def: $sgpr78_sgpr79
                                        ; implicit-def: $sgpr88_sgpr89
                                        ; implicit-def: $sgpr94_sgpr95
	s_branch .LBB1238_1492
.LBB1238_1491:                          ;   in Loop: Header=BB1238_1492 Depth=2
	s_or_b64 exec, exec, s[94:95]
	s_and_b64 s[12:13], exec, s[92:93]
	s_or_b64 s[76:77], s[12:13], s[76:77]
	s_andn2_b64 s[12:13], s[78:79], exec
	s_and_b64 s[78:79], s[88:89], exec
	s_or_b64 s[78:79], s[12:13], s[78:79]
	s_mov_b64 s[94:95], s[90:91]
	s_andn2_b64 exec, exec, s[76:77]
	s_cbranch_execz .LBB1238_1496
.LBB1238_1492:                          ;   Parent Loop BB1238_1423 Depth=1
                                        ; =>  This Inner Loop Header: Depth=2
	flat_load_ushort v102, v[14:15]
	flat_load_ushort v103, v[12:13]
	s_mov_b64 s[92:93], -1
	s_mov_b64 s[30:31], 0
	s_mov_b64 s[90:91], -1
	s_waitcnt vmcnt(0) lgkmcnt(0)
	v_cmp_nlt_f16_e64 s[12:13], v102, v103
	s_and_saveexec_b64 s[34:35], s[12:13]
; %bb.1493:                             ;   in Loop: Header=BB1238_1492 Depth=2
	v_cmp_ngt_f16_e64 s[12:13], v102, v103
	s_and_b64 s[90:91], s[12:13], s[94:95]
	s_orn2_b64 s[90:91], s[90:91], exec
	s_and_b64 s[30:31], s[12:13], exec
; %bb.1494:                             ;   in Loop: Header=BB1238_1492 Depth=2
	s_or_b64 exec, exec, s[34:35]
	s_andn2_b64 s[12:13], s[88:89], exec
	s_and_b64 s[88:89], s[90:91], exec
	s_or_b64 s[88:89], s[12:13], s[88:89]
	s_and_saveexec_b64 s[94:95], s[30:31]
	s_cbranch_execz .LBB1238_1491
; %bb.1495:                             ;   in Loop: Header=BB1238_1492 Depth=2
	v_lshl_add_u64 v[16:17], v[16:17], 0, -1
	v_cmp_eq_u64_e64 s[12:13], 0, v[16:17]
	v_lshl_add_u64 v[12:13], v[12:13], 0, 2
	v_lshl_add_u64 v[14:15], v[14:15], 0, 2
	s_andn2_b64 s[88:89], s[88:89], exec
	s_orn2_b64 s[92:93], s[12:13], exec
	s_branch .LBB1238_1491
.LBB1238_1496:                          ;   in Loop: Header=BB1238_1423 Depth=1
	s_or_b64 exec, exec, s[76:77]
	s_xor_b64 s[12:13], s[78:79], -1
	s_andn2_b64 s[62:63], s[62:63], exec
	s_and_b64 s[12:13], s[12:13], exec
	s_or_b64 s[62:63], s[62:63], s[12:13]
.LBB1238_1497:                          ;   in Loop: Header=BB1238_1423 Depth=1
	s_or_b64 exec, exec, s[74:75]
	s_orn2_b64 s[62:63], s[62:63], exec
.LBB1238_1498:                          ;   in Loop: Header=BB1238_1423 Depth=1
	s_or_b64 exec, exec, s[72:73]
	v_cndmask_b32_e64 v12, v18, v19, s[62:63]
	v_cndmask_b32_e64 v13, v96, v32, s[62:63]
	v_add_u32_e32 v14, 1, v12
	v_add_u32_e32 v12, -1, v13
	v_min_u32_e32 v12, v14, v12
	v_lshlrev_b32_e32 v12, 3, v12
	ds_read_b64 v[12:13], v12
	v_cndmask_b32_e64 v114, v14, v18, s[62:63]
	v_cndmask_b32_e64 v18, v19, v14, s[62:63]
	v_cmp_lt_u32_e64 s[12:13], v114, v96
	s_waitcnt lgkmcnt(0)
	v_cndmask_b32_e64 v102, v13, v98, s[62:63]
	v_cndmask_b32_e64 v103, v12, v99, s[62:63]
	v_cndmask_b32_e64 v112, v100, v13, s[62:63]
	v_cndmask_b32_e64 v113, v101, v12, s[62:63]
	s_and_saveexec_b64 s[72:73], s[12:13]
	s_cbranch_execz .LBB1238_1508
; %bb.1499:                             ;   in Loop: Header=BB1238_1423 Depth=1
	v_cmp_lt_u32_e64 s[60:61], v18, v32
	s_and_b64 s[12:13], s[60:61], s[28:29]
	s_and_saveexec_b64 s[74:75], s[12:13]
	s_cbranch_execz .LBB1238_1507
; %bb.1500:                             ;   in Loop: Header=BB1238_1423 Depth=1
	v_mad_u64_u32 v[12:13], s[12:13], v2, v113, v[8:9]
	v_mul_lo_u32 v14, v2, v112
	v_mul_lo_u32 v15, v3, v113
	v_add3_u32 v13, v15, v13, v14
	v_mad_u64_u32 v[14:15], s[12:13], v2, v103, v[8:9]
	v_mul_lo_u32 v16, v2, v102
	v_mul_lo_u32 v17, v3, v103
	v_add3_u32 v15, v17, v15, v16
	s_mov_b64 s[76:77], 0
	v_mov_b64_e32 v[16:17], v[6:7]
                                        ; implicit-def: $sgpr78_sgpr79
                                        ; implicit-def: $sgpr88_sgpr89
                                        ; implicit-def: $sgpr94_sgpr95
	s_branch .LBB1238_1502
.LBB1238_1501:                          ;   in Loop: Header=BB1238_1502 Depth=2
	s_or_b64 exec, exec, s[94:95]
	s_and_b64 s[12:13], exec, s[92:93]
	s_or_b64 s[76:77], s[12:13], s[76:77]
	s_andn2_b64 s[12:13], s[78:79], exec
	s_and_b64 s[78:79], s[88:89], exec
	s_or_b64 s[78:79], s[12:13], s[78:79]
	s_mov_b64 s[94:95], s[90:91]
	s_andn2_b64 exec, exec, s[76:77]
	s_cbranch_execz .LBB1238_1506
.LBB1238_1502:                          ;   Parent Loop BB1238_1423 Depth=1
                                        ; =>  This Inner Loop Header: Depth=2
	flat_load_ushort v19, v[14:15]
	flat_load_ushort v115, v[12:13]
	s_mov_b64 s[92:93], -1
	s_mov_b64 s[30:31], 0
	s_mov_b64 s[90:91], -1
	s_waitcnt vmcnt(0) lgkmcnt(0)
	v_cmp_nlt_f16_e64 s[12:13], v19, v115
	s_and_saveexec_b64 s[34:35], s[12:13]
; %bb.1503:                             ;   in Loop: Header=BB1238_1502 Depth=2
	v_cmp_ngt_f16_e64 s[12:13], v19, v115
	s_and_b64 s[90:91], s[12:13], s[94:95]
	s_orn2_b64 s[90:91], s[90:91], exec
	s_and_b64 s[30:31], s[12:13], exec
; %bb.1504:                             ;   in Loop: Header=BB1238_1502 Depth=2
	s_or_b64 exec, exec, s[34:35]
	s_andn2_b64 s[12:13], s[88:89], exec
	s_and_b64 s[88:89], s[90:91], exec
	s_or_b64 s[88:89], s[12:13], s[88:89]
	s_and_saveexec_b64 s[94:95], s[30:31]
	s_cbranch_execz .LBB1238_1501
; %bb.1505:                             ;   in Loop: Header=BB1238_1502 Depth=2
	v_lshl_add_u64 v[16:17], v[16:17], 0, -1
	v_cmp_eq_u64_e64 s[12:13], 0, v[16:17]
	v_lshl_add_u64 v[12:13], v[12:13], 0, 2
	v_lshl_add_u64 v[14:15], v[14:15], 0, 2
	s_andn2_b64 s[88:89], s[88:89], exec
	s_orn2_b64 s[92:93], s[12:13], exec
	s_branch .LBB1238_1501
.LBB1238_1506:                          ;   in Loop: Header=BB1238_1423 Depth=1
	s_or_b64 exec, exec, s[76:77]
	s_xor_b64 s[12:13], s[78:79], -1
	s_andn2_b64 s[60:61], s[60:61], exec
	s_and_b64 s[12:13], s[12:13], exec
	s_or_b64 s[60:61], s[60:61], s[12:13]
.LBB1238_1507:                          ;   in Loop: Header=BB1238_1423 Depth=1
	s_or_b64 exec, exec, s[74:75]
	s_orn2_b64 s[60:61], s[60:61], exec
.LBB1238_1508:                          ;   in Loop: Header=BB1238_1423 Depth=1
	s_or_b64 exec, exec, s[72:73]
	v_cndmask_b32_e64 v12, v114, v18, s[60:61]
	v_cndmask_b32_e64 v13, v96, v32, s[60:61]
	v_add_u32_e32 v16, 1, v12
	v_add_u32_e32 v12, -1, v13
	v_min_u32_e32 v12, v16, v12
	v_lshlrev_b32_e32 v12, 3, v12
	ds_read_b64 v[14:15], v12
	v_cndmask_b32_e64 v17, v16, v114, s[60:61]
	v_cmp_lt_u32_e64 s[12:13], v17, v96
	s_waitcnt lgkmcnt(0)
	v_cndmask_b32_e64 v13, v112, v15, s[60:61]
	v_cndmask_b32_e64 v12, v113, v14, s[60:61]
	s_and_saveexec_b64 s[72:73], s[12:13]
	s_cbranch_execz .LBB1238_1421
; %bb.1509:                             ;   in Loop: Header=BB1238_1423 Depth=1
	v_cndmask_b32_e64 v114, v14, v103, s[60:61]
	v_cndmask_b32_e64 v14, v18, v16, s[60:61]
	;; [unrolled: 1-line block ×3, first 2 shown]
	v_cmp_ge_u32_e64 s[12:13], v14, v32
	s_nor_b64 s[76:77], s[12:13], s[8:9]
	s_nop 0
	v_cndmask_b32_e64 v15, v13, v96, s[12:13]
	v_cndmask_b32_e64 v14, v12, v114, s[12:13]
	s_and_saveexec_b64 s[74:75], s[76:77]
	s_cbranch_execz .LBB1238_1420
; %bb.1510:                             ;   in Loop: Header=BB1238_1423 Depth=1
	v_mad_u64_u32 v[14:15], s[12:13], v2, v12, v[8:9]
	v_mul_lo_u32 v16, v2, v13
	v_mul_lo_u32 v17, v3, v12
	v_add3_u32 v15, v17, v15, v16
	v_mad_u64_u32 v[16:17], s[12:13], v2, v114, v[8:9]
	v_mul_lo_u32 v18, v2, v96
	v_mul_lo_u32 v19, v3, v114
	v_add3_u32 v17, v19, v17, v18
	s_mov_b64 s[76:77], 0
	v_mov_b64_e32 v[18:19], v[6:7]
                                        ; implicit-def: $sgpr78_sgpr79
                                        ; implicit-def: $sgpr88_sgpr89
                                        ; implicit-def: $sgpr94_sgpr95
	s_branch .LBB1238_1512
.LBB1238_1511:                          ;   in Loop: Header=BB1238_1512 Depth=2
	s_or_b64 exec, exec, s[94:95]
	s_and_b64 s[12:13], exec, s[92:93]
	s_or_b64 s[76:77], s[12:13], s[76:77]
	s_andn2_b64 s[12:13], s[78:79], exec
	s_and_b64 s[78:79], s[88:89], exec
	s_or_b64 s[78:79], s[12:13], s[78:79]
	s_mov_b64 s[94:95], s[90:91]
	s_andn2_b64 exec, exec, s[76:77]
	s_cbranch_execz .LBB1238_1419
.LBB1238_1512:                          ;   Parent Loop BB1238_1423 Depth=1
                                        ; =>  This Inner Loop Header: Depth=2
	flat_load_ushort v32, v[16:17]
	flat_load_ushort v115, v[14:15]
	s_mov_b64 s[92:93], -1
	s_mov_b64 s[30:31], 0
	s_mov_b64 s[90:91], -1
	s_waitcnt vmcnt(0) lgkmcnt(0)
	v_cmp_nlt_f16_e64 s[12:13], v32, v115
	s_and_saveexec_b64 s[34:35], s[12:13]
; %bb.1513:                             ;   in Loop: Header=BB1238_1512 Depth=2
	v_cmp_ngt_f16_e64 s[12:13], v32, v115
	s_and_b64 s[90:91], s[12:13], s[94:95]
	s_orn2_b64 s[90:91], s[90:91], exec
	s_and_b64 s[30:31], s[12:13], exec
; %bb.1514:                             ;   in Loop: Header=BB1238_1512 Depth=2
	s_or_b64 exec, exec, s[34:35]
	s_andn2_b64 s[12:13], s[88:89], exec
	s_and_b64 s[88:89], s[90:91], exec
	s_or_b64 s[88:89], s[12:13], s[88:89]
	s_and_saveexec_b64 s[94:95], s[30:31]
	s_cbranch_execz .LBB1238_1511
; %bb.1515:                             ;   in Loop: Header=BB1238_1512 Depth=2
	v_lshl_add_u64 v[18:19], v[18:19], 0, -1
	v_cmp_eq_u64_e64 s[12:13], 0, v[18:19]
	v_lshl_add_u64 v[14:15], v[14:15], 0, 2
	v_lshl_add_u64 v[16:17], v[16:17], 0, 2
	s_andn2_b64 s[88:89], s[88:89], exec
	s_orn2_b64 s[92:93], s[12:13], exec
	s_branch .LBB1238_1511
.LBB1238_1516:
	s_or_b64 exec, exec, s[42:43]
.LBB1238_1517:
	s_or_b64 exec, exec, s[40:41]
	s_barrier
	ds_write_b64 v64, v[22:23]
	ds_write_b64 v66, v[24:25]
	;; [unrolled: 1-line block ×8, first 2 shown]
	s_waitcnt lgkmcnt(0)
	s_barrier
	ds_read_b64 v[14:15], v65
	ds_read_b64 v[12:13], v1
	;; [unrolled: 1-line block ×7, first 2 shown]
	v_mov_b32_e32 v29, 0
	v_lshl_add_u64 v[2:3], v[4:5], 0, v[28:29]
	s_and_saveexec_b64 s[8:9], vcc
	s_cbranch_execnz .LBB1238_1526
; %bb.1518:
	s_or_b64 exec, exec, s[8:9]
	s_and_saveexec_b64 s[8:9], s[0:1]
	s_cbranch_execnz .LBB1238_1527
.LBB1238_1519:
	s_or_b64 exec, exec, s[8:9]
	s_and_saveexec_b64 s[0:1], s[2:3]
	s_cbranch_execnz .LBB1238_1528
.LBB1238_1520:
	s_or_b64 exec, exec, s[0:1]
	s_and_saveexec_b64 s[0:1], s[4:5]
	s_cbranch_execnz .LBB1238_1529
.LBB1238_1521:
	s_or_b64 exec, exec, s[0:1]
	s_and_saveexec_b64 s[0:1], s[6:7]
	s_cbranch_execnz .LBB1238_1530
.LBB1238_1522:
	s_or_b64 exec, exec, s[0:1]
	s_and_saveexec_b64 s[0:1], s[10:11]
	s_cbranch_execnz .LBB1238_1531
.LBB1238_1523:
	s_or_b64 exec, exec, s[0:1]
	s_and_saveexec_b64 s[0:1], s[22:23]
	s_cbranch_execz .LBB1238_1525
.LBB1238_1524:
	v_add_co_u32_e32 v2, vcc, 0x3000, v2
	s_nop 1
	v_addc_co_u32_e32 v3, vcc, 0, v3, vcc
	s_waitcnt lgkmcnt(0)
	flat_store_dwordx2 v[2:3], v[0:1]
.LBB1238_1525:
	s_or_b64 exec, exec, s[0:1]
	s_andn2_b64 s[0:1], s[24:25], exec
	s_and_b64 s[2:3], s[14:15], exec
	v_mov_b32_e32 v27, v29
	s_or_b64 s[24:25], s[0:1], s[2:3]
	s_or_b64 exec, exec, s[26:27]
	s_and_saveexec_b64 s[0:1], s[24:25]
	s_cbranch_execnz .LBB1238_3
	s_branch .LBB1238_4
.LBB1238_1526:
	ds_read_b64 v[18:19], v27
	s_waitcnt lgkmcnt(0)
	flat_store_dwordx2 v[2:3], v[18:19]
	s_or_b64 exec, exec, s[8:9]
	s_and_saveexec_b64 s[8:9], s[0:1]
	s_cbranch_execz .LBB1238_1519
.LBB1238_1527:
	s_waitcnt lgkmcnt(0)
	flat_store_dwordx2 v[2:3], v[14:15] offset:2048
	s_or_b64 exec, exec, s[8:9]
	s_and_saveexec_b64 s[0:1], s[2:3]
	s_cbranch_execz .LBB1238_1520
.LBB1238_1528:
	s_waitcnt lgkmcnt(0)
	v_add_co_u32_e32 v14, vcc, 0x1000, v2
	s_nop 1
	v_addc_co_u32_e32 v15, vcc, 0, v3, vcc
	flat_store_dwordx2 v[14:15], v[12:13]
	s_or_b64 exec, exec, s[0:1]
	s_and_saveexec_b64 s[0:1], s[4:5]
	s_cbranch_execz .LBB1238_1521
.LBB1238_1529:
	s_waitcnt lgkmcnt(0)
	v_add_co_u32_e32 v12, vcc, 0x1000, v2
	s_nop 1
	v_addc_co_u32_e32 v13, vcc, 0, v3, vcc
	flat_store_dwordx2 v[12:13], v[10:11] offset:2048
	s_or_b64 exec, exec, s[0:1]
	s_and_saveexec_b64 s[0:1], s[6:7]
	s_cbranch_execz .LBB1238_1522
.LBB1238_1530:
	s_waitcnt lgkmcnt(0)
	v_add_co_u32_e32 v10, vcc, 0x2000, v2
	s_nop 1
	v_addc_co_u32_e32 v11, vcc, 0, v3, vcc
	flat_store_dwordx2 v[10:11], v[8:9]
	s_or_b64 exec, exec, s[0:1]
	s_and_saveexec_b64 s[0:1], s[10:11]
	s_cbranch_execz .LBB1238_1523
.LBB1238_1531:
	s_waitcnt lgkmcnt(0)
	v_add_co_u32_e32 v8, vcc, 0x2000, v2
	s_nop 1
	v_addc_co_u32_e32 v9, vcc, 0, v3, vcc
	flat_store_dwordx2 v[8:9], v[6:7] offset:2048
	s_or_b64 exec, exec, s[0:1]
	s_and_saveexec_b64 s[0:1], s[22:23]
	s_cbranch_execnz .LBB1238_1524
	s_branch .LBB1238_1525
.Lfunc_end1238:
	.size	_ZN7rocprim17ROCPRIM_400000_NS6detail15block_sort_implIlNS0_10empty_typeELj256ELj8ELNS0_4arch9wavefront6targetE1EvE4sortIPlS9_PS3_SA_ZN2at6native12_GLOBAL__N_124unique_dim_cuda_templateIN3c104HalfEEESt5tupleIJNSB_6TensorESI_SI_EERKSI_lbbbEUlllE_EEvjbT_T0_T1_T2_T3_RNS7_12storage_typeE, .Lfunc_end1238-_ZN7rocprim17ROCPRIM_400000_NS6detail15block_sort_implIlNS0_10empty_typeELj256ELj8ELNS0_4arch9wavefront6targetE1EvE4sortIPlS9_PS3_SA_ZN2at6native12_GLOBAL__N_124unique_dim_cuda_templateIN3c104HalfEEESt5tupleIJNSB_6TensorESI_SI_EERKSI_lbbbEUlllE_EEvjbT_T0_T1_T2_T3_RNS7_12storage_typeE
                                        ; -- End function
	.set .L_ZN7rocprim17ROCPRIM_400000_NS6detail15block_sort_implIlNS0_10empty_typeELj256ELj8ELNS0_4arch9wavefront6targetE1EvE4sortIPlS9_PS3_SA_ZN2at6native12_GLOBAL__N_124unique_dim_cuda_templateIN3c104HalfEEESt5tupleIJNSB_6TensorESI_SI_EERKSI_lbbbEUlllE_EEvjbT_T0_T1_T2_T3_RNS7_12storage_typeE.num_vgpr, 119
	.set .L_ZN7rocprim17ROCPRIM_400000_NS6detail15block_sort_implIlNS0_10empty_typeELj256ELj8ELNS0_4arch9wavefront6targetE1EvE4sortIPlS9_PS3_SA_ZN2at6native12_GLOBAL__N_124unique_dim_cuda_templateIN3c104HalfEEESt5tupleIJNSB_6TensorESI_SI_EERKSI_lbbbEUlllE_EEvjbT_T0_T1_T2_T3_RNS7_12storage_typeE.num_agpr, 0
	.set .L_ZN7rocprim17ROCPRIM_400000_NS6detail15block_sort_implIlNS0_10empty_typeELj256ELj8ELNS0_4arch9wavefront6targetE1EvE4sortIPlS9_PS3_SA_ZN2at6native12_GLOBAL__N_124unique_dim_cuda_templateIN3c104HalfEEESt5tupleIJNSB_6TensorESI_SI_EERKSI_lbbbEUlllE_EEvjbT_T0_T1_T2_T3_RNS7_12storage_typeE.numbered_sgpr, 96
	.set .L_ZN7rocprim17ROCPRIM_400000_NS6detail15block_sort_implIlNS0_10empty_typeELj256ELj8ELNS0_4arch9wavefront6targetE1EvE4sortIPlS9_PS3_SA_ZN2at6native12_GLOBAL__N_124unique_dim_cuda_templateIN3c104HalfEEESt5tupleIJNSB_6TensorESI_SI_EERKSI_lbbbEUlllE_EEvjbT_T0_T1_T2_T3_RNS7_12storage_typeE.num_named_barrier, 0
	.set .L_ZN7rocprim17ROCPRIM_400000_NS6detail15block_sort_implIlNS0_10empty_typeELj256ELj8ELNS0_4arch9wavefront6targetE1EvE4sortIPlS9_PS3_SA_ZN2at6native12_GLOBAL__N_124unique_dim_cuda_templateIN3c104HalfEEESt5tupleIJNSB_6TensorESI_SI_EERKSI_lbbbEUlllE_EEvjbT_T0_T1_T2_T3_RNS7_12storage_typeE.private_seg_size, 8
	.set .L_ZN7rocprim17ROCPRIM_400000_NS6detail15block_sort_implIlNS0_10empty_typeELj256ELj8ELNS0_4arch9wavefront6targetE1EvE4sortIPlS9_PS3_SA_ZN2at6native12_GLOBAL__N_124unique_dim_cuda_templateIN3c104HalfEEESt5tupleIJNSB_6TensorESI_SI_EERKSI_lbbbEUlllE_EEvjbT_T0_T1_T2_T3_RNS7_12storage_typeE.uses_vcc, 1
	.set .L_ZN7rocprim17ROCPRIM_400000_NS6detail15block_sort_implIlNS0_10empty_typeELj256ELj8ELNS0_4arch9wavefront6targetE1EvE4sortIPlS9_PS3_SA_ZN2at6native12_GLOBAL__N_124unique_dim_cuda_templateIN3c104HalfEEESt5tupleIJNSB_6TensorESI_SI_EERKSI_lbbbEUlllE_EEvjbT_T0_T1_T2_T3_RNS7_12storage_typeE.uses_flat_scratch, 0
	.set .L_ZN7rocprim17ROCPRIM_400000_NS6detail15block_sort_implIlNS0_10empty_typeELj256ELj8ELNS0_4arch9wavefront6targetE1EvE4sortIPlS9_PS3_SA_ZN2at6native12_GLOBAL__N_124unique_dim_cuda_templateIN3c104HalfEEESt5tupleIJNSB_6TensorESI_SI_EERKSI_lbbbEUlllE_EEvjbT_T0_T1_T2_T3_RNS7_12storage_typeE.has_dyn_sized_stack, 0
	.set .L_ZN7rocprim17ROCPRIM_400000_NS6detail15block_sort_implIlNS0_10empty_typeELj256ELj8ELNS0_4arch9wavefront6targetE1EvE4sortIPlS9_PS3_SA_ZN2at6native12_GLOBAL__N_124unique_dim_cuda_templateIN3c104HalfEEESt5tupleIJNSB_6TensorESI_SI_EERKSI_lbbbEUlllE_EEvjbT_T0_T1_T2_T3_RNS7_12storage_typeE.has_recursion, 0
	.set .L_ZN7rocprim17ROCPRIM_400000_NS6detail15block_sort_implIlNS0_10empty_typeELj256ELj8ELNS0_4arch9wavefront6targetE1EvE4sortIPlS9_PS3_SA_ZN2at6native12_GLOBAL__N_124unique_dim_cuda_templateIN3c104HalfEEESt5tupleIJNSB_6TensorESI_SI_EERKSI_lbbbEUlllE_EEvjbT_T0_T1_T2_T3_RNS7_12storage_typeE.has_indirect_call, 0
	.section	.AMDGPU.csdata,"",@progbits
; Function info:
; codeLenInByte = 62620
; TotalNumSgprs: 102
; NumVgprs: 119
; NumAgprs: 0
; TotalNumVgprs: 119
; ScratchSize: 8
; MemoryBound: 0
	.section	.text._ZN7rocprim17ROCPRIM_400000_NS6detail17trampoline_kernelINS0_14default_configENS1_37merge_sort_block_sort_config_selectorIlNS0_10empty_typeEEEZNS1_21merge_sort_block_sortIS3_PlS8_PS5_S9_ZN2at6native12_GLOBAL__N_124unique_dim_cuda_templateIN3c104HalfEEESt5tupleIJNSA_6TensorESH_SH_EERKSH_lbbbEUlllE_EE10hipError_tT0_T1_T2_T3_mRjT4_P12ihipStream_tbNS1_7vsmem_tEEUlT_E_NS1_11comp_targetILNS1_3genE0ELNS1_11target_archE4294967295ELNS1_3gpuE0ELNS1_3repE0EEENS1_30default_config_static_selectorELNS0_4arch9wavefront6targetE1EEEvSO_,"axG",@progbits,_ZN7rocprim17ROCPRIM_400000_NS6detail17trampoline_kernelINS0_14default_configENS1_37merge_sort_block_sort_config_selectorIlNS0_10empty_typeEEEZNS1_21merge_sort_block_sortIS3_PlS8_PS5_S9_ZN2at6native12_GLOBAL__N_124unique_dim_cuda_templateIN3c104HalfEEESt5tupleIJNSA_6TensorESH_SH_EERKSH_lbbbEUlllE_EE10hipError_tT0_T1_T2_T3_mRjT4_P12ihipStream_tbNS1_7vsmem_tEEUlT_E_NS1_11comp_targetILNS1_3genE0ELNS1_11target_archE4294967295ELNS1_3gpuE0ELNS1_3repE0EEENS1_30default_config_static_selectorELNS0_4arch9wavefront6targetE1EEEvSO_,comdat
	.globl	_ZN7rocprim17ROCPRIM_400000_NS6detail17trampoline_kernelINS0_14default_configENS1_37merge_sort_block_sort_config_selectorIlNS0_10empty_typeEEEZNS1_21merge_sort_block_sortIS3_PlS8_PS5_S9_ZN2at6native12_GLOBAL__N_124unique_dim_cuda_templateIN3c104HalfEEESt5tupleIJNSA_6TensorESH_SH_EERKSH_lbbbEUlllE_EE10hipError_tT0_T1_T2_T3_mRjT4_P12ihipStream_tbNS1_7vsmem_tEEUlT_E_NS1_11comp_targetILNS1_3genE0ELNS1_11target_archE4294967295ELNS1_3gpuE0ELNS1_3repE0EEENS1_30default_config_static_selectorELNS0_4arch9wavefront6targetE1EEEvSO_ ; -- Begin function _ZN7rocprim17ROCPRIM_400000_NS6detail17trampoline_kernelINS0_14default_configENS1_37merge_sort_block_sort_config_selectorIlNS0_10empty_typeEEEZNS1_21merge_sort_block_sortIS3_PlS8_PS5_S9_ZN2at6native12_GLOBAL__N_124unique_dim_cuda_templateIN3c104HalfEEESt5tupleIJNSA_6TensorESH_SH_EERKSH_lbbbEUlllE_EE10hipError_tT0_T1_T2_T3_mRjT4_P12ihipStream_tbNS1_7vsmem_tEEUlT_E_NS1_11comp_targetILNS1_3genE0ELNS1_11target_archE4294967295ELNS1_3gpuE0ELNS1_3repE0EEENS1_30default_config_static_selectorELNS0_4arch9wavefront6targetE1EEEvSO_
	.p2align	8
	.type	_ZN7rocprim17ROCPRIM_400000_NS6detail17trampoline_kernelINS0_14default_configENS1_37merge_sort_block_sort_config_selectorIlNS0_10empty_typeEEEZNS1_21merge_sort_block_sortIS3_PlS8_PS5_S9_ZN2at6native12_GLOBAL__N_124unique_dim_cuda_templateIN3c104HalfEEESt5tupleIJNSA_6TensorESH_SH_EERKSH_lbbbEUlllE_EE10hipError_tT0_T1_T2_T3_mRjT4_P12ihipStream_tbNS1_7vsmem_tEEUlT_E_NS1_11comp_targetILNS1_3genE0ELNS1_11target_archE4294967295ELNS1_3gpuE0ELNS1_3repE0EEENS1_30default_config_static_selectorELNS0_4arch9wavefront6targetE1EEEvSO_,@function
_ZN7rocprim17ROCPRIM_400000_NS6detail17trampoline_kernelINS0_14default_configENS1_37merge_sort_block_sort_config_selectorIlNS0_10empty_typeEEEZNS1_21merge_sort_block_sortIS3_PlS8_PS5_S9_ZN2at6native12_GLOBAL__N_124unique_dim_cuda_templateIN3c104HalfEEESt5tupleIJNSA_6TensorESH_SH_EERKSH_lbbbEUlllE_EE10hipError_tT0_T1_T2_T3_mRjT4_P12ihipStream_tbNS1_7vsmem_tEEUlT_E_NS1_11comp_targetILNS1_3genE0ELNS1_11target_archE4294967295ELNS1_3gpuE0ELNS1_3repE0EEENS1_30default_config_static_selectorELNS0_4arch9wavefront6targetE1EEEvSO_: ; @_ZN7rocprim17ROCPRIM_400000_NS6detail17trampoline_kernelINS0_14default_configENS1_37merge_sort_block_sort_config_selectorIlNS0_10empty_typeEEEZNS1_21merge_sort_block_sortIS3_PlS8_PS5_S9_ZN2at6native12_GLOBAL__N_124unique_dim_cuda_templateIN3c104HalfEEESt5tupleIJNSA_6TensorESH_SH_EERKSH_lbbbEUlllE_EE10hipError_tT0_T1_T2_T3_mRjT4_P12ihipStream_tbNS1_7vsmem_tEEUlT_E_NS1_11comp_targetILNS1_3genE0ELNS1_11target_archE4294967295ELNS1_3gpuE0ELNS1_3repE0EEENS1_30default_config_static_selectorELNS0_4arch9wavefront6targetE1EEEvSO_
; %bb.0:
	s_load_dwordx2 s[8:9], s[2:3], 0x48
	s_load_dword s7, s[2:3], 0x0
	s_mov_b32 s32, 0
	s_waitcnt lgkmcnt(0)
	s_mul_i32 s6, s9, s6
	s_add_i32 s6, s6, s5
	s_mul_i32 s6, s6, s8
	s_add_i32 s6, s6, s4
	s_cmp_ge_u32 s6, s7
	s_cbranch_scc1 .LBB1239_2
; %bb.1:
	s_load_dwordx4 s[8:11], s[2:3], 0x18
	s_load_dwordx2 s[12:13], s[2:3], 0x8
	s_load_dwordx4 s[16:19], s[2:3], 0x38
	s_mov_b32 s7, 0
	s_lshl_b64 s[20:21], s[6:7], 14
	s_waitcnt lgkmcnt(0)
	s_add_u32 s10, s10, s20
	s_mov_b64 s[14:15], src_shared_base
	s_addc_u32 s11, s11, s21
	s_add_u32 s14, s8, s20
	s_addc_u32 s20, s9, s21
	s_lshr_b64 s[8:9], s[12:13], 11
	s_cmp_eq_u64 s[8:9], s[6:7]
	s_cselect_b64 s[8:9], -1, 0
	s_lshl_b32 s6, s6, 11
	s_sub_i32 s21, s12, s6
	v_cndmask_b32_e64 v1, 0, 1, s[8:9]
	s_add_u32 s8, s2, 0x48
	s_addc_u32 s9, s3, 0
	s_getpc_b64 s[2:3]
	s_add_u32 s2, s2, _ZN7rocprim17ROCPRIM_400000_NS6detail15block_sort_implIlNS0_10empty_typeELj256ELj8ELNS0_4arch9wavefront6targetE1EvE4sortIPlS9_PS3_SA_ZN2at6native12_GLOBAL__N_124unique_dim_cuda_templateIN3c104HalfEEESt5tupleIJNSB_6TensorESI_SI_EERKSI_lbbbEUlllE_EEvjbT_T0_T1_T2_T3_RNS7_12storage_typeE@rel32@lo+4
	s_addc_u32 s3, s3, _ZN7rocprim17ROCPRIM_400000_NS6detail15block_sort_implIlNS0_10empty_typeELj256ELj8ELNS0_4arch9wavefront6targetE1EvE4sortIPlS9_PS3_SA_ZN2at6native12_GLOBAL__N_124unique_dim_cuda_templateIN3c104HalfEEESt5tupleIJNSB_6TensorESI_SI_EERKSI_lbbbEUlllE_EEvjbT_T0_T1_T2_T3_RNS7_12storage_typeE@rel32@hi+12
	s_mov_b64 s[6:7], s[0:1]
	s_mov_b32 s12, s4
	s_mov_b32 s13, s5
	v_mov_b32_e32 v31, v0
	v_mov_b32_e32 v0, s21
	;; [unrolled: 1-line block ×12, first 2 shown]
	s_swappc_b64 s[30:31], s[2:3]
.LBB1239_2:
	s_endpgm
	.section	.rodata,"a",@progbits
	.p2align	6, 0x0
	.amdhsa_kernel _ZN7rocprim17ROCPRIM_400000_NS6detail17trampoline_kernelINS0_14default_configENS1_37merge_sort_block_sort_config_selectorIlNS0_10empty_typeEEEZNS1_21merge_sort_block_sortIS3_PlS8_PS5_S9_ZN2at6native12_GLOBAL__N_124unique_dim_cuda_templateIN3c104HalfEEESt5tupleIJNSA_6TensorESH_SH_EERKSH_lbbbEUlllE_EE10hipError_tT0_T1_T2_T3_mRjT4_P12ihipStream_tbNS1_7vsmem_tEEUlT_E_NS1_11comp_targetILNS1_3genE0ELNS1_11target_archE4294967295ELNS1_3gpuE0ELNS1_3repE0EEENS1_30default_config_static_selectorELNS0_4arch9wavefront6targetE1EEEvSO_
		.amdhsa_group_segment_fixed_size 16896
		.amdhsa_private_segment_fixed_size 8
		.amdhsa_kernarg_size 328
		.amdhsa_user_sgpr_count 4
		.amdhsa_user_sgpr_dispatch_ptr 0
		.amdhsa_user_sgpr_queue_ptr 1
		.amdhsa_user_sgpr_kernarg_segment_ptr 1
		.amdhsa_user_sgpr_dispatch_id 0
		.amdhsa_user_sgpr_kernarg_preload_length 0
		.amdhsa_user_sgpr_kernarg_preload_offset 0
		.amdhsa_user_sgpr_private_segment_size 0
		.amdhsa_uses_dynamic_stack 0
		.amdhsa_enable_private_segment 1
		.amdhsa_system_sgpr_workgroup_id_x 1
		.amdhsa_system_sgpr_workgroup_id_y 1
		.amdhsa_system_sgpr_workgroup_id_z 1
		.amdhsa_system_sgpr_workgroup_info 0
		.amdhsa_system_vgpr_workitem_id 2
		.amdhsa_next_free_vgpr 119
		.amdhsa_next_free_sgpr 96
		.amdhsa_accum_offset 120
		.amdhsa_reserve_vcc 1
		.amdhsa_float_round_mode_32 0
		.amdhsa_float_round_mode_16_64 0
		.amdhsa_float_denorm_mode_32 3
		.amdhsa_float_denorm_mode_16_64 3
		.amdhsa_dx10_clamp 1
		.amdhsa_ieee_mode 1
		.amdhsa_fp16_overflow 0
		.amdhsa_tg_split 0
		.amdhsa_exception_fp_ieee_invalid_op 0
		.amdhsa_exception_fp_denorm_src 0
		.amdhsa_exception_fp_ieee_div_zero 0
		.amdhsa_exception_fp_ieee_overflow 0
		.amdhsa_exception_fp_ieee_underflow 0
		.amdhsa_exception_fp_ieee_inexact 0
		.amdhsa_exception_int_div_zero 0
	.end_amdhsa_kernel
	.section	.text._ZN7rocprim17ROCPRIM_400000_NS6detail17trampoline_kernelINS0_14default_configENS1_37merge_sort_block_sort_config_selectorIlNS0_10empty_typeEEEZNS1_21merge_sort_block_sortIS3_PlS8_PS5_S9_ZN2at6native12_GLOBAL__N_124unique_dim_cuda_templateIN3c104HalfEEESt5tupleIJNSA_6TensorESH_SH_EERKSH_lbbbEUlllE_EE10hipError_tT0_T1_T2_T3_mRjT4_P12ihipStream_tbNS1_7vsmem_tEEUlT_E_NS1_11comp_targetILNS1_3genE0ELNS1_11target_archE4294967295ELNS1_3gpuE0ELNS1_3repE0EEENS1_30default_config_static_selectorELNS0_4arch9wavefront6targetE1EEEvSO_,"axG",@progbits,_ZN7rocprim17ROCPRIM_400000_NS6detail17trampoline_kernelINS0_14default_configENS1_37merge_sort_block_sort_config_selectorIlNS0_10empty_typeEEEZNS1_21merge_sort_block_sortIS3_PlS8_PS5_S9_ZN2at6native12_GLOBAL__N_124unique_dim_cuda_templateIN3c104HalfEEESt5tupleIJNSA_6TensorESH_SH_EERKSH_lbbbEUlllE_EE10hipError_tT0_T1_T2_T3_mRjT4_P12ihipStream_tbNS1_7vsmem_tEEUlT_E_NS1_11comp_targetILNS1_3genE0ELNS1_11target_archE4294967295ELNS1_3gpuE0ELNS1_3repE0EEENS1_30default_config_static_selectorELNS0_4arch9wavefront6targetE1EEEvSO_,comdat
.Lfunc_end1239:
	.size	_ZN7rocprim17ROCPRIM_400000_NS6detail17trampoline_kernelINS0_14default_configENS1_37merge_sort_block_sort_config_selectorIlNS0_10empty_typeEEEZNS1_21merge_sort_block_sortIS3_PlS8_PS5_S9_ZN2at6native12_GLOBAL__N_124unique_dim_cuda_templateIN3c104HalfEEESt5tupleIJNSA_6TensorESH_SH_EERKSH_lbbbEUlllE_EE10hipError_tT0_T1_T2_T3_mRjT4_P12ihipStream_tbNS1_7vsmem_tEEUlT_E_NS1_11comp_targetILNS1_3genE0ELNS1_11target_archE4294967295ELNS1_3gpuE0ELNS1_3repE0EEENS1_30default_config_static_selectorELNS0_4arch9wavefront6targetE1EEEvSO_, .Lfunc_end1239-_ZN7rocprim17ROCPRIM_400000_NS6detail17trampoline_kernelINS0_14default_configENS1_37merge_sort_block_sort_config_selectorIlNS0_10empty_typeEEEZNS1_21merge_sort_block_sortIS3_PlS8_PS5_S9_ZN2at6native12_GLOBAL__N_124unique_dim_cuda_templateIN3c104HalfEEESt5tupleIJNSA_6TensorESH_SH_EERKSH_lbbbEUlllE_EE10hipError_tT0_T1_T2_T3_mRjT4_P12ihipStream_tbNS1_7vsmem_tEEUlT_E_NS1_11comp_targetILNS1_3genE0ELNS1_11target_archE4294967295ELNS1_3gpuE0ELNS1_3repE0EEENS1_30default_config_static_selectorELNS0_4arch9wavefront6targetE1EEEvSO_
                                        ; -- End function
	.set _ZN7rocprim17ROCPRIM_400000_NS6detail17trampoline_kernelINS0_14default_configENS1_37merge_sort_block_sort_config_selectorIlNS0_10empty_typeEEEZNS1_21merge_sort_block_sortIS3_PlS8_PS5_S9_ZN2at6native12_GLOBAL__N_124unique_dim_cuda_templateIN3c104HalfEEESt5tupleIJNSA_6TensorESH_SH_EERKSH_lbbbEUlllE_EE10hipError_tT0_T1_T2_T3_mRjT4_P12ihipStream_tbNS1_7vsmem_tEEUlT_E_NS1_11comp_targetILNS1_3genE0ELNS1_11target_archE4294967295ELNS1_3gpuE0ELNS1_3repE0EEENS1_30default_config_static_selectorELNS0_4arch9wavefront6targetE1EEEvSO_.num_vgpr, max(32, .L_ZN7rocprim17ROCPRIM_400000_NS6detail15block_sort_implIlNS0_10empty_typeELj256ELj8ELNS0_4arch9wavefront6targetE1EvE4sortIPlS9_PS3_SA_ZN2at6native12_GLOBAL__N_124unique_dim_cuda_templateIN3c104HalfEEESt5tupleIJNSB_6TensorESI_SI_EERKSI_lbbbEUlllE_EEvjbT_T0_T1_T2_T3_RNS7_12storage_typeE.num_vgpr)
	.set _ZN7rocprim17ROCPRIM_400000_NS6detail17trampoline_kernelINS0_14default_configENS1_37merge_sort_block_sort_config_selectorIlNS0_10empty_typeEEEZNS1_21merge_sort_block_sortIS3_PlS8_PS5_S9_ZN2at6native12_GLOBAL__N_124unique_dim_cuda_templateIN3c104HalfEEESt5tupleIJNSA_6TensorESH_SH_EERKSH_lbbbEUlllE_EE10hipError_tT0_T1_T2_T3_mRjT4_P12ihipStream_tbNS1_7vsmem_tEEUlT_E_NS1_11comp_targetILNS1_3genE0ELNS1_11target_archE4294967295ELNS1_3gpuE0ELNS1_3repE0EEENS1_30default_config_static_selectorELNS0_4arch9wavefront6targetE1EEEvSO_.num_agpr, max(0, .L_ZN7rocprim17ROCPRIM_400000_NS6detail15block_sort_implIlNS0_10empty_typeELj256ELj8ELNS0_4arch9wavefront6targetE1EvE4sortIPlS9_PS3_SA_ZN2at6native12_GLOBAL__N_124unique_dim_cuda_templateIN3c104HalfEEESt5tupleIJNSB_6TensorESI_SI_EERKSI_lbbbEUlllE_EEvjbT_T0_T1_T2_T3_RNS7_12storage_typeE.num_agpr)
	.set _ZN7rocprim17ROCPRIM_400000_NS6detail17trampoline_kernelINS0_14default_configENS1_37merge_sort_block_sort_config_selectorIlNS0_10empty_typeEEEZNS1_21merge_sort_block_sortIS3_PlS8_PS5_S9_ZN2at6native12_GLOBAL__N_124unique_dim_cuda_templateIN3c104HalfEEESt5tupleIJNSA_6TensorESH_SH_EERKSH_lbbbEUlllE_EE10hipError_tT0_T1_T2_T3_mRjT4_P12ihipStream_tbNS1_7vsmem_tEEUlT_E_NS1_11comp_targetILNS1_3genE0ELNS1_11target_archE4294967295ELNS1_3gpuE0ELNS1_3repE0EEENS1_30default_config_static_selectorELNS0_4arch9wavefront6targetE1EEEvSO_.numbered_sgpr, max(33, .L_ZN7rocprim17ROCPRIM_400000_NS6detail15block_sort_implIlNS0_10empty_typeELj256ELj8ELNS0_4arch9wavefront6targetE1EvE4sortIPlS9_PS3_SA_ZN2at6native12_GLOBAL__N_124unique_dim_cuda_templateIN3c104HalfEEESt5tupleIJNSB_6TensorESI_SI_EERKSI_lbbbEUlllE_EEvjbT_T0_T1_T2_T3_RNS7_12storage_typeE.numbered_sgpr)
	.set _ZN7rocprim17ROCPRIM_400000_NS6detail17trampoline_kernelINS0_14default_configENS1_37merge_sort_block_sort_config_selectorIlNS0_10empty_typeEEEZNS1_21merge_sort_block_sortIS3_PlS8_PS5_S9_ZN2at6native12_GLOBAL__N_124unique_dim_cuda_templateIN3c104HalfEEESt5tupleIJNSA_6TensorESH_SH_EERKSH_lbbbEUlllE_EE10hipError_tT0_T1_T2_T3_mRjT4_P12ihipStream_tbNS1_7vsmem_tEEUlT_E_NS1_11comp_targetILNS1_3genE0ELNS1_11target_archE4294967295ELNS1_3gpuE0ELNS1_3repE0EEENS1_30default_config_static_selectorELNS0_4arch9wavefront6targetE1EEEvSO_.num_named_barrier, max(0, .L_ZN7rocprim17ROCPRIM_400000_NS6detail15block_sort_implIlNS0_10empty_typeELj256ELj8ELNS0_4arch9wavefront6targetE1EvE4sortIPlS9_PS3_SA_ZN2at6native12_GLOBAL__N_124unique_dim_cuda_templateIN3c104HalfEEESt5tupleIJNSB_6TensorESI_SI_EERKSI_lbbbEUlllE_EEvjbT_T0_T1_T2_T3_RNS7_12storage_typeE.num_named_barrier)
	.set _ZN7rocprim17ROCPRIM_400000_NS6detail17trampoline_kernelINS0_14default_configENS1_37merge_sort_block_sort_config_selectorIlNS0_10empty_typeEEEZNS1_21merge_sort_block_sortIS3_PlS8_PS5_S9_ZN2at6native12_GLOBAL__N_124unique_dim_cuda_templateIN3c104HalfEEESt5tupleIJNSA_6TensorESH_SH_EERKSH_lbbbEUlllE_EE10hipError_tT0_T1_T2_T3_mRjT4_P12ihipStream_tbNS1_7vsmem_tEEUlT_E_NS1_11comp_targetILNS1_3genE0ELNS1_11target_archE4294967295ELNS1_3gpuE0ELNS1_3repE0EEENS1_30default_config_static_selectorELNS0_4arch9wavefront6targetE1EEEvSO_.private_seg_size, 0+max(.L_ZN7rocprim17ROCPRIM_400000_NS6detail15block_sort_implIlNS0_10empty_typeELj256ELj8ELNS0_4arch9wavefront6targetE1EvE4sortIPlS9_PS3_SA_ZN2at6native12_GLOBAL__N_124unique_dim_cuda_templateIN3c104HalfEEESt5tupleIJNSB_6TensorESI_SI_EERKSI_lbbbEUlllE_EEvjbT_T0_T1_T2_T3_RNS7_12storage_typeE.private_seg_size)
	.set _ZN7rocprim17ROCPRIM_400000_NS6detail17trampoline_kernelINS0_14default_configENS1_37merge_sort_block_sort_config_selectorIlNS0_10empty_typeEEEZNS1_21merge_sort_block_sortIS3_PlS8_PS5_S9_ZN2at6native12_GLOBAL__N_124unique_dim_cuda_templateIN3c104HalfEEESt5tupleIJNSA_6TensorESH_SH_EERKSH_lbbbEUlllE_EE10hipError_tT0_T1_T2_T3_mRjT4_P12ihipStream_tbNS1_7vsmem_tEEUlT_E_NS1_11comp_targetILNS1_3genE0ELNS1_11target_archE4294967295ELNS1_3gpuE0ELNS1_3repE0EEENS1_30default_config_static_selectorELNS0_4arch9wavefront6targetE1EEEvSO_.uses_vcc, or(1, .L_ZN7rocprim17ROCPRIM_400000_NS6detail15block_sort_implIlNS0_10empty_typeELj256ELj8ELNS0_4arch9wavefront6targetE1EvE4sortIPlS9_PS3_SA_ZN2at6native12_GLOBAL__N_124unique_dim_cuda_templateIN3c104HalfEEESt5tupleIJNSB_6TensorESI_SI_EERKSI_lbbbEUlllE_EEvjbT_T0_T1_T2_T3_RNS7_12storage_typeE.uses_vcc)
	.set _ZN7rocprim17ROCPRIM_400000_NS6detail17trampoline_kernelINS0_14default_configENS1_37merge_sort_block_sort_config_selectorIlNS0_10empty_typeEEEZNS1_21merge_sort_block_sortIS3_PlS8_PS5_S9_ZN2at6native12_GLOBAL__N_124unique_dim_cuda_templateIN3c104HalfEEESt5tupleIJNSA_6TensorESH_SH_EERKSH_lbbbEUlllE_EE10hipError_tT0_T1_T2_T3_mRjT4_P12ihipStream_tbNS1_7vsmem_tEEUlT_E_NS1_11comp_targetILNS1_3genE0ELNS1_11target_archE4294967295ELNS1_3gpuE0ELNS1_3repE0EEENS1_30default_config_static_selectorELNS0_4arch9wavefront6targetE1EEEvSO_.uses_flat_scratch, or(0, .L_ZN7rocprim17ROCPRIM_400000_NS6detail15block_sort_implIlNS0_10empty_typeELj256ELj8ELNS0_4arch9wavefront6targetE1EvE4sortIPlS9_PS3_SA_ZN2at6native12_GLOBAL__N_124unique_dim_cuda_templateIN3c104HalfEEESt5tupleIJNSB_6TensorESI_SI_EERKSI_lbbbEUlllE_EEvjbT_T0_T1_T2_T3_RNS7_12storage_typeE.uses_flat_scratch)
	.set _ZN7rocprim17ROCPRIM_400000_NS6detail17trampoline_kernelINS0_14default_configENS1_37merge_sort_block_sort_config_selectorIlNS0_10empty_typeEEEZNS1_21merge_sort_block_sortIS3_PlS8_PS5_S9_ZN2at6native12_GLOBAL__N_124unique_dim_cuda_templateIN3c104HalfEEESt5tupleIJNSA_6TensorESH_SH_EERKSH_lbbbEUlllE_EE10hipError_tT0_T1_T2_T3_mRjT4_P12ihipStream_tbNS1_7vsmem_tEEUlT_E_NS1_11comp_targetILNS1_3genE0ELNS1_11target_archE4294967295ELNS1_3gpuE0ELNS1_3repE0EEENS1_30default_config_static_selectorELNS0_4arch9wavefront6targetE1EEEvSO_.has_dyn_sized_stack, or(0, .L_ZN7rocprim17ROCPRIM_400000_NS6detail15block_sort_implIlNS0_10empty_typeELj256ELj8ELNS0_4arch9wavefront6targetE1EvE4sortIPlS9_PS3_SA_ZN2at6native12_GLOBAL__N_124unique_dim_cuda_templateIN3c104HalfEEESt5tupleIJNSB_6TensorESI_SI_EERKSI_lbbbEUlllE_EEvjbT_T0_T1_T2_T3_RNS7_12storage_typeE.has_dyn_sized_stack)
	.set _ZN7rocprim17ROCPRIM_400000_NS6detail17trampoline_kernelINS0_14default_configENS1_37merge_sort_block_sort_config_selectorIlNS0_10empty_typeEEEZNS1_21merge_sort_block_sortIS3_PlS8_PS5_S9_ZN2at6native12_GLOBAL__N_124unique_dim_cuda_templateIN3c104HalfEEESt5tupleIJNSA_6TensorESH_SH_EERKSH_lbbbEUlllE_EE10hipError_tT0_T1_T2_T3_mRjT4_P12ihipStream_tbNS1_7vsmem_tEEUlT_E_NS1_11comp_targetILNS1_3genE0ELNS1_11target_archE4294967295ELNS1_3gpuE0ELNS1_3repE0EEENS1_30default_config_static_selectorELNS0_4arch9wavefront6targetE1EEEvSO_.has_recursion, or(0, .L_ZN7rocprim17ROCPRIM_400000_NS6detail15block_sort_implIlNS0_10empty_typeELj256ELj8ELNS0_4arch9wavefront6targetE1EvE4sortIPlS9_PS3_SA_ZN2at6native12_GLOBAL__N_124unique_dim_cuda_templateIN3c104HalfEEESt5tupleIJNSB_6TensorESI_SI_EERKSI_lbbbEUlllE_EEvjbT_T0_T1_T2_T3_RNS7_12storage_typeE.has_recursion)
	.set _ZN7rocprim17ROCPRIM_400000_NS6detail17trampoline_kernelINS0_14default_configENS1_37merge_sort_block_sort_config_selectorIlNS0_10empty_typeEEEZNS1_21merge_sort_block_sortIS3_PlS8_PS5_S9_ZN2at6native12_GLOBAL__N_124unique_dim_cuda_templateIN3c104HalfEEESt5tupleIJNSA_6TensorESH_SH_EERKSH_lbbbEUlllE_EE10hipError_tT0_T1_T2_T3_mRjT4_P12ihipStream_tbNS1_7vsmem_tEEUlT_E_NS1_11comp_targetILNS1_3genE0ELNS1_11target_archE4294967295ELNS1_3gpuE0ELNS1_3repE0EEENS1_30default_config_static_selectorELNS0_4arch9wavefront6targetE1EEEvSO_.has_indirect_call, or(0, .L_ZN7rocprim17ROCPRIM_400000_NS6detail15block_sort_implIlNS0_10empty_typeELj256ELj8ELNS0_4arch9wavefront6targetE1EvE4sortIPlS9_PS3_SA_ZN2at6native12_GLOBAL__N_124unique_dim_cuda_templateIN3c104HalfEEESt5tupleIJNSB_6TensorESI_SI_EERKSI_lbbbEUlllE_EEvjbT_T0_T1_T2_T3_RNS7_12storage_typeE.has_indirect_call)
	.section	.AMDGPU.csdata,"",@progbits
; Kernel info:
; codeLenInByte = 232
; TotalNumSgprs: 102
; NumVgprs: 119
; NumAgprs: 0
; TotalNumVgprs: 119
; ScratchSize: 8
; MemoryBound: 0
; FloatMode: 240
; IeeeMode: 1
; LDSByteSize: 16896 bytes/workgroup (compile time only)
; SGPRBlocks: 12
; VGPRBlocks: 14
; NumSGPRsForWavesPerEU: 102
; NumVGPRsForWavesPerEU: 119
; AccumOffset: 120
; Occupancy: 4
; WaveLimiterHint : 1
; COMPUTE_PGM_RSRC2:SCRATCH_EN: 1
; COMPUTE_PGM_RSRC2:USER_SGPR: 4
; COMPUTE_PGM_RSRC2:TRAP_HANDLER: 0
; COMPUTE_PGM_RSRC2:TGID_X_EN: 1
; COMPUTE_PGM_RSRC2:TGID_Y_EN: 1
; COMPUTE_PGM_RSRC2:TGID_Z_EN: 1
; COMPUTE_PGM_RSRC2:TIDIG_COMP_CNT: 2
; COMPUTE_PGM_RSRC3_GFX90A:ACCUM_OFFSET: 29
; COMPUTE_PGM_RSRC3_GFX90A:TG_SPLIT: 0
	.section	.text._ZN7rocprim17ROCPRIM_400000_NS6detail17trampoline_kernelINS0_14default_configENS1_37merge_sort_block_sort_config_selectorIlNS0_10empty_typeEEEZNS1_21merge_sort_block_sortIS3_PlS8_PS5_S9_ZN2at6native12_GLOBAL__N_124unique_dim_cuda_templateIN3c104HalfEEESt5tupleIJNSA_6TensorESH_SH_EERKSH_lbbbEUlllE_EE10hipError_tT0_T1_T2_T3_mRjT4_P12ihipStream_tbNS1_7vsmem_tEEUlT_E_NS1_11comp_targetILNS1_3genE5ELNS1_11target_archE942ELNS1_3gpuE9ELNS1_3repE0EEENS1_30default_config_static_selectorELNS0_4arch9wavefront6targetE1EEEvSO_,"axG",@progbits,_ZN7rocprim17ROCPRIM_400000_NS6detail17trampoline_kernelINS0_14default_configENS1_37merge_sort_block_sort_config_selectorIlNS0_10empty_typeEEEZNS1_21merge_sort_block_sortIS3_PlS8_PS5_S9_ZN2at6native12_GLOBAL__N_124unique_dim_cuda_templateIN3c104HalfEEESt5tupleIJNSA_6TensorESH_SH_EERKSH_lbbbEUlllE_EE10hipError_tT0_T1_T2_T3_mRjT4_P12ihipStream_tbNS1_7vsmem_tEEUlT_E_NS1_11comp_targetILNS1_3genE5ELNS1_11target_archE942ELNS1_3gpuE9ELNS1_3repE0EEENS1_30default_config_static_selectorELNS0_4arch9wavefront6targetE1EEEvSO_,comdat
	.globl	_ZN7rocprim17ROCPRIM_400000_NS6detail17trampoline_kernelINS0_14default_configENS1_37merge_sort_block_sort_config_selectorIlNS0_10empty_typeEEEZNS1_21merge_sort_block_sortIS3_PlS8_PS5_S9_ZN2at6native12_GLOBAL__N_124unique_dim_cuda_templateIN3c104HalfEEESt5tupleIJNSA_6TensorESH_SH_EERKSH_lbbbEUlllE_EE10hipError_tT0_T1_T2_T3_mRjT4_P12ihipStream_tbNS1_7vsmem_tEEUlT_E_NS1_11comp_targetILNS1_3genE5ELNS1_11target_archE942ELNS1_3gpuE9ELNS1_3repE0EEENS1_30default_config_static_selectorELNS0_4arch9wavefront6targetE1EEEvSO_ ; -- Begin function _ZN7rocprim17ROCPRIM_400000_NS6detail17trampoline_kernelINS0_14default_configENS1_37merge_sort_block_sort_config_selectorIlNS0_10empty_typeEEEZNS1_21merge_sort_block_sortIS3_PlS8_PS5_S9_ZN2at6native12_GLOBAL__N_124unique_dim_cuda_templateIN3c104HalfEEESt5tupleIJNSA_6TensorESH_SH_EERKSH_lbbbEUlllE_EE10hipError_tT0_T1_T2_T3_mRjT4_P12ihipStream_tbNS1_7vsmem_tEEUlT_E_NS1_11comp_targetILNS1_3genE5ELNS1_11target_archE942ELNS1_3gpuE9ELNS1_3repE0EEENS1_30default_config_static_selectorELNS0_4arch9wavefront6targetE1EEEvSO_
	.p2align	8
	.type	_ZN7rocprim17ROCPRIM_400000_NS6detail17trampoline_kernelINS0_14default_configENS1_37merge_sort_block_sort_config_selectorIlNS0_10empty_typeEEEZNS1_21merge_sort_block_sortIS3_PlS8_PS5_S9_ZN2at6native12_GLOBAL__N_124unique_dim_cuda_templateIN3c104HalfEEESt5tupleIJNSA_6TensorESH_SH_EERKSH_lbbbEUlllE_EE10hipError_tT0_T1_T2_T3_mRjT4_P12ihipStream_tbNS1_7vsmem_tEEUlT_E_NS1_11comp_targetILNS1_3genE5ELNS1_11target_archE942ELNS1_3gpuE9ELNS1_3repE0EEENS1_30default_config_static_selectorELNS0_4arch9wavefront6targetE1EEEvSO_,@function
_ZN7rocprim17ROCPRIM_400000_NS6detail17trampoline_kernelINS0_14default_configENS1_37merge_sort_block_sort_config_selectorIlNS0_10empty_typeEEEZNS1_21merge_sort_block_sortIS3_PlS8_PS5_S9_ZN2at6native12_GLOBAL__N_124unique_dim_cuda_templateIN3c104HalfEEESt5tupleIJNSA_6TensorESH_SH_EERKSH_lbbbEUlllE_EE10hipError_tT0_T1_T2_T3_mRjT4_P12ihipStream_tbNS1_7vsmem_tEEUlT_E_NS1_11comp_targetILNS1_3genE5ELNS1_11target_archE942ELNS1_3gpuE9ELNS1_3repE0EEENS1_30default_config_static_selectorELNS0_4arch9wavefront6targetE1EEEvSO_: ; @_ZN7rocprim17ROCPRIM_400000_NS6detail17trampoline_kernelINS0_14default_configENS1_37merge_sort_block_sort_config_selectorIlNS0_10empty_typeEEEZNS1_21merge_sort_block_sortIS3_PlS8_PS5_S9_ZN2at6native12_GLOBAL__N_124unique_dim_cuda_templateIN3c104HalfEEESt5tupleIJNSA_6TensorESH_SH_EERKSH_lbbbEUlllE_EE10hipError_tT0_T1_T2_T3_mRjT4_P12ihipStream_tbNS1_7vsmem_tEEUlT_E_NS1_11comp_targetILNS1_3genE5ELNS1_11target_archE942ELNS1_3gpuE9ELNS1_3repE0EEENS1_30default_config_static_selectorELNS0_4arch9wavefront6targetE1EEEvSO_
; %bb.0:
	.section	.rodata,"a",@progbits
	.p2align	6, 0x0
	.amdhsa_kernel _ZN7rocprim17ROCPRIM_400000_NS6detail17trampoline_kernelINS0_14default_configENS1_37merge_sort_block_sort_config_selectorIlNS0_10empty_typeEEEZNS1_21merge_sort_block_sortIS3_PlS8_PS5_S9_ZN2at6native12_GLOBAL__N_124unique_dim_cuda_templateIN3c104HalfEEESt5tupleIJNSA_6TensorESH_SH_EERKSH_lbbbEUlllE_EE10hipError_tT0_T1_T2_T3_mRjT4_P12ihipStream_tbNS1_7vsmem_tEEUlT_E_NS1_11comp_targetILNS1_3genE5ELNS1_11target_archE942ELNS1_3gpuE9ELNS1_3repE0EEENS1_30default_config_static_selectorELNS0_4arch9wavefront6targetE1EEEvSO_
		.amdhsa_group_segment_fixed_size 0
		.amdhsa_private_segment_fixed_size 0
		.amdhsa_kernarg_size 72
		.amdhsa_user_sgpr_count 2
		.amdhsa_user_sgpr_dispatch_ptr 0
		.amdhsa_user_sgpr_queue_ptr 0
		.amdhsa_user_sgpr_kernarg_segment_ptr 1
		.amdhsa_user_sgpr_dispatch_id 0
		.amdhsa_user_sgpr_kernarg_preload_length 0
		.amdhsa_user_sgpr_kernarg_preload_offset 0
		.amdhsa_user_sgpr_private_segment_size 0
		.amdhsa_uses_dynamic_stack 0
		.amdhsa_enable_private_segment 0
		.amdhsa_system_sgpr_workgroup_id_x 1
		.amdhsa_system_sgpr_workgroup_id_y 0
		.amdhsa_system_sgpr_workgroup_id_z 0
		.amdhsa_system_sgpr_workgroup_info 0
		.amdhsa_system_vgpr_workitem_id 0
		.amdhsa_next_free_vgpr 1
		.amdhsa_next_free_sgpr 0
		.amdhsa_accum_offset 4
		.amdhsa_reserve_vcc 0
		.amdhsa_float_round_mode_32 0
		.amdhsa_float_round_mode_16_64 0
		.amdhsa_float_denorm_mode_32 3
		.amdhsa_float_denorm_mode_16_64 3
		.amdhsa_dx10_clamp 1
		.amdhsa_ieee_mode 1
		.amdhsa_fp16_overflow 0
		.amdhsa_tg_split 0
		.amdhsa_exception_fp_ieee_invalid_op 0
		.amdhsa_exception_fp_denorm_src 0
		.amdhsa_exception_fp_ieee_div_zero 0
		.amdhsa_exception_fp_ieee_overflow 0
		.amdhsa_exception_fp_ieee_underflow 0
		.amdhsa_exception_fp_ieee_inexact 0
		.amdhsa_exception_int_div_zero 0
	.end_amdhsa_kernel
	.section	.text._ZN7rocprim17ROCPRIM_400000_NS6detail17trampoline_kernelINS0_14default_configENS1_37merge_sort_block_sort_config_selectorIlNS0_10empty_typeEEEZNS1_21merge_sort_block_sortIS3_PlS8_PS5_S9_ZN2at6native12_GLOBAL__N_124unique_dim_cuda_templateIN3c104HalfEEESt5tupleIJNSA_6TensorESH_SH_EERKSH_lbbbEUlllE_EE10hipError_tT0_T1_T2_T3_mRjT4_P12ihipStream_tbNS1_7vsmem_tEEUlT_E_NS1_11comp_targetILNS1_3genE5ELNS1_11target_archE942ELNS1_3gpuE9ELNS1_3repE0EEENS1_30default_config_static_selectorELNS0_4arch9wavefront6targetE1EEEvSO_,"axG",@progbits,_ZN7rocprim17ROCPRIM_400000_NS6detail17trampoline_kernelINS0_14default_configENS1_37merge_sort_block_sort_config_selectorIlNS0_10empty_typeEEEZNS1_21merge_sort_block_sortIS3_PlS8_PS5_S9_ZN2at6native12_GLOBAL__N_124unique_dim_cuda_templateIN3c104HalfEEESt5tupleIJNSA_6TensorESH_SH_EERKSH_lbbbEUlllE_EE10hipError_tT0_T1_T2_T3_mRjT4_P12ihipStream_tbNS1_7vsmem_tEEUlT_E_NS1_11comp_targetILNS1_3genE5ELNS1_11target_archE942ELNS1_3gpuE9ELNS1_3repE0EEENS1_30default_config_static_selectorELNS0_4arch9wavefront6targetE1EEEvSO_,comdat
.Lfunc_end1240:
	.size	_ZN7rocprim17ROCPRIM_400000_NS6detail17trampoline_kernelINS0_14default_configENS1_37merge_sort_block_sort_config_selectorIlNS0_10empty_typeEEEZNS1_21merge_sort_block_sortIS3_PlS8_PS5_S9_ZN2at6native12_GLOBAL__N_124unique_dim_cuda_templateIN3c104HalfEEESt5tupleIJNSA_6TensorESH_SH_EERKSH_lbbbEUlllE_EE10hipError_tT0_T1_T2_T3_mRjT4_P12ihipStream_tbNS1_7vsmem_tEEUlT_E_NS1_11comp_targetILNS1_3genE5ELNS1_11target_archE942ELNS1_3gpuE9ELNS1_3repE0EEENS1_30default_config_static_selectorELNS0_4arch9wavefront6targetE1EEEvSO_, .Lfunc_end1240-_ZN7rocprim17ROCPRIM_400000_NS6detail17trampoline_kernelINS0_14default_configENS1_37merge_sort_block_sort_config_selectorIlNS0_10empty_typeEEEZNS1_21merge_sort_block_sortIS3_PlS8_PS5_S9_ZN2at6native12_GLOBAL__N_124unique_dim_cuda_templateIN3c104HalfEEESt5tupleIJNSA_6TensorESH_SH_EERKSH_lbbbEUlllE_EE10hipError_tT0_T1_T2_T3_mRjT4_P12ihipStream_tbNS1_7vsmem_tEEUlT_E_NS1_11comp_targetILNS1_3genE5ELNS1_11target_archE942ELNS1_3gpuE9ELNS1_3repE0EEENS1_30default_config_static_selectorELNS0_4arch9wavefront6targetE1EEEvSO_
                                        ; -- End function
	.set _ZN7rocprim17ROCPRIM_400000_NS6detail17trampoline_kernelINS0_14default_configENS1_37merge_sort_block_sort_config_selectorIlNS0_10empty_typeEEEZNS1_21merge_sort_block_sortIS3_PlS8_PS5_S9_ZN2at6native12_GLOBAL__N_124unique_dim_cuda_templateIN3c104HalfEEESt5tupleIJNSA_6TensorESH_SH_EERKSH_lbbbEUlllE_EE10hipError_tT0_T1_T2_T3_mRjT4_P12ihipStream_tbNS1_7vsmem_tEEUlT_E_NS1_11comp_targetILNS1_3genE5ELNS1_11target_archE942ELNS1_3gpuE9ELNS1_3repE0EEENS1_30default_config_static_selectorELNS0_4arch9wavefront6targetE1EEEvSO_.num_vgpr, 0
	.set _ZN7rocprim17ROCPRIM_400000_NS6detail17trampoline_kernelINS0_14default_configENS1_37merge_sort_block_sort_config_selectorIlNS0_10empty_typeEEEZNS1_21merge_sort_block_sortIS3_PlS8_PS5_S9_ZN2at6native12_GLOBAL__N_124unique_dim_cuda_templateIN3c104HalfEEESt5tupleIJNSA_6TensorESH_SH_EERKSH_lbbbEUlllE_EE10hipError_tT0_T1_T2_T3_mRjT4_P12ihipStream_tbNS1_7vsmem_tEEUlT_E_NS1_11comp_targetILNS1_3genE5ELNS1_11target_archE942ELNS1_3gpuE9ELNS1_3repE0EEENS1_30default_config_static_selectorELNS0_4arch9wavefront6targetE1EEEvSO_.num_agpr, 0
	.set _ZN7rocprim17ROCPRIM_400000_NS6detail17trampoline_kernelINS0_14default_configENS1_37merge_sort_block_sort_config_selectorIlNS0_10empty_typeEEEZNS1_21merge_sort_block_sortIS3_PlS8_PS5_S9_ZN2at6native12_GLOBAL__N_124unique_dim_cuda_templateIN3c104HalfEEESt5tupleIJNSA_6TensorESH_SH_EERKSH_lbbbEUlllE_EE10hipError_tT0_T1_T2_T3_mRjT4_P12ihipStream_tbNS1_7vsmem_tEEUlT_E_NS1_11comp_targetILNS1_3genE5ELNS1_11target_archE942ELNS1_3gpuE9ELNS1_3repE0EEENS1_30default_config_static_selectorELNS0_4arch9wavefront6targetE1EEEvSO_.numbered_sgpr, 0
	.set _ZN7rocprim17ROCPRIM_400000_NS6detail17trampoline_kernelINS0_14default_configENS1_37merge_sort_block_sort_config_selectorIlNS0_10empty_typeEEEZNS1_21merge_sort_block_sortIS3_PlS8_PS5_S9_ZN2at6native12_GLOBAL__N_124unique_dim_cuda_templateIN3c104HalfEEESt5tupleIJNSA_6TensorESH_SH_EERKSH_lbbbEUlllE_EE10hipError_tT0_T1_T2_T3_mRjT4_P12ihipStream_tbNS1_7vsmem_tEEUlT_E_NS1_11comp_targetILNS1_3genE5ELNS1_11target_archE942ELNS1_3gpuE9ELNS1_3repE0EEENS1_30default_config_static_selectorELNS0_4arch9wavefront6targetE1EEEvSO_.num_named_barrier, 0
	.set _ZN7rocprim17ROCPRIM_400000_NS6detail17trampoline_kernelINS0_14default_configENS1_37merge_sort_block_sort_config_selectorIlNS0_10empty_typeEEEZNS1_21merge_sort_block_sortIS3_PlS8_PS5_S9_ZN2at6native12_GLOBAL__N_124unique_dim_cuda_templateIN3c104HalfEEESt5tupleIJNSA_6TensorESH_SH_EERKSH_lbbbEUlllE_EE10hipError_tT0_T1_T2_T3_mRjT4_P12ihipStream_tbNS1_7vsmem_tEEUlT_E_NS1_11comp_targetILNS1_3genE5ELNS1_11target_archE942ELNS1_3gpuE9ELNS1_3repE0EEENS1_30default_config_static_selectorELNS0_4arch9wavefront6targetE1EEEvSO_.private_seg_size, 0
	.set _ZN7rocprim17ROCPRIM_400000_NS6detail17trampoline_kernelINS0_14default_configENS1_37merge_sort_block_sort_config_selectorIlNS0_10empty_typeEEEZNS1_21merge_sort_block_sortIS3_PlS8_PS5_S9_ZN2at6native12_GLOBAL__N_124unique_dim_cuda_templateIN3c104HalfEEESt5tupleIJNSA_6TensorESH_SH_EERKSH_lbbbEUlllE_EE10hipError_tT0_T1_T2_T3_mRjT4_P12ihipStream_tbNS1_7vsmem_tEEUlT_E_NS1_11comp_targetILNS1_3genE5ELNS1_11target_archE942ELNS1_3gpuE9ELNS1_3repE0EEENS1_30default_config_static_selectorELNS0_4arch9wavefront6targetE1EEEvSO_.uses_vcc, 0
	.set _ZN7rocprim17ROCPRIM_400000_NS6detail17trampoline_kernelINS0_14default_configENS1_37merge_sort_block_sort_config_selectorIlNS0_10empty_typeEEEZNS1_21merge_sort_block_sortIS3_PlS8_PS5_S9_ZN2at6native12_GLOBAL__N_124unique_dim_cuda_templateIN3c104HalfEEESt5tupleIJNSA_6TensorESH_SH_EERKSH_lbbbEUlllE_EE10hipError_tT0_T1_T2_T3_mRjT4_P12ihipStream_tbNS1_7vsmem_tEEUlT_E_NS1_11comp_targetILNS1_3genE5ELNS1_11target_archE942ELNS1_3gpuE9ELNS1_3repE0EEENS1_30default_config_static_selectorELNS0_4arch9wavefront6targetE1EEEvSO_.uses_flat_scratch, 0
	.set _ZN7rocprim17ROCPRIM_400000_NS6detail17trampoline_kernelINS0_14default_configENS1_37merge_sort_block_sort_config_selectorIlNS0_10empty_typeEEEZNS1_21merge_sort_block_sortIS3_PlS8_PS5_S9_ZN2at6native12_GLOBAL__N_124unique_dim_cuda_templateIN3c104HalfEEESt5tupleIJNSA_6TensorESH_SH_EERKSH_lbbbEUlllE_EE10hipError_tT0_T1_T2_T3_mRjT4_P12ihipStream_tbNS1_7vsmem_tEEUlT_E_NS1_11comp_targetILNS1_3genE5ELNS1_11target_archE942ELNS1_3gpuE9ELNS1_3repE0EEENS1_30default_config_static_selectorELNS0_4arch9wavefront6targetE1EEEvSO_.has_dyn_sized_stack, 0
	.set _ZN7rocprim17ROCPRIM_400000_NS6detail17trampoline_kernelINS0_14default_configENS1_37merge_sort_block_sort_config_selectorIlNS0_10empty_typeEEEZNS1_21merge_sort_block_sortIS3_PlS8_PS5_S9_ZN2at6native12_GLOBAL__N_124unique_dim_cuda_templateIN3c104HalfEEESt5tupleIJNSA_6TensorESH_SH_EERKSH_lbbbEUlllE_EE10hipError_tT0_T1_T2_T3_mRjT4_P12ihipStream_tbNS1_7vsmem_tEEUlT_E_NS1_11comp_targetILNS1_3genE5ELNS1_11target_archE942ELNS1_3gpuE9ELNS1_3repE0EEENS1_30default_config_static_selectorELNS0_4arch9wavefront6targetE1EEEvSO_.has_recursion, 0
	.set _ZN7rocprim17ROCPRIM_400000_NS6detail17trampoline_kernelINS0_14default_configENS1_37merge_sort_block_sort_config_selectorIlNS0_10empty_typeEEEZNS1_21merge_sort_block_sortIS3_PlS8_PS5_S9_ZN2at6native12_GLOBAL__N_124unique_dim_cuda_templateIN3c104HalfEEESt5tupleIJNSA_6TensorESH_SH_EERKSH_lbbbEUlllE_EE10hipError_tT0_T1_T2_T3_mRjT4_P12ihipStream_tbNS1_7vsmem_tEEUlT_E_NS1_11comp_targetILNS1_3genE5ELNS1_11target_archE942ELNS1_3gpuE9ELNS1_3repE0EEENS1_30default_config_static_selectorELNS0_4arch9wavefront6targetE1EEEvSO_.has_indirect_call, 0
	.section	.AMDGPU.csdata,"",@progbits
; Kernel info:
; codeLenInByte = 0
; TotalNumSgprs: 6
; NumVgprs: 0
; NumAgprs: 0
; TotalNumVgprs: 0
; ScratchSize: 0
; MemoryBound: 0
; FloatMode: 240
; IeeeMode: 1
; LDSByteSize: 0 bytes/workgroup (compile time only)
; SGPRBlocks: 0
; VGPRBlocks: 0
; NumSGPRsForWavesPerEU: 6
; NumVGPRsForWavesPerEU: 1
; AccumOffset: 4
; Occupancy: 8
; WaveLimiterHint : 0
; COMPUTE_PGM_RSRC2:SCRATCH_EN: 0
; COMPUTE_PGM_RSRC2:USER_SGPR: 2
; COMPUTE_PGM_RSRC2:TRAP_HANDLER: 0
; COMPUTE_PGM_RSRC2:TGID_X_EN: 1
; COMPUTE_PGM_RSRC2:TGID_Y_EN: 0
; COMPUTE_PGM_RSRC2:TGID_Z_EN: 0
; COMPUTE_PGM_RSRC2:TIDIG_COMP_CNT: 0
; COMPUTE_PGM_RSRC3_GFX90A:ACCUM_OFFSET: 0
; COMPUTE_PGM_RSRC3_GFX90A:TG_SPLIT: 0
	.section	.text._ZN7rocprim17ROCPRIM_400000_NS6detail17trampoline_kernelINS0_14default_configENS1_37merge_sort_block_sort_config_selectorIlNS0_10empty_typeEEEZNS1_21merge_sort_block_sortIS3_PlS8_PS5_S9_ZN2at6native12_GLOBAL__N_124unique_dim_cuda_templateIN3c104HalfEEESt5tupleIJNSA_6TensorESH_SH_EERKSH_lbbbEUlllE_EE10hipError_tT0_T1_T2_T3_mRjT4_P12ihipStream_tbNS1_7vsmem_tEEUlT_E_NS1_11comp_targetILNS1_3genE4ELNS1_11target_archE910ELNS1_3gpuE8ELNS1_3repE0EEENS1_30default_config_static_selectorELNS0_4arch9wavefront6targetE1EEEvSO_,"axG",@progbits,_ZN7rocprim17ROCPRIM_400000_NS6detail17trampoline_kernelINS0_14default_configENS1_37merge_sort_block_sort_config_selectorIlNS0_10empty_typeEEEZNS1_21merge_sort_block_sortIS3_PlS8_PS5_S9_ZN2at6native12_GLOBAL__N_124unique_dim_cuda_templateIN3c104HalfEEESt5tupleIJNSA_6TensorESH_SH_EERKSH_lbbbEUlllE_EE10hipError_tT0_T1_T2_T3_mRjT4_P12ihipStream_tbNS1_7vsmem_tEEUlT_E_NS1_11comp_targetILNS1_3genE4ELNS1_11target_archE910ELNS1_3gpuE8ELNS1_3repE0EEENS1_30default_config_static_selectorELNS0_4arch9wavefront6targetE1EEEvSO_,comdat
	.globl	_ZN7rocprim17ROCPRIM_400000_NS6detail17trampoline_kernelINS0_14default_configENS1_37merge_sort_block_sort_config_selectorIlNS0_10empty_typeEEEZNS1_21merge_sort_block_sortIS3_PlS8_PS5_S9_ZN2at6native12_GLOBAL__N_124unique_dim_cuda_templateIN3c104HalfEEESt5tupleIJNSA_6TensorESH_SH_EERKSH_lbbbEUlllE_EE10hipError_tT0_T1_T2_T3_mRjT4_P12ihipStream_tbNS1_7vsmem_tEEUlT_E_NS1_11comp_targetILNS1_3genE4ELNS1_11target_archE910ELNS1_3gpuE8ELNS1_3repE0EEENS1_30default_config_static_selectorELNS0_4arch9wavefront6targetE1EEEvSO_ ; -- Begin function _ZN7rocprim17ROCPRIM_400000_NS6detail17trampoline_kernelINS0_14default_configENS1_37merge_sort_block_sort_config_selectorIlNS0_10empty_typeEEEZNS1_21merge_sort_block_sortIS3_PlS8_PS5_S9_ZN2at6native12_GLOBAL__N_124unique_dim_cuda_templateIN3c104HalfEEESt5tupleIJNSA_6TensorESH_SH_EERKSH_lbbbEUlllE_EE10hipError_tT0_T1_T2_T3_mRjT4_P12ihipStream_tbNS1_7vsmem_tEEUlT_E_NS1_11comp_targetILNS1_3genE4ELNS1_11target_archE910ELNS1_3gpuE8ELNS1_3repE0EEENS1_30default_config_static_selectorELNS0_4arch9wavefront6targetE1EEEvSO_
	.p2align	8
	.type	_ZN7rocprim17ROCPRIM_400000_NS6detail17trampoline_kernelINS0_14default_configENS1_37merge_sort_block_sort_config_selectorIlNS0_10empty_typeEEEZNS1_21merge_sort_block_sortIS3_PlS8_PS5_S9_ZN2at6native12_GLOBAL__N_124unique_dim_cuda_templateIN3c104HalfEEESt5tupleIJNSA_6TensorESH_SH_EERKSH_lbbbEUlllE_EE10hipError_tT0_T1_T2_T3_mRjT4_P12ihipStream_tbNS1_7vsmem_tEEUlT_E_NS1_11comp_targetILNS1_3genE4ELNS1_11target_archE910ELNS1_3gpuE8ELNS1_3repE0EEENS1_30default_config_static_selectorELNS0_4arch9wavefront6targetE1EEEvSO_,@function
_ZN7rocprim17ROCPRIM_400000_NS6detail17trampoline_kernelINS0_14default_configENS1_37merge_sort_block_sort_config_selectorIlNS0_10empty_typeEEEZNS1_21merge_sort_block_sortIS3_PlS8_PS5_S9_ZN2at6native12_GLOBAL__N_124unique_dim_cuda_templateIN3c104HalfEEESt5tupleIJNSA_6TensorESH_SH_EERKSH_lbbbEUlllE_EE10hipError_tT0_T1_T2_T3_mRjT4_P12ihipStream_tbNS1_7vsmem_tEEUlT_E_NS1_11comp_targetILNS1_3genE4ELNS1_11target_archE910ELNS1_3gpuE8ELNS1_3repE0EEENS1_30default_config_static_selectorELNS0_4arch9wavefront6targetE1EEEvSO_: ; @_ZN7rocprim17ROCPRIM_400000_NS6detail17trampoline_kernelINS0_14default_configENS1_37merge_sort_block_sort_config_selectorIlNS0_10empty_typeEEEZNS1_21merge_sort_block_sortIS3_PlS8_PS5_S9_ZN2at6native12_GLOBAL__N_124unique_dim_cuda_templateIN3c104HalfEEESt5tupleIJNSA_6TensorESH_SH_EERKSH_lbbbEUlllE_EE10hipError_tT0_T1_T2_T3_mRjT4_P12ihipStream_tbNS1_7vsmem_tEEUlT_E_NS1_11comp_targetILNS1_3genE4ELNS1_11target_archE910ELNS1_3gpuE8ELNS1_3repE0EEENS1_30default_config_static_selectorELNS0_4arch9wavefront6targetE1EEEvSO_
; %bb.0:
	.section	.rodata,"a",@progbits
	.p2align	6, 0x0
	.amdhsa_kernel _ZN7rocprim17ROCPRIM_400000_NS6detail17trampoline_kernelINS0_14default_configENS1_37merge_sort_block_sort_config_selectorIlNS0_10empty_typeEEEZNS1_21merge_sort_block_sortIS3_PlS8_PS5_S9_ZN2at6native12_GLOBAL__N_124unique_dim_cuda_templateIN3c104HalfEEESt5tupleIJNSA_6TensorESH_SH_EERKSH_lbbbEUlllE_EE10hipError_tT0_T1_T2_T3_mRjT4_P12ihipStream_tbNS1_7vsmem_tEEUlT_E_NS1_11comp_targetILNS1_3genE4ELNS1_11target_archE910ELNS1_3gpuE8ELNS1_3repE0EEENS1_30default_config_static_selectorELNS0_4arch9wavefront6targetE1EEEvSO_
		.amdhsa_group_segment_fixed_size 0
		.amdhsa_private_segment_fixed_size 0
		.amdhsa_kernarg_size 72
		.amdhsa_user_sgpr_count 2
		.amdhsa_user_sgpr_dispatch_ptr 0
		.amdhsa_user_sgpr_queue_ptr 0
		.amdhsa_user_sgpr_kernarg_segment_ptr 1
		.amdhsa_user_sgpr_dispatch_id 0
		.amdhsa_user_sgpr_kernarg_preload_length 0
		.amdhsa_user_sgpr_kernarg_preload_offset 0
		.amdhsa_user_sgpr_private_segment_size 0
		.amdhsa_uses_dynamic_stack 0
		.amdhsa_enable_private_segment 0
		.amdhsa_system_sgpr_workgroup_id_x 1
		.amdhsa_system_sgpr_workgroup_id_y 0
		.amdhsa_system_sgpr_workgroup_id_z 0
		.amdhsa_system_sgpr_workgroup_info 0
		.amdhsa_system_vgpr_workitem_id 0
		.amdhsa_next_free_vgpr 1
		.amdhsa_next_free_sgpr 0
		.amdhsa_accum_offset 4
		.amdhsa_reserve_vcc 0
		.amdhsa_float_round_mode_32 0
		.amdhsa_float_round_mode_16_64 0
		.amdhsa_float_denorm_mode_32 3
		.amdhsa_float_denorm_mode_16_64 3
		.amdhsa_dx10_clamp 1
		.amdhsa_ieee_mode 1
		.amdhsa_fp16_overflow 0
		.amdhsa_tg_split 0
		.amdhsa_exception_fp_ieee_invalid_op 0
		.amdhsa_exception_fp_denorm_src 0
		.amdhsa_exception_fp_ieee_div_zero 0
		.amdhsa_exception_fp_ieee_overflow 0
		.amdhsa_exception_fp_ieee_underflow 0
		.amdhsa_exception_fp_ieee_inexact 0
		.amdhsa_exception_int_div_zero 0
	.end_amdhsa_kernel
	.section	.text._ZN7rocprim17ROCPRIM_400000_NS6detail17trampoline_kernelINS0_14default_configENS1_37merge_sort_block_sort_config_selectorIlNS0_10empty_typeEEEZNS1_21merge_sort_block_sortIS3_PlS8_PS5_S9_ZN2at6native12_GLOBAL__N_124unique_dim_cuda_templateIN3c104HalfEEESt5tupleIJNSA_6TensorESH_SH_EERKSH_lbbbEUlllE_EE10hipError_tT0_T1_T2_T3_mRjT4_P12ihipStream_tbNS1_7vsmem_tEEUlT_E_NS1_11comp_targetILNS1_3genE4ELNS1_11target_archE910ELNS1_3gpuE8ELNS1_3repE0EEENS1_30default_config_static_selectorELNS0_4arch9wavefront6targetE1EEEvSO_,"axG",@progbits,_ZN7rocprim17ROCPRIM_400000_NS6detail17trampoline_kernelINS0_14default_configENS1_37merge_sort_block_sort_config_selectorIlNS0_10empty_typeEEEZNS1_21merge_sort_block_sortIS3_PlS8_PS5_S9_ZN2at6native12_GLOBAL__N_124unique_dim_cuda_templateIN3c104HalfEEESt5tupleIJNSA_6TensorESH_SH_EERKSH_lbbbEUlllE_EE10hipError_tT0_T1_T2_T3_mRjT4_P12ihipStream_tbNS1_7vsmem_tEEUlT_E_NS1_11comp_targetILNS1_3genE4ELNS1_11target_archE910ELNS1_3gpuE8ELNS1_3repE0EEENS1_30default_config_static_selectorELNS0_4arch9wavefront6targetE1EEEvSO_,comdat
.Lfunc_end1241:
	.size	_ZN7rocprim17ROCPRIM_400000_NS6detail17trampoline_kernelINS0_14default_configENS1_37merge_sort_block_sort_config_selectorIlNS0_10empty_typeEEEZNS1_21merge_sort_block_sortIS3_PlS8_PS5_S9_ZN2at6native12_GLOBAL__N_124unique_dim_cuda_templateIN3c104HalfEEESt5tupleIJNSA_6TensorESH_SH_EERKSH_lbbbEUlllE_EE10hipError_tT0_T1_T2_T3_mRjT4_P12ihipStream_tbNS1_7vsmem_tEEUlT_E_NS1_11comp_targetILNS1_3genE4ELNS1_11target_archE910ELNS1_3gpuE8ELNS1_3repE0EEENS1_30default_config_static_selectorELNS0_4arch9wavefront6targetE1EEEvSO_, .Lfunc_end1241-_ZN7rocprim17ROCPRIM_400000_NS6detail17trampoline_kernelINS0_14default_configENS1_37merge_sort_block_sort_config_selectorIlNS0_10empty_typeEEEZNS1_21merge_sort_block_sortIS3_PlS8_PS5_S9_ZN2at6native12_GLOBAL__N_124unique_dim_cuda_templateIN3c104HalfEEESt5tupleIJNSA_6TensorESH_SH_EERKSH_lbbbEUlllE_EE10hipError_tT0_T1_T2_T3_mRjT4_P12ihipStream_tbNS1_7vsmem_tEEUlT_E_NS1_11comp_targetILNS1_3genE4ELNS1_11target_archE910ELNS1_3gpuE8ELNS1_3repE0EEENS1_30default_config_static_selectorELNS0_4arch9wavefront6targetE1EEEvSO_
                                        ; -- End function
	.set _ZN7rocprim17ROCPRIM_400000_NS6detail17trampoline_kernelINS0_14default_configENS1_37merge_sort_block_sort_config_selectorIlNS0_10empty_typeEEEZNS1_21merge_sort_block_sortIS3_PlS8_PS5_S9_ZN2at6native12_GLOBAL__N_124unique_dim_cuda_templateIN3c104HalfEEESt5tupleIJNSA_6TensorESH_SH_EERKSH_lbbbEUlllE_EE10hipError_tT0_T1_T2_T3_mRjT4_P12ihipStream_tbNS1_7vsmem_tEEUlT_E_NS1_11comp_targetILNS1_3genE4ELNS1_11target_archE910ELNS1_3gpuE8ELNS1_3repE0EEENS1_30default_config_static_selectorELNS0_4arch9wavefront6targetE1EEEvSO_.num_vgpr, 0
	.set _ZN7rocprim17ROCPRIM_400000_NS6detail17trampoline_kernelINS0_14default_configENS1_37merge_sort_block_sort_config_selectorIlNS0_10empty_typeEEEZNS1_21merge_sort_block_sortIS3_PlS8_PS5_S9_ZN2at6native12_GLOBAL__N_124unique_dim_cuda_templateIN3c104HalfEEESt5tupleIJNSA_6TensorESH_SH_EERKSH_lbbbEUlllE_EE10hipError_tT0_T1_T2_T3_mRjT4_P12ihipStream_tbNS1_7vsmem_tEEUlT_E_NS1_11comp_targetILNS1_3genE4ELNS1_11target_archE910ELNS1_3gpuE8ELNS1_3repE0EEENS1_30default_config_static_selectorELNS0_4arch9wavefront6targetE1EEEvSO_.num_agpr, 0
	.set _ZN7rocprim17ROCPRIM_400000_NS6detail17trampoline_kernelINS0_14default_configENS1_37merge_sort_block_sort_config_selectorIlNS0_10empty_typeEEEZNS1_21merge_sort_block_sortIS3_PlS8_PS5_S9_ZN2at6native12_GLOBAL__N_124unique_dim_cuda_templateIN3c104HalfEEESt5tupleIJNSA_6TensorESH_SH_EERKSH_lbbbEUlllE_EE10hipError_tT0_T1_T2_T3_mRjT4_P12ihipStream_tbNS1_7vsmem_tEEUlT_E_NS1_11comp_targetILNS1_3genE4ELNS1_11target_archE910ELNS1_3gpuE8ELNS1_3repE0EEENS1_30default_config_static_selectorELNS0_4arch9wavefront6targetE1EEEvSO_.numbered_sgpr, 0
	.set _ZN7rocprim17ROCPRIM_400000_NS6detail17trampoline_kernelINS0_14default_configENS1_37merge_sort_block_sort_config_selectorIlNS0_10empty_typeEEEZNS1_21merge_sort_block_sortIS3_PlS8_PS5_S9_ZN2at6native12_GLOBAL__N_124unique_dim_cuda_templateIN3c104HalfEEESt5tupleIJNSA_6TensorESH_SH_EERKSH_lbbbEUlllE_EE10hipError_tT0_T1_T2_T3_mRjT4_P12ihipStream_tbNS1_7vsmem_tEEUlT_E_NS1_11comp_targetILNS1_3genE4ELNS1_11target_archE910ELNS1_3gpuE8ELNS1_3repE0EEENS1_30default_config_static_selectorELNS0_4arch9wavefront6targetE1EEEvSO_.num_named_barrier, 0
	.set _ZN7rocprim17ROCPRIM_400000_NS6detail17trampoline_kernelINS0_14default_configENS1_37merge_sort_block_sort_config_selectorIlNS0_10empty_typeEEEZNS1_21merge_sort_block_sortIS3_PlS8_PS5_S9_ZN2at6native12_GLOBAL__N_124unique_dim_cuda_templateIN3c104HalfEEESt5tupleIJNSA_6TensorESH_SH_EERKSH_lbbbEUlllE_EE10hipError_tT0_T1_T2_T3_mRjT4_P12ihipStream_tbNS1_7vsmem_tEEUlT_E_NS1_11comp_targetILNS1_3genE4ELNS1_11target_archE910ELNS1_3gpuE8ELNS1_3repE0EEENS1_30default_config_static_selectorELNS0_4arch9wavefront6targetE1EEEvSO_.private_seg_size, 0
	.set _ZN7rocprim17ROCPRIM_400000_NS6detail17trampoline_kernelINS0_14default_configENS1_37merge_sort_block_sort_config_selectorIlNS0_10empty_typeEEEZNS1_21merge_sort_block_sortIS3_PlS8_PS5_S9_ZN2at6native12_GLOBAL__N_124unique_dim_cuda_templateIN3c104HalfEEESt5tupleIJNSA_6TensorESH_SH_EERKSH_lbbbEUlllE_EE10hipError_tT0_T1_T2_T3_mRjT4_P12ihipStream_tbNS1_7vsmem_tEEUlT_E_NS1_11comp_targetILNS1_3genE4ELNS1_11target_archE910ELNS1_3gpuE8ELNS1_3repE0EEENS1_30default_config_static_selectorELNS0_4arch9wavefront6targetE1EEEvSO_.uses_vcc, 0
	.set _ZN7rocprim17ROCPRIM_400000_NS6detail17trampoline_kernelINS0_14default_configENS1_37merge_sort_block_sort_config_selectorIlNS0_10empty_typeEEEZNS1_21merge_sort_block_sortIS3_PlS8_PS5_S9_ZN2at6native12_GLOBAL__N_124unique_dim_cuda_templateIN3c104HalfEEESt5tupleIJNSA_6TensorESH_SH_EERKSH_lbbbEUlllE_EE10hipError_tT0_T1_T2_T3_mRjT4_P12ihipStream_tbNS1_7vsmem_tEEUlT_E_NS1_11comp_targetILNS1_3genE4ELNS1_11target_archE910ELNS1_3gpuE8ELNS1_3repE0EEENS1_30default_config_static_selectorELNS0_4arch9wavefront6targetE1EEEvSO_.uses_flat_scratch, 0
	.set _ZN7rocprim17ROCPRIM_400000_NS6detail17trampoline_kernelINS0_14default_configENS1_37merge_sort_block_sort_config_selectorIlNS0_10empty_typeEEEZNS1_21merge_sort_block_sortIS3_PlS8_PS5_S9_ZN2at6native12_GLOBAL__N_124unique_dim_cuda_templateIN3c104HalfEEESt5tupleIJNSA_6TensorESH_SH_EERKSH_lbbbEUlllE_EE10hipError_tT0_T1_T2_T3_mRjT4_P12ihipStream_tbNS1_7vsmem_tEEUlT_E_NS1_11comp_targetILNS1_3genE4ELNS1_11target_archE910ELNS1_3gpuE8ELNS1_3repE0EEENS1_30default_config_static_selectorELNS0_4arch9wavefront6targetE1EEEvSO_.has_dyn_sized_stack, 0
	.set _ZN7rocprim17ROCPRIM_400000_NS6detail17trampoline_kernelINS0_14default_configENS1_37merge_sort_block_sort_config_selectorIlNS0_10empty_typeEEEZNS1_21merge_sort_block_sortIS3_PlS8_PS5_S9_ZN2at6native12_GLOBAL__N_124unique_dim_cuda_templateIN3c104HalfEEESt5tupleIJNSA_6TensorESH_SH_EERKSH_lbbbEUlllE_EE10hipError_tT0_T1_T2_T3_mRjT4_P12ihipStream_tbNS1_7vsmem_tEEUlT_E_NS1_11comp_targetILNS1_3genE4ELNS1_11target_archE910ELNS1_3gpuE8ELNS1_3repE0EEENS1_30default_config_static_selectorELNS0_4arch9wavefront6targetE1EEEvSO_.has_recursion, 0
	.set _ZN7rocprim17ROCPRIM_400000_NS6detail17trampoline_kernelINS0_14default_configENS1_37merge_sort_block_sort_config_selectorIlNS0_10empty_typeEEEZNS1_21merge_sort_block_sortIS3_PlS8_PS5_S9_ZN2at6native12_GLOBAL__N_124unique_dim_cuda_templateIN3c104HalfEEESt5tupleIJNSA_6TensorESH_SH_EERKSH_lbbbEUlllE_EE10hipError_tT0_T1_T2_T3_mRjT4_P12ihipStream_tbNS1_7vsmem_tEEUlT_E_NS1_11comp_targetILNS1_3genE4ELNS1_11target_archE910ELNS1_3gpuE8ELNS1_3repE0EEENS1_30default_config_static_selectorELNS0_4arch9wavefront6targetE1EEEvSO_.has_indirect_call, 0
	.section	.AMDGPU.csdata,"",@progbits
; Kernel info:
; codeLenInByte = 0
; TotalNumSgprs: 6
; NumVgprs: 0
; NumAgprs: 0
; TotalNumVgprs: 0
; ScratchSize: 0
; MemoryBound: 0
; FloatMode: 240
; IeeeMode: 1
; LDSByteSize: 0 bytes/workgroup (compile time only)
; SGPRBlocks: 0
; VGPRBlocks: 0
; NumSGPRsForWavesPerEU: 6
; NumVGPRsForWavesPerEU: 1
; AccumOffset: 4
; Occupancy: 8
; WaveLimiterHint : 0
; COMPUTE_PGM_RSRC2:SCRATCH_EN: 0
; COMPUTE_PGM_RSRC2:USER_SGPR: 2
; COMPUTE_PGM_RSRC2:TRAP_HANDLER: 0
; COMPUTE_PGM_RSRC2:TGID_X_EN: 1
; COMPUTE_PGM_RSRC2:TGID_Y_EN: 0
; COMPUTE_PGM_RSRC2:TGID_Z_EN: 0
; COMPUTE_PGM_RSRC2:TIDIG_COMP_CNT: 0
; COMPUTE_PGM_RSRC3_GFX90A:ACCUM_OFFSET: 0
; COMPUTE_PGM_RSRC3_GFX90A:TG_SPLIT: 0
	.section	.text._ZN7rocprim17ROCPRIM_400000_NS6detail17trampoline_kernelINS0_14default_configENS1_37merge_sort_block_sort_config_selectorIlNS0_10empty_typeEEEZNS1_21merge_sort_block_sortIS3_PlS8_PS5_S9_ZN2at6native12_GLOBAL__N_124unique_dim_cuda_templateIN3c104HalfEEESt5tupleIJNSA_6TensorESH_SH_EERKSH_lbbbEUlllE_EE10hipError_tT0_T1_T2_T3_mRjT4_P12ihipStream_tbNS1_7vsmem_tEEUlT_E_NS1_11comp_targetILNS1_3genE3ELNS1_11target_archE908ELNS1_3gpuE7ELNS1_3repE0EEENS1_30default_config_static_selectorELNS0_4arch9wavefront6targetE1EEEvSO_,"axG",@progbits,_ZN7rocprim17ROCPRIM_400000_NS6detail17trampoline_kernelINS0_14default_configENS1_37merge_sort_block_sort_config_selectorIlNS0_10empty_typeEEEZNS1_21merge_sort_block_sortIS3_PlS8_PS5_S9_ZN2at6native12_GLOBAL__N_124unique_dim_cuda_templateIN3c104HalfEEESt5tupleIJNSA_6TensorESH_SH_EERKSH_lbbbEUlllE_EE10hipError_tT0_T1_T2_T3_mRjT4_P12ihipStream_tbNS1_7vsmem_tEEUlT_E_NS1_11comp_targetILNS1_3genE3ELNS1_11target_archE908ELNS1_3gpuE7ELNS1_3repE0EEENS1_30default_config_static_selectorELNS0_4arch9wavefront6targetE1EEEvSO_,comdat
	.globl	_ZN7rocprim17ROCPRIM_400000_NS6detail17trampoline_kernelINS0_14default_configENS1_37merge_sort_block_sort_config_selectorIlNS0_10empty_typeEEEZNS1_21merge_sort_block_sortIS3_PlS8_PS5_S9_ZN2at6native12_GLOBAL__N_124unique_dim_cuda_templateIN3c104HalfEEESt5tupleIJNSA_6TensorESH_SH_EERKSH_lbbbEUlllE_EE10hipError_tT0_T1_T2_T3_mRjT4_P12ihipStream_tbNS1_7vsmem_tEEUlT_E_NS1_11comp_targetILNS1_3genE3ELNS1_11target_archE908ELNS1_3gpuE7ELNS1_3repE0EEENS1_30default_config_static_selectorELNS0_4arch9wavefront6targetE1EEEvSO_ ; -- Begin function _ZN7rocprim17ROCPRIM_400000_NS6detail17trampoline_kernelINS0_14default_configENS1_37merge_sort_block_sort_config_selectorIlNS0_10empty_typeEEEZNS1_21merge_sort_block_sortIS3_PlS8_PS5_S9_ZN2at6native12_GLOBAL__N_124unique_dim_cuda_templateIN3c104HalfEEESt5tupleIJNSA_6TensorESH_SH_EERKSH_lbbbEUlllE_EE10hipError_tT0_T1_T2_T3_mRjT4_P12ihipStream_tbNS1_7vsmem_tEEUlT_E_NS1_11comp_targetILNS1_3genE3ELNS1_11target_archE908ELNS1_3gpuE7ELNS1_3repE0EEENS1_30default_config_static_selectorELNS0_4arch9wavefront6targetE1EEEvSO_
	.p2align	8
	.type	_ZN7rocprim17ROCPRIM_400000_NS6detail17trampoline_kernelINS0_14default_configENS1_37merge_sort_block_sort_config_selectorIlNS0_10empty_typeEEEZNS1_21merge_sort_block_sortIS3_PlS8_PS5_S9_ZN2at6native12_GLOBAL__N_124unique_dim_cuda_templateIN3c104HalfEEESt5tupleIJNSA_6TensorESH_SH_EERKSH_lbbbEUlllE_EE10hipError_tT0_T1_T2_T3_mRjT4_P12ihipStream_tbNS1_7vsmem_tEEUlT_E_NS1_11comp_targetILNS1_3genE3ELNS1_11target_archE908ELNS1_3gpuE7ELNS1_3repE0EEENS1_30default_config_static_selectorELNS0_4arch9wavefront6targetE1EEEvSO_,@function
_ZN7rocprim17ROCPRIM_400000_NS6detail17trampoline_kernelINS0_14default_configENS1_37merge_sort_block_sort_config_selectorIlNS0_10empty_typeEEEZNS1_21merge_sort_block_sortIS3_PlS8_PS5_S9_ZN2at6native12_GLOBAL__N_124unique_dim_cuda_templateIN3c104HalfEEESt5tupleIJNSA_6TensorESH_SH_EERKSH_lbbbEUlllE_EE10hipError_tT0_T1_T2_T3_mRjT4_P12ihipStream_tbNS1_7vsmem_tEEUlT_E_NS1_11comp_targetILNS1_3genE3ELNS1_11target_archE908ELNS1_3gpuE7ELNS1_3repE0EEENS1_30default_config_static_selectorELNS0_4arch9wavefront6targetE1EEEvSO_: ; @_ZN7rocprim17ROCPRIM_400000_NS6detail17trampoline_kernelINS0_14default_configENS1_37merge_sort_block_sort_config_selectorIlNS0_10empty_typeEEEZNS1_21merge_sort_block_sortIS3_PlS8_PS5_S9_ZN2at6native12_GLOBAL__N_124unique_dim_cuda_templateIN3c104HalfEEESt5tupleIJNSA_6TensorESH_SH_EERKSH_lbbbEUlllE_EE10hipError_tT0_T1_T2_T3_mRjT4_P12ihipStream_tbNS1_7vsmem_tEEUlT_E_NS1_11comp_targetILNS1_3genE3ELNS1_11target_archE908ELNS1_3gpuE7ELNS1_3repE0EEENS1_30default_config_static_selectorELNS0_4arch9wavefront6targetE1EEEvSO_
; %bb.0:
	.section	.rodata,"a",@progbits
	.p2align	6, 0x0
	.amdhsa_kernel _ZN7rocprim17ROCPRIM_400000_NS6detail17trampoline_kernelINS0_14default_configENS1_37merge_sort_block_sort_config_selectorIlNS0_10empty_typeEEEZNS1_21merge_sort_block_sortIS3_PlS8_PS5_S9_ZN2at6native12_GLOBAL__N_124unique_dim_cuda_templateIN3c104HalfEEESt5tupleIJNSA_6TensorESH_SH_EERKSH_lbbbEUlllE_EE10hipError_tT0_T1_T2_T3_mRjT4_P12ihipStream_tbNS1_7vsmem_tEEUlT_E_NS1_11comp_targetILNS1_3genE3ELNS1_11target_archE908ELNS1_3gpuE7ELNS1_3repE0EEENS1_30default_config_static_selectorELNS0_4arch9wavefront6targetE1EEEvSO_
		.amdhsa_group_segment_fixed_size 0
		.amdhsa_private_segment_fixed_size 0
		.amdhsa_kernarg_size 72
		.amdhsa_user_sgpr_count 2
		.amdhsa_user_sgpr_dispatch_ptr 0
		.amdhsa_user_sgpr_queue_ptr 0
		.amdhsa_user_sgpr_kernarg_segment_ptr 1
		.amdhsa_user_sgpr_dispatch_id 0
		.amdhsa_user_sgpr_kernarg_preload_length 0
		.amdhsa_user_sgpr_kernarg_preload_offset 0
		.amdhsa_user_sgpr_private_segment_size 0
		.amdhsa_uses_dynamic_stack 0
		.amdhsa_enable_private_segment 0
		.amdhsa_system_sgpr_workgroup_id_x 1
		.amdhsa_system_sgpr_workgroup_id_y 0
		.amdhsa_system_sgpr_workgroup_id_z 0
		.amdhsa_system_sgpr_workgroup_info 0
		.amdhsa_system_vgpr_workitem_id 0
		.amdhsa_next_free_vgpr 1
		.amdhsa_next_free_sgpr 0
		.amdhsa_accum_offset 4
		.amdhsa_reserve_vcc 0
		.amdhsa_float_round_mode_32 0
		.amdhsa_float_round_mode_16_64 0
		.amdhsa_float_denorm_mode_32 3
		.amdhsa_float_denorm_mode_16_64 3
		.amdhsa_dx10_clamp 1
		.amdhsa_ieee_mode 1
		.amdhsa_fp16_overflow 0
		.amdhsa_tg_split 0
		.amdhsa_exception_fp_ieee_invalid_op 0
		.amdhsa_exception_fp_denorm_src 0
		.amdhsa_exception_fp_ieee_div_zero 0
		.amdhsa_exception_fp_ieee_overflow 0
		.amdhsa_exception_fp_ieee_underflow 0
		.amdhsa_exception_fp_ieee_inexact 0
		.amdhsa_exception_int_div_zero 0
	.end_amdhsa_kernel
	.section	.text._ZN7rocprim17ROCPRIM_400000_NS6detail17trampoline_kernelINS0_14default_configENS1_37merge_sort_block_sort_config_selectorIlNS0_10empty_typeEEEZNS1_21merge_sort_block_sortIS3_PlS8_PS5_S9_ZN2at6native12_GLOBAL__N_124unique_dim_cuda_templateIN3c104HalfEEESt5tupleIJNSA_6TensorESH_SH_EERKSH_lbbbEUlllE_EE10hipError_tT0_T1_T2_T3_mRjT4_P12ihipStream_tbNS1_7vsmem_tEEUlT_E_NS1_11comp_targetILNS1_3genE3ELNS1_11target_archE908ELNS1_3gpuE7ELNS1_3repE0EEENS1_30default_config_static_selectorELNS0_4arch9wavefront6targetE1EEEvSO_,"axG",@progbits,_ZN7rocprim17ROCPRIM_400000_NS6detail17trampoline_kernelINS0_14default_configENS1_37merge_sort_block_sort_config_selectorIlNS0_10empty_typeEEEZNS1_21merge_sort_block_sortIS3_PlS8_PS5_S9_ZN2at6native12_GLOBAL__N_124unique_dim_cuda_templateIN3c104HalfEEESt5tupleIJNSA_6TensorESH_SH_EERKSH_lbbbEUlllE_EE10hipError_tT0_T1_T2_T3_mRjT4_P12ihipStream_tbNS1_7vsmem_tEEUlT_E_NS1_11comp_targetILNS1_3genE3ELNS1_11target_archE908ELNS1_3gpuE7ELNS1_3repE0EEENS1_30default_config_static_selectorELNS0_4arch9wavefront6targetE1EEEvSO_,comdat
.Lfunc_end1242:
	.size	_ZN7rocprim17ROCPRIM_400000_NS6detail17trampoline_kernelINS0_14default_configENS1_37merge_sort_block_sort_config_selectorIlNS0_10empty_typeEEEZNS1_21merge_sort_block_sortIS3_PlS8_PS5_S9_ZN2at6native12_GLOBAL__N_124unique_dim_cuda_templateIN3c104HalfEEESt5tupleIJNSA_6TensorESH_SH_EERKSH_lbbbEUlllE_EE10hipError_tT0_T1_T2_T3_mRjT4_P12ihipStream_tbNS1_7vsmem_tEEUlT_E_NS1_11comp_targetILNS1_3genE3ELNS1_11target_archE908ELNS1_3gpuE7ELNS1_3repE0EEENS1_30default_config_static_selectorELNS0_4arch9wavefront6targetE1EEEvSO_, .Lfunc_end1242-_ZN7rocprim17ROCPRIM_400000_NS6detail17trampoline_kernelINS0_14default_configENS1_37merge_sort_block_sort_config_selectorIlNS0_10empty_typeEEEZNS1_21merge_sort_block_sortIS3_PlS8_PS5_S9_ZN2at6native12_GLOBAL__N_124unique_dim_cuda_templateIN3c104HalfEEESt5tupleIJNSA_6TensorESH_SH_EERKSH_lbbbEUlllE_EE10hipError_tT0_T1_T2_T3_mRjT4_P12ihipStream_tbNS1_7vsmem_tEEUlT_E_NS1_11comp_targetILNS1_3genE3ELNS1_11target_archE908ELNS1_3gpuE7ELNS1_3repE0EEENS1_30default_config_static_selectorELNS0_4arch9wavefront6targetE1EEEvSO_
                                        ; -- End function
	.set _ZN7rocprim17ROCPRIM_400000_NS6detail17trampoline_kernelINS0_14default_configENS1_37merge_sort_block_sort_config_selectorIlNS0_10empty_typeEEEZNS1_21merge_sort_block_sortIS3_PlS8_PS5_S9_ZN2at6native12_GLOBAL__N_124unique_dim_cuda_templateIN3c104HalfEEESt5tupleIJNSA_6TensorESH_SH_EERKSH_lbbbEUlllE_EE10hipError_tT0_T1_T2_T3_mRjT4_P12ihipStream_tbNS1_7vsmem_tEEUlT_E_NS1_11comp_targetILNS1_3genE3ELNS1_11target_archE908ELNS1_3gpuE7ELNS1_3repE0EEENS1_30default_config_static_selectorELNS0_4arch9wavefront6targetE1EEEvSO_.num_vgpr, 0
	.set _ZN7rocprim17ROCPRIM_400000_NS6detail17trampoline_kernelINS0_14default_configENS1_37merge_sort_block_sort_config_selectorIlNS0_10empty_typeEEEZNS1_21merge_sort_block_sortIS3_PlS8_PS5_S9_ZN2at6native12_GLOBAL__N_124unique_dim_cuda_templateIN3c104HalfEEESt5tupleIJNSA_6TensorESH_SH_EERKSH_lbbbEUlllE_EE10hipError_tT0_T1_T2_T3_mRjT4_P12ihipStream_tbNS1_7vsmem_tEEUlT_E_NS1_11comp_targetILNS1_3genE3ELNS1_11target_archE908ELNS1_3gpuE7ELNS1_3repE0EEENS1_30default_config_static_selectorELNS0_4arch9wavefront6targetE1EEEvSO_.num_agpr, 0
	.set _ZN7rocprim17ROCPRIM_400000_NS6detail17trampoline_kernelINS0_14default_configENS1_37merge_sort_block_sort_config_selectorIlNS0_10empty_typeEEEZNS1_21merge_sort_block_sortIS3_PlS8_PS5_S9_ZN2at6native12_GLOBAL__N_124unique_dim_cuda_templateIN3c104HalfEEESt5tupleIJNSA_6TensorESH_SH_EERKSH_lbbbEUlllE_EE10hipError_tT0_T1_T2_T3_mRjT4_P12ihipStream_tbNS1_7vsmem_tEEUlT_E_NS1_11comp_targetILNS1_3genE3ELNS1_11target_archE908ELNS1_3gpuE7ELNS1_3repE0EEENS1_30default_config_static_selectorELNS0_4arch9wavefront6targetE1EEEvSO_.numbered_sgpr, 0
	.set _ZN7rocprim17ROCPRIM_400000_NS6detail17trampoline_kernelINS0_14default_configENS1_37merge_sort_block_sort_config_selectorIlNS0_10empty_typeEEEZNS1_21merge_sort_block_sortIS3_PlS8_PS5_S9_ZN2at6native12_GLOBAL__N_124unique_dim_cuda_templateIN3c104HalfEEESt5tupleIJNSA_6TensorESH_SH_EERKSH_lbbbEUlllE_EE10hipError_tT0_T1_T2_T3_mRjT4_P12ihipStream_tbNS1_7vsmem_tEEUlT_E_NS1_11comp_targetILNS1_3genE3ELNS1_11target_archE908ELNS1_3gpuE7ELNS1_3repE0EEENS1_30default_config_static_selectorELNS0_4arch9wavefront6targetE1EEEvSO_.num_named_barrier, 0
	.set _ZN7rocprim17ROCPRIM_400000_NS6detail17trampoline_kernelINS0_14default_configENS1_37merge_sort_block_sort_config_selectorIlNS0_10empty_typeEEEZNS1_21merge_sort_block_sortIS3_PlS8_PS5_S9_ZN2at6native12_GLOBAL__N_124unique_dim_cuda_templateIN3c104HalfEEESt5tupleIJNSA_6TensorESH_SH_EERKSH_lbbbEUlllE_EE10hipError_tT0_T1_T2_T3_mRjT4_P12ihipStream_tbNS1_7vsmem_tEEUlT_E_NS1_11comp_targetILNS1_3genE3ELNS1_11target_archE908ELNS1_3gpuE7ELNS1_3repE0EEENS1_30default_config_static_selectorELNS0_4arch9wavefront6targetE1EEEvSO_.private_seg_size, 0
	.set _ZN7rocprim17ROCPRIM_400000_NS6detail17trampoline_kernelINS0_14default_configENS1_37merge_sort_block_sort_config_selectorIlNS0_10empty_typeEEEZNS1_21merge_sort_block_sortIS3_PlS8_PS5_S9_ZN2at6native12_GLOBAL__N_124unique_dim_cuda_templateIN3c104HalfEEESt5tupleIJNSA_6TensorESH_SH_EERKSH_lbbbEUlllE_EE10hipError_tT0_T1_T2_T3_mRjT4_P12ihipStream_tbNS1_7vsmem_tEEUlT_E_NS1_11comp_targetILNS1_3genE3ELNS1_11target_archE908ELNS1_3gpuE7ELNS1_3repE0EEENS1_30default_config_static_selectorELNS0_4arch9wavefront6targetE1EEEvSO_.uses_vcc, 0
	.set _ZN7rocprim17ROCPRIM_400000_NS6detail17trampoline_kernelINS0_14default_configENS1_37merge_sort_block_sort_config_selectorIlNS0_10empty_typeEEEZNS1_21merge_sort_block_sortIS3_PlS8_PS5_S9_ZN2at6native12_GLOBAL__N_124unique_dim_cuda_templateIN3c104HalfEEESt5tupleIJNSA_6TensorESH_SH_EERKSH_lbbbEUlllE_EE10hipError_tT0_T1_T2_T3_mRjT4_P12ihipStream_tbNS1_7vsmem_tEEUlT_E_NS1_11comp_targetILNS1_3genE3ELNS1_11target_archE908ELNS1_3gpuE7ELNS1_3repE0EEENS1_30default_config_static_selectorELNS0_4arch9wavefront6targetE1EEEvSO_.uses_flat_scratch, 0
	.set _ZN7rocprim17ROCPRIM_400000_NS6detail17trampoline_kernelINS0_14default_configENS1_37merge_sort_block_sort_config_selectorIlNS0_10empty_typeEEEZNS1_21merge_sort_block_sortIS3_PlS8_PS5_S9_ZN2at6native12_GLOBAL__N_124unique_dim_cuda_templateIN3c104HalfEEESt5tupleIJNSA_6TensorESH_SH_EERKSH_lbbbEUlllE_EE10hipError_tT0_T1_T2_T3_mRjT4_P12ihipStream_tbNS1_7vsmem_tEEUlT_E_NS1_11comp_targetILNS1_3genE3ELNS1_11target_archE908ELNS1_3gpuE7ELNS1_3repE0EEENS1_30default_config_static_selectorELNS0_4arch9wavefront6targetE1EEEvSO_.has_dyn_sized_stack, 0
	.set _ZN7rocprim17ROCPRIM_400000_NS6detail17trampoline_kernelINS0_14default_configENS1_37merge_sort_block_sort_config_selectorIlNS0_10empty_typeEEEZNS1_21merge_sort_block_sortIS3_PlS8_PS5_S9_ZN2at6native12_GLOBAL__N_124unique_dim_cuda_templateIN3c104HalfEEESt5tupleIJNSA_6TensorESH_SH_EERKSH_lbbbEUlllE_EE10hipError_tT0_T1_T2_T3_mRjT4_P12ihipStream_tbNS1_7vsmem_tEEUlT_E_NS1_11comp_targetILNS1_3genE3ELNS1_11target_archE908ELNS1_3gpuE7ELNS1_3repE0EEENS1_30default_config_static_selectorELNS0_4arch9wavefront6targetE1EEEvSO_.has_recursion, 0
	.set _ZN7rocprim17ROCPRIM_400000_NS6detail17trampoline_kernelINS0_14default_configENS1_37merge_sort_block_sort_config_selectorIlNS0_10empty_typeEEEZNS1_21merge_sort_block_sortIS3_PlS8_PS5_S9_ZN2at6native12_GLOBAL__N_124unique_dim_cuda_templateIN3c104HalfEEESt5tupleIJNSA_6TensorESH_SH_EERKSH_lbbbEUlllE_EE10hipError_tT0_T1_T2_T3_mRjT4_P12ihipStream_tbNS1_7vsmem_tEEUlT_E_NS1_11comp_targetILNS1_3genE3ELNS1_11target_archE908ELNS1_3gpuE7ELNS1_3repE0EEENS1_30default_config_static_selectorELNS0_4arch9wavefront6targetE1EEEvSO_.has_indirect_call, 0
	.section	.AMDGPU.csdata,"",@progbits
; Kernel info:
; codeLenInByte = 0
; TotalNumSgprs: 6
; NumVgprs: 0
; NumAgprs: 0
; TotalNumVgprs: 0
; ScratchSize: 0
; MemoryBound: 0
; FloatMode: 240
; IeeeMode: 1
; LDSByteSize: 0 bytes/workgroup (compile time only)
; SGPRBlocks: 0
; VGPRBlocks: 0
; NumSGPRsForWavesPerEU: 6
; NumVGPRsForWavesPerEU: 1
; AccumOffset: 4
; Occupancy: 8
; WaveLimiterHint : 0
; COMPUTE_PGM_RSRC2:SCRATCH_EN: 0
; COMPUTE_PGM_RSRC2:USER_SGPR: 2
; COMPUTE_PGM_RSRC2:TRAP_HANDLER: 0
; COMPUTE_PGM_RSRC2:TGID_X_EN: 1
; COMPUTE_PGM_RSRC2:TGID_Y_EN: 0
; COMPUTE_PGM_RSRC2:TGID_Z_EN: 0
; COMPUTE_PGM_RSRC2:TIDIG_COMP_CNT: 0
; COMPUTE_PGM_RSRC3_GFX90A:ACCUM_OFFSET: 0
; COMPUTE_PGM_RSRC3_GFX90A:TG_SPLIT: 0
	.section	.text._ZN7rocprim17ROCPRIM_400000_NS6detail17trampoline_kernelINS0_14default_configENS1_37merge_sort_block_sort_config_selectorIlNS0_10empty_typeEEEZNS1_21merge_sort_block_sortIS3_PlS8_PS5_S9_ZN2at6native12_GLOBAL__N_124unique_dim_cuda_templateIN3c104HalfEEESt5tupleIJNSA_6TensorESH_SH_EERKSH_lbbbEUlllE_EE10hipError_tT0_T1_T2_T3_mRjT4_P12ihipStream_tbNS1_7vsmem_tEEUlT_E_NS1_11comp_targetILNS1_3genE2ELNS1_11target_archE906ELNS1_3gpuE6ELNS1_3repE0EEENS1_30default_config_static_selectorELNS0_4arch9wavefront6targetE1EEEvSO_,"axG",@progbits,_ZN7rocprim17ROCPRIM_400000_NS6detail17trampoline_kernelINS0_14default_configENS1_37merge_sort_block_sort_config_selectorIlNS0_10empty_typeEEEZNS1_21merge_sort_block_sortIS3_PlS8_PS5_S9_ZN2at6native12_GLOBAL__N_124unique_dim_cuda_templateIN3c104HalfEEESt5tupleIJNSA_6TensorESH_SH_EERKSH_lbbbEUlllE_EE10hipError_tT0_T1_T2_T3_mRjT4_P12ihipStream_tbNS1_7vsmem_tEEUlT_E_NS1_11comp_targetILNS1_3genE2ELNS1_11target_archE906ELNS1_3gpuE6ELNS1_3repE0EEENS1_30default_config_static_selectorELNS0_4arch9wavefront6targetE1EEEvSO_,comdat
	.globl	_ZN7rocprim17ROCPRIM_400000_NS6detail17trampoline_kernelINS0_14default_configENS1_37merge_sort_block_sort_config_selectorIlNS0_10empty_typeEEEZNS1_21merge_sort_block_sortIS3_PlS8_PS5_S9_ZN2at6native12_GLOBAL__N_124unique_dim_cuda_templateIN3c104HalfEEESt5tupleIJNSA_6TensorESH_SH_EERKSH_lbbbEUlllE_EE10hipError_tT0_T1_T2_T3_mRjT4_P12ihipStream_tbNS1_7vsmem_tEEUlT_E_NS1_11comp_targetILNS1_3genE2ELNS1_11target_archE906ELNS1_3gpuE6ELNS1_3repE0EEENS1_30default_config_static_selectorELNS0_4arch9wavefront6targetE1EEEvSO_ ; -- Begin function _ZN7rocprim17ROCPRIM_400000_NS6detail17trampoline_kernelINS0_14default_configENS1_37merge_sort_block_sort_config_selectorIlNS0_10empty_typeEEEZNS1_21merge_sort_block_sortIS3_PlS8_PS5_S9_ZN2at6native12_GLOBAL__N_124unique_dim_cuda_templateIN3c104HalfEEESt5tupleIJNSA_6TensorESH_SH_EERKSH_lbbbEUlllE_EE10hipError_tT0_T1_T2_T3_mRjT4_P12ihipStream_tbNS1_7vsmem_tEEUlT_E_NS1_11comp_targetILNS1_3genE2ELNS1_11target_archE906ELNS1_3gpuE6ELNS1_3repE0EEENS1_30default_config_static_selectorELNS0_4arch9wavefront6targetE1EEEvSO_
	.p2align	8
	.type	_ZN7rocprim17ROCPRIM_400000_NS6detail17trampoline_kernelINS0_14default_configENS1_37merge_sort_block_sort_config_selectorIlNS0_10empty_typeEEEZNS1_21merge_sort_block_sortIS3_PlS8_PS5_S9_ZN2at6native12_GLOBAL__N_124unique_dim_cuda_templateIN3c104HalfEEESt5tupleIJNSA_6TensorESH_SH_EERKSH_lbbbEUlllE_EE10hipError_tT0_T1_T2_T3_mRjT4_P12ihipStream_tbNS1_7vsmem_tEEUlT_E_NS1_11comp_targetILNS1_3genE2ELNS1_11target_archE906ELNS1_3gpuE6ELNS1_3repE0EEENS1_30default_config_static_selectorELNS0_4arch9wavefront6targetE1EEEvSO_,@function
_ZN7rocprim17ROCPRIM_400000_NS6detail17trampoline_kernelINS0_14default_configENS1_37merge_sort_block_sort_config_selectorIlNS0_10empty_typeEEEZNS1_21merge_sort_block_sortIS3_PlS8_PS5_S9_ZN2at6native12_GLOBAL__N_124unique_dim_cuda_templateIN3c104HalfEEESt5tupleIJNSA_6TensorESH_SH_EERKSH_lbbbEUlllE_EE10hipError_tT0_T1_T2_T3_mRjT4_P12ihipStream_tbNS1_7vsmem_tEEUlT_E_NS1_11comp_targetILNS1_3genE2ELNS1_11target_archE906ELNS1_3gpuE6ELNS1_3repE0EEENS1_30default_config_static_selectorELNS0_4arch9wavefront6targetE1EEEvSO_: ; @_ZN7rocprim17ROCPRIM_400000_NS6detail17trampoline_kernelINS0_14default_configENS1_37merge_sort_block_sort_config_selectorIlNS0_10empty_typeEEEZNS1_21merge_sort_block_sortIS3_PlS8_PS5_S9_ZN2at6native12_GLOBAL__N_124unique_dim_cuda_templateIN3c104HalfEEESt5tupleIJNSA_6TensorESH_SH_EERKSH_lbbbEUlllE_EE10hipError_tT0_T1_T2_T3_mRjT4_P12ihipStream_tbNS1_7vsmem_tEEUlT_E_NS1_11comp_targetILNS1_3genE2ELNS1_11target_archE906ELNS1_3gpuE6ELNS1_3repE0EEENS1_30default_config_static_selectorELNS0_4arch9wavefront6targetE1EEEvSO_
; %bb.0:
	.section	.rodata,"a",@progbits
	.p2align	6, 0x0
	.amdhsa_kernel _ZN7rocprim17ROCPRIM_400000_NS6detail17trampoline_kernelINS0_14default_configENS1_37merge_sort_block_sort_config_selectorIlNS0_10empty_typeEEEZNS1_21merge_sort_block_sortIS3_PlS8_PS5_S9_ZN2at6native12_GLOBAL__N_124unique_dim_cuda_templateIN3c104HalfEEESt5tupleIJNSA_6TensorESH_SH_EERKSH_lbbbEUlllE_EE10hipError_tT0_T1_T2_T3_mRjT4_P12ihipStream_tbNS1_7vsmem_tEEUlT_E_NS1_11comp_targetILNS1_3genE2ELNS1_11target_archE906ELNS1_3gpuE6ELNS1_3repE0EEENS1_30default_config_static_selectorELNS0_4arch9wavefront6targetE1EEEvSO_
		.amdhsa_group_segment_fixed_size 0
		.amdhsa_private_segment_fixed_size 0
		.amdhsa_kernarg_size 72
		.amdhsa_user_sgpr_count 2
		.amdhsa_user_sgpr_dispatch_ptr 0
		.amdhsa_user_sgpr_queue_ptr 0
		.amdhsa_user_sgpr_kernarg_segment_ptr 1
		.amdhsa_user_sgpr_dispatch_id 0
		.amdhsa_user_sgpr_kernarg_preload_length 0
		.amdhsa_user_sgpr_kernarg_preload_offset 0
		.amdhsa_user_sgpr_private_segment_size 0
		.amdhsa_uses_dynamic_stack 0
		.amdhsa_enable_private_segment 0
		.amdhsa_system_sgpr_workgroup_id_x 1
		.amdhsa_system_sgpr_workgroup_id_y 0
		.amdhsa_system_sgpr_workgroup_id_z 0
		.amdhsa_system_sgpr_workgroup_info 0
		.amdhsa_system_vgpr_workitem_id 0
		.amdhsa_next_free_vgpr 1
		.amdhsa_next_free_sgpr 0
		.amdhsa_accum_offset 4
		.amdhsa_reserve_vcc 0
		.amdhsa_float_round_mode_32 0
		.amdhsa_float_round_mode_16_64 0
		.amdhsa_float_denorm_mode_32 3
		.amdhsa_float_denorm_mode_16_64 3
		.amdhsa_dx10_clamp 1
		.amdhsa_ieee_mode 1
		.amdhsa_fp16_overflow 0
		.amdhsa_tg_split 0
		.amdhsa_exception_fp_ieee_invalid_op 0
		.amdhsa_exception_fp_denorm_src 0
		.amdhsa_exception_fp_ieee_div_zero 0
		.amdhsa_exception_fp_ieee_overflow 0
		.amdhsa_exception_fp_ieee_underflow 0
		.amdhsa_exception_fp_ieee_inexact 0
		.amdhsa_exception_int_div_zero 0
	.end_amdhsa_kernel
	.section	.text._ZN7rocprim17ROCPRIM_400000_NS6detail17trampoline_kernelINS0_14default_configENS1_37merge_sort_block_sort_config_selectorIlNS0_10empty_typeEEEZNS1_21merge_sort_block_sortIS3_PlS8_PS5_S9_ZN2at6native12_GLOBAL__N_124unique_dim_cuda_templateIN3c104HalfEEESt5tupleIJNSA_6TensorESH_SH_EERKSH_lbbbEUlllE_EE10hipError_tT0_T1_T2_T3_mRjT4_P12ihipStream_tbNS1_7vsmem_tEEUlT_E_NS1_11comp_targetILNS1_3genE2ELNS1_11target_archE906ELNS1_3gpuE6ELNS1_3repE0EEENS1_30default_config_static_selectorELNS0_4arch9wavefront6targetE1EEEvSO_,"axG",@progbits,_ZN7rocprim17ROCPRIM_400000_NS6detail17trampoline_kernelINS0_14default_configENS1_37merge_sort_block_sort_config_selectorIlNS0_10empty_typeEEEZNS1_21merge_sort_block_sortIS3_PlS8_PS5_S9_ZN2at6native12_GLOBAL__N_124unique_dim_cuda_templateIN3c104HalfEEESt5tupleIJNSA_6TensorESH_SH_EERKSH_lbbbEUlllE_EE10hipError_tT0_T1_T2_T3_mRjT4_P12ihipStream_tbNS1_7vsmem_tEEUlT_E_NS1_11comp_targetILNS1_3genE2ELNS1_11target_archE906ELNS1_3gpuE6ELNS1_3repE0EEENS1_30default_config_static_selectorELNS0_4arch9wavefront6targetE1EEEvSO_,comdat
.Lfunc_end1243:
	.size	_ZN7rocprim17ROCPRIM_400000_NS6detail17trampoline_kernelINS0_14default_configENS1_37merge_sort_block_sort_config_selectorIlNS0_10empty_typeEEEZNS1_21merge_sort_block_sortIS3_PlS8_PS5_S9_ZN2at6native12_GLOBAL__N_124unique_dim_cuda_templateIN3c104HalfEEESt5tupleIJNSA_6TensorESH_SH_EERKSH_lbbbEUlllE_EE10hipError_tT0_T1_T2_T3_mRjT4_P12ihipStream_tbNS1_7vsmem_tEEUlT_E_NS1_11comp_targetILNS1_3genE2ELNS1_11target_archE906ELNS1_3gpuE6ELNS1_3repE0EEENS1_30default_config_static_selectorELNS0_4arch9wavefront6targetE1EEEvSO_, .Lfunc_end1243-_ZN7rocprim17ROCPRIM_400000_NS6detail17trampoline_kernelINS0_14default_configENS1_37merge_sort_block_sort_config_selectorIlNS0_10empty_typeEEEZNS1_21merge_sort_block_sortIS3_PlS8_PS5_S9_ZN2at6native12_GLOBAL__N_124unique_dim_cuda_templateIN3c104HalfEEESt5tupleIJNSA_6TensorESH_SH_EERKSH_lbbbEUlllE_EE10hipError_tT0_T1_T2_T3_mRjT4_P12ihipStream_tbNS1_7vsmem_tEEUlT_E_NS1_11comp_targetILNS1_3genE2ELNS1_11target_archE906ELNS1_3gpuE6ELNS1_3repE0EEENS1_30default_config_static_selectorELNS0_4arch9wavefront6targetE1EEEvSO_
                                        ; -- End function
	.set _ZN7rocprim17ROCPRIM_400000_NS6detail17trampoline_kernelINS0_14default_configENS1_37merge_sort_block_sort_config_selectorIlNS0_10empty_typeEEEZNS1_21merge_sort_block_sortIS3_PlS8_PS5_S9_ZN2at6native12_GLOBAL__N_124unique_dim_cuda_templateIN3c104HalfEEESt5tupleIJNSA_6TensorESH_SH_EERKSH_lbbbEUlllE_EE10hipError_tT0_T1_T2_T3_mRjT4_P12ihipStream_tbNS1_7vsmem_tEEUlT_E_NS1_11comp_targetILNS1_3genE2ELNS1_11target_archE906ELNS1_3gpuE6ELNS1_3repE0EEENS1_30default_config_static_selectorELNS0_4arch9wavefront6targetE1EEEvSO_.num_vgpr, 0
	.set _ZN7rocprim17ROCPRIM_400000_NS6detail17trampoline_kernelINS0_14default_configENS1_37merge_sort_block_sort_config_selectorIlNS0_10empty_typeEEEZNS1_21merge_sort_block_sortIS3_PlS8_PS5_S9_ZN2at6native12_GLOBAL__N_124unique_dim_cuda_templateIN3c104HalfEEESt5tupleIJNSA_6TensorESH_SH_EERKSH_lbbbEUlllE_EE10hipError_tT0_T1_T2_T3_mRjT4_P12ihipStream_tbNS1_7vsmem_tEEUlT_E_NS1_11comp_targetILNS1_3genE2ELNS1_11target_archE906ELNS1_3gpuE6ELNS1_3repE0EEENS1_30default_config_static_selectorELNS0_4arch9wavefront6targetE1EEEvSO_.num_agpr, 0
	.set _ZN7rocprim17ROCPRIM_400000_NS6detail17trampoline_kernelINS0_14default_configENS1_37merge_sort_block_sort_config_selectorIlNS0_10empty_typeEEEZNS1_21merge_sort_block_sortIS3_PlS8_PS5_S9_ZN2at6native12_GLOBAL__N_124unique_dim_cuda_templateIN3c104HalfEEESt5tupleIJNSA_6TensorESH_SH_EERKSH_lbbbEUlllE_EE10hipError_tT0_T1_T2_T3_mRjT4_P12ihipStream_tbNS1_7vsmem_tEEUlT_E_NS1_11comp_targetILNS1_3genE2ELNS1_11target_archE906ELNS1_3gpuE6ELNS1_3repE0EEENS1_30default_config_static_selectorELNS0_4arch9wavefront6targetE1EEEvSO_.numbered_sgpr, 0
	.set _ZN7rocprim17ROCPRIM_400000_NS6detail17trampoline_kernelINS0_14default_configENS1_37merge_sort_block_sort_config_selectorIlNS0_10empty_typeEEEZNS1_21merge_sort_block_sortIS3_PlS8_PS5_S9_ZN2at6native12_GLOBAL__N_124unique_dim_cuda_templateIN3c104HalfEEESt5tupleIJNSA_6TensorESH_SH_EERKSH_lbbbEUlllE_EE10hipError_tT0_T1_T2_T3_mRjT4_P12ihipStream_tbNS1_7vsmem_tEEUlT_E_NS1_11comp_targetILNS1_3genE2ELNS1_11target_archE906ELNS1_3gpuE6ELNS1_3repE0EEENS1_30default_config_static_selectorELNS0_4arch9wavefront6targetE1EEEvSO_.num_named_barrier, 0
	.set _ZN7rocprim17ROCPRIM_400000_NS6detail17trampoline_kernelINS0_14default_configENS1_37merge_sort_block_sort_config_selectorIlNS0_10empty_typeEEEZNS1_21merge_sort_block_sortIS3_PlS8_PS5_S9_ZN2at6native12_GLOBAL__N_124unique_dim_cuda_templateIN3c104HalfEEESt5tupleIJNSA_6TensorESH_SH_EERKSH_lbbbEUlllE_EE10hipError_tT0_T1_T2_T3_mRjT4_P12ihipStream_tbNS1_7vsmem_tEEUlT_E_NS1_11comp_targetILNS1_3genE2ELNS1_11target_archE906ELNS1_3gpuE6ELNS1_3repE0EEENS1_30default_config_static_selectorELNS0_4arch9wavefront6targetE1EEEvSO_.private_seg_size, 0
	.set _ZN7rocprim17ROCPRIM_400000_NS6detail17trampoline_kernelINS0_14default_configENS1_37merge_sort_block_sort_config_selectorIlNS0_10empty_typeEEEZNS1_21merge_sort_block_sortIS3_PlS8_PS5_S9_ZN2at6native12_GLOBAL__N_124unique_dim_cuda_templateIN3c104HalfEEESt5tupleIJNSA_6TensorESH_SH_EERKSH_lbbbEUlllE_EE10hipError_tT0_T1_T2_T3_mRjT4_P12ihipStream_tbNS1_7vsmem_tEEUlT_E_NS1_11comp_targetILNS1_3genE2ELNS1_11target_archE906ELNS1_3gpuE6ELNS1_3repE0EEENS1_30default_config_static_selectorELNS0_4arch9wavefront6targetE1EEEvSO_.uses_vcc, 0
	.set _ZN7rocprim17ROCPRIM_400000_NS6detail17trampoline_kernelINS0_14default_configENS1_37merge_sort_block_sort_config_selectorIlNS0_10empty_typeEEEZNS1_21merge_sort_block_sortIS3_PlS8_PS5_S9_ZN2at6native12_GLOBAL__N_124unique_dim_cuda_templateIN3c104HalfEEESt5tupleIJNSA_6TensorESH_SH_EERKSH_lbbbEUlllE_EE10hipError_tT0_T1_T2_T3_mRjT4_P12ihipStream_tbNS1_7vsmem_tEEUlT_E_NS1_11comp_targetILNS1_3genE2ELNS1_11target_archE906ELNS1_3gpuE6ELNS1_3repE0EEENS1_30default_config_static_selectorELNS0_4arch9wavefront6targetE1EEEvSO_.uses_flat_scratch, 0
	.set _ZN7rocprim17ROCPRIM_400000_NS6detail17trampoline_kernelINS0_14default_configENS1_37merge_sort_block_sort_config_selectorIlNS0_10empty_typeEEEZNS1_21merge_sort_block_sortIS3_PlS8_PS5_S9_ZN2at6native12_GLOBAL__N_124unique_dim_cuda_templateIN3c104HalfEEESt5tupleIJNSA_6TensorESH_SH_EERKSH_lbbbEUlllE_EE10hipError_tT0_T1_T2_T3_mRjT4_P12ihipStream_tbNS1_7vsmem_tEEUlT_E_NS1_11comp_targetILNS1_3genE2ELNS1_11target_archE906ELNS1_3gpuE6ELNS1_3repE0EEENS1_30default_config_static_selectorELNS0_4arch9wavefront6targetE1EEEvSO_.has_dyn_sized_stack, 0
	.set _ZN7rocprim17ROCPRIM_400000_NS6detail17trampoline_kernelINS0_14default_configENS1_37merge_sort_block_sort_config_selectorIlNS0_10empty_typeEEEZNS1_21merge_sort_block_sortIS3_PlS8_PS5_S9_ZN2at6native12_GLOBAL__N_124unique_dim_cuda_templateIN3c104HalfEEESt5tupleIJNSA_6TensorESH_SH_EERKSH_lbbbEUlllE_EE10hipError_tT0_T1_T2_T3_mRjT4_P12ihipStream_tbNS1_7vsmem_tEEUlT_E_NS1_11comp_targetILNS1_3genE2ELNS1_11target_archE906ELNS1_3gpuE6ELNS1_3repE0EEENS1_30default_config_static_selectorELNS0_4arch9wavefront6targetE1EEEvSO_.has_recursion, 0
	.set _ZN7rocprim17ROCPRIM_400000_NS6detail17trampoline_kernelINS0_14default_configENS1_37merge_sort_block_sort_config_selectorIlNS0_10empty_typeEEEZNS1_21merge_sort_block_sortIS3_PlS8_PS5_S9_ZN2at6native12_GLOBAL__N_124unique_dim_cuda_templateIN3c104HalfEEESt5tupleIJNSA_6TensorESH_SH_EERKSH_lbbbEUlllE_EE10hipError_tT0_T1_T2_T3_mRjT4_P12ihipStream_tbNS1_7vsmem_tEEUlT_E_NS1_11comp_targetILNS1_3genE2ELNS1_11target_archE906ELNS1_3gpuE6ELNS1_3repE0EEENS1_30default_config_static_selectorELNS0_4arch9wavefront6targetE1EEEvSO_.has_indirect_call, 0
	.section	.AMDGPU.csdata,"",@progbits
; Kernel info:
; codeLenInByte = 0
; TotalNumSgprs: 6
; NumVgprs: 0
; NumAgprs: 0
; TotalNumVgprs: 0
; ScratchSize: 0
; MemoryBound: 0
; FloatMode: 240
; IeeeMode: 1
; LDSByteSize: 0 bytes/workgroup (compile time only)
; SGPRBlocks: 0
; VGPRBlocks: 0
; NumSGPRsForWavesPerEU: 6
; NumVGPRsForWavesPerEU: 1
; AccumOffset: 4
; Occupancy: 8
; WaveLimiterHint : 0
; COMPUTE_PGM_RSRC2:SCRATCH_EN: 0
; COMPUTE_PGM_RSRC2:USER_SGPR: 2
; COMPUTE_PGM_RSRC2:TRAP_HANDLER: 0
; COMPUTE_PGM_RSRC2:TGID_X_EN: 1
; COMPUTE_PGM_RSRC2:TGID_Y_EN: 0
; COMPUTE_PGM_RSRC2:TGID_Z_EN: 0
; COMPUTE_PGM_RSRC2:TIDIG_COMP_CNT: 0
; COMPUTE_PGM_RSRC3_GFX90A:ACCUM_OFFSET: 0
; COMPUTE_PGM_RSRC3_GFX90A:TG_SPLIT: 0
	.section	.text._ZN7rocprim17ROCPRIM_400000_NS6detail17trampoline_kernelINS0_14default_configENS1_37merge_sort_block_sort_config_selectorIlNS0_10empty_typeEEEZNS1_21merge_sort_block_sortIS3_PlS8_PS5_S9_ZN2at6native12_GLOBAL__N_124unique_dim_cuda_templateIN3c104HalfEEESt5tupleIJNSA_6TensorESH_SH_EERKSH_lbbbEUlllE_EE10hipError_tT0_T1_T2_T3_mRjT4_P12ihipStream_tbNS1_7vsmem_tEEUlT_E_NS1_11comp_targetILNS1_3genE10ELNS1_11target_archE1201ELNS1_3gpuE5ELNS1_3repE0EEENS1_30default_config_static_selectorELNS0_4arch9wavefront6targetE1EEEvSO_,"axG",@progbits,_ZN7rocprim17ROCPRIM_400000_NS6detail17trampoline_kernelINS0_14default_configENS1_37merge_sort_block_sort_config_selectorIlNS0_10empty_typeEEEZNS1_21merge_sort_block_sortIS3_PlS8_PS5_S9_ZN2at6native12_GLOBAL__N_124unique_dim_cuda_templateIN3c104HalfEEESt5tupleIJNSA_6TensorESH_SH_EERKSH_lbbbEUlllE_EE10hipError_tT0_T1_T2_T3_mRjT4_P12ihipStream_tbNS1_7vsmem_tEEUlT_E_NS1_11comp_targetILNS1_3genE10ELNS1_11target_archE1201ELNS1_3gpuE5ELNS1_3repE0EEENS1_30default_config_static_selectorELNS0_4arch9wavefront6targetE1EEEvSO_,comdat
	.globl	_ZN7rocprim17ROCPRIM_400000_NS6detail17trampoline_kernelINS0_14default_configENS1_37merge_sort_block_sort_config_selectorIlNS0_10empty_typeEEEZNS1_21merge_sort_block_sortIS3_PlS8_PS5_S9_ZN2at6native12_GLOBAL__N_124unique_dim_cuda_templateIN3c104HalfEEESt5tupleIJNSA_6TensorESH_SH_EERKSH_lbbbEUlllE_EE10hipError_tT0_T1_T2_T3_mRjT4_P12ihipStream_tbNS1_7vsmem_tEEUlT_E_NS1_11comp_targetILNS1_3genE10ELNS1_11target_archE1201ELNS1_3gpuE5ELNS1_3repE0EEENS1_30default_config_static_selectorELNS0_4arch9wavefront6targetE1EEEvSO_ ; -- Begin function _ZN7rocprim17ROCPRIM_400000_NS6detail17trampoline_kernelINS0_14default_configENS1_37merge_sort_block_sort_config_selectorIlNS0_10empty_typeEEEZNS1_21merge_sort_block_sortIS3_PlS8_PS5_S9_ZN2at6native12_GLOBAL__N_124unique_dim_cuda_templateIN3c104HalfEEESt5tupleIJNSA_6TensorESH_SH_EERKSH_lbbbEUlllE_EE10hipError_tT0_T1_T2_T3_mRjT4_P12ihipStream_tbNS1_7vsmem_tEEUlT_E_NS1_11comp_targetILNS1_3genE10ELNS1_11target_archE1201ELNS1_3gpuE5ELNS1_3repE0EEENS1_30default_config_static_selectorELNS0_4arch9wavefront6targetE1EEEvSO_
	.p2align	8
	.type	_ZN7rocprim17ROCPRIM_400000_NS6detail17trampoline_kernelINS0_14default_configENS1_37merge_sort_block_sort_config_selectorIlNS0_10empty_typeEEEZNS1_21merge_sort_block_sortIS3_PlS8_PS5_S9_ZN2at6native12_GLOBAL__N_124unique_dim_cuda_templateIN3c104HalfEEESt5tupleIJNSA_6TensorESH_SH_EERKSH_lbbbEUlllE_EE10hipError_tT0_T1_T2_T3_mRjT4_P12ihipStream_tbNS1_7vsmem_tEEUlT_E_NS1_11comp_targetILNS1_3genE10ELNS1_11target_archE1201ELNS1_3gpuE5ELNS1_3repE0EEENS1_30default_config_static_selectorELNS0_4arch9wavefront6targetE1EEEvSO_,@function
_ZN7rocprim17ROCPRIM_400000_NS6detail17trampoline_kernelINS0_14default_configENS1_37merge_sort_block_sort_config_selectorIlNS0_10empty_typeEEEZNS1_21merge_sort_block_sortIS3_PlS8_PS5_S9_ZN2at6native12_GLOBAL__N_124unique_dim_cuda_templateIN3c104HalfEEESt5tupleIJNSA_6TensorESH_SH_EERKSH_lbbbEUlllE_EE10hipError_tT0_T1_T2_T3_mRjT4_P12ihipStream_tbNS1_7vsmem_tEEUlT_E_NS1_11comp_targetILNS1_3genE10ELNS1_11target_archE1201ELNS1_3gpuE5ELNS1_3repE0EEENS1_30default_config_static_selectorELNS0_4arch9wavefront6targetE1EEEvSO_: ; @_ZN7rocprim17ROCPRIM_400000_NS6detail17trampoline_kernelINS0_14default_configENS1_37merge_sort_block_sort_config_selectorIlNS0_10empty_typeEEEZNS1_21merge_sort_block_sortIS3_PlS8_PS5_S9_ZN2at6native12_GLOBAL__N_124unique_dim_cuda_templateIN3c104HalfEEESt5tupleIJNSA_6TensorESH_SH_EERKSH_lbbbEUlllE_EE10hipError_tT0_T1_T2_T3_mRjT4_P12ihipStream_tbNS1_7vsmem_tEEUlT_E_NS1_11comp_targetILNS1_3genE10ELNS1_11target_archE1201ELNS1_3gpuE5ELNS1_3repE0EEENS1_30default_config_static_selectorELNS0_4arch9wavefront6targetE1EEEvSO_
; %bb.0:
	.section	.rodata,"a",@progbits
	.p2align	6, 0x0
	.amdhsa_kernel _ZN7rocprim17ROCPRIM_400000_NS6detail17trampoline_kernelINS0_14default_configENS1_37merge_sort_block_sort_config_selectorIlNS0_10empty_typeEEEZNS1_21merge_sort_block_sortIS3_PlS8_PS5_S9_ZN2at6native12_GLOBAL__N_124unique_dim_cuda_templateIN3c104HalfEEESt5tupleIJNSA_6TensorESH_SH_EERKSH_lbbbEUlllE_EE10hipError_tT0_T1_T2_T3_mRjT4_P12ihipStream_tbNS1_7vsmem_tEEUlT_E_NS1_11comp_targetILNS1_3genE10ELNS1_11target_archE1201ELNS1_3gpuE5ELNS1_3repE0EEENS1_30default_config_static_selectorELNS0_4arch9wavefront6targetE1EEEvSO_
		.amdhsa_group_segment_fixed_size 0
		.amdhsa_private_segment_fixed_size 0
		.amdhsa_kernarg_size 72
		.amdhsa_user_sgpr_count 2
		.amdhsa_user_sgpr_dispatch_ptr 0
		.amdhsa_user_sgpr_queue_ptr 0
		.amdhsa_user_sgpr_kernarg_segment_ptr 1
		.amdhsa_user_sgpr_dispatch_id 0
		.amdhsa_user_sgpr_kernarg_preload_length 0
		.amdhsa_user_sgpr_kernarg_preload_offset 0
		.amdhsa_user_sgpr_private_segment_size 0
		.amdhsa_uses_dynamic_stack 0
		.amdhsa_enable_private_segment 0
		.amdhsa_system_sgpr_workgroup_id_x 1
		.amdhsa_system_sgpr_workgroup_id_y 0
		.amdhsa_system_sgpr_workgroup_id_z 0
		.amdhsa_system_sgpr_workgroup_info 0
		.amdhsa_system_vgpr_workitem_id 0
		.amdhsa_next_free_vgpr 1
		.amdhsa_next_free_sgpr 0
		.amdhsa_accum_offset 4
		.amdhsa_reserve_vcc 0
		.amdhsa_float_round_mode_32 0
		.amdhsa_float_round_mode_16_64 0
		.amdhsa_float_denorm_mode_32 3
		.amdhsa_float_denorm_mode_16_64 3
		.amdhsa_dx10_clamp 1
		.amdhsa_ieee_mode 1
		.amdhsa_fp16_overflow 0
		.amdhsa_tg_split 0
		.amdhsa_exception_fp_ieee_invalid_op 0
		.amdhsa_exception_fp_denorm_src 0
		.amdhsa_exception_fp_ieee_div_zero 0
		.amdhsa_exception_fp_ieee_overflow 0
		.amdhsa_exception_fp_ieee_underflow 0
		.amdhsa_exception_fp_ieee_inexact 0
		.amdhsa_exception_int_div_zero 0
	.end_amdhsa_kernel
	.section	.text._ZN7rocprim17ROCPRIM_400000_NS6detail17trampoline_kernelINS0_14default_configENS1_37merge_sort_block_sort_config_selectorIlNS0_10empty_typeEEEZNS1_21merge_sort_block_sortIS3_PlS8_PS5_S9_ZN2at6native12_GLOBAL__N_124unique_dim_cuda_templateIN3c104HalfEEESt5tupleIJNSA_6TensorESH_SH_EERKSH_lbbbEUlllE_EE10hipError_tT0_T1_T2_T3_mRjT4_P12ihipStream_tbNS1_7vsmem_tEEUlT_E_NS1_11comp_targetILNS1_3genE10ELNS1_11target_archE1201ELNS1_3gpuE5ELNS1_3repE0EEENS1_30default_config_static_selectorELNS0_4arch9wavefront6targetE1EEEvSO_,"axG",@progbits,_ZN7rocprim17ROCPRIM_400000_NS6detail17trampoline_kernelINS0_14default_configENS1_37merge_sort_block_sort_config_selectorIlNS0_10empty_typeEEEZNS1_21merge_sort_block_sortIS3_PlS8_PS5_S9_ZN2at6native12_GLOBAL__N_124unique_dim_cuda_templateIN3c104HalfEEESt5tupleIJNSA_6TensorESH_SH_EERKSH_lbbbEUlllE_EE10hipError_tT0_T1_T2_T3_mRjT4_P12ihipStream_tbNS1_7vsmem_tEEUlT_E_NS1_11comp_targetILNS1_3genE10ELNS1_11target_archE1201ELNS1_3gpuE5ELNS1_3repE0EEENS1_30default_config_static_selectorELNS0_4arch9wavefront6targetE1EEEvSO_,comdat
.Lfunc_end1244:
	.size	_ZN7rocprim17ROCPRIM_400000_NS6detail17trampoline_kernelINS0_14default_configENS1_37merge_sort_block_sort_config_selectorIlNS0_10empty_typeEEEZNS1_21merge_sort_block_sortIS3_PlS8_PS5_S9_ZN2at6native12_GLOBAL__N_124unique_dim_cuda_templateIN3c104HalfEEESt5tupleIJNSA_6TensorESH_SH_EERKSH_lbbbEUlllE_EE10hipError_tT0_T1_T2_T3_mRjT4_P12ihipStream_tbNS1_7vsmem_tEEUlT_E_NS1_11comp_targetILNS1_3genE10ELNS1_11target_archE1201ELNS1_3gpuE5ELNS1_3repE0EEENS1_30default_config_static_selectorELNS0_4arch9wavefront6targetE1EEEvSO_, .Lfunc_end1244-_ZN7rocprim17ROCPRIM_400000_NS6detail17trampoline_kernelINS0_14default_configENS1_37merge_sort_block_sort_config_selectorIlNS0_10empty_typeEEEZNS1_21merge_sort_block_sortIS3_PlS8_PS5_S9_ZN2at6native12_GLOBAL__N_124unique_dim_cuda_templateIN3c104HalfEEESt5tupleIJNSA_6TensorESH_SH_EERKSH_lbbbEUlllE_EE10hipError_tT0_T1_T2_T3_mRjT4_P12ihipStream_tbNS1_7vsmem_tEEUlT_E_NS1_11comp_targetILNS1_3genE10ELNS1_11target_archE1201ELNS1_3gpuE5ELNS1_3repE0EEENS1_30default_config_static_selectorELNS0_4arch9wavefront6targetE1EEEvSO_
                                        ; -- End function
	.set _ZN7rocprim17ROCPRIM_400000_NS6detail17trampoline_kernelINS0_14default_configENS1_37merge_sort_block_sort_config_selectorIlNS0_10empty_typeEEEZNS1_21merge_sort_block_sortIS3_PlS8_PS5_S9_ZN2at6native12_GLOBAL__N_124unique_dim_cuda_templateIN3c104HalfEEESt5tupleIJNSA_6TensorESH_SH_EERKSH_lbbbEUlllE_EE10hipError_tT0_T1_T2_T3_mRjT4_P12ihipStream_tbNS1_7vsmem_tEEUlT_E_NS1_11comp_targetILNS1_3genE10ELNS1_11target_archE1201ELNS1_3gpuE5ELNS1_3repE0EEENS1_30default_config_static_selectorELNS0_4arch9wavefront6targetE1EEEvSO_.num_vgpr, 0
	.set _ZN7rocprim17ROCPRIM_400000_NS6detail17trampoline_kernelINS0_14default_configENS1_37merge_sort_block_sort_config_selectorIlNS0_10empty_typeEEEZNS1_21merge_sort_block_sortIS3_PlS8_PS5_S9_ZN2at6native12_GLOBAL__N_124unique_dim_cuda_templateIN3c104HalfEEESt5tupleIJNSA_6TensorESH_SH_EERKSH_lbbbEUlllE_EE10hipError_tT0_T1_T2_T3_mRjT4_P12ihipStream_tbNS1_7vsmem_tEEUlT_E_NS1_11comp_targetILNS1_3genE10ELNS1_11target_archE1201ELNS1_3gpuE5ELNS1_3repE0EEENS1_30default_config_static_selectorELNS0_4arch9wavefront6targetE1EEEvSO_.num_agpr, 0
	.set _ZN7rocprim17ROCPRIM_400000_NS6detail17trampoline_kernelINS0_14default_configENS1_37merge_sort_block_sort_config_selectorIlNS0_10empty_typeEEEZNS1_21merge_sort_block_sortIS3_PlS8_PS5_S9_ZN2at6native12_GLOBAL__N_124unique_dim_cuda_templateIN3c104HalfEEESt5tupleIJNSA_6TensorESH_SH_EERKSH_lbbbEUlllE_EE10hipError_tT0_T1_T2_T3_mRjT4_P12ihipStream_tbNS1_7vsmem_tEEUlT_E_NS1_11comp_targetILNS1_3genE10ELNS1_11target_archE1201ELNS1_3gpuE5ELNS1_3repE0EEENS1_30default_config_static_selectorELNS0_4arch9wavefront6targetE1EEEvSO_.numbered_sgpr, 0
	.set _ZN7rocprim17ROCPRIM_400000_NS6detail17trampoline_kernelINS0_14default_configENS1_37merge_sort_block_sort_config_selectorIlNS0_10empty_typeEEEZNS1_21merge_sort_block_sortIS3_PlS8_PS5_S9_ZN2at6native12_GLOBAL__N_124unique_dim_cuda_templateIN3c104HalfEEESt5tupleIJNSA_6TensorESH_SH_EERKSH_lbbbEUlllE_EE10hipError_tT0_T1_T2_T3_mRjT4_P12ihipStream_tbNS1_7vsmem_tEEUlT_E_NS1_11comp_targetILNS1_3genE10ELNS1_11target_archE1201ELNS1_3gpuE5ELNS1_3repE0EEENS1_30default_config_static_selectorELNS0_4arch9wavefront6targetE1EEEvSO_.num_named_barrier, 0
	.set _ZN7rocprim17ROCPRIM_400000_NS6detail17trampoline_kernelINS0_14default_configENS1_37merge_sort_block_sort_config_selectorIlNS0_10empty_typeEEEZNS1_21merge_sort_block_sortIS3_PlS8_PS5_S9_ZN2at6native12_GLOBAL__N_124unique_dim_cuda_templateIN3c104HalfEEESt5tupleIJNSA_6TensorESH_SH_EERKSH_lbbbEUlllE_EE10hipError_tT0_T1_T2_T3_mRjT4_P12ihipStream_tbNS1_7vsmem_tEEUlT_E_NS1_11comp_targetILNS1_3genE10ELNS1_11target_archE1201ELNS1_3gpuE5ELNS1_3repE0EEENS1_30default_config_static_selectorELNS0_4arch9wavefront6targetE1EEEvSO_.private_seg_size, 0
	.set _ZN7rocprim17ROCPRIM_400000_NS6detail17trampoline_kernelINS0_14default_configENS1_37merge_sort_block_sort_config_selectorIlNS0_10empty_typeEEEZNS1_21merge_sort_block_sortIS3_PlS8_PS5_S9_ZN2at6native12_GLOBAL__N_124unique_dim_cuda_templateIN3c104HalfEEESt5tupleIJNSA_6TensorESH_SH_EERKSH_lbbbEUlllE_EE10hipError_tT0_T1_T2_T3_mRjT4_P12ihipStream_tbNS1_7vsmem_tEEUlT_E_NS1_11comp_targetILNS1_3genE10ELNS1_11target_archE1201ELNS1_3gpuE5ELNS1_3repE0EEENS1_30default_config_static_selectorELNS0_4arch9wavefront6targetE1EEEvSO_.uses_vcc, 0
	.set _ZN7rocprim17ROCPRIM_400000_NS6detail17trampoline_kernelINS0_14default_configENS1_37merge_sort_block_sort_config_selectorIlNS0_10empty_typeEEEZNS1_21merge_sort_block_sortIS3_PlS8_PS5_S9_ZN2at6native12_GLOBAL__N_124unique_dim_cuda_templateIN3c104HalfEEESt5tupleIJNSA_6TensorESH_SH_EERKSH_lbbbEUlllE_EE10hipError_tT0_T1_T2_T3_mRjT4_P12ihipStream_tbNS1_7vsmem_tEEUlT_E_NS1_11comp_targetILNS1_3genE10ELNS1_11target_archE1201ELNS1_3gpuE5ELNS1_3repE0EEENS1_30default_config_static_selectorELNS0_4arch9wavefront6targetE1EEEvSO_.uses_flat_scratch, 0
	.set _ZN7rocprim17ROCPRIM_400000_NS6detail17trampoline_kernelINS0_14default_configENS1_37merge_sort_block_sort_config_selectorIlNS0_10empty_typeEEEZNS1_21merge_sort_block_sortIS3_PlS8_PS5_S9_ZN2at6native12_GLOBAL__N_124unique_dim_cuda_templateIN3c104HalfEEESt5tupleIJNSA_6TensorESH_SH_EERKSH_lbbbEUlllE_EE10hipError_tT0_T1_T2_T3_mRjT4_P12ihipStream_tbNS1_7vsmem_tEEUlT_E_NS1_11comp_targetILNS1_3genE10ELNS1_11target_archE1201ELNS1_3gpuE5ELNS1_3repE0EEENS1_30default_config_static_selectorELNS0_4arch9wavefront6targetE1EEEvSO_.has_dyn_sized_stack, 0
	.set _ZN7rocprim17ROCPRIM_400000_NS6detail17trampoline_kernelINS0_14default_configENS1_37merge_sort_block_sort_config_selectorIlNS0_10empty_typeEEEZNS1_21merge_sort_block_sortIS3_PlS8_PS5_S9_ZN2at6native12_GLOBAL__N_124unique_dim_cuda_templateIN3c104HalfEEESt5tupleIJNSA_6TensorESH_SH_EERKSH_lbbbEUlllE_EE10hipError_tT0_T1_T2_T3_mRjT4_P12ihipStream_tbNS1_7vsmem_tEEUlT_E_NS1_11comp_targetILNS1_3genE10ELNS1_11target_archE1201ELNS1_3gpuE5ELNS1_3repE0EEENS1_30default_config_static_selectorELNS0_4arch9wavefront6targetE1EEEvSO_.has_recursion, 0
	.set _ZN7rocprim17ROCPRIM_400000_NS6detail17trampoline_kernelINS0_14default_configENS1_37merge_sort_block_sort_config_selectorIlNS0_10empty_typeEEEZNS1_21merge_sort_block_sortIS3_PlS8_PS5_S9_ZN2at6native12_GLOBAL__N_124unique_dim_cuda_templateIN3c104HalfEEESt5tupleIJNSA_6TensorESH_SH_EERKSH_lbbbEUlllE_EE10hipError_tT0_T1_T2_T3_mRjT4_P12ihipStream_tbNS1_7vsmem_tEEUlT_E_NS1_11comp_targetILNS1_3genE10ELNS1_11target_archE1201ELNS1_3gpuE5ELNS1_3repE0EEENS1_30default_config_static_selectorELNS0_4arch9wavefront6targetE1EEEvSO_.has_indirect_call, 0
	.section	.AMDGPU.csdata,"",@progbits
; Kernel info:
; codeLenInByte = 0
; TotalNumSgprs: 6
; NumVgprs: 0
; NumAgprs: 0
; TotalNumVgprs: 0
; ScratchSize: 0
; MemoryBound: 0
; FloatMode: 240
; IeeeMode: 1
; LDSByteSize: 0 bytes/workgroup (compile time only)
; SGPRBlocks: 0
; VGPRBlocks: 0
; NumSGPRsForWavesPerEU: 6
; NumVGPRsForWavesPerEU: 1
; AccumOffset: 4
; Occupancy: 8
; WaveLimiterHint : 0
; COMPUTE_PGM_RSRC2:SCRATCH_EN: 0
; COMPUTE_PGM_RSRC2:USER_SGPR: 2
; COMPUTE_PGM_RSRC2:TRAP_HANDLER: 0
; COMPUTE_PGM_RSRC2:TGID_X_EN: 1
; COMPUTE_PGM_RSRC2:TGID_Y_EN: 0
; COMPUTE_PGM_RSRC2:TGID_Z_EN: 0
; COMPUTE_PGM_RSRC2:TIDIG_COMP_CNT: 0
; COMPUTE_PGM_RSRC3_GFX90A:ACCUM_OFFSET: 0
; COMPUTE_PGM_RSRC3_GFX90A:TG_SPLIT: 0
	.section	.text._ZN7rocprim17ROCPRIM_400000_NS6detail17trampoline_kernelINS0_14default_configENS1_37merge_sort_block_sort_config_selectorIlNS0_10empty_typeEEEZNS1_21merge_sort_block_sortIS3_PlS8_PS5_S9_ZN2at6native12_GLOBAL__N_124unique_dim_cuda_templateIN3c104HalfEEESt5tupleIJNSA_6TensorESH_SH_EERKSH_lbbbEUlllE_EE10hipError_tT0_T1_T2_T3_mRjT4_P12ihipStream_tbNS1_7vsmem_tEEUlT_E_NS1_11comp_targetILNS1_3genE10ELNS1_11target_archE1200ELNS1_3gpuE4ELNS1_3repE0EEENS1_30default_config_static_selectorELNS0_4arch9wavefront6targetE1EEEvSO_,"axG",@progbits,_ZN7rocprim17ROCPRIM_400000_NS6detail17trampoline_kernelINS0_14default_configENS1_37merge_sort_block_sort_config_selectorIlNS0_10empty_typeEEEZNS1_21merge_sort_block_sortIS3_PlS8_PS5_S9_ZN2at6native12_GLOBAL__N_124unique_dim_cuda_templateIN3c104HalfEEESt5tupleIJNSA_6TensorESH_SH_EERKSH_lbbbEUlllE_EE10hipError_tT0_T1_T2_T3_mRjT4_P12ihipStream_tbNS1_7vsmem_tEEUlT_E_NS1_11comp_targetILNS1_3genE10ELNS1_11target_archE1200ELNS1_3gpuE4ELNS1_3repE0EEENS1_30default_config_static_selectorELNS0_4arch9wavefront6targetE1EEEvSO_,comdat
	.globl	_ZN7rocprim17ROCPRIM_400000_NS6detail17trampoline_kernelINS0_14default_configENS1_37merge_sort_block_sort_config_selectorIlNS0_10empty_typeEEEZNS1_21merge_sort_block_sortIS3_PlS8_PS5_S9_ZN2at6native12_GLOBAL__N_124unique_dim_cuda_templateIN3c104HalfEEESt5tupleIJNSA_6TensorESH_SH_EERKSH_lbbbEUlllE_EE10hipError_tT0_T1_T2_T3_mRjT4_P12ihipStream_tbNS1_7vsmem_tEEUlT_E_NS1_11comp_targetILNS1_3genE10ELNS1_11target_archE1200ELNS1_3gpuE4ELNS1_3repE0EEENS1_30default_config_static_selectorELNS0_4arch9wavefront6targetE1EEEvSO_ ; -- Begin function _ZN7rocprim17ROCPRIM_400000_NS6detail17trampoline_kernelINS0_14default_configENS1_37merge_sort_block_sort_config_selectorIlNS0_10empty_typeEEEZNS1_21merge_sort_block_sortIS3_PlS8_PS5_S9_ZN2at6native12_GLOBAL__N_124unique_dim_cuda_templateIN3c104HalfEEESt5tupleIJNSA_6TensorESH_SH_EERKSH_lbbbEUlllE_EE10hipError_tT0_T1_T2_T3_mRjT4_P12ihipStream_tbNS1_7vsmem_tEEUlT_E_NS1_11comp_targetILNS1_3genE10ELNS1_11target_archE1200ELNS1_3gpuE4ELNS1_3repE0EEENS1_30default_config_static_selectorELNS0_4arch9wavefront6targetE1EEEvSO_
	.p2align	8
	.type	_ZN7rocprim17ROCPRIM_400000_NS6detail17trampoline_kernelINS0_14default_configENS1_37merge_sort_block_sort_config_selectorIlNS0_10empty_typeEEEZNS1_21merge_sort_block_sortIS3_PlS8_PS5_S9_ZN2at6native12_GLOBAL__N_124unique_dim_cuda_templateIN3c104HalfEEESt5tupleIJNSA_6TensorESH_SH_EERKSH_lbbbEUlllE_EE10hipError_tT0_T1_T2_T3_mRjT4_P12ihipStream_tbNS1_7vsmem_tEEUlT_E_NS1_11comp_targetILNS1_3genE10ELNS1_11target_archE1200ELNS1_3gpuE4ELNS1_3repE0EEENS1_30default_config_static_selectorELNS0_4arch9wavefront6targetE1EEEvSO_,@function
_ZN7rocprim17ROCPRIM_400000_NS6detail17trampoline_kernelINS0_14default_configENS1_37merge_sort_block_sort_config_selectorIlNS0_10empty_typeEEEZNS1_21merge_sort_block_sortIS3_PlS8_PS5_S9_ZN2at6native12_GLOBAL__N_124unique_dim_cuda_templateIN3c104HalfEEESt5tupleIJNSA_6TensorESH_SH_EERKSH_lbbbEUlllE_EE10hipError_tT0_T1_T2_T3_mRjT4_P12ihipStream_tbNS1_7vsmem_tEEUlT_E_NS1_11comp_targetILNS1_3genE10ELNS1_11target_archE1200ELNS1_3gpuE4ELNS1_3repE0EEENS1_30default_config_static_selectorELNS0_4arch9wavefront6targetE1EEEvSO_: ; @_ZN7rocprim17ROCPRIM_400000_NS6detail17trampoline_kernelINS0_14default_configENS1_37merge_sort_block_sort_config_selectorIlNS0_10empty_typeEEEZNS1_21merge_sort_block_sortIS3_PlS8_PS5_S9_ZN2at6native12_GLOBAL__N_124unique_dim_cuda_templateIN3c104HalfEEESt5tupleIJNSA_6TensorESH_SH_EERKSH_lbbbEUlllE_EE10hipError_tT0_T1_T2_T3_mRjT4_P12ihipStream_tbNS1_7vsmem_tEEUlT_E_NS1_11comp_targetILNS1_3genE10ELNS1_11target_archE1200ELNS1_3gpuE4ELNS1_3repE0EEENS1_30default_config_static_selectorELNS0_4arch9wavefront6targetE1EEEvSO_
; %bb.0:
	.section	.rodata,"a",@progbits
	.p2align	6, 0x0
	.amdhsa_kernel _ZN7rocprim17ROCPRIM_400000_NS6detail17trampoline_kernelINS0_14default_configENS1_37merge_sort_block_sort_config_selectorIlNS0_10empty_typeEEEZNS1_21merge_sort_block_sortIS3_PlS8_PS5_S9_ZN2at6native12_GLOBAL__N_124unique_dim_cuda_templateIN3c104HalfEEESt5tupleIJNSA_6TensorESH_SH_EERKSH_lbbbEUlllE_EE10hipError_tT0_T1_T2_T3_mRjT4_P12ihipStream_tbNS1_7vsmem_tEEUlT_E_NS1_11comp_targetILNS1_3genE10ELNS1_11target_archE1200ELNS1_3gpuE4ELNS1_3repE0EEENS1_30default_config_static_selectorELNS0_4arch9wavefront6targetE1EEEvSO_
		.amdhsa_group_segment_fixed_size 0
		.amdhsa_private_segment_fixed_size 0
		.amdhsa_kernarg_size 72
		.amdhsa_user_sgpr_count 2
		.amdhsa_user_sgpr_dispatch_ptr 0
		.amdhsa_user_sgpr_queue_ptr 0
		.amdhsa_user_sgpr_kernarg_segment_ptr 1
		.amdhsa_user_sgpr_dispatch_id 0
		.amdhsa_user_sgpr_kernarg_preload_length 0
		.amdhsa_user_sgpr_kernarg_preload_offset 0
		.amdhsa_user_sgpr_private_segment_size 0
		.amdhsa_uses_dynamic_stack 0
		.amdhsa_enable_private_segment 0
		.amdhsa_system_sgpr_workgroup_id_x 1
		.amdhsa_system_sgpr_workgroup_id_y 0
		.amdhsa_system_sgpr_workgroup_id_z 0
		.amdhsa_system_sgpr_workgroup_info 0
		.amdhsa_system_vgpr_workitem_id 0
		.amdhsa_next_free_vgpr 1
		.amdhsa_next_free_sgpr 0
		.amdhsa_accum_offset 4
		.amdhsa_reserve_vcc 0
		.amdhsa_float_round_mode_32 0
		.amdhsa_float_round_mode_16_64 0
		.amdhsa_float_denorm_mode_32 3
		.amdhsa_float_denorm_mode_16_64 3
		.amdhsa_dx10_clamp 1
		.amdhsa_ieee_mode 1
		.amdhsa_fp16_overflow 0
		.amdhsa_tg_split 0
		.amdhsa_exception_fp_ieee_invalid_op 0
		.amdhsa_exception_fp_denorm_src 0
		.amdhsa_exception_fp_ieee_div_zero 0
		.amdhsa_exception_fp_ieee_overflow 0
		.amdhsa_exception_fp_ieee_underflow 0
		.amdhsa_exception_fp_ieee_inexact 0
		.amdhsa_exception_int_div_zero 0
	.end_amdhsa_kernel
	.section	.text._ZN7rocprim17ROCPRIM_400000_NS6detail17trampoline_kernelINS0_14default_configENS1_37merge_sort_block_sort_config_selectorIlNS0_10empty_typeEEEZNS1_21merge_sort_block_sortIS3_PlS8_PS5_S9_ZN2at6native12_GLOBAL__N_124unique_dim_cuda_templateIN3c104HalfEEESt5tupleIJNSA_6TensorESH_SH_EERKSH_lbbbEUlllE_EE10hipError_tT0_T1_T2_T3_mRjT4_P12ihipStream_tbNS1_7vsmem_tEEUlT_E_NS1_11comp_targetILNS1_3genE10ELNS1_11target_archE1200ELNS1_3gpuE4ELNS1_3repE0EEENS1_30default_config_static_selectorELNS0_4arch9wavefront6targetE1EEEvSO_,"axG",@progbits,_ZN7rocprim17ROCPRIM_400000_NS6detail17trampoline_kernelINS0_14default_configENS1_37merge_sort_block_sort_config_selectorIlNS0_10empty_typeEEEZNS1_21merge_sort_block_sortIS3_PlS8_PS5_S9_ZN2at6native12_GLOBAL__N_124unique_dim_cuda_templateIN3c104HalfEEESt5tupleIJNSA_6TensorESH_SH_EERKSH_lbbbEUlllE_EE10hipError_tT0_T1_T2_T3_mRjT4_P12ihipStream_tbNS1_7vsmem_tEEUlT_E_NS1_11comp_targetILNS1_3genE10ELNS1_11target_archE1200ELNS1_3gpuE4ELNS1_3repE0EEENS1_30default_config_static_selectorELNS0_4arch9wavefront6targetE1EEEvSO_,comdat
.Lfunc_end1245:
	.size	_ZN7rocprim17ROCPRIM_400000_NS6detail17trampoline_kernelINS0_14default_configENS1_37merge_sort_block_sort_config_selectorIlNS0_10empty_typeEEEZNS1_21merge_sort_block_sortIS3_PlS8_PS5_S9_ZN2at6native12_GLOBAL__N_124unique_dim_cuda_templateIN3c104HalfEEESt5tupleIJNSA_6TensorESH_SH_EERKSH_lbbbEUlllE_EE10hipError_tT0_T1_T2_T3_mRjT4_P12ihipStream_tbNS1_7vsmem_tEEUlT_E_NS1_11comp_targetILNS1_3genE10ELNS1_11target_archE1200ELNS1_3gpuE4ELNS1_3repE0EEENS1_30default_config_static_selectorELNS0_4arch9wavefront6targetE1EEEvSO_, .Lfunc_end1245-_ZN7rocprim17ROCPRIM_400000_NS6detail17trampoline_kernelINS0_14default_configENS1_37merge_sort_block_sort_config_selectorIlNS0_10empty_typeEEEZNS1_21merge_sort_block_sortIS3_PlS8_PS5_S9_ZN2at6native12_GLOBAL__N_124unique_dim_cuda_templateIN3c104HalfEEESt5tupleIJNSA_6TensorESH_SH_EERKSH_lbbbEUlllE_EE10hipError_tT0_T1_T2_T3_mRjT4_P12ihipStream_tbNS1_7vsmem_tEEUlT_E_NS1_11comp_targetILNS1_3genE10ELNS1_11target_archE1200ELNS1_3gpuE4ELNS1_3repE0EEENS1_30default_config_static_selectorELNS0_4arch9wavefront6targetE1EEEvSO_
                                        ; -- End function
	.set _ZN7rocprim17ROCPRIM_400000_NS6detail17trampoline_kernelINS0_14default_configENS1_37merge_sort_block_sort_config_selectorIlNS0_10empty_typeEEEZNS1_21merge_sort_block_sortIS3_PlS8_PS5_S9_ZN2at6native12_GLOBAL__N_124unique_dim_cuda_templateIN3c104HalfEEESt5tupleIJNSA_6TensorESH_SH_EERKSH_lbbbEUlllE_EE10hipError_tT0_T1_T2_T3_mRjT4_P12ihipStream_tbNS1_7vsmem_tEEUlT_E_NS1_11comp_targetILNS1_3genE10ELNS1_11target_archE1200ELNS1_3gpuE4ELNS1_3repE0EEENS1_30default_config_static_selectorELNS0_4arch9wavefront6targetE1EEEvSO_.num_vgpr, 0
	.set _ZN7rocprim17ROCPRIM_400000_NS6detail17trampoline_kernelINS0_14default_configENS1_37merge_sort_block_sort_config_selectorIlNS0_10empty_typeEEEZNS1_21merge_sort_block_sortIS3_PlS8_PS5_S9_ZN2at6native12_GLOBAL__N_124unique_dim_cuda_templateIN3c104HalfEEESt5tupleIJNSA_6TensorESH_SH_EERKSH_lbbbEUlllE_EE10hipError_tT0_T1_T2_T3_mRjT4_P12ihipStream_tbNS1_7vsmem_tEEUlT_E_NS1_11comp_targetILNS1_3genE10ELNS1_11target_archE1200ELNS1_3gpuE4ELNS1_3repE0EEENS1_30default_config_static_selectorELNS0_4arch9wavefront6targetE1EEEvSO_.num_agpr, 0
	.set _ZN7rocprim17ROCPRIM_400000_NS6detail17trampoline_kernelINS0_14default_configENS1_37merge_sort_block_sort_config_selectorIlNS0_10empty_typeEEEZNS1_21merge_sort_block_sortIS3_PlS8_PS5_S9_ZN2at6native12_GLOBAL__N_124unique_dim_cuda_templateIN3c104HalfEEESt5tupleIJNSA_6TensorESH_SH_EERKSH_lbbbEUlllE_EE10hipError_tT0_T1_T2_T3_mRjT4_P12ihipStream_tbNS1_7vsmem_tEEUlT_E_NS1_11comp_targetILNS1_3genE10ELNS1_11target_archE1200ELNS1_3gpuE4ELNS1_3repE0EEENS1_30default_config_static_selectorELNS0_4arch9wavefront6targetE1EEEvSO_.numbered_sgpr, 0
	.set _ZN7rocprim17ROCPRIM_400000_NS6detail17trampoline_kernelINS0_14default_configENS1_37merge_sort_block_sort_config_selectorIlNS0_10empty_typeEEEZNS1_21merge_sort_block_sortIS3_PlS8_PS5_S9_ZN2at6native12_GLOBAL__N_124unique_dim_cuda_templateIN3c104HalfEEESt5tupleIJNSA_6TensorESH_SH_EERKSH_lbbbEUlllE_EE10hipError_tT0_T1_T2_T3_mRjT4_P12ihipStream_tbNS1_7vsmem_tEEUlT_E_NS1_11comp_targetILNS1_3genE10ELNS1_11target_archE1200ELNS1_3gpuE4ELNS1_3repE0EEENS1_30default_config_static_selectorELNS0_4arch9wavefront6targetE1EEEvSO_.num_named_barrier, 0
	.set _ZN7rocprim17ROCPRIM_400000_NS6detail17trampoline_kernelINS0_14default_configENS1_37merge_sort_block_sort_config_selectorIlNS0_10empty_typeEEEZNS1_21merge_sort_block_sortIS3_PlS8_PS5_S9_ZN2at6native12_GLOBAL__N_124unique_dim_cuda_templateIN3c104HalfEEESt5tupleIJNSA_6TensorESH_SH_EERKSH_lbbbEUlllE_EE10hipError_tT0_T1_T2_T3_mRjT4_P12ihipStream_tbNS1_7vsmem_tEEUlT_E_NS1_11comp_targetILNS1_3genE10ELNS1_11target_archE1200ELNS1_3gpuE4ELNS1_3repE0EEENS1_30default_config_static_selectorELNS0_4arch9wavefront6targetE1EEEvSO_.private_seg_size, 0
	.set _ZN7rocprim17ROCPRIM_400000_NS6detail17trampoline_kernelINS0_14default_configENS1_37merge_sort_block_sort_config_selectorIlNS0_10empty_typeEEEZNS1_21merge_sort_block_sortIS3_PlS8_PS5_S9_ZN2at6native12_GLOBAL__N_124unique_dim_cuda_templateIN3c104HalfEEESt5tupleIJNSA_6TensorESH_SH_EERKSH_lbbbEUlllE_EE10hipError_tT0_T1_T2_T3_mRjT4_P12ihipStream_tbNS1_7vsmem_tEEUlT_E_NS1_11comp_targetILNS1_3genE10ELNS1_11target_archE1200ELNS1_3gpuE4ELNS1_3repE0EEENS1_30default_config_static_selectorELNS0_4arch9wavefront6targetE1EEEvSO_.uses_vcc, 0
	.set _ZN7rocprim17ROCPRIM_400000_NS6detail17trampoline_kernelINS0_14default_configENS1_37merge_sort_block_sort_config_selectorIlNS0_10empty_typeEEEZNS1_21merge_sort_block_sortIS3_PlS8_PS5_S9_ZN2at6native12_GLOBAL__N_124unique_dim_cuda_templateIN3c104HalfEEESt5tupleIJNSA_6TensorESH_SH_EERKSH_lbbbEUlllE_EE10hipError_tT0_T1_T2_T3_mRjT4_P12ihipStream_tbNS1_7vsmem_tEEUlT_E_NS1_11comp_targetILNS1_3genE10ELNS1_11target_archE1200ELNS1_3gpuE4ELNS1_3repE0EEENS1_30default_config_static_selectorELNS0_4arch9wavefront6targetE1EEEvSO_.uses_flat_scratch, 0
	.set _ZN7rocprim17ROCPRIM_400000_NS6detail17trampoline_kernelINS0_14default_configENS1_37merge_sort_block_sort_config_selectorIlNS0_10empty_typeEEEZNS1_21merge_sort_block_sortIS3_PlS8_PS5_S9_ZN2at6native12_GLOBAL__N_124unique_dim_cuda_templateIN3c104HalfEEESt5tupleIJNSA_6TensorESH_SH_EERKSH_lbbbEUlllE_EE10hipError_tT0_T1_T2_T3_mRjT4_P12ihipStream_tbNS1_7vsmem_tEEUlT_E_NS1_11comp_targetILNS1_3genE10ELNS1_11target_archE1200ELNS1_3gpuE4ELNS1_3repE0EEENS1_30default_config_static_selectorELNS0_4arch9wavefront6targetE1EEEvSO_.has_dyn_sized_stack, 0
	.set _ZN7rocprim17ROCPRIM_400000_NS6detail17trampoline_kernelINS0_14default_configENS1_37merge_sort_block_sort_config_selectorIlNS0_10empty_typeEEEZNS1_21merge_sort_block_sortIS3_PlS8_PS5_S9_ZN2at6native12_GLOBAL__N_124unique_dim_cuda_templateIN3c104HalfEEESt5tupleIJNSA_6TensorESH_SH_EERKSH_lbbbEUlllE_EE10hipError_tT0_T1_T2_T3_mRjT4_P12ihipStream_tbNS1_7vsmem_tEEUlT_E_NS1_11comp_targetILNS1_3genE10ELNS1_11target_archE1200ELNS1_3gpuE4ELNS1_3repE0EEENS1_30default_config_static_selectorELNS0_4arch9wavefront6targetE1EEEvSO_.has_recursion, 0
	.set _ZN7rocprim17ROCPRIM_400000_NS6detail17trampoline_kernelINS0_14default_configENS1_37merge_sort_block_sort_config_selectorIlNS0_10empty_typeEEEZNS1_21merge_sort_block_sortIS3_PlS8_PS5_S9_ZN2at6native12_GLOBAL__N_124unique_dim_cuda_templateIN3c104HalfEEESt5tupleIJNSA_6TensorESH_SH_EERKSH_lbbbEUlllE_EE10hipError_tT0_T1_T2_T3_mRjT4_P12ihipStream_tbNS1_7vsmem_tEEUlT_E_NS1_11comp_targetILNS1_3genE10ELNS1_11target_archE1200ELNS1_3gpuE4ELNS1_3repE0EEENS1_30default_config_static_selectorELNS0_4arch9wavefront6targetE1EEEvSO_.has_indirect_call, 0
	.section	.AMDGPU.csdata,"",@progbits
; Kernel info:
; codeLenInByte = 0
; TotalNumSgprs: 6
; NumVgprs: 0
; NumAgprs: 0
; TotalNumVgprs: 0
; ScratchSize: 0
; MemoryBound: 0
; FloatMode: 240
; IeeeMode: 1
; LDSByteSize: 0 bytes/workgroup (compile time only)
; SGPRBlocks: 0
; VGPRBlocks: 0
; NumSGPRsForWavesPerEU: 6
; NumVGPRsForWavesPerEU: 1
; AccumOffset: 4
; Occupancy: 8
; WaveLimiterHint : 0
; COMPUTE_PGM_RSRC2:SCRATCH_EN: 0
; COMPUTE_PGM_RSRC2:USER_SGPR: 2
; COMPUTE_PGM_RSRC2:TRAP_HANDLER: 0
; COMPUTE_PGM_RSRC2:TGID_X_EN: 1
; COMPUTE_PGM_RSRC2:TGID_Y_EN: 0
; COMPUTE_PGM_RSRC2:TGID_Z_EN: 0
; COMPUTE_PGM_RSRC2:TIDIG_COMP_CNT: 0
; COMPUTE_PGM_RSRC3_GFX90A:ACCUM_OFFSET: 0
; COMPUTE_PGM_RSRC3_GFX90A:TG_SPLIT: 0
	.section	.text._ZN7rocprim17ROCPRIM_400000_NS6detail17trampoline_kernelINS0_14default_configENS1_37merge_sort_block_sort_config_selectorIlNS0_10empty_typeEEEZNS1_21merge_sort_block_sortIS3_PlS8_PS5_S9_ZN2at6native12_GLOBAL__N_124unique_dim_cuda_templateIN3c104HalfEEESt5tupleIJNSA_6TensorESH_SH_EERKSH_lbbbEUlllE_EE10hipError_tT0_T1_T2_T3_mRjT4_P12ihipStream_tbNS1_7vsmem_tEEUlT_E_NS1_11comp_targetILNS1_3genE9ELNS1_11target_archE1100ELNS1_3gpuE3ELNS1_3repE0EEENS1_30default_config_static_selectorELNS0_4arch9wavefront6targetE1EEEvSO_,"axG",@progbits,_ZN7rocprim17ROCPRIM_400000_NS6detail17trampoline_kernelINS0_14default_configENS1_37merge_sort_block_sort_config_selectorIlNS0_10empty_typeEEEZNS1_21merge_sort_block_sortIS3_PlS8_PS5_S9_ZN2at6native12_GLOBAL__N_124unique_dim_cuda_templateIN3c104HalfEEESt5tupleIJNSA_6TensorESH_SH_EERKSH_lbbbEUlllE_EE10hipError_tT0_T1_T2_T3_mRjT4_P12ihipStream_tbNS1_7vsmem_tEEUlT_E_NS1_11comp_targetILNS1_3genE9ELNS1_11target_archE1100ELNS1_3gpuE3ELNS1_3repE0EEENS1_30default_config_static_selectorELNS0_4arch9wavefront6targetE1EEEvSO_,comdat
	.globl	_ZN7rocprim17ROCPRIM_400000_NS6detail17trampoline_kernelINS0_14default_configENS1_37merge_sort_block_sort_config_selectorIlNS0_10empty_typeEEEZNS1_21merge_sort_block_sortIS3_PlS8_PS5_S9_ZN2at6native12_GLOBAL__N_124unique_dim_cuda_templateIN3c104HalfEEESt5tupleIJNSA_6TensorESH_SH_EERKSH_lbbbEUlllE_EE10hipError_tT0_T1_T2_T3_mRjT4_P12ihipStream_tbNS1_7vsmem_tEEUlT_E_NS1_11comp_targetILNS1_3genE9ELNS1_11target_archE1100ELNS1_3gpuE3ELNS1_3repE0EEENS1_30default_config_static_selectorELNS0_4arch9wavefront6targetE1EEEvSO_ ; -- Begin function _ZN7rocprim17ROCPRIM_400000_NS6detail17trampoline_kernelINS0_14default_configENS1_37merge_sort_block_sort_config_selectorIlNS0_10empty_typeEEEZNS1_21merge_sort_block_sortIS3_PlS8_PS5_S9_ZN2at6native12_GLOBAL__N_124unique_dim_cuda_templateIN3c104HalfEEESt5tupleIJNSA_6TensorESH_SH_EERKSH_lbbbEUlllE_EE10hipError_tT0_T1_T2_T3_mRjT4_P12ihipStream_tbNS1_7vsmem_tEEUlT_E_NS1_11comp_targetILNS1_3genE9ELNS1_11target_archE1100ELNS1_3gpuE3ELNS1_3repE0EEENS1_30default_config_static_selectorELNS0_4arch9wavefront6targetE1EEEvSO_
	.p2align	8
	.type	_ZN7rocprim17ROCPRIM_400000_NS6detail17trampoline_kernelINS0_14default_configENS1_37merge_sort_block_sort_config_selectorIlNS0_10empty_typeEEEZNS1_21merge_sort_block_sortIS3_PlS8_PS5_S9_ZN2at6native12_GLOBAL__N_124unique_dim_cuda_templateIN3c104HalfEEESt5tupleIJNSA_6TensorESH_SH_EERKSH_lbbbEUlllE_EE10hipError_tT0_T1_T2_T3_mRjT4_P12ihipStream_tbNS1_7vsmem_tEEUlT_E_NS1_11comp_targetILNS1_3genE9ELNS1_11target_archE1100ELNS1_3gpuE3ELNS1_3repE0EEENS1_30default_config_static_selectorELNS0_4arch9wavefront6targetE1EEEvSO_,@function
_ZN7rocprim17ROCPRIM_400000_NS6detail17trampoline_kernelINS0_14default_configENS1_37merge_sort_block_sort_config_selectorIlNS0_10empty_typeEEEZNS1_21merge_sort_block_sortIS3_PlS8_PS5_S9_ZN2at6native12_GLOBAL__N_124unique_dim_cuda_templateIN3c104HalfEEESt5tupleIJNSA_6TensorESH_SH_EERKSH_lbbbEUlllE_EE10hipError_tT0_T1_T2_T3_mRjT4_P12ihipStream_tbNS1_7vsmem_tEEUlT_E_NS1_11comp_targetILNS1_3genE9ELNS1_11target_archE1100ELNS1_3gpuE3ELNS1_3repE0EEENS1_30default_config_static_selectorELNS0_4arch9wavefront6targetE1EEEvSO_: ; @_ZN7rocprim17ROCPRIM_400000_NS6detail17trampoline_kernelINS0_14default_configENS1_37merge_sort_block_sort_config_selectorIlNS0_10empty_typeEEEZNS1_21merge_sort_block_sortIS3_PlS8_PS5_S9_ZN2at6native12_GLOBAL__N_124unique_dim_cuda_templateIN3c104HalfEEESt5tupleIJNSA_6TensorESH_SH_EERKSH_lbbbEUlllE_EE10hipError_tT0_T1_T2_T3_mRjT4_P12ihipStream_tbNS1_7vsmem_tEEUlT_E_NS1_11comp_targetILNS1_3genE9ELNS1_11target_archE1100ELNS1_3gpuE3ELNS1_3repE0EEENS1_30default_config_static_selectorELNS0_4arch9wavefront6targetE1EEEvSO_
; %bb.0:
	.section	.rodata,"a",@progbits
	.p2align	6, 0x0
	.amdhsa_kernel _ZN7rocprim17ROCPRIM_400000_NS6detail17trampoline_kernelINS0_14default_configENS1_37merge_sort_block_sort_config_selectorIlNS0_10empty_typeEEEZNS1_21merge_sort_block_sortIS3_PlS8_PS5_S9_ZN2at6native12_GLOBAL__N_124unique_dim_cuda_templateIN3c104HalfEEESt5tupleIJNSA_6TensorESH_SH_EERKSH_lbbbEUlllE_EE10hipError_tT0_T1_T2_T3_mRjT4_P12ihipStream_tbNS1_7vsmem_tEEUlT_E_NS1_11comp_targetILNS1_3genE9ELNS1_11target_archE1100ELNS1_3gpuE3ELNS1_3repE0EEENS1_30default_config_static_selectorELNS0_4arch9wavefront6targetE1EEEvSO_
		.amdhsa_group_segment_fixed_size 0
		.amdhsa_private_segment_fixed_size 0
		.amdhsa_kernarg_size 72
		.amdhsa_user_sgpr_count 2
		.amdhsa_user_sgpr_dispatch_ptr 0
		.amdhsa_user_sgpr_queue_ptr 0
		.amdhsa_user_sgpr_kernarg_segment_ptr 1
		.amdhsa_user_sgpr_dispatch_id 0
		.amdhsa_user_sgpr_kernarg_preload_length 0
		.amdhsa_user_sgpr_kernarg_preload_offset 0
		.amdhsa_user_sgpr_private_segment_size 0
		.amdhsa_uses_dynamic_stack 0
		.amdhsa_enable_private_segment 0
		.amdhsa_system_sgpr_workgroup_id_x 1
		.amdhsa_system_sgpr_workgroup_id_y 0
		.amdhsa_system_sgpr_workgroup_id_z 0
		.amdhsa_system_sgpr_workgroup_info 0
		.amdhsa_system_vgpr_workitem_id 0
		.amdhsa_next_free_vgpr 1
		.amdhsa_next_free_sgpr 0
		.amdhsa_accum_offset 4
		.amdhsa_reserve_vcc 0
		.amdhsa_float_round_mode_32 0
		.amdhsa_float_round_mode_16_64 0
		.amdhsa_float_denorm_mode_32 3
		.amdhsa_float_denorm_mode_16_64 3
		.amdhsa_dx10_clamp 1
		.amdhsa_ieee_mode 1
		.amdhsa_fp16_overflow 0
		.amdhsa_tg_split 0
		.amdhsa_exception_fp_ieee_invalid_op 0
		.amdhsa_exception_fp_denorm_src 0
		.amdhsa_exception_fp_ieee_div_zero 0
		.amdhsa_exception_fp_ieee_overflow 0
		.amdhsa_exception_fp_ieee_underflow 0
		.amdhsa_exception_fp_ieee_inexact 0
		.amdhsa_exception_int_div_zero 0
	.end_amdhsa_kernel
	.section	.text._ZN7rocprim17ROCPRIM_400000_NS6detail17trampoline_kernelINS0_14default_configENS1_37merge_sort_block_sort_config_selectorIlNS0_10empty_typeEEEZNS1_21merge_sort_block_sortIS3_PlS8_PS5_S9_ZN2at6native12_GLOBAL__N_124unique_dim_cuda_templateIN3c104HalfEEESt5tupleIJNSA_6TensorESH_SH_EERKSH_lbbbEUlllE_EE10hipError_tT0_T1_T2_T3_mRjT4_P12ihipStream_tbNS1_7vsmem_tEEUlT_E_NS1_11comp_targetILNS1_3genE9ELNS1_11target_archE1100ELNS1_3gpuE3ELNS1_3repE0EEENS1_30default_config_static_selectorELNS0_4arch9wavefront6targetE1EEEvSO_,"axG",@progbits,_ZN7rocprim17ROCPRIM_400000_NS6detail17trampoline_kernelINS0_14default_configENS1_37merge_sort_block_sort_config_selectorIlNS0_10empty_typeEEEZNS1_21merge_sort_block_sortIS3_PlS8_PS5_S9_ZN2at6native12_GLOBAL__N_124unique_dim_cuda_templateIN3c104HalfEEESt5tupleIJNSA_6TensorESH_SH_EERKSH_lbbbEUlllE_EE10hipError_tT0_T1_T2_T3_mRjT4_P12ihipStream_tbNS1_7vsmem_tEEUlT_E_NS1_11comp_targetILNS1_3genE9ELNS1_11target_archE1100ELNS1_3gpuE3ELNS1_3repE0EEENS1_30default_config_static_selectorELNS0_4arch9wavefront6targetE1EEEvSO_,comdat
.Lfunc_end1246:
	.size	_ZN7rocprim17ROCPRIM_400000_NS6detail17trampoline_kernelINS0_14default_configENS1_37merge_sort_block_sort_config_selectorIlNS0_10empty_typeEEEZNS1_21merge_sort_block_sortIS3_PlS8_PS5_S9_ZN2at6native12_GLOBAL__N_124unique_dim_cuda_templateIN3c104HalfEEESt5tupleIJNSA_6TensorESH_SH_EERKSH_lbbbEUlllE_EE10hipError_tT0_T1_T2_T3_mRjT4_P12ihipStream_tbNS1_7vsmem_tEEUlT_E_NS1_11comp_targetILNS1_3genE9ELNS1_11target_archE1100ELNS1_3gpuE3ELNS1_3repE0EEENS1_30default_config_static_selectorELNS0_4arch9wavefront6targetE1EEEvSO_, .Lfunc_end1246-_ZN7rocprim17ROCPRIM_400000_NS6detail17trampoline_kernelINS0_14default_configENS1_37merge_sort_block_sort_config_selectorIlNS0_10empty_typeEEEZNS1_21merge_sort_block_sortIS3_PlS8_PS5_S9_ZN2at6native12_GLOBAL__N_124unique_dim_cuda_templateIN3c104HalfEEESt5tupleIJNSA_6TensorESH_SH_EERKSH_lbbbEUlllE_EE10hipError_tT0_T1_T2_T3_mRjT4_P12ihipStream_tbNS1_7vsmem_tEEUlT_E_NS1_11comp_targetILNS1_3genE9ELNS1_11target_archE1100ELNS1_3gpuE3ELNS1_3repE0EEENS1_30default_config_static_selectorELNS0_4arch9wavefront6targetE1EEEvSO_
                                        ; -- End function
	.set _ZN7rocprim17ROCPRIM_400000_NS6detail17trampoline_kernelINS0_14default_configENS1_37merge_sort_block_sort_config_selectorIlNS0_10empty_typeEEEZNS1_21merge_sort_block_sortIS3_PlS8_PS5_S9_ZN2at6native12_GLOBAL__N_124unique_dim_cuda_templateIN3c104HalfEEESt5tupleIJNSA_6TensorESH_SH_EERKSH_lbbbEUlllE_EE10hipError_tT0_T1_T2_T3_mRjT4_P12ihipStream_tbNS1_7vsmem_tEEUlT_E_NS1_11comp_targetILNS1_3genE9ELNS1_11target_archE1100ELNS1_3gpuE3ELNS1_3repE0EEENS1_30default_config_static_selectorELNS0_4arch9wavefront6targetE1EEEvSO_.num_vgpr, 0
	.set _ZN7rocprim17ROCPRIM_400000_NS6detail17trampoline_kernelINS0_14default_configENS1_37merge_sort_block_sort_config_selectorIlNS0_10empty_typeEEEZNS1_21merge_sort_block_sortIS3_PlS8_PS5_S9_ZN2at6native12_GLOBAL__N_124unique_dim_cuda_templateIN3c104HalfEEESt5tupleIJNSA_6TensorESH_SH_EERKSH_lbbbEUlllE_EE10hipError_tT0_T1_T2_T3_mRjT4_P12ihipStream_tbNS1_7vsmem_tEEUlT_E_NS1_11comp_targetILNS1_3genE9ELNS1_11target_archE1100ELNS1_3gpuE3ELNS1_3repE0EEENS1_30default_config_static_selectorELNS0_4arch9wavefront6targetE1EEEvSO_.num_agpr, 0
	.set _ZN7rocprim17ROCPRIM_400000_NS6detail17trampoline_kernelINS0_14default_configENS1_37merge_sort_block_sort_config_selectorIlNS0_10empty_typeEEEZNS1_21merge_sort_block_sortIS3_PlS8_PS5_S9_ZN2at6native12_GLOBAL__N_124unique_dim_cuda_templateIN3c104HalfEEESt5tupleIJNSA_6TensorESH_SH_EERKSH_lbbbEUlllE_EE10hipError_tT0_T1_T2_T3_mRjT4_P12ihipStream_tbNS1_7vsmem_tEEUlT_E_NS1_11comp_targetILNS1_3genE9ELNS1_11target_archE1100ELNS1_3gpuE3ELNS1_3repE0EEENS1_30default_config_static_selectorELNS0_4arch9wavefront6targetE1EEEvSO_.numbered_sgpr, 0
	.set _ZN7rocprim17ROCPRIM_400000_NS6detail17trampoline_kernelINS0_14default_configENS1_37merge_sort_block_sort_config_selectorIlNS0_10empty_typeEEEZNS1_21merge_sort_block_sortIS3_PlS8_PS5_S9_ZN2at6native12_GLOBAL__N_124unique_dim_cuda_templateIN3c104HalfEEESt5tupleIJNSA_6TensorESH_SH_EERKSH_lbbbEUlllE_EE10hipError_tT0_T1_T2_T3_mRjT4_P12ihipStream_tbNS1_7vsmem_tEEUlT_E_NS1_11comp_targetILNS1_3genE9ELNS1_11target_archE1100ELNS1_3gpuE3ELNS1_3repE0EEENS1_30default_config_static_selectorELNS0_4arch9wavefront6targetE1EEEvSO_.num_named_barrier, 0
	.set _ZN7rocprim17ROCPRIM_400000_NS6detail17trampoline_kernelINS0_14default_configENS1_37merge_sort_block_sort_config_selectorIlNS0_10empty_typeEEEZNS1_21merge_sort_block_sortIS3_PlS8_PS5_S9_ZN2at6native12_GLOBAL__N_124unique_dim_cuda_templateIN3c104HalfEEESt5tupleIJNSA_6TensorESH_SH_EERKSH_lbbbEUlllE_EE10hipError_tT0_T1_T2_T3_mRjT4_P12ihipStream_tbNS1_7vsmem_tEEUlT_E_NS1_11comp_targetILNS1_3genE9ELNS1_11target_archE1100ELNS1_3gpuE3ELNS1_3repE0EEENS1_30default_config_static_selectorELNS0_4arch9wavefront6targetE1EEEvSO_.private_seg_size, 0
	.set _ZN7rocprim17ROCPRIM_400000_NS6detail17trampoline_kernelINS0_14default_configENS1_37merge_sort_block_sort_config_selectorIlNS0_10empty_typeEEEZNS1_21merge_sort_block_sortIS3_PlS8_PS5_S9_ZN2at6native12_GLOBAL__N_124unique_dim_cuda_templateIN3c104HalfEEESt5tupleIJNSA_6TensorESH_SH_EERKSH_lbbbEUlllE_EE10hipError_tT0_T1_T2_T3_mRjT4_P12ihipStream_tbNS1_7vsmem_tEEUlT_E_NS1_11comp_targetILNS1_3genE9ELNS1_11target_archE1100ELNS1_3gpuE3ELNS1_3repE0EEENS1_30default_config_static_selectorELNS0_4arch9wavefront6targetE1EEEvSO_.uses_vcc, 0
	.set _ZN7rocprim17ROCPRIM_400000_NS6detail17trampoline_kernelINS0_14default_configENS1_37merge_sort_block_sort_config_selectorIlNS0_10empty_typeEEEZNS1_21merge_sort_block_sortIS3_PlS8_PS5_S9_ZN2at6native12_GLOBAL__N_124unique_dim_cuda_templateIN3c104HalfEEESt5tupleIJNSA_6TensorESH_SH_EERKSH_lbbbEUlllE_EE10hipError_tT0_T1_T2_T3_mRjT4_P12ihipStream_tbNS1_7vsmem_tEEUlT_E_NS1_11comp_targetILNS1_3genE9ELNS1_11target_archE1100ELNS1_3gpuE3ELNS1_3repE0EEENS1_30default_config_static_selectorELNS0_4arch9wavefront6targetE1EEEvSO_.uses_flat_scratch, 0
	.set _ZN7rocprim17ROCPRIM_400000_NS6detail17trampoline_kernelINS0_14default_configENS1_37merge_sort_block_sort_config_selectorIlNS0_10empty_typeEEEZNS1_21merge_sort_block_sortIS3_PlS8_PS5_S9_ZN2at6native12_GLOBAL__N_124unique_dim_cuda_templateIN3c104HalfEEESt5tupleIJNSA_6TensorESH_SH_EERKSH_lbbbEUlllE_EE10hipError_tT0_T1_T2_T3_mRjT4_P12ihipStream_tbNS1_7vsmem_tEEUlT_E_NS1_11comp_targetILNS1_3genE9ELNS1_11target_archE1100ELNS1_3gpuE3ELNS1_3repE0EEENS1_30default_config_static_selectorELNS0_4arch9wavefront6targetE1EEEvSO_.has_dyn_sized_stack, 0
	.set _ZN7rocprim17ROCPRIM_400000_NS6detail17trampoline_kernelINS0_14default_configENS1_37merge_sort_block_sort_config_selectorIlNS0_10empty_typeEEEZNS1_21merge_sort_block_sortIS3_PlS8_PS5_S9_ZN2at6native12_GLOBAL__N_124unique_dim_cuda_templateIN3c104HalfEEESt5tupleIJNSA_6TensorESH_SH_EERKSH_lbbbEUlllE_EE10hipError_tT0_T1_T2_T3_mRjT4_P12ihipStream_tbNS1_7vsmem_tEEUlT_E_NS1_11comp_targetILNS1_3genE9ELNS1_11target_archE1100ELNS1_3gpuE3ELNS1_3repE0EEENS1_30default_config_static_selectorELNS0_4arch9wavefront6targetE1EEEvSO_.has_recursion, 0
	.set _ZN7rocprim17ROCPRIM_400000_NS6detail17trampoline_kernelINS0_14default_configENS1_37merge_sort_block_sort_config_selectorIlNS0_10empty_typeEEEZNS1_21merge_sort_block_sortIS3_PlS8_PS5_S9_ZN2at6native12_GLOBAL__N_124unique_dim_cuda_templateIN3c104HalfEEESt5tupleIJNSA_6TensorESH_SH_EERKSH_lbbbEUlllE_EE10hipError_tT0_T1_T2_T3_mRjT4_P12ihipStream_tbNS1_7vsmem_tEEUlT_E_NS1_11comp_targetILNS1_3genE9ELNS1_11target_archE1100ELNS1_3gpuE3ELNS1_3repE0EEENS1_30default_config_static_selectorELNS0_4arch9wavefront6targetE1EEEvSO_.has_indirect_call, 0
	.section	.AMDGPU.csdata,"",@progbits
; Kernel info:
; codeLenInByte = 0
; TotalNumSgprs: 6
; NumVgprs: 0
; NumAgprs: 0
; TotalNumVgprs: 0
; ScratchSize: 0
; MemoryBound: 0
; FloatMode: 240
; IeeeMode: 1
; LDSByteSize: 0 bytes/workgroup (compile time only)
; SGPRBlocks: 0
; VGPRBlocks: 0
; NumSGPRsForWavesPerEU: 6
; NumVGPRsForWavesPerEU: 1
; AccumOffset: 4
; Occupancy: 8
; WaveLimiterHint : 0
; COMPUTE_PGM_RSRC2:SCRATCH_EN: 0
; COMPUTE_PGM_RSRC2:USER_SGPR: 2
; COMPUTE_PGM_RSRC2:TRAP_HANDLER: 0
; COMPUTE_PGM_RSRC2:TGID_X_EN: 1
; COMPUTE_PGM_RSRC2:TGID_Y_EN: 0
; COMPUTE_PGM_RSRC2:TGID_Z_EN: 0
; COMPUTE_PGM_RSRC2:TIDIG_COMP_CNT: 0
; COMPUTE_PGM_RSRC3_GFX90A:ACCUM_OFFSET: 0
; COMPUTE_PGM_RSRC3_GFX90A:TG_SPLIT: 0
	.section	.text._ZN7rocprim17ROCPRIM_400000_NS6detail17trampoline_kernelINS0_14default_configENS1_37merge_sort_block_sort_config_selectorIlNS0_10empty_typeEEEZNS1_21merge_sort_block_sortIS3_PlS8_PS5_S9_ZN2at6native12_GLOBAL__N_124unique_dim_cuda_templateIN3c104HalfEEESt5tupleIJNSA_6TensorESH_SH_EERKSH_lbbbEUlllE_EE10hipError_tT0_T1_T2_T3_mRjT4_P12ihipStream_tbNS1_7vsmem_tEEUlT_E_NS1_11comp_targetILNS1_3genE8ELNS1_11target_archE1030ELNS1_3gpuE2ELNS1_3repE0EEENS1_30default_config_static_selectorELNS0_4arch9wavefront6targetE1EEEvSO_,"axG",@progbits,_ZN7rocprim17ROCPRIM_400000_NS6detail17trampoline_kernelINS0_14default_configENS1_37merge_sort_block_sort_config_selectorIlNS0_10empty_typeEEEZNS1_21merge_sort_block_sortIS3_PlS8_PS5_S9_ZN2at6native12_GLOBAL__N_124unique_dim_cuda_templateIN3c104HalfEEESt5tupleIJNSA_6TensorESH_SH_EERKSH_lbbbEUlllE_EE10hipError_tT0_T1_T2_T3_mRjT4_P12ihipStream_tbNS1_7vsmem_tEEUlT_E_NS1_11comp_targetILNS1_3genE8ELNS1_11target_archE1030ELNS1_3gpuE2ELNS1_3repE0EEENS1_30default_config_static_selectorELNS0_4arch9wavefront6targetE1EEEvSO_,comdat
	.globl	_ZN7rocprim17ROCPRIM_400000_NS6detail17trampoline_kernelINS0_14default_configENS1_37merge_sort_block_sort_config_selectorIlNS0_10empty_typeEEEZNS1_21merge_sort_block_sortIS3_PlS8_PS5_S9_ZN2at6native12_GLOBAL__N_124unique_dim_cuda_templateIN3c104HalfEEESt5tupleIJNSA_6TensorESH_SH_EERKSH_lbbbEUlllE_EE10hipError_tT0_T1_T2_T3_mRjT4_P12ihipStream_tbNS1_7vsmem_tEEUlT_E_NS1_11comp_targetILNS1_3genE8ELNS1_11target_archE1030ELNS1_3gpuE2ELNS1_3repE0EEENS1_30default_config_static_selectorELNS0_4arch9wavefront6targetE1EEEvSO_ ; -- Begin function _ZN7rocprim17ROCPRIM_400000_NS6detail17trampoline_kernelINS0_14default_configENS1_37merge_sort_block_sort_config_selectorIlNS0_10empty_typeEEEZNS1_21merge_sort_block_sortIS3_PlS8_PS5_S9_ZN2at6native12_GLOBAL__N_124unique_dim_cuda_templateIN3c104HalfEEESt5tupleIJNSA_6TensorESH_SH_EERKSH_lbbbEUlllE_EE10hipError_tT0_T1_T2_T3_mRjT4_P12ihipStream_tbNS1_7vsmem_tEEUlT_E_NS1_11comp_targetILNS1_3genE8ELNS1_11target_archE1030ELNS1_3gpuE2ELNS1_3repE0EEENS1_30default_config_static_selectorELNS0_4arch9wavefront6targetE1EEEvSO_
	.p2align	8
	.type	_ZN7rocprim17ROCPRIM_400000_NS6detail17trampoline_kernelINS0_14default_configENS1_37merge_sort_block_sort_config_selectorIlNS0_10empty_typeEEEZNS1_21merge_sort_block_sortIS3_PlS8_PS5_S9_ZN2at6native12_GLOBAL__N_124unique_dim_cuda_templateIN3c104HalfEEESt5tupleIJNSA_6TensorESH_SH_EERKSH_lbbbEUlllE_EE10hipError_tT0_T1_T2_T3_mRjT4_P12ihipStream_tbNS1_7vsmem_tEEUlT_E_NS1_11comp_targetILNS1_3genE8ELNS1_11target_archE1030ELNS1_3gpuE2ELNS1_3repE0EEENS1_30default_config_static_selectorELNS0_4arch9wavefront6targetE1EEEvSO_,@function
_ZN7rocprim17ROCPRIM_400000_NS6detail17trampoline_kernelINS0_14default_configENS1_37merge_sort_block_sort_config_selectorIlNS0_10empty_typeEEEZNS1_21merge_sort_block_sortIS3_PlS8_PS5_S9_ZN2at6native12_GLOBAL__N_124unique_dim_cuda_templateIN3c104HalfEEESt5tupleIJNSA_6TensorESH_SH_EERKSH_lbbbEUlllE_EE10hipError_tT0_T1_T2_T3_mRjT4_P12ihipStream_tbNS1_7vsmem_tEEUlT_E_NS1_11comp_targetILNS1_3genE8ELNS1_11target_archE1030ELNS1_3gpuE2ELNS1_3repE0EEENS1_30default_config_static_selectorELNS0_4arch9wavefront6targetE1EEEvSO_: ; @_ZN7rocprim17ROCPRIM_400000_NS6detail17trampoline_kernelINS0_14default_configENS1_37merge_sort_block_sort_config_selectorIlNS0_10empty_typeEEEZNS1_21merge_sort_block_sortIS3_PlS8_PS5_S9_ZN2at6native12_GLOBAL__N_124unique_dim_cuda_templateIN3c104HalfEEESt5tupleIJNSA_6TensorESH_SH_EERKSH_lbbbEUlllE_EE10hipError_tT0_T1_T2_T3_mRjT4_P12ihipStream_tbNS1_7vsmem_tEEUlT_E_NS1_11comp_targetILNS1_3genE8ELNS1_11target_archE1030ELNS1_3gpuE2ELNS1_3repE0EEENS1_30default_config_static_selectorELNS0_4arch9wavefront6targetE1EEEvSO_
; %bb.0:
	.section	.rodata,"a",@progbits
	.p2align	6, 0x0
	.amdhsa_kernel _ZN7rocprim17ROCPRIM_400000_NS6detail17trampoline_kernelINS0_14default_configENS1_37merge_sort_block_sort_config_selectorIlNS0_10empty_typeEEEZNS1_21merge_sort_block_sortIS3_PlS8_PS5_S9_ZN2at6native12_GLOBAL__N_124unique_dim_cuda_templateIN3c104HalfEEESt5tupleIJNSA_6TensorESH_SH_EERKSH_lbbbEUlllE_EE10hipError_tT0_T1_T2_T3_mRjT4_P12ihipStream_tbNS1_7vsmem_tEEUlT_E_NS1_11comp_targetILNS1_3genE8ELNS1_11target_archE1030ELNS1_3gpuE2ELNS1_3repE0EEENS1_30default_config_static_selectorELNS0_4arch9wavefront6targetE1EEEvSO_
		.amdhsa_group_segment_fixed_size 0
		.amdhsa_private_segment_fixed_size 0
		.amdhsa_kernarg_size 72
		.amdhsa_user_sgpr_count 2
		.amdhsa_user_sgpr_dispatch_ptr 0
		.amdhsa_user_sgpr_queue_ptr 0
		.amdhsa_user_sgpr_kernarg_segment_ptr 1
		.amdhsa_user_sgpr_dispatch_id 0
		.amdhsa_user_sgpr_kernarg_preload_length 0
		.amdhsa_user_sgpr_kernarg_preload_offset 0
		.amdhsa_user_sgpr_private_segment_size 0
		.amdhsa_uses_dynamic_stack 0
		.amdhsa_enable_private_segment 0
		.amdhsa_system_sgpr_workgroup_id_x 1
		.amdhsa_system_sgpr_workgroup_id_y 0
		.amdhsa_system_sgpr_workgroup_id_z 0
		.amdhsa_system_sgpr_workgroup_info 0
		.amdhsa_system_vgpr_workitem_id 0
		.amdhsa_next_free_vgpr 1
		.amdhsa_next_free_sgpr 0
		.amdhsa_accum_offset 4
		.amdhsa_reserve_vcc 0
		.amdhsa_float_round_mode_32 0
		.amdhsa_float_round_mode_16_64 0
		.amdhsa_float_denorm_mode_32 3
		.amdhsa_float_denorm_mode_16_64 3
		.amdhsa_dx10_clamp 1
		.amdhsa_ieee_mode 1
		.amdhsa_fp16_overflow 0
		.amdhsa_tg_split 0
		.amdhsa_exception_fp_ieee_invalid_op 0
		.amdhsa_exception_fp_denorm_src 0
		.amdhsa_exception_fp_ieee_div_zero 0
		.amdhsa_exception_fp_ieee_overflow 0
		.amdhsa_exception_fp_ieee_underflow 0
		.amdhsa_exception_fp_ieee_inexact 0
		.amdhsa_exception_int_div_zero 0
	.end_amdhsa_kernel
	.section	.text._ZN7rocprim17ROCPRIM_400000_NS6detail17trampoline_kernelINS0_14default_configENS1_37merge_sort_block_sort_config_selectorIlNS0_10empty_typeEEEZNS1_21merge_sort_block_sortIS3_PlS8_PS5_S9_ZN2at6native12_GLOBAL__N_124unique_dim_cuda_templateIN3c104HalfEEESt5tupleIJNSA_6TensorESH_SH_EERKSH_lbbbEUlllE_EE10hipError_tT0_T1_T2_T3_mRjT4_P12ihipStream_tbNS1_7vsmem_tEEUlT_E_NS1_11comp_targetILNS1_3genE8ELNS1_11target_archE1030ELNS1_3gpuE2ELNS1_3repE0EEENS1_30default_config_static_selectorELNS0_4arch9wavefront6targetE1EEEvSO_,"axG",@progbits,_ZN7rocprim17ROCPRIM_400000_NS6detail17trampoline_kernelINS0_14default_configENS1_37merge_sort_block_sort_config_selectorIlNS0_10empty_typeEEEZNS1_21merge_sort_block_sortIS3_PlS8_PS5_S9_ZN2at6native12_GLOBAL__N_124unique_dim_cuda_templateIN3c104HalfEEESt5tupleIJNSA_6TensorESH_SH_EERKSH_lbbbEUlllE_EE10hipError_tT0_T1_T2_T3_mRjT4_P12ihipStream_tbNS1_7vsmem_tEEUlT_E_NS1_11comp_targetILNS1_3genE8ELNS1_11target_archE1030ELNS1_3gpuE2ELNS1_3repE0EEENS1_30default_config_static_selectorELNS0_4arch9wavefront6targetE1EEEvSO_,comdat
.Lfunc_end1247:
	.size	_ZN7rocprim17ROCPRIM_400000_NS6detail17trampoline_kernelINS0_14default_configENS1_37merge_sort_block_sort_config_selectorIlNS0_10empty_typeEEEZNS1_21merge_sort_block_sortIS3_PlS8_PS5_S9_ZN2at6native12_GLOBAL__N_124unique_dim_cuda_templateIN3c104HalfEEESt5tupleIJNSA_6TensorESH_SH_EERKSH_lbbbEUlllE_EE10hipError_tT0_T1_T2_T3_mRjT4_P12ihipStream_tbNS1_7vsmem_tEEUlT_E_NS1_11comp_targetILNS1_3genE8ELNS1_11target_archE1030ELNS1_3gpuE2ELNS1_3repE0EEENS1_30default_config_static_selectorELNS0_4arch9wavefront6targetE1EEEvSO_, .Lfunc_end1247-_ZN7rocprim17ROCPRIM_400000_NS6detail17trampoline_kernelINS0_14default_configENS1_37merge_sort_block_sort_config_selectorIlNS0_10empty_typeEEEZNS1_21merge_sort_block_sortIS3_PlS8_PS5_S9_ZN2at6native12_GLOBAL__N_124unique_dim_cuda_templateIN3c104HalfEEESt5tupleIJNSA_6TensorESH_SH_EERKSH_lbbbEUlllE_EE10hipError_tT0_T1_T2_T3_mRjT4_P12ihipStream_tbNS1_7vsmem_tEEUlT_E_NS1_11comp_targetILNS1_3genE8ELNS1_11target_archE1030ELNS1_3gpuE2ELNS1_3repE0EEENS1_30default_config_static_selectorELNS0_4arch9wavefront6targetE1EEEvSO_
                                        ; -- End function
	.set _ZN7rocprim17ROCPRIM_400000_NS6detail17trampoline_kernelINS0_14default_configENS1_37merge_sort_block_sort_config_selectorIlNS0_10empty_typeEEEZNS1_21merge_sort_block_sortIS3_PlS8_PS5_S9_ZN2at6native12_GLOBAL__N_124unique_dim_cuda_templateIN3c104HalfEEESt5tupleIJNSA_6TensorESH_SH_EERKSH_lbbbEUlllE_EE10hipError_tT0_T1_T2_T3_mRjT4_P12ihipStream_tbNS1_7vsmem_tEEUlT_E_NS1_11comp_targetILNS1_3genE8ELNS1_11target_archE1030ELNS1_3gpuE2ELNS1_3repE0EEENS1_30default_config_static_selectorELNS0_4arch9wavefront6targetE1EEEvSO_.num_vgpr, 0
	.set _ZN7rocprim17ROCPRIM_400000_NS6detail17trampoline_kernelINS0_14default_configENS1_37merge_sort_block_sort_config_selectorIlNS0_10empty_typeEEEZNS1_21merge_sort_block_sortIS3_PlS8_PS5_S9_ZN2at6native12_GLOBAL__N_124unique_dim_cuda_templateIN3c104HalfEEESt5tupleIJNSA_6TensorESH_SH_EERKSH_lbbbEUlllE_EE10hipError_tT0_T1_T2_T3_mRjT4_P12ihipStream_tbNS1_7vsmem_tEEUlT_E_NS1_11comp_targetILNS1_3genE8ELNS1_11target_archE1030ELNS1_3gpuE2ELNS1_3repE0EEENS1_30default_config_static_selectorELNS0_4arch9wavefront6targetE1EEEvSO_.num_agpr, 0
	.set _ZN7rocprim17ROCPRIM_400000_NS6detail17trampoline_kernelINS0_14default_configENS1_37merge_sort_block_sort_config_selectorIlNS0_10empty_typeEEEZNS1_21merge_sort_block_sortIS3_PlS8_PS5_S9_ZN2at6native12_GLOBAL__N_124unique_dim_cuda_templateIN3c104HalfEEESt5tupleIJNSA_6TensorESH_SH_EERKSH_lbbbEUlllE_EE10hipError_tT0_T1_T2_T3_mRjT4_P12ihipStream_tbNS1_7vsmem_tEEUlT_E_NS1_11comp_targetILNS1_3genE8ELNS1_11target_archE1030ELNS1_3gpuE2ELNS1_3repE0EEENS1_30default_config_static_selectorELNS0_4arch9wavefront6targetE1EEEvSO_.numbered_sgpr, 0
	.set _ZN7rocprim17ROCPRIM_400000_NS6detail17trampoline_kernelINS0_14default_configENS1_37merge_sort_block_sort_config_selectorIlNS0_10empty_typeEEEZNS1_21merge_sort_block_sortIS3_PlS8_PS5_S9_ZN2at6native12_GLOBAL__N_124unique_dim_cuda_templateIN3c104HalfEEESt5tupleIJNSA_6TensorESH_SH_EERKSH_lbbbEUlllE_EE10hipError_tT0_T1_T2_T3_mRjT4_P12ihipStream_tbNS1_7vsmem_tEEUlT_E_NS1_11comp_targetILNS1_3genE8ELNS1_11target_archE1030ELNS1_3gpuE2ELNS1_3repE0EEENS1_30default_config_static_selectorELNS0_4arch9wavefront6targetE1EEEvSO_.num_named_barrier, 0
	.set _ZN7rocprim17ROCPRIM_400000_NS6detail17trampoline_kernelINS0_14default_configENS1_37merge_sort_block_sort_config_selectorIlNS0_10empty_typeEEEZNS1_21merge_sort_block_sortIS3_PlS8_PS5_S9_ZN2at6native12_GLOBAL__N_124unique_dim_cuda_templateIN3c104HalfEEESt5tupleIJNSA_6TensorESH_SH_EERKSH_lbbbEUlllE_EE10hipError_tT0_T1_T2_T3_mRjT4_P12ihipStream_tbNS1_7vsmem_tEEUlT_E_NS1_11comp_targetILNS1_3genE8ELNS1_11target_archE1030ELNS1_3gpuE2ELNS1_3repE0EEENS1_30default_config_static_selectorELNS0_4arch9wavefront6targetE1EEEvSO_.private_seg_size, 0
	.set _ZN7rocprim17ROCPRIM_400000_NS6detail17trampoline_kernelINS0_14default_configENS1_37merge_sort_block_sort_config_selectorIlNS0_10empty_typeEEEZNS1_21merge_sort_block_sortIS3_PlS8_PS5_S9_ZN2at6native12_GLOBAL__N_124unique_dim_cuda_templateIN3c104HalfEEESt5tupleIJNSA_6TensorESH_SH_EERKSH_lbbbEUlllE_EE10hipError_tT0_T1_T2_T3_mRjT4_P12ihipStream_tbNS1_7vsmem_tEEUlT_E_NS1_11comp_targetILNS1_3genE8ELNS1_11target_archE1030ELNS1_3gpuE2ELNS1_3repE0EEENS1_30default_config_static_selectorELNS0_4arch9wavefront6targetE1EEEvSO_.uses_vcc, 0
	.set _ZN7rocprim17ROCPRIM_400000_NS6detail17trampoline_kernelINS0_14default_configENS1_37merge_sort_block_sort_config_selectorIlNS0_10empty_typeEEEZNS1_21merge_sort_block_sortIS3_PlS8_PS5_S9_ZN2at6native12_GLOBAL__N_124unique_dim_cuda_templateIN3c104HalfEEESt5tupleIJNSA_6TensorESH_SH_EERKSH_lbbbEUlllE_EE10hipError_tT0_T1_T2_T3_mRjT4_P12ihipStream_tbNS1_7vsmem_tEEUlT_E_NS1_11comp_targetILNS1_3genE8ELNS1_11target_archE1030ELNS1_3gpuE2ELNS1_3repE0EEENS1_30default_config_static_selectorELNS0_4arch9wavefront6targetE1EEEvSO_.uses_flat_scratch, 0
	.set _ZN7rocprim17ROCPRIM_400000_NS6detail17trampoline_kernelINS0_14default_configENS1_37merge_sort_block_sort_config_selectorIlNS0_10empty_typeEEEZNS1_21merge_sort_block_sortIS3_PlS8_PS5_S9_ZN2at6native12_GLOBAL__N_124unique_dim_cuda_templateIN3c104HalfEEESt5tupleIJNSA_6TensorESH_SH_EERKSH_lbbbEUlllE_EE10hipError_tT0_T1_T2_T3_mRjT4_P12ihipStream_tbNS1_7vsmem_tEEUlT_E_NS1_11comp_targetILNS1_3genE8ELNS1_11target_archE1030ELNS1_3gpuE2ELNS1_3repE0EEENS1_30default_config_static_selectorELNS0_4arch9wavefront6targetE1EEEvSO_.has_dyn_sized_stack, 0
	.set _ZN7rocprim17ROCPRIM_400000_NS6detail17trampoline_kernelINS0_14default_configENS1_37merge_sort_block_sort_config_selectorIlNS0_10empty_typeEEEZNS1_21merge_sort_block_sortIS3_PlS8_PS5_S9_ZN2at6native12_GLOBAL__N_124unique_dim_cuda_templateIN3c104HalfEEESt5tupleIJNSA_6TensorESH_SH_EERKSH_lbbbEUlllE_EE10hipError_tT0_T1_T2_T3_mRjT4_P12ihipStream_tbNS1_7vsmem_tEEUlT_E_NS1_11comp_targetILNS1_3genE8ELNS1_11target_archE1030ELNS1_3gpuE2ELNS1_3repE0EEENS1_30default_config_static_selectorELNS0_4arch9wavefront6targetE1EEEvSO_.has_recursion, 0
	.set _ZN7rocprim17ROCPRIM_400000_NS6detail17trampoline_kernelINS0_14default_configENS1_37merge_sort_block_sort_config_selectorIlNS0_10empty_typeEEEZNS1_21merge_sort_block_sortIS3_PlS8_PS5_S9_ZN2at6native12_GLOBAL__N_124unique_dim_cuda_templateIN3c104HalfEEESt5tupleIJNSA_6TensorESH_SH_EERKSH_lbbbEUlllE_EE10hipError_tT0_T1_T2_T3_mRjT4_P12ihipStream_tbNS1_7vsmem_tEEUlT_E_NS1_11comp_targetILNS1_3genE8ELNS1_11target_archE1030ELNS1_3gpuE2ELNS1_3repE0EEENS1_30default_config_static_selectorELNS0_4arch9wavefront6targetE1EEEvSO_.has_indirect_call, 0
	.section	.AMDGPU.csdata,"",@progbits
; Kernel info:
; codeLenInByte = 0
; TotalNumSgprs: 6
; NumVgprs: 0
; NumAgprs: 0
; TotalNumVgprs: 0
; ScratchSize: 0
; MemoryBound: 0
; FloatMode: 240
; IeeeMode: 1
; LDSByteSize: 0 bytes/workgroup (compile time only)
; SGPRBlocks: 0
; VGPRBlocks: 0
; NumSGPRsForWavesPerEU: 6
; NumVGPRsForWavesPerEU: 1
; AccumOffset: 4
; Occupancy: 8
; WaveLimiterHint : 0
; COMPUTE_PGM_RSRC2:SCRATCH_EN: 0
; COMPUTE_PGM_RSRC2:USER_SGPR: 2
; COMPUTE_PGM_RSRC2:TRAP_HANDLER: 0
; COMPUTE_PGM_RSRC2:TGID_X_EN: 1
; COMPUTE_PGM_RSRC2:TGID_Y_EN: 0
; COMPUTE_PGM_RSRC2:TGID_Z_EN: 0
; COMPUTE_PGM_RSRC2:TIDIG_COMP_CNT: 0
; COMPUTE_PGM_RSRC3_GFX90A:ACCUM_OFFSET: 0
; COMPUTE_PGM_RSRC3_GFX90A:TG_SPLIT: 0
	.section	.text._ZN7rocprim17ROCPRIM_400000_NS6detail17trampoline_kernelINS0_14default_configENS1_38merge_sort_block_merge_config_selectorIlNS0_10empty_typeEEEZZNS1_27merge_sort_block_merge_implIS3_PlPS5_mZN2at6native12_GLOBAL__N_124unique_dim_cuda_templateIN3c104HalfEEESt5tupleIJNSA_6TensorESH_SH_EERKSH_lbbbEUlllE_EE10hipError_tT0_T1_T2_jT3_P12ihipStream_tbPNSt15iterator_traitsISN_E10value_typeEPNST_ISO_E10value_typeEPSP_NS1_7vsmem_tEENKUlT_SN_SO_SP_E_clIS8_S8_S9_S9_EESM_S12_SN_SO_SP_EUlS12_E_NS1_11comp_targetILNS1_3genE0ELNS1_11target_archE4294967295ELNS1_3gpuE0ELNS1_3repE0EEENS1_48merge_mergepath_partition_config_static_selectorELNS0_4arch9wavefront6targetE1EEEvSO_,"axG",@progbits,_ZN7rocprim17ROCPRIM_400000_NS6detail17trampoline_kernelINS0_14default_configENS1_38merge_sort_block_merge_config_selectorIlNS0_10empty_typeEEEZZNS1_27merge_sort_block_merge_implIS3_PlPS5_mZN2at6native12_GLOBAL__N_124unique_dim_cuda_templateIN3c104HalfEEESt5tupleIJNSA_6TensorESH_SH_EERKSH_lbbbEUlllE_EE10hipError_tT0_T1_T2_jT3_P12ihipStream_tbPNSt15iterator_traitsISN_E10value_typeEPNST_ISO_E10value_typeEPSP_NS1_7vsmem_tEENKUlT_SN_SO_SP_E_clIS8_S8_S9_S9_EESM_S12_SN_SO_SP_EUlS12_E_NS1_11comp_targetILNS1_3genE0ELNS1_11target_archE4294967295ELNS1_3gpuE0ELNS1_3repE0EEENS1_48merge_mergepath_partition_config_static_selectorELNS0_4arch9wavefront6targetE1EEEvSO_,comdat
	.globl	_ZN7rocprim17ROCPRIM_400000_NS6detail17trampoline_kernelINS0_14default_configENS1_38merge_sort_block_merge_config_selectorIlNS0_10empty_typeEEEZZNS1_27merge_sort_block_merge_implIS3_PlPS5_mZN2at6native12_GLOBAL__N_124unique_dim_cuda_templateIN3c104HalfEEESt5tupleIJNSA_6TensorESH_SH_EERKSH_lbbbEUlllE_EE10hipError_tT0_T1_T2_jT3_P12ihipStream_tbPNSt15iterator_traitsISN_E10value_typeEPNST_ISO_E10value_typeEPSP_NS1_7vsmem_tEENKUlT_SN_SO_SP_E_clIS8_S8_S9_S9_EESM_S12_SN_SO_SP_EUlS12_E_NS1_11comp_targetILNS1_3genE0ELNS1_11target_archE4294967295ELNS1_3gpuE0ELNS1_3repE0EEENS1_48merge_mergepath_partition_config_static_selectorELNS0_4arch9wavefront6targetE1EEEvSO_ ; -- Begin function _ZN7rocprim17ROCPRIM_400000_NS6detail17trampoline_kernelINS0_14default_configENS1_38merge_sort_block_merge_config_selectorIlNS0_10empty_typeEEEZZNS1_27merge_sort_block_merge_implIS3_PlPS5_mZN2at6native12_GLOBAL__N_124unique_dim_cuda_templateIN3c104HalfEEESt5tupleIJNSA_6TensorESH_SH_EERKSH_lbbbEUlllE_EE10hipError_tT0_T1_T2_jT3_P12ihipStream_tbPNSt15iterator_traitsISN_E10value_typeEPNST_ISO_E10value_typeEPSP_NS1_7vsmem_tEENKUlT_SN_SO_SP_E_clIS8_S8_S9_S9_EESM_S12_SN_SO_SP_EUlS12_E_NS1_11comp_targetILNS1_3genE0ELNS1_11target_archE4294967295ELNS1_3gpuE0ELNS1_3repE0EEENS1_48merge_mergepath_partition_config_static_selectorELNS0_4arch9wavefront6targetE1EEEvSO_
	.p2align	8
	.type	_ZN7rocprim17ROCPRIM_400000_NS6detail17trampoline_kernelINS0_14default_configENS1_38merge_sort_block_merge_config_selectorIlNS0_10empty_typeEEEZZNS1_27merge_sort_block_merge_implIS3_PlPS5_mZN2at6native12_GLOBAL__N_124unique_dim_cuda_templateIN3c104HalfEEESt5tupleIJNSA_6TensorESH_SH_EERKSH_lbbbEUlllE_EE10hipError_tT0_T1_T2_jT3_P12ihipStream_tbPNSt15iterator_traitsISN_E10value_typeEPNST_ISO_E10value_typeEPSP_NS1_7vsmem_tEENKUlT_SN_SO_SP_E_clIS8_S8_S9_S9_EESM_S12_SN_SO_SP_EUlS12_E_NS1_11comp_targetILNS1_3genE0ELNS1_11target_archE4294967295ELNS1_3gpuE0ELNS1_3repE0EEENS1_48merge_mergepath_partition_config_static_selectorELNS0_4arch9wavefront6targetE1EEEvSO_,@function
_ZN7rocprim17ROCPRIM_400000_NS6detail17trampoline_kernelINS0_14default_configENS1_38merge_sort_block_merge_config_selectorIlNS0_10empty_typeEEEZZNS1_27merge_sort_block_merge_implIS3_PlPS5_mZN2at6native12_GLOBAL__N_124unique_dim_cuda_templateIN3c104HalfEEESt5tupleIJNSA_6TensorESH_SH_EERKSH_lbbbEUlllE_EE10hipError_tT0_T1_T2_jT3_P12ihipStream_tbPNSt15iterator_traitsISN_E10value_typeEPNST_ISO_E10value_typeEPSP_NS1_7vsmem_tEENKUlT_SN_SO_SP_E_clIS8_S8_S9_S9_EESM_S12_SN_SO_SP_EUlS12_E_NS1_11comp_targetILNS1_3genE0ELNS1_11target_archE4294967295ELNS1_3gpuE0ELNS1_3repE0EEENS1_48merge_mergepath_partition_config_static_selectorELNS0_4arch9wavefront6targetE1EEEvSO_: ; @_ZN7rocprim17ROCPRIM_400000_NS6detail17trampoline_kernelINS0_14default_configENS1_38merge_sort_block_merge_config_selectorIlNS0_10empty_typeEEEZZNS1_27merge_sort_block_merge_implIS3_PlPS5_mZN2at6native12_GLOBAL__N_124unique_dim_cuda_templateIN3c104HalfEEESt5tupleIJNSA_6TensorESH_SH_EERKSH_lbbbEUlllE_EE10hipError_tT0_T1_T2_jT3_P12ihipStream_tbPNSt15iterator_traitsISN_E10value_typeEPNST_ISO_E10value_typeEPSP_NS1_7vsmem_tEENKUlT_SN_SO_SP_E_clIS8_S8_S9_S9_EESM_S12_SN_SO_SP_EUlS12_E_NS1_11comp_targetILNS1_3genE0ELNS1_11target_archE4294967295ELNS1_3gpuE0ELNS1_3repE0EEENS1_48merge_mergepath_partition_config_static_selectorELNS0_4arch9wavefront6targetE1EEEvSO_
; %bb.0:
	s_load_dword s3, s[0:1], 0x0
	v_lshl_or_b32 v0, s2, 7, v0
	s_waitcnt lgkmcnt(0)
	v_cmp_gt_u32_e32 vcc, s3, v0
	s_and_saveexec_b64 s[2:3], vcc
	s_cbranch_execz .LBB1248_14
; %bb.1:
	s_load_dwordx4 s[12:15], s[0:1], 0x8
	s_load_dwordx8 s[4:11], s[0:1], 0x18
	v_mov_b32_e32 v5, 0
	v_mov_b32_e32 v7, v5
	s_waitcnt lgkmcnt(0)
	s_lshr_b64 s[0:1], s[12:13], 9
	s_and_b32 s0, s0, -2
	s_add_i32 s1, s0, -1
	s_sub_i32 s0, 0, s0
	v_and_b32_e32 v4, s0, v0
	v_lshlrev_b64 v[8:9], 10, v[4:5]
	v_mov_b32_e32 v1, s15
	v_cmp_lt_u64_e32 vcc, s[14:15], v[8:9]
	v_mov_b32_e32 v4, s14
	v_and_b32_e32 v6, s1, v0
	v_cndmask_b32_e32 v3, v9, v1, vcc
	v_cndmask_b32_e32 v2, v8, v4, vcc
	v_lshl_add_u64 v[8:9], v[8:9], 0, s[12:13]
	v_cmp_lt_u64_e32 vcc, s[14:15], v[8:9]
	s_nop 1
	v_cndmask_b32_e32 v11, v9, v1, vcc
	v_cndmask_b32_e32 v10, v8, v4, vcc
	v_lshl_add_u64 v[8:9], v[10:11], 0, s[12:13]
	v_cmp_lt_u64_e32 vcc, s[14:15], v[8:9]
	s_nop 1
	v_cndmask_b32_e32 v14, v8, v4, vcc
	v_cndmask_b32_e32 v1, v9, v1, vcc
	v_sub_co_u32_e32 v8, vcc, v14, v2
	v_lshlrev_b64 v[4:5], 10, v[6:7]
	s_nop 0
	v_subb_co_u32_e32 v9, vcc, v1, v3, vcc
	v_cmp_lt_u64_e32 vcc, v[8:9], v[4:5]
	s_nop 1
	v_cndmask_b32_e32 v13, v5, v9, vcc
	v_cndmask_b32_e32 v12, v4, v8, vcc
	v_sub_co_u32_e32 v6, vcc, v10, v2
	s_nop 1
	v_subb_co_u32_e32 v7, vcc, v11, v3, vcc
	v_sub_co_u32_e32 v4, vcc, v10, v14
	s_nop 1
	v_subb_co_u32_e32 v5, vcc, v11, v1, vcc
	v_lshl_add_u64 v[4:5], v[12:13], 0, v[4:5]
	v_cmp_gt_u64_e32 vcc, v[4:5], v[12:13]
	s_nop 1
	v_cndmask_b32_e64 v5, v5, 0, vcc
	v_cndmask_b32_e64 v4, v4, 0, vcc
	v_cmp_lt_u64_e32 vcc, v[12:13], v[6:7]
	s_nop 1
	v_cndmask_b32_e32 v7, v7, v13, vcc
	v_cndmask_b32_e32 v6, v6, v12, vcc
	v_cmp_lt_u64_e32 vcc, v[4:5], v[6:7]
	s_and_saveexec_b64 s[2:3], vcc
	s_cbranch_execz .LBB1248_13
; %bb.2:
	v_cmp_gt_i64_e64 s[0:1], s[6:7], 0
	v_lshl_add_u64 v[10:11], v[10:11], 3, s[4:5]
	v_lshl_add_u64 v[8:9], v[2:3], 3, s[4:5]
	v_cndmask_b32_e64 v1, 0, 1, s[0:1]
	s_mov_b64 s[4:5], 0
	v_lshl_add_u64 v[10:11], v[12:13], 3, v[10:11]
	s_lshl_b64 s[12:13], s[6:7], 1
	v_cmp_ne_u32_e64 s[0:1], 1, v1
	s_branch .LBB1248_5
.LBB1248_3:                             ;   in Loop: Header=BB1248_5 Depth=1
	s_or_b64 exec, exec, s[16:17]
.LBB1248_4:                             ;   in Loop: Header=BB1248_5 Depth=1
	v_lshl_add_u64 v[14:15], v[12:13], 0, 1
	v_cndmask_b32_e64 v7, v7, v13, s[14:15]
	v_cndmask_b32_e64 v6, v6, v12, s[14:15]
	;; [unrolled: 1-line block ×4, first 2 shown]
	v_cmp_ge_u64_e32 vcc, v[4:5], v[6:7]
	s_or_b64 s[4:5], vcc, s[4:5]
	s_andn2_b64 exec, exec, s[4:5]
	s_cbranch_execz .LBB1248_12
.LBB1248_5:                             ; =>This Loop Header: Depth=1
                                        ;     Child Loop BB1248_8 Depth 2
	v_lshl_add_u64 v[12:13], v[6:7], 0, v[4:5]
	v_lshrrev_b64 v[12:13], 1, v[12:13]
	s_and_b64 vcc, exec, s[0:1]
	s_mov_b64 s[14:15], 0
	s_cbranch_vccnz .LBB1248_4
; %bb.6:                                ;   in Loop: Header=BB1248_5 Depth=1
	v_not_b32_e32 v15, v13
	v_not_b32_e32 v14, v12
	v_lshl_add_u64 v[14:15], v[14:15], 3, v[10:11]
	v_lshl_add_u64 v[16:17], v[12:13], 3, v[8:9]
	global_load_dwordx2 v[14:15], v[14:15], off
	v_mov_b64_e32 v[18:19], s[8:9]
	global_load_dwordx2 v[16:17], v[16:17], off
	s_mov_b64 s[16:17], 0
                                        ; implicit-def: $sgpr14_sgpr15
                                        ; implicit-def: $sgpr18_sgpr19
                                        ; implicit-def: $sgpr26_sgpr27
	s_waitcnt vmcnt(1)
	v_mul_lo_u32 v1, s12, v15
	v_mul_lo_u32 v20, s13, v14
	v_mad_u64_u32 v[14:15], s[20:21], s12, v14, v[18:19]
	s_waitcnt vmcnt(0)
	v_mul_lo_u32 v21, s12, v17
	v_mul_lo_u32 v22, s13, v16
	v_mad_u64_u32 v[16:17], s[20:21], s12, v16, v[18:19]
	v_add3_u32 v15, v20, v15, v1
	v_add3_u32 v17, v22, v17, v21
	s_mov_b64 s[20:21], s[6:7]
	s_branch .LBB1248_8
.LBB1248_7:                             ;   in Loop: Header=BB1248_8 Depth=2
	s_or_b64 exec, exec, s[26:27]
	s_and_b64 s[24:25], exec, s[24:25]
	s_or_b64 s[16:17], s[24:25], s[16:17]
	s_andn2_b64 s[14:15], s[14:15], exec
	s_and_b64 s[24:25], s[18:19], exec
	s_or_b64 s[14:15], s[14:15], s[24:25]
	s_mov_b64 s[26:27], s[22:23]
	s_andn2_b64 exec, exec, s[16:17]
	s_cbranch_execz .LBB1248_3
.LBB1248_8:                             ;   Parent Loop BB1248_5 Depth=1
                                        ; =>  This Inner Loop Header: Depth=2
	global_load_ushort v1, v[14:15], off
	global_load_ushort v18, v[16:17], off
	s_mov_b64 s[24:25], -1
	s_mov_b64 s[28:29], 0
	s_mov_b64 s[22:23], -1
	s_waitcnt vmcnt(0)
	v_cmp_nlt_f16_e32 vcc, v1, v18
	s_and_saveexec_b64 s[30:31], vcc
; %bb.9:                                ;   in Loop: Header=BB1248_8 Depth=2
	v_cmp_ngt_f16_e32 vcc, v1, v18
	s_and_b64 s[22:23], vcc, s[26:27]
	s_orn2_b64 s[22:23], s[22:23], exec
	s_and_b64 s[28:29], vcc, exec
; %bb.10:                               ;   in Loop: Header=BB1248_8 Depth=2
	s_or_b64 exec, exec, s[30:31]
	s_andn2_b64 s[18:19], s[18:19], exec
	s_and_b64 s[26:27], s[22:23], exec
	s_or_b64 s[18:19], s[18:19], s[26:27]
	s_and_saveexec_b64 s[26:27], s[28:29]
	s_cbranch_execz .LBB1248_7
; %bb.11:                               ;   in Loop: Header=BB1248_8 Depth=2
	s_add_u32 s20, s20, -1
	s_addc_u32 s21, s21, -1
	s_cmp_eq_u64 s[20:21], 0
	s_cselect_b64 s[24:25], -1, 0
	v_lshl_add_u64 v[14:15], v[14:15], 0, 2
	v_lshl_add_u64 v[16:17], v[16:17], 0, 2
	s_andn2_b64 s[18:19], s[18:19], exec
	s_orn2_b64 s[24:25], s[24:25], exec
	s_branch .LBB1248_7
.LBB1248_12:
	s_or_b64 exec, exec, s[4:5]
.LBB1248_13:
	s_or_b64 exec, exec, s[2:3]
	v_mov_b32_e32 v6, s10
	v_mov_b32_e32 v7, s11
	;; [unrolled: 1-line block ×3, first 2 shown]
	v_lshl_add_u64 v[2:3], v[4:5], 0, v[2:3]
	v_lshl_add_u64 v[0:1], v[0:1], 3, v[6:7]
	global_store_dwordx2 v[0:1], v[2:3], off
.LBB1248_14:
	s_endpgm
	.section	.rodata,"a",@progbits
	.p2align	6, 0x0
	.amdhsa_kernel _ZN7rocprim17ROCPRIM_400000_NS6detail17trampoline_kernelINS0_14default_configENS1_38merge_sort_block_merge_config_selectorIlNS0_10empty_typeEEEZZNS1_27merge_sort_block_merge_implIS3_PlPS5_mZN2at6native12_GLOBAL__N_124unique_dim_cuda_templateIN3c104HalfEEESt5tupleIJNSA_6TensorESH_SH_EERKSH_lbbbEUlllE_EE10hipError_tT0_T1_T2_jT3_P12ihipStream_tbPNSt15iterator_traitsISN_E10value_typeEPNST_ISO_E10value_typeEPSP_NS1_7vsmem_tEENKUlT_SN_SO_SP_E_clIS8_S8_S9_S9_EESM_S12_SN_SO_SP_EUlS12_E_NS1_11comp_targetILNS1_3genE0ELNS1_11target_archE4294967295ELNS1_3gpuE0ELNS1_3repE0EEENS1_48merge_mergepath_partition_config_static_selectorELNS0_4arch9wavefront6targetE1EEEvSO_
		.amdhsa_group_segment_fixed_size 0
		.amdhsa_private_segment_fixed_size 0
		.amdhsa_kernarg_size 56
		.amdhsa_user_sgpr_count 2
		.amdhsa_user_sgpr_dispatch_ptr 0
		.amdhsa_user_sgpr_queue_ptr 0
		.amdhsa_user_sgpr_kernarg_segment_ptr 1
		.amdhsa_user_sgpr_dispatch_id 0
		.amdhsa_user_sgpr_kernarg_preload_length 0
		.amdhsa_user_sgpr_kernarg_preload_offset 0
		.amdhsa_user_sgpr_private_segment_size 0
		.amdhsa_uses_dynamic_stack 0
		.amdhsa_enable_private_segment 0
		.amdhsa_system_sgpr_workgroup_id_x 1
		.amdhsa_system_sgpr_workgroup_id_y 0
		.amdhsa_system_sgpr_workgroup_id_z 0
		.amdhsa_system_sgpr_workgroup_info 0
		.amdhsa_system_vgpr_workitem_id 0
		.amdhsa_next_free_vgpr 23
		.amdhsa_next_free_sgpr 32
		.amdhsa_accum_offset 24
		.amdhsa_reserve_vcc 1
		.amdhsa_float_round_mode_32 0
		.amdhsa_float_round_mode_16_64 0
		.amdhsa_float_denorm_mode_32 3
		.amdhsa_float_denorm_mode_16_64 3
		.amdhsa_dx10_clamp 1
		.amdhsa_ieee_mode 1
		.amdhsa_fp16_overflow 0
		.amdhsa_tg_split 0
		.amdhsa_exception_fp_ieee_invalid_op 0
		.amdhsa_exception_fp_denorm_src 0
		.amdhsa_exception_fp_ieee_div_zero 0
		.amdhsa_exception_fp_ieee_overflow 0
		.amdhsa_exception_fp_ieee_underflow 0
		.amdhsa_exception_fp_ieee_inexact 0
		.amdhsa_exception_int_div_zero 0
	.end_amdhsa_kernel
	.section	.text._ZN7rocprim17ROCPRIM_400000_NS6detail17trampoline_kernelINS0_14default_configENS1_38merge_sort_block_merge_config_selectorIlNS0_10empty_typeEEEZZNS1_27merge_sort_block_merge_implIS3_PlPS5_mZN2at6native12_GLOBAL__N_124unique_dim_cuda_templateIN3c104HalfEEESt5tupleIJNSA_6TensorESH_SH_EERKSH_lbbbEUlllE_EE10hipError_tT0_T1_T2_jT3_P12ihipStream_tbPNSt15iterator_traitsISN_E10value_typeEPNST_ISO_E10value_typeEPSP_NS1_7vsmem_tEENKUlT_SN_SO_SP_E_clIS8_S8_S9_S9_EESM_S12_SN_SO_SP_EUlS12_E_NS1_11comp_targetILNS1_3genE0ELNS1_11target_archE4294967295ELNS1_3gpuE0ELNS1_3repE0EEENS1_48merge_mergepath_partition_config_static_selectorELNS0_4arch9wavefront6targetE1EEEvSO_,"axG",@progbits,_ZN7rocprim17ROCPRIM_400000_NS6detail17trampoline_kernelINS0_14default_configENS1_38merge_sort_block_merge_config_selectorIlNS0_10empty_typeEEEZZNS1_27merge_sort_block_merge_implIS3_PlPS5_mZN2at6native12_GLOBAL__N_124unique_dim_cuda_templateIN3c104HalfEEESt5tupleIJNSA_6TensorESH_SH_EERKSH_lbbbEUlllE_EE10hipError_tT0_T1_T2_jT3_P12ihipStream_tbPNSt15iterator_traitsISN_E10value_typeEPNST_ISO_E10value_typeEPSP_NS1_7vsmem_tEENKUlT_SN_SO_SP_E_clIS8_S8_S9_S9_EESM_S12_SN_SO_SP_EUlS12_E_NS1_11comp_targetILNS1_3genE0ELNS1_11target_archE4294967295ELNS1_3gpuE0ELNS1_3repE0EEENS1_48merge_mergepath_partition_config_static_selectorELNS0_4arch9wavefront6targetE1EEEvSO_,comdat
.Lfunc_end1248:
	.size	_ZN7rocprim17ROCPRIM_400000_NS6detail17trampoline_kernelINS0_14default_configENS1_38merge_sort_block_merge_config_selectorIlNS0_10empty_typeEEEZZNS1_27merge_sort_block_merge_implIS3_PlPS5_mZN2at6native12_GLOBAL__N_124unique_dim_cuda_templateIN3c104HalfEEESt5tupleIJNSA_6TensorESH_SH_EERKSH_lbbbEUlllE_EE10hipError_tT0_T1_T2_jT3_P12ihipStream_tbPNSt15iterator_traitsISN_E10value_typeEPNST_ISO_E10value_typeEPSP_NS1_7vsmem_tEENKUlT_SN_SO_SP_E_clIS8_S8_S9_S9_EESM_S12_SN_SO_SP_EUlS12_E_NS1_11comp_targetILNS1_3genE0ELNS1_11target_archE4294967295ELNS1_3gpuE0ELNS1_3repE0EEENS1_48merge_mergepath_partition_config_static_selectorELNS0_4arch9wavefront6targetE1EEEvSO_, .Lfunc_end1248-_ZN7rocprim17ROCPRIM_400000_NS6detail17trampoline_kernelINS0_14default_configENS1_38merge_sort_block_merge_config_selectorIlNS0_10empty_typeEEEZZNS1_27merge_sort_block_merge_implIS3_PlPS5_mZN2at6native12_GLOBAL__N_124unique_dim_cuda_templateIN3c104HalfEEESt5tupleIJNSA_6TensorESH_SH_EERKSH_lbbbEUlllE_EE10hipError_tT0_T1_T2_jT3_P12ihipStream_tbPNSt15iterator_traitsISN_E10value_typeEPNST_ISO_E10value_typeEPSP_NS1_7vsmem_tEENKUlT_SN_SO_SP_E_clIS8_S8_S9_S9_EESM_S12_SN_SO_SP_EUlS12_E_NS1_11comp_targetILNS1_3genE0ELNS1_11target_archE4294967295ELNS1_3gpuE0ELNS1_3repE0EEENS1_48merge_mergepath_partition_config_static_selectorELNS0_4arch9wavefront6targetE1EEEvSO_
                                        ; -- End function
	.set _ZN7rocprim17ROCPRIM_400000_NS6detail17trampoline_kernelINS0_14default_configENS1_38merge_sort_block_merge_config_selectorIlNS0_10empty_typeEEEZZNS1_27merge_sort_block_merge_implIS3_PlPS5_mZN2at6native12_GLOBAL__N_124unique_dim_cuda_templateIN3c104HalfEEESt5tupleIJNSA_6TensorESH_SH_EERKSH_lbbbEUlllE_EE10hipError_tT0_T1_T2_jT3_P12ihipStream_tbPNSt15iterator_traitsISN_E10value_typeEPNST_ISO_E10value_typeEPSP_NS1_7vsmem_tEENKUlT_SN_SO_SP_E_clIS8_S8_S9_S9_EESM_S12_SN_SO_SP_EUlS12_E_NS1_11comp_targetILNS1_3genE0ELNS1_11target_archE4294967295ELNS1_3gpuE0ELNS1_3repE0EEENS1_48merge_mergepath_partition_config_static_selectorELNS0_4arch9wavefront6targetE1EEEvSO_.num_vgpr, 23
	.set _ZN7rocprim17ROCPRIM_400000_NS6detail17trampoline_kernelINS0_14default_configENS1_38merge_sort_block_merge_config_selectorIlNS0_10empty_typeEEEZZNS1_27merge_sort_block_merge_implIS3_PlPS5_mZN2at6native12_GLOBAL__N_124unique_dim_cuda_templateIN3c104HalfEEESt5tupleIJNSA_6TensorESH_SH_EERKSH_lbbbEUlllE_EE10hipError_tT0_T1_T2_jT3_P12ihipStream_tbPNSt15iterator_traitsISN_E10value_typeEPNST_ISO_E10value_typeEPSP_NS1_7vsmem_tEENKUlT_SN_SO_SP_E_clIS8_S8_S9_S9_EESM_S12_SN_SO_SP_EUlS12_E_NS1_11comp_targetILNS1_3genE0ELNS1_11target_archE4294967295ELNS1_3gpuE0ELNS1_3repE0EEENS1_48merge_mergepath_partition_config_static_selectorELNS0_4arch9wavefront6targetE1EEEvSO_.num_agpr, 0
	.set _ZN7rocprim17ROCPRIM_400000_NS6detail17trampoline_kernelINS0_14default_configENS1_38merge_sort_block_merge_config_selectorIlNS0_10empty_typeEEEZZNS1_27merge_sort_block_merge_implIS3_PlPS5_mZN2at6native12_GLOBAL__N_124unique_dim_cuda_templateIN3c104HalfEEESt5tupleIJNSA_6TensorESH_SH_EERKSH_lbbbEUlllE_EE10hipError_tT0_T1_T2_jT3_P12ihipStream_tbPNSt15iterator_traitsISN_E10value_typeEPNST_ISO_E10value_typeEPSP_NS1_7vsmem_tEENKUlT_SN_SO_SP_E_clIS8_S8_S9_S9_EESM_S12_SN_SO_SP_EUlS12_E_NS1_11comp_targetILNS1_3genE0ELNS1_11target_archE4294967295ELNS1_3gpuE0ELNS1_3repE0EEENS1_48merge_mergepath_partition_config_static_selectorELNS0_4arch9wavefront6targetE1EEEvSO_.numbered_sgpr, 32
	.set _ZN7rocprim17ROCPRIM_400000_NS6detail17trampoline_kernelINS0_14default_configENS1_38merge_sort_block_merge_config_selectorIlNS0_10empty_typeEEEZZNS1_27merge_sort_block_merge_implIS3_PlPS5_mZN2at6native12_GLOBAL__N_124unique_dim_cuda_templateIN3c104HalfEEESt5tupleIJNSA_6TensorESH_SH_EERKSH_lbbbEUlllE_EE10hipError_tT0_T1_T2_jT3_P12ihipStream_tbPNSt15iterator_traitsISN_E10value_typeEPNST_ISO_E10value_typeEPSP_NS1_7vsmem_tEENKUlT_SN_SO_SP_E_clIS8_S8_S9_S9_EESM_S12_SN_SO_SP_EUlS12_E_NS1_11comp_targetILNS1_3genE0ELNS1_11target_archE4294967295ELNS1_3gpuE0ELNS1_3repE0EEENS1_48merge_mergepath_partition_config_static_selectorELNS0_4arch9wavefront6targetE1EEEvSO_.num_named_barrier, 0
	.set _ZN7rocprim17ROCPRIM_400000_NS6detail17trampoline_kernelINS0_14default_configENS1_38merge_sort_block_merge_config_selectorIlNS0_10empty_typeEEEZZNS1_27merge_sort_block_merge_implIS3_PlPS5_mZN2at6native12_GLOBAL__N_124unique_dim_cuda_templateIN3c104HalfEEESt5tupleIJNSA_6TensorESH_SH_EERKSH_lbbbEUlllE_EE10hipError_tT0_T1_T2_jT3_P12ihipStream_tbPNSt15iterator_traitsISN_E10value_typeEPNST_ISO_E10value_typeEPSP_NS1_7vsmem_tEENKUlT_SN_SO_SP_E_clIS8_S8_S9_S9_EESM_S12_SN_SO_SP_EUlS12_E_NS1_11comp_targetILNS1_3genE0ELNS1_11target_archE4294967295ELNS1_3gpuE0ELNS1_3repE0EEENS1_48merge_mergepath_partition_config_static_selectorELNS0_4arch9wavefront6targetE1EEEvSO_.private_seg_size, 0
	.set _ZN7rocprim17ROCPRIM_400000_NS6detail17trampoline_kernelINS0_14default_configENS1_38merge_sort_block_merge_config_selectorIlNS0_10empty_typeEEEZZNS1_27merge_sort_block_merge_implIS3_PlPS5_mZN2at6native12_GLOBAL__N_124unique_dim_cuda_templateIN3c104HalfEEESt5tupleIJNSA_6TensorESH_SH_EERKSH_lbbbEUlllE_EE10hipError_tT0_T1_T2_jT3_P12ihipStream_tbPNSt15iterator_traitsISN_E10value_typeEPNST_ISO_E10value_typeEPSP_NS1_7vsmem_tEENKUlT_SN_SO_SP_E_clIS8_S8_S9_S9_EESM_S12_SN_SO_SP_EUlS12_E_NS1_11comp_targetILNS1_3genE0ELNS1_11target_archE4294967295ELNS1_3gpuE0ELNS1_3repE0EEENS1_48merge_mergepath_partition_config_static_selectorELNS0_4arch9wavefront6targetE1EEEvSO_.uses_vcc, 1
	.set _ZN7rocprim17ROCPRIM_400000_NS6detail17trampoline_kernelINS0_14default_configENS1_38merge_sort_block_merge_config_selectorIlNS0_10empty_typeEEEZZNS1_27merge_sort_block_merge_implIS3_PlPS5_mZN2at6native12_GLOBAL__N_124unique_dim_cuda_templateIN3c104HalfEEESt5tupleIJNSA_6TensorESH_SH_EERKSH_lbbbEUlllE_EE10hipError_tT0_T1_T2_jT3_P12ihipStream_tbPNSt15iterator_traitsISN_E10value_typeEPNST_ISO_E10value_typeEPSP_NS1_7vsmem_tEENKUlT_SN_SO_SP_E_clIS8_S8_S9_S9_EESM_S12_SN_SO_SP_EUlS12_E_NS1_11comp_targetILNS1_3genE0ELNS1_11target_archE4294967295ELNS1_3gpuE0ELNS1_3repE0EEENS1_48merge_mergepath_partition_config_static_selectorELNS0_4arch9wavefront6targetE1EEEvSO_.uses_flat_scratch, 0
	.set _ZN7rocprim17ROCPRIM_400000_NS6detail17trampoline_kernelINS0_14default_configENS1_38merge_sort_block_merge_config_selectorIlNS0_10empty_typeEEEZZNS1_27merge_sort_block_merge_implIS3_PlPS5_mZN2at6native12_GLOBAL__N_124unique_dim_cuda_templateIN3c104HalfEEESt5tupleIJNSA_6TensorESH_SH_EERKSH_lbbbEUlllE_EE10hipError_tT0_T1_T2_jT3_P12ihipStream_tbPNSt15iterator_traitsISN_E10value_typeEPNST_ISO_E10value_typeEPSP_NS1_7vsmem_tEENKUlT_SN_SO_SP_E_clIS8_S8_S9_S9_EESM_S12_SN_SO_SP_EUlS12_E_NS1_11comp_targetILNS1_3genE0ELNS1_11target_archE4294967295ELNS1_3gpuE0ELNS1_3repE0EEENS1_48merge_mergepath_partition_config_static_selectorELNS0_4arch9wavefront6targetE1EEEvSO_.has_dyn_sized_stack, 0
	.set _ZN7rocprim17ROCPRIM_400000_NS6detail17trampoline_kernelINS0_14default_configENS1_38merge_sort_block_merge_config_selectorIlNS0_10empty_typeEEEZZNS1_27merge_sort_block_merge_implIS3_PlPS5_mZN2at6native12_GLOBAL__N_124unique_dim_cuda_templateIN3c104HalfEEESt5tupleIJNSA_6TensorESH_SH_EERKSH_lbbbEUlllE_EE10hipError_tT0_T1_T2_jT3_P12ihipStream_tbPNSt15iterator_traitsISN_E10value_typeEPNST_ISO_E10value_typeEPSP_NS1_7vsmem_tEENKUlT_SN_SO_SP_E_clIS8_S8_S9_S9_EESM_S12_SN_SO_SP_EUlS12_E_NS1_11comp_targetILNS1_3genE0ELNS1_11target_archE4294967295ELNS1_3gpuE0ELNS1_3repE0EEENS1_48merge_mergepath_partition_config_static_selectorELNS0_4arch9wavefront6targetE1EEEvSO_.has_recursion, 0
	.set _ZN7rocprim17ROCPRIM_400000_NS6detail17trampoline_kernelINS0_14default_configENS1_38merge_sort_block_merge_config_selectorIlNS0_10empty_typeEEEZZNS1_27merge_sort_block_merge_implIS3_PlPS5_mZN2at6native12_GLOBAL__N_124unique_dim_cuda_templateIN3c104HalfEEESt5tupleIJNSA_6TensorESH_SH_EERKSH_lbbbEUlllE_EE10hipError_tT0_T1_T2_jT3_P12ihipStream_tbPNSt15iterator_traitsISN_E10value_typeEPNST_ISO_E10value_typeEPSP_NS1_7vsmem_tEENKUlT_SN_SO_SP_E_clIS8_S8_S9_S9_EESM_S12_SN_SO_SP_EUlS12_E_NS1_11comp_targetILNS1_3genE0ELNS1_11target_archE4294967295ELNS1_3gpuE0ELNS1_3repE0EEENS1_48merge_mergepath_partition_config_static_selectorELNS0_4arch9wavefront6targetE1EEEvSO_.has_indirect_call, 0
	.section	.AMDGPU.csdata,"",@progbits
; Kernel info:
; codeLenInByte = 764
; TotalNumSgprs: 38
; NumVgprs: 23
; NumAgprs: 0
; TotalNumVgprs: 23
; ScratchSize: 0
; MemoryBound: 0
; FloatMode: 240
; IeeeMode: 1
; LDSByteSize: 0 bytes/workgroup (compile time only)
; SGPRBlocks: 4
; VGPRBlocks: 2
; NumSGPRsForWavesPerEU: 38
; NumVGPRsForWavesPerEU: 23
; AccumOffset: 24
; Occupancy: 8
; WaveLimiterHint : 0
; COMPUTE_PGM_RSRC2:SCRATCH_EN: 0
; COMPUTE_PGM_RSRC2:USER_SGPR: 2
; COMPUTE_PGM_RSRC2:TRAP_HANDLER: 0
; COMPUTE_PGM_RSRC2:TGID_X_EN: 1
; COMPUTE_PGM_RSRC2:TGID_Y_EN: 0
; COMPUTE_PGM_RSRC2:TGID_Z_EN: 0
; COMPUTE_PGM_RSRC2:TIDIG_COMP_CNT: 0
; COMPUTE_PGM_RSRC3_GFX90A:ACCUM_OFFSET: 5
; COMPUTE_PGM_RSRC3_GFX90A:TG_SPLIT: 0
	.section	.text._ZN7rocprim17ROCPRIM_400000_NS6detail17trampoline_kernelINS0_14default_configENS1_38merge_sort_block_merge_config_selectorIlNS0_10empty_typeEEEZZNS1_27merge_sort_block_merge_implIS3_PlPS5_mZN2at6native12_GLOBAL__N_124unique_dim_cuda_templateIN3c104HalfEEESt5tupleIJNSA_6TensorESH_SH_EERKSH_lbbbEUlllE_EE10hipError_tT0_T1_T2_jT3_P12ihipStream_tbPNSt15iterator_traitsISN_E10value_typeEPNST_ISO_E10value_typeEPSP_NS1_7vsmem_tEENKUlT_SN_SO_SP_E_clIS8_S8_S9_S9_EESM_S12_SN_SO_SP_EUlS12_E_NS1_11comp_targetILNS1_3genE10ELNS1_11target_archE1201ELNS1_3gpuE5ELNS1_3repE0EEENS1_48merge_mergepath_partition_config_static_selectorELNS0_4arch9wavefront6targetE1EEEvSO_,"axG",@progbits,_ZN7rocprim17ROCPRIM_400000_NS6detail17trampoline_kernelINS0_14default_configENS1_38merge_sort_block_merge_config_selectorIlNS0_10empty_typeEEEZZNS1_27merge_sort_block_merge_implIS3_PlPS5_mZN2at6native12_GLOBAL__N_124unique_dim_cuda_templateIN3c104HalfEEESt5tupleIJNSA_6TensorESH_SH_EERKSH_lbbbEUlllE_EE10hipError_tT0_T1_T2_jT3_P12ihipStream_tbPNSt15iterator_traitsISN_E10value_typeEPNST_ISO_E10value_typeEPSP_NS1_7vsmem_tEENKUlT_SN_SO_SP_E_clIS8_S8_S9_S9_EESM_S12_SN_SO_SP_EUlS12_E_NS1_11comp_targetILNS1_3genE10ELNS1_11target_archE1201ELNS1_3gpuE5ELNS1_3repE0EEENS1_48merge_mergepath_partition_config_static_selectorELNS0_4arch9wavefront6targetE1EEEvSO_,comdat
	.globl	_ZN7rocprim17ROCPRIM_400000_NS6detail17trampoline_kernelINS0_14default_configENS1_38merge_sort_block_merge_config_selectorIlNS0_10empty_typeEEEZZNS1_27merge_sort_block_merge_implIS3_PlPS5_mZN2at6native12_GLOBAL__N_124unique_dim_cuda_templateIN3c104HalfEEESt5tupleIJNSA_6TensorESH_SH_EERKSH_lbbbEUlllE_EE10hipError_tT0_T1_T2_jT3_P12ihipStream_tbPNSt15iterator_traitsISN_E10value_typeEPNST_ISO_E10value_typeEPSP_NS1_7vsmem_tEENKUlT_SN_SO_SP_E_clIS8_S8_S9_S9_EESM_S12_SN_SO_SP_EUlS12_E_NS1_11comp_targetILNS1_3genE10ELNS1_11target_archE1201ELNS1_3gpuE5ELNS1_3repE0EEENS1_48merge_mergepath_partition_config_static_selectorELNS0_4arch9wavefront6targetE1EEEvSO_ ; -- Begin function _ZN7rocprim17ROCPRIM_400000_NS6detail17trampoline_kernelINS0_14default_configENS1_38merge_sort_block_merge_config_selectorIlNS0_10empty_typeEEEZZNS1_27merge_sort_block_merge_implIS3_PlPS5_mZN2at6native12_GLOBAL__N_124unique_dim_cuda_templateIN3c104HalfEEESt5tupleIJNSA_6TensorESH_SH_EERKSH_lbbbEUlllE_EE10hipError_tT0_T1_T2_jT3_P12ihipStream_tbPNSt15iterator_traitsISN_E10value_typeEPNST_ISO_E10value_typeEPSP_NS1_7vsmem_tEENKUlT_SN_SO_SP_E_clIS8_S8_S9_S9_EESM_S12_SN_SO_SP_EUlS12_E_NS1_11comp_targetILNS1_3genE10ELNS1_11target_archE1201ELNS1_3gpuE5ELNS1_3repE0EEENS1_48merge_mergepath_partition_config_static_selectorELNS0_4arch9wavefront6targetE1EEEvSO_
	.p2align	8
	.type	_ZN7rocprim17ROCPRIM_400000_NS6detail17trampoline_kernelINS0_14default_configENS1_38merge_sort_block_merge_config_selectorIlNS0_10empty_typeEEEZZNS1_27merge_sort_block_merge_implIS3_PlPS5_mZN2at6native12_GLOBAL__N_124unique_dim_cuda_templateIN3c104HalfEEESt5tupleIJNSA_6TensorESH_SH_EERKSH_lbbbEUlllE_EE10hipError_tT0_T1_T2_jT3_P12ihipStream_tbPNSt15iterator_traitsISN_E10value_typeEPNST_ISO_E10value_typeEPSP_NS1_7vsmem_tEENKUlT_SN_SO_SP_E_clIS8_S8_S9_S9_EESM_S12_SN_SO_SP_EUlS12_E_NS1_11comp_targetILNS1_3genE10ELNS1_11target_archE1201ELNS1_3gpuE5ELNS1_3repE0EEENS1_48merge_mergepath_partition_config_static_selectorELNS0_4arch9wavefront6targetE1EEEvSO_,@function
_ZN7rocprim17ROCPRIM_400000_NS6detail17trampoline_kernelINS0_14default_configENS1_38merge_sort_block_merge_config_selectorIlNS0_10empty_typeEEEZZNS1_27merge_sort_block_merge_implIS3_PlPS5_mZN2at6native12_GLOBAL__N_124unique_dim_cuda_templateIN3c104HalfEEESt5tupleIJNSA_6TensorESH_SH_EERKSH_lbbbEUlllE_EE10hipError_tT0_T1_T2_jT3_P12ihipStream_tbPNSt15iterator_traitsISN_E10value_typeEPNST_ISO_E10value_typeEPSP_NS1_7vsmem_tEENKUlT_SN_SO_SP_E_clIS8_S8_S9_S9_EESM_S12_SN_SO_SP_EUlS12_E_NS1_11comp_targetILNS1_3genE10ELNS1_11target_archE1201ELNS1_3gpuE5ELNS1_3repE0EEENS1_48merge_mergepath_partition_config_static_selectorELNS0_4arch9wavefront6targetE1EEEvSO_: ; @_ZN7rocprim17ROCPRIM_400000_NS6detail17trampoline_kernelINS0_14default_configENS1_38merge_sort_block_merge_config_selectorIlNS0_10empty_typeEEEZZNS1_27merge_sort_block_merge_implIS3_PlPS5_mZN2at6native12_GLOBAL__N_124unique_dim_cuda_templateIN3c104HalfEEESt5tupleIJNSA_6TensorESH_SH_EERKSH_lbbbEUlllE_EE10hipError_tT0_T1_T2_jT3_P12ihipStream_tbPNSt15iterator_traitsISN_E10value_typeEPNST_ISO_E10value_typeEPSP_NS1_7vsmem_tEENKUlT_SN_SO_SP_E_clIS8_S8_S9_S9_EESM_S12_SN_SO_SP_EUlS12_E_NS1_11comp_targetILNS1_3genE10ELNS1_11target_archE1201ELNS1_3gpuE5ELNS1_3repE0EEENS1_48merge_mergepath_partition_config_static_selectorELNS0_4arch9wavefront6targetE1EEEvSO_
; %bb.0:
	.section	.rodata,"a",@progbits
	.p2align	6, 0x0
	.amdhsa_kernel _ZN7rocprim17ROCPRIM_400000_NS6detail17trampoline_kernelINS0_14default_configENS1_38merge_sort_block_merge_config_selectorIlNS0_10empty_typeEEEZZNS1_27merge_sort_block_merge_implIS3_PlPS5_mZN2at6native12_GLOBAL__N_124unique_dim_cuda_templateIN3c104HalfEEESt5tupleIJNSA_6TensorESH_SH_EERKSH_lbbbEUlllE_EE10hipError_tT0_T1_T2_jT3_P12ihipStream_tbPNSt15iterator_traitsISN_E10value_typeEPNST_ISO_E10value_typeEPSP_NS1_7vsmem_tEENKUlT_SN_SO_SP_E_clIS8_S8_S9_S9_EESM_S12_SN_SO_SP_EUlS12_E_NS1_11comp_targetILNS1_3genE10ELNS1_11target_archE1201ELNS1_3gpuE5ELNS1_3repE0EEENS1_48merge_mergepath_partition_config_static_selectorELNS0_4arch9wavefront6targetE1EEEvSO_
		.amdhsa_group_segment_fixed_size 0
		.amdhsa_private_segment_fixed_size 0
		.amdhsa_kernarg_size 56
		.amdhsa_user_sgpr_count 2
		.amdhsa_user_sgpr_dispatch_ptr 0
		.amdhsa_user_sgpr_queue_ptr 0
		.amdhsa_user_sgpr_kernarg_segment_ptr 1
		.amdhsa_user_sgpr_dispatch_id 0
		.amdhsa_user_sgpr_kernarg_preload_length 0
		.amdhsa_user_sgpr_kernarg_preload_offset 0
		.amdhsa_user_sgpr_private_segment_size 0
		.amdhsa_uses_dynamic_stack 0
		.amdhsa_enable_private_segment 0
		.amdhsa_system_sgpr_workgroup_id_x 1
		.amdhsa_system_sgpr_workgroup_id_y 0
		.amdhsa_system_sgpr_workgroup_id_z 0
		.amdhsa_system_sgpr_workgroup_info 0
		.amdhsa_system_vgpr_workitem_id 0
		.amdhsa_next_free_vgpr 1
		.amdhsa_next_free_sgpr 0
		.amdhsa_accum_offset 4
		.amdhsa_reserve_vcc 0
		.amdhsa_float_round_mode_32 0
		.amdhsa_float_round_mode_16_64 0
		.amdhsa_float_denorm_mode_32 3
		.amdhsa_float_denorm_mode_16_64 3
		.amdhsa_dx10_clamp 1
		.amdhsa_ieee_mode 1
		.amdhsa_fp16_overflow 0
		.amdhsa_tg_split 0
		.amdhsa_exception_fp_ieee_invalid_op 0
		.amdhsa_exception_fp_denorm_src 0
		.amdhsa_exception_fp_ieee_div_zero 0
		.amdhsa_exception_fp_ieee_overflow 0
		.amdhsa_exception_fp_ieee_underflow 0
		.amdhsa_exception_fp_ieee_inexact 0
		.amdhsa_exception_int_div_zero 0
	.end_amdhsa_kernel
	.section	.text._ZN7rocprim17ROCPRIM_400000_NS6detail17trampoline_kernelINS0_14default_configENS1_38merge_sort_block_merge_config_selectorIlNS0_10empty_typeEEEZZNS1_27merge_sort_block_merge_implIS3_PlPS5_mZN2at6native12_GLOBAL__N_124unique_dim_cuda_templateIN3c104HalfEEESt5tupleIJNSA_6TensorESH_SH_EERKSH_lbbbEUlllE_EE10hipError_tT0_T1_T2_jT3_P12ihipStream_tbPNSt15iterator_traitsISN_E10value_typeEPNST_ISO_E10value_typeEPSP_NS1_7vsmem_tEENKUlT_SN_SO_SP_E_clIS8_S8_S9_S9_EESM_S12_SN_SO_SP_EUlS12_E_NS1_11comp_targetILNS1_3genE10ELNS1_11target_archE1201ELNS1_3gpuE5ELNS1_3repE0EEENS1_48merge_mergepath_partition_config_static_selectorELNS0_4arch9wavefront6targetE1EEEvSO_,"axG",@progbits,_ZN7rocprim17ROCPRIM_400000_NS6detail17trampoline_kernelINS0_14default_configENS1_38merge_sort_block_merge_config_selectorIlNS0_10empty_typeEEEZZNS1_27merge_sort_block_merge_implIS3_PlPS5_mZN2at6native12_GLOBAL__N_124unique_dim_cuda_templateIN3c104HalfEEESt5tupleIJNSA_6TensorESH_SH_EERKSH_lbbbEUlllE_EE10hipError_tT0_T1_T2_jT3_P12ihipStream_tbPNSt15iterator_traitsISN_E10value_typeEPNST_ISO_E10value_typeEPSP_NS1_7vsmem_tEENKUlT_SN_SO_SP_E_clIS8_S8_S9_S9_EESM_S12_SN_SO_SP_EUlS12_E_NS1_11comp_targetILNS1_3genE10ELNS1_11target_archE1201ELNS1_3gpuE5ELNS1_3repE0EEENS1_48merge_mergepath_partition_config_static_selectorELNS0_4arch9wavefront6targetE1EEEvSO_,comdat
.Lfunc_end1249:
	.size	_ZN7rocprim17ROCPRIM_400000_NS6detail17trampoline_kernelINS0_14default_configENS1_38merge_sort_block_merge_config_selectorIlNS0_10empty_typeEEEZZNS1_27merge_sort_block_merge_implIS3_PlPS5_mZN2at6native12_GLOBAL__N_124unique_dim_cuda_templateIN3c104HalfEEESt5tupleIJNSA_6TensorESH_SH_EERKSH_lbbbEUlllE_EE10hipError_tT0_T1_T2_jT3_P12ihipStream_tbPNSt15iterator_traitsISN_E10value_typeEPNST_ISO_E10value_typeEPSP_NS1_7vsmem_tEENKUlT_SN_SO_SP_E_clIS8_S8_S9_S9_EESM_S12_SN_SO_SP_EUlS12_E_NS1_11comp_targetILNS1_3genE10ELNS1_11target_archE1201ELNS1_3gpuE5ELNS1_3repE0EEENS1_48merge_mergepath_partition_config_static_selectorELNS0_4arch9wavefront6targetE1EEEvSO_, .Lfunc_end1249-_ZN7rocprim17ROCPRIM_400000_NS6detail17trampoline_kernelINS0_14default_configENS1_38merge_sort_block_merge_config_selectorIlNS0_10empty_typeEEEZZNS1_27merge_sort_block_merge_implIS3_PlPS5_mZN2at6native12_GLOBAL__N_124unique_dim_cuda_templateIN3c104HalfEEESt5tupleIJNSA_6TensorESH_SH_EERKSH_lbbbEUlllE_EE10hipError_tT0_T1_T2_jT3_P12ihipStream_tbPNSt15iterator_traitsISN_E10value_typeEPNST_ISO_E10value_typeEPSP_NS1_7vsmem_tEENKUlT_SN_SO_SP_E_clIS8_S8_S9_S9_EESM_S12_SN_SO_SP_EUlS12_E_NS1_11comp_targetILNS1_3genE10ELNS1_11target_archE1201ELNS1_3gpuE5ELNS1_3repE0EEENS1_48merge_mergepath_partition_config_static_selectorELNS0_4arch9wavefront6targetE1EEEvSO_
                                        ; -- End function
	.set _ZN7rocprim17ROCPRIM_400000_NS6detail17trampoline_kernelINS0_14default_configENS1_38merge_sort_block_merge_config_selectorIlNS0_10empty_typeEEEZZNS1_27merge_sort_block_merge_implIS3_PlPS5_mZN2at6native12_GLOBAL__N_124unique_dim_cuda_templateIN3c104HalfEEESt5tupleIJNSA_6TensorESH_SH_EERKSH_lbbbEUlllE_EE10hipError_tT0_T1_T2_jT3_P12ihipStream_tbPNSt15iterator_traitsISN_E10value_typeEPNST_ISO_E10value_typeEPSP_NS1_7vsmem_tEENKUlT_SN_SO_SP_E_clIS8_S8_S9_S9_EESM_S12_SN_SO_SP_EUlS12_E_NS1_11comp_targetILNS1_3genE10ELNS1_11target_archE1201ELNS1_3gpuE5ELNS1_3repE0EEENS1_48merge_mergepath_partition_config_static_selectorELNS0_4arch9wavefront6targetE1EEEvSO_.num_vgpr, 0
	.set _ZN7rocprim17ROCPRIM_400000_NS6detail17trampoline_kernelINS0_14default_configENS1_38merge_sort_block_merge_config_selectorIlNS0_10empty_typeEEEZZNS1_27merge_sort_block_merge_implIS3_PlPS5_mZN2at6native12_GLOBAL__N_124unique_dim_cuda_templateIN3c104HalfEEESt5tupleIJNSA_6TensorESH_SH_EERKSH_lbbbEUlllE_EE10hipError_tT0_T1_T2_jT3_P12ihipStream_tbPNSt15iterator_traitsISN_E10value_typeEPNST_ISO_E10value_typeEPSP_NS1_7vsmem_tEENKUlT_SN_SO_SP_E_clIS8_S8_S9_S9_EESM_S12_SN_SO_SP_EUlS12_E_NS1_11comp_targetILNS1_3genE10ELNS1_11target_archE1201ELNS1_3gpuE5ELNS1_3repE0EEENS1_48merge_mergepath_partition_config_static_selectorELNS0_4arch9wavefront6targetE1EEEvSO_.num_agpr, 0
	.set _ZN7rocprim17ROCPRIM_400000_NS6detail17trampoline_kernelINS0_14default_configENS1_38merge_sort_block_merge_config_selectorIlNS0_10empty_typeEEEZZNS1_27merge_sort_block_merge_implIS3_PlPS5_mZN2at6native12_GLOBAL__N_124unique_dim_cuda_templateIN3c104HalfEEESt5tupleIJNSA_6TensorESH_SH_EERKSH_lbbbEUlllE_EE10hipError_tT0_T1_T2_jT3_P12ihipStream_tbPNSt15iterator_traitsISN_E10value_typeEPNST_ISO_E10value_typeEPSP_NS1_7vsmem_tEENKUlT_SN_SO_SP_E_clIS8_S8_S9_S9_EESM_S12_SN_SO_SP_EUlS12_E_NS1_11comp_targetILNS1_3genE10ELNS1_11target_archE1201ELNS1_3gpuE5ELNS1_3repE0EEENS1_48merge_mergepath_partition_config_static_selectorELNS0_4arch9wavefront6targetE1EEEvSO_.numbered_sgpr, 0
	.set _ZN7rocprim17ROCPRIM_400000_NS6detail17trampoline_kernelINS0_14default_configENS1_38merge_sort_block_merge_config_selectorIlNS0_10empty_typeEEEZZNS1_27merge_sort_block_merge_implIS3_PlPS5_mZN2at6native12_GLOBAL__N_124unique_dim_cuda_templateIN3c104HalfEEESt5tupleIJNSA_6TensorESH_SH_EERKSH_lbbbEUlllE_EE10hipError_tT0_T1_T2_jT3_P12ihipStream_tbPNSt15iterator_traitsISN_E10value_typeEPNST_ISO_E10value_typeEPSP_NS1_7vsmem_tEENKUlT_SN_SO_SP_E_clIS8_S8_S9_S9_EESM_S12_SN_SO_SP_EUlS12_E_NS1_11comp_targetILNS1_3genE10ELNS1_11target_archE1201ELNS1_3gpuE5ELNS1_3repE0EEENS1_48merge_mergepath_partition_config_static_selectorELNS0_4arch9wavefront6targetE1EEEvSO_.num_named_barrier, 0
	.set _ZN7rocprim17ROCPRIM_400000_NS6detail17trampoline_kernelINS0_14default_configENS1_38merge_sort_block_merge_config_selectorIlNS0_10empty_typeEEEZZNS1_27merge_sort_block_merge_implIS3_PlPS5_mZN2at6native12_GLOBAL__N_124unique_dim_cuda_templateIN3c104HalfEEESt5tupleIJNSA_6TensorESH_SH_EERKSH_lbbbEUlllE_EE10hipError_tT0_T1_T2_jT3_P12ihipStream_tbPNSt15iterator_traitsISN_E10value_typeEPNST_ISO_E10value_typeEPSP_NS1_7vsmem_tEENKUlT_SN_SO_SP_E_clIS8_S8_S9_S9_EESM_S12_SN_SO_SP_EUlS12_E_NS1_11comp_targetILNS1_3genE10ELNS1_11target_archE1201ELNS1_3gpuE5ELNS1_3repE0EEENS1_48merge_mergepath_partition_config_static_selectorELNS0_4arch9wavefront6targetE1EEEvSO_.private_seg_size, 0
	.set _ZN7rocprim17ROCPRIM_400000_NS6detail17trampoline_kernelINS0_14default_configENS1_38merge_sort_block_merge_config_selectorIlNS0_10empty_typeEEEZZNS1_27merge_sort_block_merge_implIS3_PlPS5_mZN2at6native12_GLOBAL__N_124unique_dim_cuda_templateIN3c104HalfEEESt5tupleIJNSA_6TensorESH_SH_EERKSH_lbbbEUlllE_EE10hipError_tT0_T1_T2_jT3_P12ihipStream_tbPNSt15iterator_traitsISN_E10value_typeEPNST_ISO_E10value_typeEPSP_NS1_7vsmem_tEENKUlT_SN_SO_SP_E_clIS8_S8_S9_S9_EESM_S12_SN_SO_SP_EUlS12_E_NS1_11comp_targetILNS1_3genE10ELNS1_11target_archE1201ELNS1_3gpuE5ELNS1_3repE0EEENS1_48merge_mergepath_partition_config_static_selectorELNS0_4arch9wavefront6targetE1EEEvSO_.uses_vcc, 0
	.set _ZN7rocprim17ROCPRIM_400000_NS6detail17trampoline_kernelINS0_14default_configENS1_38merge_sort_block_merge_config_selectorIlNS0_10empty_typeEEEZZNS1_27merge_sort_block_merge_implIS3_PlPS5_mZN2at6native12_GLOBAL__N_124unique_dim_cuda_templateIN3c104HalfEEESt5tupleIJNSA_6TensorESH_SH_EERKSH_lbbbEUlllE_EE10hipError_tT0_T1_T2_jT3_P12ihipStream_tbPNSt15iterator_traitsISN_E10value_typeEPNST_ISO_E10value_typeEPSP_NS1_7vsmem_tEENKUlT_SN_SO_SP_E_clIS8_S8_S9_S9_EESM_S12_SN_SO_SP_EUlS12_E_NS1_11comp_targetILNS1_3genE10ELNS1_11target_archE1201ELNS1_3gpuE5ELNS1_3repE0EEENS1_48merge_mergepath_partition_config_static_selectorELNS0_4arch9wavefront6targetE1EEEvSO_.uses_flat_scratch, 0
	.set _ZN7rocprim17ROCPRIM_400000_NS6detail17trampoline_kernelINS0_14default_configENS1_38merge_sort_block_merge_config_selectorIlNS0_10empty_typeEEEZZNS1_27merge_sort_block_merge_implIS3_PlPS5_mZN2at6native12_GLOBAL__N_124unique_dim_cuda_templateIN3c104HalfEEESt5tupleIJNSA_6TensorESH_SH_EERKSH_lbbbEUlllE_EE10hipError_tT0_T1_T2_jT3_P12ihipStream_tbPNSt15iterator_traitsISN_E10value_typeEPNST_ISO_E10value_typeEPSP_NS1_7vsmem_tEENKUlT_SN_SO_SP_E_clIS8_S8_S9_S9_EESM_S12_SN_SO_SP_EUlS12_E_NS1_11comp_targetILNS1_3genE10ELNS1_11target_archE1201ELNS1_3gpuE5ELNS1_3repE0EEENS1_48merge_mergepath_partition_config_static_selectorELNS0_4arch9wavefront6targetE1EEEvSO_.has_dyn_sized_stack, 0
	.set _ZN7rocprim17ROCPRIM_400000_NS6detail17trampoline_kernelINS0_14default_configENS1_38merge_sort_block_merge_config_selectorIlNS0_10empty_typeEEEZZNS1_27merge_sort_block_merge_implIS3_PlPS5_mZN2at6native12_GLOBAL__N_124unique_dim_cuda_templateIN3c104HalfEEESt5tupleIJNSA_6TensorESH_SH_EERKSH_lbbbEUlllE_EE10hipError_tT0_T1_T2_jT3_P12ihipStream_tbPNSt15iterator_traitsISN_E10value_typeEPNST_ISO_E10value_typeEPSP_NS1_7vsmem_tEENKUlT_SN_SO_SP_E_clIS8_S8_S9_S9_EESM_S12_SN_SO_SP_EUlS12_E_NS1_11comp_targetILNS1_3genE10ELNS1_11target_archE1201ELNS1_3gpuE5ELNS1_3repE0EEENS1_48merge_mergepath_partition_config_static_selectorELNS0_4arch9wavefront6targetE1EEEvSO_.has_recursion, 0
	.set _ZN7rocprim17ROCPRIM_400000_NS6detail17trampoline_kernelINS0_14default_configENS1_38merge_sort_block_merge_config_selectorIlNS0_10empty_typeEEEZZNS1_27merge_sort_block_merge_implIS3_PlPS5_mZN2at6native12_GLOBAL__N_124unique_dim_cuda_templateIN3c104HalfEEESt5tupleIJNSA_6TensorESH_SH_EERKSH_lbbbEUlllE_EE10hipError_tT0_T1_T2_jT3_P12ihipStream_tbPNSt15iterator_traitsISN_E10value_typeEPNST_ISO_E10value_typeEPSP_NS1_7vsmem_tEENKUlT_SN_SO_SP_E_clIS8_S8_S9_S9_EESM_S12_SN_SO_SP_EUlS12_E_NS1_11comp_targetILNS1_3genE10ELNS1_11target_archE1201ELNS1_3gpuE5ELNS1_3repE0EEENS1_48merge_mergepath_partition_config_static_selectorELNS0_4arch9wavefront6targetE1EEEvSO_.has_indirect_call, 0
	.section	.AMDGPU.csdata,"",@progbits
; Kernel info:
; codeLenInByte = 0
; TotalNumSgprs: 6
; NumVgprs: 0
; NumAgprs: 0
; TotalNumVgprs: 0
; ScratchSize: 0
; MemoryBound: 0
; FloatMode: 240
; IeeeMode: 1
; LDSByteSize: 0 bytes/workgroup (compile time only)
; SGPRBlocks: 0
; VGPRBlocks: 0
; NumSGPRsForWavesPerEU: 6
; NumVGPRsForWavesPerEU: 1
; AccumOffset: 4
; Occupancy: 8
; WaveLimiterHint : 0
; COMPUTE_PGM_RSRC2:SCRATCH_EN: 0
; COMPUTE_PGM_RSRC2:USER_SGPR: 2
; COMPUTE_PGM_RSRC2:TRAP_HANDLER: 0
; COMPUTE_PGM_RSRC2:TGID_X_EN: 1
; COMPUTE_PGM_RSRC2:TGID_Y_EN: 0
; COMPUTE_PGM_RSRC2:TGID_Z_EN: 0
; COMPUTE_PGM_RSRC2:TIDIG_COMP_CNT: 0
; COMPUTE_PGM_RSRC3_GFX90A:ACCUM_OFFSET: 0
; COMPUTE_PGM_RSRC3_GFX90A:TG_SPLIT: 0
	.section	.text._ZN7rocprim17ROCPRIM_400000_NS6detail17trampoline_kernelINS0_14default_configENS1_38merge_sort_block_merge_config_selectorIlNS0_10empty_typeEEEZZNS1_27merge_sort_block_merge_implIS3_PlPS5_mZN2at6native12_GLOBAL__N_124unique_dim_cuda_templateIN3c104HalfEEESt5tupleIJNSA_6TensorESH_SH_EERKSH_lbbbEUlllE_EE10hipError_tT0_T1_T2_jT3_P12ihipStream_tbPNSt15iterator_traitsISN_E10value_typeEPNST_ISO_E10value_typeEPSP_NS1_7vsmem_tEENKUlT_SN_SO_SP_E_clIS8_S8_S9_S9_EESM_S12_SN_SO_SP_EUlS12_E_NS1_11comp_targetILNS1_3genE5ELNS1_11target_archE942ELNS1_3gpuE9ELNS1_3repE0EEENS1_48merge_mergepath_partition_config_static_selectorELNS0_4arch9wavefront6targetE1EEEvSO_,"axG",@progbits,_ZN7rocprim17ROCPRIM_400000_NS6detail17trampoline_kernelINS0_14default_configENS1_38merge_sort_block_merge_config_selectorIlNS0_10empty_typeEEEZZNS1_27merge_sort_block_merge_implIS3_PlPS5_mZN2at6native12_GLOBAL__N_124unique_dim_cuda_templateIN3c104HalfEEESt5tupleIJNSA_6TensorESH_SH_EERKSH_lbbbEUlllE_EE10hipError_tT0_T1_T2_jT3_P12ihipStream_tbPNSt15iterator_traitsISN_E10value_typeEPNST_ISO_E10value_typeEPSP_NS1_7vsmem_tEENKUlT_SN_SO_SP_E_clIS8_S8_S9_S9_EESM_S12_SN_SO_SP_EUlS12_E_NS1_11comp_targetILNS1_3genE5ELNS1_11target_archE942ELNS1_3gpuE9ELNS1_3repE0EEENS1_48merge_mergepath_partition_config_static_selectorELNS0_4arch9wavefront6targetE1EEEvSO_,comdat
	.globl	_ZN7rocprim17ROCPRIM_400000_NS6detail17trampoline_kernelINS0_14default_configENS1_38merge_sort_block_merge_config_selectorIlNS0_10empty_typeEEEZZNS1_27merge_sort_block_merge_implIS3_PlPS5_mZN2at6native12_GLOBAL__N_124unique_dim_cuda_templateIN3c104HalfEEESt5tupleIJNSA_6TensorESH_SH_EERKSH_lbbbEUlllE_EE10hipError_tT0_T1_T2_jT3_P12ihipStream_tbPNSt15iterator_traitsISN_E10value_typeEPNST_ISO_E10value_typeEPSP_NS1_7vsmem_tEENKUlT_SN_SO_SP_E_clIS8_S8_S9_S9_EESM_S12_SN_SO_SP_EUlS12_E_NS1_11comp_targetILNS1_3genE5ELNS1_11target_archE942ELNS1_3gpuE9ELNS1_3repE0EEENS1_48merge_mergepath_partition_config_static_selectorELNS0_4arch9wavefront6targetE1EEEvSO_ ; -- Begin function _ZN7rocprim17ROCPRIM_400000_NS6detail17trampoline_kernelINS0_14default_configENS1_38merge_sort_block_merge_config_selectorIlNS0_10empty_typeEEEZZNS1_27merge_sort_block_merge_implIS3_PlPS5_mZN2at6native12_GLOBAL__N_124unique_dim_cuda_templateIN3c104HalfEEESt5tupleIJNSA_6TensorESH_SH_EERKSH_lbbbEUlllE_EE10hipError_tT0_T1_T2_jT3_P12ihipStream_tbPNSt15iterator_traitsISN_E10value_typeEPNST_ISO_E10value_typeEPSP_NS1_7vsmem_tEENKUlT_SN_SO_SP_E_clIS8_S8_S9_S9_EESM_S12_SN_SO_SP_EUlS12_E_NS1_11comp_targetILNS1_3genE5ELNS1_11target_archE942ELNS1_3gpuE9ELNS1_3repE0EEENS1_48merge_mergepath_partition_config_static_selectorELNS0_4arch9wavefront6targetE1EEEvSO_
	.p2align	8
	.type	_ZN7rocprim17ROCPRIM_400000_NS6detail17trampoline_kernelINS0_14default_configENS1_38merge_sort_block_merge_config_selectorIlNS0_10empty_typeEEEZZNS1_27merge_sort_block_merge_implIS3_PlPS5_mZN2at6native12_GLOBAL__N_124unique_dim_cuda_templateIN3c104HalfEEESt5tupleIJNSA_6TensorESH_SH_EERKSH_lbbbEUlllE_EE10hipError_tT0_T1_T2_jT3_P12ihipStream_tbPNSt15iterator_traitsISN_E10value_typeEPNST_ISO_E10value_typeEPSP_NS1_7vsmem_tEENKUlT_SN_SO_SP_E_clIS8_S8_S9_S9_EESM_S12_SN_SO_SP_EUlS12_E_NS1_11comp_targetILNS1_3genE5ELNS1_11target_archE942ELNS1_3gpuE9ELNS1_3repE0EEENS1_48merge_mergepath_partition_config_static_selectorELNS0_4arch9wavefront6targetE1EEEvSO_,@function
_ZN7rocprim17ROCPRIM_400000_NS6detail17trampoline_kernelINS0_14default_configENS1_38merge_sort_block_merge_config_selectorIlNS0_10empty_typeEEEZZNS1_27merge_sort_block_merge_implIS3_PlPS5_mZN2at6native12_GLOBAL__N_124unique_dim_cuda_templateIN3c104HalfEEESt5tupleIJNSA_6TensorESH_SH_EERKSH_lbbbEUlllE_EE10hipError_tT0_T1_T2_jT3_P12ihipStream_tbPNSt15iterator_traitsISN_E10value_typeEPNST_ISO_E10value_typeEPSP_NS1_7vsmem_tEENKUlT_SN_SO_SP_E_clIS8_S8_S9_S9_EESM_S12_SN_SO_SP_EUlS12_E_NS1_11comp_targetILNS1_3genE5ELNS1_11target_archE942ELNS1_3gpuE9ELNS1_3repE0EEENS1_48merge_mergepath_partition_config_static_selectorELNS0_4arch9wavefront6targetE1EEEvSO_: ; @_ZN7rocprim17ROCPRIM_400000_NS6detail17trampoline_kernelINS0_14default_configENS1_38merge_sort_block_merge_config_selectorIlNS0_10empty_typeEEEZZNS1_27merge_sort_block_merge_implIS3_PlPS5_mZN2at6native12_GLOBAL__N_124unique_dim_cuda_templateIN3c104HalfEEESt5tupleIJNSA_6TensorESH_SH_EERKSH_lbbbEUlllE_EE10hipError_tT0_T1_T2_jT3_P12ihipStream_tbPNSt15iterator_traitsISN_E10value_typeEPNST_ISO_E10value_typeEPSP_NS1_7vsmem_tEENKUlT_SN_SO_SP_E_clIS8_S8_S9_S9_EESM_S12_SN_SO_SP_EUlS12_E_NS1_11comp_targetILNS1_3genE5ELNS1_11target_archE942ELNS1_3gpuE9ELNS1_3repE0EEENS1_48merge_mergepath_partition_config_static_selectorELNS0_4arch9wavefront6targetE1EEEvSO_
; %bb.0:
	.section	.rodata,"a",@progbits
	.p2align	6, 0x0
	.amdhsa_kernel _ZN7rocprim17ROCPRIM_400000_NS6detail17trampoline_kernelINS0_14default_configENS1_38merge_sort_block_merge_config_selectorIlNS0_10empty_typeEEEZZNS1_27merge_sort_block_merge_implIS3_PlPS5_mZN2at6native12_GLOBAL__N_124unique_dim_cuda_templateIN3c104HalfEEESt5tupleIJNSA_6TensorESH_SH_EERKSH_lbbbEUlllE_EE10hipError_tT0_T1_T2_jT3_P12ihipStream_tbPNSt15iterator_traitsISN_E10value_typeEPNST_ISO_E10value_typeEPSP_NS1_7vsmem_tEENKUlT_SN_SO_SP_E_clIS8_S8_S9_S9_EESM_S12_SN_SO_SP_EUlS12_E_NS1_11comp_targetILNS1_3genE5ELNS1_11target_archE942ELNS1_3gpuE9ELNS1_3repE0EEENS1_48merge_mergepath_partition_config_static_selectorELNS0_4arch9wavefront6targetE1EEEvSO_
		.amdhsa_group_segment_fixed_size 0
		.amdhsa_private_segment_fixed_size 0
		.amdhsa_kernarg_size 56
		.amdhsa_user_sgpr_count 2
		.amdhsa_user_sgpr_dispatch_ptr 0
		.amdhsa_user_sgpr_queue_ptr 0
		.amdhsa_user_sgpr_kernarg_segment_ptr 1
		.amdhsa_user_sgpr_dispatch_id 0
		.amdhsa_user_sgpr_kernarg_preload_length 0
		.amdhsa_user_sgpr_kernarg_preload_offset 0
		.amdhsa_user_sgpr_private_segment_size 0
		.amdhsa_uses_dynamic_stack 0
		.amdhsa_enable_private_segment 0
		.amdhsa_system_sgpr_workgroup_id_x 1
		.amdhsa_system_sgpr_workgroup_id_y 0
		.amdhsa_system_sgpr_workgroup_id_z 0
		.amdhsa_system_sgpr_workgroup_info 0
		.amdhsa_system_vgpr_workitem_id 0
		.amdhsa_next_free_vgpr 1
		.amdhsa_next_free_sgpr 0
		.amdhsa_accum_offset 4
		.amdhsa_reserve_vcc 0
		.amdhsa_float_round_mode_32 0
		.amdhsa_float_round_mode_16_64 0
		.amdhsa_float_denorm_mode_32 3
		.amdhsa_float_denorm_mode_16_64 3
		.amdhsa_dx10_clamp 1
		.amdhsa_ieee_mode 1
		.amdhsa_fp16_overflow 0
		.amdhsa_tg_split 0
		.amdhsa_exception_fp_ieee_invalid_op 0
		.amdhsa_exception_fp_denorm_src 0
		.amdhsa_exception_fp_ieee_div_zero 0
		.amdhsa_exception_fp_ieee_overflow 0
		.amdhsa_exception_fp_ieee_underflow 0
		.amdhsa_exception_fp_ieee_inexact 0
		.amdhsa_exception_int_div_zero 0
	.end_amdhsa_kernel
	.section	.text._ZN7rocprim17ROCPRIM_400000_NS6detail17trampoline_kernelINS0_14default_configENS1_38merge_sort_block_merge_config_selectorIlNS0_10empty_typeEEEZZNS1_27merge_sort_block_merge_implIS3_PlPS5_mZN2at6native12_GLOBAL__N_124unique_dim_cuda_templateIN3c104HalfEEESt5tupleIJNSA_6TensorESH_SH_EERKSH_lbbbEUlllE_EE10hipError_tT0_T1_T2_jT3_P12ihipStream_tbPNSt15iterator_traitsISN_E10value_typeEPNST_ISO_E10value_typeEPSP_NS1_7vsmem_tEENKUlT_SN_SO_SP_E_clIS8_S8_S9_S9_EESM_S12_SN_SO_SP_EUlS12_E_NS1_11comp_targetILNS1_3genE5ELNS1_11target_archE942ELNS1_3gpuE9ELNS1_3repE0EEENS1_48merge_mergepath_partition_config_static_selectorELNS0_4arch9wavefront6targetE1EEEvSO_,"axG",@progbits,_ZN7rocprim17ROCPRIM_400000_NS6detail17trampoline_kernelINS0_14default_configENS1_38merge_sort_block_merge_config_selectorIlNS0_10empty_typeEEEZZNS1_27merge_sort_block_merge_implIS3_PlPS5_mZN2at6native12_GLOBAL__N_124unique_dim_cuda_templateIN3c104HalfEEESt5tupleIJNSA_6TensorESH_SH_EERKSH_lbbbEUlllE_EE10hipError_tT0_T1_T2_jT3_P12ihipStream_tbPNSt15iterator_traitsISN_E10value_typeEPNST_ISO_E10value_typeEPSP_NS1_7vsmem_tEENKUlT_SN_SO_SP_E_clIS8_S8_S9_S9_EESM_S12_SN_SO_SP_EUlS12_E_NS1_11comp_targetILNS1_3genE5ELNS1_11target_archE942ELNS1_3gpuE9ELNS1_3repE0EEENS1_48merge_mergepath_partition_config_static_selectorELNS0_4arch9wavefront6targetE1EEEvSO_,comdat
.Lfunc_end1250:
	.size	_ZN7rocprim17ROCPRIM_400000_NS6detail17trampoline_kernelINS0_14default_configENS1_38merge_sort_block_merge_config_selectorIlNS0_10empty_typeEEEZZNS1_27merge_sort_block_merge_implIS3_PlPS5_mZN2at6native12_GLOBAL__N_124unique_dim_cuda_templateIN3c104HalfEEESt5tupleIJNSA_6TensorESH_SH_EERKSH_lbbbEUlllE_EE10hipError_tT0_T1_T2_jT3_P12ihipStream_tbPNSt15iterator_traitsISN_E10value_typeEPNST_ISO_E10value_typeEPSP_NS1_7vsmem_tEENKUlT_SN_SO_SP_E_clIS8_S8_S9_S9_EESM_S12_SN_SO_SP_EUlS12_E_NS1_11comp_targetILNS1_3genE5ELNS1_11target_archE942ELNS1_3gpuE9ELNS1_3repE0EEENS1_48merge_mergepath_partition_config_static_selectorELNS0_4arch9wavefront6targetE1EEEvSO_, .Lfunc_end1250-_ZN7rocprim17ROCPRIM_400000_NS6detail17trampoline_kernelINS0_14default_configENS1_38merge_sort_block_merge_config_selectorIlNS0_10empty_typeEEEZZNS1_27merge_sort_block_merge_implIS3_PlPS5_mZN2at6native12_GLOBAL__N_124unique_dim_cuda_templateIN3c104HalfEEESt5tupleIJNSA_6TensorESH_SH_EERKSH_lbbbEUlllE_EE10hipError_tT0_T1_T2_jT3_P12ihipStream_tbPNSt15iterator_traitsISN_E10value_typeEPNST_ISO_E10value_typeEPSP_NS1_7vsmem_tEENKUlT_SN_SO_SP_E_clIS8_S8_S9_S9_EESM_S12_SN_SO_SP_EUlS12_E_NS1_11comp_targetILNS1_3genE5ELNS1_11target_archE942ELNS1_3gpuE9ELNS1_3repE0EEENS1_48merge_mergepath_partition_config_static_selectorELNS0_4arch9wavefront6targetE1EEEvSO_
                                        ; -- End function
	.set _ZN7rocprim17ROCPRIM_400000_NS6detail17trampoline_kernelINS0_14default_configENS1_38merge_sort_block_merge_config_selectorIlNS0_10empty_typeEEEZZNS1_27merge_sort_block_merge_implIS3_PlPS5_mZN2at6native12_GLOBAL__N_124unique_dim_cuda_templateIN3c104HalfEEESt5tupleIJNSA_6TensorESH_SH_EERKSH_lbbbEUlllE_EE10hipError_tT0_T1_T2_jT3_P12ihipStream_tbPNSt15iterator_traitsISN_E10value_typeEPNST_ISO_E10value_typeEPSP_NS1_7vsmem_tEENKUlT_SN_SO_SP_E_clIS8_S8_S9_S9_EESM_S12_SN_SO_SP_EUlS12_E_NS1_11comp_targetILNS1_3genE5ELNS1_11target_archE942ELNS1_3gpuE9ELNS1_3repE0EEENS1_48merge_mergepath_partition_config_static_selectorELNS0_4arch9wavefront6targetE1EEEvSO_.num_vgpr, 0
	.set _ZN7rocprim17ROCPRIM_400000_NS6detail17trampoline_kernelINS0_14default_configENS1_38merge_sort_block_merge_config_selectorIlNS0_10empty_typeEEEZZNS1_27merge_sort_block_merge_implIS3_PlPS5_mZN2at6native12_GLOBAL__N_124unique_dim_cuda_templateIN3c104HalfEEESt5tupleIJNSA_6TensorESH_SH_EERKSH_lbbbEUlllE_EE10hipError_tT0_T1_T2_jT3_P12ihipStream_tbPNSt15iterator_traitsISN_E10value_typeEPNST_ISO_E10value_typeEPSP_NS1_7vsmem_tEENKUlT_SN_SO_SP_E_clIS8_S8_S9_S9_EESM_S12_SN_SO_SP_EUlS12_E_NS1_11comp_targetILNS1_3genE5ELNS1_11target_archE942ELNS1_3gpuE9ELNS1_3repE0EEENS1_48merge_mergepath_partition_config_static_selectorELNS0_4arch9wavefront6targetE1EEEvSO_.num_agpr, 0
	.set _ZN7rocprim17ROCPRIM_400000_NS6detail17trampoline_kernelINS0_14default_configENS1_38merge_sort_block_merge_config_selectorIlNS0_10empty_typeEEEZZNS1_27merge_sort_block_merge_implIS3_PlPS5_mZN2at6native12_GLOBAL__N_124unique_dim_cuda_templateIN3c104HalfEEESt5tupleIJNSA_6TensorESH_SH_EERKSH_lbbbEUlllE_EE10hipError_tT0_T1_T2_jT3_P12ihipStream_tbPNSt15iterator_traitsISN_E10value_typeEPNST_ISO_E10value_typeEPSP_NS1_7vsmem_tEENKUlT_SN_SO_SP_E_clIS8_S8_S9_S9_EESM_S12_SN_SO_SP_EUlS12_E_NS1_11comp_targetILNS1_3genE5ELNS1_11target_archE942ELNS1_3gpuE9ELNS1_3repE0EEENS1_48merge_mergepath_partition_config_static_selectorELNS0_4arch9wavefront6targetE1EEEvSO_.numbered_sgpr, 0
	.set _ZN7rocprim17ROCPRIM_400000_NS6detail17trampoline_kernelINS0_14default_configENS1_38merge_sort_block_merge_config_selectorIlNS0_10empty_typeEEEZZNS1_27merge_sort_block_merge_implIS3_PlPS5_mZN2at6native12_GLOBAL__N_124unique_dim_cuda_templateIN3c104HalfEEESt5tupleIJNSA_6TensorESH_SH_EERKSH_lbbbEUlllE_EE10hipError_tT0_T1_T2_jT3_P12ihipStream_tbPNSt15iterator_traitsISN_E10value_typeEPNST_ISO_E10value_typeEPSP_NS1_7vsmem_tEENKUlT_SN_SO_SP_E_clIS8_S8_S9_S9_EESM_S12_SN_SO_SP_EUlS12_E_NS1_11comp_targetILNS1_3genE5ELNS1_11target_archE942ELNS1_3gpuE9ELNS1_3repE0EEENS1_48merge_mergepath_partition_config_static_selectorELNS0_4arch9wavefront6targetE1EEEvSO_.num_named_barrier, 0
	.set _ZN7rocprim17ROCPRIM_400000_NS6detail17trampoline_kernelINS0_14default_configENS1_38merge_sort_block_merge_config_selectorIlNS0_10empty_typeEEEZZNS1_27merge_sort_block_merge_implIS3_PlPS5_mZN2at6native12_GLOBAL__N_124unique_dim_cuda_templateIN3c104HalfEEESt5tupleIJNSA_6TensorESH_SH_EERKSH_lbbbEUlllE_EE10hipError_tT0_T1_T2_jT3_P12ihipStream_tbPNSt15iterator_traitsISN_E10value_typeEPNST_ISO_E10value_typeEPSP_NS1_7vsmem_tEENKUlT_SN_SO_SP_E_clIS8_S8_S9_S9_EESM_S12_SN_SO_SP_EUlS12_E_NS1_11comp_targetILNS1_3genE5ELNS1_11target_archE942ELNS1_3gpuE9ELNS1_3repE0EEENS1_48merge_mergepath_partition_config_static_selectorELNS0_4arch9wavefront6targetE1EEEvSO_.private_seg_size, 0
	.set _ZN7rocprim17ROCPRIM_400000_NS6detail17trampoline_kernelINS0_14default_configENS1_38merge_sort_block_merge_config_selectorIlNS0_10empty_typeEEEZZNS1_27merge_sort_block_merge_implIS3_PlPS5_mZN2at6native12_GLOBAL__N_124unique_dim_cuda_templateIN3c104HalfEEESt5tupleIJNSA_6TensorESH_SH_EERKSH_lbbbEUlllE_EE10hipError_tT0_T1_T2_jT3_P12ihipStream_tbPNSt15iterator_traitsISN_E10value_typeEPNST_ISO_E10value_typeEPSP_NS1_7vsmem_tEENKUlT_SN_SO_SP_E_clIS8_S8_S9_S9_EESM_S12_SN_SO_SP_EUlS12_E_NS1_11comp_targetILNS1_3genE5ELNS1_11target_archE942ELNS1_3gpuE9ELNS1_3repE0EEENS1_48merge_mergepath_partition_config_static_selectorELNS0_4arch9wavefront6targetE1EEEvSO_.uses_vcc, 0
	.set _ZN7rocprim17ROCPRIM_400000_NS6detail17trampoline_kernelINS0_14default_configENS1_38merge_sort_block_merge_config_selectorIlNS0_10empty_typeEEEZZNS1_27merge_sort_block_merge_implIS3_PlPS5_mZN2at6native12_GLOBAL__N_124unique_dim_cuda_templateIN3c104HalfEEESt5tupleIJNSA_6TensorESH_SH_EERKSH_lbbbEUlllE_EE10hipError_tT0_T1_T2_jT3_P12ihipStream_tbPNSt15iterator_traitsISN_E10value_typeEPNST_ISO_E10value_typeEPSP_NS1_7vsmem_tEENKUlT_SN_SO_SP_E_clIS8_S8_S9_S9_EESM_S12_SN_SO_SP_EUlS12_E_NS1_11comp_targetILNS1_3genE5ELNS1_11target_archE942ELNS1_3gpuE9ELNS1_3repE0EEENS1_48merge_mergepath_partition_config_static_selectorELNS0_4arch9wavefront6targetE1EEEvSO_.uses_flat_scratch, 0
	.set _ZN7rocprim17ROCPRIM_400000_NS6detail17trampoline_kernelINS0_14default_configENS1_38merge_sort_block_merge_config_selectorIlNS0_10empty_typeEEEZZNS1_27merge_sort_block_merge_implIS3_PlPS5_mZN2at6native12_GLOBAL__N_124unique_dim_cuda_templateIN3c104HalfEEESt5tupleIJNSA_6TensorESH_SH_EERKSH_lbbbEUlllE_EE10hipError_tT0_T1_T2_jT3_P12ihipStream_tbPNSt15iterator_traitsISN_E10value_typeEPNST_ISO_E10value_typeEPSP_NS1_7vsmem_tEENKUlT_SN_SO_SP_E_clIS8_S8_S9_S9_EESM_S12_SN_SO_SP_EUlS12_E_NS1_11comp_targetILNS1_3genE5ELNS1_11target_archE942ELNS1_3gpuE9ELNS1_3repE0EEENS1_48merge_mergepath_partition_config_static_selectorELNS0_4arch9wavefront6targetE1EEEvSO_.has_dyn_sized_stack, 0
	.set _ZN7rocprim17ROCPRIM_400000_NS6detail17trampoline_kernelINS0_14default_configENS1_38merge_sort_block_merge_config_selectorIlNS0_10empty_typeEEEZZNS1_27merge_sort_block_merge_implIS3_PlPS5_mZN2at6native12_GLOBAL__N_124unique_dim_cuda_templateIN3c104HalfEEESt5tupleIJNSA_6TensorESH_SH_EERKSH_lbbbEUlllE_EE10hipError_tT0_T1_T2_jT3_P12ihipStream_tbPNSt15iterator_traitsISN_E10value_typeEPNST_ISO_E10value_typeEPSP_NS1_7vsmem_tEENKUlT_SN_SO_SP_E_clIS8_S8_S9_S9_EESM_S12_SN_SO_SP_EUlS12_E_NS1_11comp_targetILNS1_3genE5ELNS1_11target_archE942ELNS1_3gpuE9ELNS1_3repE0EEENS1_48merge_mergepath_partition_config_static_selectorELNS0_4arch9wavefront6targetE1EEEvSO_.has_recursion, 0
	.set _ZN7rocprim17ROCPRIM_400000_NS6detail17trampoline_kernelINS0_14default_configENS1_38merge_sort_block_merge_config_selectorIlNS0_10empty_typeEEEZZNS1_27merge_sort_block_merge_implIS3_PlPS5_mZN2at6native12_GLOBAL__N_124unique_dim_cuda_templateIN3c104HalfEEESt5tupleIJNSA_6TensorESH_SH_EERKSH_lbbbEUlllE_EE10hipError_tT0_T1_T2_jT3_P12ihipStream_tbPNSt15iterator_traitsISN_E10value_typeEPNST_ISO_E10value_typeEPSP_NS1_7vsmem_tEENKUlT_SN_SO_SP_E_clIS8_S8_S9_S9_EESM_S12_SN_SO_SP_EUlS12_E_NS1_11comp_targetILNS1_3genE5ELNS1_11target_archE942ELNS1_3gpuE9ELNS1_3repE0EEENS1_48merge_mergepath_partition_config_static_selectorELNS0_4arch9wavefront6targetE1EEEvSO_.has_indirect_call, 0
	.section	.AMDGPU.csdata,"",@progbits
; Kernel info:
; codeLenInByte = 0
; TotalNumSgprs: 6
; NumVgprs: 0
; NumAgprs: 0
; TotalNumVgprs: 0
; ScratchSize: 0
; MemoryBound: 0
; FloatMode: 240
; IeeeMode: 1
; LDSByteSize: 0 bytes/workgroup (compile time only)
; SGPRBlocks: 0
; VGPRBlocks: 0
; NumSGPRsForWavesPerEU: 6
; NumVGPRsForWavesPerEU: 1
; AccumOffset: 4
; Occupancy: 8
; WaveLimiterHint : 0
; COMPUTE_PGM_RSRC2:SCRATCH_EN: 0
; COMPUTE_PGM_RSRC2:USER_SGPR: 2
; COMPUTE_PGM_RSRC2:TRAP_HANDLER: 0
; COMPUTE_PGM_RSRC2:TGID_X_EN: 1
; COMPUTE_PGM_RSRC2:TGID_Y_EN: 0
; COMPUTE_PGM_RSRC2:TGID_Z_EN: 0
; COMPUTE_PGM_RSRC2:TIDIG_COMP_CNT: 0
; COMPUTE_PGM_RSRC3_GFX90A:ACCUM_OFFSET: 0
; COMPUTE_PGM_RSRC3_GFX90A:TG_SPLIT: 0
	.section	.text._ZN7rocprim17ROCPRIM_400000_NS6detail17trampoline_kernelINS0_14default_configENS1_38merge_sort_block_merge_config_selectorIlNS0_10empty_typeEEEZZNS1_27merge_sort_block_merge_implIS3_PlPS5_mZN2at6native12_GLOBAL__N_124unique_dim_cuda_templateIN3c104HalfEEESt5tupleIJNSA_6TensorESH_SH_EERKSH_lbbbEUlllE_EE10hipError_tT0_T1_T2_jT3_P12ihipStream_tbPNSt15iterator_traitsISN_E10value_typeEPNST_ISO_E10value_typeEPSP_NS1_7vsmem_tEENKUlT_SN_SO_SP_E_clIS8_S8_S9_S9_EESM_S12_SN_SO_SP_EUlS12_E_NS1_11comp_targetILNS1_3genE4ELNS1_11target_archE910ELNS1_3gpuE8ELNS1_3repE0EEENS1_48merge_mergepath_partition_config_static_selectorELNS0_4arch9wavefront6targetE1EEEvSO_,"axG",@progbits,_ZN7rocprim17ROCPRIM_400000_NS6detail17trampoline_kernelINS0_14default_configENS1_38merge_sort_block_merge_config_selectorIlNS0_10empty_typeEEEZZNS1_27merge_sort_block_merge_implIS3_PlPS5_mZN2at6native12_GLOBAL__N_124unique_dim_cuda_templateIN3c104HalfEEESt5tupleIJNSA_6TensorESH_SH_EERKSH_lbbbEUlllE_EE10hipError_tT0_T1_T2_jT3_P12ihipStream_tbPNSt15iterator_traitsISN_E10value_typeEPNST_ISO_E10value_typeEPSP_NS1_7vsmem_tEENKUlT_SN_SO_SP_E_clIS8_S8_S9_S9_EESM_S12_SN_SO_SP_EUlS12_E_NS1_11comp_targetILNS1_3genE4ELNS1_11target_archE910ELNS1_3gpuE8ELNS1_3repE0EEENS1_48merge_mergepath_partition_config_static_selectorELNS0_4arch9wavefront6targetE1EEEvSO_,comdat
	.globl	_ZN7rocprim17ROCPRIM_400000_NS6detail17trampoline_kernelINS0_14default_configENS1_38merge_sort_block_merge_config_selectorIlNS0_10empty_typeEEEZZNS1_27merge_sort_block_merge_implIS3_PlPS5_mZN2at6native12_GLOBAL__N_124unique_dim_cuda_templateIN3c104HalfEEESt5tupleIJNSA_6TensorESH_SH_EERKSH_lbbbEUlllE_EE10hipError_tT0_T1_T2_jT3_P12ihipStream_tbPNSt15iterator_traitsISN_E10value_typeEPNST_ISO_E10value_typeEPSP_NS1_7vsmem_tEENKUlT_SN_SO_SP_E_clIS8_S8_S9_S9_EESM_S12_SN_SO_SP_EUlS12_E_NS1_11comp_targetILNS1_3genE4ELNS1_11target_archE910ELNS1_3gpuE8ELNS1_3repE0EEENS1_48merge_mergepath_partition_config_static_selectorELNS0_4arch9wavefront6targetE1EEEvSO_ ; -- Begin function _ZN7rocprim17ROCPRIM_400000_NS6detail17trampoline_kernelINS0_14default_configENS1_38merge_sort_block_merge_config_selectorIlNS0_10empty_typeEEEZZNS1_27merge_sort_block_merge_implIS3_PlPS5_mZN2at6native12_GLOBAL__N_124unique_dim_cuda_templateIN3c104HalfEEESt5tupleIJNSA_6TensorESH_SH_EERKSH_lbbbEUlllE_EE10hipError_tT0_T1_T2_jT3_P12ihipStream_tbPNSt15iterator_traitsISN_E10value_typeEPNST_ISO_E10value_typeEPSP_NS1_7vsmem_tEENKUlT_SN_SO_SP_E_clIS8_S8_S9_S9_EESM_S12_SN_SO_SP_EUlS12_E_NS1_11comp_targetILNS1_3genE4ELNS1_11target_archE910ELNS1_3gpuE8ELNS1_3repE0EEENS1_48merge_mergepath_partition_config_static_selectorELNS0_4arch9wavefront6targetE1EEEvSO_
	.p2align	8
	.type	_ZN7rocprim17ROCPRIM_400000_NS6detail17trampoline_kernelINS0_14default_configENS1_38merge_sort_block_merge_config_selectorIlNS0_10empty_typeEEEZZNS1_27merge_sort_block_merge_implIS3_PlPS5_mZN2at6native12_GLOBAL__N_124unique_dim_cuda_templateIN3c104HalfEEESt5tupleIJNSA_6TensorESH_SH_EERKSH_lbbbEUlllE_EE10hipError_tT0_T1_T2_jT3_P12ihipStream_tbPNSt15iterator_traitsISN_E10value_typeEPNST_ISO_E10value_typeEPSP_NS1_7vsmem_tEENKUlT_SN_SO_SP_E_clIS8_S8_S9_S9_EESM_S12_SN_SO_SP_EUlS12_E_NS1_11comp_targetILNS1_3genE4ELNS1_11target_archE910ELNS1_3gpuE8ELNS1_3repE0EEENS1_48merge_mergepath_partition_config_static_selectorELNS0_4arch9wavefront6targetE1EEEvSO_,@function
_ZN7rocprim17ROCPRIM_400000_NS6detail17trampoline_kernelINS0_14default_configENS1_38merge_sort_block_merge_config_selectorIlNS0_10empty_typeEEEZZNS1_27merge_sort_block_merge_implIS3_PlPS5_mZN2at6native12_GLOBAL__N_124unique_dim_cuda_templateIN3c104HalfEEESt5tupleIJNSA_6TensorESH_SH_EERKSH_lbbbEUlllE_EE10hipError_tT0_T1_T2_jT3_P12ihipStream_tbPNSt15iterator_traitsISN_E10value_typeEPNST_ISO_E10value_typeEPSP_NS1_7vsmem_tEENKUlT_SN_SO_SP_E_clIS8_S8_S9_S9_EESM_S12_SN_SO_SP_EUlS12_E_NS1_11comp_targetILNS1_3genE4ELNS1_11target_archE910ELNS1_3gpuE8ELNS1_3repE0EEENS1_48merge_mergepath_partition_config_static_selectorELNS0_4arch9wavefront6targetE1EEEvSO_: ; @_ZN7rocprim17ROCPRIM_400000_NS6detail17trampoline_kernelINS0_14default_configENS1_38merge_sort_block_merge_config_selectorIlNS0_10empty_typeEEEZZNS1_27merge_sort_block_merge_implIS3_PlPS5_mZN2at6native12_GLOBAL__N_124unique_dim_cuda_templateIN3c104HalfEEESt5tupleIJNSA_6TensorESH_SH_EERKSH_lbbbEUlllE_EE10hipError_tT0_T1_T2_jT3_P12ihipStream_tbPNSt15iterator_traitsISN_E10value_typeEPNST_ISO_E10value_typeEPSP_NS1_7vsmem_tEENKUlT_SN_SO_SP_E_clIS8_S8_S9_S9_EESM_S12_SN_SO_SP_EUlS12_E_NS1_11comp_targetILNS1_3genE4ELNS1_11target_archE910ELNS1_3gpuE8ELNS1_3repE0EEENS1_48merge_mergepath_partition_config_static_selectorELNS0_4arch9wavefront6targetE1EEEvSO_
; %bb.0:
	.section	.rodata,"a",@progbits
	.p2align	6, 0x0
	.amdhsa_kernel _ZN7rocprim17ROCPRIM_400000_NS6detail17trampoline_kernelINS0_14default_configENS1_38merge_sort_block_merge_config_selectorIlNS0_10empty_typeEEEZZNS1_27merge_sort_block_merge_implIS3_PlPS5_mZN2at6native12_GLOBAL__N_124unique_dim_cuda_templateIN3c104HalfEEESt5tupleIJNSA_6TensorESH_SH_EERKSH_lbbbEUlllE_EE10hipError_tT0_T1_T2_jT3_P12ihipStream_tbPNSt15iterator_traitsISN_E10value_typeEPNST_ISO_E10value_typeEPSP_NS1_7vsmem_tEENKUlT_SN_SO_SP_E_clIS8_S8_S9_S9_EESM_S12_SN_SO_SP_EUlS12_E_NS1_11comp_targetILNS1_3genE4ELNS1_11target_archE910ELNS1_3gpuE8ELNS1_3repE0EEENS1_48merge_mergepath_partition_config_static_selectorELNS0_4arch9wavefront6targetE1EEEvSO_
		.amdhsa_group_segment_fixed_size 0
		.amdhsa_private_segment_fixed_size 0
		.amdhsa_kernarg_size 56
		.amdhsa_user_sgpr_count 2
		.amdhsa_user_sgpr_dispatch_ptr 0
		.amdhsa_user_sgpr_queue_ptr 0
		.amdhsa_user_sgpr_kernarg_segment_ptr 1
		.amdhsa_user_sgpr_dispatch_id 0
		.amdhsa_user_sgpr_kernarg_preload_length 0
		.amdhsa_user_sgpr_kernarg_preload_offset 0
		.amdhsa_user_sgpr_private_segment_size 0
		.amdhsa_uses_dynamic_stack 0
		.amdhsa_enable_private_segment 0
		.amdhsa_system_sgpr_workgroup_id_x 1
		.amdhsa_system_sgpr_workgroup_id_y 0
		.amdhsa_system_sgpr_workgroup_id_z 0
		.amdhsa_system_sgpr_workgroup_info 0
		.amdhsa_system_vgpr_workitem_id 0
		.amdhsa_next_free_vgpr 1
		.amdhsa_next_free_sgpr 0
		.amdhsa_accum_offset 4
		.amdhsa_reserve_vcc 0
		.amdhsa_float_round_mode_32 0
		.amdhsa_float_round_mode_16_64 0
		.amdhsa_float_denorm_mode_32 3
		.amdhsa_float_denorm_mode_16_64 3
		.amdhsa_dx10_clamp 1
		.amdhsa_ieee_mode 1
		.amdhsa_fp16_overflow 0
		.amdhsa_tg_split 0
		.amdhsa_exception_fp_ieee_invalid_op 0
		.amdhsa_exception_fp_denorm_src 0
		.amdhsa_exception_fp_ieee_div_zero 0
		.amdhsa_exception_fp_ieee_overflow 0
		.amdhsa_exception_fp_ieee_underflow 0
		.amdhsa_exception_fp_ieee_inexact 0
		.amdhsa_exception_int_div_zero 0
	.end_amdhsa_kernel
	.section	.text._ZN7rocprim17ROCPRIM_400000_NS6detail17trampoline_kernelINS0_14default_configENS1_38merge_sort_block_merge_config_selectorIlNS0_10empty_typeEEEZZNS1_27merge_sort_block_merge_implIS3_PlPS5_mZN2at6native12_GLOBAL__N_124unique_dim_cuda_templateIN3c104HalfEEESt5tupleIJNSA_6TensorESH_SH_EERKSH_lbbbEUlllE_EE10hipError_tT0_T1_T2_jT3_P12ihipStream_tbPNSt15iterator_traitsISN_E10value_typeEPNST_ISO_E10value_typeEPSP_NS1_7vsmem_tEENKUlT_SN_SO_SP_E_clIS8_S8_S9_S9_EESM_S12_SN_SO_SP_EUlS12_E_NS1_11comp_targetILNS1_3genE4ELNS1_11target_archE910ELNS1_3gpuE8ELNS1_3repE0EEENS1_48merge_mergepath_partition_config_static_selectorELNS0_4arch9wavefront6targetE1EEEvSO_,"axG",@progbits,_ZN7rocprim17ROCPRIM_400000_NS6detail17trampoline_kernelINS0_14default_configENS1_38merge_sort_block_merge_config_selectorIlNS0_10empty_typeEEEZZNS1_27merge_sort_block_merge_implIS3_PlPS5_mZN2at6native12_GLOBAL__N_124unique_dim_cuda_templateIN3c104HalfEEESt5tupleIJNSA_6TensorESH_SH_EERKSH_lbbbEUlllE_EE10hipError_tT0_T1_T2_jT3_P12ihipStream_tbPNSt15iterator_traitsISN_E10value_typeEPNST_ISO_E10value_typeEPSP_NS1_7vsmem_tEENKUlT_SN_SO_SP_E_clIS8_S8_S9_S9_EESM_S12_SN_SO_SP_EUlS12_E_NS1_11comp_targetILNS1_3genE4ELNS1_11target_archE910ELNS1_3gpuE8ELNS1_3repE0EEENS1_48merge_mergepath_partition_config_static_selectorELNS0_4arch9wavefront6targetE1EEEvSO_,comdat
.Lfunc_end1251:
	.size	_ZN7rocprim17ROCPRIM_400000_NS6detail17trampoline_kernelINS0_14default_configENS1_38merge_sort_block_merge_config_selectorIlNS0_10empty_typeEEEZZNS1_27merge_sort_block_merge_implIS3_PlPS5_mZN2at6native12_GLOBAL__N_124unique_dim_cuda_templateIN3c104HalfEEESt5tupleIJNSA_6TensorESH_SH_EERKSH_lbbbEUlllE_EE10hipError_tT0_T1_T2_jT3_P12ihipStream_tbPNSt15iterator_traitsISN_E10value_typeEPNST_ISO_E10value_typeEPSP_NS1_7vsmem_tEENKUlT_SN_SO_SP_E_clIS8_S8_S9_S9_EESM_S12_SN_SO_SP_EUlS12_E_NS1_11comp_targetILNS1_3genE4ELNS1_11target_archE910ELNS1_3gpuE8ELNS1_3repE0EEENS1_48merge_mergepath_partition_config_static_selectorELNS0_4arch9wavefront6targetE1EEEvSO_, .Lfunc_end1251-_ZN7rocprim17ROCPRIM_400000_NS6detail17trampoline_kernelINS0_14default_configENS1_38merge_sort_block_merge_config_selectorIlNS0_10empty_typeEEEZZNS1_27merge_sort_block_merge_implIS3_PlPS5_mZN2at6native12_GLOBAL__N_124unique_dim_cuda_templateIN3c104HalfEEESt5tupleIJNSA_6TensorESH_SH_EERKSH_lbbbEUlllE_EE10hipError_tT0_T1_T2_jT3_P12ihipStream_tbPNSt15iterator_traitsISN_E10value_typeEPNST_ISO_E10value_typeEPSP_NS1_7vsmem_tEENKUlT_SN_SO_SP_E_clIS8_S8_S9_S9_EESM_S12_SN_SO_SP_EUlS12_E_NS1_11comp_targetILNS1_3genE4ELNS1_11target_archE910ELNS1_3gpuE8ELNS1_3repE0EEENS1_48merge_mergepath_partition_config_static_selectorELNS0_4arch9wavefront6targetE1EEEvSO_
                                        ; -- End function
	.set _ZN7rocprim17ROCPRIM_400000_NS6detail17trampoline_kernelINS0_14default_configENS1_38merge_sort_block_merge_config_selectorIlNS0_10empty_typeEEEZZNS1_27merge_sort_block_merge_implIS3_PlPS5_mZN2at6native12_GLOBAL__N_124unique_dim_cuda_templateIN3c104HalfEEESt5tupleIJNSA_6TensorESH_SH_EERKSH_lbbbEUlllE_EE10hipError_tT0_T1_T2_jT3_P12ihipStream_tbPNSt15iterator_traitsISN_E10value_typeEPNST_ISO_E10value_typeEPSP_NS1_7vsmem_tEENKUlT_SN_SO_SP_E_clIS8_S8_S9_S9_EESM_S12_SN_SO_SP_EUlS12_E_NS1_11comp_targetILNS1_3genE4ELNS1_11target_archE910ELNS1_3gpuE8ELNS1_3repE0EEENS1_48merge_mergepath_partition_config_static_selectorELNS0_4arch9wavefront6targetE1EEEvSO_.num_vgpr, 0
	.set _ZN7rocprim17ROCPRIM_400000_NS6detail17trampoline_kernelINS0_14default_configENS1_38merge_sort_block_merge_config_selectorIlNS0_10empty_typeEEEZZNS1_27merge_sort_block_merge_implIS3_PlPS5_mZN2at6native12_GLOBAL__N_124unique_dim_cuda_templateIN3c104HalfEEESt5tupleIJNSA_6TensorESH_SH_EERKSH_lbbbEUlllE_EE10hipError_tT0_T1_T2_jT3_P12ihipStream_tbPNSt15iterator_traitsISN_E10value_typeEPNST_ISO_E10value_typeEPSP_NS1_7vsmem_tEENKUlT_SN_SO_SP_E_clIS8_S8_S9_S9_EESM_S12_SN_SO_SP_EUlS12_E_NS1_11comp_targetILNS1_3genE4ELNS1_11target_archE910ELNS1_3gpuE8ELNS1_3repE0EEENS1_48merge_mergepath_partition_config_static_selectorELNS0_4arch9wavefront6targetE1EEEvSO_.num_agpr, 0
	.set _ZN7rocprim17ROCPRIM_400000_NS6detail17trampoline_kernelINS0_14default_configENS1_38merge_sort_block_merge_config_selectorIlNS0_10empty_typeEEEZZNS1_27merge_sort_block_merge_implIS3_PlPS5_mZN2at6native12_GLOBAL__N_124unique_dim_cuda_templateIN3c104HalfEEESt5tupleIJNSA_6TensorESH_SH_EERKSH_lbbbEUlllE_EE10hipError_tT0_T1_T2_jT3_P12ihipStream_tbPNSt15iterator_traitsISN_E10value_typeEPNST_ISO_E10value_typeEPSP_NS1_7vsmem_tEENKUlT_SN_SO_SP_E_clIS8_S8_S9_S9_EESM_S12_SN_SO_SP_EUlS12_E_NS1_11comp_targetILNS1_3genE4ELNS1_11target_archE910ELNS1_3gpuE8ELNS1_3repE0EEENS1_48merge_mergepath_partition_config_static_selectorELNS0_4arch9wavefront6targetE1EEEvSO_.numbered_sgpr, 0
	.set _ZN7rocprim17ROCPRIM_400000_NS6detail17trampoline_kernelINS0_14default_configENS1_38merge_sort_block_merge_config_selectorIlNS0_10empty_typeEEEZZNS1_27merge_sort_block_merge_implIS3_PlPS5_mZN2at6native12_GLOBAL__N_124unique_dim_cuda_templateIN3c104HalfEEESt5tupleIJNSA_6TensorESH_SH_EERKSH_lbbbEUlllE_EE10hipError_tT0_T1_T2_jT3_P12ihipStream_tbPNSt15iterator_traitsISN_E10value_typeEPNST_ISO_E10value_typeEPSP_NS1_7vsmem_tEENKUlT_SN_SO_SP_E_clIS8_S8_S9_S9_EESM_S12_SN_SO_SP_EUlS12_E_NS1_11comp_targetILNS1_3genE4ELNS1_11target_archE910ELNS1_3gpuE8ELNS1_3repE0EEENS1_48merge_mergepath_partition_config_static_selectorELNS0_4arch9wavefront6targetE1EEEvSO_.num_named_barrier, 0
	.set _ZN7rocprim17ROCPRIM_400000_NS6detail17trampoline_kernelINS0_14default_configENS1_38merge_sort_block_merge_config_selectorIlNS0_10empty_typeEEEZZNS1_27merge_sort_block_merge_implIS3_PlPS5_mZN2at6native12_GLOBAL__N_124unique_dim_cuda_templateIN3c104HalfEEESt5tupleIJNSA_6TensorESH_SH_EERKSH_lbbbEUlllE_EE10hipError_tT0_T1_T2_jT3_P12ihipStream_tbPNSt15iterator_traitsISN_E10value_typeEPNST_ISO_E10value_typeEPSP_NS1_7vsmem_tEENKUlT_SN_SO_SP_E_clIS8_S8_S9_S9_EESM_S12_SN_SO_SP_EUlS12_E_NS1_11comp_targetILNS1_3genE4ELNS1_11target_archE910ELNS1_3gpuE8ELNS1_3repE0EEENS1_48merge_mergepath_partition_config_static_selectorELNS0_4arch9wavefront6targetE1EEEvSO_.private_seg_size, 0
	.set _ZN7rocprim17ROCPRIM_400000_NS6detail17trampoline_kernelINS0_14default_configENS1_38merge_sort_block_merge_config_selectorIlNS0_10empty_typeEEEZZNS1_27merge_sort_block_merge_implIS3_PlPS5_mZN2at6native12_GLOBAL__N_124unique_dim_cuda_templateIN3c104HalfEEESt5tupleIJNSA_6TensorESH_SH_EERKSH_lbbbEUlllE_EE10hipError_tT0_T1_T2_jT3_P12ihipStream_tbPNSt15iterator_traitsISN_E10value_typeEPNST_ISO_E10value_typeEPSP_NS1_7vsmem_tEENKUlT_SN_SO_SP_E_clIS8_S8_S9_S9_EESM_S12_SN_SO_SP_EUlS12_E_NS1_11comp_targetILNS1_3genE4ELNS1_11target_archE910ELNS1_3gpuE8ELNS1_3repE0EEENS1_48merge_mergepath_partition_config_static_selectorELNS0_4arch9wavefront6targetE1EEEvSO_.uses_vcc, 0
	.set _ZN7rocprim17ROCPRIM_400000_NS6detail17trampoline_kernelINS0_14default_configENS1_38merge_sort_block_merge_config_selectorIlNS0_10empty_typeEEEZZNS1_27merge_sort_block_merge_implIS3_PlPS5_mZN2at6native12_GLOBAL__N_124unique_dim_cuda_templateIN3c104HalfEEESt5tupleIJNSA_6TensorESH_SH_EERKSH_lbbbEUlllE_EE10hipError_tT0_T1_T2_jT3_P12ihipStream_tbPNSt15iterator_traitsISN_E10value_typeEPNST_ISO_E10value_typeEPSP_NS1_7vsmem_tEENKUlT_SN_SO_SP_E_clIS8_S8_S9_S9_EESM_S12_SN_SO_SP_EUlS12_E_NS1_11comp_targetILNS1_3genE4ELNS1_11target_archE910ELNS1_3gpuE8ELNS1_3repE0EEENS1_48merge_mergepath_partition_config_static_selectorELNS0_4arch9wavefront6targetE1EEEvSO_.uses_flat_scratch, 0
	.set _ZN7rocprim17ROCPRIM_400000_NS6detail17trampoline_kernelINS0_14default_configENS1_38merge_sort_block_merge_config_selectorIlNS0_10empty_typeEEEZZNS1_27merge_sort_block_merge_implIS3_PlPS5_mZN2at6native12_GLOBAL__N_124unique_dim_cuda_templateIN3c104HalfEEESt5tupleIJNSA_6TensorESH_SH_EERKSH_lbbbEUlllE_EE10hipError_tT0_T1_T2_jT3_P12ihipStream_tbPNSt15iterator_traitsISN_E10value_typeEPNST_ISO_E10value_typeEPSP_NS1_7vsmem_tEENKUlT_SN_SO_SP_E_clIS8_S8_S9_S9_EESM_S12_SN_SO_SP_EUlS12_E_NS1_11comp_targetILNS1_3genE4ELNS1_11target_archE910ELNS1_3gpuE8ELNS1_3repE0EEENS1_48merge_mergepath_partition_config_static_selectorELNS0_4arch9wavefront6targetE1EEEvSO_.has_dyn_sized_stack, 0
	.set _ZN7rocprim17ROCPRIM_400000_NS6detail17trampoline_kernelINS0_14default_configENS1_38merge_sort_block_merge_config_selectorIlNS0_10empty_typeEEEZZNS1_27merge_sort_block_merge_implIS3_PlPS5_mZN2at6native12_GLOBAL__N_124unique_dim_cuda_templateIN3c104HalfEEESt5tupleIJNSA_6TensorESH_SH_EERKSH_lbbbEUlllE_EE10hipError_tT0_T1_T2_jT3_P12ihipStream_tbPNSt15iterator_traitsISN_E10value_typeEPNST_ISO_E10value_typeEPSP_NS1_7vsmem_tEENKUlT_SN_SO_SP_E_clIS8_S8_S9_S9_EESM_S12_SN_SO_SP_EUlS12_E_NS1_11comp_targetILNS1_3genE4ELNS1_11target_archE910ELNS1_3gpuE8ELNS1_3repE0EEENS1_48merge_mergepath_partition_config_static_selectorELNS0_4arch9wavefront6targetE1EEEvSO_.has_recursion, 0
	.set _ZN7rocprim17ROCPRIM_400000_NS6detail17trampoline_kernelINS0_14default_configENS1_38merge_sort_block_merge_config_selectorIlNS0_10empty_typeEEEZZNS1_27merge_sort_block_merge_implIS3_PlPS5_mZN2at6native12_GLOBAL__N_124unique_dim_cuda_templateIN3c104HalfEEESt5tupleIJNSA_6TensorESH_SH_EERKSH_lbbbEUlllE_EE10hipError_tT0_T1_T2_jT3_P12ihipStream_tbPNSt15iterator_traitsISN_E10value_typeEPNST_ISO_E10value_typeEPSP_NS1_7vsmem_tEENKUlT_SN_SO_SP_E_clIS8_S8_S9_S9_EESM_S12_SN_SO_SP_EUlS12_E_NS1_11comp_targetILNS1_3genE4ELNS1_11target_archE910ELNS1_3gpuE8ELNS1_3repE0EEENS1_48merge_mergepath_partition_config_static_selectorELNS0_4arch9wavefront6targetE1EEEvSO_.has_indirect_call, 0
	.section	.AMDGPU.csdata,"",@progbits
; Kernel info:
; codeLenInByte = 0
; TotalNumSgprs: 6
; NumVgprs: 0
; NumAgprs: 0
; TotalNumVgprs: 0
; ScratchSize: 0
; MemoryBound: 0
; FloatMode: 240
; IeeeMode: 1
; LDSByteSize: 0 bytes/workgroup (compile time only)
; SGPRBlocks: 0
; VGPRBlocks: 0
; NumSGPRsForWavesPerEU: 6
; NumVGPRsForWavesPerEU: 1
; AccumOffset: 4
; Occupancy: 8
; WaveLimiterHint : 0
; COMPUTE_PGM_RSRC2:SCRATCH_EN: 0
; COMPUTE_PGM_RSRC2:USER_SGPR: 2
; COMPUTE_PGM_RSRC2:TRAP_HANDLER: 0
; COMPUTE_PGM_RSRC2:TGID_X_EN: 1
; COMPUTE_PGM_RSRC2:TGID_Y_EN: 0
; COMPUTE_PGM_RSRC2:TGID_Z_EN: 0
; COMPUTE_PGM_RSRC2:TIDIG_COMP_CNT: 0
; COMPUTE_PGM_RSRC3_GFX90A:ACCUM_OFFSET: 0
; COMPUTE_PGM_RSRC3_GFX90A:TG_SPLIT: 0
	.section	.text._ZN7rocprim17ROCPRIM_400000_NS6detail17trampoline_kernelINS0_14default_configENS1_38merge_sort_block_merge_config_selectorIlNS0_10empty_typeEEEZZNS1_27merge_sort_block_merge_implIS3_PlPS5_mZN2at6native12_GLOBAL__N_124unique_dim_cuda_templateIN3c104HalfEEESt5tupleIJNSA_6TensorESH_SH_EERKSH_lbbbEUlllE_EE10hipError_tT0_T1_T2_jT3_P12ihipStream_tbPNSt15iterator_traitsISN_E10value_typeEPNST_ISO_E10value_typeEPSP_NS1_7vsmem_tEENKUlT_SN_SO_SP_E_clIS8_S8_S9_S9_EESM_S12_SN_SO_SP_EUlS12_E_NS1_11comp_targetILNS1_3genE3ELNS1_11target_archE908ELNS1_3gpuE7ELNS1_3repE0EEENS1_48merge_mergepath_partition_config_static_selectorELNS0_4arch9wavefront6targetE1EEEvSO_,"axG",@progbits,_ZN7rocprim17ROCPRIM_400000_NS6detail17trampoline_kernelINS0_14default_configENS1_38merge_sort_block_merge_config_selectorIlNS0_10empty_typeEEEZZNS1_27merge_sort_block_merge_implIS3_PlPS5_mZN2at6native12_GLOBAL__N_124unique_dim_cuda_templateIN3c104HalfEEESt5tupleIJNSA_6TensorESH_SH_EERKSH_lbbbEUlllE_EE10hipError_tT0_T1_T2_jT3_P12ihipStream_tbPNSt15iterator_traitsISN_E10value_typeEPNST_ISO_E10value_typeEPSP_NS1_7vsmem_tEENKUlT_SN_SO_SP_E_clIS8_S8_S9_S9_EESM_S12_SN_SO_SP_EUlS12_E_NS1_11comp_targetILNS1_3genE3ELNS1_11target_archE908ELNS1_3gpuE7ELNS1_3repE0EEENS1_48merge_mergepath_partition_config_static_selectorELNS0_4arch9wavefront6targetE1EEEvSO_,comdat
	.globl	_ZN7rocprim17ROCPRIM_400000_NS6detail17trampoline_kernelINS0_14default_configENS1_38merge_sort_block_merge_config_selectorIlNS0_10empty_typeEEEZZNS1_27merge_sort_block_merge_implIS3_PlPS5_mZN2at6native12_GLOBAL__N_124unique_dim_cuda_templateIN3c104HalfEEESt5tupleIJNSA_6TensorESH_SH_EERKSH_lbbbEUlllE_EE10hipError_tT0_T1_T2_jT3_P12ihipStream_tbPNSt15iterator_traitsISN_E10value_typeEPNST_ISO_E10value_typeEPSP_NS1_7vsmem_tEENKUlT_SN_SO_SP_E_clIS8_S8_S9_S9_EESM_S12_SN_SO_SP_EUlS12_E_NS1_11comp_targetILNS1_3genE3ELNS1_11target_archE908ELNS1_3gpuE7ELNS1_3repE0EEENS1_48merge_mergepath_partition_config_static_selectorELNS0_4arch9wavefront6targetE1EEEvSO_ ; -- Begin function _ZN7rocprim17ROCPRIM_400000_NS6detail17trampoline_kernelINS0_14default_configENS1_38merge_sort_block_merge_config_selectorIlNS0_10empty_typeEEEZZNS1_27merge_sort_block_merge_implIS3_PlPS5_mZN2at6native12_GLOBAL__N_124unique_dim_cuda_templateIN3c104HalfEEESt5tupleIJNSA_6TensorESH_SH_EERKSH_lbbbEUlllE_EE10hipError_tT0_T1_T2_jT3_P12ihipStream_tbPNSt15iterator_traitsISN_E10value_typeEPNST_ISO_E10value_typeEPSP_NS1_7vsmem_tEENKUlT_SN_SO_SP_E_clIS8_S8_S9_S9_EESM_S12_SN_SO_SP_EUlS12_E_NS1_11comp_targetILNS1_3genE3ELNS1_11target_archE908ELNS1_3gpuE7ELNS1_3repE0EEENS1_48merge_mergepath_partition_config_static_selectorELNS0_4arch9wavefront6targetE1EEEvSO_
	.p2align	8
	.type	_ZN7rocprim17ROCPRIM_400000_NS6detail17trampoline_kernelINS0_14default_configENS1_38merge_sort_block_merge_config_selectorIlNS0_10empty_typeEEEZZNS1_27merge_sort_block_merge_implIS3_PlPS5_mZN2at6native12_GLOBAL__N_124unique_dim_cuda_templateIN3c104HalfEEESt5tupleIJNSA_6TensorESH_SH_EERKSH_lbbbEUlllE_EE10hipError_tT0_T1_T2_jT3_P12ihipStream_tbPNSt15iterator_traitsISN_E10value_typeEPNST_ISO_E10value_typeEPSP_NS1_7vsmem_tEENKUlT_SN_SO_SP_E_clIS8_S8_S9_S9_EESM_S12_SN_SO_SP_EUlS12_E_NS1_11comp_targetILNS1_3genE3ELNS1_11target_archE908ELNS1_3gpuE7ELNS1_3repE0EEENS1_48merge_mergepath_partition_config_static_selectorELNS0_4arch9wavefront6targetE1EEEvSO_,@function
_ZN7rocprim17ROCPRIM_400000_NS6detail17trampoline_kernelINS0_14default_configENS1_38merge_sort_block_merge_config_selectorIlNS0_10empty_typeEEEZZNS1_27merge_sort_block_merge_implIS3_PlPS5_mZN2at6native12_GLOBAL__N_124unique_dim_cuda_templateIN3c104HalfEEESt5tupleIJNSA_6TensorESH_SH_EERKSH_lbbbEUlllE_EE10hipError_tT0_T1_T2_jT3_P12ihipStream_tbPNSt15iterator_traitsISN_E10value_typeEPNST_ISO_E10value_typeEPSP_NS1_7vsmem_tEENKUlT_SN_SO_SP_E_clIS8_S8_S9_S9_EESM_S12_SN_SO_SP_EUlS12_E_NS1_11comp_targetILNS1_3genE3ELNS1_11target_archE908ELNS1_3gpuE7ELNS1_3repE0EEENS1_48merge_mergepath_partition_config_static_selectorELNS0_4arch9wavefront6targetE1EEEvSO_: ; @_ZN7rocprim17ROCPRIM_400000_NS6detail17trampoline_kernelINS0_14default_configENS1_38merge_sort_block_merge_config_selectorIlNS0_10empty_typeEEEZZNS1_27merge_sort_block_merge_implIS3_PlPS5_mZN2at6native12_GLOBAL__N_124unique_dim_cuda_templateIN3c104HalfEEESt5tupleIJNSA_6TensorESH_SH_EERKSH_lbbbEUlllE_EE10hipError_tT0_T1_T2_jT3_P12ihipStream_tbPNSt15iterator_traitsISN_E10value_typeEPNST_ISO_E10value_typeEPSP_NS1_7vsmem_tEENKUlT_SN_SO_SP_E_clIS8_S8_S9_S9_EESM_S12_SN_SO_SP_EUlS12_E_NS1_11comp_targetILNS1_3genE3ELNS1_11target_archE908ELNS1_3gpuE7ELNS1_3repE0EEENS1_48merge_mergepath_partition_config_static_selectorELNS0_4arch9wavefront6targetE1EEEvSO_
; %bb.0:
	.section	.rodata,"a",@progbits
	.p2align	6, 0x0
	.amdhsa_kernel _ZN7rocprim17ROCPRIM_400000_NS6detail17trampoline_kernelINS0_14default_configENS1_38merge_sort_block_merge_config_selectorIlNS0_10empty_typeEEEZZNS1_27merge_sort_block_merge_implIS3_PlPS5_mZN2at6native12_GLOBAL__N_124unique_dim_cuda_templateIN3c104HalfEEESt5tupleIJNSA_6TensorESH_SH_EERKSH_lbbbEUlllE_EE10hipError_tT0_T1_T2_jT3_P12ihipStream_tbPNSt15iterator_traitsISN_E10value_typeEPNST_ISO_E10value_typeEPSP_NS1_7vsmem_tEENKUlT_SN_SO_SP_E_clIS8_S8_S9_S9_EESM_S12_SN_SO_SP_EUlS12_E_NS1_11comp_targetILNS1_3genE3ELNS1_11target_archE908ELNS1_3gpuE7ELNS1_3repE0EEENS1_48merge_mergepath_partition_config_static_selectorELNS0_4arch9wavefront6targetE1EEEvSO_
		.amdhsa_group_segment_fixed_size 0
		.amdhsa_private_segment_fixed_size 0
		.amdhsa_kernarg_size 56
		.amdhsa_user_sgpr_count 2
		.amdhsa_user_sgpr_dispatch_ptr 0
		.amdhsa_user_sgpr_queue_ptr 0
		.amdhsa_user_sgpr_kernarg_segment_ptr 1
		.amdhsa_user_sgpr_dispatch_id 0
		.amdhsa_user_sgpr_kernarg_preload_length 0
		.amdhsa_user_sgpr_kernarg_preload_offset 0
		.amdhsa_user_sgpr_private_segment_size 0
		.amdhsa_uses_dynamic_stack 0
		.amdhsa_enable_private_segment 0
		.amdhsa_system_sgpr_workgroup_id_x 1
		.amdhsa_system_sgpr_workgroup_id_y 0
		.amdhsa_system_sgpr_workgroup_id_z 0
		.amdhsa_system_sgpr_workgroup_info 0
		.amdhsa_system_vgpr_workitem_id 0
		.amdhsa_next_free_vgpr 1
		.amdhsa_next_free_sgpr 0
		.amdhsa_accum_offset 4
		.amdhsa_reserve_vcc 0
		.amdhsa_float_round_mode_32 0
		.amdhsa_float_round_mode_16_64 0
		.amdhsa_float_denorm_mode_32 3
		.amdhsa_float_denorm_mode_16_64 3
		.amdhsa_dx10_clamp 1
		.amdhsa_ieee_mode 1
		.amdhsa_fp16_overflow 0
		.amdhsa_tg_split 0
		.amdhsa_exception_fp_ieee_invalid_op 0
		.amdhsa_exception_fp_denorm_src 0
		.amdhsa_exception_fp_ieee_div_zero 0
		.amdhsa_exception_fp_ieee_overflow 0
		.amdhsa_exception_fp_ieee_underflow 0
		.amdhsa_exception_fp_ieee_inexact 0
		.amdhsa_exception_int_div_zero 0
	.end_amdhsa_kernel
	.section	.text._ZN7rocprim17ROCPRIM_400000_NS6detail17trampoline_kernelINS0_14default_configENS1_38merge_sort_block_merge_config_selectorIlNS0_10empty_typeEEEZZNS1_27merge_sort_block_merge_implIS3_PlPS5_mZN2at6native12_GLOBAL__N_124unique_dim_cuda_templateIN3c104HalfEEESt5tupleIJNSA_6TensorESH_SH_EERKSH_lbbbEUlllE_EE10hipError_tT0_T1_T2_jT3_P12ihipStream_tbPNSt15iterator_traitsISN_E10value_typeEPNST_ISO_E10value_typeEPSP_NS1_7vsmem_tEENKUlT_SN_SO_SP_E_clIS8_S8_S9_S9_EESM_S12_SN_SO_SP_EUlS12_E_NS1_11comp_targetILNS1_3genE3ELNS1_11target_archE908ELNS1_3gpuE7ELNS1_3repE0EEENS1_48merge_mergepath_partition_config_static_selectorELNS0_4arch9wavefront6targetE1EEEvSO_,"axG",@progbits,_ZN7rocprim17ROCPRIM_400000_NS6detail17trampoline_kernelINS0_14default_configENS1_38merge_sort_block_merge_config_selectorIlNS0_10empty_typeEEEZZNS1_27merge_sort_block_merge_implIS3_PlPS5_mZN2at6native12_GLOBAL__N_124unique_dim_cuda_templateIN3c104HalfEEESt5tupleIJNSA_6TensorESH_SH_EERKSH_lbbbEUlllE_EE10hipError_tT0_T1_T2_jT3_P12ihipStream_tbPNSt15iterator_traitsISN_E10value_typeEPNST_ISO_E10value_typeEPSP_NS1_7vsmem_tEENKUlT_SN_SO_SP_E_clIS8_S8_S9_S9_EESM_S12_SN_SO_SP_EUlS12_E_NS1_11comp_targetILNS1_3genE3ELNS1_11target_archE908ELNS1_3gpuE7ELNS1_3repE0EEENS1_48merge_mergepath_partition_config_static_selectorELNS0_4arch9wavefront6targetE1EEEvSO_,comdat
.Lfunc_end1252:
	.size	_ZN7rocprim17ROCPRIM_400000_NS6detail17trampoline_kernelINS0_14default_configENS1_38merge_sort_block_merge_config_selectorIlNS0_10empty_typeEEEZZNS1_27merge_sort_block_merge_implIS3_PlPS5_mZN2at6native12_GLOBAL__N_124unique_dim_cuda_templateIN3c104HalfEEESt5tupleIJNSA_6TensorESH_SH_EERKSH_lbbbEUlllE_EE10hipError_tT0_T1_T2_jT3_P12ihipStream_tbPNSt15iterator_traitsISN_E10value_typeEPNST_ISO_E10value_typeEPSP_NS1_7vsmem_tEENKUlT_SN_SO_SP_E_clIS8_S8_S9_S9_EESM_S12_SN_SO_SP_EUlS12_E_NS1_11comp_targetILNS1_3genE3ELNS1_11target_archE908ELNS1_3gpuE7ELNS1_3repE0EEENS1_48merge_mergepath_partition_config_static_selectorELNS0_4arch9wavefront6targetE1EEEvSO_, .Lfunc_end1252-_ZN7rocprim17ROCPRIM_400000_NS6detail17trampoline_kernelINS0_14default_configENS1_38merge_sort_block_merge_config_selectorIlNS0_10empty_typeEEEZZNS1_27merge_sort_block_merge_implIS3_PlPS5_mZN2at6native12_GLOBAL__N_124unique_dim_cuda_templateIN3c104HalfEEESt5tupleIJNSA_6TensorESH_SH_EERKSH_lbbbEUlllE_EE10hipError_tT0_T1_T2_jT3_P12ihipStream_tbPNSt15iterator_traitsISN_E10value_typeEPNST_ISO_E10value_typeEPSP_NS1_7vsmem_tEENKUlT_SN_SO_SP_E_clIS8_S8_S9_S9_EESM_S12_SN_SO_SP_EUlS12_E_NS1_11comp_targetILNS1_3genE3ELNS1_11target_archE908ELNS1_3gpuE7ELNS1_3repE0EEENS1_48merge_mergepath_partition_config_static_selectorELNS0_4arch9wavefront6targetE1EEEvSO_
                                        ; -- End function
	.set _ZN7rocprim17ROCPRIM_400000_NS6detail17trampoline_kernelINS0_14default_configENS1_38merge_sort_block_merge_config_selectorIlNS0_10empty_typeEEEZZNS1_27merge_sort_block_merge_implIS3_PlPS5_mZN2at6native12_GLOBAL__N_124unique_dim_cuda_templateIN3c104HalfEEESt5tupleIJNSA_6TensorESH_SH_EERKSH_lbbbEUlllE_EE10hipError_tT0_T1_T2_jT3_P12ihipStream_tbPNSt15iterator_traitsISN_E10value_typeEPNST_ISO_E10value_typeEPSP_NS1_7vsmem_tEENKUlT_SN_SO_SP_E_clIS8_S8_S9_S9_EESM_S12_SN_SO_SP_EUlS12_E_NS1_11comp_targetILNS1_3genE3ELNS1_11target_archE908ELNS1_3gpuE7ELNS1_3repE0EEENS1_48merge_mergepath_partition_config_static_selectorELNS0_4arch9wavefront6targetE1EEEvSO_.num_vgpr, 0
	.set _ZN7rocprim17ROCPRIM_400000_NS6detail17trampoline_kernelINS0_14default_configENS1_38merge_sort_block_merge_config_selectorIlNS0_10empty_typeEEEZZNS1_27merge_sort_block_merge_implIS3_PlPS5_mZN2at6native12_GLOBAL__N_124unique_dim_cuda_templateIN3c104HalfEEESt5tupleIJNSA_6TensorESH_SH_EERKSH_lbbbEUlllE_EE10hipError_tT0_T1_T2_jT3_P12ihipStream_tbPNSt15iterator_traitsISN_E10value_typeEPNST_ISO_E10value_typeEPSP_NS1_7vsmem_tEENKUlT_SN_SO_SP_E_clIS8_S8_S9_S9_EESM_S12_SN_SO_SP_EUlS12_E_NS1_11comp_targetILNS1_3genE3ELNS1_11target_archE908ELNS1_3gpuE7ELNS1_3repE0EEENS1_48merge_mergepath_partition_config_static_selectorELNS0_4arch9wavefront6targetE1EEEvSO_.num_agpr, 0
	.set _ZN7rocprim17ROCPRIM_400000_NS6detail17trampoline_kernelINS0_14default_configENS1_38merge_sort_block_merge_config_selectorIlNS0_10empty_typeEEEZZNS1_27merge_sort_block_merge_implIS3_PlPS5_mZN2at6native12_GLOBAL__N_124unique_dim_cuda_templateIN3c104HalfEEESt5tupleIJNSA_6TensorESH_SH_EERKSH_lbbbEUlllE_EE10hipError_tT0_T1_T2_jT3_P12ihipStream_tbPNSt15iterator_traitsISN_E10value_typeEPNST_ISO_E10value_typeEPSP_NS1_7vsmem_tEENKUlT_SN_SO_SP_E_clIS8_S8_S9_S9_EESM_S12_SN_SO_SP_EUlS12_E_NS1_11comp_targetILNS1_3genE3ELNS1_11target_archE908ELNS1_3gpuE7ELNS1_3repE0EEENS1_48merge_mergepath_partition_config_static_selectorELNS0_4arch9wavefront6targetE1EEEvSO_.numbered_sgpr, 0
	.set _ZN7rocprim17ROCPRIM_400000_NS6detail17trampoline_kernelINS0_14default_configENS1_38merge_sort_block_merge_config_selectorIlNS0_10empty_typeEEEZZNS1_27merge_sort_block_merge_implIS3_PlPS5_mZN2at6native12_GLOBAL__N_124unique_dim_cuda_templateIN3c104HalfEEESt5tupleIJNSA_6TensorESH_SH_EERKSH_lbbbEUlllE_EE10hipError_tT0_T1_T2_jT3_P12ihipStream_tbPNSt15iterator_traitsISN_E10value_typeEPNST_ISO_E10value_typeEPSP_NS1_7vsmem_tEENKUlT_SN_SO_SP_E_clIS8_S8_S9_S9_EESM_S12_SN_SO_SP_EUlS12_E_NS1_11comp_targetILNS1_3genE3ELNS1_11target_archE908ELNS1_3gpuE7ELNS1_3repE0EEENS1_48merge_mergepath_partition_config_static_selectorELNS0_4arch9wavefront6targetE1EEEvSO_.num_named_barrier, 0
	.set _ZN7rocprim17ROCPRIM_400000_NS6detail17trampoline_kernelINS0_14default_configENS1_38merge_sort_block_merge_config_selectorIlNS0_10empty_typeEEEZZNS1_27merge_sort_block_merge_implIS3_PlPS5_mZN2at6native12_GLOBAL__N_124unique_dim_cuda_templateIN3c104HalfEEESt5tupleIJNSA_6TensorESH_SH_EERKSH_lbbbEUlllE_EE10hipError_tT0_T1_T2_jT3_P12ihipStream_tbPNSt15iterator_traitsISN_E10value_typeEPNST_ISO_E10value_typeEPSP_NS1_7vsmem_tEENKUlT_SN_SO_SP_E_clIS8_S8_S9_S9_EESM_S12_SN_SO_SP_EUlS12_E_NS1_11comp_targetILNS1_3genE3ELNS1_11target_archE908ELNS1_3gpuE7ELNS1_3repE0EEENS1_48merge_mergepath_partition_config_static_selectorELNS0_4arch9wavefront6targetE1EEEvSO_.private_seg_size, 0
	.set _ZN7rocprim17ROCPRIM_400000_NS6detail17trampoline_kernelINS0_14default_configENS1_38merge_sort_block_merge_config_selectorIlNS0_10empty_typeEEEZZNS1_27merge_sort_block_merge_implIS3_PlPS5_mZN2at6native12_GLOBAL__N_124unique_dim_cuda_templateIN3c104HalfEEESt5tupleIJNSA_6TensorESH_SH_EERKSH_lbbbEUlllE_EE10hipError_tT0_T1_T2_jT3_P12ihipStream_tbPNSt15iterator_traitsISN_E10value_typeEPNST_ISO_E10value_typeEPSP_NS1_7vsmem_tEENKUlT_SN_SO_SP_E_clIS8_S8_S9_S9_EESM_S12_SN_SO_SP_EUlS12_E_NS1_11comp_targetILNS1_3genE3ELNS1_11target_archE908ELNS1_3gpuE7ELNS1_3repE0EEENS1_48merge_mergepath_partition_config_static_selectorELNS0_4arch9wavefront6targetE1EEEvSO_.uses_vcc, 0
	.set _ZN7rocprim17ROCPRIM_400000_NS6detail17trampoline_kernelINS0_14default_configENS1_38merge_sort_block_merge_config_selectorIlNS0_10empty_typeEEEZZNS1_27merge_sort_block_merge_implIS3_PlPS5_mZN2at6native12_GLOBAL__N_124unique_dim_cuda_templateIN3c104HalfEEESt5tupleIJNSA_6TensorESH_SH_EERKSH_lbbbEUlllE_EE10hipError_tT0_T1_T2_jT3_P12ihipStream_tbPNSt15iterator_traitsISN_E10value_typeEPNST_ISO_E10value_typeEPSP_NS1_7vsmem_tEENKUlT_SN_SO_SP_E_clIS8_S8_S9_S9_EESM_S12_SN_SO_SP_EUlS12_E_NS1_11comp_targetILNS1_3genE3ELNS1_11target_archE908ELNS1_3gpuE7ELNS1_3repE0EEENS1_48merge_mergepath_partition_config_static_selectorELNS0_4arch9wavefront6targetE1EEEvSO_.uses_flat_scratch, 0
	.set _ZN7rocprim17ROCPRIM_400000_NS6detail17trampoline_kernelINS0_14default_configENS1_38merge_sort_block_merge_config_selectorIlNS0_10empty_typeEEEZZNS1_27merge_sort_block_merge_implIS3_PlPS5_mZN2at6native12_GLOBAL__N_124unique_dim_cuda_templateIN3c104HalfEEESt5tupleIJNSA_6TensorESH_SH_EERKSH_lbbbEUlllE_EE10hipError_tT0_T1_T2_jT3_P12ihipStream_tbPNSt15iterator_traitsISN_E10value_typeEPNST_ISO_E10value_typeEPSP_NS1_7vsmem_tEENKUlT_SN_SO_SP_E_clIS8_S8_S9_S9_EESM_S12_SN_SO_SP_EUlS12_E_NS1_11comp_targetILNS1_3genE3ELNS1_11target_archE908ELNS1_3gpuE7ELNS1_3repE0EEENS1_48merge_mergepath_partition_config_static_selectorELNS0_4arch9wavefront6targetE1EEEvSO_.has_dyn_sized_stack, 0
	.set _ZN7rocprim17ROCPRIM_400000_NS6detail17trampoline_kernelINS0_14default_configENS1_38merge_sort_block_merge_config_selectorIlNS0_10empty_typeEEEZZNS1_27merge_sort_block_merge_implIS3_PlPS5_mZN2at6native12_GLOBAL__N_124unique_dim_cuda_templateIN3c104HalfEEESt5tupleIJNSA_6TensorESH_SH_EERKSH_lbbbEUlllE_EE10hipError_tT0_T1_T2_jT3_P12ihipStream_tbPNSt15iterator_traitsISN_E10value_typeEPNST_ISO_E10value_typeEPSP_NS1_7vsmem_tEENKUlT_SN_SO_SP_E_clIS8_S8_S9_S9_EESM_S12_SN_SO_SP_EUlS12_E_NS1_11comp_targetILNS1_3genE3ELNS1_11target_archE908ELNS1_3gpuE7ELNS1_3repE0EEENS1_48merge_mergepath_partition_config_static_selectorELNS0_4arch9wavefront6targetE1EEEvSO_.has_recursion, 0
	.set _ZN7rocprim17ROCPRIM_400000_NS6detail17trampoline_kernelINS0_14default_configENS1_38merge_sort_block_merge_config_selectorIlNS0_10empty_typeEEEZZNS1_27merge_sort_block_merge_implIS3_PlPS5_mZN2at6native12_GLOBAL__N_124unique_dim_cuda_templateIN3c104HalfEEESt5tupleIJNSA_6TensorESH_SH_EERKSH_lbbbEUlllE_EE10hipError_tT0_T1_T2_jT3_P12ihipStream_tbPNSt15iterator_traitsISN_E10value_typeEPNST_ISO_E10value_typeEPSP_NS1_7vsmem_tEENKUlT_SN_SO_SP_E_clIS8_S8_S9_S9_EESM_S12_SN_SO_SP_EUlS12_E_NS1_11comp_targetILNS1_3genE3ELNS1_11target_archE908ELNS1_3gpuE7ELNS1_3repE0EEENS1_48merge_mergepath_partition_config_static_selectorELNS0_4arch9wavefront6targetE1EEEvSO_.has_indirect_call, 0
	.section	.AMDGPU.csdata,"",@progbits
; Kernel info:
; codeLenInByte = 0
; TotalNumSgprs: 6
; NumVgprs: 0
; NumAgprs: 0
; TotalNumVgprs: 0
; ScratchSize: 0
; MemoryBound: 0
; FloatMode: 240
; IeeeMode: 1
; LDSByteSize: 0 bytes/workgroup (compile time only)
; SGPRBlocks: 0
; VGPRBlocks: 0
; NumSGPRsForWavesPerEU: 6
; NumVGPRsForWavesPerEU: 1
; AccumOffset: 4
; Occupancy: 8
; WaveLimiterHint : 0
; COMPUTE_PGM_RSRC2:SCRATCH_EN: 0
; COMPUTE_PGM_RSRC2:USER_SGPR: 2
; COMPUTE_PGM_RSRC2:TRAP_HANDLER: 0
; COMPUTE_PGM_RSRC2:TGID_X_EN: 1
; COMPUTE_PGM_RSRC2:TGID_Y_EN: 0
; COMPUTE_PGM_RSRC2:TGID_Z_EN: 0
; COMPUTE_PGM_RSRC2:TIDIG_COMP_CNT: 0
; COMPUTE_PGM_RSRC3_GFX90A:ACCUM_OFFSET: 0
; COMPUTE_PGM_RSRC3_GFX90A:TG_SPLIT: 0
	.section	.text._ZN7rocprim17ROCPRIM_400000_NS6detail17trampoline_kernelINS0_14default_configENS1_38merge_sort_block_merge_config_selectorIlNS0_10empty_typeEEEZZNS1_27merge_sort_block_merge_implIS3_PlPS5_mZN2at6native12_GLOBAL__N_124unique_dim_cuda_templateIN3c104HalfEEESt5tupleIJNSA_6TensorESH_SH_EERKSH_lbbbEUlllE_EE10hipError_tT0_T1_T2_jT3_P12ihipStream_tbPNSt15iterator_traitsISN_E10value_typeEPNST_ISO_E10value_typeEPSP_NS1_7vsmem_tEENKUlT_SN_SO_SP_E_clIS8_S8_S9_S9_EESM_S12_SN_SO_SP_EUlS12_E_NS1_11comp_targetILNS1_3genE2ELNS1_11target_archE906ELNS1_3gpuE6ELNS1_3repE0EEENS1_48merge_mergepath_partition_config_static_selectorELNS0_4arch9wavefront6targetE1EEEvSO_,"axG",@progbits,_ZN7rocprim17ROCPRIM_400000_NS6detail17trampoline_kernelINS0_14default_configENS1_38merge_sort_block_merge_config_selectorIlNS0_10empty_typeEEEZZNS1_27merge_sort_block_merge_implIS3_PlPS5_mZN2at6native12_GLOBAL__N_124unique_dim_cuda_templateIN3c104HalfEEESt5tupleIJNSA_6TensorESH_SH_EERKSH_lbbbEUlllE_EE10hipError_tT0_T1_T2_jT3_P12ihipStream_tbPNSt15iterator_traitsISN_E10value_typeEPNST_ISO_E10value_typeEPSP_NS1_7vsmem_tEENKUlT_SN_SO_SP_E_clIS8_S8_S9_S9_EESM_S12_SN_SO_SP_EUlS12_E_NS1_11comp_targetILNS1_3genE2ELNS1_11target_archE906ELNS1_3gpuE6ELNS1_3repE0EEENS1_48merge_mergepath_partition_config_static_selectorELNS0_4arch9wavefront6targetE1EEEvSO_,comdat
	.globl	_ZN7rocprim17ROCPRIM_400000_NS6detail17trampoline_kernelINS0_14default_configENS1_38merge_sort_block_merge_config_selectorIlNS0_10empty_typeEEEZZNS1_27merge_sort_block_merge_implIS3_PlPS5_mZN2at6native12_GLOBAL__N_124unique_dim_cuda_templateIN3c104HalfEEESt5tupleIJNSA_6TensorESH_SH_EERKSH_lbbbEUlllE_EE10hipError_tT0_T1_T2_jT3_P12ihipStream_tbPNSt15iterator_traitsISN_E10value_typeEPNST_ISO_E10value_typeEPSP_NS1_7vsmem_tEENKUlT_SN_SO_SP_E_clIS8_S8_S9_S9_EESM_S12_SN_SO_SP_EUlS12_E_NS1_11comp_targetILNS1_3genE2ELNS1_11target_archE906ELNS1_3gpuE6ELNS1_3repE0EEENS1_48merge_mergepath_partition_config_static_selectorELNS0_4arch9wavefront6targetE1EEEvSO_ ; -- Begin function _ZN7rocprim17ROCPRIM_400000_NS6detail17trampoline_kernelINS0_14default_configENS1_38merge_sort_block_merge_config_selectorIlNS0_10empty_typeEEEZZNS1_27merge_sort_block_merge_implIS3_PlPS5_mZN2at6native12_GLOBAL__N_124unique_dim_cuda_templateIN3c104HalfEEESt5tupleIJNSA_6TensorESH_SH_EERKSH_lbbbEUlllE_EE10hipError_tT0_T1_T2_jT3_P12ihipStream_tbPNSt15iterator_traitsISN_E10value_typeEPNST_ISO_E10value_typeEPSP_NS1_7vsmem_tEENKUlT_SN_SO_SP_E_clIS8_S8_S9_S9_EESM_S12_SN_SO_SP_EUlS12_E_NS1_11comp_targetILNS1_3genE2ELNS1_11target_archE906ELNS1_3gpuE6ELNS1_3repE0EEENS1_48merge_mergepath_partition_config_static_selectorELNS0_4arch9wavefront6targetE1EEEvSO_
	.p2align	8
	.type	_ZN7rocprim17ROCPRIM_400000_NS6detail17trampoline_kernelINS0_14default_configENS1_38merge_sort_block_merge_config_selectorIlNS0_10empty_typeEEEZZNS1_27merge_sort_block_merge_implIS3_PlPS5_mZN2at6native12_GLOBAL__N_124unique_dim_cuda_templateIN3c104HalfEEESt5tupleIJNSA_6TensorESH_SH_EERKSH_lbbbEUlllE_EE10hipError_tT0_T1_T2_jT3_P12ihipStream_tbPNSt15iterator_traitsISN_E10value_typeEPNST_ISO_E10value_typeEPSP_NS1_7vsmem_tEENKUlT_SN_SO_SP_E_clIS8_S8_S9_S9_EESM_S12_SN_SO_SP_EUlS12_E_NS1_11comp_targetILNS1_3genE2ELNS1_11target_archE906ELNS1_3gpuE6ELNS1_3repE0EEENS1_48merge_mergepath_partition_config_static_selectorELNS0_4arch9wavefront6targetE1EEEvSO_,@function
_ZN7rocprim17ROCPRIM_400000_NS6detail17trampoline_kernelINS0_14default_configENS1_38merge_sort_block_merge_config_selectorIlNS0_10empty_typeEEEZZNS1_27merge_sort_block_merge_implIS3_PlPS5_mZN2at6native12_GLOBAL__N_124unique_dim_cuda_templateIN3c104HalfEEESt5tupleIJNSA_6TensorESH_SH_EERKSH_lbbbEUlllE_EE10hipError_tT0_T1_T2_jT3_P12ihipStream_tbPNSt15iterator_traitsISN_E10value_typeEPNST_ISO_E10value_typeEPSP_NS1_7vsmem_tEENKUlT_SN_SO_SP_E_clIS8_S8_S9_S9_EESM_S12_SN_SO_SP_EUlS12_E_NS1_11comp_targetILNS1_3genE2ELNS1_11target_archE906ELNS1_3gpuE6ELNS1_3repE0EEENS1_48merge_mergepath_partition_config_static_selectorELNS0_4arch9wavefront6targetE1EEEvSO_: ; @_ZN7rocprim17ROCPRIM_400000_NS6detail17trampoline_kernelINS0_14default_configENS1_38merge_sort_block_merge_config_selectorIlNS0_10empty_typeEEEZZNS1_27merge_sort_block_merge_implIS3_PlPS5_mZN2at6native12_GLOBAL__N_124unique_dim_cuda_templateIN3c104HalfEEESt5tupleIJNSA_6TensorESH_SH_EERKSH_lbbbEUlllE_EE10hipError_tT0_T1_T2_jT3_P12ihipStream_tbPNSt15iterator_traitsISN_E10value_typeEPNST_ISO_E10value_typeEPSP_NS1_7vsmem_tEENKUlT_SN_SO_SP_E_clIS8_S8_S9_S9_EESM_S12_SN_SO_SP_EUlS12_E_NS1_11comp_targetILNS1_3genE2ELNS1_11target_archE906ELNS1_3gpuE6ELNS1_3repE0EEENS1_48merge_mergepath_partition_config_static_selectorELNS0_4arch9wavefront6targetE1EEEvSO_
; %bb.0:
	.section	.rodata,"a",@progbits
	.p2align	6, 0x0
	.amdhsa_kernel _ZN7rocprim17ROCPRIM_400000_NS6detail17trampoline_kernelINS0_14default_configENS1_38merge_sort_block_merge_config_selectorIlNS0_10empty_typeEEEZZNS1_27merge_sort_block_merge_implIS3_PlPS5_mZN2at6native12_GLOBAL__N_124unique_dim_cuda_templateIN3c104HalfEEESt5tupleIJNSA_6TensorESH_SH_EERKSH_lbbbEUlllE_EE10hipError_tT0_T1_T2_jT3_P12ihipStream_tbPNSt15iterator_traitsISN_E10value_typeEPNST_ISO_E10value_typeEPSP_NS1_7vsmem_tEENKUlT_SN_SO_SP_E_clIS8_S8_S9_S9_EESM_S12_SN_SO_SP_EUlS12_E_NS1_11comp_targetILNS1_3genE2ELNS1_11target_archE906ELNS1_3gpuE6ELNS1_3repE0EEENS1_48merge_mergepath_partition_config_static_selectorELNS0_4arch9wavefront6targetE1EEEvSO_
		.amdhsa_group_segment_fixed_size 0
		.amdhsa_private_segment_fixed_size 0
		.amdhsa_kernarg_size 56
		.amdhsa_user_sgpr_count 2
		.amdhsa_user_sgpr_dispatch_ptr 0
		.amdhsa_user_sgpr_queue_ptr 0
		.amdhsa_user_sgpr_kernarg_segment_ptr 1
		.amdhsa_user_sgpr_dispatch_id 0
		.amdhsa_user_sgpr_kernarg_preload_length 0
		.amdhsa_user_sgpr_kernarg_preload_offset 0
		.amdhsa_user_sgpr_private_segment_size 0
		.amdhsa_uses_dynamic_stack 0
		.amdhsa_enable_private_segment 0
		.amdhsa_system_sgpr_workgroup_id_x 1
		.amdhsa_system_sgpr_workgroup_id_y 0
		.amdhsa_system_sgpr_workgroup_id_z 0
		.amdhsa_system_sgpr_workgroup_info 0
		.amdhsa_system_vgpr_workitem_id 0
		.amdhsa_next_free_vgpr 1
		.amdhsa_next_free_sgpr 0
		.amdhsa_accum_offset 4
		.amdhsa_reserve_vcc 0
		.amdhsa_float_round_mode_32 0
		.amdhsa_float_round_mode_16_64 0
		.amdhsa_float_denorm_mode_32 3
		.amdhsa_float_denorm_mode_16_64 3
		.amdhsa_dx10_clamp 1
		.amdhsa_ieee_mode 1
		.amdhsa_fp16_overflow 0
		.amdhsa_tg_split 0
		.amdhsa_exception_fp_ieee_invalid_op 0
		.amdhsa_exception_fp_denorm_src 0
		.amdhsa_exception_fp_ieee_div_zero 0
		.amdhsa_exception_fp_ieee_overflow 0
		.amdhsa_exception_fp_ieee_underflow 0
		.amdhsa_exception_fp_ieee_inexact 0
		.amdhsa_exception_int_div_zero 0
	.end_amdhsa_kernel
	.section	.text._ZN7rocprim17ROCPRIM_400000_NS6detail17trampoline_kernelINS0_14default_configENS1_38merge_sort_block_merge_config_selectorIlNS0_10empty_typeEEEZZNS1_27merge_sort_block_merge_implIS3_PlPS5_mZN2at6native12_GLOBAL__N_124unique_dim_cuda_templateIN3c104HalfEEESt5tupleIJNSA_6TensorESH_SH_EERKSH_lbbbEUlllE_EE10hipError_tT0_T1_T2_jT3_P12ihipStream_tbPNSt15iterator_traitsISN_E10value_typeEPNST_ISO_E10value_typeEPSP_NS1_7vsmem_tEENKUlT_SN_SO_SP_E_clIS8_S8_S9_S9_EESM_S12_SN_SO_SP_EUlS12_E_NS1_11comp_targetILNS1_3genE2ELNS1_11target_archE906ELNS1_3gpuE6ELNS1_3repE0EEENS1_48merge_mergepath_partition_config_static_selectorELNS0_4arch9wavefront6targetE1EEEvSO_,"axG",@progbits,_ZN7rocprim17ROCPRIM_400000_NS6detail17trampoline_kernelINS0_14default_configENS1_38merge_sort_block_merge_config_selectorIlNS0_10empty_typeEEEZZNS1_27merge_sort_block_merge_implIS3_PlPS5_mZN2at6native12_GLOBAL__N_124unique_dim_cuda_templateIN3c104HalfEEESt5tupleIJNSA_6TensorESH_SH_EERKSH_lbbbEUlllE_EE10hipError_tT0_T1_T2_jT3_P12ihipStream_tbPNSt15iterator_traitsISN_E10value_typeEPNST_ISO_E10value_typeEPSP_NS1_7vsmem_tEENKUlT_SN_SO_SP_E_clIS8_S8_S9_S9_EESM_S12_SN_SO_SP_EUlS12_E_NS1_11comp_targetILNS1_3genE2ELNS1_11target_archE906ELNS1_3gpuE6ELNS1_3repE0EEENS1_48merge_mergepath_partition_config_static_selectorELNS0_4arch9wavefront6targetE1EEEvSO_,comdat
.Lfunc_end1253:
	.size	_ZN7rocprim17ROCPRIM_400000_NS6detail17trampoline_kernelINS0_14default_configENS1_38merge_sort_block_merge_config_selectorIlNS0_10empty_typeEEEZZNS1_27merge_sort_block_merge_implIS3_PlPS5_mZN2at6native12_GLOBAL__N_124unique_dim_cuda_templateIN3c104HalfEEESt5tupleIJNSA_6TensorESH_SH_EERKSH_lbbbEUlllE_EE10hipError_tT0_T1_T2_jT3_P12ihipStream_tbPNSt15iterator_traitsISN_E10value_typeEPNST_ISO_E10value_typeEPSP_NS1_7vsmem_tEENKUlT_SN_SO_SP_E_clIS8_S8_S9_S9_EESM_S12_SN_SO_SP_EUlS12_E_NS1_11comp_targetILNS1_3genE2ELNS1_11target_archE906ELNS1_3gpuE6ELNS1_3repE0EEENS1_48merge_mergepath_partition_config_static_selectorELNS0_4arch9wavefront6targetE1EEEvSO_, .Lfunc_end1253-_ZN7rocprim17ROCPRIM_400000_NS6detail17trampoline_kernelINS0_14default_configENS1_38merge_sort_block_merge_config_selectorIlNS0_10empty_typeEEEZZNS1_27merge_sort_block_merge_implIS3_PlPS5_mZN2at6native12_GLOBAL__N_124unique_dim_cuda_templateIN3c104HalfEEESt5tupleIJNSA_6TensorESH_SH_EERKSH_lbbbEUlllE_EE10hipError_tT0_T1_T2_jT3_P12ihipStream_tbPNSt15iterator_traitsISN_E10value_typeEPNST_ISO_E10value_typeEPSP_NS1_7vsmem_tEENKUlT_SN_SO_SP_E_clIS8_S8_S9_S9_EESM_S12_SN_SO_SP_EUlS12_E_NS1_11comp_targetILNS1_3genE2ELNS1_11target_archE906ELNS1_3gpuE6ELNS1_3repE0EEENS1_48merge_mergepath_partition_config_static_selectorELNS0_4arch9wavefront6targetE1EEEvSO_
                                        ; -- End function
	.set _ZN7rocprim17ROCPRIM_400000_NS6detail17trampoline_kernelINS0_14default_configENS1_38merge_sort_block_merge_config_selectorIlNS0_10empty_typeEEEZZNS1_27merge_sort_block_merge_implIS3_PlPS5_mZN2at6native12_GLOBAL__N_124unique_dim_cuda_templateIN3c104HalfEEESt5tupleIJNSA_6TensorESH_SH_EERKSH_lbbbEUlllE_EE10hipError_tT0_T1_T2_jT3_P12ihipStream_tbPNSt15iterator_traitsISN_E10value_typeEPNST_ISO_E10value_typeEPSP_NS1_7vsmem_tEENKUlT_SN_SO_SP_E_clIS8_S8_S9_S9_EESM_S12_SN_SO_SP_EUlS12_E_NS1_11comp_targetILNS1_3genE2ELNS1_11target_archE906ELNS1_3gpuE6ELNS1_3repE0EEENS1_48merge_mergepath_partition_config_static_selectorELNS0_4arch9wavefront6targetE1EEEvSO_.num_vgpr, 0
	.set _ZN7rocprim17ROCPRIM_400000_NS6detail17trampoline_kernelINS0_14default_configENS1_38merge_sort_block_merge_config_selectorIlNS0_10empty_typeEEEZZNS1_27merge_sort_block_merge_implIS3_PlPS5_mZN2at6native12_GLOBAL__N_124unique_dim_cuda_templateIN3c104HalfEEESt5tupleIJNSA_6TensorESH_SH_EERKSH_lbbbEUlllE_EE10hipError_tT0_T1_T2_jT3_P12ihipStream_tbPNSt15iterator_traitsISN_E10value_typeEPNST_ISO_E10value_typeEPSP_NS1_7vsmem_tEENKUlT_SN_SO_SP_E_clIS8_S8_S9_S9_EESM_S12_SN_SO_SP_EUlS12_E_NS1_11comp_targetILNS1_3genE2ELNS1_11target_archE906ELNS1_3gpuE6ELNS1_3repE0EEENS1_48merge_mergepath_partition_config_static_selectorELNS0_4arch9wavefront6targetE1EEEvSO_.num_agpr, 0
	.set _ZN7rocprim17ROCPRIM_400000_NS6detail17trampoline_kernelINS0_14default_configENS1_38merge_sort_block_merge_config_selectorIlNS0_10empty_typeEEEZZNS1_27merge_sort_block_merge_implIS3_PlPS5_mZN2at6native12_GLOBAL__N_124unique_dim_cuda_templateIN3c104HalfEEESt5tupleIJNSA_6TensorESH_SH_EERKSH_lbbbEUlllE_EE10hipError_tT0_T1_T2_jT3_P12ihipStream_tbPNSt15iterator_traitsISN_E10value_typeEPNST_ISO_E10value_typeEPSP_NS1_7vsmem_tEENKUlT_SN_SO_SP_E_clIS8_S8_S9_S9_EESM_S12_SN_SO_SP_EUlS12_E_NS1_11comp_targetILNS1_3genE2ELNS1_11target_archE906ELNS1_3gpuE6ELNS1_3repE0EEENS1_48merge_mergepath_partition_config_static_selectorELNS0_4arch9wavefront6targetE1EEEvSO_.numbered_sgpr, 0
	.set _ZN7rocprim17ROCPRIM_400000_NS6detail17trampoline_kernelINS0_14default_configENS1_38merge_sort_block_merge_config_selectorIlNS0_10empty_typeEEEZZNS1_27merge_sort_block_merge_implIS3_PlPS5_mZN2at6native12_GLOBAL__N_124unique_dim_cuda_templateIN3c104HalfEEESt5tupleIJNSA_6TensorESH_SH_EERKSH_lbbbEUlllE_EE10hipError_tT0_T1_T2_jT3_P12ihipStream_tbPNSt15iterator_traitsISN_E10value_typeEPNST_ISO_E10value_typeEPSP_NS1_7vsmem_tEENKUlT_SN_SO_SP_E_clIS8_S8_S9_S9_EESM_S12_SN_SO_SP_EUlS12_E_NS1_11comp_targetILNS1_3genE2ELNS1_11target_archE906ELNS1_3gpuE6ELNS1_3repE0EEENS1_48merge_mergepath_partition_config_static_selectorELNS0_4arch9wavefront6targetE1EEEvSO_.num_named_barrier, 0
	.set _ZN7rocprim17ROCPRIM_400000_NS6detail17trampoline_kernelINS0_14default_configENS1_38merge_sort_block_merge_config_selectorIlNS0_10empty_typeEEEZZNS1_27merge_sort_block_merge_implIS3_PlPS5_mZN2at6native12_GLOBAL__N_124unique_dim_cuda_templateIN3c104HalfEEESt5tupleIJNSA_6TensorESH_SH_EERKSH_lbbbEUlllE_EE10hipError_tT0_T1_T2_jT3_P12ihipStream_tbPNSt15iterator_traitsISN_E10value_typeEPNST_ISO_E10value_typeEPSP_NS1_7vsmem_tEENKUlT_SN_SO_SP_E_clIS8_S8_S9_S9_EESM_S12_SN_SO_SP_EUlS12_E_NS1_11comp_targetILNS1_3genE2ELNS1_11target_archE906ELNS1_3gpuE6ELNS1_3repE0EEENS1_48merge_mergepath_partition_config_static_selectorELNS0_4arch9wavefront6targetE1EEEvSO_.private_seg_size, 0
	.set _ZN7rocprim17ROCPRIM_400000_NS6detail17trampoline_kernelINS0_14default_configENS1_38merge_sort_block_merge_config_selectorIlNS0_10empty_typeEEEZZNS1_27merge_sort_block_merge_implIS3_PlPS5_mZN2at6native12_GLOBAL__N_124unique_dim_cuda_templateIN3c104HalfEEESt5tupleIJNSA_6TensorESH_SH_EERKSH_lbbbEUlllE_EE10hipError_tT0_T1_T2_jT3_P12ihipStream_tbPNSt15iterator_traitsISN_E10value_typeEPNST_ISO_E10value_typeEPSP_NS1_7vsmem_tEENKUlT_SN_SO_SP_E_clIS8_S8_S9_S9_EESM_S12_SN_SO_SP_EUlS12_E_NS1_11comp_targetILNS1_3genE2ELNS1_11target_archE906ELNS1_3gpuE6ELNS1_3repE0EEENS1_48merge_mergepath_partition_config_static_selectorELNS0_4arch9wavefront6targetE1EEEvSO_.uses_vcc, 0
	.set _ZN7rocprim17ROCPRIM_400000_NS6detail17trampoline_kernelINS0_14default_configENS1_38merge_sort_block_merge_config_selectorIlNS0_10empty_typeEEEZZNS1_27merge_sort_block_merge_implIS3_PlPS5_mZN2at6native12_GLOBAL__N_124unique_dim_cuda_templateIN3c104HalfEEESt5tupleIJNSA_6TensorESH_SH_EERKSH_lbbbEUlllE_EE10hipError_tT0_T1_T2_jT3_P12ihipStream_tbPNSt15iterator_traitsISN_E10value_typeEPNST_ISO_E10value_typeEPSP_NS1_7vsmem_tEENKUlT_SN_SO_SP_E_clIS8_S8_S9_S9_EESM_S12_SN_SO_SP_EUlS12_E_NS1_11comp_targetILNS1_3genE2ELNS1_11target_archE906ELNS1_3gpuE6ELNS1_3repE0EEENS1_48merge_mergepath_partition_config_static_selectorELNS0_4arch9wavefront6targetE1EEEvSO_.uses_flat_scratch, 0
	.set _ZN7rocprim17ROCPRIM_400000_NS6detail17trampoline_kernelINS0_14default_configENS1_38merge_sort_block_merge_config_selectorIlNS0_10empty_typeEEEZZNS1_27merge_sort_block_merge_implIS3_PlPS5_mZN2at6native12_GLOBAL__N_124unique_dim_cuda_templateIN3c104HalfEEESt5tupleIJNSA_6TensorESH_SH_EERKSH_lbbbEUlllE_EE10hipError_tT0_T1_T2_jT3_P12ihipStream_tbPNSt15iterator_traitsISN_E10value_typeEPNST_ISO_E10value_typeEPSP_NS1_7vsmem_tEENKUlT_SN_SO_SP_E_clIS8_S8_S9_S9_EESM_S12_SN_SO_SP_EUlS12_E_NS1_11comp_targetILNS1_3genE2ELNS1_11target_archE906ELNS1_3gpuE6ELNS1_3repE0EEENS1_48merge_mergepath_partition_config_static_selectorELNS0_4arch9wavefront6targetE1EEEvSO_.has_dyn_sized_stack, 0
	.set _ZN7rocprim17ROCPRIM_400000_NS6detail17trampoline_kernelINS0_14default_configENS1_38merge_sort_block_merge_config_selectorIlNS0_10empty_typeEEEZZNS1_27merge_sort_block_merge_implIS3_PlPS5_mZN2at6native12_GLOBAL__N_124unique_dim_cuda_templateIN3c104HalfEEESt5tupleIJNSA_6TensorESH_SH_EERKSH_lbbbEUlllE_EE10hipError_tT0_T1_T2_jT3_P12ihipStream_tbPNSt15iterator_traitsISN_E10value_typeEPNST_ISO_E10value_typeEPSP_NS1_7vsmem_tEENKUlT_SN_SO_SP_E_clIS8_S8_S9_S9_EESM_S12_SN_SO_SP_EUlS12_E_NS1_11comp_targetILNS1_3genE2ELNS1_11target_archE906ELNS1_3gpuE6ELNS1_3repE0EEENS1_48merge_mergepath_partition_config_static_selectorELNS0_4arch9wavefront6targetE1EEEvSO_.has_recursion, 0
	.set _ZN7rocprim17ROCPRIM_400000_NS6detail17trampoline_kernelINS0_14default_configENS1_38merge_sort_block_merge_config_selectorIlNS0_10empty_typeEEEZZNS1_27merge_sort_block_merge_implIS3_PlPS5_mZN2at6native12_GLOBAL__N_124unique_dim_cuda_templateIN3c104HalfEEESt5tupleIJNSA_6TensorESH_SH_EERKSH_lbbbEUlllE_EE10hipError_tT0_T1_T2_jT3_P12ihipStream_tbPNSt15iterator_traitsISN_E10value_typeEPNST_ISO_E10value_typeEPSP_NS1_7vsmem_tEENKUlT_SN_SO_SP_E_clIS8_S8_S9_S9_EESM_S12_SN_SO_SP_EUlS12_E_NS1_11comp_targetILNS1_3genE2ELNS1_11target_archE906ELNS1_3gpuE6ELNS1_3repE0EEENS1_48merge_mergepath_partition_config_static_selectorELNS0_4arch9wavefront6targetE1EEEvSO_.has_indirect_call, 0
	.section	.AMDGPU.csdata,"",@progbits
; Kernel info:
; codeLenInByte = 0
; TotalNumSgprs: 6
; NumVgprs: 0
; NumAgprs: 0
; TotalNumVgprs: 0
; ScratchSize: 0
; MemoryBound: 0
; FloatMode: 240
; IeeeMode: 1
; LDSByteSize: 0 bytes/workgroup (compile time only)
; SGPRBlocks: 0
; VGPRBlocks: 0
; NumSGPRsForWavesPerEU: 6
; NumVGPRsForWavesPerEU: 1
; AccumOffset: 4
; Occupancy: 8
; WaveLimiterHint : 0
; COMPUTE_PGM_RSRC2:SCRATCH_EN: 0
; COMPUTE_PGM_RSRC2:USER_SGPR: 2
; COMPUTE_PGM_RSRC2:TRAP_HANDLER: 0
; COMPUTE_PGM_RSRC2:TGID_X_EN: 1
; COMPUTE_PGM_RSRC2:TGID_Y_EN: 0
; COMPUTE_PGM_RSRC2:TGID_Z_EN: 0
; COMPUTE_PGM_RSRC2:TIDIG_COMP_CNT: 0
; COMPUTE_PGM_RSRC3_GFX90A:ACCUM_OFFSET: 0
; COMPUTE_PGM_RSRC3_GFX90A:TG_SPLIT: 0
	.section	.text._ZN7rocprim17ROCPRIM_400000_NS6detail17trampoline_kernelINS0_14default_configENS1_38merge_sort_block_merge_config_selectorIlNS0_10empty_typeEEEZZNS1_27merge_sort_block_merge_implIS3_PlPS5_mZN2at6native12_GLOBAL__N_124unique_dim_cuda_templateIN3c104HalfEEESt5tupleIJNSA_6TensorESH_SH_EERKSH_lbbbEUlllE_EE10hipError_tT0_T1_T2_jT3_P12ihipStream_tbPNSt15iterator_traitsISN_E10value_typeEPNST_ISO_E10value_typeEPSP_NS1_7vsmem_tEENKUlT_SN_SO_SP_E_clIS8_S8_S9_S9_EESM_S12_SN_SO_SP_EUlS12_E_NS1_11comp_targetILNS1_3genE9ELNS1_11target_archE1100ELNS1_3gpuE3ELNS1_3repE0EEENS1_48merge_mergepath_partition_config_static_selectorELNS0_4arch9wavefront6targetE1EEEvSO_,"axG",@progbits,_ZN7rocprim17ROCPRIM_400000_NS6detail17trampoline_kernelINS0_14default_configENS1_38merge_sort_block_merge_config_selectorIlNS0_10empty_typeEEEZZNS1_27merge_sort_block_merge_implIS3_PlPS5_mZN2at6native12_GLOBAL__N_124unique_dim_cuda_templateIN3c104HalfEEESt5tupleIJNSA_6TensorESH_SH_EERKSH_lbbbEUlllE_EE10hipError_tT0_T1_T2_jT3_P12ihipStream_tbPNSt15iterator_traitsISN_E10value_typeEPNST_ISO_E10value_typeEPSP_NS1_7vsmem_tEENKUlT_SN_SO_SP_E_clIS8_S8_S9_S9_EESM_S12_SN_SO_SP_EUlS12_E_NS1_11comp_targetILNS1_3genE9ELNS1_11target_archE1100ELNS1_3gpuE3ELNS1_3repE0EEENS1_48merge_mergepath_partition_config_static_selectorELNS0_4arch9wavefront6targetE1EEEvSO_,comdat
	.globl	_ZN7rocprim17ROCPRIM_400000_NS6detail17trampoline_kernelINS0_14default_configENS1_38merge_sort_block_merge_config_selectorIlNS0_10empty_typeEEEZZNS1_27merge_sort_block_merge_implIS3_PlPS5_mZN2at6native12_GLOBAL__N_124unique_dim_cuda_templateIN3c104HalfEEESt5tupleIJNSA_6TensorESH_SH_EERKSH_lbbbEUlllE_EE10hipError_tT0_T1_T2_jT3_P12ihipStream_tbPNSt15iterator_traitsISN_E10value_typeEPNST_ISO_E10value_typeEPSP_NS1_7vsmem_tEENKUlT_SN_SO_SP_E_clIS8_S8_S9_S9_EESM_S12_SN_SO_SP_EUlS12_E_NS1_11comp_targetILNS1_3genE9ELNS1_11target_archE1100ELNS1_3gpuE3ELNS1_3repE0EEENS1_48merge_mergepath_partition_config_static_selectorELNS0_4arch9wavefront6targetE1EEEvSO_ ; -- Begin function _ZN7rocprim17ROCPRIM_400000_NS6detail17trampoline_kernelINS0_14default_configENS1_38merge_sort_block_merge_config_selectorIlNS0_10empty_typeEEEZZNS1_27merge_sort_block_merge_implIS3_PlPS5_mZN2at6native12_GLOBAL__N_124unique_dim_cuda_templateIN3c104HalfEEESt5tupleIJNSA_6TensorESH_SH_EERKSH_lbbbEUlllE_EE10hipError_tT0_T1_T2_jT3_P12ihipStream_tbPNSt15iterator_traitsISN_E10value_typeEPNST_ISO_E10value_typeEPSP_NS1_7vsmem_tEENKUlT_SN_SO_SP_E_clIS8_S8_S9_S9_EESM_S12_SN_SO_SP_EUlS12_E_NS1_11comp_targetILNS1_3genE9ELNS1_11target_archE1100ELNS1_3gpuE3ELNS1_3repE0EEENS1_48merge_mergepath_partition_config_static_selectorELNS0_4arch9wavefront6targetE1EEEvSO_
	.p2align	8
	.type	_ZN7rocprim17ROCPRIM_400000_NS6detail17trampoline_kernelINS0_14default_configENS1_38merge_sort_block_merge_config_selectorIlNS0_10empty_typeEEEZZNS1_27merge_sort_block_merge_implIS3_PlPS5_mZN2at6native12_GLOBAL__N_124unique_dim_cuda_templateIN3c104HalfEEESt5tupleIJNSA_6TensorESH_SH_EERKSH_lbbbEUlllE_EE10hipError_tT0_T1_T2_jT3_P12ihipStream_tbPNSt15iterator_traitsISN_E10value_typeEPNST_ISO_E10value_typeEPSP_NS1_7vsmem_tEENKUlT_SN_SO_SP_E_clIS8_S8_S9_S9_EESM_S12_SN_SO_SP_EUlS12_E_NS1_11comp_targetILNS1_3genE9ELNS1_11target_archE1100ELNS1_3gpuE3ELNS1_3repE0EEENS1_48merge_mergepath_partition_config_static_selectorELNS0_4arch9wavefront6targetE1EEEvSO_,@function
_ZN7rocprim17ROCPRIM_400000_NS6detail17trampoline_kernelINS0_14default_configENS1_38merge_sort_block_merge_config_selectorIlNS0_10empty_typeEEEZZNS1_27merge_sort_block_merge_implIS3_PlPS5_mZN2at6native12_GLOBAL__N_124unique_dim_cuda_templateIN3c104HalfEEESt5tupleIJNSA_6TensorESH_SH_EERKSH_lbbbEUlllE_EE10hipError_tT0_T1_T2_jT3_P12ihipStream_tbPNSt15iterator_traitsISN_E10value_typeEPNST_ISO_E10value_typeEPSP_NS1_7vsmem_tEENKUlT_SN_SO_SP_E_clIS8_S8_S9_S9_EESM_S12_SN_SO_SP_EUlS12_E_NS1_11comp_targetILNS1_3genE9ELNS1_11target_archE1100ELNS1_3gpuE3ELNS1_3repE0EEENS1_48merge_mergepath_partition_config_static_selectorELNS0_4arch9wavefront6targetE1EEEvSO_: ; @_ZN7rocprim17ROCPRIM_400000_NS6detail17trampoline_kernelINS0_14default_configENS1_38merge_sort_block_merge_config_selectorIlNS0_10empty_typeEEEZZNS1_27merge_sort_block_merge_implIS3_PlPS5_mZN2at6native12_GLOBAL__N_124unique_dim_cuda_templateIN3c104HalfEEESt5tupleIJNSA_6TensorESH_SH_EERKSH_lbbbEUlllE_EE10hipError_tT0_T1_T2_jT3_P12ihipStream_tbPNSt15iterator_traitsISN_E10value_typeEPNST_ISO_E10value_typeEPSP_NS1_7vsmem_tEENKUlT_SN_SO_SP_E_clIS8_S8_S9_S9_EESM_S12_SN_SO_SP_EUlS12_E_NS1_11comp_targetILNS1_3genE9ELNS1_11target_archE1100ELNS1_3gpuE3ELNS1_3repE0EEENS1_48merge_mergepath_partition_config_static_selectorELNS0_4arch9wavefront6targetE1EEEvSO_
; %bb.0:
	.section	.rodata,"a",@progbits
	.p2align	6, 0x0
	.amdhsa_kernel _ZN7rocprim17ROCPRIM_400000_NS6detail17trampoline_kernelINS0_14default_configENS1_38merge_sort_block_merge_config_selectorIlNS0_10empty_typeEEEZZNS1_27merge_sort_block_merge_implIS3_PlPS5_mZN2at6native12_GLOBAL__N_124unique_dim_cuda_templateIN3c104HalfEEESt5tupleIJNSA_6TensorESH_SH_EERKSH_lbbbEUlllE_EE10hipError_tT0_T1_T2_jT3_P12ihipStream_tbPNSt15iterator_traitsISN_E10value_typeEPNST_ISO_E10value_typeEPSP_NS1_7vsmem_tEENKUlT_SN_SO_SP_E_clIS8_S8_S9_S9_EESM_S12_SN_SO_SP_EUlS12_E_NS1_11comp_targetILNS1_3genE9ELNS1_11target_archE1100ELNS1_3gpuE3ELNS1_3repE0EEENS1_48merge_mergepath_partition_config_static_selectorELNS0_4arch9wavefront6targetE1EEEvSO_
		.amdhsa_group_segment_fixed_size 0
		.amdhsa_private_segment_fixed_size 0
		.amdhsa_kernarg_size 56
		.amdhsa_user_sgpr_count 2
		.amdhsa_user_sgpr_dispatch_ptr 0
		.amdhsa_user_sgpr_queue_ptr 0
		.amdhsa_user_sgpr_kernarg_segment_ptr 1
		.amdhsa_user_sgpr_dispatch_id 0
		.amdhsa_user_sgpr_kernarg_preload_length 0
		.amdhsa_user_sgpr_kernarg_preload_offset 0
		.amdhsa_user_sgpr_private_segment_size 0
		.amdhsa_uses_dynamic_stack 0
		.amdhsa_enable_private_segment 0
		.amdhsa_system_sgpr_workgroup_id_x 1
		.amdhsa_system_sgpr_workgroup_id_y 0
		.amdhsa_system_sgpr_workgroup_id_z 0
		.amdhsa_system_sgpr_workgroup_info 0
		.amdhsa_system_vgpr_workitem_id 0
		.amdhsa_next_free_vgpr 1
		.amdhsa_next_free_sgpr 0
		.amdhsa_accum_offset 4
		.amdhsa_reserve_vcc 0
		.amdhsa_float_round_mode_32 0
		.amdhsa_float_round_mode_16_64 0
		.amdhsa_float_denorm_mode_32 3
		.amdhsa_float_denorm_mode_16_64 3
		.amdhsa_dx10_clamp 1
		.amdhsa_ieee_mode 1
		.amdhsa_fp16_overflow 0
		.amdhsa_tg_split 0
		.amdhsa_exception_fp_ieee_invalid_op 0
		.amdhsa_exception_fp_denorm_src 0
		.amdhsa_exception_fp_ieee_div_zero 0
		.amdhsa_exception_fp_ieee_overflow 0
		.amdhsa_exception_fp_ieee_underflow 0
		.amdhsa_exception_fp_ieee_inexact 0
		.amdhsa_exception_int_div_zero 0
	.end_amdhsa_kernel
	.section	.text._ZN7rocprim17ROCPRIM_400000_NS6detail17trampoline_kernelINS0_14default_configENS1_38merge_sort_block_merge_config_selectorIlNS0_10empty_typeEEEZZNS1_27merge_sort_block_merge_implIS3_PlPS5_mZN2at6native12_GLOBAL__N_124unique_dim_cuda_templateIN3c104HalfEEESt5tupleIJNSA_6TensorESH_SH_EERKSH_lbbbEUlllE_EE10hipError_tT0_T1_T2_jT3_P12ihipStream_tbPNSt15iterator_traitsISN_E10value_typeEPNST_ISO_E10value_typeEPSP_NS1_7vsmem_tEENKUlT_SN_SO_SP_E_clIS8_S8_S9_S9_EESM_S12_SN_SO_SP_EUlS12_E_NS1_11comp_targetILNS1_3genE9ELNS1_11target_archE1100ELNS1_3gpuE3ELNS1_3repE0EEENS1_48merge_mergepath_partition_config_static_selectorELNS0_4arch9wavefront6targetE1EEEvSO_,"axG",@progbits,_ZN7rocprim17ROCPRIM_400000_NS6detail17trampoline_kernelINS0_14default_configENS1_38merge_sort_block_merge_config_selectorIlNS0_10empty_typeEEEZZNS1_27merge_sort_block_merge_implIS3_PlPS5_mZN2at6native12_GLOBAL__N_124unique_dim_cuda_templateIN3c104HalfEEESt5tupleIJNSA_6TensorESH_SH_EERKSH_lbbbEUlllE_EE10hipError_tT0_T1_T2_jT3_P12ihipStream_tbPNSt15iterator_traitsISN_E10value_typeEPNST_ISO_E10value_typeEPSP_NS1_7vsmem_tEENKUlT_SN_SO_SP_E_clIS8_S8_S9_S9_EESM_S12_SN_SO_SP_EUlS12_E_NS1_11comp_targetILNS1_3genE9ELNS1_11target_archE1100ELNS1_3gpuE3ELNS1_3repE0EEENS1_48merge_mergepath_partition_config_static_selectorELNS0_4arch9wavefront6targetE1EEEvSO_,comdat
.Lfunc_end1254:
	.size	_ZN7rocprim17ROCPRIM_400000_NS6detail17trampoline_kernelINS0_14default_configENS1_38merge_sort_block_merge_config_selectorIlNS0_10empty_typeEEEZZNS1_27merge_sort_block_merge_implIS3_PlPS5_mZN2at6native12_GLOBAL__N_124unique_dim_cuda_templateIN3c104HalfEEESt5tupleIJNSA_6TensorESH_SH_EERKSH_lbbbEUlllE_EE10hipError_tT0_T1_T2_jT3_P12ihipStream_tbPNSt15iterator_traitsISN_E10value_typeEPNST_ISO_E10value_typeEPSP_NS1_7vsmem_tEENKUlT_SN_SO_SP_E_clIS8_S8_S9_S9_EESM_S12_SN_SO_SP_EUlS12_E_NS1_11comp_targetILNS1_3genE9ELNS1_11target_archE1100ELNS1_3gpuE3ELNS1_3repE0EEENS1_48merge_mergepath_partition_config_static_selectorELNS0_4arch9wavefront6targetE1EEEvSO_, .Lfunc_end1254-_ZN7rocprim17ROCPRIM_400000_NS6detail17trampoline_kernelINS0_14default_configENS1_38merge_sort_block_merge_config_selectorIlNS0_10empty_typeEEEZZNS1_27merge_sort_block_merge_implIS3_PlPS5_mZN2at6native12_GLOBAL__N_124unique_dim_cuda_templateIN3c104HalfEEESt5tupleIJNSA_6TensorESH_SH_EERKSH_lbbbEUlllE_EE10hipError_tT0_T1_T2_jT3_P12ihipStream_tbPNSt15iterator_traitsISN_E10value_typeEPNST_ISO_E10value_typeEPSP_NS1_7vsmem_tEENKUlT_SN_SO_SP_E_clIS8_S8_S9_S9_EESM_S12_SN_SO_SP_EUlS12_E_NS1_11comp_targetILNS1_3genE9ELNS1_11target_archE1100ELNS1_3gpuE3ELNS1_3repE0EEENS1_48merge_mergepath_partition_config_static_selectorELNS0_4arch9wavefront6targetE1EEEvSO_
                                        ; -- End function
	.set _ZN7rocprim17ROCPRIM_400000_NS6detail17trampoline_kernelINS0_14default_configENS1_38merge_sort_block_merge_config_selectorIlNS0_10empty_typeEEEZZNS1_27merge_sort_block_merge_implIS3_PlPS5_mZN2at6native12_GLOBAL__N_124unique_dim_cuda_templateIN3c104HalfEEESt5tupleIJNSA_6TensorESH_SH_EERKSH_lbbbEUlllE_EE10hipError_tT0_T1_T2_jT3_P12ihipStream_tbPNSt15iterator_traitsISN_E10value_typeEPNST_ISO_E10value_typeEPSP_NS1_7vsmem_tEENKUlT_SN_SO_SP_E_clIS8_S8_S9_S9_EESM_S12_SN_SO_SP_EUlS12_E_NS1_11comp_targetILNS1_3genE9ELNS1_11target_archE1100ELNS1_3gpuE3ELNS1_3repE0EEENS1_48merge_mergepath_partition_config_static_selectorELNS0_4arch9wavefront6targetE1EEEvSO_.num_vgpr, 0
	.set _ZN7rocprim17ROCPRIM_400000_NS6detail17trampoline_kernelINS0_14default_configENS1_38merge_sort_block_merge_config_selectorIlNS0_10empty_typeEEEZZNS1_27merge_sort_block_merge_implIS3_PlPS5_mZN2at6native12_GLOBAL__N_124unique_dim_cuda_templateIN3c104HalfEEESt5tupleIJNSA_6TensorESH_SH_EERKSH_lbbbEUlllE_EE10hipError_tT0_T1_T2_jT3_P12ihipStream_tbPNSt15iterator_traitsISN_E10value_typeEPNST_ISO_E10value_typeEPSP_NS1_7vsmem_tEENKUlT_SN_SO_SP_E_clIS8_S8_S9_S9_EESM_S12_SN_SO_SP_EUlS12_E_NS1_11comp_targetILNS1_3genE9ELNS1_11target_archE1100ELNS1_3gpuE3ELNS1_3repE0EEENS1_48merge_mergepath_partition_config_static_selectorELNS0_4arch9wavefront6targetE1EEEvSO_.num_agpr, 0
	.set _ZN7rocprim17ROCPRIM_400000_NS6detail17trampoline_kernelINS0_14default_configENS1_38merge_sort_block_merge_config_selectorIlNS0_10empty_typeEEEZZNS1_27merge_sort_block_merge_implIS3_PlPS5_mZN2at6native12_GLOBAL__N_124unique_dim_cuda_templateIN3c104HalfEEESt5tupleIJNSA_6TensorESH_SH_EERKSH_lbbbEUlllE_EE10hipError_tT0_T1_T2_jT3_P12ihipStream_tbPNSt15iterator_traitsISN_E10value_typeEPNST_ISO_E10value_typeEPSP_NS1_7vsmem_tEENKUlT_SN_SO_SP_E_clIS8_S8_S9_S9_EESM_S12_SN_SO_SP_EUlS12_E_NS1_11comp_targetILNS1_3genE9ELNS1_11target_archE1100ELNS1_3gpuE3ELNS1_3repE0EEENS1_48merge_mergepath_partition_config_static_selectorELNS0_4arch9wavefront6targetE1EEEvSO_.numbered_sgpr, 0
	.set _ZN7rocprim17ROCPRIM_400000_NS6detail17trampoline_kernelINS0_14default_configENS1_38merge_sort_block_merge_config_selectorIlNS0_10empty_typeEEEZZNS1_27merge_sort_block_merge_implIS3_PlPS5_mZN2at6native12_GLOBAL__N_124unique_dim_cuda_templateIN3c104HalfEEESt5tupleIJNSA_6TensorESH_SH_EERKSH_lbbbEUlllE_EE10hipError_tT0_T1_T2_jT3_P12ihipStream_tbPNSt15iterator_traitsISN_E10value_typeEPNST_ISO_E10value_typeEPSP_NS1_7vsmem_tEENKUlT_SN_SO_SP_E_clIS8_S8_S9_S9_EESM_S12_SN_SO_SP_EUlS12_E_NS1_11comp_targetILNS1_3genE9ELNS1_11target_archE1100ELNS1_3gpuE3ELNS1_3repE0EEENS1_48merge_mergepath_partition_config_static_selectorELNS0_4arch9wavefront6targetE1EEEvSO_.num_named_barrier, 0
	.set _ZN7rocprim17ROCPRIM_400000_NS6detail17trampoline_kernelINS0_14default_configENS1_38merge_sort_block_merge_config_selectorIlNS0_10empty_typeEEEZZNS1_27merge_sort_block_merge_implIS3_PlPS5_mZN2at6native12_GLOBAL__N_124unique_dim_cuda_templateIN3c104HalfEEESt5tupleIJNSA_6TensorESH_SH_EERKSH_lbbbEUlllE_EE10hipError_tT0_T1_T2_jT3_P12ihipStream_tbPNSt15iterator_traitsISN_E10value_typeEPNST_ISO_E10value_typeEPSP_NS1_7vsmem_tEENKUlT_SN_SO_SP_E_clIS8_S8_S9_S9_EESM_S12_SN_SO_SP_EUlS12_E_NS1_11comp_targetILNS1_3genE9ELNS1_11target_archE1100ELNS1_3gpuE3ELNS1_3repE0EEENS1_48merge_mergepath_partition_config_static_selectorELNS0_4arch9wavefront6targetE1EEEvSO_.private_seg_size, 0
	.set _ZN7rocprim17ROCPRIM_400000_NS6detail17trampoline_kernelINS0_14default_configENS1_38merge_sort_block_merge_config_selectorIlNS0_10empty_typeEEEZZNS1_27merge_sort_block_merge_implIS3_PlPS5_mZN2at6native12_GLOBAL__N_124unique_dim_cuda_templateIN3c104HalfEEESt5tupleIJNSA_6TensorESH_SH_EERKSH_lbbbEUlllE_EE10hipError_tT0_T1_T2_jT3_P12ihipStream_tbPNSt15iterator_traitsISN_E10value_typeEPNST_ISO_E10value_typeEPSP_NS1_7vsmem_tEENKUlT_SN_SO_SP_E_clIS8_S8_S9_S9_EESM_S12_SN_SO_SP_EUlS12_E_NS1_11comp_targetILNS1_3genE9ELNS1_11target_archE1100ELNS1_3gpuE3ELNS1_3repE0EEENS1_48merge_mergepath_partition_config_static_selectorELNS0_4arch9wavefront6targetE1EEEvSO_.uses_vcc, 0
	.set _ZN7rocprim17ROCPRIM_400000_NS6detail17trampoline_kernelINS0_14default_configENS1_38merge_sort_block_merge_config_selectorIlNS0_10empty_typeEEEZZNS1_27merge_sort_block_merge_implIS3_PlPS5_mZN2at6native12_GLOBAL__N_124unique_dim_cuda_templateIN3c104HalfEEESt5tupleIJNSA_6TensorESH_SH_EERKSH_lbbbEUlllE_EE10hipError_tT0_T1_T2_jT3_P12ihipStream_tbPNSt15iterator_traitsISN_E10value_typeEPNST_ISO_E10value_typeEPSP_NS1_7vsmem_tEENKUlT_SN_SO_SP_E_clIS8_S8_S9_S9_EESM_S12_SN_SO_SP_EUlS12_E_NS1_11comp_targetILNS1_3genE9ELNS1_11target_archE1100ELNS1_3gpuE3ELNS1_3repE0EEENS1_48merge_mergepath_partition_config_static_selectorELNS0_4arch9wavefront6targetE1EEEvSO_.uses_flat_scratch, 0
	.set _ZN7rocprim17ROCPRIM_400000_NS6detail17trampoline_kernelINS0_14default_configENS1_38merge_sort_block_merge_config_selectorIlNS0_10empty_typeEEEZZNS1_27merge_sort_block_merge_implIS3_PlPS5_mZN2at6native12_GLOBAL__N_124unique_dim_cuda_templateIN3c104HalfEEESt5tupleIJNSA_6TensorESH_SH_EERKSH_lbbbEUlllE_EE10hipError_tT0_T1_T2_jT3_P12ihipStream_tbPNSt15iterator_traitsISN_E10value_typeEPNST_ISO_E10value_typeEPSP_NS1_7vsmem_tEENKUlT_SN_SO_SP_E_clIS8_S8_S9_S9_EESM_S12_SN_SO_SP_EUlS12_E_NS1_11comp_targetILNS1_3genE9ELNS1_11target_archE1100ELNS1_3gpuE3ELNS1_3repE0EEENS1_48merge_mergepath_partition_config_static_selectorELNS0_4arch9wavefront6targetE1EEEvSO_.has_dyn_sized_stack, 0
	.set _ZN7rocprim17ROCPRIM_400000_NS6detail17trampoline_kernelINS0_14default_configENS1_38merge_sort_block_merge_config_selectorIlNS0_10empty_typeEEEZZNS1_27merge_sort_block_merge_implIS3_PlPS5_mZN2at6native12_GLOBAL__N_124unique_dim_cuda_templateIN3c104HalfEEESt5tupleIJNSA_6TensorESH_SH_EERKSH_lbbbEUlllE_EE10hipError_tT0_T1_T2_jT3_P12ihipStream_tbPNSt15iterator_traitsISN_E10value_typeEPNST_ISO_E10value_typeEPSP_NS1_7vsmem_tEENKUlT_SN_SO_SP_E_clIS8_S8_S9_S9_EESM_S12_SN_SO_SP_EUlS12_E_NS1_11comp_targetILNS1_3genE9ELNS1_11target_archE1100ELNS1_3gpuE3ELNS1_3repE0EEENS1_48merge_mergepath_partition_config_static_selectorELNS0_4arch9wavefront6targetE1EEEvSO_.has_recursion, 0
	.set _ZN7rocprim17ROCPRIM_400000_NS6detail17trampoline_kernelINS0_14default_configENS1_38merge_sort_block_merge_config_selectorIlNS0_10empty_typeEEEZZNS1_27merge_sort_block_merge_implIS3_PlPS5_mZN2at6native12_GLOBAL__N_124unique_dim_cuda_templateIN3c104HalfEEESt5tupleIJNSA_6TensorESH_SH_EERKSH_lbbbEUlllE_EE10hipError_tT0_T1_T2_jT3_P12ihipStream_tbPNSt15iterator_traitsISN_E10value_typeEPNST_ISO_E10value_typeEPSP_NS1_7vsmem_tEENKUlT_SN_SO_SP_E_clIS8_S8_S9_S9_EESM_S12_SN_SO_SP_EUlS12_E_NS1_11comp_targetILNS1_3genE9ELNS1_11target_archE1100ELNS1_3gpuE3ELNS1_3repE0EEENS1_48merge_mergepath_partition_config_static_selectorELNS0_4arch9wavefront6targetE1EEEvSO_.has_indirect_call, 0
	.section	.AMDGPU.csdata,"",@progbits
; Kernel info:
; codeLenInByte = 0
; TotalNumSgprs: 6
; NumVgprs: 0
; NumAgprs: 0
; TotalNumVgprs: 0
; ScratchSize: 0
; MemoryBound: 0
; FloatMode: 240
; IeeeMode: 1
; LDSByteSize: 0 bytes/workgroup (compile time only)
; SGPRBlocks: 0
; VGPRBlocks: 0
; NumSGPRsForWavesPerEU: 6
; NumVGPRsForWavesPerEU: 1
; AccumOffset: 4
; Occupancy: 8
; WaveLimiterHint : 0
; COMPUTE_PGM_RSRC2:SCRATCH_EN: 0
; COMPUTE_PGM_RSRC2:USER_SGPR: 2
; COMPUTE_PGM_RSRC2:TRAP_HANDLER: 0
; COMPUTE_PGM_RSRC2:TGID_X_EN: 1
; COMPUTE_PGM_RSRC2:TGID_Y_EN: 0
; COMPUTE_PGM_RSRC2:TGID_Z_EN: 0
; COMPUTE_PGM_RSRC2:TIDIG_COMP_CNT: 0
; COMPUTE_PGM_RSRC3_GFX90A:ACCUM_OFFSET: 0
; COMPUTE_PGM_RSRC3_GFX90A:TG_SPLIT: 0
	.section	.text._ZN7rocprim17ROCPRIM_400000_NS6detail17trampoline_kernelINS0_14default_configENS1_38merge_sort_block_merge_config_selectorIlNS0_10empty_typeEEEZZNS1_27merge_sort_block_merge_implIS3_PlPS5_mZN2at6native12_GLOBAL__N_124unique_dim_cuda_templateIN3c104HalfEEESt5tupleIJNSA_6TensorESH_SH_EERKSH_lbbbEUlllE_EE10hipError_tT0_T1_T2_jT3_P12ihipStream_tbPNSt15iterator_traitsISN_E10value_typeEPNST_ISO_E10value_typeEPSP_NS1_7vsmem_tEENKUlT_SN_SO_SP_E_clIS8_S8_S9_S9_EESM_S12_SN_SO_SP_EUlS12_E_NS1_11comp_targetILNS1_3genE8ELNS1_11target_archE1030ELNS1_3gpuE2ELNS1_3repE0EEENS1_48merge_mergepath_partition_config_static_selectorELNS0_4arch9wavefront6targetE1EEEvSO_,"axG",@progbits,_ZN7rocprim17ROCPRIM_400000_NS6detail17trampoline_kernelINS0_14default_configENS1_38merge_sort_block_merge_config_selectorIlNS0_10empty_typeEEEZZNS1_27merge_sort_block_merge_implIS3_PlPS5_mZN2at6native12_GLOBAL__N_124unique_dim_cuda_templateIN3c104HalfEEESt5tupleIJNSA_6TensorESH_SH_EERKSH_lbbbEUlllE_EE10hipError_tT0_T1_T2_jT3_P12ihipStream_tbPNSt15iterator_traitsISN_E10value_typeEPNST_ISO_E10value_typeEPSP_NS1_7vsmem_tEENKUlT_SN_SO_SP_E_clIS8_S8_S9_S9_EESM_S12_SN_SO_SP_EUlS12_E_NS1_11comp_targetILNS1_3genE8ELNS1_11target_archE1030ELNS1_3gpuE2ELNS1_3repE0EEENS1_48merge_mergepath_partition_config_static_selectorELNS0_4arch9wavefront6targetE1EEEvSO_,comdat
	.globl	_ZN7rocprim17ROCPRIM_400000_NS6detail17trampoline_kernelINS0_14default_configENS1_38merge_sort_block_merge_config_selectorIlNS0_10empty_typeEEEZZNS1_27merge_sort_block_merge_implIS3_PlPS5_mZN2at6native12_GLOBAL__N_124unique_dim_cuda_templateIN3c104HalfEEESt5tupleIJNSA_6TensorESH_SH_EERKSH_lbbbEUlllE_EE10hipError_tT0_T1_T2_jT3_P12ihipStream_tbPNSt15iterator_traitsISN_E10value_typeEPNST_ISO_E10value_typeEPSP_NS1_7vsmem_tEENKUlT_SN_SO_SP_E_clIS8_S8_S9_S9_EESM_S12_SN_SO_SP_EUlS12_E_NS1_11comp_targetILNS1_3genE8ELNS1_11target_archE1030ELNS1_3gpuE2ELNS1_3repE0EEENS1_48merge_mergepath_partition_config_static_selectorELNS0_4arch9wavefront6targetE1EEEvSO_ ; -- Begin function _ZN7rocprim17ROCPRIM_400000_NS6detail17trampoline_kernelINS0_14default_configENS1_38merge_sort_block_merge_config_selectorIlNS0_10empty_typeEEEZZNS1_27merge_sort_block_merge_implIS3_PlPS5_mZN2at6native12_GLOBAL__N_124unique_dim_cuda_templateIN3c104HalfEEESt5tupleIJNSA_6TensorESH_SH_EERKSH_lbbbEUlllE_EE10hipError_tT0_T1_T2_jT3_P12ihipStream_tbPNSt15iterator_traitsISN_E10value_typeEPNST_ISO_E10value_typeEPSP_NS1_7vsmem_tEENKUlT_SN_SO_SP_E_clIS8_S8_S9_S9_EESM_S12_SN_SO_SP_EUlS12_E_NS1_11comp_targetILNS1_3genE8ELNS1_11target_archE1030ELNS1_3gpuE2ELNS1_3repE0EEENS1_48merge_mergepath_partition_config_static_selectorELNS0_4arch9wavefront6targetE1EEEvSO_
	.p2align	8
	.type	_ZN7rocprim17ROCPRIM_400000_NS6detail17trampoline_kernelINS0_14default_configENS1_38merge_sort_block_merge_config_selectorIlNS0_10empty_typeEEEZZNS1_27merge_sort_block_merge_implIS3_PlPS5_mZN2at6native12_GLOBAL__N_124unique_dim_cuda_templateIN3c104HalfEEESt5tupleIJNSA_6TensorESH_SH_EERKSH_lbbbEUlllE_EE10hipError_tT0_T1_T2_jT3_P12ihipStream_tbPNSt15iterator_traitsISN_E10value_typeEPNST_ISO_E10value_typeEPSP_NS1_7vsmem_tEENKUlT_SN_SO_SP_E_clIS8_S8_S9_S9_EESM_S12_SN_SO_SP_EUlS12_E_NS1_11comp_targetILNS1_3genE8ELNS1_11target_archE1030ELNS1_3gpuE2ELNS1_3repE0EEENS1_48merge_mergepath_partition_config_static_selectorELNS0_4arch9wavefront6targetE1EEEvSO_,@function
_ZN7rocprim17ROCPRIM_400000_NS6detail17trampoline_kernelINS0_14default_configENS1_38merge_sort_block_merge_config_selectorIlNS0_10empty_typeEEEZZNS1_27merge_sort_block_merge_implIS3_PlPS5_mZN2at6native12_GLOBAL__N_124unique_dim_cuda_templateIN3c104HalfEEESt5tupleIJNSA_6TensorESH_SH_EERKSH_lbbbEUlllE_EE10hipError_tT0_T1_T2_jT3_P12ihipStream_tbPNSt15iterator_traitsISN_E10value_typeEPNST_ISO_E10value_typeEPSP_NS1_7vsmem_tEENKUlT_SN_SO_SP_E_clIS8_S8_S9_S9_EESM_S12_SN_SO_SP_EUlS12_E_NS1_11comp_targetILNS1_3genE8ELNS1_11target_archE1030ELNS1_3gpuE2ELNS1_3repE0EEENS1_48merge_mergepath_partition_config_static_selectorELNS0_4arch9wavefront6targetE1EEEvSO_: ; @_ZN7rocprim17ROCPRIM_400000_NS6detail17trampoline_kernelINS0_14default_configENS1_38merge_sort_block_merge_config_selectorIlNS0_10empty_typeEEEZZNS1_27merge_sort_block_merge_implIS3_PlPS5_mZN2at6native12_GLOBAL__N_124unique_dim_cuda_templateIN3c104HalfEEESt5tupleIJNSA_6TensorESH_SH_EERKSH_lbbbEUlllE_EE10hipError_tT0_T1_T2_jT3_P12ihipStream_tbPNSt15iterator_traitsISN_E10value_typeEPNST_ISO_E10value_typeEPSP_NS1_7vsmem_tEENKUlT_SN_SO_SP_E_clIS8_S8_S9_S9_EESM_S12_SN_SO_SP_EUlS12_E_NS1_11comp_targetILNS1_3genE8ELNS1_11target_archE1030ELNS1_3gpuE2ELNS1_3repE0EEENS1_48merge_mergepath_partition_config_static_selectorELNS0_4arch9wavefront6targetE1EEEvSO_
; %bb.0:
	.section	.rodata,"a",@progbits
	.p2align	6, 0x0
	.amdhsa_kernel _ZN7rocprim17ROCPRIM_400000_NS6detail17trampoline_kernelINS0_14default_configENS1_38merge_sort_block_merge_config_selectorIlNS0_10empty_typeEEEZZNS1_27merge_sort_block_merge_implIS3_PlPS5_mZN2at6native12_GLOBAL__N_124unique_dim_cuda_templateIN3c104HalfEEESt5tupleIJNSA_6TensorESH_SH_EERKSH_lbbbEUlllE_EE10hipError_tT0_T1_T2_jT3_P12ihipStream_tbPNSt15iterator_traitsISN_E10value_typeEPNST_ISO_E10value_typeEPSP_NS1_7vsmem_tEENKUlT_SN_SO_SP_E_clIS8_S8_S9_S9_EESM_S12_SN_SO_SP_EUlS12_E_NS1_11comp_targetILNS1_3genE8ELNS1_11target_archE1030ELNS1_3gpuE2ELNS1_3repE0EEENS1_48merge_mergepath_partition_config_static_selectorELNS0_4arch9wavefront6targetE1EEEvSO_
		.amdhsa_group_segment_fixed_size 0
		.amdhsa_private_segment_fixed_size 0
		.amdhsa_kernarg_size 56
		.amdhsa_user_sgpr_count 2
		.amdhsa_user_sgpr_dispatch_ptr 0
		.amdhsa_user_sgpr_queue_ptr 0
		.amdhsa_user_sgpr_kernarg_segment_ptr 1
		.amdhsa_user_sgpr_dispatch_id 0
		.amdhsa_user_sgpr_kernarg_preload_length 0
		.amdhsa_user_sgpr_kernarg_preload_offset 0
		.amdhsa_user_sgpr_private_segment_size 0
		.amdhsa_uses_dynamic_stack 0
		.amdhsa_enable_private_segment 0
		.amdhsa_system_sgpr_workgroup_id_x 1
		.amdhsa_system_sgpr_workgroup_id_y 0
		.amdhsa_system_sgpr_workgroup_id_z 0
		.amdhsa_system_sgpr_workgroup_info 0
		.amdhsa_system_vgpr_workitem_id 0
		.amdhsa_next_free_vgpr 1
		.amdhsa_next_free_sgpr 0
		.amdhsa_accum_offset 4
		.amdhsa_reserve_vcc 0
		.amdhsa_float_round_mode_32 0
		.amdhsa_float_round_mode_16_64 0
		.amdhsa_float_denorm_mode_32 3
		.amdhsa_float_denorm_mode_16_64 3
		.amdhsa_dx10_clamp 1
		.amdhsa_ieee_mode 1
		.amdhsa_fp16_overflow 0
		.amdhsa_tg_split 0
		.amdhsa_exception_fp_ieee_invalid_op 0
		.amdhsa_exception_fp_denorm_src 0
		.amdhsa_exception_fp_ieee_div_zero 0
		.amdhsa_exception_fp_ieee_overflow 0
		.amdhsa_exception_fp_ieee_underflow 0
		.amdhsa_exception_fp_ieee_inexact 0
		.amdhsa_exception_int_div_zero 0
	.end_amdhsa_kernel
	.section	.text._ZN7rocprim17ROCPRIM_400000_NS6detail17trampoline_kernelINS0_14default_configENS1_38merge_sort_block_merge_config_selectorIlNS0_10empty_typeEEEZZNS1_27merge_sort_block_merge_implIS3_PlPS5_mZN2at6native12_GLOBAL__N_124unique_dim_cuda_templateIN3c104HalfEEESt5tupleIJNSA_6TensorESH_SH_EERKSH_lbbbEUlllE_EE10hipError_tT0_T1_T2_jT3_P12ihipStream_tbPNSt15iterator_traitsISN_E10value_typeEPNST_ISO_E10value_typeEPSP_NS1_7vsmem_tEENKUlT_SN_SO_SP_E_clIS8_S8_S9_S9_EESM_S12_SN_SO_SP_EUlS12_E_NS1_11comp_targetILNS1_3genE8ELNS1_11target_archE1030ELNS1_3gpuE2ELNS1_3repE0EEENS1_48merge_mergepath_partition_config_static_selectorELNS0_4arch9wavefront6targetE1EEEvSO_,"axG",@progbits,_ZN7rocprim17ROCPRIM_400000_NS6detail17trampoline_kernelINS0_14default_configENS1_38merge_sort_block_merge_config_selectorIlNS0_10empty_typeEEEZZNS1_27merge_sort_block_merge_implIS3_PlPS5_mZN2at6native12_GLOBAL__N_124unique_dim_cuda_templateIN3c104HalfEEESt5tupleIJNSA_6TensorESH_SH_EERKSH_lbbbEUlllE_EE10hipError_tT0_T1_T2_jT3_P12ihipStream_tbPNSt15iterator_traitsISN_E10value_typeEPNST_ISO_E10value_typeEPSP_NS1_7vsmem_tEENKUlT_SN_SO_SP_E_clIS8_S8_S9_S9_EESM_S12_SN_SO_SP_EUlS12_E_NS1_11comp_targetILNS1_3genE8ELNS1_11target_archE1030ELNS1_3gpuE2ELNS1_3repE0EEENS1_48merge_mergepath_partition_config_static_selectorELNS0_4arch9wavefront6targetE1EEEvSO_,comdat
.Lfunc_end1255:
	.size	_ZN7rocprim17ROCPRIM_400000_NS6detail17trampoline_kernelINS0_14default_configENS1_38merge_sort_block_merge_config_selectorIlNS0_10empty_typeEEEZZNS1_27merge_sort_block_merge_implIS3_PlPS5_mZN2at6native12_GLOBAL__N_124unique_dim_cuda_templateIN3c104HalfEEESt5tupleIJNSA_6TensorESH_SH_EERKSH_lbbbEUlllE_EE10hipError_tT0_T1_T2_jT3_P12ihipStream_tbPNSt15iterator_traitsISN_E10value_typeEPNST_ISO_E10value_typeEPSP_NS1_7vsmem_tEENKUlT_SN_SO_SP_E_clIS8_S8_S9_S9_EESM_S12_SN_SO_SP_EUlS12_E_NS1_11comp_targetILNS1_3genE8ELNS1_11target_archE1030ELNS1_3gpuE2ELNS1_3repE0EEENS1_48merge_mergepath_partition_config_static_selectorELNS0_4arch9wavefront6targetE1EEEvSO_, .Lfunc_end1255-_ZN7rocprim17ROCPRIM_400000_NS6detail17trampoline_kernelINS0_14default_configENS1_38merge_sort_block_merge_config_selectorIlNS0_10empty_typeEEEZZNS1_27merge_sort_block_merge_implIS3_PlPS5_mZN2at6native12_GLOBAL__N_124unique_dim_cuda_templateIN3c104HalfEEESt5tupleIJNSA_6TensorESH_SH_EERKSH_lbbbEUlllE_EE10hipError_tT0_T1_T2_jT3_P12ihipStream_tbPNSt15iterator_traitsISN_E10value_typeEPNST_ISO_E10value_typeEPSP_NS1_7vsmem_tEENKUlT_SN_SO_SP_E_clIS8_S8_S9_S9_EESM_S12_SN_SO_SP_EUlS12_E_NS1_11comp_targetILNS1_3genE8ELNS1_11target_archE1030ELNS1_3gpuE2ELNS1_3repE0EEENS1_48merge_mergepath_partition_config_static_selectorELNS0_4arch9wavefront6targetE1EEEvSO_
                                        ; -- End function
	.set _ZN7rocprim17ROCPRIM_400000_NS6detail17trampoline_kernelINS0_14default_configENS1_38merge_sort_block_merge_config_selectorIlNS0_10empty_typeEEEZZNS1_27merge_sort_block_merge_implIS3_PlPS5_mZN2at6native12_GLOBAL__N_124unique_dim_cuda_templateIN3c104HalfEEESt5tupleIJNSA_6TensorESH_SH_EERKSH_lbbbEUlllE_EE10hipError_tT0_T1_T2_jT3_P12ihipStream_tbPNSt15iterator_traitsISN_E10value_typeEPNST_ISO_E10value_typeEPSP_NS1_7vsmem_tEENKUlT_SN_SO_SP_E_clIS8_S8_S9_S9_EESM_S12_SN_SO_SP_EUlS12_E_NS1_11comp_targetILNS1_3genE8ELNS1_11target_archE1030ELNS1_3gpuE2ELNS1_3repE0EEENS1_48merge_mergepath_partition_config_static_selectorELNS0_4arch9wavefront6targetE1EEEvSO_.num_vgpr, 0
	.set _ZN7rocprim17ROCPRIM_400000_NS6detail17trampoline_kernelINS0_14default_configENS1_38merge_sort_block_merge_config_selectorIlNS0_10empty_typeEEEZZNS1_27merge_sort_block_merge_implIS3_PlPS5_mZN2at6native12_GLOBAL__N_124unique_dim_cuda_templateIN3c104HalfEEESt5tupleIJNSA_6TensorESH_SH_EERKSH_lbbbEUlllE_EE10hipError_tT0_T1_T2_jT3_P12ihipStream_tbPNSt15iterator_traitsISN_E10value_typeEPNST_ISO_E10value_typeEPSP_NS1_7vsmem_tEENKUlT_SN_SO_SP_E_clIS8_S8_S9_S9_EESM_S12_SN_SO_SP_EUlS12_E_NS1_11comp_targetILNS1_3genE8ELNS1_11target_archE1030ELNS1_3gpuE2ELNS1_3repE0EEENS1_48merge_mergepath_partition_config_static_selectorELNS0_4arch9wavefront6targetE1EEEvSO_.num_agpr, 0
	.set _ZN7rocprim17ROCPRIM_400000_NS6detail17trampoline_kernelINS0_14default_configENS1_38merge_sort_block_merge_config_selectorIlNS0_10empty_typeEEEZZNS1_27merge_sort_block_merge_implIS3_PlPS5_mZN2at6native12_GLOBAL__N_124unique_dim_cuda_templateIN3c104HalfEEESt5tupleIJNSA_6TensorESH_SH_EERKSH_lbbbEUlllE_EE10hipError_tT0_T1_T2_jT3_P12ihipStream_tbPNSt15iterator_traitsISN_E10value_typeEPNST_ISO_E10value_typeEPSP_NS1_7vsmem_tEENKUlT_SN_SO_SP_E_clIS8_S8_S9_S9_EESM_S12_SN_SO_SP_EUlS12_E_NS1_11comp_targetILNS1_3genE8ELNS1_11target_archE1030ELNS1_3gpuE2ELNS1_3repE0EEENS1_48merge_mergepath_partition_config_static_selectorELNS0_4arch9wavefront6targetE1EEEvSO_.numbered_sgpr, 0
	.set _ZN7rocprim17ROCPRIM_400000_NS6detail17trampoline_kernelINS0_14default_configENS1_38merge_sort_block_merge_config_selectorIlNS0_10empty_typeEEEZZNS1_27merge_sort_block_merge_implIS3_PlPS5_mZN2at6native12_GLOBAL__N_124unique_dim_cuda_templateIN3c104HalfEEESt5tupleIJNSA_6TensorESH_SH_EERKSH_lbbbEUlllE_EE10hipError_tT0_T1_T2_jT3_P12ihipStream_tbPNSt15iterator_traitsISN_E10value_typeEPNST_ISO_E10value_typeEPSP_NS1_7vsmem_tEENKUlT_SN_SO_SP_E_clIS8_S8_S9_S9_EESM_S12_SN_SO_SP_EUlS12_E_NS1_11comp_targetILNS1_3genE8ELNS1_11target_archE1030ELNS1_3gpuE2ELNS1_3repE0EEENS1_48merge_mergepath_partition_config_static_selectorELNS0_4arch9wavefront6targetE1EEEvSO_.num_named_barrier, 0
	.set _ZN7rocprim17ROCPRIM_400000_NS6detail17trampoline_kernelINS0_14default_configENS1_38merge_sort_block_merge_config_selectorIlNS0_10empty_typeEEEZZNS1_27merge_sort_block_merge_implIS3_PlPS5_mZN2at6native12_GLOBAL__N_124unique_dim_cuda_templateIN3c104HalfEEESt5tupleIJNSA_6TensorESH_SH_EERKSH_lbbbEUlllE_EE10hipError_tT0_T1_T2_jT3_P12ihipStream_tbPNSt15iterator_traitsISN_E10value_typeEPNST_ISO_E10value_typeEPSP_NS1_7vsmem_tEENKUlT_SN_SO_SP_E_clIS8_S8_S9_S9_EESM_S12_SN_SO_SP_EUlS12_E_NS1_11comp_targetILNS1_3genE8ELNS1_11target_archE1030ELNS1_3gpuE2ELNS1_3repE0EEENS1_48merge_mergepath_partition_config_static_selectorELNS0_4arch9wavefront6targetE1EEEvSO_.private_seg_size, 0
	.set _ZN7rocprim17ROCPRIM_400000_NS6detail17trampoline_kernelINS0_14default_configENS1_38merge_sort_block_merge_config_selectorIlNS0_10empty_typeEEEZZNS1_27merge_sort_block_merge_implIS3_PlPS5_mZN2at6native12_GLOBAL__N_124unique_dim_cuda_templateIN3c104HalfEEESt5tupleIJNSA_6TensorESH_SH_EERKSH_lbbbEUlllE_EE10hipError_tT0_T1_T2_jT3_P12ihipStream_tbPNSt15iterator_traitsISN_E10value_typeEPNST_ISO_E10value_typeEPSP_NS1_7vsmem_tEENKUlT_SN_SO_SP_E_clIS8_S8_S9_S9_EESM_S12_SN_SO_SP_EUlS12_E_NS1_11comp_targetILNS1_3genE8ELNS1_11target_archE1030ELNS1_3gpuE2ELNS1_3repE0EEENS1_48merge_mergepath_partition_config_static_selectorELNS0_4arch9wavefront6targetE1EEEvSO_.uses_vcc, 0
	.set _ZN7rocprim17ROCPRIM_400000_NS6detail17trampoline_kernelINS0_14default_configENS1_38merge_sort_block_merge_config_selectorIlNS0_10empty_typeEEEZZNS1_27merge_sort_block_merge_implIS3_PlPS5_mZN2at6native12_GLOBAL__N_124unique_dim_cuda_templateIN3c104HalfEEESt5tupleIJNSA_6TensorESH_SH_EERKSH_lbbbEUlllE_EE10hipError_tT0_T1_T2_jT3_P12ihipStream_tbPNSt15iterator_traitsISN_E10value_typeEPNST_ISO_E10value_typeEPSP_NS1_7vsmem_tEENKUlT_SN_SO_SP_E_clIS8_S8_S9_S9_EESM_S12_SN_SO_SP_EUlS12_E_NS1_11comp_targetILNS1_3genE8ELNS1_11target_archE1030ELNS1_3gpuE2ELNS1_3repE0EEENS1_48merge_mergepath_partition_config_static_selectorELNS0_4arch9wavefront6targetE1EEEvSO_.uses_flat_scratch, 0
	.set _ZN7rocprim17ROCPRIM_400000_NS6detail17trampoline_kernelINS0_14default_configENS1_38merge_sort_block_merge_config_selectorIlNS0_10empty_typeEEEZZNS1_27merge_sort_block_merge_implIS3_PlPS5_mZN2at6native12_GLOBAL__N_124unique_dim_cuda_templateIN3c104HalfEEESt5tupleIJNSA_6TensorESH_SH_EERKSH_lbbbEUlllE_EE10hipError_tT0_T1_T2_jT3_P12ihipStream_tbPNSt15iterator_traitsISN_E10value_typeEPNST_ISO_E10value_typeEPSP_NS1_7vsmem_tEENKUlT_SN_SO_SP_E_clIS8_S8_S9_S9_EESM_S12_SN_SO_SP_EUlS12_E_NS1_11comp_targetILNS1_3genE8ELNS1_11target_archE1030ELNS1_3gpuE2ELNS1_3repE0EEENS1_48merge_mergepath_partition_config_static_selectorELNS0_4arch9wavefront6targetE1EEEvSO_.has_dyn_sized_stack, 0
	.set _ZN7rocprim17ROCPRIM_400000_NS6detail17trampoline_kernelINS0_14default_configENS1_38merge_sort_block_merge_config_selectorIlNS0_10empty_typeEEEZZNS1_27merge_sort_block_merge_implIS3_PlPS5_mZN2at6native12_GLOBAL__N_124unique_dim_cuda_templateIN3c104HalfEEESt5tupleIJNSA_6TensorESH_SH_EERKSH_lbbbEUlllE_EE10hipError_tT0_T1_T2_jT3_P12ihipStream_tbPNSt15iterator_traitsISN_E10value_typeEPNST_ISO_E10value_typeEPSP_NS1_7vsmem_tEENKUlT_SN_SO_SP_E_clIS8_S8_S9_S9_EESM_S12_SN_SO_SP_EUlS12_E_NS1_11comp_targetILNS1_3genE8ELNS1_11target_archE1030ELNS1_3gpuE2ELNS1_3repE0EEENS1_48merge_mergepath_partition_config_static_selectorELNS0_4arch9wavefront6targetE1EEEvSO_.has_recursion, 0
	.set _ZN7rocprim17ROCPRIM_400000_NS6detail17trampoline_kernelINS0_14default_configENS1_38merge_sort_block_merge_config_selectorIlNS0_10empty_typeEEEZZNS1_27merge_sort_block_merge_implIS3_PlPS5_mZN2at6native12_GLOBAL__N_124unique_dim_cuda_templateIN3c104HalfEEESt5tupleIJNSA_6TensorESH_SH_EERKSH_lbbbEUlllE_EE10hipError_tT0_T1_T2_jT3_P12ihipStream_tbPNSt15iterator_traitsISN_E10value_typeEPNST_ISO_E10value_typeEPSP_NS1_7vsmem_tEENKUlT_SN_SO_SP_E_clIS8_S8_S9_S9_EESM_S12_SN_SO_SP_EUlS12_E_NS1_11comp_targetILNS1_3genE8ELNS1_11target_archE1030ELNS1_3gpuE2ELNS1_3repE0EEENS1_48merge_mergepath_partition_config_static_selectorELNS0_4arch9wavefront6targetE1EEEvSO_.has_indirect_call, 0
	.section	.AMDGPU.csdata,"",@progbits
; Kernel info:
; codeLenInByte = 0
; TotalNumSgprs: 6
; NumVgprs: 0
; NumAgprs: 0
; TotalNumVgprs: 0
; ScratchSize: 0
; MemoryBound: 0
; FloatMode: 240
; IeeeMode: 1
; LDSByteSize: 0 bytes/workgroup (compile time only)
; SGPRBlocks: 0
; VGPRBlocks: 0
; NumSGPRsForWavesPerEU: 6
; NumVGPRsForWavesPerEU: 1
; AccumOffset: 4
; Occupancy: 8
; WaveLimiterHint : 0
; COMPUTE_PGM_RSRC2:SCRATCH_EN: 0
; COMPUTE_PGM_RSRC2:USER_SGPR: 2
; COMPUTE_PGM_RSRC2:TRAP_HANDLER: 0
; COMPUTE_PGM_RSRC2:TGID_X_EN: 1
; COMPUTE_PGM_RSRC2:TGID_Y_EN: 0
; COMPUTE_PGM_RSRC2:TGID_Z_EN: 0
; COMPUTE_PGM_RSRC2:TIDIG_COMP_CNT: 0
; COMPUTE_PGM_RSRC3_GFX90A:ACCUM_OFFSET: 0
; COMPUTE_PGM_RSRC3_GFX90A:TG_SPLIT: 0
	.section	.text._ZN7rocprim17ROCPRIM_400000_NS6detail17trampoline_kernelINS0_14default_configENS1_38merge_sort_block_merge_config_selectorIlNS0_10empty_typeEEEZZNS1_27merge_sort_block_merge_implIS3_PlPS5_mZN2at6native12_GLOBAL__N_124unique_dim_cuda_templateIN3c104HalfEEESt5tupleIJNSA_6TensorESH_SH_EERKSH_lbbbEUlllE_EE10hipError_tT0_T1_T2_jT3_P12ihipStream_tbPNSt15iterator_traitsISN_E10value_typeEPNST_ISO_E10value_typeEPSP_NS1_7vsmem_tEENKUlT_SN_SO_SP_E_clIS8_S8_S9_S9_EESM_S12_SN_SO_SP_EUlS12_E0_NS1_11comp_targetILNS1_3genE0ELNS1_11target_archE4294967295ELNS1_3gpuE0ELNS1_3repE0EEENS1_38merge_mergepath_config_static_selectorELNS0_4arch9wavefront6targetE1EEEvSO_,"axG",@progbits,_ZN7rocprim17ROCPRIM_400000_NS6detail17trampoline_kernelINS0_14default_configENS1_38merge_sort_block_merge_config_selectorIlNS0_10empty_typeEEEZZNS1_27merge_sort_block_merge_implIS3_PlPS5_mZN2at6native12_GLOBAL__N_124unique_dim_cuda_templateIN3c104HalfEEESt5tupleIJNSA_6TensorESH_SH_EERKSH_lbbbEUlllE_EE10hipError_tT0_T1_T2_jT3_P12ihipStream_tbPNSt15iterator_traitsISN_E10value_typeEPNST_ISO_E10value_typeEPSP_NS1_7vsmem_tEENKUlT_SN_SO_SP_E_clIS8_S8_S9_S9_EESM_S12_SN_SO_SP_EUlS12_E0_NS1_11comp_targetILNS1_3genE0ELNS1_11target_archE4294967295ELNS1_3gpuE0ELNS1_3repE0EEENS1_38merge_mergepath_config_static_selectorELNS0_4arch9wavefront6targetE1EEEvSO_,comdat
	.globl	_ZN7rocprim17ROCPRIM_400000_NS6detail17trampoline_kernelINS0_14default_configENS1_38merge_sort_block_merge_config_selectorIlNS0_10empty_typeEEEZZNS1_27merge_sort_block_merge_implIS3_PlPS5_mZN2at6native12_GLOBAL__N_124unique_dim_cuda_templateIN3c104HalfEEESt5tupleIJNSA_6TensorESH_SH_EERKSH_lbbbEUlllE_EE10hipError_tT0_T1_T2_jT3_P12ihipStream_tbPNSt15iterator_traitsISN_E10value_typeEPNST_ISO_E10value_typeEPSP_NS1_7vsmem_tEENKUlT_SN_SO_SP_E_clIS8_S8_S9_S9_EESM_S12_SN_SO_SP_EUlS12_E0_NS1_11comp_targetILNS1_3genE0ELNS1_11target_archE4294967295ELNS1_3gpuE0ELNS1_3repE0EEENS1_38merge_mergepath_config_static_selectorELNS0_4arch9wavefront6targetE1EEEvSO_ ; -- Begin function _ZN7rocprim17ROCPRIM_400000_NS6detail17trampoline_kernelINS0_14default_configENS1_38merge_sort_block_merge_config_selectorIlNS0_10empty_typeEEEZZNS1_27merge_sort_block_merge_implIS3_PlPS5_mZN2at6native12_GLOBAL__N_124unique_dim_cuda_templateIN3c104HalfEEESt5tupleIJNSA_6TensorESH_SH_EERKSH_lbbbEUlllE_EE10hipError_tT0_T1_T2_jT3_P12ihipStream_tbPNSt15iterator_traitsISN_E10value_typeEPNST_ISO_E10value_typeEPSP_NS1_7vsmem_tEENKUlT_SN_SO_SP_E_clIS8_S8_S9_S9_EESM_S12_SN_SO_SP_EUlS12_E0_NS1_11comp_targetILNS1_3genE0ELNS1_11target_archE4294967295ELNS1_3gpuE0ELNS1_3repE0EEENS1_38merge_mergepath_config_static_selectorELNS0_4arch9wavefront6targetE1EEEvSO_
	.p2align	8
	.type	_ZN7rocprim17ROCPRIM_400000_NS6detail17trampoline_kernelINS0_14default_configENS1_38merge_sort_block_merge_config_selectorIlNS0_10empty_typeEEEZZNS1_27merge_sort_block_merge_implIS3_PlPS5_mZN2at6native12_GLOBAL__N_124unique_dim_cuda_templateIN3c104HalfEEESt5tupleIJNSA_6TensorESH_SH_EERKSH_lbbbEUlllE_EE10hipError_tT0_T1_T2_jT3_P12ihipStream_tbPNSt15iterator_traitsISN_E10value_typeEPNST_ISO_E10value_typeEPSP_NS1_7vsmem_tEENKUlT_SN_SO_SP_E_clIS8_S8_S9_S9_EESM_S12_SN_SO_SP_EUlS12_E0_NS1_11comp_targetILNS1_3genE0ELNS1_11target_archE4294967295ELNS1_3gpuE0ELNS1_3repE0EEENS1_38merge_mergepath_config_static_selectorELNS0_4arch9wavefront6targetE1EEEvSO_,@function
_ZN7rocprim17ROCPRIM_400000_NS6detail17trampoline_kernelINS0_14default_configENS1_38merge_sort_block_merge_config_selectorIlNS0_10empty_typeEEEZZNS1_27merge_sort_block_merge_implIS3_PlPS5_mZN2at6native12_GLOBAL__N_124unique_dim_cuda_templateIN3c104HalfEEESt5tupleIJNSA_6TensorESH_SH_EERKSH_lbbbEUlllE_EE10hipError_tT0_T1_T2_jT3_P12ihipStream_tbPNSt15iterator_traitsISN_E10value_typeEPNST_ISO_E10value_typeEPSP_NS1_7vsmem_tEENKUlT_SN_SO_SP_E_clIS8_S8_S9_S9_EESM_S12_SN_SO_SP_EUlS12_E0_NS1_11comp_targetILNS1_3genE0ELNS1_11target_archE4294967295ELNS1_3gpuE0ELNS1_3repE0EEENS1_38merge_mergepath_config_static_selectorELNS0_4arch9wavefront6targetE1EEEvSO_: ; @_ZN7rocprim17ROCPRIM_400000_NS6detail17trampoline_kernelINS0_14default_configENS1_38merge_sort_block_merge_config_selectorIlNS0_10empty_typeEEEZZNS1_27merge_sort_block_merge_implIS3_PlPS5_mZN2at6native12_GLOBAL__N_124unique_dim_cuda_templateIN3c104HalfEEESt5tupleIJNSA_6TensorESH_SH_EERKSH_lbbbEUlllE_EE10hipError_tT0_T1_T2_jT3_P12ihipStream_tbPNSt15iterator_traitsISN_E10value_typeEPNST_ISO_E10value_typeEPSP_NS1_7vsmem_tEENKUlT_SN_SO_SP_E_clIS8_S8_S9_S9_EESM_S12_SN_SO_SP_EUlS12_E0_NS1_11comp_targetILNS1_3genE0ELNS1_11target_archE4294967295ELNS1_3gpuE0ELNS1_3repE0EEENS1_38merge_mergepath_config_static_selectorELNS0_4arch9wavefront6targetE1EEEvSO_
; %bb.0:
	s_load_dwordx2 s[22:23], s[0:1], 0x58
	s_load_dword s5, s[0:1], 0x38
	s_add_u32 s18, s0, 0x58
	s_addc_u32 s19, s1, 0
	s_waitcnt lgkmcnt(0)
	s_mul_i32 s4, s23, s4
	s_add_i32 s3, s4, s3
	s_mul_i32 s3, s3, s22
	s_add_i32 s20, s3, s2
	s_cmp_ge_u32 s20, s5
	s_cbranch_scc1 .LBB1256_133
; %bb.1:
	s_load_dwordx2 s[12:13], s[0:1], 0x50
	s_load_dwordx4 s[8:11], s[0:1], 0x8
	s_load_dwordx4 s[4:7], s[0:1], 0x28
	s_mov_b32 s21, 0
	s_lshl_b64 s[14:15], s[20:21], 3
	s_waitcnt lgkmcnt(0)
	s_add_u32 s16, s12, s14
	s_addc_u32 s17, s13, s15
	s_load_dwordx4 s[12:15], s[16:17], 0x0
	s_lshr_b64 s[16:17], s[6:7], 9
	s_and_b32 s3, s16, -2
	s_sub_i32 s33, 0, s3
	s_and_b32 s26, s20, s33
	s_mov_b32 s27, s21
	s_lshl_b64 s[24:25], s[26:27], 10
	s_lshl_b64 s[16:17], s[20:21], 10
	s_sub_u32 s3, s16, s24
	s_subb_u32 s23, s17, s25
	s_lshl_b64 s[26:27], s[26:27], 11
	s_add_u32 s26, s26, s6
	s_addc_u32 s27, s27, s7
	s_add_u32 s3, s26, s3
	s_addc_u32 s23, s27, s23
	s_waitcnt lgkmcnt(0)
	s_sub_u32 s28, s3, s14
	s_subb_u32 s15, s23, s15
	s_add_u32 s28, s28, 0x400
	s_addc_u32 s29, s15, 0
	v_mov_b64_e32 v[2:3], s[28:29]
	v_cmp_lt_u64_e32 vcc, s[4:5], v[2:3]
	s_and_b64 s[30:31], vcc, exec
	s_cselect_b32 s15, s4, s28
	s_or_b32 s28, s20, s33
	s_cmp_lg_u32 s28, -1
	s_cbranch_scc1 .LBB1256_3
; %bb.2:
	s_sub_u32 s24, s26, s24
	s_subb_u32 s25, s27, s25
	v_mov_b64_e32 v[2:3], s[24:25]
	v_cmp_lt_u64_e32 vcc, s[4:5], v[2:3]
	s_and_b64 s[14:15], vcc, exec
	s_cselect_b32 s14, s4, s24
	s_add_u32 s6, s24, s6
	s_addc_u32 s7, s25, s7
	v_mov_b64_e32 v[2:3], s[6:7]
	v_cmp_lt_u64_e32 vcc, s[4:5], v[2:3]
	s_and_b64 s[24:25], vcc, exec
	s_cselect_b32 s15, s4, s6
.LBB1256_3:
	s_lshr_b64 s[24:25], s[4:5], 10
	s_cmp_lg_u64 s[24:25], s[20:21]
	s_cselect_b64 s[6:7], -1, 0
	s_sub_u32 s26, s3, s12
	s_subb_u32 s27, s23, s13
	v_mov_b64_e32 v[2:3], s[26:27]
	v_cmp_lt_u64_e32 vcc, s[4:5], v[2:3]
	s_and_b64 s[28:29], vcc, exec
	s_cselect_b32 s26, s4, s26
	s_cselect_b32 s27, s5, s27
	s_sub_i32 s5, s14, s12
	s_sub_i32 s23, s15, s26
	s_lshl_b64 s[12:13], s[12:13], 3
	s_add_u32 s12, s8, s12
	s_addc_u32 s13, s9, s13
	s_lshl_b64 s[14:15], s[26:27], 3
	s_add_u32 s8, s8, s14
	s_addc_u32 s9, s9, s15
	s_cmp_lt_u32 s2, s22
	v_mov_b32_e32 v19, 0
	s_cselect_b32 s2, 12, 18
	global_load_dword v1, v19, s[18:19] offset:14
	s_add_u32 s2, s18, s2
	s_addc_u32 s3, s19, 0
	global_load_ushort v2, v19, s[2:3]
	s_cmp_eq_u64 s[24:25], s[20:21]
	v_lshlrev_b32_e32 v18, 3, v0
	s_waitcnt vmcnt(1)
	v_lshrrev_b32_e32 v3, 16, v1
	v_and_b32_e32 v1, 0xffff, v1
	v_mul_lo_u32 v1, v1, v3
	s_waitcnt vmcnt(0)
	v_mul_lo_u32 v1, v1, v2
	s_cbranch_scc1 .LBB1256_5
; %bb.4:
	v_subrev_co_u32_e32 v4, vcc, s5, v0
	v_mov_b32_e32 v5, v19
	v_lshl_add_u64 v[2:3], s[12:13], 0, v[18:19]
	v_lshl_add_u64 v[4:5], v[4:5], 3, s[8:9]
	v_add_u32_e32 v6, v1, v0
	v_cndmask_b32_e32 v3, v5, v3, vcc
	v_cndmask_b32_e32 v2, v4, v2, vcc
	v_mov_b32_e32 v7, v19
	v_subrev_co_u32_e32 v8, vcc, s5, v6
	v_mov_b32_e32 v9, v19
	v_lshl_add_u64 v[4:5], v[6:7], 3, s[12:13]
	v_lshl_add_u64 v[8:9], v[8:9], 3, s[8:9]
	v_cndmask_b32_e32 v4, v8, v4, vcc
	v_add_u32_e32 v8, v6, v1
	v_cndmask_b32_e32 v5, v9, v5, vcc
	v_mov_b32_e32 v9, v19
	v_subrev_co_u32_e32 v10, vcc, s5, v8
	v_mov_b32_e32 v11, v19
	v_lshl_add_u64 v[6:7], v[8:9], 3, s[12:13]
	v_lshl_add_u64 v[10:11], v[10:11], 3, s[8:9]
	v_cndmask_b32_e32 v6, v10, v6, vcc
	v_add_u32_e32 v10, v8, v1
	;; [unrolled: 8-line block ×5, first 2 shown]
	v_cndmask_b32_e32 v13, v17, v13, vcc
	v_mov_b32_e32 v17, v19
	v_subrev_co_u32_e32 v20, vcc, s5, v16
	v_mov_b32_e32 v21, v19
	v_lshl_add_u64 v[14:15], v[16:17], 3, s[12:13]
	v_lshl_add_u64 v[20:21], v[20:21], 3, s[8:9]
	v_add_u32_e32 v16, v16, v1
	v_cndmask_b32_e32 v15, v21, v15, vcc
	v_cndmask_b32_e32 v14, v20, v14, vcc
	v_lshl_add_u64 v[20:21], v[16:17], 3, s[12:13]
	v_subrev_co_u32_e32 v16, vcc, s5, v16
	v_lshl_add_u64 v[16:17], v[16:17], 3, s[8:9]
	s_nop 0
	v_cndmask_b32_e32 v17, v17, v21, vcc
	v_cndmask_b32_e32 v16, v16, v20, vcc
	global_load_dwordx2 v[2:3], v[2:3], off
	s_add_i32 s33, s5, s23
	global_load_dwordx2 v[4:5], v[4:5], off
	s_nop 0
	global_load_dwordx2 v[6:7], v[6:7], off
	s_nop 0
	;; [unrolled: 2-line block ×6, first 2 shown]
	global_load_dwordx2 v[16:17], v[16:17], off
	s_cbranch_execz .LBB1256_6
	s_branch .LBB1256_23
.LBB1256_5:
                                        ; implicit-def: $vgpr2_vgpr3_vgpr4_vgpr5_vgpr6_vgpr7_vgpr8_vgpr9_vgpr10_vgpr11_vgpr12_vgpr13_vgpr14_vgpr15_vgpr16_vgpr17
                                        ; implicit-def: $sgpr33
.LBB1256_6:
	s_add_i32 s33, s5, s23
	s_waitcnt vmcnt(7)
	v_mov_b32_e32 v2, 0
	v_cmp_gt_u32_e32 vcc, s33, v0
	v_mov_b32_e32 v3, v2
	s_waitcnt vmcnt(6)
	v_mov_b32_e32 v4, v2
	v_mov_b32_e32 v5, v2
	s_waitcnt vmcnt(5)
	v_mov_b32_e32 v6, v2
	;; [unrolled: 3-line block ×7, first 2 shown]
	v_mov_b32_e32 v17, v2
	s_and_saveexec_b64 s[2:3], vcc
	s_cbranch_execz .LBB1256_8
; %bb.7:
	v_mov_b32_e32 v19, v2
	v_subrev_co_u32_e32 v6, vcc, s5, v0
	v_mov_b32_e32 v7, v2
	v_lshl_add_u64 v[4:5], s[12:13], 0, v[18:19]
	v_lshl_add_u64 v[6:7], v[6:7], 3, s[8:9]
	v_cndmask_b32_e32 v5, v7, v5, vcc
	v_cndmask_b32_e32 v4, v6, v4, vcc
	global_load_dwordx2 v[20:21], v[4:5], off
	v_mov_b32_e32 v22, v2
	v_mov_b32_e32 v23, v2
	;; [unrolled: 1-line block ×14, first 2 shown]
	s_waitcnt vmcnt(0)
	v_mov_b64_e32 v[2:3], v[20:21]
	v_mov_b64_e32 v[4:5], v[22:23]
	;; [unrolled: 1-line block ×8, first 2 shown]
.LBB1256_8:
	s_or_b64 exec, exec, s[2:3]
	v_add_u32_e32 v20, v1, v0
	v_cmp_gt_u32_e32 vcc, s33, v20
	s_and_saveexec_b64 s[2:3], vcc
	s_cbranch_execz .LBB1256_10
; %bb.9:
	v_mov_b32_e32 v21, 0
	v_subrev_co_u32_e32 v22, vcc, s5, v20
	v_mov_b32_e32 v23, v21
	v_lshl_add_u64 v[4:5], v[20:21], 3, s[12:13]
	v_lshl_add_u64 v[22:23], v[22:23], 3, s[8:9]
	v_cndmask_b32_e32 v5, v23, v5, vcc
	v_cndmask_b32_e32 v4, v22, v4, vcc
	global_load_dwordx2 v[4:5], v[4:5], off
.LBB1256_10:
	s_or_b64 exec, exec, s[2:3]
	v_add_u32_e32 v20, v20, v1
	v_cmp_gt_u32_e32 vcc, s33, v20
	s_and_saveexec_b64 s[2:3], vcc
	s_cbranch_execz .LBB1256_12
; %bb.11:
	v_mov_b32_e32 v21, 0
	v_subrev_co_u32_e32 v22, vcc, s5, v20
	v_mov_b32_e32 v23, v21
	v_lshl_add_u64 v[6:7], v[20:21], 3, s[12:13]
	v_lshl_add_u64 v[22:23], v[22:23], 3, s[8:9]
	v_cndmask_b32_e32 v7, v23, v7, vcc
	v_cndmask_b32_e32 v6, v22, v6, vcc
	global_load_dwordx2 v[6:7], v[6:7], off
.LBB1256_12:
	s_or_b64 exec, exec, s[2:3]
	v_add_u32_e32 v20, v20, v1
	v_cmp_gt_u32_e32 vcc, s33, v20
	s_and_saveexec_b64 s[2:3], vcc
	s_cbranch_execz .LBB1256_14
; %bb.13:
	v_mov_b32_e32 v21, 0
	v_subrev_co_u32_e32 v22, vcc, s5, v20
	v_mov_b32_e32 v23, v21
	v_lshl_add_u64 v[8:9], v[20:21], 3, s[12:13]
	v_lshl_add_u64 v[22:23], v[22:23], 3, s[8:9]
	v_cndmask_b32_e32 v9, v23, v9, vcc
	v_cndmask_b32_e32 v8, v22, v8, vcc
	global_load_dwordx2 v[8:9], v[8:9], off
.LBB1256_14:
	s_or_b64 exec, exec, s[2:3]
	v_add_u32_e32 v20, v20, v1
	v_cmp_gt_u32_e32 vcc, s33, v20
	s_and_saveexec_b64 s[2:3], vcc
	s_cbranch_execz .LBB1256_16
; %bb.15:
	v_mov_b32_e32 v21, 0
	v_subrev_co_u32_e32 v22, vcc, s5, v20
	v_mov_b32_e32 v23, v21
	v_lshl_add_u64 v[10:11], v[20:21], 3, s[12:13]
	v_lshl_add_u64 v[22:23], v[22:23], 3, s[8:9]
	v_cndmask_b32_e32 v11, v23, v11, vcc
	v_cndmask_b32_e32 v10, v22, v10, vcc
	global_load_dwordx2 v[10:11], v[10:11], off
.LBB1256_16:
	s_or_b64 exec, exec, s[2:3]
	v_add_u32_e32 v20, v20, v1
	v_cmp_gt_u32_e32 vcc, s33, v20
	s_and_saveexec_b64 s[2:3], vcc
	s_cbranch_execz .LBB1256_18
; %bb.17:
	v_mov_b32_e32 v21, 0
	v_subrev_co_u32_e32 v22, vcc, s5, v20
	v_mov_b32_e32 v23, v21
	v_lshl_add_u64 v[12:13], v[20:21], 3, s[12:13]
	v_lshl_add_u64 v[22:23], v[22:23], 3, s[8:9]
	v_cndmask_b32_e32 v13, v23, v13, vcc
	v_cndmask_b32_e32 v12, v22, v12, vcc
	global_load_dwordx2 v[12:13], v[12:13], off
.LBB1256_18:
	s_or_b64 exec, exec, s[2:3]
	v_add_u32_e32 v20, v20, v1
	v_cmp_gt_u32_e32 vcc, s33, v20
	s_and_saveexec_b64 s[2:3], vcc
	s_cbranch_execz .LBB1256_20
; %bb.19:
	v_mov_b32_e32 v21, 0
	v_subrev_co_u32_e32 v22, vcc, s5, v20
	v_mov_b32_e32 v23, v21
	v_lshl_add_u64 v[14:15], v[20:21], 3, s[12:13]
	v_lshl_add_u64 v[22:23], v[22:23], 3, s[8:9]
	v_cndmask_b32_e32 v15, v23, v15, vcc
	v_cndmask_b32_e32 v14, v22, v14, vcc
	global_load_dwordx2 v[14:15], v[14:15], off
.LBB1256_20:
	s_or_b64 exec, exec, s[2:3]
	v_add_u32_e32 v20, v20, v1
	v_cmp_gt_u32_e32 vcc, s33, v20
	s_and_saveexec_b64 s[2:3], vcc
	s_cbranch_execz .LBB1256_22
; %bb.21:
	v_mov_b32_e32 v21, 0
	v_lshl_add_u64 v[16:17], v[20:21], 3, s[12:13]
	v_subrev_co_u32_e32 v20, vcc, s5, v20
	v_lshl_add_u64 v[20:21], v[20:21], 3, s[8:9]
	s_nop 0
	v_cndmask_b32_e32 v17, v21, v17, vcc
	v_cndmask_b32_e32 v16, v20, v16, vcc
	global_load_dwordx2 v[16:17], v[16:17], off
.LBB1256_22:
	s_or_b64 exec, exec, s[2:3]
.LBB1256_23:
	s_load_dwordx4 s[12:15], s[0:1], 0x40
	v_min_u32_e32 v1, s33, v18
	v_sub_u32_e64 v24, v1, s23 clamp
	v_min_u32_e32 v19, s5, v1
	v_cmp_lt_u32_e32 vcc, v24, v19
	s_waitcnt vmcnt(0)
	ds_write2st64_b64 v18, v[2:3], v[4:5] offset1:2
	ds_write2st64_b64 v18, v[6:7], v[8:9] offset0:4 offset1:6
	ds_write2st64_b64 v18, v[10:11], v[12:13] offset0:8 offset1:10
	ds_write2st64_b64 v18, v[14:15], v[16:17] offset0:12 offset1:14
	s_waitcnt lgkmcnt(0)
	s_barrier
	s_and_saveexec_b64 s[2:3], vcc
	s_cbranch_execz .LBB1256_35
; %bb.24:
	v_lshlrev_b32_e32 v20, 3, v1
	v_cmp_gt_i64_e64 s[0:1], s[12:13], 0
	v_lshl_add_u32 v25, s5, 3, v20
	s_mov_b64 s[8:9], 0
	v_cndmask_b32_e64 v20, 0, 1, s[0:1]
	s_lshl_b64 s[18:19], s[12:13], 1
	v_cmp_ne_u32_e64 s[0:1], 1, v20
	s_branch .LBB1256_27
.LBB1256_25:                            ;   in Loop: Header=BB1256_27 Depth=1
	s_or_b64 exec, exec, s[22:23]
.LBB1256_26:                            ;   in Loop: Header=BB1256_27 Depth=1
	v_add_u32_e32 v20, 1, v26
	v_cndmask_b32_e64 v19, v19, v26, s[20:21]
	v_cndmask_b32_e64 v24, v20, v24, s[20:21]
	v_cmp_ge_u32_e32 vcc, v24, v19
	s_or_b64 s[8:9], vcc, s[8:9]
	s_andn2_b64 exec, exec, s[8:9]
	s_cbranch_execz .LBB1256_34
.LBB1256_27:                            ; =>This Loop Header: Depth=1
                                        ;     Child Loop BB1256_30 Depth 2
	v_add_u32_e32 v20, v19, v24
	v_lshrrev_b32_e32 v26, 1, v20
	s_and_b64 vcc, exec, s[0:1]
	s_mov_b64 s[20:21], 0
	s_cbranch_vccnz .LBB1256_26
; %bb.28:                               ;   in Loop: Header=BB1256_27 Depth=1
	v_not_b32_e32 v20, v26
	v_lshl_add_u32 v20, v20, 3, v25
	ds_read_b64 v[20:21], v20
	v_lshlrev_b32_e32 v27, 3, v26
	ds_read_b64 v[28:29], v27
	v_mov_b64_e32 v[22:23], s[14:15]
	s_mov_b64 s[22:23], 0
	s_waitcnt lgkmcnt(1)
	v_mul_lo_u32 v27, s18, v21
	v_mul_lo_u32 v30, s19, v20
	v_mad_u64_u32 v[20:21], s[20:21], s18, v20, v[22:23]
	v_add3_u32 v21, v30, v21, v27
	s_waitcnt lgkmcnt(0)
	v_mul_lo_u32 v27, s18, v29
	v_mul_lo_u32 v29, s19, v28
	v_mad_u64_u32 v[22:23], s[20:21], s18, v28, v[22:23]
	v_add3_u32 v23, v29, v23, v27
	s_mov_b64 s[26:27], s[12:13]
                                        ; implicit-def: $sgpr20_sgpr21
                                        ; implicit-def: $sgpr24_sgpr25
                                        ; implicit-def: $sgpr34_sgpr35
	s_branch .LBB1256_30
.LBB1256_29:                            ;   in Loop: Header=BB1256_30 Depth=2
	s_or_b64 exec, exec, s[34:35]
	s_and_b64 s[30:31], exec, s[30:31]
	s_or_b64 s[22:23], s[30:31], s[22:23]
	s_andn2_b64 s[20:21], s[20:21], exec
	s_and_b64 s[30:31], s[24:25], exec
	s_or_b64 s[20:21], s[20:21], s[30:31]
	s_mov_b64 s[34:35], s[28:29]
	s_andn2_b64 exec, exec, s[22:23]
	s_cbranch_execz .LBB1256_25
.LBB1256_30:                            ;   Parent Loop BB1256_27 Depth=1
                                        ; =>  This Inner Loop Header: Depth=2
	global_load_ushort v27, v[20:21], off
	global_load_ushort v28, v[22:23], off
	s_mov_b64 s[30:31], -1
	s_mov_b64 s[36:37], 0
	s_mov_b64 s[28:29], -1
	s_waitcnt vmcnt(0)
	v_cmp_nlt_f16_e32 vcc, v27, v28
	s_and_saveexec_b64 s[38:39], vcc
; %bb.31:                               ;   in Loop: Header=BB1256_30 Depth=2
	v_cmp_ngt_f16_e32 vcc, v27, v28
	s_and_b64 s[28:29], vcc, s[34:35]
	s_orn2_b64 s[28:29], s[28:29], exec
	s_and_b64 s[36:37], vcc, exec
; %bb.32:                               ;   in Loop: Header=BB1256_30 Depth=2
	s_or_b64 exec, exec, s[38:39]
	s_andn2_b64 s[24:25], s[24:25], exec
	s_and_b64 s[34:35], s[28:29], exec
	s_or_b64 s[24:25], s[24:25], s[34:35]
	s_and_saveexec_b64 s[34:35], s[36:37]
	s_cbranch_execz .LBB1256_29
; %bb.33:                               ;   in Loop: Header=BB1256_30 Depth=2
	s_add_u32 s26, s26, -1
	s_addc_u32 s27, s27, -1
	s_cmp_eq_u64 s[26:27], 0
	s_cselect_b64 s[30:31], -1, 0
	v_lshl_add_u64 v[20:21], v[20:21], 0, 2
	v_lshl_add_u64 v[22:23], v[22:23], 0, 2
	s_andn2_b64 s[24:25], s[24:25], exec
	s_orn2_b64 s[30:31], s[30:31], exec
	s_branch .LBB1256_29
.LBB1256_34:
	s_or_b64 exec, exec, s[8:9]
.LBB1256_35:
	s_or_b64 exec, exec, s[2:3]
	v_sub_u32_e32 v1, v1, v24
	v_add_u32_e32 v22, s5, v1
	v_cmp_ge_u32_e32 vcc, s5, v24
	v_cmp_ge_u32_e64 s[0:1], s33, v22
	s_or_b64 s[0:1], vcc, s[0:1]
	s_and_saveexec_b64 s[8:9], s[0:1]
	s_cbranch_execz .LBB1256_119
; %bb.36:
	v_cmp_le_u32_e32 vcc, s5, v24
	v_cmp_gt_u32_e64 s[0:1], s5, v24
                                        ; implicit-def: $vgpr2_vgpr3
	s_and_saveexec_b64 s[2:3], s[0:1]
; %bb.37:
	v_lshlrev_b32_e32 v1, 3, v24
	ds_read_b64 v[2:3], v1
; %bb.38:
	s_or_b64 exec, exec, s[2:3]
	v_cmp_le_u32_e64 s[0:1], s33, v22
	v_cmp_gt_u32_e64 s[2:3], s33, v22
                                        ; implicit-def: $vgpr16_vgpr17
	s_and_saveexec_b64 s[18:19], s[2:3]
; %bb.39:
	v_lshlrev_b32_e32 v1, 3, v22
	ds_read_b64 v[16:17], v1
; %bb.40:
	s_or_b64 exec, exec, s[18:19]
	v_cmp_lt_i64_e64 s[2:3], s[12:13], 1
	s_or_b64 s[18:19], vcc, s[0:1]
	s_nor_b64 s[20:21], s[18:19], s[2:3]
	s_xor_b64 s[18:19], vcc, -1
	s_or_b64 s[0:1], s[0:1], s[18:19]
	s_and_saveexec_b64 s[18:19], s[20:21]
	s_cbranch_execz .LBB1256_48
; %bb.41:
	s_waitcnt lgkmcnt(0)
	v_mul_lo_u32 v1, v17, s12
	v_mul_lo_u32 v6, v16, s13
	v_mad_u64_u32 v[4:5], s[20:21], v16, s12, 0
	v_add3_u32 v5, v5, v6, v1
	v_mul_lo_u32 v1, v3, s12
	v_mul_lo_u32 v8, v2, s13
	v_mad_u64_u32 v[6:7], s[20:21], v2, s12, 0
	v_add3_u32 v7, v7, v8, v1
	v_lshl_add_u64 v[4:5], v[4:5], 1, s[14:15]
	v_lshl_add_u64 v[6:7], v[6:7], 1, s[14:15]
	s_mov_b64 s[20:21], 0
	s_mov_b64 s[26:27], s[12:13]
                                        ; implicit-def: $sgpr22_sgpr23
                                        ; implicit-def: $sgpr24_sgpr25
                                        ; implicit-def: $sgpr30_sgpr31
	s_branch .LBB1256_43
.LBB1256_42:                            ;   in Loop: Header=BB1256_43 Depth=1
	s_or_b64 exec, exec, s[36:37]
	s_and_b64 s[30:31], exec, s[30:31]
	s_or_b64 s[20:21], s[30:31], s[20:21]
	s_andn2_b64 s[22:23], s[22:23], exec
	s_and_b64 s[30:31], s[24:25], exec
	s_or_b64 s[22:23], s[22:23], s[30:31]
	s_mov_b64 s[30:31], s[28:29]
	s_andn2_b64 exec, exec, s[20:21]
	s_cbranch_execz .LBB1256_47
.LBB1256_43:                            ; =>This Inner Loop Header: Depth=1
	global_load_ushort v1, v[4:5], off
	global_load_ushort v8, v[6:7], off
	s_mov_b64 s[34:35], 0
	s_mov_b64 s[28:29], -1
	s_waitcnt vmcnt(0)
	v_cmp_nlt_f16_e32 vcc, v1, v8
	s_and_saveexec_b64 s[36:37], vcc
; %bb.44:                               ;   in Loop: Header=BB1256_43 Depth=1
	v_cmp_ngt_f16_e32 vcc, v1, v8
	s_and_b64 s[28:29], vcc, s[30:31]
	s_orn2_b64 s[28:29], s[28:29], exec
	s_and_b64 s[34:35], vcc, exec
; %bb.45:                               ;   in Loop: Header=BB1256_43 Depth=1
	s_or_b64 exec, exec, s[36:37]
	s_andn2_b64 s[24:25], s[24:25], exec
	s_and_b64 s[36:37], s[28:29], exec
	s_mov_b64 s[30:31], -1
	s_or_b64 s[24:25], s[24:25], s[36:37]
	s_and_saveexec_b64 s[36:37], s[34:35]
	s_cbranch_execz .LBB1256_42
; %bb.46:                               ;   in Loop: Header=BB1256_43 Depth=1
	s_add_u32 s26, s26, -1
	s_addc_u32 s27, s27, -1
	s_cmp_eq_u64 s[26:27], 0
	s_cselect_b64 s[30:31], -1, 0
	v_lshl_add_u64 v[4:5], v[4:5], 0, 2
	v_lshl_add_u64 v[6:7], v[6:7], 0, 2
	s_andn2_b64 s[24:25], s[24:25], exec
	s_orn2_b64 s[30:31], s[30:31], exec
	s_branch .LBB1256_42
.LBB1256_47:
	s_or_b64 exec, exec, s[20:21]
	s_xor_b64 s[20:21], s[22:23], -1
	s_andn2_b64 s[0:1], s[0:1], exec
	s_and_b64 s[20:21], s[20:21], exec
	s_or_b64 s[0:1], s[0:1], s[20:21]
.LBB1256_48:
	s_or_b64 exec, exec, s[18:19]
	v_mov_b32_e32 v4, s33
	v_mov_b32_e32 v5, s5
	v_cndmask_b32_e64 v1, v22, v24, s[0:1]
	v_cndmask_b32_e64 v4, v4, v5, s[0:1]
	v_add_u32_e32 v6, 1, v1
	v_add_u32_e32 v1, -1, v4
	v_min_u32_e32 v1, v6, v1
	v_lshlrev_b32_e32 v1, 3, v1
	ds_read_b64 v[4:5], v1
	v_cndmask_b32_e64 v8, v6, v22, s[0:1]
	v_cndmask_b32_e64 v9, v24, v6, s[0:1]
	v_cmp_gt_u32_e32 vcc, s33, v8
	s_mov_b64 s[20:21], -1
	s_waitcnt lgkmcnt(0)
	v_cndmask_b32_e64 v1, v5, v17, s[0:1]
	v_cndmask_b32_e64 v19, v4, v16, s[0:1]
	;; [unrolled: 1-line block ×4, first 2 shown]
	s_mov_b64 s[18:19], -1
	s_and_saveexec_b64 s[22:23], vcc
	s_cbranch_execz .LBB1256_58
; %bb.49:
	v_cmp_gt_u32_e64 s[18:19], s5, v9
	s_xor_b64 s[24:25], s[2:3], -1
	s_and_b64 s[26:27], s[18:19], s[24:25]
	s_and_saveexec_b64 s[24:25], s[26:27]
	s_cbranch_execz .LBB1256_57
; %bb.50:
	v_mul_lo_u32 v6, v1, s12
	v_mul_lo_u32 v7, v19, s13
	v_mad_u64_u32 v[4:5], s[26:27], v19, s12, 0
	v_add3_u32 v5, v5, v7, v6
	v_mul_lo_u32 v10, v20, s12
	v_mul_lo_u32 v11, v21, s13
	v_mad_u64_u32 v[6:7], s[26:27], v21, s12, 0
	v_add3_u32 v7, v7, v11, v10
	v_lshl_add_u64 v[4:5], v[4:5], 1, s[14:15]
	v_lshl_add_u64 v[6:7], v[6:7], 1, s[14:15]
	s_mov_b64 s[26:27], 0
	s_mov_b64 s[34:35], s[12:13]
                                        ; implicit-def: $sgpr28_sgpr29
                                        ; implicit-def: $sgpr30_sgpr31
                                        ; implicit-def: $sgpr38_sgpr39
	s_branch .LBB1256_52
.LBB1256_51:                            ;   in Loop: Header=BB1256_52 Depth=1
	s_or_b64 exec, exec, s[42:43]
	s_and_b64 s[38:39], exec, s[38:39]
	s_or_b64 s[26:27], s[38:39], s[26:27]
	s_andn2_b64 s[28:29], s[28:29], exec
	s_and_b64 s[38:39], s[30:31], exec
	s_or_b64 s[28:29], s[28:29], s[38:39]
	s_mov_b64 s[38:39], s[36:37]
	s_andn2_b64 exec, exec, s[26:27]
	s_cbranch_execz .LBB1256_56
.LBB1256_52:                            ; =>This Inner Loop Header: Depth=1
	global_load_ushort v10, v[4:5], off
	global_load_ushort v11, v[6:7], off
	s_mov_b64 s[40:41], 0
	s_mov_b64 s[36:37], -1
	s_waitcnt vmcnt(0)
	v_cmp_nlt_f16_e32 vcc, v10, v11
	s_and_saveexec_b64 s[42:43], vcc
; %bb.53:                               ;   in Loop: Header=BB1256_52 Depth=1
	v_cmp_ngt_f16_e32 vcc, v10, v11
	s_and_b64 s[36:37], vcc, s[38:39]
	s_orn2_b64 s[36:37], s[36:37], exec
	s_and_b64 s[40:41], vcc, exec
; %bb.54:                               ;   in Loop: Header=BB1256_52 Depth=1
	s_or_b64 exec, exec, s[42:43]
	s_andn2_b64 s[30:31], s[30:31], exec
	s_and_b64 s[42:43], s[36:37], exec
	s_mov_b64 s[38:39], -1
	s_or_b64 s[30:31], s[30:31], s[42:43]
	s_and_saveexec_b64 s[42:43], s[40:41]
	s_cbranch_execz .LBB1256_51
; %bb.55:                               ;   in Loop: Header=BB1256_52 Depth=1
	s_add_u32 s34, s34, -1
	s_addc_u32 s35, s35, -1
	s_cmp_eq_u64 s[34:35], 0
	s_cselect_b64 s[38:39], -1, 0
	v_lshl_add_u64 v[4:5], v[4:5], 0, 2
	v_lshl_add_u64 v[6:7], v[6:7], 0, 2
	s_andn2_b64 s[30:31], s[30:31], exec
	s_orn2_b64 s[38:39], s[38:39], exec
	s_branch .LBB1256_51
.LBB1256_56:
	s_or_b64 exec, exec, s[26:27]
	s_xor_b64 s[26:27], s[28:29], -1
	s_andn2_b64 s[18:19], s[18:19], exec
	s_and_b64 s[26:27], s[26:27], exec
	s_or_b64 s[18:19], s[18:19], s[26:27]
.LBB1256_57:
	s_or_b64 exec, exec, s[24:25]
	s_orn2_b64 s[18:19], s[18:19], exec
.LBB1256_58:
	s_or_b64 exec, exec, s[22:23]
	v_mov_b32_e32 v5, s33
	v_mov_b32_e32 v6, s5
	v_cndmask_b32_e64 v4, v8, v9, s[18:19]
	v_cndmask_b32_e64 v5, v5, v6, s[18:19]
	v_add_u32_e32 v6, 1, v4
	v_add_u32_e32 v4, -1, v5
	v_min_u32_e32 v4, v6, v4
	v_lshlrev_b32_e32 v4, 3, v4
	ds_read_b64 v[4:5], v4
	v_cndmask_b32_e64 v10, v6, v8, s[18:19]
	v_cndmask_b32_e64 v11, v9, v6, s[18:19]
	v_cmp_gt_u32_e32 vcc, s33, v10
	s_waitcnt lgkmcnt(0)
	v_cndmask_b32_e64 v22, v5, v1, s[18:19]
	v_cndmask_b32_e64 v23, v4, v19, s[18:19]
	;; [unrolled: 1-line block ×4, first 2 shown]
	s_and_saveexec_b64 s[22:23], vcc
	s_cbranch_execz .LBB1256_68
; %bb.59:
	v_cmp_gt_u32_e64 s[20:21], s5, v11
	s_xor_b64 s[24:25], s[2:3], -1
	s_and_b64 s[26:27], s[20:21], s[24:25]
	s_and_saveexec_b64 s[24:25], s[26:27]
	s_cbranch_execz .LBB1256_67
; %bb.60:
	v_mul_lo_u32 v6, v22, s12
	v_mul_lo_u32 v7, v23, s13
	v_mad_u64_u32 v[4:5], s[26:27], v23, s12, 0
	v_add3_u32 v5, v5, v7, v6
	v_mul_lo_u32 v8, v24, s12
	v_mul_lo_u32 v9, v25, s13
	v_mad_u64_u32 v[6:7], s[26:27], v25, s12, 0
	v_add3_u32 v7, v7, v9, v8
	v_lshl_add_u64 v[4:5], v[4:5], 1, s[14:15]
	v_lshl_add_u64 v[6:7], v[6:7], 1, s[14:15]
	s_mov_b64 s[26:27], 0
	s_mov_b64 s[34:35], s[12:13]
                                        ; implicit-def: $sgpr28_sgpr29
                                        ; implicit-def: $sgpr30_sgpr31
                                        ; implicit-def: $sgpr38_sgpr39
	s_branch .LBB1256_62
.LBB1256_61:                            ;   in Loop: Header=BB1256_62 Depth=1
	s_or_b64 exec, exec, s[42:43]
	s_and_b64 s[38:39], exec, s[38:39]
	s_or_b64 s[26:27], s[38:39], s[26:27]
	s_andn2_b64 s[28:29], s[28:29], exec
	s_and_b64 s[38:39], s[30:31], exec
	s_or_b64 s[28:29], s[28:29], s[38:39]
	s_mov_b64 s[38:39], s[36:37]
	s_andn2_b64 exec, exec, s[26:27]
	s_cbranch_execz .LBB1256_66
.LBB1256_62:                            ; =>This Inner Loop Header: Depth=1
	global_load_ushort v8, v[4:5], off
	global_load_ushort v9, v[6:7], off
	s_mov_b64 s[40:41], 0
	s_mov_b64 s[36:37], -1
	s_waitcnt vmcnt(0)
	v_cmp_nlt_f16_e32 vcc, v8, v9
	s_and_saveexec_b64 s[42:43], vcc
; %bb.63:                               ;   in Loop: Header=BB1256_62 Depth=1
	v_cmp_ngt_f16_e32 vcc, v8, v9
	s_and_b64 s[36:37], vcc, s[38:39]
	s_orn2_b64 s[36:37], s[36:37], exec
	s_and_b64 s[40:41], vcc, exec
; %bb.64:                               ;   in Loop: Header=BB1256_62 Depth=1
	s_or_b64 exec, exec, s[42:43]
	s_andn2_b64 s[30:31], s[30:31], exec
	s_and_b64 s[42:43], s[36:37], exec
	s_mov_b64 s[38:39], -1
	s_or_b64 s[30:31], s[30:31], s[42:43]
	s_and_saveexec_b64 s[42:43], s[40:41]
	s_cbranch_execz .LBB1256_61
; %bb.65:                               ;   in Loop: Header=BB1256_62 Depth=1
	s_add_u32 s34, s34, -1
	s_addc_u32 s35, s35, -1
	s_cmp_eq_u64 s[34:35], 0
	s_cselect_b64 s[38:39], -1, 0
	v_lshl_add_u64 v[4:5], v[4:5], 0, 2
	v_lshl_add_u64 v[6:7], v[6:7], 0, 2
	s_andn2_b64 s[30:31], s[30:31], exec
	s_orn2_b64 s[38:39], s[38:39], exec
	s_branch .LBB1256_61
.LBB1256_66:
	s_or_b64 exec, exec, s[26:27]
	s_xor_b64 s[26:27], s[28:29], -1
	s_andn2_b64 s[20:21], s[20:21], exec
	s_and_b64 s[26:27], s[26:27], exec
	s_or_b64 s[20:21], s[20:21], s[26:27]
.LBB1256_67:
	s_or_b64 exec, exec, s[24:25]
	s_orn2_b64 s[20:21], s[20:21], exec
.LBB1256_68:
	s_or_b64 exec, exec, s[22:23]
	v_mov_b32_e32 v5, s33
	v_mov_b32_e32 v6, s5
	v_cndmask_b32_e64 v4, v10, v11, s[20:21]
	v_cndmask_b32_e64 v5, v5, v6, s[20:21]
	v_add_u32_e32 v6, 1, v4
	v_add_u32_e32 v4, -1, v5
	v_min_u32_e32 v4, v6, v4
	v_lshlrev_b32_e32 v4, 3, v4
	ds_read_b64 v[4:5], v4
	v_cndmask_b32_e64 v12, v6, v10, s[20:21]
	v_cndmask_b32_e64 v13, v11, v6, s[20:21]
	v_cmp_gt_u32_e32 vcc, s33, v12
	s_mov_b64 s[24:25], -1
	s_waitcnt lgkmcnt(0)
	v_cndmask_b32_e64 v8, v5, v22, s[20:21]
	v_cndmask_b32_e64 v26, v4, v23, s[20:21]
	;; [unrolled: 1-line block ×4, first 2 shown]
	s_mov_b64 s[22:23], -1
	s_and_saveexec_b64 s[26:27], vcc
	s_cbranch_execz .LBB1256_78
; %bb.69:
	v_cmp_gt_u32_e64 s[22:23], s5, v13
	s_xor_b64 s[28:29], s[2:3], -1
	s_and_b64 s[30:31], s[22:23], s[28:29]
	s_and_saveexec_b64 s[28:29], s[30:31]
	s_cbranch_execz .LBB1256_77
; %bb.70:
	v_mul_lo_u32 v6, v8, s12
	v_mul_lo_u32 v7, v26, s13
	v_mad_u64_u32 v[4:5], s[30:31], v26, s12, 0
	v_add3_u32 v5, v5, v7, v6
	v_mul_lo_u32 v10, v9, s12
	v_mul_lo_u32 v11, v27, s13
	v_mad_u64_u32 v[6:7], s[30:31], v27, s12, 0
	v_add3_u32 v7, v7, v11, v10
	v_lshl_add_u64 v[4:5], v[4:5], 1, s[14:15]
	v_lshl_add_u64 v[6:7], v[6:7], 1, s[14:15]
	s_mov_b64 s[30:31], 0
	s_mov_b64 s[38:39], s[12:13]
                                        ; implicit-def: $sgpr34_sgpr35
                                        ; implicit-def: $sgpr36_sgpr37
                                        ; implicit-def: $sgpr42_sgpr43
	s_branch .LBB1256_72
.LBB1256_71:                            ;   in Loop: Header=BB1256_72 Depth=1
	s_or_b64 exec, exec, s[46:47]
	s_and_b64 s[42:43], exec, s[42:43]
	s_or_b64 s[30:31], s[42:43], s[30:31]
	s_andn2_b64 s[34:35], s[34:35], exec
	s_and_b64 s[42:43], s[36:37], exec
	s_or_b64 s[34:35], s[34:35], s[42:43]
	s_mov_b64 s[42:43], s[40:41]
	s_andn2_b64 exec, exec, s[30:31]
	s_cbranch_execz .LBB1256_76
.LBB1256_72:                            ; =>This Inner Loop Header: Depth=1
	global_load_ushort v10, v[4:5], off
	global_load_ushort v11, v[6:7], off
	s_mov_b64 s[44:45], 0
	s_mov_b64 s[40:41], -1
	s_waitcnt vmcnt(0)
	v_cmp_nlt_f16_e32 vcc, v10, v11
	s_and_saveexec_b64 s[46:47], vcc
; %bb.73:                               ;   in Loop: Header=BB1256_72 Depth=1
	v_cmp_ngt_f16_e32 vcc, v10, v11
	s_and_b64 s[40:41], vcc, s[42:43]
	s_orn2_b64 s[40:41], s[40:41], exec
	s_and_b64 s[44:45], vcc, exec
; %bb.74:                               ;   in Loop: Header=BB1256_72 Depth=1
	s_or_b64 exec, exec, s[46:47]
	s_andn2_b64 s[36:37], s[36:37], exec
	s_and_b64 s[46:47], s[40:41], exec
	s_mov_b64 s[42:43], -1
	s_or_b64 s[36:37], s[36:37], s[46:47]
	s_and_saveexec_b64 s[46:47], s[44:45]
	s_cbranch_execz .LBB1256_71
; %bb.75:                               ;   in Loop: Header=BB1256_72 Depth=1
	s_add_u32 s38, s38, -1
	s_addc_u32 s39, s39, -1
	s_cmp_eq_u64 s[38:39], 0
	s_cselect_b64 s[42:43], -1, 0
	v_lshl_add_u64 v[4:5], v[4:5], 0, 2
	v_lshl_add_u64 v[6:7], v[6:7], 0, 2
	s_andn2_b64 s[36:37], s[36:37], exec
	s_orn2_b64 s[42:43], s[42:43], exec
	s_branch .LBB1256_71
.LBB1256_76:
	s_or_b64 exec, exec, s[30:31]
	s_xor_b64 s[30:31], s[34:35], -1
	s_andn2_b64 s[22:23], s[22:23], exec
	s_and_b64 s[30:31], s[30:31], exec
	s_or_b64 s[22:23], s[22:23], s[30:31]
.LBB1256_77:
	s_or_b64 exec, exec, s[28:29]
	s_orn2_b64 s[22:23], s[22:23], exec
.LBB1256_78:
	s_or_b64 exec, exec, s[26:27]
	v_mov_b32_e32 v5, s33
	v_mov_b32_e32 v6, s5
	v_cndmask_b32_e64 v4, v12, v13, s[22:23]
	v_cndmask_b32_e64 v5, v5, v6, s[22:23]
	v_add_u32_e32 v6, 1, v4
	v_add_u32_e32 v4, -1, v5
	v_min_u32_e32 v4, v6, v4
	v_lshlrev_b32_e32 v4, 3, v4
	ds_read_b64 v[4:5], v4
	v_cndmask_b32_e64 v14, v6, v12, s[22:23]
	v_cndmask_b32_e64 v15, v13, v6, s[22:23]
	v_cmp_gt_u32_e32 vcc, s33, v14
	s_waitcnt lgkmcnt(0)
	v_cndmask_b32_e64 v10, v5, v8, s[22:23]
	v_cndmask_b32_e64 v28, v4, v26, s[22:23]
	;; [unrolled: 1-line block ×4, first 2 shown]
	s_and_saveexec_b64 s[26:27], vcc
	s_cbranch_execz .LBB1256_88
; %bb.79:
	v_cmp_gt_u32_e64 s[24:25], s5, v15
	s_xor_b64 s[28:29], s[2:3], -1
	s_and_b64 s[30:31], s[24:25], s[28:29]
	s_and_saveexec_b64 s[28:29], s[30:31]
	s_cbranch_execz .LBB1256_87
; %bb.80:
	v_mul_lo_u32 v6, v10, s12
	v_mul_lo_u32 v7, v28, s13
	v_mad_u64_u32 v[4:5], s[30:31], v28, s12, 0
	v_add3_u32 v5, v5, v7, v6
	v_mul_lo_u32 v12, v11, s12
	v_mul_lo_u32 v13, v29, s13
	v_mad_u64_u32 v[6:7], s[30:31], v29, s12, 0
	v_add3_u32 v7, v7, v13, v12
	v_lshl_add_u64 v[4:5], v[4:5], 1, s[14:15]
	v_lshl_add_u64 v[6:7], v[6:7], 1, s[14:15]
	s_mov_b64 s[30:31], 0
	s_mov_b64 s[38:39], s[12:13]
                                        ; implicit-def: $sgpr34_sgpr35
                                        ; implicit-def: $sgpr36_sgpr37
                                        ; implicit-def: $sgpr42_sgpr43
	s_branch .LBB1256_82
.LBB1256_81:                            ;   in Loop: Header=BB1256_82 Depth=1
	s_or_b64 exec, exec, s[46:47]
	s_and_b64 s[42:43], exec, s[42:43]
	s_or_b64 s[30:31], s[42:43], s[30:31]
	s_andn2_b64 s[34:35], s[34:35], exec
	s_and_b64 s[42:43], s[36:37], exec
	s_or_b64 s[34:35], s[34:35], s[42:43]
	s_mov_b64 s[42:43], s[40:41]
	s_andn2_b64 exec, exec, s[30:31]
	s_cbranch_execz .LBB1256_86
.LBB1256_82:                            ; =>This Inner Loop Header: Depth=1
	global_load_ushort v12, v[4:5], off
	global_load_ushort v13, v[6:7], off
	s_mov_b64 s[44:45], 0
	s_mov_b64 s[40:41], -1
	s_waitcnt vmcnt(0)
	v_cmp_nlt_f16_e32 vcc, v12, v13
	s_and_saveexec_b64 s[46:47], vcc
; %bb.83:                               ;   in Loop: Header=BB1256_82 Depth=1
	v_cmp_ngt_f16_e32 vcc, v12, v13
	s_and_b64 s[40:41], vcc, s[42:43]
	s_orn2_b64 s[40:41], s[40:41], exec
	s_and_b64 s[44:45], vcc, exec
; %bb.84:                               ;   in Loop: Header=BB1256_82 Depth=1
	s_or_b64 exec, exec, s[46:47]
	s_andn2_b64 s[36:37], s[36:37], exec
	s_and_b64 s[46:47], s[40:41], exec
	s_mov_b64 s[42:43], -1
	s_or_b64 s[36:37], s[36:37], s[46:47]
	s_and_saveexec_b64 s[46:47], s[44:45]
	s_cbranch_execz .LBB1256_81
; %bb.85:                               ;   in Loop: Header=BB1256_82 Depth=1
	s_add_u32 s38, s38, -1
	s_addc_u32 s39, s39, -1
	s_cmp_eq_u64 s[38:39], 0
	s_cselect_b64 s[42:43], -1, 0
	v_lshl_add_u64 v[4:5], v[4:5], 0, 2
	v_lshl_add_u64 v[6:7], v[6:7], 0, 2
	s_andn2_b64 s[36:37], s[36:37], exec
	s_orn2_b64 s[42:43], s[42:43], exec
	s_branch .LBB1256_81
.LBB1256_86:
	s_or_b64 exec, exec, s[30:31]
	s_xor_b64 s[30:31], s[34:35], -1
	s_andn2_b64 s[24:25], s[24:25], exec
	s_and_b64 s[30:31], s[30:31], exec
	s_or_b64 s[24:25], s[24:25], s[30:31]
.LBB1256_87:
	s_or_b64 exec, exec, s[28:29]
	s_orn2_b64 s[24:25], s[24:25], exec
.LBB1256_88:
	s_or_b64 exec, exec, s[26:27]
	v_mov_b32_e32 v5, s33
	v_mov_b32_e32 v6, s5
	v_cndmask_b32_e64 v4, v14, v15, s[24:25]
	v_cndmask_b32_e64 v5, v5, v6, s[24:25]
	v_add_u32_e32 v6, 1, v4
	v_add_u32_e32 v4, -1, v5
	v_min_u32_e32 v4, v6, v4
	v_lshlrev_b32_e32 v4, 3, v4
	ds_read_b64 v[4:5], v4
	v_cndmask_b32_e64 v34, v6, v14, s[24:25]
	v_cndmask_b32_e64 v35, v15, v6, s[24:25]
	v_cmp_gt_u32_e32 vcc, s33, v34
	s_mov_b64 s[28:29], -1
	s_waitcnt lgkmcnt(0)
	v_cndmask_b32_e64 v12, v5, v10, s[24:25]
	v_cndmask_b32_e64 v30, v4, v28, s[24:25]
	;; [unrolled: 1-line block ×4, first 2 shown]
	s_mov_b64 s[26:27], -1
	s_and_saveexec_b64 s[30:31], vcc
	s_cbranch_execz .LBB1256_98
; %bb.89:
	v_cmp_gt_u32_e64 s[26:27], s5, v35
	s_xor_b64 s[34:35], s[2:3], -1
	s_and_b64 s[36:37], s[26:27], s[34:35]
	s_and_saveexec_b64 s[34:35], s[36:37]
	s_cbranch_execz .LBB1256_97
; %bb.90:
	v_mul_lo_u32 v6, v12, s12
	v_mul_lo_u32 v7, v30, s13
	v_mad_u64_u32 v[4:5], s[36:37], v30, s12, 0
	v_add3_u32 v5, v5, v7, v6
	v_mul_lo_u32 v14, v13, s12
	v_mul_lo_u32 v15, v31, s13
	v_mad_u64_u32 v[6:7], s[36:37], v31, s12, 0
	v_add3_u32 v7, v7, v15, v14
	v_lshl_add_u64 v[4:5], v[4:5], 1, s[14:15]
	v_lshl_add_u64 v[6:7], v[6:7], 1, s[14:15]
	s_mov_b64 s[36:37], 0
	s_mov_b64 s[42:43], s[12:13]
                                        ; implicit-def: $sgpr38_sgpr39
                                        ; implicit-def: $sgpr40_sgpr41
                                        ; implicit-def: $sgpr46_sgpr47
	s_branch .LBB1256_92
.LBB1256_91:                            ;   in Loop: Header=BB1256_92 Depth=1
	s_or_b64 exec, exec, s[50:51]
	s_and_b64 s[46:47], exec, s[46:47]
	s_or_b64 s[36:37], s[46:47], s[36:37]
	s_andn2_b64 s[38:39], s[38:39], exec
	s_and_b64 s[46:47], s[40:41], exec
	s_or_b64 s[38:39], s[38:39], s[46:47]
	s_mov_b64 s[46:47], s[44:45]
	s_andn2_b64 exec, exec, s[36:37]
	s_cbranch_execz .LBB1256_96
.LBB1256_92:                            ; =>This Inner Loop Header: Depth=1
	global_load_ushort v14, v[4:5], off
	global_load_ushort v15, v[6:7], off
	s_mov_b64 s[48:49], 0
	s_mov_b64 s[44:45], -1
	s_waitcnt vmcnt(0)
	v_cmp_nlt_f16_e32 vcc, v14, v15
	s_and_saveexec_b64 s[50:51], vcc
; %bb.93:                               ;   in Loop: Header=BB1256_92 Depth=1
	v_cmp_ngt_f16_e32 vcc, v14, v15
	s_and_b64 s[44:45], vcc, s[46:47]
	s_orn2_b64 s[44:45], s[44:45], exec
	s_and_b64 s[48:49], vcc, exec
; %bb.94:                               ;   in Loop: Header=BB1256_92 Depth=1
	s_or_b64 exec, exec, s[50:51]
	s_andn2_b64 s[40:41], s[40:41], exec
	s_and_b64 s[50:51], s[44:45], exec
	s_mov_b64 s[46:47], -1
	s_or_b64 s[40:41], s[40:41], s[50:51]
	s_and_saveexec_b64 s[50:51], s[48:49]
	s_cbranch_execz .LBB1256_91
; %bb.95:                               ;   in Loop: Header=BB1256_92 Depth=1
	s_add_u32 s42, s42, -1
	s_addc_u32 s43, s43, -1
	s_cmp_eq_u64 s[42:43], 0
	s_cselect_b64 s[46:47], -1, 0
	v_lshl_add_u64 v[4:5], v[4:5], 0, 2
	v_lshl_add_u64 v[6:7], v[6:7], 0, 2
	s_andn2_b64 s[40:41], s[40:41], exec
	s_orn2_b64 s[46:47], s[46:47], exec
	s_branch .LBB1256_91
.LBB1256_96:
	s_or_b64 exec, exec, s[36:37]
	s_xor_b64 s[36:37], s[38:39], -1
	s_andn2_b64 s[26:27], s[26:27], exec
	s_and_b64 s[36:37], s[36:37], exec
	s_or_b64 s[26:27], s[26:27], s[36:37]
.LBB1256_97:
	s_or_b64 exec, exec, s[34:35]
	s_orn2_b64 s[26:27], s[26:27], exec
.LBB1256_98:
	s_or_b64 exec, exec, s[30:31]
	v_mov_b32_e32 v5, s33
	v_mov_b32_e32 v6, s5
	v_cndmask_b32_e64 v4, v34, v35, s[26:27]
	v_cndmask_b32_e64 v5, v5, v6, s[26:27]
	v_add_u32_e32 v6, 1, v4
	v_add_u32_e32 v4, -1, v5
	v_min_u32_e32 v4, v6, v4
	v_lshlrev_b32_e32 v4, 3, v4
	ds_read_b64 v[4:5], v4
	v_cndmask_b32_e64 v39, v6, v34, s[26:27]
	v_cndmask_b32_e64 v38, v35, v6, s[26:27]
	v_cmp_gt_u32_e32 vcc, s33, v39
	s_waitcnt lgkmcnt(0)
	v_cndmask_b32_e64 v14, v5, v12, s[26:27]
	v_cndmask_b32_e64 v32, v4, v30, s[26:27]
	;; [unrolled: 1-line block ×4, first 2 shown]
	s_and_saveexec_b64 s[30:31], vcc
	s_cbranch_execz .LBB1256_108
; %bb.99:
	v_cmp_gt_u32_e64 s[28:29], s5, v38
	s_xor_b64 s[34:35], s[2:3], -1
	s_and_b64 s[36:37], s[28:29], s[34:35]
	s_and_saveexec_b64 s[34:35], s[36:37]
	s_cbranch_execz .LBB1256_107
; %bb.100:
	v_mul_lo_u32 v6, v14, s12
	v_mul_lo_u32 v7, v32, s13
	v_mad_u64_u32 v[4:5], s[36:37], v32, s12, 0
	v_add3_u32 v5, v5, v7, v6
	v_mul_lo_u32 v34, v15, s12
	v_mul_lo_u32 v35, v33, s13
	v_mad_u64_u32 v[6:7], s[36:37], v33, s12, 0
	v_add3_u32 v7, v7, v35, v34
	v_lshl_add_u64 v[4:5], v[4:5], 1, s[14:15]
	v_lshl_add_u64 v[6:7], v[6:7], 1, s[14:15]
	s_mov_b64 s[36:37], 0
	s_mov_b64 s[42:43], s[12:13]
                                        ; implicit-def: $sgpr38_sgpr39
                                        ; implicit-def: $sgpr40_sgpr41
                                        ; implicit-def: $sgpr46_sgpr47
	s_branch .LBB1256_102
.LBB1256_101:                           ;   in Loop: Header=BB1256_102 Depth=1
	s_or_b64 exec, exec, s[50:51]
	s_and_b64 s[46:47], exec, s[46:47]
	s_or_b64 s[36:37], s[46:47], s[36:37]
	s_andn2_b64 s[38:39], s[38:39], exec
	s_and_b64 s[46:47], s[40:41], exec
	s_or_b64 s[38:39], s[38:39], s[46:47]
	s_mov_b64 s[46:47], s[44:45]
	s_andn2_b64 exec, exec, s[36:37]
	s_cbranch_execz .LBB1256_106
.LBB1256_102:                           ; =>This Inner Loop Header: Depth=1
	global_load_ushort v34, v[4:5], off
	global_load_ushort v35, v[6:7], off
	s_mov_b64 s[48:49], 0
	s_mov_b64 s[44:45], -1
	s_waitcnt vmcnt(0)
	v_cmp_nlt_f16_e32 vcc, v34, v35
	s_and_saveexec_b64 s[50:51], vcc
; %bb.103:                              ;   in Loop: Header=BB1256_102 Depth=1
	v_cmp_ngt_f16_e32 vcc, v34, v35
	s_and_b64 s[44:45], vcc, s[46:47]
	s_orn2_b64 s[44:45], s[44:45], exec
	s_and_b64 s[48:49], vcc, exec
; %bb.104:                              ;   in Loop: Header=BB1256_102 Depth=1
	s_or_b64 exec, exec, s[50:51]
	s_andn2_b64 s[40:41], s[40:41], exec
	s_and_b64 s[50:51], s[44:45], exec
	s_mov_b64 s[46:47], -1
	s_or_b64 s[40:41], s[40:41], s[50:51]
	s_and_saveexec_b64 s[50:51], s[48:49]
	s_cbranch_execz .LBB1256_101
; %bb.105:                              ;   in Loop: Header=BB1256_102 Depth=1
	s_add_u32 s42, s42, -1
	s_addc_u32 s43, s43, -1
	s_cmp_eq_u64 s[42:43], 0
	s_cselect_b64 s[46:47], -1, 0
	v_lshl_add_u64 v[4:5], v[4:5], 0, 2
	v_lshl_add_u64 v[6:7], v[6:7], 0, 2
	s_andn2_b64 s[40:41], s[40:41], exec
	s_orn2_b64 s[46:47], s[46:47], exec
	s_branch .LBB1256_101
.LBB1256_106:
	s_or_b64 exec, exec, s[36:37]
	s_xor_b64 s[36:37], s[38:39], -1
	s_andn2_b64 s[28:29], s[28:29], exec
	s_and_b64 s[36:37], s[36:37], exec
	s_or_b64 s[28:29], s[28:29], s[36:37]
.LBB1256_107:
	s_or_b64 exec, exec, s[34:35]
	s_orn2_b64 s[28:29], s[28:29], exec
.LBB1256_108:
	s_or_b64 exec, exec, s[30:31]
	v_mov_b32_e32 v5, s33
	v_mov_b32_e32 v6, s5
	v_cndmask_b32_e64 v4, v39, v38, s[28:29]
	v_cndmask_b32_e64 v5, v5, v6, s[28:29]
	v_add_u32_e32 v4, 1, v4
	v_add_u32_e32 v5, -1, v5
	v_min_u32_e32 v5, v4, v5
	v_lshlrev_b32_e32 v5, 3, v5
	ds_read_b64 v[6:7], v5
	v_cndmask_b32_e64 v5, v4, v39, s[28:29]
	v_cmp_gt_u32_e32 vcc, s33, v5
	s_mov_b64 s[34:35], -1
	s_waitcnt lgkmcnt(0)
	v_cndmask_b32_e64 v34, v7, v14, s[28:29]
	v_cndmask_b32_e64 v35, v6, v32, s[28:29]
	;; [unrolled: 1-line block ×4, first 2 shown]
	s_and_saveexec_b64 s[30:31], vcc
	s_cbranch_execz .LBB1256_118
; %bb.109:
	v_cndmask_b32_e64 v4, v38, v4, s[28:29]
	v_cmp_gt_u32_e64 s[34:35], s5, v4
	s_xor_b64 s[2:3], s[2:3], -1
	s_and_b64 s[36:37], s[34:35], s[2:3]
	s_and_saveexec_b64 s[2:3], s[36:37]
	s_cbranch_execz .LBB1256_117
; %bb.110:
	v_mul_lo_u32 v6, v34, s12
	v_mul_lo_u32 v7, v35, s13
	v_mad_u64_u32 v[4:5], s[36:37], v35, s12, 0
	v_add3_u32 v5, v5, v7, v6
	v_mul_lo_u32 v38, v36, s12
	v_mul_lo_u32 v39, v37, s13
	v_mad_u64_u32 v[6:7], s[36:37], v37, s12, 0
	v_add3_u32 v7, v7, v39, v38
	v_lshl_add_u64 v[4:5], v[4:5], 1, s[14:15]
	v_lshl_add_u64 v[6:7], v[6:7], 1, s[14:15]
	s_mov_b64 s[14:15], 0
                                        ; implicit-def: $sgpr36_sgpr37
                                        ; implicit-def: $sgpr38_sgpr39
                                        ; implicit-def: $sgpr42_sgpr43
	s_branch .LBB1256_112
.LBB1256_111:                           ;   in Loop: Header=BB1256_112 Depth=1
	s_or_b64 exec, exec, s[46:47]
	s_and_b64 s[42:43], exec, s[42:43]
	s_or_b64 s[14:15], s[42:43], s[14:15]
	s_andn2_b64 s[36:37], s[36:37], exec
	s_and_b64 s[42:43], s[38:39], exec
	s_or_b64 s[36:37], s[36:37], s[42:43]
	s_mov_b64 s[42:43], s[40:41]
	s_andn2_b64 exec, exec, s[14:15]
	s_cbranch_execz .LBB1256_116
.LBB1256_112:                           ; =>This Inner Loop Header: Depth=1
	global_load_ushort v38, v[4:5], off
	global_load_ushort v39, v[6:7], off
	s_mov_b64 s[44:45], 0
	s_mov_b64 s[40:41], -1
	s_waitcnt vmcnt(0)
	v_cmp_nlt_f16_e32 vcc, v38, v39
	s_and_saveexec_b64 s[46:47], vcc
; %bb.113:                              ;   in Loop: Header=BB1256_112 Depth=1
	v_cmp_ngt_f16_e32 vcc, v38, v39
	s_and_b64 s[40:41], vcc, s[42:43]
	s_orn2_b64 s[40:41], s[40:41], exec
	s_and_b64 s[44:45], vcc, exec
; %bb.114:                              ;   in Loop: Header=BB1256_112 Depth=1
	s_or_b64 exec, exec, s[46:47]
	s_andn2_b64 s[38:39], s[38:39], exec
	s_and_b64 s[46:47], s[40:41], exec
	s_mov_b64 s[42:43], -1
	s_or_b64 s[38:39], s[38:39], s[46:47]
	s_and_saveexec_b64 s[46:47], s[44:45]
	s_cbranch_execz .LBB1256_111
; %bb.115:                              ;   in Loop: Header=BB1256_112 Depth=1
	s_add_u32 s12, s12, -1
	s_addc_u32 s13, s13, -1
	s_cmp_eq_u64 s[12:13], 0
	s_cselect_b64 s[42:43], -1, 0
	v_lshl_add_u64 v[4:5], v[4:5], 0, 2
	v_lshl_add_u64 v[6:7], v[6:7], 0, 2
	s_andn2_b64 s[38:39], s[38:39], exec
	s_orn2_b64 s[42:43], s[42:43], exec
	s_branch .LBB1256_111
.LBB1256_116:
	s_or_b64 exec, exec, s[14:15]
	s_xor_b64 s[12:13], s[36:37], -1
	s_andn2_b64 s[14:15], s[34:35], exec
	s_and_b64 s[12:13], s[12:13], exec
	s_or_b64 s[34:35], s[14:15], s[12:13]
.LBB1256_117:
	s_or_b64 exec, exec, s[2:3]
	s_orn2_b64 s[34:35], s[34:35], exec
.LBB1256_118:
	s_or_b64 exec, exec, s[30:31]
	v_cndmask_b32_e64 v15, v14, v15, s[28:29]
	v_cndmask_b32_e64 v14, v32, v33, s[28:29]
	;; [unrolled: 1-line block ×16, first 2 shown]
.LBB1256_119:
	s_or_b64 exec, exec, s[8:9]
	v_lshrrev_b32_e32 v1, 2, v0
	v_lshlrev_b32_e32 v19, 3, v18
	v_lshl_add_u32 v19, v1, 3, v19
	v_and_b32_e32 v1, 24, v1
	v_or_b32_e32 v23, 0x80, v0
	v_add_u32_e32 v24, v1, v18
	v_lshrrev_b32_e32 v1, 2, v23
	v_and_b32_e32 v1, 56, v1
	v_or_b32_e32 v22, 0x100, v0
	s_barrier
	s_barrier
	ds_write2_b64 v19, v[2:3], v[4:5] offset1:1
	ds_write2_b64 v19, v[6:7], v[8:9] offset0:2 offset1:3
	ds_write2_b64 v19, v[10:11], v[12:13] offset0:4 offset1:5
	;; [unrolled: 1-line block ×3, first 2 shown]
	v_add_u32_e32 v4, v1, v18
	v_lshrrev_b32_e32 v1, 2, v22
	v_and_b32_e32 v1, 0x58, v1
	v_or_b32_e32 v21, 0x180, v0
	v_add_u32_e32 v5, v1, v18
	v_lshrrev_b32_e32 v1, 2, v21
	v_and_b32_e32 v1, 0x78, v1
	v_or_b32_e32 v20, 0x200, v0
	;; [unrolled: 4-line block ×4, first 2 shown]
	v_add_u32_e32 v25, v1, v18
	v_lshrrev_b32_e32 v1, 2, v16
	v_and_b32_e32 v1, 0xd8, v1
	s_lshl_b64 s[0:1], s[16:17], 3
	v_add_u32_e32 v26, v1, v18
	v_or_b32_e32 v1, 0x380, v0
	s_add_u32 s0, s10, s0
	v_lshrrev_b32_e32 v2, 2, v1
	s_addc_u32 s1, s11, s1
	v_and_b32_e32 v2, 0xf8, v2
	v_mov_b32_e32 v19, 0
	v_add_u32_e32 v27, v2, v18
	v_lshl_add_u64 v[2:3], s[0:1], 0, v[18:19]
	s_and_b64 vcc, exec, s[6:7]
	s_waitcnt lgkmcnt(0)
	s_cbranch_vccz .LBB1256_121
; %bb.120:
	s_barrier
	ds_read_b64 v[8:9], v24
	ds_read_b64 v[10:11], v4 offset:1024
	ds_read_b64 v[12:13], v5 offset:2048
	;; [unrolled: 1-line block ×7, first 2 shown]
	s_waitcnt lgkmcnt(7)
	global_store_dwordx2 v[2:3], v[8:9], off
	s_waitcnt lgkmcnt(6)
	global_store_dwordx2 v[2:3], v[10:11], off offset:1024
	s_waitcnt lgkmcnt(5)
	global_store_dwordx2 v[2:3], v[12:13], off offset:2048
	;; [unrolled: 2-line block ×3, first 2 shown]
	v_add_co_u32_e32 v8, vcc, 0x1000, v2
	s_nop 1
	v_addc_co_u32_e32 v9, vcc, 0, v3, vcc
	s_waitcnt lgkmcnt(3)
	global_store_dwordx2 v[8:9], v[28:29], off
	s_waitcnt lgkmcnt(2)
	global_store_dwordx2 v[8:9], v[30:31], off offset:1024
	s_waitcnt lgkmcnt(1)
	global_store_dwordx2 v[8:9], v[32:33], off offset:2048
	s_mov_b64 s[0:1], -1
	s_cbranch_execz .LBB1256_122
	s_branch .LBB1256_131
.LBB1256_121:
	s_mov_b64 s[0:1], 0
                                        ; implicit-def: $vgpr18_vgpr19
.LBB1256_122:
	s_barrier
	s_waitcnt lgkmcnt(0)
	ds_read_b64 v[14:15], v4 offset:1024
	ds_read_b64 v[12:13], v5 offset:2048
	;; [unrolled: 1-line block ×7, first 2 shown]
	s_sub_i32 s2, s4, s16
	v_cmp_gt_u32_e32 vcc, s2, v0
	s_and_saveexec_b64 s[0:1], vcc
	s_cbranch_execnz .LBB1256_134
; %bb.123:
	s_or_b64 exec, exec, s[0:1]
	v_cmp_gt_u32_e32 vcc, s2, v23
	s_and_saveexec_b64 s[0:1], vcc
	s_cbranch_execnz .LBB1256_135
.LBB1256_124:
	s_or_b64 exec, exec, s[0:1]
	v_cmp_gt_u32_e32 vcc, s2, v22
	s_and_saveexec_b64 s[0:1], vcc
	s_cbranch_execnz .LBB1256_136
.LBB1256_125:
	s_or_b64 exec, exec, s[0:1]
	v_cmp_gt_u32_e32 vcc, s2, v21
	s_and_saveexec_b64 s[0:1], vcc
	s_cbranch_execnz .LBB1256_137
.LBB1256_126:
	s_or_b64 exec, exec, s[0:1]
	v_cmp_gt_u32_e32 vcc, s2, v20
	s_and_saveexec_b64 s[0:1], vcc
	s_cbranch_execnz .LBB1256_138
.LBB1256_127:
	s_or_b64 exec, exec, s[0:1]
	v_cmp_gt_u32_e32 vcc, s2, v17
	s_and_saveexec_b64 s[0:1], vcc
	s_cbranch_execnz .LBB1256_139
.LBB1256_128:
	s_or_b64 exec, exec, s[0:1]
	v_cmp_gt_u32_e32 vcc, s2, v16
	s_and_saveexec_b64 s[0:1], vcc
	s_cbranch_execz .LBB1256_130
.LBB1256_129:
	s_waitcnt lgkmcnt(2)
	v_add_co_u32_e32 v6, vcc, 0x1000, v2
	s_nop 1
	v_addc_co_u32_e32 v7, vcc, 0, v3, vcc
	s_waitcnt lgkmcnt(1)
	global_store_dwordx2 v[6:7], v[4:5], off offset:2048
.LBB1256_130:
	s_or_b64 exec, exec, s[0:1]
	v_cmp_gt_u32_e64 s[0:1], s2, v1
.LBB1256_131:
	s_and_saveexec_b64 s[2:3], s[0:1]
	s_cbranch_execz .LBB1256_133
; %bb.132:
	v_add_co_u32_e32 v0, vcc, 0x1000, v2
	s_nop 1
	v_addc_co_u32_e32 v1, vcc, 0, v3, vcc
	s_waitcnt lgkmcnt(0)
	global_store_dwordx2 v[0:1], v[18:19], off offset:3072
.LBB1256_133:
	s_endpgm
.LBB1256_134:
	ds_read_b64 v[24:25], v24
	s_waitcnt lgkmcnt(0)
	global_store_dwordx2 v[2:3], v[24:25], off
	s_or_b64 exec, exec, s[0:1]
	v_cmp_gt_u32_e32 vcc, s2, v23
	s_and_saveexec_b64 s[0:1], vcc
	s_cbranch_execz .LBB1256_124
.LBB1256_135:
	s_waitcnt lgkmcnt(6)
	global_store_dwordx2 v[2:3], v[14:15], off offset:1024
	s_or_b64 exec, exec, s[0:1]
	v_cmp_gt_u32_e32 vcc, s2, v22
	s_and_saveexec_b64 s[0:1], vcc
	s_cbranch_execz .LBB1256_125
.LBB1256_136:
	s_waitcnt lgkmcnt(5)
	global_store_dwordx2 v[2:3], v[12:13], off offset:2048
	s_or_b64 exec, exec, s[0:1]
	v_cmp_gt_u32_e32 vcc, s2, v21
	s_and_saveexec_b64 s[0:1], vcc
	s_cbranch_execz .LBB1256_126
.LBB1256_137:
	s_waitcnt lgkmcnt(4)
	global_store_dwordx2 v[2:3], v[10:11], off offset:3072
	s_or_b64 exec, exec, s[0:1]
	v_cmp_gt_u32_e32 vcc, s2, v20
	s_and_saveexec_b64 s[0:1], vcc
	s_cbranch_execz .LBB1256_127
.LBB1256_138:
	s_waitcnt lgkmcnt(4)
	v_add_co_u32_e32 v10, vcc, 0x1000, v2
	s_nop 1
	v_addc_co_u32_e32 v11, vcc, 0, v3, vcc
	s_waitcnt lgkmcnt(3)
	global_store_dwordx2 v[10:11], v[8:9], off
	s_or_b64 exec, exec, s[0:1]
	v_cmp_gt_u32_e32 vcc, s2, v17
	s_and_saveexec_b64 s[0:1], vcc
	s_cbranch_execz .LBB1256_128
.LBB1256_139:
	s_waitcnt lgkmcnt(3)
	v_add_co_u32_e32 v8, vcc, 0x1000, v2
	s_nop 1
	v_addc_co_u32_e32 v9, vcc, 0, v3, vcc
	s_waitcnt lgkmcnt(2)
	global_store_dwordx2 v[8:9], v[6:7], off offset:1024
	s_or_b64 exec, exec, s[0:1]
	v_cmp_gt_u32_e32 vcc, s2, v16
	s_and_saveexec_b64 s[0:1], vcc
	s_cbranch_execnz .LBB1256_129
	s_branch .LBB1256_130
	.section	.rodata,"a",@progbits
	.p2align	6, 0x0
	.amdhsa_kernel _ZN7rocprim17ROCPRIM_400000_NS6detail17trampoline_kernelINS0_14default_configENS1_38merge_sort_block_merge_config_selectorIlNS0_10empty_typeEEEZZNS1_27merge_sort_block_merge_implIS3_PlPS5_mZN2at6native12_GLOBAL__N_124unique_dim_cuda_templateIN3c104HalfEEESt5tupleIJNSA_6TensorESH_SH_EERKSH_lbbbEUlllE_EE10hipError_tT0_T1_T2_jT3_P12ihipStream_tbPNSt15iterator_traitsISN_E10value_typeEPNST_ISO_E10value_typeEPSP_NS1_7vsmem_tEENKUlT_SN_SO_SP_E_clIS8_S8_S9_S9_EESM_S12_SN_SO_SP_EUlS12_E0_NS1_11comp_targetILNS1_3genE0ELNS1_11target_archE4294967295ELNS1_3gpuE0ELNS1_3repE0EEENS1_38merge_mergepath_config_static_selectorELNS0_4arch9wavefront6targetE1EEEvSO_
		.amdhsa_group_segment_fixed_size 8448
		.amdhsa_private_segment_fixed_size 0
		.amdhsa_kernarg_size 344
		.amdhsa_user_sgpr_count 2
		.amdhsa_user_sgpr_dispatch_ptr 0
		.amdhsa_user_sgpr_queue_ptr 0
		.amdhsa_user_sgpr_kernarg_segment_ptr 1
		.amdhsa_user_sgpr_dispatch_id 0
		.amdhsa_user_sgpr_kernarg_preload_length 0
		.amdhsa_user_sgpr_kernarg_preload_offset 0
		.amdhsa_user_sgpr_private_segment_size 0
		.amdhsa_uses_dynamic_stack 0
		.amdhsa_enable_private_segment 0
		.amdhsa_system_sgpr_workgroup_id_x 1
		.amdhsa_system_sgpr_workgroup_id_y 1
		.amdhsa_system_sgpr_workgroup_id_z 1
		.amdhsa_system_sgpr_workgroup_info 0
		.amdhsa_system_vgpr_workitem_id 0
		.amdhsa_next_free_vgpr 40
		.amdhsa_next_free_sgpr 52
		.amdhsa_accum_offset 40
		.amdhsa_reserve_vcc 1
		.amdhsa_float_round_mode_32 0
		.amdhsa_float_round_mode_16_64 0
		.amdhsa_float_denorm_mode_32 3
		.amdhsa_float_denorm_mode_16_64 3
		.amdhsa_dx10_clamp 1
		.amdhsa_ieee_mode 1
		.amdhsa_fp16_overflow 0
		.amdhsa_tg_split 0
		.amdhsa_exception_fp_ieee_invalid_op 0
		.amdhsa_exception_fp_denorm_src 0
		.amdhsa_exception_fp_ieee_div_zero 0
		.amdhsa_exception_fp_ieee_overflow 0
		.amdhsa_exception_fp_ieee_underflow 0
		.amdhsa_exception_fp_ieee_inexact 0
		.amdhsa_exception_int_div_zero 0
	.end_amdhsa_kernel
	.section	.text._ZN7rocprim17ROCPRIM_400000_NS6detail17trampoline_kernelINS0_14default_configENS1_38merge_sort_block_merge_config_selectorIlNS0_10empty_typeEEEZZNS1_27merge_sort_block_merge_implIS3_PlPS5_mZN2at6native12_GLOBAL__N_124unique_dim_cuda_templateIN3c104HalfEEESt5tupleIJNSA_6TensorESH_SH_EERKSH_lbbbEUlllE_EE10hipError_tT0_T1_T2_jT3_P12ihipStream_tbPNSt15iterator_traitsISN_E10value_typeEPNST_ISO_E10value_typeEPSP_NS1_7vsmem_tEENKUlT_SN_SO_SP_E_clIS8_S8_S9_S9_EESM_S12_SN_SO_SP_EUlS12_E0_NS1_11comp_targetILNS1_3genE0ELNS1_11target_archE4294967295ELNS1_3gpuE0ELNS1_3repE0EEENS1_38merge_mergepath_config_static_selectorELNS0_4arch9wavefront6targetE1EEEvSO_,"axG",@progbits,_ZN7rocprim17ROCPRIM_400000_NS6detail17trampoline_kernelINS0_14default_configENS1_38merge_sort_block_merge_config_selectorIlNS0_10empty_typeEEEZZNS1_27merge_sort_block_merge_implIS3_PlPS5_mZN2at6native12_GLOBAL__N_124unique_dim_cuda_templateIN3c104HalfEEESt5tupleIJNSA_6TensorESH_SH_EERKSH_lbbbEUlllE_EE10hipError_tT0_T1_T2_jT3_P12ihipStream_tbPNSt15iterator_traitsISN_E10value_typeEPNST_ISO_E10value_typeEPSP_NS1_7vsmem_tEENKUlT_SN_SO_SP_E_clIS8_S8_S9_S9_EESM_S12_SN_SO_SP_EUlS12_E0_NS1_11comp_targetILNS1_3genE0ELNS1_11target_archE4294967295ELNS1_3gpuE0ELNS1_3repE0EEENS1_38merge_mergepath_config_static_selectorELNS0_4arch9wavefront6targetE1EEEvSO_,comdat
.Lfunc_end1256:
	.size	_ZN7rocprim17ROCPRIM_400000_NS6detail17trampoline_kernelINS0_14default_configENS1_38merge_sort_block_merge_config_selectorIlNS0_10empty_typeEEEZZNS1_27merge_sort_block_merge_implIS3_PlPS5_mZN2at6native12_GLOBAL__N_124unique_dim_cuda_templateIN3c104HalfEEESt5tupleIJNSA_6TensorESH_SH_EERKSH_lbbbEUlllE_EE10hipError_tT0_T1_T2_jT3_P12ihipStream_tbPNSt15iterator_traitsISN_E10value_typeEPNST_ISO_E10value_typeEPSP_NS1_7vsmem_tEENKUlT_SN_SO_SP_E_clIS8_S8_S9_S9_EESM_S12_SN_SO_SP_EUlS12_E0_NS1_11comp_targetILNS1_3genE0ELNS1_11target_archE4294967295ELNS1_3gpuE0ELNS1_3repE0EEENS1_38merge_mergepath_config_static_selectorELNS0_4arch9wavefront6targetE1EEEvSO_, .Lfunc_end1256-_ZN7rocprim17ROCPRIM_400000_NS6detail17trampoline_kernelINS0_14default_configENS1_38merge_sort_block_merge_config_selectorIlNS0_10empty_typeEEEZZNS1_27merge_sort_block_merge_implIS3_PlPS5_mZN2at6native12_GLOBAL__N_124unique_dim_cuda_templateIN3c104HalfEEESt5tupleIJNSA_6TensorESH_SH_EERKSH_lbbbEUlllE_EE10hipError_tT0_T1_T2_jT3_P12ihipStream_tbPNSt15iterator_traitsISN_E10value_typeEPNST_ISO_E10value_typeEPSP_NS1_7vsmem_tEENKUlT_SN_SO_SP_E_clIS8_S8_S9_S9_EESM_S12_SN_SO_SP_EUlS12_E0_NS1_11comp_targetILNS1_3genE0ELNS1_11target_archE4294967295ELNS1_3gpuE0ELNS1_3repE0EEENS1_38merge_mergepath_config_static_selectorELNS0_4arch9wavefront6targetE1EEEvSO_
                                        ; -- End function
	.set _ZN7rocprim17ROCPRIM_400000_NS6detail17trampoline_kernelINS0_14default_configENS1_38merge_sort_block_merge_config_selectorIlNS0_10empty_typeEEEZZNS1_27merge_sort_block_merge_implIS3_PlPS5_mZN2at6native12_GLOBAL__N_124unique_dim_cuda_templateIN3c104HalfEEESt5tupleIJNSA_6TensorESH_SH_EERKSH_lbbbEUlllE_EE10hipError_tT0_T1_T2_jT3_P12ihipStream_tbPNSt15iterator_traitsISN_E10value_typeEPNST_ISO_E10value_typeEPSP_NS1_7vsmem_tEENKUlT_SN_SO_SP_E_clIS8_S8_S9_S9_EESM_S12_SN_SO_SP_EUlS12_E0_NS1_11comp_targetILNS1_3genE0ELNS1_11target_archE4294967295ELNS1_3gpuE0ELNS1_3repE0EEENS1_38merge_mergepath_config_static_selectorELNS0_4arch9wavefront6targetE1EEEvSO_.num_vgpr, 40
	.set _ZN7rocprim17ROCPRIM_400000_NS6detail17trampoline_kernelINS0_14default_configENS1_38merge_sort_block_merge_config_selectorIlNS0_10empty_typeEEEZZNS1_27merge_sort_block_merge_implIS3_PlPS5_mZN2at6native12_GLOBAL__N_124unique_dim_cuda_templateIN3c104HalfEEESt5tupleIJNSA_6TensorESH_SH_EERKSH_lbbbEUlllE_EE10hipError_tT0_T1_T2_jT3_P12ihipStream_tbPNSt15iterator_traitsISN_E10value_typeEPNST_ISO_E10value_typeEPSP_NS1_7vsmem_tEENKUlT_SN_SO_SP_E_clIS8_S8_S9_S9_EESM_S12_SN_SO_SP_EUlS12_E0_NS1_11comp_targetILNS1_3genE0ELNS1_11target_archE4294967295ELNS1_3gpuE0ELNS1_3repE0EEENS1_38merge_mergepath_config_static_selectorELNS0_4arch9wavefront6targetE1EEEvSO_.num_agpr, 0
	.set _ZN7rocprim17ROCPRIM_400000_NS6detail17trampoline_kernelINS0_14default_configENS1_38merge_sort_block_merge_config_selectorIlNS0_10empty_typeEEEZZNS1_27merge_sort_block_merge_implIS3_PlPS5_mZN2at6native12_GLOBAL__N_124unique_dim_cuda_templateIN3c104HalfEEESt5tupleIJNSA_6TensorESH_SH_EERKSH_lbbbEUlllE_EE10hipError_tT0_T1_T2_jT3_P12ihipStream_tbPNSt15iterator_traitsISN_E10value_typeEPNST_ISO_E10value_typeEPSP_NS1_7vsmem_tEENKUlT_SN_SO_SP_E_clIS8_S8_S9_S9_EESM_S12_SN_SO_SP_EUlS12_E0_NS1_11comp_targetILNS1_3genE0ELNS1_11target_archE4294967295ELNS1_3gpuE0ELNS1_3repE0EEENS1_38merge_mergepath_config_static_selectorELNS0_4arch9wavefront6targetE1EEEvSO_.numbered_sgpr, 52
	.set _ZN7rocprim17ROCPRIM_400000_NS6detail17trampoline_kernelINS0_14default_configENS1_38merge_sort_block_merge_config_selectorIlNS0_10empty_typeEEEZZNS1_27merge_sort_block_merge_implIS3_PlPS5_mZN2at6native12_GLOBAL__N_124unique_dim_cuda_templateIN3c104HalfEEESt5tupleIJNSA_6TensorESH_SH_EERKSH_lbbbEUlllE_EE10hipError_tT0_T1_T2_jT3_P12ihipStream_tbPNSt15iterator_traitsISN_E10value_typeEPNST_ISO_E10value_typeEPSP_NS1_7vsmem_tEENKUlT_SN_SO_SP_E_clIS8_S8_S9_S9_EESM_S12_SN_SO_SP_EUlS12_E0_NS1_11comp_targetILNS1_3genE0ELNS1_11target_archE4294967295ELNS1_3gpuE0ELNS1_3repE0EEENS1_38merge_mergepath_config_static_selectorELNS0_4arch9wavefront6targetE1EEEvSO_.num_named_barrier, 0
	.set _ZN7rocprim17ROCPRIM_400000_NS6detail17trampoline_kernelINS0_14default_configENS1_38merge_sort_block_merge_config_selectorIlNS0_10empty_typeEEEZZNS1_27merge_sort_block_merge_implIS3_PlPS5_mZN2at6native12_GLOBAL__N_124unique_dim_cuda_templateIN3c104HalfEEESt5tupleIJNSA_6TensorESH_SH_EERKSH_lbbbEUlllE_EE10hipError_tT0_T1_T2_jT3_P12ihipStream_tbPNSt15iterator_traitsISN_E10value_typeEPNST_ISO_E10value_typeEPSP_NS1_7vsmem_tEENKUlT_SN_SO_SP_E_clIS8_S8_S9_S9_EESM_S12_SN_SO_SP_EUlS12_E0_NS1_11comp_targetILNS1_3genE0ELNS1_11target_archE4294967295ELNS1_3gpuE0ELNS1_3repE0EEENS1_38merge_mergepath_config_static_selectorELNS0_4arch9wavefront6targetE1EEEvSO_.private_seg_size, 0
	.set _ZN7rocprim17ROCPRIM_400000_NS6detail17trampoline_kernelINS0_14default_configENS1_38merge_sort_block_merge_config_selectorIlNS0_10empty_typeEEEZZNS1_27merge_sort_block_merge_implIS3_PlPS5_mZN2at6native12_GLOBAL__N_124unique_dim_cuda_templateIN3c104HalfEEESt5tupleIJNSA_6TensorESH_SH_EERKSH_lbbbEUlllE_EE10hipError_tT0_T1_T2_jT3_P12ihipStream_tbPNSt15iterator_traitsISN_E10value_typeEPNST_ISO_E10value_typeEPSP_NS1_7vsmem_tEENKUlT_SN_SO_SP_E_clIS8_S8_S9_S9_EESM_S12_SN_SO_SP_EUlS12_E0_NS1_11comp_targetILNS1_3genE0ELNS1_11target_archE4294967295ELNS1_3gpuE0ELNS1_3repE0EEENS1_38merge_mergepath_config_static_selectorELNS0_4arch9wavefront6targetE1EEEvSO_.uses_vcc, 1
	.set _ZN7rocprim17ROCPRIM_400000_NS6detail17trampoline_kernelINS0_14default_configENS1_38merge_sort_block_merge_config_selectorIlNS0_10empty_typeEEEZZNS1_27merge_sort_block_merge_implIS3_PlPS5_mZN2at6native12_GLOBAL__N_124unique_dim_cuda_templateIN3c104HalfEEESt5tupleIJNSA_6TensorESH_SH_EERKSH_lbbbEUlllE_EE10hipError_tT0_T1_T2_jT3_P12ihipStream_tbPNSt15iterator_traitsISN_E10value_typeEPNST_ISO_E10value_typeEPSP_NS1_7vsmem_tEENKUlT_SN_SO_SP_E_clIS8_S8_S9_S9_EESM_S12_SN_SO_SP_EUlS12_E0_NS1_11comp_targetILNS1_3genE0ELNS1_11target_archE4294967295ELNS1_3gpuE0ELNS1_3repE0EEENS1_38merge_mergepath_config_static_selectorELNS0_4arch9wavefront6targetE1EEEvSO_.uses_flat_scratch, 0
	.set _ZN7rocprim17ROCPRIM_400000_NS6detail17trampoline_kernelINS0_14default_configENS1_38merge_sort_block_merge_config_selectorIlNS0_10empty_typeEEEZZNS1_27merge_sort_block_merge_implIS3_PlPS5_mZN2at6native12_GLOBAL__N_124unique_dim_cuda_templateIN3c104HalfEEESt5tupleIJNSA_6TensorESH_SH_EERKSH_lbbbEUlllE_EE10hipError_tT0_T1_T2_jT3_P12ihipStream_tbPNSt15iterator_traitsISN_E10value_typeEPNST_ISO_E10value_typeEPSP_NS1_7vsmem_tEENKUlT_SN_SO_SP_E_clIS8_S8_S9_S9_EESM_S12_SN_SO_SP_EUlS12_E0_NS1_11comp_targetILNS1_3genE0ELNS1_11target_archE4294967295ELNS1_3gpuE0ELNS1_3repE0EEENS1_38merge_mergepath_config_static_selectorELNS0_4arch9wavefront6targetE1EEEvSO_.has_dyn_sized_stack, 0
	.set _ZN7rocprim17ROCPRIM_400000_NS6detail17trampoline_kernelINS0_14default_configENS1_38merge_sort_block_merge_config_selectorIlNS0_10empty_typeEEEZZNS1_27merge_sort_block_merge_implIS3_PlPS5_mZN2at6native12_GLOBAL__N_124unique_dim_cuda_templateIN3c104HalfEEESt5tupleIJNSA_6TensorESH_SH_EERKSH_lbbbEUlllE_EE10hipError_tT0_T1_T2_jT3_P12ihipStream_tbPNSt15iterator_traitsISN_E10value_typeEPNST_ISO_E10value_typeEPSP_NS1_7vsmem_tEENKUlT_SN_SO_SP_E_clIS8_S8_S9_S9_EESM_S12_SN_SO_SP_EUlS12_E0_NS1_11comp_targetILNS1_3genE0ELNS1_11target_archE4294967295ELNS1_3gpuE0ELNS1_3repE0EEENS1_38merge_mergepath_config_static_selectorELNS0_4arch9wavefront6targetE1EEEvSO_.has_recursion, 0
	.set _ZN7rocprim17ROCPRIM_400000_NS6detail17trampoline_kernelINS0_14default_configENS1_38merge_sort_block_merge_config_selectorIlNS0_10empty_typeEEEZZNS1_27merge_sort_block_merge_implIS3_PlPS5_mZN2at6native12_GLOBAL__N_124unique_dim_cuda_templateIN3c104HalfEEESt5tupleIJNSA_6TensorESH_SH_EERKSH_lbbbEUlllE_EE10hipError_tT0_T1_T2_jT3_P12ihipStream_tbPNSt15iterator_traitsISN_E10value_typeEPNST_ISO_E10value_typeEPSP_NS1_7vsmem_tEENKUlT_SN_SO_SP_E_clIS8_S8_S9_S9_EESM_S12_SN_SO_SP_EUlS12_E0_NS1_11comp_targetILNS1_3genE0ELNS1_11target_archE4294967295ELNS1_3gpuE0ELNS1_3repE0EEENS1_38merge_mergepath_config_static_selectorELNS0_4arch9wavefront6targetE1EEEvSO_.has_indirect_call, 0
	.section	.AMDGPU.csdata,"",@progbits
; Kernel info:
; codeLenInByte = 6440
; TotalNumSgprs: 58
; NumVgprs: 40
; NumAgprs: 0
; TotalNumVgprs: 40
; ScratchSize: 0
; MemoryBound: 0
; FloatMode: 240
; IeeeMode: 1
; LDSByteSize: 8448 bytes/workgroup (compile time only)
; SGPRBlocks: 7
; VGPRBlocks: 4
; NumSGPRsForWavesPerEU: 58
; NumVGPRsForWavesPerEU: 40
; AccumOffset: 40
; Occupancy: 8
; WaveLimiterHint : 1
; COMPUTE_PGM_RSRC2:SCRATCH_EN: 0
; COMPUTE_PGM_RSRC2:USER_SGPR: 2
; COMPUTE_PGM_RSRC2:TRAP_HANDLER: 0
; COMPUTE_PGM_RSRC2:TGID_X_EN: 1
; COMPUTE_PGM_RSRC2:TGID_Y_EN: 1
; COMPUTE_PGM_RSRC2:TGID_Z_EN: 1
; COMPUTE_PGM_RSRC2:TIDIG_COMP_CNT: 0
; COMPUTE_PGM_RSRC3_GFX90A:ACCUM_OFFSET: 9
; COMPUTE_PGM_RSRC3_GFX90A:TG_SPLIT: 0
	.section	.text._ZN7rocprim17ROCPRIM_400000_NS6detail17trampoline_kernelINS0_14default_configENS1_38merge_sort_block_merge_config_selectorIlNS0_10empty_typeEEEZZNS1_27merge_sort_block_merge_implIS3_PlPS5_mZN2at6native12_GLOBAL__N_124unique_dim_cuda_templateIN3c104HalfEEESt5tupleIJNSA_6TensorESH_SH_EERKSH_lbbbEUlllE_EE10hipError_tT0_T1_T2_jT3_P12ihipStream_tbPNSt15iterator_traitsISN_E10value_typeEPNST_ISO_E10value_typeEPSP_NS1_7vsmem_tEENKUlT_SN_SO_SP_E_clIS8_S8_S9_S9_EESM_S12_SN_SO_SP_EUlS12_E0_NS1_11comp_targetILNS1_3genE10ELNS1_11target_archE1201ELNS1_3gpuE5ELNS1_3repE0EEENS1_38merge_mergepath_config_static_selectorELNS0_4arch9wavefront6targetE1EEEvSO_,"axG",@progbits,_ZN7rocprim17ROCPRIM_400000_NS6detail17trampoline_kernelINS0_14default_configENS1_38merge_sort_block_merge_config_selectorIlNS0_10empty_typeEEEZZNS1_27merge_sort_block_merge_implIS3_PlPS5_mZN2at6native12_GLOBAL__N_124unique_dim_cuda_templateIN3c104HalfEEESt5tupleIJNSA_6TensorESH_SH_EERKSH_lbbbEUlllE_EE10hipError_tT0_T1_T2_jT3_P12ihipStream_tbPNSt15iterator_traitsISN_E10value_typeEPNST_ISO_E10value_typeEPSP_NS1_7vsmem_tEENKUlT_SN_SO_SP_E_clIS8_S8_S9_S9_EESM_S12_SN_SO_SP_EUlS12_E0_NS1_11comp_targetILNS1_3genE10ELNS1_11target_archE1201ELNS1_3gpuE5ELNS1_3repE0EEENS1_38merge_mergepath_config_static_selectorELNS0_4arch9wavefront6targetE1EEEvSO_,comdat
	.globl	_ZN7rocprim17ROCPRIM_400000_NS6detail17trampoline_kernelINS0_14default_configENS1_38merge_sort_block_merge_config_selectorIlNS0_10empty_typeEEEZZNS1_27merge_sort_block_merge_implIS3_PlPS5_mZN2at6native12_GLOBAL__N_124unique_dim_cuda_templateIN3c104HalfEEESt5tupleIJNSA_6TensorESH_SH_EERKSH_lbbbEUlllE_EE10hipError_tT0_T1_T2_jT3_P12ihipStream_tbPNSt15iterator_traitsISN_E10value_typeEPNST_ISO_E10value_typeEPSP_NS1_7vsmem_tEENKUlT_SN_SO_SP_E_clIS8_S8_S9_S9_EESM_S12_SN_SO_SP_EUlS12_E0_NS1_11comp_targetILNS1_3genE10ELNS1_11target_archE1201ELNS1_3gpuE5ELNS1_3repE0EEENS1_38merge_mergepath_config_static_selectorELNS0_4arch9wavefront6targetE1EEEvSO_ ; -- Begin function _ZN7rocprim17ROCPRIM_400000_NS6detail17trampoline_kernelINS0_14default_configENS1_38merge_sort_block_merge_config_selectorIlNS0_10empty_typeEEEZZNS1_27merge_sort_block_merge_implIS3_PlPS5_mZN2at6native12_GLOBAL__N_124unique_dim_cuda_templateIN3c104HalfEEESt5tupleIJNSA_6TensorESH_SH_EERKSH_lbbbEUlllE_EE10hipError_tT0_T1_T2_jT3_P12ihipStream_tbPNSt15iterator_traitsISN_E10value_typeEPNST_ISO_E10value_typeEPSP_NS1_7vsmem_tEENKUlT_SN_SO_SP_E_clIS8_S8_S9_S9_EESM_S12_SN_SO_SP_EUlS12_E0_NS1_11comp_targetILNS1_3genE10ELNS1_11target_archE1201ELNS1_3gpuE5ELNS1_3repE0EEENS1_38merge_mergepath_config_static_selectorELNS0_4arch9wavefront6targetE1EEEvSO_
	.p2align	8
	.type	_ZN7rocprim17ROCPRIM_400000_NS6detail17trampoline_kernelINS0_14default_configENS1_38merge_sort_block_merge_config_selectorIlNS0_10empty_typeEEEZZNS1_27merge_sort_block_merge_implIS3_PlPS5_mZN2at6native12_GLOBAL__N_124unique_dim_cuda_templateIN3c104HalfEEESt5tupleIJNSA_6TensorESH_SH_EERKSH_lbbbEUlllE_EE10hipError_tT0_T1_T2_jT3_P12ihipStream_tbPNSt15iterator_traitsISN_E10value_typeEPNST_ISO_E10value_typeEPSP_NS1_7vsmem_tEENKUlT_SN_SO_SP_E_clIS8_S8_S9_S9_EESM_S12_SN_SO_SP_EUlS12_E0_NS1_11comp_targetILNS1_3genE10ELNS1_11target_archE1201ELNS1_3gpuE5ELNS1_3repE0EEENS1_38merge_mergepath_config_static_selectorELNS0_4arch9wavefront6targetE1EEEvSO_,@function
_ZN7rocprim17ROCPRIM_400000_NS6detail17trampoline_kernelINS0_14default_configENS1_38merge_sort_block_merge_config_selectorIlNS0_10empty_typeEEEZZNS1_27merge_sort_block_merge_implIS3_PlPS5_mZN2at6native12_GLOBAL__N_124unique_dim_cuda_templateIN3c104HalfEEESt5tupleIJNSA_6TensorESH_SH_EERKSH_lbbbEUlllE_EE10hipError_tT0_T1_T2_jT3_P12ihipStream_tbPNSt15iterator_traitsISN_E10value_typeEPNST_ISO_E10value_typeEPSP_NS1_7vsmem_tEENKUlT_SN_SO_SP_E_clIS8_S8_S9_S9_EESM_S12_SN_SO_SP_EUlS12_E0_NS1_11comp_targetILNS1_3genE10ELNS1_11target_archE1201ELNS1_3gpuE5ELNS1_3repE0EEENS1_38merge_mergepath_config_static_selectorELNS0_4arch9wavefront6targetE1EEEvSO_: ; @_ZN7rocprim17ROCPRIM_400000_NS6detail17trampoline_kernelINS0_14default_configENS1_38merge_sort_block_merge_config_selectorIlNS0_10empty_typeEEEZZNS1_27merge_sort_block_merge_implIS3_PlPS5_mZN2at6native12_GLOBAL__N_124unique_dim_cuda_templateIN3c104HalfEEESt5tupleIJNSA_6TensorESH_SH_EERKSH_lbbbEUlllE_EE10hipError_tT0_T1_T2_jT3_P12ihipStream_tbPNSt15iterator_traitsISN_E10value_typeEPNST_ISO_E10value_typeEPSP_NS1_7vsmem_tEENKUlT_SN_SO_SP_E_clIS8_S8_S9_S9_EESM_S12_SN_SO_SP_EUlS12_E0_NS1_11comp_targetILNS1_3genE10ELNS1_11target_archE1201ELNS1_3gpuE5ELNS1_3repE0EEENS1_38merge_mergepath_config_static_selectorELNS0_4arch9wavefront6targetE1EEEvSO_
; %bb.0:
	.section	.rodata,"a",@progbits
	.p2align	6, 0x0
	.amdhsa_kernel _ZN7rocprim17ROCPRIM_400000_NS6detail17trampoline_kernelINS0_14default_configENS1_38merge_sort_block_merge_config_selectorIlNS0_10empty_typeEEEZZNS1_27merge_sort_block_merge_implIS3_PlPS5_mZN2at6native12_GLOBAL__N_124unique_dim_cuda_templateIN3c104HalfEEESt5tupleIJNSA_6TensorESH_SH_EERKSH_lbbbEUlllE_EE10hipError_tT0_T1_T2_jT3_P12ihipStream_tbPNSt15iterator_traitsISN_E10value_typeEPNST_ISO_E10value_typeEPSP_NS1_7vsmem_tEENKUlT_SN_SO_SP_E_clIS8_S8_S9_S9_EESM_S12_SN_SO_SP_EUlS12_E0_NS1_11comp_targetILNS1_3genE10ELNS1_11target_archE1201ELNS1_3gpuE5ELNS1_3repE0EEENS1_38merge_mergepath_config_static_selectorELNS0_4arch9wavefront6targetE1EEEvSO_
		.amdhsa_group_segment_fixed_size 0
		.amdhsa_private_segment_fixed_size 0
		.amdhsa_kernarg_size 88
		.amdhsa_user_sgpr_count 2
		.amdhsa_user_sgpr_dispatch_ptr 0
		.amdhsa_user_sgpr_queue_ptr 0
		.amdhsa_user_sgpr_kernarg_segment_ptr 1
		.amdhsa_user_sgpr_dispatch_id 0
		.amdhsa_user_sgpr_kernarg_preload_length 0
		.amdhsa_user_sgpr_kernarg_preload_offset 0
		.amdhsa_user_sgpr_private_segment_size 0
		.amdhsa_uses_dynamic_stack 0
		.amdhsa_enable_private_segment 0
		.amdhsa_system_sgpr_workgroup_id_x 1
		.amdhsa_system_sgpr_workgroup_id_y 0
		.amdhsa_system_sgpr_workgroup_id_z 0
		.amdhsa_system_sgpr_workgroup_info 0
		.amdhsa_system_vgpr_workitem_id 0
		.amdhsa_next_free_vgpr 1
		.amdhsa_next_free_sgpr 0
		.amdhsa_accum_offset 4
		.amdhsa_reserve_vcc 0
		.amdhsa_float_round_mode_32 0
		.amdhsa_float_round_mode_16_64 0
		.amdhsa_float_denorm_mode_32 3
		.amdhsa_float_denorm_mode_16_64 3
		.amdhsa_dx10_clamp 1
		.amdhsa_ieee_mode 1
		.amdhsa_fp16_overflow 0
		.amdhsa_tg_split 0
		.amdhsa_exception_fp_ieee_invalid_op 0
		.amdhsa_exception_fp_denorm_src 0
		.amdhsa_exception_fp_ieee_div_zero 0
		.amdhsa_exception_fp_ieee_overflow 0
		.amdhsa_exception_fp_ieee_underflow 0
		.amdhsa_exception_fp_ieee_inexact 0
		.amdhsa_exception_int_div_zero 0
	.end_amdhsa_kernel
	.section	.text._ZN7rocprim17ROCPRIM_400000_NS6detail17trampoline_kernelINS0_14default_configENS1_38merge_sort_block_merge_config_selectorIlNS0_10empty_typeEEEZZNS1_27merge_sort_block_merge_implIS3_PlPS5_mZN2at6native12_GLOBAL__N_124unique_dim_cuda_templateIN3c104HalfEEESt5tupleIJNSA_6TensorESH_SH_EERKSH_lbbbEUlllE_EE10hipError_tT0_T1_T2_jT3_P12ihipStream_tbPNSt15iterator_traitsISN_E10value_typeEPNST_ISO_E10value_typeEPSP_NS1_7vsmem_tEENKUlT_SN_SO_SP_E_clIS8_S8_S9_S9_EESM_S12_SN_SO_SP_EUlS12_E0_NS1_11comp_targetILNS1_3genE10ELNS1_11target_archE1201ELNS1_3gpuE5ELNS1_3repE0EEENS1_38merge_mergepath_config_static_selectorELNS0_4arch9wavefront6targetE1EEEvSO_,"axG",@progbits,_ZN7rocprim17ROCPRIM_400000_NS6detail17trampoline_kernelINS0_14default_configENS1_38merge_sort_block_merge_config_selectorIlNS0_10empty_typeEEEZZNS1_27merge_sort_block_merge_implIS3_PlPS5_mZN2at6native12_GLOBAL__N_124unique_dim_cuda_templateIN3c104HalfEEESt5tupleIJNSA_6TensorESH_SH_EERKSH_lbbbEUlllE_EE10hipError_tT0_T1_T2_jT3_P12ihipStream_tbPNSt15iterator_traitsISN_E10value_typeEPNST_ISO_E10value_typeEPSP_NS1_7vsmem_tEENKUlT_SN_SO_SP_E_clIS8_S8_S9_S9_EESM_S12_SN_SO_SP_EUlS12_E0_NS1_11comp_targetILNS1_3genE10ELNS1_11target_archE1201ELNS1_3gpuE5ELNS1_3repE0EEENS1_38merge_mergepath_config_static_selectorELNS0_4arch9wavefront6targetE1EEEvSO_,comdat
.Lfunc_end1257:
	.size	_ZN7rocprim17ROCPRIM_400000_NS6detail17trampoline_kernelINS0_14default_configENS1_38merge_sort_block_merge_config_selectorIlNS0_10empty_typeEEEZZNS1_27merge_sort_block_merge_implIS3_PlPS5_mZN2at6native12_GLOBAL__N_124unique_dim_cuda_templateIN3c104HalfEEESt5tupleIJNSA_6TensorESH_SH_EERKSH_lbbbEUlllE_EE10hipError_tT0_T1_T2_jT3_P12ihipStream_tbPNSt15iterator_traitsISN_E10value_typeEPNST_ISO_E10value_typeEPSP_NS1_7vsmem_tEENKUlT_SN_SO_SP_E_clIS8_S8_S9_S9_EESM_S12_SN_SO_SP_EUlS12_E0_NS1_11comp_targetILNS1_3genE10ELNS1_11target_archE1201ELNS1_3gpuE5ELNS1_3repE0EEENS1_38merge_mergepath_config_static_selectorELNS0_4arch9wavefront6targetE1EEEvSO_, .Lfunc_end1257-_ZN7rocprim17ROCPRIM_400000_NS6detail17trampoline_kernelINS0_14default_configENS1_38merge_sort_block_merge_config_selectorIlNS0_10empty_typeEEEZZNS1_27merge_sort_block_merge_implIS3_PlPS5_mZN2at6native12_GLOBAL__N_124unique_dim_cuda_templateIN3c104HalfEEESt5tupleIJNSA_6TensorESH_SH_EERKSH_lbbbEUlllE_EE10hipError_tT0_T1_T2_jT3_P12ihipStream_tbPNSt15iterator_traitsISN_E10value_typeEPNST_ISO_E10value_typeEPSP_NS1_7vsmem_tEENKUlT_SN_SO_SP_E_clIS8_S8_S9_S9_EESM_S12_SN_SO_SP_EUlS12_E0_NS1_11comp_targetILNS1_3genE10ELNS1_11target_archE1201ELNS1_3gpuE5ELNS1_3repE0EEENS1_38merge_mergepath_config_static_selectorELNS0_4arch9wavefront6targetE1EEEvSO_
                                        ; -- End function
	.set _ZN7rocprim17ROCPRIM_400000_NS6detail17trampoline_kernelINS0_14default_configENS1_38merge_sort_block_merge_config_selectorIlNS0_10empty_typeEEEZZNS1_27merge_sort_block_merge_implIS3_PlPS5_mZN2at6native12_GLOBAL__N_124unique_dim_cuda_templateIN3c104HalfEEESt5tupleIJNSA_6TensorESH_SH_EERKSH_lbbbEUlllE_EE10hipError_tT0_T1_T2_jT3_P12ihipStream_tbPNSt15iterator_traitsISN_E10value_typeEPNST_ISO_E10value_typeEPSP_NS1_7vsmem_tEENKUlT_SN_SO_SP_E_clIS8_S8_S9_S9_EESM_S12_SN_SO_SP_EUlS12_E0_NS1_11comp_targetILNS1_3genE10ELNS1_11target_archE1201ELNS1_3gpuE5ELNS1_3repE0EEENS1_38merge_mergepath_config_static_selectorELNS0_4arch9wavefront6targetE1EEEvSO_.num_vgpr, 0
	.set _ZN7rocprim17ROCPRIM_400000_NS6detail17trampoline_kernelINS0_14default_configENS1_38merge_sort_block_merge_config_selectorIlNS0_10empty_typeEEEZZNS1_27merge_sort_block_merge_implIS3_PlPS5_mZN2at6native12_GLOBAL__N_124unique_dim_cuda_templateIN3c104HalfEEESt5tupleIJNSA_6TensorESH_SH_EERKSH_lbbbEUlllE_EE10hipError_tT0_T1_T2_jT3_P12ihipStream_tbPNSt15iterator_traitsISN_E10value_typeEPNST_ISO_E10value_typeEPSP_NS1_7vsmem_tEENKUlT_SN_SO_SP_E_clIS8_S8_S9_S9_EESM_S12_SN_SO_SP_EUlS12_E0_NS1_11comp_targetILNS1_3genE10ELNS1_11target_archE1201ELNS1_3gpuE5ELNS1_3repE0EEENS1_38merge_mergepath_config_static_selectorELNS0_4arch9wavefront6targetE1EEEvSO_.num_agpr, 0
	.set _ZN7rocprim17ROCPRIM_400000_NS6detail17trampoline_kernelINS0_14default_configENS1_38merge_sort_block_merge_config_selectorIlNS0_10empty_typeEEEZZNS1_27merge_sort_block_merge_implIS3_PlPS5_mZN2at6native12_GLOBAL__N_124unique_dim_cuda_templateIN3c104HalfEEESt5tupleIJNSA_6TensorESH_SH_EERKSH_lbbbEUlllE_EE10hipError_tT0_T1_T2_jT3_P12ihipStream_tbPNSt15iterator_traitsISN_E10value_typeEPNST_ISO_E10value_typeEPSP_NS1_7vsmem_tEENKUlT_SN_SO_SP_E_clIS8_S8_S9_S9_EESM_S12_SN_SO_SP_EUlS12_E0_NS1_11comp_targetILNS1_3genE10ELNS1_11target_archE1201ELNS1_3gpuE5ELNS1_3repE0EEENS1_38merge_mergepath_config_static_selectorELNS0_4arch9wavefront6targetE1EEEvSO_.numbered_sgpr, 0
	.set _ZN7rocprim17ROCPRIM_400000_NS6detail17trampoline_kernelINS0_14default_configENS1_38merge_sort_block_merge_config_selectorIlNS0_10empty_typeEEEZZNS1_27merge_sort_block_merge_implIS3_PlPS5_mZN2at6native12_GLOBAL__N_124unique_dim_cuda_templateIN3c104HalfEEESt5tupleIJNSA_6TensorESH_SH_EERKSH_lbbbEUlllE_EE10hipError_tT0_T1_T2_jT3_P12ihipStream_tbPNSt15iterator_traitsISN_E10value_typeEPNST_ISO_E10value_typeEPSP_NS1_7vsmem_tEENKUlT_SN_SO_SP_E_clIS8_S8_S9_S9_EESM_S12_SN_SO_SP_EUlS12_E0_NS1_11comp_targetILNS1_3genE10ELNS1_11target_archE1201ELNS1_3gpuE5ELNS1_3repE0EEENS1_38merge_mergepath_config_static_selectorELNS0_4arch9wavefront6targetE1EEEvSO_.num_named_barrier, 0
	.set _ZN7rocprim17ROCPRIM_400000_NS6detail17trampoline_kernelINS0_14default_configENS1_38merge_sort_block_merge_config_selectorIlNS0_10empty_typeEEEZZNS1_27merge_sort_block_merge_implIS3_PlPS5_mZN2at6native12_GLOBAL__N_124unique_dim_cuda_templateIN3c104HalfEEESt5tupleIJNSA_6TensorESH_SH_EERKSH_lbbbEUlllE_EE10hipError_tT0_T1_T2_jT3_P12ihipStream_tbPNSt15iterator_traitsISN_E10value_typeEPNST_ISO_E10value_typeEPSP_NS1_7vsmem_tEENKUlT_SN_SO_SP_E_clIS8_S8_S9_S9_EESM_S12_SN_SO_SP_EUlS12_E0_NS1_11comp_targetILNS1_3genE10ELNS1_11target_archE1201ELNS1_3gpuE5ELNS1_3repE0EEENS1_38merge_mergepath_config_static_selectorELNS0_4arch9wavefront6targetE1EEEvSO_.private_seg_size, 0
	.set _ZN7rocprim17ROCPRIM_400000_NS6detail17trampoline_kernelINS0_14default_configENS1_38merge_sort_block_merge_config_selectorIlNS0_10empty_typeEEEZZNS1_27merge_sort_block_merge_implIS3_PlPS5_mZN2at6native12_GLOBAL__N_124unique_dim_cuda_templateIN3c104HalfEEESt5tupleIJNSA_6TensorESH_SH_EERKSH_lbbbEUlllE_EE10hipError_tT0_T1_T2_jT3_P12ihipStream_tbPNSt15iterator_traitsISN_E10value_typeEPNST_ISO_E10value_typeEPSP_NS1_7vsmem_tEENKUlT_SN_SO_SP_E_clIS8_S8_S9_S9_EESM_S12_SN_SO_SP_EUlS12_E0_NS1_11comp_targetILNS1_3genE10ELNS1_11target_archE1201ELNS1_3gpuE5ELNS1_3repE0EEENS1_38merge_mergepath_config_static_selectorELNS0_4arch9wavefront6targetE1EEEvSO_.uses_vcc, 0
	.set _ZN7rocprim17ROCPRIM_400000_NS6detail17trampoline_kernelINS0_14default_configENS1_38merge_sort_block_merge_config_selectorIlNS0_10empty_typeEEEZZNS1_27merge_sort_block_merge_implIS3_PlPS5_mZN2at6native12_GLOBAL__N_124unique_dim_cuda_templateIN3c104HalfEEESt5tupleIJNSA_6TensorESH_SH_EERKSH_lbbbEUlllE_EE10hipError_tT0_T1_T2_jT3_P12ihipStream_tbPNSt15iterator_traitsISN_E10value_typeEPNST_ISO_E10value_typeEPSP_NS1_7vsmem_tEENKUlT_SN_SO_SP_E_clIS8_S8_S9_S9_EESM_S12_SN_SO_SP_EUlS12_E0_NS1_11comp_targetILNS1_3genE10ELNS1_11target_archE1201ELNS1_3gpuE5ELNS1_3repE0EEENS1_38merge_mergepath_config_static_selectorELNS0_4arch9wavefront6targetE1EEEvSO_.uses_flat_scratch, 0
	.set _ZN7rocprim17ROCPRIM_400000_NS6detail17trampoline_kernelINS0_14default_configENS1_38merge_sort_block_merge_config_selectorIlNS0_10empty_typeEEEZZNS1_27merge_sort_block_merge_implIS3_PlPS5_mZN2at6native12_GLOBAL__N_124unique_dim_cuda_templateIN3c104HalfEEESt5tupleIJNSA_6TensorESH_SH_EERKSH_lbbbEUlllE_EE10hipError_tT0_T1_T2_jT3_P12ihipStream_tbPNSt15iterator_traitsISN_E10value_typeEPNST_ISO_E10value_typeEPSP_NS1_7vsmem_tEENKUlT_SN_SO_SP_E_clIS8_S8_S9_S9_EESM_S12_SN_SO_SP_EUlS12_E0_NS1_11comp_targetILNS1_3genE10ELNS1_11target_archE1201ELNS1_3gpuE5ELNS1_3repE0EEENS1_38merge_mergepath_config_static_selectorELNS0_4arch9wavefront6targetE1EEEvSO_.has_dyn_sized_stack, 0
	.set _ZN7rocprim17ROCPRIM_400000_NS6detail17trampoline_kernelINS0_14default_configENS1_38merge_sort_block_merge_config_selectorIlNS0_10empty_typeEEEZZNS1_27merge_sort_block_merge_implIS3_PlPS5_mZN2at6native12_GLOBAL__N_124unique_dim_cuda_templateIN3c104HalfEEESt5tupleIJNSA_6TensorESH_SH_EERKSH_lbbbEUlllE_EE10hipError_tT0_T1_T2_jT3_P12ihipStream_tbPNSt15iterator_traitsISN_E10value_typeEPNST_ISO_E10value_typeEPSP_NS1_7vsmem_tEENKUlT_SN_SO_SP_E_clIS8_S8_S9_S9_EESM_S12_SN_SO_SP_EUlS12_E0_NS1_11comp_targetILNS1_3genE10ELNS1_11target_archE1201ELNS1_3gpuE5ELNS1_3repE0EEENS1_38merge_mergepath_config_static_selectorELNS0_4arch9wavefront6targetE1EEEvSO_.has_recursion, 0
	.set _ZN7rocprim17ROCPRIM_400000_NS6detail17trampoline_kernelINS0_14default_configENS1_38merge_sort_block_merge_config_selectorIlNS0_10empty_typeEEEZZNS1_27merge_sort_block_merge_implIS3_PlPS5_mZN2at6native12_GLOBAL__N_124unique_dim_cuda_templateIN3c104HalfEEESt5tupleIJNSA_6TensorESH_SH_EERKSH_lbbbEUlllE_EE10hipError_tT0_T1_T2_jT3_P12ihipStream_tbPNSt15iterator_traitsISN_E10value_typeEPNST_ISO_E10value_typeEPSP_NS1_7vsmem_tEENKUlT_SN_SO_SP_E_clIS8_S8_S9_S9_EESM_S12_SN_SO_SP_EUlS12_E0_NS1_11comp_targetILNS1_3genE10ELNS1_11target_archE1201ELNS1_3gpuE5ELNS1_3repE0EEENS1_38merge_mergepath_config_static_selectorELNS0_4arch9wavefront6targetE1EEEvSO_.has_indirect_call, 0
	.section	.AMDGPU.csdata,"",@progbits
; Kernel info:
; codeLenInByte = 0
; TotalNumSgprs: 6
; NumVgprs: 0
; NumAgprs: 0
; TotalNumVgprs: 0
; ScratchSize: 0
; MemoryBound: 0
; FloatMode: 240
; IeeeMode: 1
; LDSByteSize: 0 bytes/workgroup (compile time only)
; SGPRBlocks: 0
; VGPRBlocks: 0
; NumSGPRsForWavesPerEU: 6
; NumVGPRsForWavesPerEU: 1
; AccumOffset: 4
; Occupancy: 8
; WaveLimiterHint : 0
; COMPUTE_PGM_RSRC2:SCRATCH_EN: 0
; COMPUTE_PGM_RSRC2:USER_SGPR: 2
; COMPUTE_PGM_RSRC2:TRAP_HANDLER: 0
; COMPUTE_PGM_RSRC2:TGID_X_EN: 1
; COMPUTE_PGM_RSRC2:TGID_Y_EN: 0
; COMPUTE_PGM_RSRC2:TGID_Z_EN: 0
; COMPUTE_PGM_RSRC2:TIDIG_COMP_CNT: 0
; COMPUTE_PGM_RSRC3_GFX90A:ACCUM_OFFSET: 0
; COMPUTE_PGM_RSRC3_GFX90A:TG_SPLIT: 0
	.section	.text._ZN7rocprim17ROCPRIM_400000_NS6detail17trampoline_kernelINS0_14default_configENS1_38merge_sort_block_merge_config_selectorIlNS0_10empty_typeEEEZZNS1_27merge_sort_block_merge_implIS3_PlPS5_mZN2at6native12_GLOBAL__N_124unique_dim_cuda_templateIN3c104HalfEEESt5tupleIJNSA_6TensorESH_SH_EERKSH_lbbbEUlllE_EE10hipError_tT0_T1_T2_jT3_P12ihipStream_tbPNSt15iterator_traitsISN_E10value_typeEPNST_ISO_E10value_typeEPSP_NS1_7vsmem_tEENKUlT_SN_SO_SP_E_clIS8_S8_S9_S9_EESM_S12_SN_SO_SP_EUlS12_E0_NS1_11comp_targetILNS1_3genE5ELNS1_11target_archE942ELNS1_3gpuE9ELNS1_3repE0EEENS1_38merge_mergepath_config_static_selectorELNS0_4arch9wavefront6targetE1EEEvSO_,"axG",@progbits,_ZN7rocprim17ROCPRIM_400000_NS6detail17trampoline_kernelINS0_14default_configENS1_38merge_sort_block_merge_config_selectorIlNS0_10empty_typeEEEZZNS1_27merge_sort_block_merge_implIS3_PlPS5_mZN2at6native12_GLOBAL__N_124unique_dim_cuda_templateIN3c104HalfEEESt5tupleIJNSA_6TensorESH_SH_EERKSH_lbbbEUlllE_EE10hipError_tT0_T1_T2_jT3_P12ihipStream_tbPNSt15iterator_traitsISN_E10value_typeEPNST_ISO_E10value_typeEPSP_NS1_7vsmem_tEENKUlT_SN_SO_SP_E_clIS8_S8_S9_S9_EESM_S12_SN_SO_SP_EUlS12_E0_NS1_11comp_targetILNS1_3genE5ELNS1_11target_archE942ELNS1_3gpuE9ELNS1_3repE0EEENS1_38merge_mergepath_config_static_selectorELNS0_4arch9wavefront6targetE1EEEvSO_,comdat
	.globl	_ZN7rocprim17ROCPRIM_400000_NS6detail17trampoline_kernelINS0_14default_configENS1_38merge_sort_block_merge_config_selectorIlNS0_10empty_typeEEEZZNS1_27merge_sort_block_merge_implIS3_PlPS5_mZN2at6native12_GLOBAL__N_124unique_dim_cuda_templateIN3c104HalfEEESt5tupleIJNSA_6TensorESH_SH_EERKSH_lbbbEUlllE_EE10hipError_tT0_T1_T2_jT3_P12ihipStream_tbPNSt15iterator_traitsISN_E10value_typeEPNST_ISO_E10value_typeEPSP_NS1_7vsmem_tEENKUlT_SN_SO_SP_E_clIS8_S8_S9_S9_EESM_S12_SN_SO_SP_EUlS12_E0_NS1_11comp_targetILNS1_3genE5ELNS1_11target_archE942ELNS1_3gpuE9ELNS1_3repE0EEENS1_38merge_mergepath_config_static_selectorELNS0_4arch9wavefront6targetE1EEEvSO_ ; -- Begin function _ZN7rocprim17ROCPRIM_400000_NS6detail17trampoline_kernelINS0_14default_configENS1_38merge_sort_block_merge_config_selectorIlNS0_10empty_typeEEEZZNS1_27merge_sort_block_merge_implIS3_PlPS5_mZN2at6native12_GLOBAL__N_124unique_dim_cuda_templateIN3c104HalfEEESt5tupleIJNSA_6TensorESH_SH_EERKSH_lbbbEUlllE_EE10hipError_tT0_T1_T2_jT3_P12ihipStream_tbPNSt15iterator_traitsISN_E10value_typeEPNST_ISO_E10value_typeEPSP_NS1_7vsmem_tEENKUlT_SN_SO_SP_E_clIS8_S8_S9_S9_EESM_S12_SN_SO_SP_EUlS12_E0_NS1_11comp_targetILNS1_3genE5ELNS1_11target_archE942ELNS1_3gpuE9ELNS1_3repE0EEENS1_38merge_mergepath_config_static_selectorELNS0_4arch9wavefront6targetE1EEEvSO_
	.p2align	8
	.type	_ZN7rocprim17ROCPRIM_400000_NS6detail17trampoline_kernelINS0_14default_configENS1_38merge_sort_block_merge_config_selectorIlNS0_10empty_typeEEEZZNS1_27merge_sort_block_merge_implIS3_PlPS5_mZN2at6native12_GLOBAL__N_124unique_dim_cuda_templateIN3c104HalfEEESt5tupleIJNSA_6TensorESH_SH_EERKSH_lbbbEUlllE_EE10hipError_tT0_T1_T2_jT3_P12ihipStream_tbPNSt15iterator_traitsISN_E10value_typeEPNST_ISO_E10value_typeEPSP_NS1_7vsmem_tEENKUlT_SN_SO_SP_E_clIS8_S8_S9_S9_EESM_S12_SN_SO_SP_EUlS12_E0_NS1_11comp_targetILNS1_3genE5ELNS1_11target_archE942ELNS1_3gpuE9ELNS1_3repE0EEENS1_38merge_mergepath_config_static_selectorELNS0_4arch9wavefront6targetE1EEEvSO_,@function
_ZN7rocprim17ROCPRIM_400000_NS6detail17trampoline_kernelINS0_14default_configENS1_38merge_sort_block_merge_config_selectorIlNS0_10empty_typeEEEZZNS1_27merge_sort_block_merge_implIS3_PlPS5_mZN2at6native12_GLOBAL__N_124unique_dim_cuda_templateIN3c104HalfEEESt5tupleIJNSA_6TensorESH_SH_EERKSH_lbbbEUlllE_EE10hipError_tT0_T1_T2_jT3_P12ihipStream_tbPNSt15iterator_traitsISN_E10value_typeEPNST_ISO_E10value_typeEPSP_NS1_7vsmem_tEENKUlT_SN_SO_SP_E_clIS8_S8_S9_S9_EESM_S12_SN_SO_SP_EUlS12_E0_NS1_11comp_targetILNS1_3genE5ELNS1_11target_archE942ELNS1_3gpuE9ELNS1_3repE0EEENS1_38merge_mergepath_config_static_selectorELNS0_4arch9wavefront6targetE1EEEvSO_: ; @_ZN7rocprim17ROCPRIM_400000_NS6detail17trampoline_kernelINS0_14default_configENS1_38merge_sort_block_merge_config_selectorIlNS0_10empty_typeEEEZZNS1_27merge_sort_block_merge_implIS3_PlPS5_mZN2at6native12_GLOBAL__N_124unique_dim_cuda_templateIN3c104HalfEEESt5tupleIJNSA_6TensorESH_SH_EERKSH_lbbbEUlllE_EE10hipError_tT0_T1_T2_jT3_P12ihipStream_tbPNSt15iterator_traitsISN_E10value_typeEPNST_ISO_E10value_typeEPSP_NS1_7vsmem_tEENKUlT_SN_SO_SP_E_clIS8_S8_S9_S9_EESM_S12_SN_SO_SP_EUlS12_E0_NS1_11comp_targetILNS1_3genE5ELNS1_11target_archE942ELNS1_3gpuE9ELNS1_3repE0EEENS1_38merge_mergepath_config_static_selectorELNS0_4arch9wavefront6targetE1EEEvSO_
; %bb.0:
	.section	.rodata,"a",@progbits
	.p2align	6, 0x0
	.amdhsa_kernel _ZN7rocprim17ROCPRIM_400000_NS6detail17trampoline_kernelINS0_14default_configENS1_38merge_sort_block_merge_config_selectorIlNS0_10empty_typeEEEZZNS1_27merge_sort_block_merge_implIS3_PlPS5_mZN2at6native12_GLOBAL__N_124unique_dim_cuda_templateIN3c104HalfEEESt5tupleIJNSA_6TensorESH_SH_EERKSH_lbbbEUlllE_EE10hipError_tT0_T1_T2_jT3_P12ihipStream_tbPNSt15iterator_traitsISN_E10value_typeEPNST_ISO_E10value_typeEPSP_NS1_7vsmem_tEENKUlT_SN_SO_SP_E_clIS8_S8_S9_S9_EESM_S12_SN_SO_SP_EUlS12_E0_NS1_11comp_targetILNS1_3genE5ELNS1_11target_archE942ELNS1_3gpuE9ELNS1_3repE0EEENS1_38merge_mergepath_config_static_selectorELNS0_4arch9wavefront6targetE1EEEvSO_
		.amdhsa_group_segment_fixed_size 0
		.amdhsa_private_segment_fixed_size 0
		.amdhsa_kernarg_size 88
		.amdhsa_user_sgpr_count 2
		.amdhsa_user_sgpr_dispatch_ptr 0
		.amdhsa_user_sgpr_queue_ptr 0
		.amdhsa_user_sgpr_kernarg_segment_ptr 1
		.amdhsa_user_sgpr_dispatch_id 0
		.amdhsa_user_sgpr_kernarg_preload_length 0
		.amdhsa_user_sgpr_kernarg_preload_offset 0
		.amdhsa_user_sgpr_private_segment_size 0
		.amdhsa_uses_dynamic_stack 0
		.amdhsa_enable_private_segment 0
		.amdhsa_system_sgpr_workgroup_id_x 1
		.amdhsa_system_sgpr_workgroup_id_y 0
		.amdhsa_system_sgpr_workgroup_id_z 0
		.amdhsa_system_sgpr_workgroup_info 0
		.amdhsa_system_vgpr_workitem_id 0
		.amdhsa_next_free_vgpr 1
		.amdhsa_next_free_sgpr 0
		.amdhsa_accum_offset 4
		.amdhsa_reserve_vcc 0
		.amdhsa_float_round_mode_32 0
		.amdhsa_float_round_mode_16_64 0
		.amdhsa_float_denorm_mode_32 3
		.amdhsa_float_denorm_mode_16_64 3
		.amdhsa_dx10_clamp 1
		.amdhsa_ieee_mode 1
		.amdhsa_fp16_overflow 0
		.amdhsa_tg_split 0
		.amdhsa_exception_fp_ieee_invalid_op 0
		.amdhsa_exception_fp_denorm_src 0
		.amdhsa_exception_fp_ieee_div_zero 0
		.amdhsa_exception_fp_ieee_overflow 0
		.amdhsa_exception_fp_ieee_underflow 0
		.amdhsa_exception_fp_ieee_inexact 0
		.amdhsa_exception_int_div_zero 0
	.end_amdhsa_kernel
	.section	.text._ZN7rocprim17ROCPRIM_400000_NS6detail17trampoline_kernelINS0_14default_configENS1_38merge_sort_block_merge_config_selectorIlNS0_10empty_typeEEEZZNS1_27merge_sort_block_merge_implIS3_PlPS5_mZN2at6native12_GLOBAL__N_124unique_dim_cuda_templateIN3c104HalfEEESt5tupleIJNSA_6TensorESH_SH_EERKSH_lbbbEUlllE_EE10hipError_tT0_T1_T2_jT3_P12ihipStream_tbPNSt15iterator_traitsISN_E10value_typeEPNST_ISO_E10value_typeEPSP_NS1_7vsmem_tEENKUlT_SN_SO_SP_E_clIS8_S8_S9_S9_EESM_S12_SN_SO_SP_EUlS12_E0_NS1_11comp_targetILNS1_3genE5ELNS1_11target_archE942ELNS1_3gpuE9ELNS1_3repE0EEENS1_38merge_mergepath_config_static_selectorELNS0_4arch9wavefront6targetE1EEEvSO_,"axG",@progbits,_ZN7rocprim17ROCPRIM_400000_NS6detail17trampoline_kernelINS0_14default_configENS1_38merge_sort_block_merge_config_selectorIlNS0_10empty_typeEEEZZNS1_27merge_sort_block_merge_implIS3_PlPS5_mZN2at6native12_GLOBAL__N_124unique_dim_cuda_templateIN3c104HalfEEESt5tupleIJNSA_6TensorESH_SH_EERKSH_lbbbEUlllE_EE10hipError_tT0_T1_T2_jT3_P12ihipStream_tbPNSt15iterator_traitsISN_E10value_typeEPNST_ISO_E10value_typeEPSP_NS1_7vsmem_tEENKUlT_SN_SO_SP_E_clIS8_S8_S9_S9_EESM_S12_SN_SO_SP_EUlS12_E0_NS1_11comp_targetILNS1_3genE5ELNS1_11target_archE942ELNS1_3gpuE9ELNS1_3repE0EEENS1_38merge_mergepath_config_static_selectorELNS0_4arch9wavefront6targetE1EEEvSO_,comdat
.Lfunc_end1258:
	.size	_ZN7rocprim17ROCPRIM_400000_NS6detail17trampoline_kernelINS0_14default_configENS1_38merge_sort_block_merge_config_selectorIlNS0_10empty_typeEEEZZNS1_27merge_sort_block_merge_implIS3_PlPS5_mZN2at6native12_GLOBAL__N_124unique_dim_cuda_templateIN3c104HalfEEESt5tupleIJNSA_6TensorESH_SH_EERKSH_lbbbEUlllE_EE10hipError_tT0_T1_T2_jT3_P12ihipStream_tbPNSt15iterator_traitsISN_E10value_typeEPNST_ISO_E10value_typeEPSP_NS1_7vsmem_tEENKUlT_SN_SO_SP_E_clIS8_S8_S9_S9_EESM_S12_SN_SO_SP_EUlS12_E0_NS1_11comp_targetILNS1_3genE5ELNS1_11target_archE942ELNS1_3gpuE9ELNS1_3repE0EEENS1_38merge_mergepath_config_static_selectorELNS0_4arch9wavefront6targetE1EEEvSO_, .Lfunc_end1258-_ZN7rocprim17ROCPRIM_400000_NS6detail17trampoline_kernelINS0_14default_configENS1_38merge_sort_block_merge_config_selectorIlNS0_10empty_typeEEEZZNS1_27merge_sort_block_merge_implIS3_PlPS5_mZN2at6native12_GLOBAL__N_124unique_dim_cuda_templateIN3c104HalfEEESt5tupleIJNSA_6TensorESH_SH_EERKSH_lbbbEUlllE_EE10hipError_tT0_T1_T2_jT3_P12ihipStream_tbPNSt15iterator_traitsISN_E10value_typeEPNST_ISO_E10value_typeEPSP_NS1_7vsmem_tEENKUlT_SN_SO_SP_E_clIS8_S8_S9_S9_EESM_S12_SN_SO_SP_EUlS12_E0_NS1_11comp_targetILNS1_3genE5ELNS1_11target_archE942ELNS1_3gpuE9ELNS1_3repE0EEENS1_38merge_mergepath_config_static_selectorELNS0_4arch9wavefront6targetE1EEEvSO_
                                        ; -- End function
	.set _ZN7rocprim17ROCPRIM_400000_NS6detail17trampoline_kernelINS0_14default_configENS1_38merge_sort_block_merge_config_selectorIlNS0_10empty_typeEEEZZNS1_27merge_sort_block_merge_implIS3_PlPS5_mZN2at6native12_GLOBAL__N_124unique_dim_cuda_templateIN3c104HalfEEESt5tupleIJNSA_6TensorESH_SH_EERKSH_lbbbEUlllE_EE10hipError_tT0_T1_T2_jT3_P12ihipStream_tbPNSt15iterator_traitsISN_E10value_typeEPNST_ISO_E10value_typeEPSP_NS1_7vsmem_tEENKUlT_SN_SO_SP_E_clIS8_S8_S9_S9_EESM_S12_SN_SO_SP_EUlS12_E0_NS1_11comp_targetILNS1_3genE5ELNS1_11target_archE942ELNS1_3gpuE9ELNS1_3repE0EEENS1_38merge_mergepath_config_static_selectorELNS0_4arch9wavefront6targetE1EEEvSO_.num_vgpr, 0
	.set _ZN7rocprim17ROCPRIM_400000_NS6detail17trampoline_kernelINS0_14default_configENS1_38merge_sort_block_merge_config_selectorIlNS0_10empty_typeEEEZZNS1_27merge_sort_block_merge_implIS3_PlPS5_mZN2at6native12_GLOBAL__N_124unique_dim_cuda_templateIN3c104HalfEEESt5tupleIJNSA_6TensorESH_SH_EERKSH_lbbbEUlllE_EE10hipError_tT0_T1_T2_jT3_P12ihipStream_tbPNSt15iterator_traitsISN_E10value_typeEPNST_ISO_E10value_typeEPSP_NS1_7vsmem_tEENKUlT_SN_SO_SP_E_clIS8_S8_S9_S9_EESM_S12_SN_SO_SP_EUlS12_E0_NS1_11comp_targetILNS1_3genE5ELNS1_11target_archE942ELNS1_3gpuE9ELNS1_3repE0EEENS1_38merge_mergepath_config_static_selectorELNS0_4arch9wavefront6targetE1EEEvSO_.num_agpr, 0
	.set _ZN7rocprim17ROCPRIM_400000_NS6detail17trampoline_kernelINS0_14default_configENS1_38merge_sort_block_merge_config_selectorIlNS0_10empty_typeEEEZZNS1_27merge_sort_block_merge_implIS3_PlPS5_mZN2at6native12_GLOBAL__N_124unique_dim_cuda_templateIN3c104HalfEEESt5tupleIJNSA_6TensorESH_SH_EERKSH_lbbbEUlllE_EE10hipError_tT0_T1_T2_jT3_P12ihipStream_tbPNSt15iterator_traitsISN_E10value_typeEPNST_ISO_E10value_typeEPSP_NS1_7vsmem_tEENKUlT_SN_SO_SP_E_clIS8_S8_S9_S9_EESM_S12_SN_SO_SP_EUlS12_E0_NS1_11comp_targetILNS1_3genE5ELNS1_11target_archE942ELNS1_3gpuE9ELNS1_3repE0EEENS1_38merge_mergepath_config_static_selectorELNS0_4arch9wavefront6targetE1EEEvSO_.numbered_sgpr, 0
	.set _ZN7rocprim17ROCPRIM_400000_NS6detail17trampoline_kernelINS0_14default_configENS1_38merge_sort_block_merge_config_selectorIlNS0_10empty_typeEEEZZNS1_27merge_sort_block_merge_implIS3_PlPS5_mZN2at6native12_GLOBAL__N_124unique_dim_cuda_templateIN3c104HalfEEESt5tupleIJNSA_6TensorESH_SH_EERKSH_lbbbEUlllE_EE10hipError_tT0_T1_T2_jT3_P12ihipStream_tbPNSt15iterator_traitsISN_E10value_typeEPNST_ISO_E10value_typeEPSP_NS1_7vsmem_tEENKUlT_SN_SO_SP_E_clIS8_S8_S9_S9_EESM_S12_SN_SO_SP_EUlS12_E0_NS1_11comp_targetILNS1_3genE5ELNS1_11target_archE942ELNS1_3gpuE9ELNS1_3repE0EEENS1_38merge_mergepath_config_static_selectorELNS0_4arch9wavefront6targetE1EEEvSO_.num_named_barrier, 0
	.set _ZN7rocprim17ROCPRIM_400000_NS6detail17trampoline_kernelINS0_14default_configENS1_38merge_sort_block_merge_config_selectorIlNS0_10empty_typeEEEZZNS1_27merge_sort_block_merge_implIS3_PlPS5_mZN2at6native12_GLOBAL__N_124unique_dim_cuda_templateIN3c104HalfEEESt5tupleIJNSA_6TensorESH_SH_EERKSH_lbbbEUlllE_EE10hipError_tT0_T1_T2_jT3_P12ihipStream_tbPNSt15iterator_traitsISN_E10value_typeEPNST_ISO_E10value_typeEPSP_NS1_7vsmem_tEENKUlT_SN_SO_SP_E_clIS8_S8_S9_S9_EESM_S12_SN_SO_SP_EUlS12_E0_NS1_11comp_targetILNS1_3genE5ELNS1_11target_archE942ELNS1_3gpuE9ELNS1_3repE0EEENS1_38merge_mergepath_config_static_selectorELNS0_4arch9wavefront6targetE1EEEvSO_.private_seg_size, 0
	.set _ZN7rocprim17ROCPRIM_400000_NS6detail17trampoline_kernelINS0_14default_configENS1_38merge_sort_block_merge_config_selectorIlNS0_10empty_typeEEEZZNS1_27merge_sort_block_merge_implIS3_PlPS5_mZN2at6native12_GLOBAL__N_124unique_dim_cuda_templateIN3c104HalfEEESt5tupleIJNSA_6TensorESH_SH_EERKSH_lbbbEUlllE_EE10hipError_tT0_T1_T2_jT3_P12ihipStream_tbPNSt15iterator_traitsISN_E10value_typeEPNST_ISO_E10value_typeEPSP_NS1_7vsmem_tEENKUlT_SN_SO_SP_E_clIS8_S8_S9_S9_EESM_S12_SN_SO_SP_EUlS12_E0_NS1_11comp_targetILNS1_3genE5ELNS1_11target_archE942ELNS1_3gpuE9ELNS1_3repE0EEENS1_38merge_mergepath_config_static_selectorELNS0_4arch9wavefront6targetE1EEEvSO_.uses_vcc, 0
	.set _ZN7rocprim17ROCPRIM_400000_NS6detail17trampoline_kernelINS0_14default_configENS1_38merge_sort_block_merge_config_selectorIlNS0_10empty_typeEEEZZNS1_27merge_sort_block_merge_implIS3_PlPS5_mZN2at6native12_GLOBAL__N_124unique_dim_cuda_templateIN3c104HalfEEESt5tupleIJNSA_6TensorESH_SH_EERKSH_lbbbEUlllE_EE10hipError_tT0_T1_T2_jT3_P12ihipStream_tbPNSt15iterator_traitsISN_E10value_typeEPNST_ISO_E10value_typeEPSP_NS1_7vsmem_tEENKUlT_SN_SO_SP_E_clIS8_S8_S9_S9_EESM_S12_SN_SO_SP_EUlS12_E0_NS1_11comp_targetILNS1_3genE5ELNS1_11target_archE942ELNS1_3gpuE9ELNS1_3repE0EEENS1_38merge_mergepath_config_static_selectorELNS0_4arch9wavefront6targetE1EEEvSO_.uses_flat_scratch, 0
	.set _ZN7rocprim17ROCPRIM_400000_NS6detail17trampoline_kernelINS0_14default_configENS1_38merge_sort_block_merge_config_selectorIlNS0_10empty_typeEEEZZNS1_27merge_sort_block_merge_implIS3_PlPS5_mZN2at6native12_GLOBAL__N_124unique_dim_cuda_templateIN3c104HalfEEESt5tupleIJNSA_6TensorESH_SH_EERKSH_lbbbEUlllE_EE10hipError_tT0_T1_T2_jT3_P12ihipStream_tbPNSt15iterator_traitsISN_E10value_typeEPNST_ISO_E10value_typeEPSP_NS1_7vsmem_tEENKUlT_SN_SO_SP_E_clIS8_S8_S9_S9_EESM_S12_SN_SO_SP_EUlS12_E0_NS1_11comp_targetILNS1_3genE5ELNS1_11target_archE942ELNS1_3gpuE9ELNS1_3repE0EEENS1_38merge_mergepath_config_static_selectorELNS0_4arch9wavefront6targetE1EEEvSO_.has_dyn_sized_stack, 0
	.set _ZN7rocprim17ROCPRIM_400000_NS6detail17trampoline_kernelINS0_14default_configENS1_38merge_sort_block_merge_config_selectorIlNS0_10empty_typeEEEZZNS1_27merge_sort_block_merge_implIS3_PlPS5_mZN2at6native12_GLOBAL__N_124unique_dim_cuda_templateIN3c104HalfEEESt5tupleIJNSA_6TensorESH_SH_EERKSH_lbbbEUlllE_EE10hipError_tT0_T1_T2_jT3_P12ihipStream_tbPNSt15iterator_traitsISN_E10value_typeEPNST_ISO_E10value_typeEPSP_NS1_7vsmem_tEENKUlT_SN_SO_SP_E_clIS8_S8_S9_S9_EESM_S12_SN_SO_SP_EUlS12_E0_NS1_11comp_targetILNS1_3genE5ELNS1_11target_archE942ELNS1_3gpuE9ELNS1_3repE0EEENS1_38merge_mergepath_config_static_selectorELNS0_4arch9wavefront6targetE1EEEvSO_.has_recursion, 0
	.set _ZN7rocprim17ROCPRIM_400000_NS6detail17trampoline_kernelINS0_14default_configENS1_38merge_sort_block_merge_config_selectorIlNS0_10empty_typeEEEZZNS1_27merge_sort_block_merge_implIS3_PlPS5_mZN2at6native12_GLOBAL__N_124unique_dim_cuda_templateIN3c104HalfEEESt5tupleIJNSA_6TensorESH_SH_EERKSH_lbbbEUlllE_EE10hipError_tT0_T1_T2_jT3_P12ihipStream_tbPNSt15iterator_traitsISN_E10value_typeEPNST_ISO_E10value_typeEPSP_NS1_7vsmem_tEENKUlT_SN_SO_SP_E_clIS8_S8_S9_S9_EESM_S12_SN_SO_SP_EUlS12_E0_NS1_11comp_targetILNS1_3genE5ELNS1_11target_archE942ELNS1_3gpuE9ELNS1_3repE0EEENS1_38merge_mergepath_config_static_selectorELNS0_4arch9wavefront6targetE1EEEvSO_.has_indirect_call, 0
	.section	.AMDGPU.csdata,"",@progbits
; Kernel info:
; codeLenInByte = 0
; TotalNumSgprs: 6
; NumVgprs: 0
; NumAgprs: 0
; TotalNumVgprs: 0
; ScratchSize: 0
; MemoryBound: 0
; FloatMode: 240
; IeeeMode: 1
; LDSByteSize: 0 bytes/workgroup (compile time only)
; SGPRBlocks: 0
; VGPRBlocks: 0
; NumSGPRsForWavesPerEU: 6
; NumVGPRsForWavesPerEU: 1
; AccumOffset: 4
; Occupancy: 8
; WaveLimiterHint : 0
; COMPUTE_PGM_RSRC2:SCRATCH_EN: 0
; COMPUTE_PGM_RSRC2:USER_SGPR: 2
; COMPUTE_PGM_RSRC2:TRAP_HANDLER: 0
; COMPUTE_PGM_RSRC2:TGID_X_EN: 1
; COMPUTE_PGM_RSRC2:TGID_Y_EN: 0
; COMPUTE_PGM_RSRC2:TGID_Z_EN: 0
; COMPUTE_PGM_RSRC2:TIDIG_COMP_CNT: 0
; COMPUTE_PGM_RSRC3_GFX90A:ACCUM_OFFSET: 0
; COMPUTE_PGM_RSRC3_GFX90A:TG_SPLIT: 0
	.section	.text._ZN7rocprim17ROCPRIM_400000_NS6detail17trampoline_kernelINS0_14default_configENS1_38merge_sort_block_merge_config_selectorIlNS0_10empty_typeEEEZZNS1_27merge_sort_block_merge_implIS3_PlPS5_mZN2at6native12_GLOBAL__N_124unique_dim_cuda_templateIN3c104HalfEEESt5tupleIJNSA_6TensorESH_SH_EERKSH_lbbbEUlllE_EE10hipError_tT0_T1_T2_jT3_P12ihipStream_tbPNSt15iterator_traitsISN_E10value_typeEPNST_ISO_E10value_typeEPSP_NS1_7vsmem_tEENKUlT_SN_SO_SP_E_clIS8_S8_S9_S9_EESM_S12_SN_SO_SP_EUlS12_E0_NS1_11comp_targetILNS1_3genE4ELNS1_11target_archE910ELNS1_3gpuE8ELNS1_3repE0EEENS1_38merge_mergepath_config_static_selectorELNS0_4arch9wavefront6targetE1EEEvSO_,"axG",@progbits,_ZN7rocprim17ROCPRIM_400000_NS6detail17trampoline_kernelINS0_14default_configENS1_38merge_sort_block_merge_config_selectorIlNS0_10empty_typeEEEZZNS1_27merge_sort_block_merge_implIS3_PlPS5_mZN2at6native12_GLOBAL__N_124unique_dim_cuda_templateIN3c104HalfEEESt5tupleIJNSA_6TensorESH_SH_EERKSH_lbbbEUlllE_EE10hipError_tT0_T1_T2_jT3_P12ihipStream_tbPNSt15iterator_traitsISN_E10value_typeEPNST_ISO_E10value_typeEPSP_NS1_7vsmem_tEENKUlT_SN_SO_SP_E_clIS8_S8_S9_S9_EESM_S12_SN_SO_SP_EUlS12_E0_NS1_11comp_targetILNS1_3genE4ELNS1_11target_archE910ELNS1_3gpuE8ELNS1_3repE0EEENS1_38merge_mergepath_config_static_selectorELNS0_4arch9wavefront6targetE1EEEvSO_,comdat
	.globl	_ZN7rocprim17ROCPRIM_400000_NS6detail17trampoline_kernelINS0_14default_configENS1_38merge_sort_block_merge_config_selectorIlNS0_10empty_typeEEEZZNS1_27merge_sort_block_merge_implIS3_PlPS5_mZN2at6native12_GLOBAL__N_124unique_dim_cuda_templateIN3c104HalfEEESt5tupleIJNSA_6TensorESH_SH_EERKSH_lbbbEUlllE_EE10hipError_tT0_T1_T2_jT3_P12ihipStream_tbPNSt15iterator_traitsISN_E10value_typeEPNST_ISO_E10value_typeEPSP_NS1_7vsmem_tEENKUlT_SN_SO_SP_E_clIS8_S8_S9_S9_EESM_S12_SN_SO_SP_EUlS12_E0_NS1_11comp_targetILNS1_3genE4ELNS1_11target_archE910ELNS1_3gpuE8ELNS1_3repE0EEENS1_38merge_mergepath_config_static_selectorELNS0_4arch9wavefront6targetE1EEEvSO_ ; -- Begin function _ZN7rocprim17ROCPRIM_400000_NS6detail17trampoline_kernelINS0_14default_configENS1_38merge_sort_block_merge_config_selectorIlNS0_10empty_typeEEEZZNS1_27merge_sort_block_merge_implIS3_PlPS5_mZN2at6native12_GLOBAL__N_124unique_dim_cuda_templateIN3c104HalfEEESt5tupleIJNSA_6TensorESH_SH_EERKSH_lbbbEUlllE_EE10hipError_tT0_T1_T2_jT3_P12ihipStream_tbPNSt15iterator_traitsISN_E10value_typeEPNST_ISO_E10value_typeEPSP_NS1_7vsmem_tEENKUlT_SN_SO_SP_E_clIS8_S8_S9_S9_EESM_S12_SN_SO_SP_EUlS12_E0_NS1_11comp_targetILNS1_3genE4ELNS1_11target_archE910ELNS1_3gpuE8ELNS1_3repE0EEENS1_38merge_mergepath_config_static_selectorELNS0_4arch9wavefront6targetE1EEEvSO_
	.p2align	8
	.type	_ZN7rocprim17ROCPRIM_400000_NS6detail17trampoline_kernelINS0_14default_configENS1_38merge_sort_block_merge_config_selectorIlNS0_10empty_typeEEEZZNS1_27merge_sort_block_merge_implIS3_PlPS5_mZN2at6native12_GLOBAL__N_124unique_dim_cuda_templateIN3c104HalfEEESt5tupleIJNSA_6TensorESH_SH_EERKSH_lbbbEUlllE_EE10hipError_tT0_T1_T2_jT3_P12ihipStream_tbPNSt15iterator_traitsISN_E10value_typeEPNST_ISO_E10value_typeEPSP_NS1_7vsmem_tEENKUlT_SN_SO_SP_E_clIS8_S8_S9_S9_EESM_S12_SN_SO_SP_EUlS12_E0_NS1_11comp_targetILNS1_3genE4ELNS1_11target_archE910ELNS1_3gpuE8ELNS1_3repE0EEENS1_38merge_mergepath_config_static_selectorELNS0_4arch9wavefront6targetE1EEEvSO_,@function
_ZN7rocprim17ROCPRIM_400000_NS6detail17trampoline_kernelINS0_14default_configENS1_38merge_sort_block_merge_config_selectorIlNS0_10empty_typeEEEZZNS1_27merge_sort_block_merge_implIS3_PlPS5_mZN2at6native12_GLOBAL__N_124unique_dim_cuda_templateIN3c104HalfEEESt5tupleIJNSA_6TensorESH_SH_EERKSH_lbbbEUlllE_EE10hipError_tT0_T1_T2_jT3_P12ihipStream_tbPNSt15iterator_traitsISN_E10value_typeEPNST_ISO_E10value_typeEPSP_NS1_7vsmem_tEENKUlT_SN_SO_SP_E_clIS8_S8_S9_S9_EESM_S12_SN_SO_SP_EUlS12_E0_NS1_11comp_targetILNS1_3genE4ELNS1_11target_archE910ELNS1_3gpuE8ELNS1_3repE0EEENS1_38merge_mergepath_config_static_selectorELNS0_4arch9wavefront6targetE1EEEvSO_: ; @_ZN7rocprim17ROCPRIM_400000_NS6detail17trampoline_kernelINS0_14default_configENS1_38merge_sort_block_merge_config_selectorIlNS0_10empty_typeEEEZZNS1_27merge_sort_block_merge_implIS3_PlPS5_mZN2at6native12_GLOBAL__N_124unique_dim_cuda_templateIN3c104HalfEEESt5tupleIJNSA_6TensorESH_SH_EERKSH_lbbbEUlllE_EE10hipError_tT0_T1_T2_jT3_P12ihipStream_tbPNSt15iterator_traitsISN_E10value_typeEPNST_ISO_E10value_typeEPSP_NS1_7vsmem_tEENKUlT_SN_SO_SP_E_clIS8_S8_S9_S9_EESM_S12_SN_SO_SP_EUlS12_E0_NS1_11comp_targetILNS1_3genE4ELNS1_11target_archE910ELNS1_3gpuE8ELNS1_3repE0EEENS1_38merge_mergepath_config_static_selectorELNS0_4arch9wavefront6targetE1EEEvSO_
; %bb.0:
	.section	.rodata,"a",@progbits
	.p2align	6, 0x0
	.amdhsa_kernel _ZN7rocprim17ROCPRIM_400000_NS6detail17trampoline_kernelINS0_14default_configENS1_38merge_sort_block_merge_config_selectorIlNS0_10empty_typeEEEZZNS1_27merge_sort_block_merge_implIS3_PlPS5_mZN2at6native12_GLOBAL__N_124unique_dim_cuda_templateIN3c104HalfEEESt5tupleIJNSA_6TensorESH_SH_EERKSH_lbbbEUlllE_EE10hipError_tT0_T1_T2_jT3_P12ihipStream_tbPNSt15iterator_traitsISN_E10value_typeEPNST_ISO_E10value_typeEPSP_NS1_7vsmem_tEENKUlT_SN_SO_SP_E_clIS8_S8_S9_S9_EESM_S12_SN_SO_SP_EUlS12_E0_NS1_11comp_targetILNS1_3genE4ELNS1_11target_archE910ELNS1_3gpuE8ELNS1_3repE0EEENS1_38merge_mergepath_config_static_selectorELNS0_4arch9wavefront6targetE1EEEvSO_
		.amdhsa_group_segment_fixed_size 0
		.amdhsa_private_segment_fixed_size 0
		.amdhsa_kernarg_size 88
		.amdhsa_user_sgpr_count 2
		.amdhsa_user_sgpr_dispatch_ptr 0
		.amdhsa_user_sgpr_queue_ptr 0
		.amdhsa_user_sgpr_kernarg_segment_ptr 1
		.amdhsa_user_sgpr_dispatch_id 0
		.amdhsa_user_sgpr_kernarg_preload_length 0
		.amdhsa_user_sgpr_kernarg_preload_offset 0
		.amdhsa_user_sgpr_private_segment_size 0
		.amdhsa_uses_dynamic_stack 0
		.amdhsa_enable_private_segment 0
		.amdhsa_system_sgpr_workgroup_id_x 1
		.amdhsa_system_sgpr_workgroup_id_y 0
		.amdhsa_system_sgpr_workgroup_id_z 0
		.amdhsa_system_sgpr_workgroup_info 0
		.amdhsa_system_vgpr_workitem_id 0
		.amdhsa_next_free_vgpr 1
		.amdhsa_next_free_sgpr 0
		.amdhsa_accum_offset 4
		.amdhsa_reserve_vcc 0
		.amdhsa_float_round_mode_32 0
		.amdhsa_float_round_mode_16_64 0
		.amdhsa_float_denorm_mode_32 3
		.amdhsa_float_denorm_mode_16_64 3
		.amdhsa_dx10_clamp 1
		.amdhsa_ieee_mode 1
		.amdhsa_fp16_overflow 0
		.amdhsa_tg_split 0
		.amdhsa_exception_fp_ieee_invalid_op 0
		.amdhsa_exception_fp_denorm_src 0
		.amdhsa_exception_fp_ieee_div_zero 0
		.amdhsa_exception_fp_ieee_overflow 0
		.amdhsa_exception_fp_ieee_underflow 0
		.amdhsa_exception_fp_ieee_inexact 0
		.amdhsa_exception_int_div_zero 0
	.end_amdhsa_kernel
	.section	.text._ZN7rocprim17ROCPRIM_400000_NS6detail17trampoline_kernelINS0_14default_configENS1_38merge_sort_block_merge_config_selectorIlNS0_10empty_typeEEEZZNS1_27merge_sort_block_merge_implIS3_PlPS5_mZN2at6native12_GLOBAL__N_124unique_dim_cuda_templateIN3c104HalfEEESt5tupleIJNSA_6TensorESH_SH_EERKSH_lbbbEUlllE_EE10hipError_tT0_T1_T2_jT3_P12ihipStream_tbPNSt15iterator_traitsISN_E10value_typeEPNST_ISO_E10value_typeEPSP_NS1_7vsmem_tEENKUlT_SN_SO_SP_E_clIS8_S8_S9_S9_EESM_S12_SN_SO_SP_EUlS12_E0_NS1_11comp_targetILNS1_3genE4ELNS1_11target_archE910ELNS1_3gpuE8ELNS1_3repE0EEENS1_38merge_mergepath_config_static_selectorELNS0_4arch9wavefront6targetE1EEEvSO_,"axG",@progbits,_ZN7rocprim17ROCPRIM_400000_NS6detail17trampoline_kernelINS0_14default_configENS1_38merge_sort_block_merge_config_selectorIlNS0_10empty_typeEEEZZNS1_27merge_sort_block_merge_implIS3_PlPS5_mZN2at6native12_GLOBAL__N_124unique_dim_cuda_templateIN3c104HalfEEESt5tupleIJNSA_6TensorESH_SH_EERKSH_lbbbEUlllE_EE10hipError_tT0_T1_T2_jT3_P12ihipStream_tbPNSt15iterator_traitsISN_E10value_typeEPNST_ISO_E10value_typeEPSP_NS1_7vsmem_tEENKUlT_SN_SO_SP_E_clIS8_S8_S9_S9_EESM_S12_SN_SO_SP_EUlS12_E0_NS1_11comp_targetILNS1_3genE4ELNS1_11target_archE910ELNS1_3gpuE8ELNS1_3repE0EEENS1_38merge_mergepath_config_static_selectorELNS0_4arch9wavefront6targetE1EEEvSO_,comdat
.Lfunc_end1259:
	.size	_ZN7rocprim17ROCPRIM_400000_NS6detail17trampoline_kernelINS0_14default_configENS1_38merge_sort_block_merge_config_selectorIlNS0_10empty_typeEEEZZNS1_27merge_sort_block_merge_implIS3_PlPS5_mZN2at6native12_GLOBAL__N_124unique_dim_cuda_templateIN3c104HalfEEESt5tupleIJNSA_6TensorESH_SH_EERKSH_lbbbEUlllE_EE10hipError_tT0_T1_T2_jT3_P12ihipStream_tbPNSt15iterator_traitsISN_E10value_typeEPNST_ISO_E10value_typeEPSP_NS1_7vsmem_tEENKUlT_SN_SO_SP_E_clIS8_S8_S9_S9_EESM_S12_SN_SO_SP_EUlS12_E0_NS1_11comp_targetILNS1_3genE4ELNS1_11target_archE910ELNS1_3gpuE8ELNS1_3repE0EEENS1_38merge_mergepath_config_static_selectorELNS0_4arch9wavefront6targetE1EEEvSO_, .Lfunc_end1259-_ZN7rocprim17ROCPRIM_400000_NS6detail17trampoline_kernelINS0_14default_configENS1_38merge_sort_block_merge_config_selectorIlNS0_10empty_typeEEEZZNS1_27merge_sort_block_merge_implIS3_PlPS5_mZN2at6native12_GLOBAL__N_124unique_dim_cuda_templateIN3c104HalfEEESt5tupleIJNSA_6TensorESH_SH_EERKSH_lbbbEUlllE_EE10hipError_tT0_T1_T2_jT3_P12ihipStream_tbPNSt15iterator_traitsISN_E10value_typeEPNST_ISO_E10value_typeEPSP_NS1_7vsmem_tEENKUlT_SN_SO_SP_E_clIS8_S8_S9_S9_EESM_S12_SN_SO_SP_EUlS12_E0_NS1_11comp_targetILNS1_3genE4ELNS1_11target_archE910ELNS1_3gpuE8ELNS1_3repE0EEENS1_38merge_mergepath_config_static_selectorELNS0_4arch9wavefront6targetE1EEEvSO_
                                        ; -- End function
	.set _ZN7rocprim17ROCPRIM_400000_NS6detail17trampoline_kernelINS0_14default_configENS1_38merge_sort_block_merge_config_selectorIlNS0_10empty_typeEEEZZNS1_27merge_sort_block_merge_implIS3_PlPS5_mZN2at6native12_GLOBAL__N_124unique_dim_cuda_templateIN3c104HalfEEESt5tupleIJNSA_6TensorESH_SH_EERKSH_lbbbEUlllE_EE10hipError_tT0_T1_T2_jT3_P12ihipStream_tbPNSt15iterator_traitsISN_E10value_typeEPNST_ISO_E10value_typeEPSP_NS1_7vsmem_tEENKUlT_SN_SO_SP_E_clIS8_S8_S9_S9_EESM_S12_SN_SO_SP_EUlS12_E0_NS1_11comp_targetILNS1_3genE4ELNS1_11target_archE910ELNS1_3gpuE8ELNS1_3repE0EEENS1_38merge_mergepath_config_static_selectorELNS0_4arch9wavefront6targetE1EEEvSO_.num_vgpr, 0
	.set _ZN7rocprim17ROCPRIM_400000_NS6detail17trampoline_kernelINS0_14default_configENS1_38merge_sort_block_merge_config_selectorIlNS0_10empty_typeEEEZZNS1_27merge_sort_block_merge_implIS3_PlPS5_mZN2at6native12_GLOBAL__N_124unique_dim_cuda_templateIN3c104HalfEEESt5tupleIJNSA_6TensorESH_SH_EERKSH_lbbbEUlllE_EE10hipError_tT0_T1_T2_jT3_P12ihipStream_tbPNSt15iterator_traitsISN_E10value_typeEPNST_ISO_E10value_typeEPSP_NS1_7vsmem_tEENKUlT_SN_SO_SP_E_clIS8_S8_S9_S9_EESM_S12_SN_SO_SP_EUlS12_E0_NS1_11comp_targetILNS1_3genE4ELNS1_11target_archE910ELNS1_3gpuE8ELNS1_3repE0EEENS1_38merge_mergepath_config_static_selectorELNS0_4arch9wavefront6targetE1EEEvSO_.num_agpr, 0
	.set _ZN7rocprim17ROCPRIM_400000_NS6detail17trampoline_kernelINS0_14default_configENS1_38merge_sort_block_merge_config_selectorIlNS0_10empty_typeEEEZZNS1_27merge_sort_block_merge_implIS3_PlPS5_mZN2at6native12_GLOBAL__N_124unique_dim_cuda_templateIN3c104HalfEEESt5tupleIJNSA_6TensorESH_SH_EERKSH_lbbbEUlllE_EE10hipError_tT0_T1_T2_jT3_P12ihipStream_tbPNSt15iterator_traitsISN_E10value_typeEPNST_ISO_E10value_typeEPSP_NS1_7vsmem_tEENKUlT_SN_SO_SP_E_clIS8_S8_S9_S9_EESM_S12_SN_SO_SP_EUlS12_E0_NS1_11comp_targetILNS1_3genE4ELNS1_11target_archE910ELNS1_3gpuE8ELNS1_3repE0EEENS1_38merge_mergepath_config_static_selectorELNS0_4arch9wavefront6targetE1EEEvSO_.numbered_sgpr, 0
	.set _ZN7rocprim17ROCPRIM_400000_NS6detail17trampoline_kernelINS0_14default_configENS1_38merge_sort_block_merge_config_selectorIlNS0_10empty_typeEEEZZNS1_27merge_sort_block_merge_implIS3_PlPS5_mZN2at6native12_GLOBAL__N_124unique_dim_cuda_templateIN3c104HalfEEESt5tupleIJNSA_6TensorESH_SH_EERKSH_lbbbEUlllE_EE10hipError_tT0_T1_T2_jT3_P12ihipStream_tbPNSt15iterator_traitsISN_E10value_typeEPNST_ISO_E10value_typeEPSP_NS1_7vsmem_tEENKUlT_SN_SO_SP_E_clIS8_S8_S9_S9_EESM_S12_SN_SO_SP_EUlS12_E0_NS1_11comp_targetILNS1_3genE4ELNS1_11target_archE910ELNS1_3gpuE8ELNS1_3repE0EEENS1_38merge_mergepath_config_static_selectorELNS0_4arch9wavefront6targetE1EEEvSO_.num_named_barrier, 0
	.set _ZN7rocprim17ROCPRIM_400000_NS6detail17trampoline_kernelINS0_14default_configENS1_38merge_sort_block_merge_config_selectorIlNS0_10empty_typeEEEZZNS1_27merge_sort_block_merge_implIS3_PlPS5_mZN2at6native12_GLOBAL__N_124unique_dim_cuda_templateIN3c104HalfEEESt5tupleIJNSA_6TensorESH_SH_EERKSH_lbbbEUlllE_EE10hipError_tT0_T1_T2_jT3_P12ihipStream_tbPNSt15iterator_traitsISN_E10value_typeEPNST_ISO_E10value_typeEPSP_NS1_7vsmem_tEENKUlT_SN_SO_SP_E_clIS8_S8_S9_S9_EESM_S12_SN_SO_SP_EUlS12_E0_NS1_11comp_targetILNS1_3genE4ELNS1_11target_archE910ELNS1_3gpuE8ELNS1_3repE0EEENS1_38merge_mergepath_config_static_selectorELNS0_4arch9wavefront6targetE1EEEvSO_.private_seg_size, 0
	.set _ZN7rocprim17ROCPRIM_400000_NS6detail17trampoline_kernelINS0_14default_configENS1_38merge_sort_block_merge_config_selectorIlNS0_10empty_typeEEEZZNS1_27merge_sort_block_merge_implIS3_PlPS5_mZN2at6native12_GLOBAL__N_124unique_dim_cuda_templateIN3c104HalfEEESt5tupleIJNSA_6TensorESH_SH_EERKSH_lbbbEUlllE_EE10hipError_tT0_T1_T2_jT3_P12ihipStream_tbPNSt15iterator_traitsISN_E10value_typeEPNST_ISO_E10value_typeEPSP_NS1_7vsmem_tEENKUlT_SN_SO_SP_E_clIS8_S8_S9_S9_EESM_S12_SN_SO_SP_EUlS12_E0_NS1_11comp_targetILNS1_3genE4ELNS1_11target_archE910ELNS1_3gpuE8ELNS1_3repE0EEENS1_38merge_mergepath_config_static_selectorELNS0_4arch9wavefront6targetE1EEEvSO_.uses_vcc, 0
	.set _ZN7rocprim17ROCPRIM_400000_NS6detail17trampoline_kernelINS0_14default_configENS1_38merge_sort_block_merge_config_selectorIlNS0_10empty_typeEEEZZNS1_27merge_sort_block_merge_implIS3_PlPS5_mZN2at6native12_GLOBAL__N_124unique_dim_cuda_templateIN3c104HalfEEESt5tupleIJNSA_6TensorESH_SH_EERKSH_lbbbEUlllE_EE10hipError_tT0_T1_T2_jT3_P12ihipStream_tbPNSt15iterator_traitsISN_E10value_typeEPNST_ISO_E10value_typeEPSP_NS1_7vsmem_tEENKUlT_SN_SO_SP_E_clIS8_S8_S9_S9_EESM_S12_SN_SO_SP_EUlS12_E0_NS1_11comp_targetILNS1_3genE4ELNS1_11target_archE910ELNS1_3gpuE8ELNS1_3repE0EEENS1_38merge_mergepath_config_static_selectorELNS0_4arch9wavefront6targetE1EEEvSO_.uses_flat_scratch, 0
	.set _ZN7rocprim17ROCPRIM_400000_NS6detail17trampoline_kernelINS0_14default_configENS1_38merge_sort_block_merge_config_selectorIlNS0_10empty_typeEEEZZNS1_27merge_sort_block_merge_implIS3_PlPS5_mZN2at6native12_GLOBAL__N_124unique_dim_cuda_templateIN3c104HalfEEESt5tupleIJNSA_6TensorESH_SH_EERKSH_lbbbEUlllE_EE10hipError_tT0_T1_T2_jT3_P12ihipStream_tbPNSt15iterator_traitsISN_E10value_typeEPNST_ISO_E10value_typeEPSP_NS1_7vsmem_tEENKUlT_SN_SO_SP_E_clIS8_S8_S9_S9_EESM_S12_SN_SO_SP_EUlS12_E0_NS1_11comp_targetILNS1_3genE4ELNS1_11target_archE910ELNS1_3gpuE8ELNS1_3repE0EEENS1_38merge_mergepath_config_static_selectorELNS0_4arch9wavefront6targetE1EEEvSO_.has_dyn_sized_stack, 0
	.set _ZN7rocprim17ROCPRIM_400000_NS6detail17trampoline_kernelINS0_14default_configENS1_38merge_sort_block_merge_config_selectorIlNS0_10empty_typeEEEZZNS1_27merge_sort_block_merge_implIS3_PlPS5_mZN2at6native12_GLOBAL__N_124unique_dim_cuda_templateIN3c104HalfEEESt5tupleIJNSA_6TensorESH_SH_EERKSH_lbbbEUlllE_EE10hipError_tT0_T1_T2_jT3_P12ihipStream_tbPNSt15iterator_traitsISN_E10value_typeEPNST_ISO_E10value_typeEPSP_NS1_7vsmem_tEENKUlT_SN_SO_SP_E_clIS8_S8_S9_S9_EESM_S12_SN_SO_SP_EUlS12_E0_NS1_11comp_targetILNS1_3genE4ELNS1_11target_archE910ELNS1_3gpuE8ELNS1_3repE0EEENS1_38merge_mergepath_config_static_selectorELNS0_4arch9wavefront6targetE1EEEvSO_.has_recursion, 0
	.set _ZN7rocprim17ROCPRIM_400000_NS6detail17trampoline_kernelINS0_14default_configENS1_38merge_sort_block_merge_config_selectorIlNS0_10empty_typeEEEZZNS1_27merge_sort_block_merge_implIS3_PlPS5_mZN2at6native12_GLOBAL__N_124unique_dim_cuda_templateIN3c104HalfEEESt5tupleIJNSA_6TensorESH_SH_EERKSH_lbbbEUlllE_EE10hipError_tT0_T1_T2_jT3_P12ihipStream_tbPNSt15iterator_traitsISN_E10value_typeEPNST_ISO_E10value_typeEPSP_NS1_7vsmem_tEENKUlT_SN_SO_SP_E_clIS8_S8_S9_S9_EESM_S12_SN_SO_SP_EUlS12_E0_NS1_11comp_targetILNS1_3genE4ELNS1_11target_archE910ELNS1_3gpuE8ELNS1_3repE0EEENS1_38merge_mergepath_config_static_selectorELNS0_4arch9wavefront6targetE1EEEvSO_.has_indirect_call, 0
	.section	.AMDGPU.csdata,"",@progbits
; Kernel info:
; codeLenInByte = 0
; TotalNumSgprs: 6
; NumVgprs: 0
; NumAgprs: 0
; TotalNumVgprs: 0
; ScratchSize: 0
; MemoryBound: 0
; FloatMode: 240
; IeeeMode: 1
; LDSByteSize: 0 bytes/workgroup (compile time only)
; SGPRBlocks: 0
; VGPRBlocks: 0
; NumSGPRsForWavesPerEU: 6
; NumVGPRsForWavesPerEU: 1
; AccumOffset: 4
; Occupancy: 8
; WaveLimiterHint : 0
; COMPUTE_PGM_RSRC2:SCRATCH_EN: 0
; COMPUTE_PGM_RSRC2:USER_SGPR: 2
; COMPUTE_PGM_RSRC2:TRAP_HANDLER: 0
; COMPUTE_PGM_RSRC2:TGID_X_EN: 1
; COMPUTE_PGM_RSRC2:TGID_Y_EN: 0
; COMPUTE_PGM_RSRC2:TGID_Z_EN: 0
; COMPUTE_PGM_RSRC2:TIDIG_COMP_CNT: 0
; COMPUTE_PGM_RSRC3_GFX90A:ACCUM_OFFSET: 0
; COMPUTE_PGM_RSRC3_GFX90A:TG_SPLIT: 0
	.section	.text._ZN7rocprim17ROCPRIM_400000_NS6detail17trampoline_kernelINS0_14default_configENS1_38merge_sort_block_merge_config_selectorIlNS0_10empty_typeEEEZZNS1_27merge_sort_block_merge_implIS3_PlPS5_mZN2at6native12_GLOBAL__N_124unique_dim_cuda_templateIN3c104HalfEEESt5tupleIJNSA_6TensorESH_SH_EERKSH_lbbbEUlllE_EE10hipError_tT0_T1_T2_jT3_P12ihipStream_tbPNSt15iterator_traitsISN_E10value_typeEPNST_ISO_E10value_typeEPSP_NS1_7vsmem_tEENKUlT_SN_SO_SP_E_clIS8_S8_S9_S9_EESM_S12_SN_SO_SP_EUlS12_E0_NS1_11comp_targetILNS1_3genE3ELNS1_11target_archE908ELNS1_3gpuE7ELNS1_3repE0EEENS1_38merge_mergepath_config_static_selectorELNS0_4arch9wavefront6targetE1EEEvSO_,"axG",@progbits,_ZN7rocprim17ROCPRIM_400000_NS6detail17trampoline_kernelINS0_14default_configENS1_38merge_sort_block_merge_config_selectorIlNS0_10empty_typeEEEZZNS1_27merge_sort_block_merge_implIS3_PlPS5_mZN2at6native12_GLOBAL__N_124unique_dim_cuda_templateIN3c104HalfEEESt5tupleIJNSA_6TensorESH_SH_EERKSH_lbbbEUlllE_EE10hipError_tT0_T1_T2_jT3_P12ihipStream_tbPNSt15iterator_traitsISN_E10value_typeEPNST_ISO_E10value_typeEPSP_NS1_7vsmem_tEENKUlT_SN_SO_SP_E_clIS8_S8_S9_S9_EESM_S12_SN_SO_SP_EUlS12_E0_NS1_11comp_targetILNS1_3genE3ELNS1_11target_archE908ELNS1_3gpuE7ELNS1_3repE0EEENS1_38merge_mergepath_config_static_selectorELNS0_4arch9wavefront6targetE1EEEvSO_,comdat
	.globl	_ZN7rocprim17ROCPRIM_400000_NS6detail17trampoline_kernelINS0_14default_configENS1_38merge_sort_block_merge_config_selectorIlNS0_10empty_typeEEEZZNS1_27merge_sort_block_merge_implIS3_PlPS5_mZN2at6native12_GLOBAL__N_124unique_dim_cuda_templateIN3c104HalfEEESt5tupleIJNSA_6TensorESH_SH_EERKSH_lbbbEUlllE_EE10hipError_tT0_T1_T2_jT3_P12ihipStream_tbPNSt15iterator_traitsISN_E10value_typeEPNST_ISO_E10value_typeEPSP_NS1_7vsmem_tEENKUlT_SN_SO_SP_E_clIS8_S8_S9_S9_EESM_S12_SN_SO_SP_EUlS12_E0_NS1_11comp_targetILNS1_3genE3ELNS1_11target_archE908ELNS1_3gpuE7ELNS1_3repE0EEENS1_38merge_mergepath_config_static_selectorELNS0_4arch9wavefront6targetE1EEEvSO_ ; -- Begin function _ZN7rocprim17ROCPRIM_400000_NS6detail17trampoline_kernelINS0_14default_configENS1_38merge_sort_block_merge_config_selectorIlNS0_10empty_typeEEEZZNS1_27merge_sort_block_merge_implIS3_PlPS5_mZN2at6native12_GLOBAL__N_124unique_dim_cuda_templateIN3c104HalfEEESt5tupleIJNSA_6TensorESH_SH_EERKSH_lbbbEUlllE_EE10hipError_tT0_T1_T2_jT3_P12ihipStream_tbPNSt15iterator_traitsISN_E10value_typeEPNST_ISO_E10value_typeEPSP_NS1_7vsmem_tEENKUlT_SN_SO_SP_E_clIS8_S8_S9_S9_EESM_S12_SN_SO_SP_EUlS12_E0_NS1_11comp_targetILNS1_3genE3ELNS1_11target_archE908ELNS1_3gpuE7ELNS1_3repE0EEENS1_38merge_mergepath_config_static_selectorELNS0_4arch9wavefront6targetE1EEEvSO_
	.p2align	8
	.type	_ZN7rocprim17ROCPRIM_400000_NS6detail17trampoline_kernelINS0_14default_configENS1_38merge_sort_block_merge_config_selectorIlNS0_10empty_typeEEEZZNS1_27merge_sort_block_merge_implIS3_PlPS5_mZN2at6native12_GLOBAL__N_124unique_dim_cuda_templateIN3c104HalfEEESt5tupleIJNSA_6TensorESH_SH_EERKSH_lbbbEUlllE_EE10hipError_tT0_T1_T2_jT3_P12ihipStream_tbPNSt15iterator_traitsISN_E10value_typeEPNST_ISO_E10value_typeEPSP_NS1_7vsmem_tEENKUlT_SN_SO_SP_E_clIS8_S8_S9_S9_EESM_S12_SN_SO_SP_EUlS12_E0_NS1_11comp_targetILNS1_3genE3ELNS1_11target_archE908ELNS1_3gpuE7ELNS1_3repE0EEENS1_38merge_mergepath_config_static_selectorELNS0_4arch9wavefront6targetE1EEEvSO_,@function
_ZN7rocprim17ROCPRIM_400000_NS6detail17trampoline_kernelINS0_14default_configENS1_38merge_sort_block_merge_config_selectorIlNS0_10empty_typeEEEZZNS1_27merge_sort_block_merge_implIS3_PlPS5_mZN2at6native12_GLOBAL__N_124unique_dim_cuda_templateIN3c104HalfEEESt5tupleIJNSA_6TensorESH_SH_EERKSH_lbbbEUlllE_EE10hipError_tT0_T1_T2_jT3_P12ihipStream_tbPNSt15iterator_traitsISN_E10value_typeEPNST_ISO_E10value_typeEPSP_NS1_7vsmem_tEENKUlT_SN_SO_SP_E_clIS8_S8_S9_S9_EESM_S12_SN_SO_SP_EUlS12_E0_NS1_11comp_targetILNS1_3genE3ELNS1_11target_archE908ELNS1_3gpuE7ELNS1_3repE0EEENS1_38merge_mergepath_config_static_selectorELNS0_4arch9wavefront6targetE1EEEvSO_: ; @_ZN7rocprim17ROCPRIM_400000_NS6detail17trampoline_kernelINS0_14default_configENS1_38merge_sort_block_merge_config_selectorIlNS0_10empty_typeEEEZZNS1_27merge_sort_block_merge_implIS3_PlPS5_mZN2at6native12_GLOBAL__N_124unique_dim_cuda_templateIN3c104HalfEEESt5tupleIJNSA_6TensorESH_SH_EERKSH_lbbbEUlllE_EE10hipError_tT0_T1_T2_jT3_P12ihipStream_tbPNSt15iterator_traitsISN_E10value_typeEPNST_ISO_E10value_typeEPSP_NS1_7vsmem_tEENKUlT_SN_SO_SP_E_clIS8_S8_S9_S9_EESM_S12_SN_SO_SP_EUlS12_E0_NS1_11comp_targetILNS1_3genE3ELNS1_11target_archE908ELNS1_3gpuE7ELNS1_3repE0EEENS1_38merge_mergepath_config_static_selectorELNS0_4arch9wavefront6targetE1EEEvSO_
; %bb.0:
	.section	.rodata,"a",@progbits
	.p2align	6, 0x0
	.amdhsa_kernel _ZN7rocprim17ROCPRIM_400000_NS6detail17trampoline_kernelINS0_14default_configENS1_38merge_sort_block_merge_config_selectorIlNS0_10empty_typeEEEZZNS1_27merge_sort_block_merge_implIS3_PlPS5_mZN2at6native12_GLOBAL__N_124unique_dim_cuda_templateIN3c104HalfEEESt5tupleIJNSA_6TensorESH_SH_EERKSH_lbbbEUlllE_EE10hipError_tT0_T1_T2_jT3_P12ihipStream_tbPNSt15iterator_traitsISN_E10value_typeEPNST_ISO_E10value_typeEPSP_NS1_7vsmem_tEENKUlT_SN_SO_SP_E_clIS8_S8_S9_S9_EESM_S12_SN_SO_SP_EUlS12_E0_NS1_11comp_targetILNS1_3genE3ELNS1_11target_archE908ELNS1_3gpuE7ELNS1_3repE0EEENS1_38merge_mergepath_config_static_selectorELNS0_4arch9wavefront6targetE1EEEvSO_
		.amdhsa_group_segment_fixed_size 0
		.amdhsa_private_segment_fixed_size 0
		.amdhsa_kernarg_size 88
		.amdhsa_user_sgpr_count 2
		.amdhsa_user_sgpr_dispatch_ptr 0
		.amdhsa_user_sgpr_queue_ptr 0
		.amdhsa_user_sgpr_kernarg_segment_ptr 1
		.amdhsa_user_sgpr_dispatch_id 0
		.amdhsa_user_sgpr_kernarg_preload_length 0
		.amdhsa_user_sgpr_kernarg_preload_offset 0
		.amdhsa_user_sgpr_private_segment_size 0
		.amdhsa_uses_dynamic_stack 0
		.amdhsa_enable_private_segment 0
		.amdhsa_system_sgpr_workgroup_id_x 1
		.amdhsa_system_sgpr_workgroup_id_y 0
		.amdhsa_system_sgpr_workgroup_id_z 0
		.amdhsa_system_sgpr_workgroup_info 0
		.amdhsa_system_vgpr_workitem_id 0
		.amdhsa_next_free_vgpr 1
		.amdhsa_next_free_sgpr 0
		.amdhsa_accum_offset 4
		.amdhsa_reserve_vcc 0
		.amdhsa_float_round_mode_32 0
		.amdhsa_float_round_mode_16_64 0
		.amdhsa_float_denorm_mode_32 3
		.amdhsa_float_denorm_mode_16_64 3
		.amdhsa_dx10_clamp 1
		.amdhsa_ieee_mode 1
		.amdhsa_fp16_overflow 0
		.amdhsa_tg_split 0
		.amdhsa_exception_fp_ieee_invalid_op 0
		.amdhsa_exception_fp_denorm_src 0
		.amdhsa_exception_fp_ieee_div_zero 0
		.amdhsa_exception_fp_ieee_overflow 0
		.amdhsa_exception_fp_ieee_underflow 0
		.amdhsa_exception_fp_ieee_inexact 0
		.amdhsa_exception_int_div_zero 0
	.end_amdhsa_kernel
	.section	.text._ZN7rocprim17ROCPRIM_400000_NS6detail17trampoline_kernelINS0_14default_configENS1_38merge_sort_block_merge_config_selectorIlNS0_10empty_typeEEEZZNS1_27merge_sort_block_merge_implIS3_PlPS5_mZN2at6native12_GLOBAL__N_124unique_dim_cuda_templateIN3c104HalfEEESt5tupleIJNSA_6TensorESH_SH_EERKSH_lbbbEUlllE_EE10hipError_tT0_T1_T2_jT3_P12ihipStream_tbPNSt15iterator_traitsISN_E10value_typeEPNST_ISO_E10value_typeEPSP_NS1_7vsmem_tEENKUlT_SN_SO_SP_E_clIS8_S8_S9_S9_EESM_S12_SN_SO_SP_EUlS12_E0_NS1_11comp_targetILNS1_3genE3ELNS1_11target_archE908ELNS1_3gpuE7ELNS1_3repE0EEENS1_38merge_mergepath_config_static_selectorELNS0_4arch9wavefront6targetE1EEEvSO_,"axG",@progbits,_ZN7rocprim17ROCPRIM_400000_NS6detail17trampoline_kernelINS0_14default_configENS1_38merge_sort_block_merge_config_selectorIlNS0_10empty_typeEEEZZNS1_27merge_sort_block_merge_implIS3_PlPS5_mZN2at6native12_GLOBAL__N_124unique_dim_cuda_templateIN3c104HalfEEESt5tupleIJNSA_6TensorESH_SH_EERKSH_lbbbEUlllE_EE10hipError_tT0_T1_T2_jT3_P12ihipStream_tbPNSt15iterator_traitsISN_E10value_typeEPNST_ISO_E10value_typeEPSP_NS1_7vsmem_tEENKUlT_SN_SO_SP_E_clIS8_S8_S9_S9_EESM_S12_SN_SO_SP_EUlS12_E0_NS1_11comp_targetILNS1_3genE3ELNS1_11target_archE908ELNS1_3gpuE7ELNS1_3repE0EEENS1_38merge_mergepath_config_static_selectorELNS0_4arch9wavefront6targetE1EEEvSO_,comdat
.Lfunc_end1260:
	.size	_ZN7rocprim17ROCPRIM_400000_NS6detail17trampoline_kernelINS0_14default_configENS1_38merge_sort_block_merge_config_selectorIlNS0_10empty_typeEEEZZNS1_27merge_sort_block_merge_implIS3_PlPS5_mZN2at6native12_GLOBAL__N_124unique_dim_cuda_templateIN3c104HalfEEESt5tupleIJNSA_6TensorESH_SH_EERKSH_lbbbEUlllE_EE10hipError_tT0_T1_T2_jT3_P12ihipStream_tbPNSt15iterator_traitsISN_E10value_typeEPNST_ISO_E10value_typeEPSP_NS1_7vsmem_tEENKUlT_SN_SO_SP_E_clIS8_S8_S9_S9_EESM_S12_SN_SO_SP_EUlS12_E0_NS1_11comp_targetILNS1_3genE3ELNS1_11target_archE908ELNS1_3gpuE7ELNS1_3repE0EEENS1_38merge_mergepath_config_static_selectorELNS0_4arch9wavefront6targetE1EEEvSO_, .Lfunc_end1260-_ZN7rocprim17ROCPRIM_400000_NS6detail17trampoline_kernelINS0_14default_configENS1_38merge_sort_block_merge_config_selectorIlNS0_10empty_typeEEEZZNS1_27merge_sort_block_merge_implIS3_PlPS5_mZN2at6native12_GLOBAL__N_124unique_dim_cuda_templateIN3c104HalfEEESt5tupleIJNSA_6TensorESH_SH_EERKSH_lbbbEUlllE_EE10hipError_tT0_T1_T2_jT3_P12ihipStream_tbPNSt15iterator_traitsISN_E10value_typeEPNST_ISO_E10value_typeEPSP_NS1_7vsmem_tEENKUlT_SN_SO_SP_E_clIS8_S8_S9_S9_EESM_S12_SN_SO_SP_EUlS12_E0_NS1_11comp_targetILNS1_3genE3ELNS1_11target_archE908ELNS1_3gpuE7ELNS1_3repE0EEENS1_38merge_mergepath_config_static_selectorELNS0_4arch9wavefront6targetE1EEEvSO_
                                        ; -- End function
	.set _ZN7rocprim17ROCPRIM_400000_NS6detail17trampoline_kernelINS0_14default_configENS1_38merge_sort_block_merge_config_selectorIlNS0_10empty_typeEEEZZNS1_27merge_sort_block_merge_implIS3_PlPS5_mZN2at6native12_GLOBAL__N_124unique_dim_cuda_templateIN3c104HalfEEESt5tupleIJNSA_6TensorESH_SH_EERKSH_lbbbEUlllE_EE10hipError_tT0_T1_T2_jT3_P12ihipStream_tbPNSt15iterator_traitsISN_E10value_typeEPNST_ISO_E10value_typeEPSP_NS1_7vsmem_tEENKUlT_SN_SO_SP_E_clIS8_S8_S9_S9_EESM_S12_SN_SO_SP_EUlS12_E0_NS1_11comp_targetILNS1_3genE3ELNS1_11target_archE908ELNS1_3gpuE7ELNS1_3repE0EEENS1_38merge_mergepath_config_static_selectorELNS0_4arch9wavefront6targetE1EEEvSO_.num_vgpr, 0
	.set _ZN7rocprim17ROCPRIM_400000_NS6detail17trampoline_kernelINS0_14default_configENS1_38merge_sort_block_merge_config_selectorIlNS0_10empty_typeEEEZZNS1_27merge_sort_block_merge_implIS3_PlPS5_mZN2at6native12_GLOBAL__N_124unique_dim_cuda_templateIN3c104HalfEEESt5tupleIJNSA_6TensorESH_SH_EERKSH_lbbbEUlllE_EE10hipError_tT0_T1_T2_jT3_P12ihipStream_tbPNSt15iterator_traitsISN_E10value_typeEPNST_ISO_E10value_typeEPSP_NS1_7vsmem_tEENKUlT_SN_SO_SP_E_clIS8_S8_S9_S9_EESM_S12_SN_SO_SP_EUlS12_E0_NS1_11comp_targetILNS1_3genE3ELNS1_11target_archE908ELNS1_3gpuE7ELNS1_3repE0EEENS1_38merge_mergepath_config_static_selectorELNS0_4arch9wavefront6targetE1EEEvSO_.num_agpr, 0
	.set _ZN7rocprim17ROCPRIM_400000_NS6detail17trampoline_kernelINS0_14default_configENS1_38merge_sort_block_merge_config_selectorIlNS0_10empty_typeEEEZZNS1_27merge_sort_block_merge_implIS3_PlPS5_mZN2at6native12_GLOBAL__N_124unique_dim_cuda_templateIN3c104HalfEEESt5tupleIJNSA_6TensorESH_SH_EERKSH_lbbbEUlllE_EE10hipError_tT0_T1_T2_jT3_P12ihipStream_tbPNSt15iterator_traitsISN_E10value_typeEPNST_ISO_E10value_typeEPSP_NS1_7vsmem_tEENKUlT_SN_SO_SP_E_clIS8_S8_S9_S9_EESM_S12_SN_SO_SP_EUlS12_E0_NS1_11comp_targetILNS1_3genE3ELNS1_11target_archE908ELNS1_3gpuE7ELNS1_3repE0EEENS1_38merge_mergepath_config_static_selectorELNS0_4arch9wavefront6targetE1EEEvSO_.numbered_sgpr, 0
	.set _ZN7rocprim17ROCPRIM_400000_NS6detail17trampoline_kernelINS0_14default_configENS1_38merge_sort_block_merge_config_selectorIlNS0_10empty_typeEEEZZNS1_27merge_sort_block_merge_implIS3_PlPS5_mZN2at6native12_GLOBAL__N_124unique_dim_cuda_templateIN3c104HalfEEESt5tupleIJNSA_6TensorESH_SH_EERKSH_lbbbEUlllE_EE10hipError_tT0_T1_T2_jT3_P12ihipStream_tbPNSt15iterator_traitsISN_E10value_typeEPNST_ISO_E10value_typeEPSP_NS1_7vsmem_tEENKUlT_SN_SO_SP_E_clIS8_S8_S9_S9_EESM_S12_SN_SO_SP_EUlS12_E0_NS1_11comp_targetILNS1_3genE3ELNS1_11target_archE908ELNS1_3gpuE7ELNS1_3repE0EEENS1_38merge_mergepath_config_static_selectorELNS0_4arch9wavefront6targetE1EEEvSO_.num_named_barrier, 0
	.set _ZN7rocprim17ROCPRIM_400000_NS6detail17trampoline_kernelINS0_14default_configENS1_38merge_sort_block_merge_config_selectorIlNS0_10empty_typeEEEZZNS1_27merge_sort_block_merge_implIS3_PlPS5_mZN2at6native12_GLOBAL__N_124unique_dim_cuda_templateIN3c104HalfEEESt5tupleIJNSA_6TensorESH_SH_EERKSH_lbbbEUlllE_EE10hipError_tT0_T1_T2_jT3_P12ihipStream_tbPNSt15iterator_traitsISN_E10value_typeEPNST_ISO_E10value_typeEPSP_NS1_7vsmem_tEENKUlT_SN_SO_SP_E_clIS8_S8_S9_S9_EESM_S12_SN_SO_SP_EUlS12_E0_NS1_11comp_targetILNS1_3genE3ELNS1_11target_archE908ELNS1_3gpuE7ELNS1_3repE0EEENS1_38merge_mergepath_config_static_selectorELNS0_4arch9wavefront6targetE1EEEvSO_.private_seg_size, 0
	.set _ZN7rocprim17ROCPRIM_400000_NS6detail17trampoline_kernelINS0_14default_configENS1_38merge_sort_block_merge_config_selectorIlNS0_10empty_typeEEEZZNS1_27merge_sort_block_merge_implIS3_PlPS5_mZN2at6native12_GLOBAL__N_124unique_dim_cuda_templateIN3c104HalfEEESt5tupleIJNSA_6TensorESH_SH_EERKSH_lbbbEUlllE_EE10hipError_tT0_T1_T2_jT3_P12ihipStream_tbPNSt15iterator_traitsISN_E10value_typeEPNST_ISO_E10value_typeEPSP_NS1_7vsmem_tEENKUlT_SN_SO_SP_E_clIS8_S8_S9_S9_EESM_S12_SN_SO_SP_EUlS12_E0_NS1_11comp_targetILNS1_3genE3ELNS1_11target_archE908ELNS1_3gpuE7ELNS1_3repE0EEENS1_38merge_mergepath_config_static_selectorELNS0_4arch9wavefront6targetE1EEEvSO_.uses_vcc, 0
	.set _ZN7rocprim17ROCPRIM_400000_NS6detail17trampoline_kernelINS0_14default_configENS1_38merge_sort_block_merge_config_selectorIlNS0_10empty_typeEEEZZNS1_27merge_sort_block_merge_implIS3_PlPS5_mZN2at6native12_GLOBAL__N_124unique_dim_cuda_templateIN3c104HalfEEESt5tupleIJNSA_6TensorESH_SH_EERKSH_lbbbEUlllE_EE10hipError_tT0_T1_T2_jT3_P12ihipStream_tbPNSt15iterator_traitsISN_E10value_typeEPNST_ISO_E10value_typeEPSP_NS1_7vsmem_tEENKUlT_SN_SO_SP_E_clIS8_S8_S9_S9_EESM_S12_SN_SO_SP_EUlS12_E0_NS1_11comp_targetILNS1_3genE3ELNS1_11target_archE908ELNS1_3gpuE7ELNS1_3repE0EEENS1_38merge_mergepath_config_static_selectorELNS0_4arch9wavefront6targetE1EEEvSO_.uses_flat_scratch, 0
	.set _ZN7rocprim17ROCPRIM_400000_NS6detail17trampoline_kernelINS0_14default_configENS1_38merge_sort_block_merge_config_selectorIlNS0_10empty_typeEEEZZNS1_27merge_sort_block_merge_implIS3_PlPS5_mZN2at6native12_GLOBAL__N_124unique_dim_cuda_templateIN3c104HalfEEESt5tupleIJNSA_6TensorESH_SH_EERKSH_lbbbEUlllE_EE10hipError_tT0_T1_T2_jT3_P12ihipStream_tbPNSt15iterator_traitsISN_E10value_typeEPNST_ISO_E10value_typeEPSP_NS1_7vsmem_tEENKUlT_SN_SO_SP_E_clIS8_S8_S9_S9_EESM_S12_SN_SO_SP_EUlS12_E0_NS1_11comp_targetILNS1_3genE3ELNS1_11target_archE908ELNS1_3gpuE7ELNS1_3repE0EEENS1_38merge_mergepath_config_static_selectorELNS0_4arch9wavefront6targetE1EEEvSO_.has_dyn_sized_stack, 0
	.set _ZN7rocprim17ROCPRIM_400000_NS6detail17trampoline_kernelINS0_14default_configENS1_38merge_sort_block_merge_config_selectorIlNS0_10empty_typeEEEZZNS1_27merge_sort_block_merge_implIS3_PlPS5_mZN2at6native12_GLOBAL__N_124unique_dim_cuda_templateIN3c104HalfEEESt5tupleIJNSA_6TensorESH_SH_EERKSH_lbbbEUlllE_EE10hipError_tT0_T1_T2_jT3_P12ihipStream_tbPNSt15iterator_traitsISN_E10value_typeEPNST_ISO_E10value_typeEPSP_NS1_7vsmem_tEENKUlT_SN_SO_SP_E_clIS8_S8_S9_S9_EESM_S12_SN_SO_SP_EUlS12_E0_NS1_11comp_targetILNS1_3genE3ELNS1_11target_archE908ELNS1_3gpuE7ELNS1_3repE0EEENS1_38merge_mergepath_config_static_selectorELNS0_4arch9wavefront6targetE1EEEvSO_.has_recursion, 0
	.set _ZN7rocprim17ROCPRIM_400000_NS6detail17trampoline_kernelINS0_14default_configENS1_38merge_sort_block_merge_config_selectorIlNS0_10empty_typeEEEZZNS1_27merge_sort_block_merge_implIS3_PlPS5_mZN2at6native12_GLOBAL__N_124unique_dim_cuda_templateIN3c104HalfEEESt5tupleIJNSA_6TensorESH_SH_EERKSH_lbbbEUlllE_EE10hipError_tT0_T1_T2_jT3_P12ihipStream_tbPNSt15iterator_traitsISN_E10value_typeEPNST_ISO_E10value_typeEPSP_NS1_7vsmem_tEENKUlT_SN_SO_SP_E_clIS8_S8_S9_S9_EESM_S12_SN_SO_SP_EUlS12_E0_NS1_11comp_targetILNS1_3genE3ELNS1_11target_archE908ELNS1_3gpuE7ELNS1_3repE0EEENS1_38merge_mergepath_config_static_selectorELNS0_4arch9wavefront6targetE1EEEvSO_.has_indirect_call, 0
	.section	.AMDGPU.csdata,"",@progbits
; Kernel info:
; codeLenInByte = 0
; TotalNumSgprs: 6
; NumVgprs: 0
; NumAgprs: 0
; TotalNumVgprs: 0
; ScratchSize: 0
; MemoryBound: 0
; FloatMode: 240
; IeeeMode: 1
; LDSByteSize: 0 bytes/workgroup (compile time only)
; SGPRBlocks: 0
; VGPRBlocks: 0
; NumSGPRsForWavesPerEU: 6
; NumVGPRsForWavesPerEU: 1
; AccumOffset: 4
; Occupancy: 8
; WaveLimiterHint : 0
; COMPUTE_PGM_RSRC2:SCRATCH_EN: 0
; COMPUTE_PGM_RSRC2:USER_SGPR: 2
; COMPUTE_PGM_RSRC2:TRAP_HANDLER: 0
; COMPUTE_PGM_RSRC2:TGID_X_EN: 1
; COMPUTE_PGM_RSRC2:TGID_Y_EN: 0
; COMPUTE_PGM_RSRC2:TGID_Z_EN: 0
; COMPUTE_PGM_RSRC2:TIDIG_COMP_CNT: 0
; COMPUTE_PGM_RSRC3_GFX90A:ACCUM_OFFSET: 0
; COMPUTE_PGM_RSRC3_GFX90A:TG_SPLIT: 0
	.section	.text._ZN7rocprim17ROCPRIM_400000_NS6detail17trampoline_kernelINS0_14default_configENS1_38merge_sort_block_merge_config_selectorIlNS0_10empty_typeEEEZZNS1_27merge_sort_block_merge_implIS3_PlPS5_mZN2at6native12_GLOBAL__N_124unique_dim_cuda_templateIN3c104HalfEEESt5tupleIJNSA_6TensorESH_SH_EERKSH_lbbbEUlllE_EE10hipError_tT0_T1_T2_jT3_P12ihipStream_tbPNSt15iterator_traitsISN_E10value_typeEPNST_ISO_E10value_typeEPSP_NS1_7vsmem_tEENKUlT_SN_SO_SP_E_clIS8_S8_S9_S9_EESM_S12_SN_SO_SP_EUlS12_E0_NS1_11comp_targetILNS1_3genE2ELNS1_11target_archE906ELNS1_3gpuE6ELNS1_3repE0EEENS1_38merge_mergepath_config_static_selectorELNS0_4arch9wavefront6targetE1EEEvSO_,"axG",@progbits,_ZN7rocprim17ROCPRIM_400000_NS6detail17trampoline_kernelINS0_14default_configENS1_38merge_sort_block_merge_config_selectorIlNS0_10empty_typeEEEZZNS1_27merge_sort_block_merge_implIS3_PlPS5_mZN2at6native12_GLOBAL__N_124unique_dim_cuda_templateIN3c104HalfEEESt5tupleIJNSA_6TensorESH_SH_EERKSH_lbbbEUlllE_EE10hipError_tT0_T1_T2_jT3_P12ihipStream_tbPNSt15iterator_traitsISN_E10value_typeEPNST_ISO_E10value_typeEPSP_NS1_7vsmem_tEENKUlT_SN_SO_SP_E_clIS8_S8_S9_S9_EESM_S12_SN_SO_SP_EUlS12_E0_NS1_11comp_targetILNS1_3genE2ELNS1_11target_archE906ELNS1_3gpuE6ELNS1_3repE0EEENS1_38merge_mergepath_config_static_selectorELNS0_4arch9wavefront6targetE1EEEvSO_,comdat
	.globl	_ZN7rocprim17ROCPRIM_400000_NS6detail17trampoline_kernelINS0_14default_configENS1_38merge_sort_block_merge_config_selectorIlNS0_10empty_typeEEEZZNS1_27merge_sort_block_merge_implIS3_PlPS5_mZN2at6native12_GLOBAL__N_124unique_dim_cuda_templateIN3c104HalfEEESt5tupleIJNSA_6TensorESH_SH_EERKSH_lbbbEUlllE_EE10hipError_tT0_T1_T2_jT3_P12ihipStream_tbPNSt15iterator_traitsISN_E10value_typeEPNST_ISO_E10value_typeEPSP_NS1_7vsmem_tEENKUlT_SN_SO_SP_E_clIS8_S8_S9_S9_EESM_S12_SN_SO_SP_EUlS12_E0_NS1_11comp_targetILNS1_3genE2ELNS1_11target_archE906ELNS1_3gpuE6ELNS1_3repE0EEENS1_38merge_mergepath_config_static_selectorELNS0_4arch9wavefront6targetE1EEEvSO_ ; -- Begin function _ZN7rocprim17ROCPRIM_400000_NS6detail17trampoline_kernelINS0_14default_configENS1_38merge_sort_block_merge_config_selectorIlNS0_10empty_typeEEEZZNS1_27merge_sort_block_merge_implIS3_PlPS5_mZN2at6native12_GLOBAL__N_124unique_dim_cuda_templateIN3c104HalfEEESt5tupleIJNSA_6TensorESH_SH_EERKSH_lbbbEUlllE_EE10hipError_tT0_T1_T2_jT3_P12ihipStream_tbPNSt15iterator_traitsISN_E10value_typeEPNST_ISO_E10value_typeEPSP_NS1_7vsmem_tEENKUlT_SN_SO_SP_E_clIS8_S8_S9_S9_EESM_S12_SN_SO_SP_EUlS12_E0_NS1_11comp_targetILNS1_3genE2ELNS1_11target_archE906ELNS1_3gpuE6ELNS1_3repE0EEENS1_38merge_mergepath_config_static_selectorELNS0_4arch9wavefront6targetE1EEEvSO_
	.p2align	8
	.type	_ZN7rocprim17ROCPRIM_400000_NS6detail17trampoline_kernelINS0_14default_configENS1_38merge_sort_block_merge_config_selectorIlNS0_10empty_typeEEEZZNS1_27merge_sort_block_merge_implIS3_PlPS5_mZN2at6native12_GLOBAL__N_124unique_dim_cuda_templateIN3c104HalfEEESt5tupleIJNSA_6TensorESH_SH_EERKSH_lbbbEUlllE_EE10hipError_tT0_T1_T2_jT3_P12ihipStream_tbPNSt15iterator_traitsISN_E10value_typeEPNST_ISO_E10value_typeEPSP_NS1_7vsmem_tEENKUlT_SN_SO_SP_E_clIS8_S8_S9_S9_EESM_S12_SN_SO_SP_EUlS12_E0_NS1_11comp_targetILNS1_3genE2ELNS1_11target_archE906ELNS1_3gpuE6ELNS1_3repE0EEENS1_38merge_mergepath_config_static_selectorELNS0_4arch9wavefront6targetE1EEEvSO_,@function
_ZN7rocprim17ROCPRIM_400000_NS6detail17trampoline_kernelINS0_14default_configENS1_38merge_sort_block_merge_config_selectorIlNS0_10empty_typeEEEZZNS1_27merge_sort_block_merge_implIS3_PlPS5_mZN2at6native12_GLOBAL__N_124unique_dim_cuda_templateIN3c104HalfEEESt5tupleIJNSA_6TensorESH_SH_EERKSH_lbbbEUlllE_EE10hipError_tT0_T1_T2_jT3_P12ihipStream_tbPNSt15iterator_traitsISN_E10value_typeEPNST_ISO_E10value_typeEPSP_NS1_7vsmem_tEENKUlT_SN_SO_SP_E_clIS8_S8_S9_S9_EESM_S12_SN_SO_SP_EUlS12_E0_NS1_11comp_targetILNS1_3genE2ELNS1_11target_archE906ELNS1_3gpuE6ELNS1_3repE0EEENS1_38merge_mergepath_config_static_selectorELNS0_4arch9wavefront6targetE1EEEvSO_: ; @_ZN7rocprim17ROCPRIM_400000_NS6detail17trampoline_kernelINS0_14default_configENS1_38merge_sort_block_merge_config_selectorIlNS0_10empty_typeEEEZZNS1_27merge_sort_block_merge_implIS3_PlPS5_mZN2at6native12_GLOBAL__N_124unique_dim_cuda_templateIN3c104HalfEEESt5tupleIJNSA_6TensorESH_SH_EERKSH_lbbbEUlllE_EE10hipError_tT0_T1_T2_jT3_P12ihipStream_tbPNSt15iterator_traitsISN_E10value_typeEPNST_ISO_E10value_typeEPSP_NS1_7vsmem_tEENKUlT_SN_SO_SP_E_clIS8_S8_S9_S9_EESM_S12_SN_SO_SP_EUlS12_E0_NS1_11comp_targetILNS1_3genE2ELNS1_11target_archE906ELNS1_3gpuE6ELNS1_3repE0EEENS1_38merge_mergepath_config_static_selectorELNS0_4arch9wavefront6targetE1EEEvSO_
; %bb.0:
	.section	.rodata,"a",@progbits
	.p2align	6, 0x0
	.amdhsa_kernel _ZN7rocprim17ROCPRIM_400000_NS6detail17trampoline_kernelINS0_14default_configENS1_38merge_sort_block_merge_config_selectorIlNS0_10empty_typeEEEZZNS1_27merge_sort_block_merge_implIS3_PlPS5_mZN2at6native12_GLOBAL__N_124unique_dim_cuda_templateIN3c104HalfEEESt5tupleIJNSA_6TensorESH_SH_EERKSH_lbbbEUlllE_EE10hipError_tT0_T1_T2_jT3_P12ihipStream_tbPNSt15iterator_traitsISN_E10value_typeEPNST_ISO_E10value_typeEPSP_NS1_7vsmem_tEENKUlT_SN_SO_SP_E_clIS8_S8_S9_S9_EESM_S12_SN_SO_SP_EUlS12_E0_NS1_11comp_targetILNS1_3genE2ELNS1_11target_archE906ELNS1_3gpuE6ELNS1_3repE0EEENS1_38merge_mergepath_config_static_selectorELNS0_4arch9wavefront6targetE1EEEvSO_
		.amdhsa_group_segment_fixed_size 0
		.amdhsa_private_segment_fixed_size 0
		.amdhsa_kernarg_size 88
		.amdhsa_user_sgpr_count 2
		.amdhsa_user_sgpr_dispatch_ptr 0
		.amdhsa_user_sgpr_queue_ptr 0
		.amdhsa_user_sgpr_kernarg_segment_ptr 1
		.amdhsa_user_sgpr_dispatch_id 0
		.amdhsa_user_sgpr_kernarg_preload_length 0
		.amdhsa_user_sgpr_kernarg_preload_offset 0
		.amdhsa_user_sgpr_private_segment_size 0
		.amdhsa_uses_dynamic_stack 0
		.amdhsa_enable_private_segment 0
		.amdhsa_system_sgpr_workgroup_id_x 1
		.amdhsa_system_sgpr_workgroup_id_y 0
		.amdhsa_system_sgpr_workgroup_id_z 0
		.amdhsa_system_sgpr_workgroup_info 0
		.amdhsa_system_vgpr_workitem_id 0
		.amdhsa_next_free_vgpr 1
		.amdhsa_next_free_sgpr 0
		.amdhsa_accum_offset 4
		.amdhsa_reserve_vcc 0
		.amdhsa_float_round_mode_32 0
		.amdhsa_float_round_mode_16_64 0
		.amdhsa_float_denorm_mode_32 3
		.amdhsa_float_denorm_mode_16_64 3
		.amdhsa_dx10_clamp 1
		.amdhsa_ieee_mode 1
		.amdhsa_fp16_overflow 0
		.amdhsa_tg_split 0
		.amdhsa_exception_fp_ieee_invalid_op 0
		.amdhsa_exception_fp_denorm_src 0
		.amdhsa_exception_fp_ieee_div_zero 0
		.amdhsa_exception_fp_ieee_overflow 0
		.amdhsa_exception_fp_ieee_underflow 0
		.amdhsa_exception_fp_ieee_inexact 0
		.amdhsa_exception_int_div_zero 0
	.end_amdhsa_kernel
	.section	.text._ZN7rocprim17ROCPRIM_400000_NS6detail17trampoline_kernelINS0_14default_configENS1_38merge_sort_block_merge_config_selectorIlNS0_10empty_typeEEEZZNS1_27merge_sort_block_merge_implIS3_PlPS5_mZN2at6native12_GLOBAL__N_124unique_dim_cuda_templateIN3c104HalfEEESt5tupleIJNSA_6TensorESH_SH_EERKSH_lbbbEUlllE_EE10hipError_tT0_T1_T2_jT3_P12ihipStream_tbPNSt15iterator_traitsISN_E10value_typeEPNST_ISO_E10value_typeEPSP_NS1_7vsmem_tEENKUlT_SN_SO_SP_E_clIS8_S8_S9_S9_EESM_S12_SN_SO_SP_EUlS12_E0_NS1_11comp_targetILNS1_3genE2ELNS1_11target_archE906ELNS1_3gpuE6ELNS1_3repE0EEENS1_38merge_mergepath_config_static_selectorELNS0_4arch9wavefront6targetE1EEEvSO_,"axG",@progbits,_ZN7rocprim17ROCPRIM_400000_NS6detail17trampoline_kernelINS0_14default_configENS1_38merge_sort_block_merge_config_selectorIlNS0_10empty_typeEEEZZNS1_27merge_sort_block_merge_implIS3_PlPS5_mZN2at6native12_GLOBAL__N_124unique_dim_cuda_templateIN3c104HalfEEESt5tupleIJNSA_6TensorESH_SH_EERKSH_lbbbEUlllE_EE10hipError_tT0_T1_T2_jT3_P12ihipStream_tbPNSt15iterator_traitsISN_E10value_typeEPNST_ISO_E10value_typeEPSP_NS1_7vsmem_tEENKUlT_SN_SO_SP_E_clIS8_S8_S9_S9_EESM_S12_SN_SO_SP_EUlS12_E0_NS1_11comp_targetILNS1_3genE2ELNS1_11target_archE906ELNS1_3gpuE6ELNS1_3repE0EEENS1_38merge_mergepath_config_static_selectorELNS0_4arch9wavefront6targetE1EEEvSO_,comdat
.Lfunc_end1261:
	.size	_ZN7rocprim17ROCPRIM_400000_NS6detail17trampoline_kernelINS0_14default_configENS1_38merge_sort_block_merge_config_selectorIlNS0_10empty_typeEEEZZNS1_27merge_sort_block_merge_implIS3_PlPS5_mZN2at6native12_GLOBAL__N_124unique_dim_cuda_templateIN3c104HalfEEESt5tupleIJNSA_6TensorESH_SH_EERKSH_lbbbEUlllE_EE10hipError_tT0_T1_T2_jT3_P12ihipStream_tbPNSt15iterator_traitsISN_E10value_typeEPNST_ISO_E10value_typeEPSP_NS1_7vsmem_tEENKUlT_SN_SO_SP_E_clIS8_S8_S9_S9_EESM_S12_SN_SO_SP_EUlS12_E0_NS1_11comp_targetILNS1_3genE2ELNS1_11target_archE906ELNS1_3gpuE6ELNS1_3repE0EEENS1_38merge_mergepath_config_static_selectorELNS0_4arch9wavefront6targetE1EEEvSO_, .Lfunc_end1261-_ZN7rocprim17ROCPRIM_400000_NS6detail17trampoline_kernelINS0_14default_configENS1_38merge_sort_block_merge_config_selectorIlNS0_10empty_typeEEEZZNS1_27merge_sort_block_merge_implIS3_PlPS5_mZN2at6native12_GLOBAL__N_124unique_dim_cuda_templateIN3c104HalfEEESt5tupleIJNSA_6TensorESH_SH_EERKSH_lbbbEUlllE_EE10hipError_tT0_T1_T2_jT3_P12ihipStream_tbPNSt15iterator_traitsISN_E10value_typeEPNST_ISO_E10value_typeEPSP_NS1_7vsmem_tEENKUlT_SN_SO_SP_E_clIS8_S8_S9_S9_EESM_S12_SN_SO_SP_EUlS12_E0_NS1_11comp_targetILNS1_3genE2ELNS1_11target_archE906ELNS1_3gpuE6ELNS1_3repE0EEENS1_38merge_mergepath_config_static_selectorELNS0_4arch9wavefront6targetE1EEEvSO_
                                        ; -- End function
	.set _ZN7rocprim17ROCPRIM_400000_NS6detail17trampoline_kernelINS0_14default_configENS1_38merge_sort_block_merge_config_selectorIlNS0_10empty_typeEEEZZNS1_27merge_sort_block_merge_implIS3_PlPS5_mZN2at6native12_GLOBAL__N_124unique_dim_cuda_templateIN3c104HalfEEESt5tupleIJNSA_6TensorESH_SH_EERKSH_lbbbEUlllE_EE10hipError_tT0_T1_T2_jT3_P12ihipStream_tbPNSt15iterator_traitsISN_E10value_typeEPNST_ISO_E10value_typeEPSP_NS1_7vsmem_tEENKUlT_SN_SO_SP_E_clIS8_S8_S9_S9_EESM_S12_SN_SO_SP_EUlS12_E0_NS1_11comp_targetILNS1_3genE2ELNS1_11target_archE906ELNS1_3gpuE6ELNS1_3repE0EEENS1_38merge_mergepath_config_static_selectorELNS0_4arch9wavefront6targetE1EEEvSO_.num_vgpr, 0
	.set _ZN7rocprim17ROCPRIM_400000_NS6detail17trampoline_kernelINS0_14default_configENS1_38merge_sort_block_merge_config_selectorIlNS0_10empty_typeEEEZZNS1_27merge_sort_block_merge_implIS3_PlPS5_mZN2at6native12_GLOBAL__N_124unique_dim_cuda_templateIN3c104HalfEEESt5tupleIJNSA_6TensorESH_SH_EERKSH_lbbbEUlllE_EE10hipError_tT0_T1_T2_jT3_P12ihipStream_tbPNSt15iterator_traitsISN_E10value_typeEPNST_ISO_E10value_typeEPSP_NS1_7vsmem_tEENKUlT_SN_SO_SP_E_clIS8_S8_S9_S9_EESM_S12_SN_SO_SP_EUlS12_E0_NS1_11comp_targetILNS1_3genE2ELNS1_11target_archE906ELNS1_3gpuE6ELNS1_3repE0EEENS1_38merge_mergepath_config_static_selectorELNS0_4arch9wavefront6targetE1EEEvSO_.num_agpr, 0
	.set _ZN7rocprim17ROCPRIM_400000_NS6detail17trampoline_kernelINS0_14default_configENS1_38merge_sort_block_merge_config_selectorIlNS0_10empty_typeEEEZZNS1_27merge_sort_block_merge_implIS3_PlPS5_mZN2at6native12_GLOBAL__N_124unique_dim_cuda_templateIN3c104HalfEEESt5tupleIJNSA_6TensorESH_SH_EERKSH_lbbbEUlllE_EE10hipError_tT0_T1_T2_jT3_P12ihipStream_tbPNSt15iterator_traitsISN_E10value_typeEPNST_ISO_E10value_typeEPSP_NS1_7vsmem_tEENKUlT_SN_SO_SP_E_clIS8_S8_S9_S9_EESM_S12_SN_SO_SP_EUlS12_E0_NS1_11comp_targetILNS1_3genE2ELNS1_11target_archE906ELNS1_3gpuE6ELNS1_3repE0EEENS1_38merge_mergepath_config_static_selectorELNS0_4arch9wavefront6targetE1EEEvSO_.numbered_sgpr, 0
	.set _ZN7rocprim17ROCPRIM_400000_NS6detail17trampoline_kernelINS0_14default_configENS1_38merge_sort_block_merge_config_selectorIlNS0_10empty_typeEEEZZNS1_27merge_sort_block_merge_implIS3_PlPS5_mZN2at6native12_GLOBAL__N_124unique_dim_cuda_templateIN3c104HalfEEESt5tupleIJNSA_6TensorESH_SH_EERKSH_lbbbEUlllE_EE10hipError_tT0_T1_T2_jT3_P12ihipStream_tbPNSt15iterator_traitsISN_E10value_typeEPNST_ISO_E10value_typeEPSP_NS1_7vsmem_tEENKUlT_SN_SO_SP_E_clIS8_S8_S9_S9_EESM_S12_SN_SO_SP_EUlS12_E0_NS1_11comp_targetILNS1_3genE2ELNS1_11target_archE906ELNS1_3gpuE6ELNS1_3repE0EEENS1_38merge_mergepath_config_static_selectorELNS0_4arch9wavefront6targetE1EEEvSO_.num_named_barrier, 0
	.set _ZN7rocprim17ROCPRIM_400000_NS6detail17trampoline_kernelINS0_14default_configENS1_38merge_sort_block_merge_config_selectorIlNS0_10empty_typeEEEZZNS1_27merge_sort_block_merge_implIS3_PlPS5_mZN2at6native12_GLOBAL__N_124unique_dim_cuda_templateIN3c104HalfEEESt5tupleIJNSA_6TensorESH_SH_EERKSH_lbbbEUlllE_EE10hipError_tT0_T1_T2_jT3_P12ihipStream_tbPNSt15iterator_traitsISN_E10value_typeEPNST_ISO_E10value_typeEPSP_NS1_7vsmem_tEENKUlT_SN_SO_SP_E_clIS8_S8_S9_S9_EESM_S12_SN_SO_SP_EUlS12_E0_NS1_11comp_targetILNS1_3genE2ELNS1_11target_archE906ELNS1_3gpuE6ELNS1_3repE0EEENS1_38merge_mergepath_config_static_selectorELNS0_4arch9wavefront6targetE1EEEvSO_.private_seg_size, 0
	.set _ZN7rocprim17ROCPRIM_400000_NS6detail17trampoline_kernelINS0_14default_configENS1_38merge_sort_block_merge_config_selectorIlNS0_10empty_typeEEEZZNS1_27merge_sort_block_merge_implIS3_PlPS5_mZN2at6native12_GLOBAL__N_124unique_dim_cuda_templateIN3c104HalfEEESt5tupleIJNSA_6TensorESH_SH_EERKSH_lbbbEUlllE_EE10hipError_tT0_T1_T2_jT3_P12ihipStream_tbPNSt15iterator_traitsISN_E10value_typeEPNST_ISO_E10value_typeEPSP_NS1_7vsmem_tEENKUlT_SN_SO_SP_E_clIS8_S8_S9_S9_EESM_S12_SN_SO_SP_EUlS12_E0_NS1_11comp_targetILNS1_3genE2ELNS1_11target_archE906ELNS1_3gpuE6ELNS1_3repE0EEENS1_38merge_mergepath_config_static_selectorELNS0_4arch9wavefront6targetE1EEEvSO_.uses_vcc, 0
	.set _ZN7rocprim17ROCPRIM_400000_NS6detail17trampoline_kernelINS0_14default_configENS1_38merge_sort_block_merge_config_selectorIlNS0_10empty_typeEEEZZNS1_27merge_sort_block_merge_implIS3_PlPS5_mZN2at6native12_GLOBAL__N_124unique_dim_cuda_templateIN3c104HalfEEESt5tupleIJNSA_6TensorESH_SH_EERKSH_lbbbEUlllE_EE10hipError_tT0_T1_T2_jT3_P12ihipStream_tbPNSt15iterator_traitsISN_E10value_typeEPNST_ISO_E10value_typeEPSP_NS1_7vsmem_tEENKUlT_SN_SO_SP_E_clIS8_S8_S9_S9_EESM_S12_SN_SO_SP_EUlS12_E0_NS1_11comp_targetILNS1_3genE2ELNS1_11target_archE906ELNS1_3gpuE6ELNS1_3repE0EEENS1_38merge_mergepath_config_static_selectorELNS0_4arch9wavefront6targetE1EEEvSO_.uses_flat_scratch, 0
	.set _ZN7rocprim17ROCPRIM_400000_NS6detail17trampoline_kernelINS0_14default_configENS1_38merge_sort_block_merge_config_selectorIlNS0_10empty_typeEEEZZNS1_27merge_sort_block_merge_implIS3_PlPS5_mZN2at6native12_GLOBAL__N_124unique_dim_cuda_templateIN3c104HalfEEESt5tupleIJNSA_6TensorESH_SH_EERKSH_lbbbEUlllE_EE10hipError_tT0_T1_T2_jT3_P12ihipStream_tbPNSt15iterator_traitsISN_E10value_typeEPNST_ISO_E10value_typeEPSP_NS1_7vsmem_tEENKUlT_SN_SO_SP_E_clIS8_S8_S9_S9_EESM_S12_SN_SO_SP_EUlS12_E0_NS1_11comp_targetILNS1_3genE2ELNS1_11target_archE906ELNS1_3gpuE6ELNS1_3repE0EEENS1_38merge_mergepath_config_static_selectorELNS0_4arch9wavefront6targetE1EEEvSO_.has_dyn_sized_stack, 0
	.set _ZN7rocprim17ROCPRIM_400000_NS6detail17trampoline_kernelINS0_14default_configENS1_38merge_sort_block_merge_config_selectorIlNS0_10empty_typeEEEZZNS1_27merge_sort_block_merge_implIS3_PlPS5_mZN2at6native12_GLOBAL__N_124unique_dim_cuda_templateIN3c104HalfEEESt5tupleIJNSA_6TensorESH_SH_EERKSH_lbbbEUlllE_EE10hipError_tT0_T1_T2_jT3_P12ihipStream_tbPNSt15iterator_traitsISN_E10value_typeEPNST_ISO_E10value_typeEPSP_NS1_7vsmem_tEENKUlT_SN_SO_SP_E_clIS8_S8_S9_S9_EESM_S12_SN_SO_SP_EUlS12_E0_NS1_11comp_targetILNS1_3genE2ELNS1_11target_archE906ELNS1_3gpuE6ELNS1_3repE0EEENS1_38merge_mergepath_config_static_selectorELNS0_4arch9wavefront6targetE1EEEvSO_.has_recursion, 0
	.set _ZN7rocprim17ROCPRIM_400000_NS6detail17trampoline_kernelINS0_14default_configENS1_38merge_sort_block_merge_config_selectorIlNS0_10empty_typeEEEZZNS1_27merge_sort_block_merge_implIS3_PlPS5_mZN2at6native12_GLOBAL__N_124unique_dim_cuda_templateIN3c104HalfEEESt5tupleIJNSA_6TensorESH_SH_EERKSH_lbbbEUlllE_EE10hipError_tT0_T1_T2_jT3_P12ihipStream_tbPNSt15iterator_traitsISN_E10value_typeEPNST_ISO_E10value_typeEPSP_NS1_7vsmem_tEENKUlT_SN_SO_SP_E_clIS8_S8_S9_S9_EESM_S12_SN_SO_SP_EUlS12_E0_NS1_11comp_targetILNS1_3genE2ELNS1_11target_archE906ELNS1_3gpuE6ELNS1_3repE0EEENS1_38merge_mergepath_config_static_selectorELNS0_4arch9wavefront6targetE1EEEvSO_.has_indirect_call, 0
	.section	.AMDGPU.csdata,"",@progbits
; Kernel info:
; codeLenInByte = 0
; TotalNumSgprs: 6
; NumVgprs: 0
; NumAgprs: 0
; TotalNumVgprs: 0
; ScratchSize: 0
; MemoryBound: 0
; FloatMode: 240
; IeeeMode: 1
; LDSByteSize: 0 bytes/workgroup (compile time only)
; SGPRBlocks: 0
; VGPRBlocks: 0
; NumSGPRsForWavesPerEU: 6
; NumVGPRsForWavesPerEU: 1
; AccumOffset: 4
; Occupancy: 8
; WaveLimiterHint : 0
; COMPUTE_PGM_RSRC2:SCRATCH_EN: 0
; COMPUTE_PGM_RSRC2:USER_SGPR: 2
; COMPUTE_PGM_RSRC2:TRAP_HANDLER: 0
; COMPUTE_PGM_RSRC2:TGID_X_EN: 1
; COMPUTE_PGM_RSRC2:TGID_Y_EN: 0
; COMPUTE_PGM_RSRC2:TGID_Z_EN: 0
; COMPUTE_PGM_RSRC2:TIDIG_COMP_CNT: 0
; COMPUTE_PGM_RSRC3_GFX90A:ACCUM_OFFSET: 0
; COMPUTE_PGM_RSRC3_GFX90A:TG_SPLIT: 0
	.section	.text._ZN7rocprim17ROCPRIM_400000_NS6detail17trampoline_kernelINS0_14default_configENS1_38merge_sort_block_merge_config_selectorIlNS0_10empty_typeEEEZZNS1_27merge_sort_block_merge_implIS3_PlPS5_mZN2at6native12_GLOBAL__N_124unique_dim_cuda_templateIN3c104HalfEEESt5tupleIJNSA_6TensorESH_SH_EERKSH_lbbbEUlllE_EE10hipError_tT0_T1_T2_jT3_P12ihipStream_tbPNSt15iterator_traitsISN_E10value_typeEPNST_ISO_E10value_typeEPSP_NS1_7vsmem_tEENKUlT_SN_SO_SP_E_clIS8_S8_S9_S9_EESM_S12_SN_SO_SP_EUlS12_E0_NS1_11comp_targetILNS1_3genE9ELNS1_11target_archE1100ELNS1_3gpuE3ELNS1_3repE0EEENS1_38merge_mergepath_config_static_selectorELNS0_4arch9wavefront6targetE1EEEvSO_,"axG",@progbits,_ZN7rocprim17ROCPRIM_400000_NS6detail17trampoline_kernelINS0_14default_configENS1_38merge_sort_block_merge_config_selectorIlNS0_10empty_typeEEEZZNS1_27merge_sort_block_merge_implIS3_PlPS5_mZN2at6native12_GLOBAL__N_124unique_dim_cuda_templateIN3c104HalfEEESt5tupleIJNSA_6TensorESH_SH_EERKSH_lbbbEUlllE_EE10hipError_tT0_T1_T2_jT3_P12ihipStream_tbPNSt15iterator_traitsISN_E10value_typeEPNST_ISO_E10value_typeEPSP_NS1_7vsmem_tEENKUlT_SN_SO_SP_E_clIS8_S8_S9_S9_EESM_S12_SN_SO_SP_EUlS12_E0_NS1_11comp_targetILNS1_3genE9ELNS1_11target_archE1100ELNS1_3gpuE3ELNS1_3repE0EEENS1_38merge_mergepath_config_static_selectorELNS0_4arch9wavefront6targetE1EEEvSO_,comdat
	.globl	_ZN7rocprim17ROCPRIM_400000_NS6detail17trampoline_kernelINS0_14default_configENS1_38merge_sort_block_merge_config_selectorIlNS0_10empty_typeEEEZZNS1_27merge_sort_block_merge_implIS3_PlPS5_mZN2at6native12_GLOBAL__N_124unique_dim_cuda_templateIN3c104HalfEEESt5tupleIJNSA_6TensorESH_SH_EERKSH_lbbbEUlllE_EE10hipError_tT0_T1_T2_jT3_P12ihipStream_tbPNSt15iterator_traitsISN_E10value_typeEPNST_ISO_E10value_typeEPSP_NS1_7vsmem_tEENKUlT_SN_SO_SP_E_clIS8_S8_S9_S9_EESM_S12_SN_SO_SP_EUlS12_E0_NS1_11comp_targetILNS1_3genE9ELNS1_11target_archE1100ELNS1_3gpuE3ELNS1_3repE0EEENS1_38merge_mergepath_config_static_selectorELNS0_4arch9wavefront6targetE1EEEvSO_ ; -- Begin function _ZN7rocprim17ROCPRIM_400000_NS6detail17trampoline_kernelINS0_14default_configENS1_38merge_sort_block_merge_config_selectorIlNS0_10empty_typeEEEZZNS1_27merge_sort_block_merge_implIS3_PlPS5_mZN2at6native12_GLOBAL__N_124unique_dim_cuda_templateIN3c104HalfEEESt5tupleIJNSA_6TensorESH_SH_EERKSH_lbbbEUlllE_EE10hipError_tT0_T1_T2_jT3_P12ihipStream_tbPNSt15iterator_traitsISN_E10value_typeEPNST_ISO_E10value_typeEPSP_NS1_7vsmem_tEENKUlT_SN_SO_SP_E_clIS8_S8_S9_S9_EESM_S12_SN_SO_SP_EUlS12_E0_NS1_11comp_targetILNS1_3genE9ELNS1_11target_archE1100ELNS1_3gpuE3ELNS1_3repE0EEENS1_38merge_mergepath_config_static_selectorELNS0_4arch9wavefront6targetE1EEEvSO_
	.p2align	8
	.type	_ZN7rocprim17ROCPRIM_400000_NS6detail17trampoline_kernelINS0_14default_configENS1_38merge_sort_block_merge_config_selectorIlNS0_10empty_typeEEEZZNS1_27merge_sort_block_merge_implIS3_PlPS5_mZN2at6native12_GLOBAL__N_124unique_dim_cuda_templateIN3c104HalfEEESt5tupleIJNSA_6TensorESH_SH_EERKSH_lbbbEUlllE_EE10hipError_tT0_T1_T2_jT3_P12ihipStream_tbPNSt15iterator_traitsISN_E10value_typeEPNST_ISO_E10value_typeEPSP_NS1_7vsmem_tEENKUlT_SN_SO_SP_E_clIS8_S8_S9_S9_EESM_S12_SN_SO_SP_EUlS12_E0_NS1_11comp_targetILNS1_3genE9ELNS1_11target_archE1100ELNS1_3gpuE3ELNS1_3repE0EEENS1_38merge_mergepath_config_static_selectorELNS0_4arch9wavefront6targetE1EEEvSO_,@function
_ZN7rocprim17ROCPRIM_400000_NS6detail17trampoline_kernelINS0_14default_configENS1_38merge_sort_block_merge_config_selectorIlNS0_10empty_typeEEEZZNS1_27merge_sort_block_merge_implIS3_PlPS5_mZN2at6native12_GLOBAL__N_124unique_dim_cuda_templateIN3c104HalfEEESt5tupleIJNSA_6TensorESH_SH_EERKSH_lbbbEUlllE_EE10hipError_tT0_T1_T2_jT3_P12ihipStream_tbPNSt15iterator_traitsISN_E10value_typeEPNST_ISO_E10value_typeEPSP_NS1_7vsmem_tEENKUlT_SN_SO_SP_E_clIS8_S8_S9_S9_EESM_S12_SN_SO_SP_EUlS12_E0_NS1_11comp_targetILNS1_3genE9ELNS1_11target_archE1100ELNS1_3gpuE3ELNS1_3repE0EEENS1_38merge_mergepath_config_static_selectorELNS0_4arch9wavefront6targetE1EEEvSO_: ; @_ZN7rocprim17ROCPRIM_400000_NS6detail17trampoline_kernelINS0_14default_configENS1_38merge_sort_block_merge_config_selectorIlNS0_10empty_typeEEEZZNS1_27merge_sort_block_merge_implIS3_PlPS5_mZN2at6native12_GLOBAL__N_124unique_dim_cuda_templateIN3c104HalfEEESt5tupleIJNSA_6TensorESH_SH_EERKSH_lbbbEUlllE_EE10hipError_tT0_T1_T2_jT3_P12ihipStream_tbPNSt15iterator_traitsISN_E10value_typeEPNST_ISO_E10value_typeEPSP_NS1_7vsmem_tEENKUlT_SN_SO_SP_E_clIS8_S8_S9_S9_EESM_S12_SN_SO_SP_EUlS12_E0_NS1_11comp_targetILNS1_3genE9ELNS1_11target_archE1100ELNS1_3gpuE3ELNS1_3repE0EEENS1_38merge_mergepath_config_static_selectorELNS0_4arch9wavefront6targetE1EEEvSO_
; %bb.0:
	.section	.rodata,"a",@progbits
	.p2align	6, 0x0
	.amdhsa_kernel _ZN7rocprim17ROCPRIM_400000_NS6detail17trampoline_kernelINS0_14default_configENS1_38merge_sort_block_merge_config_selectorIlNS0_10empty_typeEEEZZNS1_27merge_sort_block_merge_implIS3_PlPS5_mZN2at6native12_GLOBAL__N_124unique_dim_cuda_templateIN3c104HalfEEESt5tupleIJNSA_6TensorESH_SH_EERKSH_lbbbEUlllE_EE10hipError_tT0_T1_T2_jT3_P12ihipStream_tbPNSt15iterator_traitsISN_E10value_typeEPNST_ISO_E10value_typeEPSP_NS1_7vsmem_tEENKUlT_SN_SO_SP_E_clIS8_S8_S9_S9_EESM_S12_SN_SO_SP_EUlS12_E0_NS1_11comp_targetILNS1_3genE9ELNS1_11target_archE1100ELNS1_3gpuE3ELNS1_3repE0EEENS1_38merge_mergepath_config_static_selectorELNS0_4arch9wavefront6targetE1EEEvSO_
		.amdhsa_group_segment_fixed_size 0
		.amdhsa_private_segment_fixed_size 0
		.amdhsa_kernarg_size 88
		.amdhsa_user_sgpr_count 2
		.amdhsa_user_sgpr_dispatch_ptr 0
		.amdhsa_user_sgpr_queue_ptr 0
		.amdhsa_user_sgpr_kernarg_segment_ptr 1
		.amdhsa_user_sgpr_dispatch_id 0
		.amdhsa_user_sgpr_kernarg_preload_length 0
		.amdhsa_user_sgpr_kernarg_preload_offset 0
		.amdhsa_user_sgpr_private_segment_size 0
		.amdhsa_uses_dynamic_stack 0
		.amdhsa_enable_private_segment 0
		.amdhsa_system_sgpr_workgroup_id_x 1
		.amdhsa_system_sgpr_workgroup_id_y 0
		.amdhsa_system_sgpr_workgroup_id_z 0
		.amdhsa_system_sgpr_workgroup_info 0
		.amdhsa_system_vgpr_workitem_id 0
		.amdhsa_next_free_vgpr 1
		.amdhsa_next_free_sgpr 0
		.amdhsa_accum_offset 4
		.amdhsa_reserve_vcc 0
		.amdhsa_float_round_mode_32 0
		.amdhsa_float_round_mode_16_64 0
		.amdhsa_float_denorm_mode_32 3
		.amdhsa_float_denorm_mode_16_64 3
		.amdhsa_dx10_clamp 1
		.amdhsa_ieee_mode 1
		.amdhsa_fp16_overflow 0
		.amdhsa_tg_split 0
		.amdhsa_exception_fp_ieee_invalid_op 0
		.amdhsa_exception_fp_denorm_src 0
		.amdhsa_exception_fp_ieee_div_zero 0
		.amdhsa_exception_fp_ieee_overflow 0
		.amdhsa_exception_fp_ieee_underflow 0
		.amdhsa_exception_fp_ieee_inexact 0
		.amdhsa_exception_int_div_zero 0
	.end_amdhsa_kernel
	.section	.text._ZN7rocprim17ROCPRIM_400000_NS6detail17trampoline_kernelINS0_14default_configENS1_38merge_sort_block_merge_config_selectorIlNS0_10empty_typeEEEZZNS1_27merge_sort_block_merge_implIS3_PlPS5_mZN2at6native12_GLOBAL__N_124unique_dim_cuda_templateIN3c104HalfEEESt5tupleIJNSA_6TensorESH_SH_EERKSH_lbbbEUlllE_EE10hipError_tT0_T1_T2_jT3_P12ihipStream_tbPNSt15iterator_traitsISN_E10value_typeEPNST_ISO_E10value_typeEPSP_NS1_7vsmem_tEENKUlT_SN_SO_SP_E_clIS8_S8_S9_S9_EESM_S12_SN_SO_SP_EUlS12_E0_NS1_11comp_targetILNS1_3genE9ELNS1_11target_archE1100ELNS1_3gpuE3ELNS1_3repE0EEENS1_38merge_mergepath_config_static_selectorELNS0_4arch9wavefront6targetE1EEEvSO_,"axG",@progbits,_ZN7rocprim17ROCPRIM_400000_NS6detail17trampoline_kernelINS0_14default_configENS1_38merge_sort_block_merge_config_selectorIlNS0_10empty_typeEEEZZNS1_27merge_sort_block_merge_implIS3_PlPS5_mZN2at6native12_GLOBAL__N_124unique_dim_cuda_templateIN3c104HalfEEESt5tupleIJNSA_6TensorESH_SH_EERKSH_lbbbEUlllE_EE10hipError_tT0_T1_T2_jT3_P12ihipStream_tbPNSt15iterator_traitsISN_E10value_typeEPNST_ISO_E10value_typeEPSP_NS1_7vsmem_tEENKUlT_SN_SO_SP_E_clIS8_S8_S9_S9_EESM_S12_SN_SO_SP_EUlS12_E0_NS1_11comp_targetILNS1_3genE9ELNS1_11target_archE1100ELNS1_3gpuE3ELNS1_3repE0EEENS1_38merge_mergepath_config_static_selectorELNS0_4arch9wavefront6targetE1EEEvSO_,comdat
.Lfunc_end1262:
	.size	_ZN7rocprim17ROCPRIM_400000_NS6detail17trampoline_kernelINS0_14default_configENS1_38merge_sort_block_merge_config_selectorIlNS0_10empty_typeEEEZZNS1_27merge_sort_block_merge_implIS3_PlPS5_mZN2at6native12_GLOBAL__N_124unique_dim_cuda_templateIN3c104HalfEEESt5tupleIJNSA_6TensorESH_SH_EERKSH_lbbbEUlllE_EE10hipError_tT0_T1_T2_jT3_P12ihipStream_tbPNSt15iterator_traitsISN_E10value_typeEPNST_ISO_E10value_typeEPSP_NS1_7vsmem_tEENKUlT_SN_SO_SP_E_clIS8_S8_S9_S9_EESM_S12_SN_SO_SP_EUlS12_E0_NS1_11comp_targetILNS1_3genE9ELNS1_11target_archE1100ELNS1_3gpuE3ELNS1_3repE0EEENS1_38merge_mergepath_config_static_selectorELNS0_4arch9wavefront6targetE1EEEvSO_, .Lfunc_end1262-_ZN7rocprim17ROCPRIM_400000_NS6detail17trampoline_kernelINS0_14default_configENS1_38merge_sort_block_merge_config_selectorIlNS0_10empty_typeEEEZZNS1_27merge_sort_block_merge_implIS3_PlPS5_mZN2at6native12_GLOBAL__N_124unique_dim_cuda_templateIN3c104HalfEEESt5tupleIJNSA_6TensorESH_SH_EERKSH_lbbbEUlllE_EE10hipError_tT0_T1_T2_jT3_P12ihipStream_tbPNSt15iterator_traitsISN_E10value_typeEPNST_ISO_E10value_typeEPSP_NS1_7vsmem_tEENKUlT_SN_SO_SP_E_clIS8_S8_S9_S9_EESM_S12_SN_SO_SP_EUlS12_E0_NS1_11comp_targetILNS1_3genE9ELNS1_11target_archE1100ELNS1_3gpuE3ELNS1_3repE0EEENS1_38merge_mergepath_config_static_selectorELNS0_4arch9wavefront6targetE1EEEvSO_
                                        ; -- End function
	.set _ZN7rocprim17ROCPRIM_400000_NS6detail17trampoline_kernelINS0_14default_configENS1_38merge_sort_block_merge_config_selectorIlNS0_10empty_typeEEEZZNS1_27merge_sort_block_merge_implIS3_PlPS5_mZN2at6native12_GLOBAL__N_124unique_dim_cuda_templateIN3c104HalfEEESt5tupleIJNSA_6TensorESH_SH_EERKSH_lbbbEUlllE_EE10hipError_tT0_T1_T2_jT3_P12ihipStream_tbPNSt15iterator_traitsISN_E10value_typeEPNST_ISO_E10value_typeEPSP_NS1_7vsmem_tEENKUlT_SN_SO_SP_E_clIS8_S8_S9_S9_EESM_S12_SN_SO_SP_EUlS12_E0_NS1_11comp_targetILNS1_3genE9ELNS1_11target_archE1100ELNS1_3gpuE3ELNS1_3repE0EEENS1_38merge_mergepath_config_static_selectorELNS0_4arch9wavefront6targetE1EEEvSO_.num_vgpr, 0
	.set _ZN7rocprim17ROCPRIM_400000_NS6detail17trampoline_kernelINS0_14default_configENS1_38merge_sort_block_merge_config_selectorIlNS0_10empty_typeEEEZZNS1_27merge_sort_block_merge_implIS3_PlPS5_mZN2at6native12_GLOBAL__N_124unique_dim_cuda_templateIN3c104HalfEEESt5tupleIJNSA_6TensorESH_SH_EERKSH_lbbbEUlllE_EE10hipError_tT0_T1_T2_jT3_P12ihipStream_tbPNSt15iterator_traitsISN_E10value_typeEPNST_ISO_E10value_typeEPSP_NS1_7vsmem_tEENKUlT_SN_SO_SP_E_clIS8_S8_S9_S9_EESM_S12_SN_SO_SP_EUlS12_E0_NS1_11comp_targetILNS1_3genE9ELNS1_11target_archE1100ELNS1_3gpuE3ELNS1_3repE0EEENS1_38merge_mergepath_config_static_selectorELNS0_4arch9wavefront6targetE1EEEvSO_.num_agpr, 0
	.set _ZN7rocprim17ROCPRIM_400000_NS6detail17trampoline_kernelINS0_14default_configENS1_38merge_sort_block_merge_config_selectorIlNS0_10empty_typeEEEZZNS1_27merge_sort_block_merge_implIS3_PlPS5_mZN2at6native12_GLOBAL__N_124unique_dim_cuda_templateIN3c104HalfEEESt5tupleIJNSA_6TensorESH_SH_EERKSH_lbbbEUlllE_EE10hipError_tT0_T1_T2_jT3_P12ihipStream_tbPNSt15iterator_traitsISN_E10value_typeEPNST_ISO_E10value_typeEPSP_NS1_7vsmem_tEENKUlT_SN_SO_SP_E_clIS8_S8_S9_S9_EESM_S12_SN_SO_SP_EUlS12_E0_NS1_11comp_targetILNS1_3genE9ELNS1_11target_archE1100ELNS1_3gpuE3ELNS1_3repE0EEENS1_38merge_mergepath_config_static_selectorELNS0_4arch9wavefront6targetE1EEEvSO_.numbered_sgpr, 0
	.set _ZN7rocprim17ROCPRIM_400000_NS6detail17trampoline_kernelINS0_14default_configENS1_38merge_sort_block_merge_config_selectorIlNS0_10empty_typeEEEZZNS1_27merge_sort_block_merge_implIS3_PlPS5_mZN2at6native12_GLOBAL__N_124unique_dim_cuda_templateIN3c104HalfEEESt5tupleIJNSA_6TensorESH_SH_EERKSH_lbbbEUlllE_EE10hipError_tT0_T1_T2_jT3_P12ihipStream_tbPNSt15iterator_traitsISN_E10value_typeEPNST_ISO_E10value_typeEPSP_NS1_7vsmem_tEENKUlT_SN_SO_SP_E_clIS8_S8_S9_S9_EESM_S12_SN_SO_SP_EUlS12_E0_NS1_11comp_targetILNS1_3genE9ELNS1_11target_archE1100ELNS1_3gpuE3ELNS1_3repE0EEENS1_38merge_mergepath_config_static_selectorELNS0_4arch9wavefront6targetE1EEEvSO_.num_named_barrier, 0
	.set _ZN7rocprim17ROCPRIM_400000_NS6detail17trampoline_kernelINS0_14default_configENS1_38merge_sort_block_merge_config_selectorIlNS0_10empty_typeEEEZZNS1_27merge_sort_block_merge_implIS3_PlPS5_mZN2at6native12_GLOBAL__N_124unique_dim_cuda_templateIN3c104HalfEEESt5tupleIJNSA_6TensorESH_SH_EERKSH_lbbbEUlllE_EE10hipError_tT0_T1_T2_jT3_P12ihipStream_tbPNSt15iterator_traitsISN_E10value_typeEPNST_ISO_E10value_typeEPSP_NS1_7vsmem_tEENKUlT_SN_SO_SP_E_clIS8_S8_S9_S9_EESM_S12_SN_SO_SP_EUlS12_E0_NS1_11comp_targetILNS1_3genE9ELNS1_11target_archE1100ELNS1_3gpuE3ELNS1_3repE0EEENS1_38merge_mergepath_config_static_selectorELNS0_4arch9wavefront6targetE1EEEvSO_.private_seg_size, 0
	.set _ZN7rocprim17ROCPRIM_400000_NS6detail17trampoline_kernelINS0_14default_configENS1_38merge_sort_block_merge_config_selectorIlNS0_10empty_typeEEEZZNS1_27merge_sort_block_merge_implIS3_PlPS5_mZN2at6native12_GLOBAL__N_124unique_dim_cuda_templateIN3c104HalfEEESt5tupleIJNSA_6TensorESH_SH_EERKSH_lbbbEUlllE_EE10hipError_tT0_T1_T2_jT3_P12ihipStream_tbPNSt15iterator_traitsISN_E10value_typeEPNST_ISO_E10value_typeEPSP_NS1_7vsmem_tEENKUlT_SN_SO_SP_E_clIS8_S8_S9_S9_EESM_S12_SN_SO_SP_EUlS12_E0_NS1_11comp_targetILNS1_3genE9ELNS1_11target_archE1100ELNS1_3gpuE3ELNS1_3repE0EEENS1_38merge_mergepath_config_static_selectorELNS0_4arch9wavefront6targetE1EEEvSO_.uses_vcc, 0
	.set _ZN7rocprim17ROCPRIM_400000_NS6detail17trampoline_kernelINS0_14default_configENS1_38merge_sort_block_merge_config_selectorIlNS0_10empty_typeEEEZZNS1_27merge_sort_block_merge_implIS3_PlPS5_mZN2at6native12_GLOBAL__N_124unique_dim_cuda_templateIN3c104HalfEEESt5tupleIJNSA_6TensorESH_SH_EERKSH_lbbbEUlllE_EE10hipError_tT0_T1_T2_jT3_P12ihipStream_tbPNSt15iterator_traitsISN_E10value_typeEPNST_ISO_E10value_typeEPSP_NS1_7vsmem_tEENKUlT_SN_SO_SP_E_clIS8_S8_S9_S9_EESM_S12_SN_SO_SP_EUlS12_E0_NS1_11comp_targetILNS1_3genE9ELNS1_11target_archE1100ELNS1_3gpuE3ELNS1_3repE0EEENS1_38merge_mergepath_config_static_selectorELNS0_4arch9wavefront6targetE1EEEvSO_.uses_flat_scratch, 0
	.set _ZN7rocprim17ROCPRIM_400000_NS6detail17trampoline_kernelINS0_14default_configENS1_38merge_sort_block_merge_config_selectorIlNS0_10empty_typeEEEZZNS1_27merge_sort_block_merge_implIS3_PlPS5_mZN2at6native12_GLOBAL__N_124unique_dim_cuda_templateIN3c104HalfEEESt5tupleIJNSA_6TensorESH_SH_EERKSH_lbbbEUlllE_EE10hipError_tT0_T1_T2_jT3_P12ihipStream_tbPNSt15iterator_traitsISN_E10value_typeEPNST_ISO_E10value_typeEPSP_NS1_7vsmem_tEENKUlT_SN_SO_SP_E_clIS8_S8_S9_S9_EESM_S12_SN_SO_SP_EUlS12_E0_NS1_11comp_targetILNS1_3genE9ELNS1_11target_archE1100ELNS1_3gpuE3ELNS1_3repE0EEENS1_38merge_mergepath_config_static_selectorELNS0_4arch9wavefront6targetE1EEEvSO_.has_dyn_sized_stack, 0
	.set _ZN7rocprim17ROCPRIM_400000_NS6detail17trampoline_kernelINS0_14default_configENS1_38merge_sort_block_merge_config_selectorIlNS0_10empty_typeEEEZZNS1_27merge_sort_block_merge_implIS3_PlPS5_mZN2at6native12_GLOBAL__N_124unique_dim_cuda_templateIN3c104HalfEEESt5tupleIJNSA_6TensorESH_SH_EERKSH_lbbbEUlllE_EE10hipError_tT0_T1_T2_jT3_P12ihipStream_tbPNSt15iterator_traitsISN_E10value_typeEPNST_ISO_E10value_typeEPSP_NS1_7vsmem_tEENKUlT_SN_SO_SP_E_clIS8_S8_S9_S9_EESM_S12_SN_SO_SP_EUlS12_E0_NS1_11comp_targetILNS1_3genE9ELNS1_11target_archE1100ELNS1_3gpuE3ELNS1_3repE0EEENS1_38merge_mergepath_config_static_selectorELNS0_4arch9wavefront6targetE1EEEvSO_.has_recursion, 0
	.set _ZN7rocprim17ROCPRIM_400000_NS6detail17trampoline_kernelINS0_14default_configENS1_38merge_sort_block_merge_config_selectorIlNS0_10empty_typeEEEZZNS1_27merge_sort_block_merge_implIS3_PlPS5_mZN2at6native12_GLOBAL__N_124unique_dim_cuda_templateIN3c104HalfEEESt5tupleIJNSA_6TensorESH_SH_EERKSH_lbbbEUlllE_EE10hipError_tT0_T1_T2_jT3_P12ihipStream_tbPNSt15iterator_traitsISN_E10value_typeEPNST_ISO_E10value_typeEPSP_NS1_7vsmem_tEENKUlT_SN_SO_SP_E_clIS8_S8_S9_S9_EESM_S12_SN_SO_SP_EUlS12_E0_NS1_11comp_targetILNS1_3genE9ELNS1_11target_archE1100ELNS1_3gpuE3ELNS1_3repE0EEENS1_38merge_mergepath_config_static_selectorELNS0_4arch9wavefront6targetE1EEEvSO_.has_indirect_call, 0
	.section	.AMDGPU.csdata,"",@progbits
; Kernel info:
; codeLenInByte = 0
; TotalNumSgprs: 6
; NumVgprs: 0
; NumAgprs: 0
; TotalNumVgprs: 0
; ScratchSize: 0
; MemoryBound: 0
; FloatMode: 240
; IeeeMode: 1
; LDSByteSize: 0 bytes/workgroup (compile time only)
; SGPRBlocks: 0
; VGPRBlocks: 0
; NumSGPRsForWavesPerEU: 6
; NumVGPRsForWavesPerEU: 1
; AccumOffset: 4
; Occupancy: 8
; WaveLimiterHint : 0
; COMPUTE_PGM_RSRC2:SCRATCH_EN: 0
; COMPUTE_PGM_RSRC2:USER_SGPR: 2
; COMPUTE_PGM_RSRC2:TRAP_HANDLER: 0
; COMPUTE_PGM_RSRC2:TGID_X_EN: 1
; COMPUTE_PGM_RSRC2:TGID_Y_EN: 0
; COMPUTE_PGM_RSRC2:TGID_Z_EN: 0
; COMPUTE_PGM_RSRC2:TIDIG_COMP_CNT: 0
; COMPUTE_PGM_RSRC3_GFX90A:ACCUM_OFFSET: 0
; COMPUTE_PGM_RSRC3_GFX90A:TG_SPLIT: 0
	.section	.text._ZN7rocprim17ROCPRIM_400000_NS6detail17trampoline_kernelINS0_14default_configENS1_38merge_sort_block_merge_config_selectorIlNS0_10empty_typeEEEZZNS1_27merge_sort_block_merge_implIS3_PlPS5_mZN2at6native12_GLOBAL__N_124unique_dim_cuda_templateIN3c104HalfEEESt5tupleIJNSA_6TensorESH_SH_EERKSH_lbbbEUlllE_EE10hipError_tT0_T1_T2_jT3_P12ihipStream_tbPNSt15iterator_traitsISN_E10value_typeEPNST_ISO_E10value_typeEPSP_NS1_7vsmem_tEENKUlT_SN_SO_SP_E_clIS8_S8_S9_S9_EESM_S12_SN_SO_SP_EUlS12_E0_NS1_11comp_targetILNS1_3genE8ELNS1_11target_archE1030ELNS1_3gpuE2ELNS1_3repE0EEENS1_38merge_mergepath_config_static_selectorELNS0_4arch9wavefront6targetE1EEEvSO_,"axG",@progbits,_ZN7rocprim17ROCPRIM_400000_NS6detail17trampoline_kernelINS0_14default_configENS1_38merge_sort_block_merge_config_selectorIlNS0_10empty_typeEEEZZNS1_27merge_sort_block_merge_implIS3_PlPS5_mZN2at6native12_GLOBAL__N_124unique_dim_cuda_templateIN3c104HalfEEESt5tupleIJNSA_6TensorESH_SH_EERKSH_lbbbEUlllE_EE10hipError_tT0_T1_T2_jT3_P12ihipStream_tbPNSt15iterator_traitsISN_E10value_typeEPNST_ISO_E10value_typeEPSP_NS1_7vsmem_tEENKUlT_SN_SO_SP_E_clIS8_S8_S9_S9_EESM_S12_SN_SO_SP_EUlS12_E0_NS1_11comp_targetILNS1_3genE8ELNS1_11target_archE1030ELNS1_3gpuE2ELNS1_3repE0EEENS1_38merge_mergepath_config_static_selectorELNS0_4arch9wavefront6targetE1EEEvSO_,comdat
	.globl	_ZN7rocprim17ROCPRIM_400000_NS6detail17trampoline_kernelINS0_14default_configENS1_38merge_sort_block_merge_config_selectorIlNS0_10empty_typeEEEZZNS1_27merge_sort_block_merge_implIS3_PlPS5_mZN2at6native12_GLOBAL__N_124unique_dim_cuda_templateIN3c104HalfEEESt5tupleIJNSA_6TensorESH_SH_EERKSH_lbbbEUlllE_EE10hipError_tT0_T1_T2_jT3_P12ihipStream_tbPNSt15iterator_traitsISN_E10value_typeEPNST_ISO_E10value_typeEPSP_NS1_7vsmem_tEENKUlT_SN_SO_SP_E_clIS8_S8_S9_S9_EESM_S12_SN_SO_SP_EUlS12_E0_NS1_11comp_targetILNS1_3genE8ELNS1_11target_archE1030ELNS1_3gpuE2ELNS1_3repE0EEENS1_38merge_mergepath_config_static_selectorELNS0_4arch9wavefront6targetE1EEEvSO_ ; -- Begin function _ZN7rocprim17ROCPRIM_400000_NS6detail17trampoline_kernelINS0_14default_configENS1_38merge_sort_block_merge_config_selectorIlNS0_10empty_typeEEEZZNS1_27merge_sort_block_merge_implIS3_PlPS5_mZN2at6native12_GLOBAL__N_124unique_dim_cuda_templateIN3c104HalfEEESt5tupleIJNSA_6TensorESH_SH_EERKSH_lbbbEUlllE_EE10hipError_tT0_T1_T2_jT3_P12ihipStream_tbPNSt15iterator_traitsISN_E10value_typeEPNST_ISO_E10value_typeEPSP_NS1_7vsmem_tEENKUlT_SN_SO_SP_E_clIS8_S8_S9_S9_EESM_S12_SN_SO_SP_EUlS12_E0_NS1_11comp_targetILNS1_3genE8ELNS1_11target_archE1030ELNS1_3gpuE2ELNS1_3repE0EEENS1_38merge_mergepath_config_static_selectorELNS0_4arch9wavefront6targetE1EEEvSO_
	.p2align	8
	.type	_ZN7rocprim17ROCPRIM_400000_NS6detail17trampoline_kernelINS0_14default_configENS1_38merge_sort_block_merge_config_selectorIlNS0_10empty_typeEEEZZNS1_27merge_sort_block_merge_implIS3_PlPS5_mZN2at6native12_GLOBAL__N_124unique_dim_cuda_templateIN3c104HalfEEESt5tupleIJNSA_6TensorESH_SH_EERKSH_lbbbEUlllE_EE10hipError_tT0_T1_T2_jT3_P12ihipStream_tbPNSt15iterator_traitsISN_E10value_typeEPNST_ISO_E10value_typeEPSP_NS1_7vsmem_tEENKUlT_SN_SO_SP_E_clIS8_S8_S9_S9_EESM_S12_SN_SO_SP_EUlS12_E0_NS1_11comp_targetILNS1_3genE8ELNS1_11target_archE1030ELNS1_3gpuE2ELNS1_3repE0EEENS1_38merge_mergepath_config_static_selectorELNS0_4arch9wavefront6targetE1EEEvSO_,@function
_ZN7rocprim17ROCPRIM_400000_NS6detail17trampoline_kernelINS0_14default_configENS1_38merge_sort_block_merge_config_selectorIlNS0_10empty_typeEEEZZNS1_27merge_sort_block_merge_implIS3_PlPS5_mZN2at6native12_GLOBAL__N_124unique_dim_cuda_templateIN3c104HalfEEESt5tupleIJNSA_6TensorESH_SH_EERKSH_lbbbEUlllE_EE10hipError_tT0_T1_T2_jT3_P12ihipStream_tbPNSt15iterator_traitsISN_E10value_typeEPNST_ISO_E10value_typeEPSP_NS1_7vsmem_tEENKUlT_SN_SO_SP_E_clIS8_S8_S9_S9_EESM_S12_SN_SO_SP_EUlS12_E0_NS1_11comp_targetILNS1_3genE8ELNS1_11target_archE1030ELNS1_3gpuE2ELNS1_3repE0EEENS1_38merge_mergepath_config_static_selectorELNS0_4arch9wavefront6targetE1EEEvSO_: ; @_ZN7rocprim17ROCPRIM_400000_NS6detail17trampoline_kernelINS0_14default_configENS1_38merge_sort_block_merge_config_selectorIlNS0_10empty_typeEEEZZNS1_27merge_sort_block_merge_implIS3_PlPS5_mZN2at6native12_GLOBAL__N_124unique_dim_cuda_templateIN3c104HalfEEESt5tupleIJNSA_6TensorESH_SH_EERKSH_lbbbEUlllE_EE10hipError_tT0_T1_T2_jT3_P12ihipStream_tbPNSt15iterator_traitsISN_E10value_typeEPNST_ISO_E10value_typeEPSP_NS1_7vsmem_tEENKUlT_SN_SO_SP_E_clIS8_S8_S9_S9_EESM_S12_SN_SO_SP_EUlS12_E0_NS1_11comp_targetILNS1_3genE8ELNS1_11target_archE1030ELNS1_3gpuE2ELNS1_3repE0EEENS1_38merge_mergepath_config_static_selectorELNS0_4arch9wavefront6targetE1EEEvSO_
; %bb.0:
	.section	.rodata,"a",@progbits
	.p2align	6, 0x0
	.amdhsa_kernel _ZN7rocprim17ROCPRIM_400000_NS6detail17trampoline_kernelINS0_14default_configENS1_38merge_sort_block_merge_config_selectorIlNS0_10empty_typeEEEZZNS1_27merge_sort_block_merge_implIS3_PlPS5_mZN2at6native12_GLOBAL__N_124unique_dim_cuda_templateIN3c104HalfEEESt5tupleIJNSA_6TensorESH_SH_EERKSH_lbbbEUlllE_EE10hipError_tT0_T1_T2_jT3_P12ihipStream_tbPNSt15iterator_traitsISN_E10value_typeEPNST_ISO_E10value_typeEPSP_NS1_7vsmem_tEENKUlT_SN_SO_SP_E_clIS8_S8_S9_S9_EESM_S12_SN_SO_SP_EUlS12_E0_NS1_11comp_targetILNS1_3genE8ELNS1_11target_archE1030ELNS1_3gpuE2ELNS1_3repE0EEENS1_38merge_mergepath_config_static_selectorELNS0_4arch9wavefront6targetE1EEEvSO_
		.amdhsa_group_segment_fixed_size 0
		.amdhsa_private_segment_fixed_size 0
		.amdhsa_kernarg_size 88
		.amdhsa_user_sgpr_count 2
		.amdhsa_user_sgpr_dispatch_ptr 0
		.amdhsa_user_sgpr_queue_ptr 0
		.amdhsa_user_sgpr_kernarg_segment_ptr 1
		.amdhsa_user_sgpr_dispatch_id 0
		.amdhsa_user_sgpr_kernarg_preload_length 0
		.amdhsa_user_sgpr_kernarg_preload_offset 0
		.amdhsa_user_sgpr_private_segment_size 0
		.amdhsa_uses_dynamic_stack 0
		.amdhsa_enable_private_segment 0
		.amdhsa_system_sgpr_workgroup_id_x 1
		.amdhsa_system_sgpr_workgroup_id_y 0
		.amdhsa_system_sgpr_workgroup_id_z 0
		.amdhsa_system_sgpr_workgroup_info 0
		.amdhsa_system_vgpr_workitem_id 0
		.amdhsa_next_free_vgpr 1
		.amdhsa_next_free_sgpr 0
		.amdhsa_accum_offset 4
		.amdhsa_reserve_vcc 0
		.amdhsa_float_round_mode_32 0
		.amdhsa_float_round_mode_16_64 0
		.amdhsa_float_denorm_mode_32 3
		.amdhsa_float_denorm_mode_16_64 3
		.amdhsa_dx10_clamp 1
		.amdhsa_ieee_mode 1
		.amdhsa_fp16_overflow 0
		.amdhsa_tg_split 0
		.amdhsa_exception_fp_ieee_invalid_op 0
		.amdhsa_exception_fp_denorm_src 0
		.amdhsa_exception_fp_ieee_div_zero 0
		.amdhsa_exception_fp_ieee_overflow 0
		.amdhsa_exception_fp_ieee_underflow 0
		.amdhsa_exception_fp_ieee_inexact 0
		.amdhsa_exception_int_div_zero 0
	.end_amdhsa_kernel
	.section	.text._ZN7rocprim17ROCPRIM_400000_NS6detail17trampoline_kernelINS0_14default_configENS1_38merge_sort_block_merge_config_selectorIlNS0_10empty_typeEEEZZNS1_27merge_sort_block_merge_implIS3_PlPS5_mZN2at6native12_GLOBAL__N_124unique_dim_cuda_templateIN3c104HalfEEESt5tupleIJNSA_6TensorESH_SH_EERKSH_lbbbEUlllE_EE10hipError_tT0_T1_T2_jT3_P12ihipStream_tbPNSt15iterator_traitsISN_E10value_typeEPNST_ISO_E10value_typeEPSP_NS1_7vsmem_tEENKUlT_SN_SO_SP_E_clIS8_S8_S9_S9_EESM_S12_SN_SO_SP_EUlS12_E0_NS1_11comp_targetILNS1_3genE8ELNS1_11target_archE1030ELNS1_3gpuE2ELNS1_3repE0EEENS1_38merge_mergepath_config_static_selectorELNS0_4arch9wavefront6targetE1EEEvSO_,"axG",@progbits,_ZN7rocprim17ROCPRIM_400000_NS6detail17trampoline_kernelINS0_14default_configENS1_38merge_sort_block_merge_config_selectorIlNS0_10empty_typeEEEZZNS1_27merge_sort_block_merge_implIS3_PlPS5_mZN2at6native12_GLOBAL__N_124unique_dim_cuda_templateIN3c104HalfEEESt5tupleIJNSA_6TensorESH_SH_EERKSH_lbbbEUlllE_EE10hipError_tT0_T1_T2_jT3_P12ihipStream_tbPNSt15iterator_traitsISN_E10value_typeEPNST_ISO_E10value_typeEPSP_NS1_7vsmem_tEENKUlT_SN_SO_SP_E_clIS8_S8_S9_S9_EESM_S12_SN_SO_SP_EUlS12_E0_NS1_11comp_targetILNS1_3genE8ELNS1_11target_archE1030ELNS1_3gpuE2ELNS1_3repE0EEENS1_38merge_mergepath_config_static_selectorELNS0_4arch9wavefront6targetE1EEEvSO_,comdat
.Lfunc_end1263:
	.size	_ZN7rocprim17ROCPRIM_400000_NS6detail17trampoline_kernelINS0_14default_configENS1_38merge_sort_block_merge_config_selectorIlNS0_10empty_typeEEEZZNS1_27merge_sort_block_merge_implIS3_PlPS5_mZN2at6native12_GLOBAL__N_124unique_dim_cuda_templateIN3c104HalfEEESt5tupleIJNSA_6TensorESH_SH_EERKSH_lbbbEUlllE_EE10hipError_tT0_T1_T2_jT3_P12ihipStream_tbPNSt15iterator_traitsISN_E10value_typeEPNST_ISO_E10value_typeEPSP_NS1_7vsmem_tEENKUlT_SN_SO_SP_E_clIS8_S8_S9_S9_EESM_S12_SN_SO_SP_EUlS12_E0_NS1_11comp_targetILNS1_3genE8ELNS1_11target_archE1030ELNS1_3gpuE2ELNS1_3repE0EEENS1_38merge_mergepath_config_static_selectorELNS0_4arch9wavefront6targetE1EEEvSO_, .Lfunc_end1263-_ZN7rocprim17ROCPRIM_400000_NS6detail17trampoline_kernelINS0_14default_configENS1_38merge_sort_block_merge_config_selectorIlNS0_10empty_typeEEEZZNS1_27merge_sort_block_merge_implIS3_PlPS5_mZN2at6native12_GLOBAL__N_124unique_dim_cuda_templateIN3c104HalfEEESt5tupleIJNSA_6TensorESH_SH_EERKSH_lbbbEUlllE_EE10hipError_tT0_T1_T2_jT3_P12ihipStream_tbPNSt15iterator_traitsISN_E10value_typeEPNST_ISO_E10value_typeEPSP_NS1_7vsmem_tEENKUlT_SN_SO_SP_E_clIS8_S8_S9_S9_EESM_S12_SN_SO_SP_EUlS12_E0_NS1_11comp_targetILNS1_3genE8ELNS1_11target_archE1030ELNS1_3gpuE2ELNS1_3repE0EEENS1_38merge_mergepath_config_static_selectorELNS0_4arch9wavefront6targetE1EEEvSO_
                                        ; -- End function
	.set _ZN7rocprim17ROCPRIM_400000_NS6detail17trampoline_kernelINS0_14default_configENS1_38merge_sort_block_merge_config_selectorIlNS0_10empty_typeEEEZZNS1_27merge_sort_block_merge_implIS3_PlPS5_mZN2at6native12_GLOBAL__N_124unique_dim_cuda_templateIN3c104HalfEEESt5tupleIJNSA_6TensorESH_SH_EERKSH_lbbbEUlllE_EE10hipError_tT0_T1_T2_jT3_P12ihipStream_tbPNSt15iterator_traitsISN_E10value_typeEPNST_ISO_E10value_typeEPSP_NS1_7vsmem_tEENKUlT_SN_SO_SP_E_clIS8_S8_S9_S9_EESM_S12_SN_SO_SP_EUlS12_E0_NS1_11comp_targetILNS1_3genE8ELNS1_11target_archE1030ELNS1_3gpuE2ELNS1_3repE0EEENS1_38merge_mergepath_config_static_selectorELNS0_4arch9wavefront6targetE1EEEvSO_.num_vgpr, 0
	.set _ZN7rocprim17ROCPRIM_400000_NS6detail17trampoline_kernelINS0_14default_configENS1_38merge_sort_block_merge_config_selectorIlNS0_10empty_typeEEEZZNS1_27merge_sort_block_merge_implIS3_PlPS5_mZN2at6native12_GLOBAL__N_124unique_dim_cuda_templateIN3c104HalfEEESt5tupleIJNSA_6TensorESH_SH_EERKSH_lbbbEUlllE_EE10hipError_tT0_T1_T2_jT3_P12ihipStream_tbPNSt15iterator_traitsISN_E10value_typeEPNST_ISO_E10value_typeEPSP_NS1_7vsmem_tEENKUlT_SN_SO_SP_E_clIS8_S8_S9_S9_EESM_S12_SN_SO_SP_EUlS12_E0_NS1_11comp_targetILNS1_3genE8ELNS1_11target_archE1030ELNS1_3gpuE2ELNS1_3repE0EEENS1_38merge_mergepath_config_static_selectorELNS0_4arch9wavefront6targetE1EEEvSO_.num_agpr, 0
	.set _ZN7rocprim17ROCPRIM_400000_NS6detail17trampoline_kernelINS0_14default_configENS1_38merge_sort_block_merge_config_selectorIlNS0_10empty_typeEEEZZNS1_27merge_sort_block_merge_implIS3_PlPS5_mZN2at6native12_GLOBAL__N_124unique_dim_cuda_templateIN3c104HalfEEESt5tupleIJNSA_6TensorESH_SH_EERKSH_lbbbEUlllE_EE10hipError_tT0_T1_T2_jT3_P12ihipStream_tbPNSt15iterator_traitsISN_E10value_typeEPNST_ISO_E10value_typeEPSP_NS1_7vsmem_tEENKUlT_SN_SO_SP_E_clIS8_S8_S9_S9_EESM_S12_SN_SO_SP_EUlS12_E0_NS1_11comp_targetILNS1_3genE8ELNS1_11target_archE1030ELNS1_3gpuE2ELNS1_3repE0EEENS1_38merge_mergepath_config_static_selectorELNS0_4arch9wavefront6targetE1EEEvSO_.numbered_sgpr, 0
	.set _ZN7rocprim17ROCPRIM_400000_NS6detail17trampoline_kernelINS0_14default_configENS1_38merge_sort_block_merge_config_selectorIlNS0_10empty_typeEEEZZNS1_27merge_sort_block_merge_implIS3_PlPS5_mZN2at6native12_GLOBAL__N_124unique_dim_cuda_templateIN3c104HalfEEESt5tupleIJNSA_6TensorESH_SH_EERKSH_lbbbEUlllE_EE10hipError_tT0_T1_T2_jT3_P12ihipStream_tbPNSt15iterator_traitsISN_E10value_typeEPNST_ISO_E10value_typeEPSP_NS1_7vsmem_tEENKUlT_SN_SO_SP_E_clIS8_S8_S9_S9_EESM_S12_SN_SO_SP_EUlS12_E0_NS1_11comp_targetILNS1_3genE8ELNS1_11target_archE1030ELNS1_3gpuE2ELNS1_3repE0EEENS1_38merge_mergepath_config_static_selectorELNS0_4arch9wavefront6targetE1EEEvSO_.num_named_barrier, 0
	.set _ZN7rocprim17ROCPRIM_400000_NS6detail17trampoline_kernelINS0_14default_configENS1_38merge_sort_block_merge_config_selectorIlNS0_10empty_typeEEEZZNS1_27merge_sort_block_merge_implIS3_PlPS5_mZN2at6native12_GLOBAL__N_124unique_dim_cuda_templateIN3c104HalfEEESt5tupleIJNSA_6TensorESH_SH_EERKSH_lbbbEUlllE_EE10hipError_tT0_T1_T2_jT3_P12ihipStream_tbPNSt15iterator_traitsISN_E10value_typeEPNST_ISO_E10value_typeEPSP_NS1_7vsmem_tEENKUlT_SN_SO_SP_E_clIS8_S8_S9_S9_EESM_S12_SN_SO_SP_EUlS12_E0_NS1_11comp_targetILNS1_3genE8ELNS1_11target_archE1030ELNS1_3gpuE2ELNS1_3repE0EEENS1_38merge_mergepath_config_static_selectorELNS0_4arch9wavefront6targetE1EEEvSO_.private_seg_size, 0
	.set _ZN7rocprim17ROCPRIM_400000_NS6detail17trampoline_kernelINS0_14default_configENS1_38merge_sort_block_merge_config_selectorIlNS0_10empty_typeEEEZZNS1_27merge_sort_block_merge_implIS3_PlPS5_mZN2at6native12_GLOBAL__N_124unique_dim_cuda_templateIN3c104HalfEEESt5tupleIJNSA_6TensorESH_SH_EERKSH_lbbbEUlllE_EE10hipError_tT0_T1_T2_jT3_P12ihipStream_tbPNSt15iterator_traitsISN_E10value_typeEPNST_ISO_E10value_typeEPSP_NS1_7vsmem_tEENKUlT_SN_SO_SP_E_clIS8_S8_S9_S9_EESM_S12_SN_SO_SP_EUlS12_E0_NS1_11comp_targetILNS1_3genE8ELNS1_11target_archE1030ELNS1_3gpuE2ELNS1_3repE0EEENS1_38merge_mergepath_config_static_selectorELNS0_4arch9wavefront6targetE1EEEvSO_.uses_vcc, 0
	.set _ZN7rocprim17ROCPRIM_400000_NS6detail17trampoline_kernelINS0_14default_configENS1_38merge_sort_block_merge_config_selectorIlNS0_10empty_typeEEEZZNS1_27merge_sort_block_merge_implIS3_PlPS5_mZN2at6native12_GLOBAL__N_124unique_dim_cuda_templateIN3c104HalfEEESt5tupleIJNSA_6TensorESH_SH_EERKSH_lbbbEUlllE_EE10hipError_tT0_T1_T2_jT3_P12ihipStream_tbPNSt15iterator_traitsISN_E10value_typeEPNST_ISO_E10value_typeEPSP_NS1_7vsmem_tEENKUlT_SN_SO_SP_E_clIS8_S8_S9_S9_EESM_S12_SN_SO_SP_EUlS12_E0_NS1_11comp_targetILNS1_3genE8ELNS1_11target_archE1030ELNS1_3gpuE2ELNS1_3repE0EEENS1_38merge_mergepath_config_static_selectorELNS0_4arch9wavefront6targetE1EEEvSO_.uses_flat_scratch, 0
	.set _ZN7rocprim17ROCPRIM_400000_NS6detail17trampoline_kernelINS0_14default_configENS1_38merge_sort_block_merge_config_selectorIlNS0_10empty_typeEEEZZNS1_27merge_sort_block_merge_implIS3_PlPS5_mZN2at6native12_GLOBAL__N_124unique_dim_cuda_templateIN3c104HalfEEESt5tupleIJNSA_6TensorESH_SH_EERKSH_lbbbEUlllE_EE10hipError_tT0_T1_T2_jT3_P12ihipStream_tbPNSt15iterator_traitsISN_E10value_typeEPNST_ISO_E10value_typeEPSP_NS1_7vsmem_tEENKUlT_SN_SO_SP_E_clIS8_S8_S9_S9_EESM_S12_SN_SO_SP_EUlS12_E0_NS1_11comp_targetILNS1_3genE8ELNS1_11target_archE1030ELNS1_3gpuE2ELNS1_3repE0EEENS1_38merge_mergepath_config_static_selectorELNS0_4arch9wavefront6targetE1EEEvSO_.has_dyn_sized_stack, 0
	.set _ZN7rocprim17ROCPRIM_400000_NS6detail17trampoline_kernelINS0_14default_configENS1_38merge_sort_block_merge_config_selectorIlNS0_10empty_typeEEEZZNS1_27merge_sort_block_merge_implIS3_PlPS5_mZN2at6native12_GLOBAL__N_124unique_dim_cuda_templateIN3c104HalfEEESt5tupleIJNSA_6TensorESH_SH_EERKSH_lbbbEUlllE_EE10hipError_tT0_T1_T2_jT3_P12ihipStream_tbPNSt15iterator_traitsISN_E10value_typeEPNST_ISO_E10value_typeEPSP_NS1_7vsmem_tEENKUlT_SN_SO_SP_E_clIS8_S8_S9_S9_EESM_S12_SN_SO_SP_EUlS12_E0_NS1_11comp_targetILNS1_3genE8ELNS1_11target_archE1030ELNS1_3gpuE2ELNS1_3repE0EEENS1_38merge_mergepath_config_static_selectorELNS0_4arch9wavefront6targetE1EEEvSO_.has_recursion, 0
	.set _ZN7rocprim17ROCPRIM_400000_NS6detail17trampoline_kernelINS0_14default_configENS1_38merge_sort_block_merge_config_selectorIlNS0_10empty_typeEEEZZNS1_27merge_sort_block_merge_implIS3_PlPS5_mZN2at6native12_GLOBAL__N_124unique_dim_cuda_templateIN3c104HalfEEESt5tupleIJNSA_6TensorESH_SH_EERKSH_lbbbEUlllE_EE10hipError_tT0_T1_T2_jT3_P12ihipStream_tbPNSt15iterator_traitsISN_E10value_typeEPNST_ISO_E10value_typeEPSP_NS1_7vsmem_tEENKUlT_SN_SO_SP_E_clIS8_S8_S9_S9_EESM_S12_SN_SO_SP_EUlS12_E0_NS1_11comp_targetILNS1_3genE8ELNS1_11target_archE1030ELNS1_3gpuE2ELNS1_3repE0EEENS1_38merge_mergepath_config_static_selectorELNS0_4arch9wavefront6targetE1EEEvSO_.has_indirect_call, 0
	.section	.AMDGPU.csdata,"",@progbits
; Kernel info:
; codeLenInByte = 0
; TotalNumSgprs: 6
; NumVgprs: 0
; NumAgprs: 0
; TotalNumVgprs: 0
; ScratchSize: 0
; MemoryBound: 0
; FloatMode: 240
; IeeeMode: 1
; LDSByteSize: 0 bytes/workgroup (compile time only)
; SGPRBlocks: 0
; VGPRBlocks: 0
; NumSGPRsForWavesPerEU: 6
; NumVGPRsForWavesPerEU: 1
; AccumOffset: 4
; Occupancy: 8
; WaveLimiterHint : 0
; COMPUTE_PGM_RSRC2:SCRATCH_EN: 0
; COMPUTE_PGM_RSRC2:USER_SGPR: 2
; COMPUTE_PGM_RSRC2:TRAP_HANDLER: 0
; COMPUTE_PGM_RSRC2:TGID_X_EN: 1
; COMPUTE_PGM_RSRC2:TGID_Y_EN: 0
; COMPUTE_PGM_RSRC2:TGID_Z_EN: 0
; COMPUTE_PGM_RSRC2:TIDIG_COMP_CNT: 0
; COMPUTE_PGM_RSRC3_GFX90A:ACCUM_OFFSET: 0
; COMPUTE_PGM_RSRC3_GFX90A:TG_SPLIT: 0
	.section	.text._ZN7rocprim17ROCPRIM_400000_NS6detail17trampoline_kernelINS0_14default_configENS1_38merge_sort_block_merge_config_selectorIlNS0_10empty_typeEEEZZNS1_27merge_sort_block_merge_implIS3_PlPS5_mZN2at6native12_GLOBAL__N_124unique_dim_cuda_templateIN3c104HalfEEESt5tupleIJNSA_6TensorESH_SH_EERKSH_lbbbEUlllE_EE10hipError_tT0_T1_T2_jT3_P12ihipStream_tbPNSt15iterator_traitsISN_E10value_typeEPNST_ISO_E10value_typeEPSP_NS1_7vsmem_tEENKUlT_SN_SO_SP_E_clIS8_S8_S9_S9_EESM_S12_SN_SO_SP_EUlS12_E1_NS1_11comp_targetILNS1_3genE0ELNS1_11target_archE4294967295ELNS1_3gpuE0ELNS1_3repE0EEENS1_36merge_oddeven_config_static_selectorELNS0_4arch9wavefront6targetE1EEEvSO_,"axG",@progbits,_ZN7rocprim17ROCPRIM_400000_NS6detail17trampoline_kernelINS0_14default_configENS1_38merge_sort_block_merge_config_selectorIlNS0_10empty_typeEEEZZNS1_27merge_sort_block_merge_implIS3_PlPS5_mZN2at6native12_GLOBAL__N_124unique_dim_cuda_templateIN3c104HalfEEESt5tupleIJNSA_6TensorESH_SH_EERKSH_lbbbEUlllE_EE10hipError_tT0_T1_T2_jT3_P12ihipStream_tbPNSt15iterator_traitsISN_E10value_typeEPNST_ISO_E10value_typeEPSP_NS1_7vsmem_tEENKUlT_SN_SO_SP_E_clIS8_S8_S9_S9_EESM_S12_SN_SO_SP_EUlS12_E1_NS1_11comp_targetILNS1_3genE0ELNS1_11target_archE4294967295ELNS1_3gpuE0ELNS1_3repE0EEENS1_36merge_oddeven_config_static_selectorELNS0_4arch9wavefront6targetE1EEEvSO_,comdat
	.globl	_ZN7rocprim17ROCPRIM_400000_NS6detail17trampoline_kernelINS0_14default_configENS1_38merge_sort_block_merge_config_selectorIlNS0_10empty_typeEEEZZNS1_27merge_sort_block_merge_implIS3_PlPS5_mZN2at6native12_GLOBAL__N_124unique_dim_cuda_templateIN3c104HalfEEESt5tupleIJNSA_6TensorESH_SH_EERKSH_lbbbEUlllE_EE10hipError_tT0_T1_T2_jT3_P12ihipStream_tbPNSt15iterator_traitsISN_E10value_typeEPNST_ISO_E10value_typeEPSP_NS1_7vsmem_tEENKUlT_SN_SO_SP_E_clIS8_S8_S9_S9_EESM_S12_SN_SO_SP_EUlS12_E1_NS1_11comp_targetILNS1_3genE0ELNS1_11target_archE4294967295ELNS1_3gpuE0ELNS1_3repE0EEENS1_36merge_oddeven_config_static_selectorELNS0_4arch9wavefront6targetE1EEEvSO_ ; -- Begin function _ZN7rocprim17ROCPRIM_400000_NS6detail17trampoline_kernelINS0_14default_configENS1_38merge_sort_block_merge_config_selectorIlNS0_10empty_typeEEEZZNS1_27merge_sort_block_merge_implIS3_PlPS5_mZN2at6native12_GLOBAL__N_124unique_dim_cuda_templateIN3c104HalfEEESt5tupleIJNSA_6TensorESH_SH_EERKSH_lbbbEUlllE_EE10hipError_tT0_T1_T2_jT3_P12ihipStream_tbPNSt15iterator_traitsISN_E10value_typeEPNST_ISO_E10value_typeEPSP_NS1_7vsmem_tEENKUlT_SN_SO_SP_E_clIS8_S8_S9_S9_EESM_S12_SN_SO_SP_EUlS12_E1_NS1_11comp_targetILNS1_3genE0ELNS1_11target_archE4294967295ELNS1_3gpuE0ELNS1_3repE0EEENS1_36merge_oddeven_config_static_selectorELNS0_4arch9wavefront6targetE1EEEvSO_
	.p2align	8
	.type	_ZN7rocprim17ROCPRIM_400000_NS6detail17trampoline_kernelINS0_14default_configENS1_38merge_sort_block_merge_config_selectorIlNS0_10empty_typeEEEZZNS1_27merge_sort_block_merge_implIS3_PlPS5_mZN2at6native12_GLOBAL__N_124unique_dim_cuda_templateIN3c104HalfEEESt5tupleIJNSA_6TensorESH_SH_EERKSH_lbbbEUlllE_EE10hipError_tT0_T1_T2_jT3_P12ihipStream_tbPNSt15iterator_traitsISN_E10value_typeEPNST_ISO_E10value_typeEPSP_NS1_7vsmem_tEENKUlT_SN_SO_SP_E_clIS8_S8_S9_S9_EESM_S12_SN_SO_SP_EUlS12_E1_NS1_11comp_targetILNS1_3genE0ELNS1_11target_archE4294967295ELNS1_3gpuE0ELNS1_3repE0EEENS1_36merge_oddeven_config_static_selectorELNS0_4arch9wavefront6targetE1EEEvSO_,@function
_ZN7rocprim17ROCPRIM_400000_NS6detail17trampoline_kernelINS0_14default_configENS1_38merge_sort_block_merge_config_selectorIlNS0_10empty_typeEEEZZNS1_27merge_sort_block_merge_implIS3_PlPS5_mZN2at6native12_GLOBAL__N_124unique_dim_cuda_templateIN3c104HalfEEESt5tupleIJNSA_6TensorESH_SH_EERKSH_lbbbEUlllE_EE10hipError_tT0_T1_T2_jT3_P12ihipStream_tbPNSt15iterator_traitsISN_E10value_typeEPNST_ISO_E10value_typeEPSP_NS1_7vsmem_tEENKUlT_SN_SO_SP_E_clIS8_S8_S9_S9_EESM_S12_SN_SO_SP_EUlS12_E1_NS1_11comp_targetILNS1_3genE0ELNS1_11target_archE4294967295ELNS1_3gpuE0ELNS1_3repE0EEENS1_36merge_oddeven_config_static_selectorELNS0_4arch9wavefront6targetE1EEEvSO_: ; @_ZN7rocprim17ROCPRIM_400000_NS6detail17trampoline_kernelINS0_14default_configENS1_38merge_sort_block_merge_config_selectorIlNS0_10empty_typeEEEZZNS1_27merge_sort_block_merge_implIS3_PlPS5_mZN2at6native12_GLOBAL__N_124unique_dim_cuda_templateIN3c104HalfEEESt5tupleIJNSA_6TensorESH_SH_EERKSH_lbbbEUlllE_EE10hipError_tT0_T1_T2_jT3_P12ihipStream_tbPNSt15iterator_traitsISN_E10value_typeEPNST_ISO_E10value_typeEPSP_NS1_7vsmem_tEENKUlT_SN_SO_SP_E_clIS8_S8_S9_S9_EESM_S12_SN_SO_SP_EUlS12_E1_NS1_11comp_targetILNS1_3genE0ELNS1_11target_archE4294967295ELNS1_3gpuE0ELNS1_3repE0EEENS1_36merge_oddeven_config_static_selectorELNS0_4arch9wavefront6targetE1EEEvSO_
; %bb.0:
	s_load_dword s22, s[0:1], 0x20
	s_waitcnt lgkmcnt(0)
	s_lshr_b32 s3, s22, 8
	s_cmp_lg_u32 s2, s3
	s_cselect_b64 s[12:13], -1, 0
	s_cmp_eq_u32 s2, s3
	s_cselect_b64 s[20:21], -1, 0
	s_lshl_b32 s18, s2, 8
	s_sub_i32 s3, s22, s18
	v_cmp_gt_u32_e64 s[4:5], s3, v0
	s_or_b64 s[6:7], s[12:13], s[4:5]
	s_and_saveexec_b64 s[8:9], s[6:7]
	s_cbranch_execz .LBB1264_62
; %bb.1:
	s_load_dwordx4 s[8:11], s[0:1], 0x0
	s_load_dword s23, s[0:1], 0x28
	s_mov_b32 s19, 0
	s_lshl_b64 s[6:7], s[18:19], 3
	v_lshlrev_b32_e32 v1, 3, v0
	s_waitcnt lgkmcnt(0)
	s_add_u32 s6, s8, s6
	s_addc_u32 s7, s9, s7
	global_load_dwordx2 v[2:3], v1, s[6:7]
	s_lshr_b32 s3, s23, 8
	s_sub_i32 s6, 0, s3
	s_and_b32 s2, s2, s6
	s_and_b32 s3, s2, s3
	s_cmp_lg_u32 s3, 0
	s_cselect_b64 s[6:7], -1, 0
	s_lshl_b32 s19, s2, 8
	s_sub_i32 s2, 0, s23
	s_cmp_eq_u32 s3, 0
	s_cselect_b32 s33, s23, s2
	s_add_i32 s33, s33, s19
	s_cmp_lt_u32 s33, s22
	s_cbranch_scc1 .LBB1264_3
; %bb.2:
	v_add_u32_e32 v4, s18, v0
	v_cmp_gt_u32_e32 vcc, s22, v4
	s_or_b64 s[12:13], vcc, s[12:13]
	s_and_b64 s[16:17], s[12:13], exec
	s_cbranch_execz .LBB1264_4
	s_branch .LBB1264_60
.LBB1264_3:
	s_mov_b64 s[16:17], 0
                                        ; implicit-def: $vgpr4
.LBB1264_4:
	s_load_dwordx4 s[12:15], s[0:1], 0x30
	s_min_u32 s44, s33, s22
	s_add_i32 s0, s44, s23
	s_min_u32 s45, s0, s22
	s_min_u32 s0, s19, s44
	v_add_u32_e32 v0, s18, v0
	s_add_i32 s19, s19, s44
	v_subrev_u32_e32 v0, s19, v0
	v_add_u32_e32 v14, s0, v0
	s_waitcnt lgkmcnt(0)
	v_cmp_gt_i64_e64 s[18:19], s[12:13], 0
	s_and_b64 vcc, exec, s[20:21]
	s_cbranch_vccz .LBB1264_30
; %bb.5:
                                        ; implicit-def: $vgpr4
	s_and_saveexec_b64 s[20:21], s[4:5]
	s_cbranch_execz .LBB1264_33
; %bb.6:
	s_cmp_ge_u32 s33, s45
	v_mov_b32_e32 v15, s44
	s_cbranch_scc1 .LBB1264_32
; %bb.7:
	s_waitcnt vmcnt(0)
	v_mul_lo_u32 v0, v3, s12
	v_mul_lo_u32 v1, v2, s13
	v_mad_u64_u32 v[4:5], s[0:1], v2, s12, 0
	v_cndmask_b32_e64 v6, 0, 1, s[6:7]
	v_add3_u32 v5, v5, v1, v0
	v_cmp_ne_u32_e64 s[0:1], 1, v6
	v_cndmask_b32_e64 v6, 0, 1, s[18:19]
	v_mov_b64_e32 v[0:1], s[14:15]
	v_lshl_add_u64 v[4:5], v[4:5], 1, s[14:15]
	s_lshl_b64 s[22:23], s[12:13], 1
	s_mov_b64 s[4:5], 0
	v_mov_b32_e32 v16, s45
	v_mov_b32_e32 v15, s44
	;; [unrolled: 1-line block ×3, first 2 shown]
	v_cmp_ne_u32_e64 s[2:3], 1, v6
	s_branch .LBB1264_10
.LBB1264_8:                             ;   in Loop: Header=BB1264_10 Depth=1
	s_or_b64 exec, exec, s[26:27]
.LBB1264_9:                             ;   in Loop: Header=BB1264_10 Depth=1
	s_waitcnt vmcnt(0)
	v_add_u32_e32 v8, 1, v6
	v_cndmask_b32_e64 v16, v6, v16, s[24:25]
	v_cndmask_b32_e64 v15, v15, v8, s[24:25]
	v_cmp_ge_u32_e32 vcc, v15, v16
	s_or_b64 s[4:5], vcc, s[4:5]
	s_andn2_b64 exec, exec, s[4:5]
	s_cbranch_execz .LBB1264_31
.LBB1264_10:                            ; =>This Loop Header: Depth=1
                                        ;     Child Loop BB1264_14 Depth 2
                                        ;     Child Loop BB1264_25 Depth 2
	v_add_u32_e32 v6, v15, v16
	v_lshrrev_b32_e32 v6, 1, v6
	v_lshl_add_u64 v[8:9], v[6:7], 3, s[8:9]
	global_load_dwordx2 v[8:9], v[8:9], off
	s_and_b64 vcc, exec, s[0:1]
	s_mov_b64 s[26:27], -1
                                        ; implicit-def: $sgpr24_sgpr25
	s_cbranch_vccnz .LBB1264_21
; %bb.11:                               ;   in Loop: Header=BB1264_10 Depth=1
	s_and_b64 vcc, exec, s[2:3]
	s_cbranch_vccnz .LBB1264_19
; %bb.12:                               ;   in Loop: Header=BB1264_10 Depth=1
	s_waitcnt vmcnt(0)
	v_mad_u64_u32 v[10:11], s[24:25], s22, v8, v[0:1]
	v_mul_lo_u32 v12, s22, v9
	v_mul_lo_u32 v13, s23, v8
	v_add3_u32 v11, v13, v11, v12
	s_mov_b64 s[24:25], 0
	s_mov_b64 s[30:31], s[12:13]
	v_mov_b64_e32 v[12:13], v[4:5]
                                        ; implicit-def: $sgpr26_sgpr27
                                        ; implicit-def: $sgpr28_sgpr29
                                        ; implicit-def: $sgpr38_sgpr39
	s_branch .LBB1264_14
.LBB1264_13:                            ;   in Loop: Header=BB1264_14 Depth=2
	s_or_b64 exec, exec, s[38:39]
	s_and_b64 s[36:37], exec, s[36:37]
	s_or_b64 s[24:25], s[36:37], s[24:25]
	s_andn2_b64 s[26:27], s[26:27], exec
	s_and_b64 s[36:37], s[28:29], exec
	s_or_b64 s[26:27], s[26:27], s[36:37]
	s_mov_b64 s[38:39], s[34:35]
	s_andn2_b64 exec, exec, s[24:25]
	s_cbranch_execz .LBB1264_18
.LBB1264_14:                            ;   Parent Loop BB1264_10 Depth=1
                                        ; =>  This Inner Loop Header: Depth=2
	global_load_ushort v17, v[12:13], off
	global_load_ushort v18, v[10:11], off
	s_mov_b64 s[36:37], -1
	s_mov_b64 s[40:41], 0
	s_mov_b64 s[34:35], -1
	s_waitcnt vmcnt(0)
	v_cmp_nlt_f16_e32 vcc, v17, v18
	s_and_saveexec_b64 s[42:43], vcc
; %bb.15:                               ;   in Loop: Header=BB1264_14 Depth=2
	v_cmp_ngt_f16_e32 vcc, v17, v18
	s_and_b64 s[34:35], vcc, s[38:39]
	s_orn2_b64 s[34:35], s[34:35], exec
	s_and_b64 s[40:41], vcc, exec
; %bb.16:                               ;   in Loop: Header=BB1264_14 Depth=2
	s_or_b64 exec, exec, s[42:43]
	s_andn2_b64 s[28:29], s[28:29], exec
	s_and_b64 s[38:39], s[34:35], exec
	s_or_b64 s[28:29], s[28:29], s[38:39]
	s_and_saveexec_b64 s[38:39], s[40:41]
	s_cbranch_execz .LBB1264_13
; %bb.17:                               ;   in Loop: Header=BB1264_14 Depth=2
	s_add_u32 s30, s30, -1
	s_addc_u32 s31, s31, -1
	s_cmp_eq_u64 s[30:31], 0
	s_cselect_b64 s[36:37], -1, 0
	v_lshl_add_u64 v[12:13], v[12:13], 0, 2
	v_lshl_add_u64 v[10:11], v[10:11], 0, 2
	s_andn2_b64 s[28:29], s[28:29], exec
	s_orn2_b64 s[36:37], s[36:37], exec
	s_branch .LBB1264_13
.LBB1264_18:                            ;   in Loop: Header=BB1264_10 Depth=1
	s_or_b64 exec, exec, s[24:25]
	s_xor_b64 s[24:25], s[26:27], -1
	s_branch .LBB1264_20
.LBB1264_19:                            ;   in Loop: Header=BB1264_10 Depth=1
	s_mov_b64 s[24:25], -1
.LBB1264_20:                            ;   in Loop: Header=BB1264_10 Depth=1
	s_mov_b64 s[26:27], 0
.LBB1264_21:                            ;   in Loop: Header=BB1264_10 Depth=1
	s_andn2_b64 vcc, exec, s[26:27]
	s_cbranch_vccnz .LBB1264_9
; %bb.22:                               ;   in Loop: Header=BB1264_10 Depth=1
	s_and_b64 vcc, exec, s[2:3]
	s_cbranch_vccnz .LBB1264_29
; %bb.23:                               ;   in Loop: Header=BB1264_10 Depth=1
	s_waitcnt vmcnt(0)
	v_mad_u64_u32 v[10:11], s[24:25], s22, v8, v[0:1]
	v_mul_lo_u32 v9, s22, v9
	v_mul_lo_u32 v8, s23, v8
	v_add3_u32 v11, v8, v11, v9
	s_mov_b64 s[26:27], 0
	s_mov_b64 s[30:31], s[12:13]
	v_mov_b64_e32 v[8:9], v[4:5]
                                        ; implicit-def: $sgpr24_sgpr25
                                        ; implicit-def: $sgpr28_sgpr29
                                        ; implicit-def: $sgpr38_sgpr39
	s_branch .LBB1264_25
.LBB1264_24:                            ;   in Loop: Header=BB1264_25 Depth=2
	s_or_b64 exec, exec, s[38:39]
	s_and_b64 s[36:37], exec, s[36:37]
	s_or_b64 s[26:27], s[36:37], s[26:27]
	s_andn2_b64 s[24:25], s[24:25], exec
	s_and_b64 s[36:37], s[28:29], exec
	s_or_b64 s[24:25], s[24:25], s[36:37]
	s_mov_b64 s[38:39], s[34:35]
	s_andn2_b64 exec, exec, s[26:27]
	s_cbranch_execz .LBB1264_8
.LBB1264_25:                            ;   Parent Loop BB1264_10 Depth=1
                                        ; =>  This Inner Loop Header: Depth=2
	global_load_ushort v12, v[10:11], off
	global_load_ushort v13, v[8:9], off
	s_mov_b64 s[36:37], -1
	s_mov_b64 s[40:41], 0
	s_mov_b64 s[34:35], -1
	s_waitcnt vmcnt(0)
	v_cmp_nlt_f16_e32 vcc, v12, v13
	s_and_saveexec_b64 s[42:43], vcc
; %bb.26:                               ;   in Loop: Header=BB1264_25 Depth=2
	v_cmp_ngt_f16_e32 vcc, v12, v13
	s_and_b64 s[34:35], vcc, s[38:39]
	s_orn2_b64 s[34:35], s[34:35], exec
	s_and_b64 s[40:41], vcc, exec
; %bb.27:                               ;   in Loop: Header=BB1264_25 Depth=2
	s_or_b64 exec, exec, s[42:43]
	s_andn2_b64 s[28:29], s[28:29], exec
	s_and_b64 s[38:39], s[34:35], exec
	s_or_b64 s[28:29], s[28:29], s[38:39]
	s_and_saveexec_b64 s[38:39], s[40:41]
	s_cbranch_execz .LBB1264_24
; %bb.28:                               ;   in Loop: Header=BB1264_25 Depth=2
	s_add_u32 s30, s30, -1
	s_addc_u32 s31, s31, -1
	s_cmp_eq_u64 s[30:31], 0
	s_cselect_b64 s[36:37], -1, 0
	v_lshl_add_u64 v[10:11], v[10:11], 0, 2
	v_lshl_add_u64 v[8:9], v[8:9], 0, 2
	s_andn2_b64 s[28:29], s[28:29], exec
	s_orn2_b64 s[36:37], s[36:37], exec
	s_branch .LBB1264_24
.LBB1264_29:                            ;   in Loop: Header=BB1264_10 Depth=1
	s_mov_b64 s[24:25], 0
	s_branch .LBB1264_9
.LBB1264_30:
                                        ; implicit-def: $vgpr4
	s_cbranch_execnz .LBB1264_34
	s_branch .LBB1264_60
.LBB1264_31:
	s_or_b64 exec, exec, s[4:5]
.LBB1264_32:
	v_add_u32_e32 v4, v15, v14
	s_or_b64 s[16:17], s[16:17], exec
.LBB1264_33:
	s_or_b64 exec, exec, s[20:21]
	s_branch .LBB1264_60
.LBB1264_34:
	s_cmp_ge_u32 s33, s45
	v_mov_b32_e32 v15, s44
	s_cbranch_scc1 .LBB1264_59
; %bb.35:
	s_waitcnt vmcnt(0)
	v_mul_lo_u32 v0, v3, s12
	v_mul_lo_u32 v1, v2, s13
	v_mad_u64_u32 v[4:5], s[0:1], v2, s12, 0
	v_cndmask_b32_e64 v6, 0, 1, s[6:7]
	v_add3_u32 v5, v5, v1, v0
	v_cmp_ne_u32_e64 s[0:1], 1, v6
	v_cndmask_b32_e64 v6, 0, 1, s[18:19]
	v_mov_b64_e32 v[0:1], s[14:15]
	v_lshl_add_u64 v[4:5], v[4:5], 1, s[14:15]
	s_lshl_b64 s[14:15], s[12:13], 1
	s_mov_b64 s[4:5], 0
	v_mov_b32_e32 v16, s45
	v_mov_b32_e32 v15, s44
	;; [unrolled: 1-line block ×3, first 2 shown]
	v_cmp_ne_u32_e64 s[2:3], 1, v6
	s_branch .LBB1264_38
.LBB1264_36:                            ;   in Loop: Header=BB1264_38 Depth=1
	s_or_b64 exec, exec, s[16:17]
.LBB1264_37:                            ;   in Loop: Header=BB1264_38 Depth=1
	s_waitcnt vmcnt(0)
	v_add_u32_e32 v8, 1, v6
	v_cndmask_b32_e64 v16, v6, v16, s[6:7]
	v_cndmask_b32_e64 v15, v15, v8, s[6:7]
	v_cmp_ge_u32_e32 vcc, v15, v16
	s_or_b64 s[4:5], vcc, s[4:5]
	s_andn2_b64 exec, exec, s[4:5]
	s_cbranch_execz .LBB1264_58
.LBB1264_38:                            ; =>This Loop Header: Depth=1
                                        ;     Child Loop BB1264_42 Depth 2
                                        ;     Child Loop BB1264_53 Depth 2
	v_add_u32_e32 v6, v15, v16
	v_lshrrev_b32_e32 v6, 1, v6
	v_lshl_add_u64 v[8:9], v[6:7], 3, s[8:9]
	global_load_dwordx2 v[8:9], v[8:9], off
	s_and_b64 vcc, exec, s[0:1]
	s_mov_b64 s[16:17], -1
                                        ; implicit-def: $sgpr6_sgpr7
	s_cbranch_vccnz .LBB1264_49
; %bb.39:                               ;   in Loop: Header=BB1264_38 Depth=1
	s_and_b64 vcc, exec, s[2:3]
	s_cbranch_vccnz .LBB1264_47
; %bb.40:                               ;   in Loop: Header=BB1264_38 Depth=1
	s_waitcnt vmcnt(0)
	v_mad_u64_u32 v[10:11], s[6:7], s14, v8, v[0:1]
	v_mul_lo_u32 v12, s14, v9
	v_mul_lo_u32 v13, s15, v8
	v_add3_u32 v11, v13, v11, v12
	s_mov_b64 s[6:7], 0
	s_mov_b64 s[20:21], s[12:13]
	v_mov_b64_e32 v[12:13], v[4:5]
                                        ; implicit-def: $sgpr16_sgpr17
                                        ; implicit-def: $sgpr18_sgpr19
                                        ; implicit-def: $sgpr26_sgpr27
	s_branch .LBB1264_42
.LBB1264_41:                            ;   in Loop: Header=BB1264_42 Depth=2
	s_or_b64 exec, exec, s[26:27]
	s_and_b64 s[24:25], exec, s[24:25]
	s_or_b64 s[6:7], s[24:25], s[6:7]
	s_andn2_b64 s[16:17], s[16:17], exec
	s_and_b64 s[24:25], s[18:19], exec
	s_or_b64 s[16:17], s[16:17], s[24:25]
	s_mov_b64 s[26:27], s[22:23]
	s_andn2_b64 exec, exec, s[6:7]
	s_cbranch_execz .LBB1264_46
.LBB1264_42:                            ;   Parent Loop BB1264_38 Depth=1
                                        ; =>  This Inner Loop Header: Depth=2
	global_load_ushort v17, v[12:13], off
	global_load_ushort v18, v[10:11], off
	s_mov_b64 s[24:25], -1
	s_mov_b64 s[28:29], 0
	s_mov_b64 s[22:23], -1
	s_waitcnt vmcnt(0)
	v_cmp_nlt_f16_e32 vcc, v17, v18
	s_and_saveexec_b64 s[30:31], vcc
; %bb.43:                               ;   in Loop: Header=BB1264_42 Depth=2
	v_cmp_ngt_f16_e32 vcc, v17, v18
	s_and_b64 s[22:23], vcc, s[26:27]
	s_orn2_b64 s[22:23], s[22:23], exec
	s_and_b64 s[28:29], vcc, exec
; %bb.44:                               ;   in Loop: Header=BB1264_42 Depth=2
	s_or_b64 exec, exec, s[30:31]
	s_andn2_b64 s[18:19], s[18:19], exec
	s_and_b64 s[26:27], s[22:23], exec
	s_or_b64 s[18:19], s[18:19], s[26:27]
	s_and_saveexec_b64 s[26:27], s[28:29]
	s_cbranch_execz .LBB1264_41
; %bb.45:                               ;   in Loop: Header=BB1264_42 Depth=2
	s_add_u32 s20, s20, -1
	s_addc_u32 s21, s21, -1
	s_cmp_eq_u64 s[20:21], 0
	s_cselect_b64 s[24:25], -1, 0
	v_lshl_add_u64 v[12:13], v[12:13], 0, 2
	v_lshl_add_u64 v[10:11], v[10:11], 0, 2
	s_andn2_b64 s[18:19], s[18:19], exec
	s_orn2_b64 s[24:25], s[24:25], exec
	s_branch .LBB1264_41
.LBB1264_46:                            ;   in Loop: Header=BB1264_38 Depth=1
	s_or_b64 exec, exec, s[6:7]
	s_xor_b64 s[6:7], s[16:17], -1
	s_branch .LBB1264_48
.LBB1264_47:                            ;   in Loop: Header=BB1264_38 Depth=1
	s_mov_b64 s[6:7], -1
.LBB1264_48:                            ;   in Loop: Header=BB1264_38 Depth=1
	s_mov_b64 s[16:17], 0
.LBB1264_49:                            ;   in Loop: Header=BB1264_38 Depth=1
	s_andn2_b64 vcc, exec, s[16:17]
	s_cbranch_vccnz .LBB1264_37
; %bb.50:                               ;   in Loop: Header=BB1264_38 Depth=1
	s_and_b64 vcc, exec, s[2:3]
	s_cbranch_vccnz .LBB1264_57
; %bb.51:                               ;   in Loop: Header=BB1264_38 Depth=1
	s_waitcnt vmcnt(0)
	v_mad_u64_u32 v[10:11], s[6:7], s14, v8, v[0:1]
	v_mul_lo_u32 v9, s14, v9
	v_mul_lo_u32 v8, s15, v8
	v_add3_u32 v11, v8, v11, v9
	s_mov_b64 s[16:17], 0
	s_mov_b64 s[20:21], s[12:13]
	v_mov_b64_e32 v[8:9], v[4:5]
                                        ; implicit-def: $sgpr6_sgpr7
                                        ; implicit-def: $sgpr18_sgpr19
                                        ; implicit-def: $sgpr26_sgpr27
	s_branch .LBB1264_53
.LBB1264_52:                            ;   in Loop: Header=BB1264_53 Depth=2
	s_or_b64 exec, exec, s[26:27]
	s_and_b64 s[24:25], exec, s[24:25]
	s_or_b64 s[16:17], s[24:25], s[16:17]
	s_andn2_b64 s[6:7], s[6:7], exec
	s_and_b64 s[24:25], s[18:19], exec
	s_or_b64 s[6:7], s[6:7], s[24:25]
	s_mov_b64 s[26:27], s[22:23]
	s_andn2_b64 exec, exec, s[16:17]
	s_cbranch_execz .LBB1264_36
.LBB1264_53:                            ;   Parent Loop BB1264_38 Depth=1
                                        ; =>  This Inner Loop Header: Depth=2
	global_load_ushort v12, v[10:11], off
	global_load_ushort v13, v[8:9], off
	s_mov_b64 s[24:25], -1
	s_mov_b64 s[28:29], 0
	s_mov_b64 s[22:23], -1
	s_waitcnt vmcnt(0)
	v_cmp_nlt_f16_e32 vcc, v12, v13
	s_and_saveexec_b64 s[30:31], vcc
; %bb.54:                               ;   in Loop: Header=BB1264_53 Depth=2
	v_cmp_ngt_f16_e32 vcc, v12, v13
	s_and_b64 s[22:23], vcc, s[26:27]
	s_orn2_b64 s[22:23], s[22:23], exec
	s_and_b64 s[28:29], vcc, exec
; %bb.55:                               ;   in Loop: Header=BB1264_53 Depth=2
	s_or_b64 exec, exec, s[30:31]
	s_andn2_b64 s[18:19], s[18:19], exec
	s_and_b64 s[26:27], s[22:23], exec
	s_or_b64 s[18:19], s[18:19], s[26:27]
	s_and_saveexec_b64 s[26:27], s[28:29]
	s_cbranch_execz .LBB1264_52
; %bb.56:                               ;   in Loop: Header=BB1264_53 Depth=2
	s_add_u32 s20, s20, -1
	s_addc_u32 s21, s21, -1
	s_cmp_eq_u64 s[20:21], 0
	s_cselect_b64 s[24:25], -1, 0
	v_lshl_add_u64 v[10:11], v[10:11], 0, 2
	v_lshl_add_u64 v[8:9], v[8:9], 0, 2
	s_andn2_b64 s[18:19], s[18:19], exec
	s_orn2_b64 s[24:25], s[24:25], exec
	s_branch .LBB1264_52
.LBB1264_57:                            ;   in Loop: Header=BB1264_38 Depth=1
	s_mov_b64 s[6:7], 0
	s_branch .LBB1264_37
.LBB1264_58:
	s_or_b64 exec, exec, s[4:5]
.LBB1264_59:
	v_add_u32_e32 v4, v15, v14
	s_mov_b64 s[16:17], -1
.LBB1264_60:
	s_and_b64 exec, exec, s[16:17]
	s_cbranch_execz .LBB1264_62
; %bb.61:
	v_mov_b32_e32 v0, s10
	v_mov_b32_e32 v1, s11
	;; [unrolled: 1-line block ×3, first 2 shown]
	v_lshl_add_u64 v[0:1], v[4:5], 3, v[0:1]
	s_waitcnt vmcnt(0)
	global_store_dwordx2 v[0:1], v[2:3], off
.LBB1264_62:
	s_endpgm
	.section	.rodata,"a",@progbits
	.p2align	6, 0x0
	.amdhsa_kernel _ZN7rocprim17ROCPRIM_400000_NS6detail17trampoline_kernelINS0_14default_configENS1_38merge_sort_block_merge_config_selectorIlNS0_10empty_typeEEEZZNS1_27merge_sort_block_merge_implIS3_PlPS5_mZN2at6native12_GLOBAL__N_124unique_dim_cuda_templateIN3c104HalfEEESt5tupleIJNSA_6TensorESH_SH_EERKSH_lbbbEUlllE_EE10hipError_tT0_T1_T2_jT3_P12ihipStream_tbPNSt15iterator_traitsISN_E10value_typeEPNST_ISO_E10value_typeEPSP_NS1_7vsmem_tEENKUlT_SN_SO_SP_E_clIS8_S8_S9_S9_EESM_S12_SN_SO_SP_EUlS12_E1_NS1_11comp_targetILNS1_3genE0ELNS1_11target_archE4294967295ELNS1_3gpuE0ELNS1_3repE0EEENS1_36merge_oddeven_config_static_selectorELNS0_4arch9wavefront6targetE1EEEvSO_
		.amdhsa_group_segment_fixed_size 0
		.amdhsa_private_segment_fixed_size 0
		.amdhsa_kernarg_size 64
		.amdhsa_user_sgpr_count 2
		.amdhsa_user_sgpr_dispatch_ptr 0
		.amdhsa_user_sgpr_queue_ptr 0
		.amdhsa_user_sgpr_kernarg_segment_ptr 1
		.amdhsa_user_sgpr_dispatch_id 0
		.amdhsa_user_sgpr_kernarg_preload_length 0
		.amdhsa_user_sgpr_kernarg_preload_offset 0
		.amdhsa_user_sgpr_private_segment_size 0
		.amdhsa_uses_dynamic_stack 0
		.amdhsa_enable_private_segment 0
		.amdhsa_system_sgpr_workgroup_id_x 1
		.amdhsa_system_sgpr_workgroup_id_y 0
		.amdhsa_system_sgpr_workgroup_id_z 0
		.amdhsa_system_sgpr_workgroup_info 0
		.amdhsa_system_vgpr_workitem_id 0
		.amdhsa_next_free_vgpr 19
		.amdhsa_next_free_sgpr 46
		.amdhsa_accum_offset 20
		.amdhsa_reserve_vcc 1
		.amdhsa_float_round_mode_32 0
		.amdhsa_float_round_mode_16_64 0
		.amdhsa_float_denorm_mode_32 3
		.amdhsa_float_denorm_mode_16_64 3
		.amdhsa_dx10_clamp 1
		.amdhsa_ieee_mode 1
		.amdhsa_fp16_overflow 0
		.amdhsa_tg_split 0
		.amdhsa_exception_fp_ieee_invalid_op 0
		.amdhsa_exception_fp_denorm_src 0
		.amdhsa_exception_fp_ieee_div_zero 0
		.amdhsa_exception_fp_ieee_overflow 0
		.amdhsa_exception_fp_ieee_underflow 0
		.amdhsa_exception_fp_ieee_inexact 0
		.amdhsa_exception_int_div_zero 0
	.end_amdhsa_kernel
	.section	.text._ZN7rocprim17ROCPRIM_400000_NS6detail17trampoline_kernelINS0_14default_configENS1_38merge_sort_block_merge_config_selectorIlNS0_10empty_typeEEEZZNS1_27merge_sort_block_merge_implIS3_PlPS5_mZN2at6native12_GLOBAL__N_124unique_dim_cuda_templateIN3c104HalfEEESt5tupleIJNSA_6TensorESH_SH_EERKSH_lbbbEUlllE_EE10hipError_tT0_T1_T2_jT3_P12ihipStream_tbPNSt15iterator_traitsISN_E10value_typeEPNST_ISO_E10value_typeEPSP_NS1_7vsmem_tEENKUlT_SN_SO_SP_E_clIS8_S8_S9_S9_EESM_S12_SN_SO_SP_EUlS12_E1_NS1_11comp_targetILNS1_3genE0ELNS1_11target_archE4294967295ELNS1_3gpuE0ELNS1_3repE0EEENS1_36merge_oddeven_config_static_selectorELNS0_4arch9wavefront6targetE1EEEvSO_,"axG",@progbits,_ZN7rocprim17ROCPRIM_400000_NS6detail17trampoline_kernelINS0_14default_configENS1_38merge_sort_block_merge_config_selectorIlNS0_10empty_typeEEEZZNS1_27merge_sort_block_merge_implIS3_PlPS5_mZN2at6native12_GLOBAL__N_124unique_dim_cuda_templateIN3c104HalfEEESt5tupleIJNSA_6TensorESH_SH_EERKSH_lbbbEUlllE_EE10hipError_tT0_T1_T2_jT3_P12ihipStream_tbPNSt15iterator_traitsISN_E10value_typeEPNST_ISO_E10value_typeEPSP_NS1_7vsmem_tEENKUlT_SN_SO_SP_E_clIS8_S8_S9_S9_EESM_S12_SN_SO_SP_EUlS12_E1_NS1_11comp_targetILNS1_3genE0ELNS1_11target_archE4294967295ELNS1_3gpuE0ELNS1_3repE0EEENS1_36merge_oddeven_config_static_selectorELNS0_4arch9wavefront6targetE1EEEvSO_,comdat
.Lfunc_end1264:
	.size	_ZN7rocprim17ROCPRIM_400000_NS6detail17trampoline_kernelINS0_14default_configENS1_38merge_sort_block_merge_config_selectorIlNS0_10empty_typeEEEZZNS1_27merge_sort_block_merge_implIS3_PlPS5_mZN2at6native12_GLOBAL__N_124unique_dim_cuda_templateIN3c104HalfEEESt5tupleIJNSA_6TensorESH_SH_EERKSH_lbbbEUlllE_EE10hipError_tT0_T1_T2_jT3_P12ihipStream_tbPNSt15iterator_traitsISN_E10value_typeEPNST_ISO_E10value_typeEPSP_NS1_7vsmem_tEENKUlT_SN_SO_SP_E_clIS8_S8_S9_S9_EESM_S12_SN_SO_SP_EUlS12_E1_NS1_11comp_targetILNS1_3genE0ELNS1_11target_archE4294967295ELNS1_3gpuE0ELNS1_3repE0EEENS1_36merge_oddeven_config_static_selectorELNS0_4arch9wavefront6targetE1EEEvSO_, .Lfunc_end1264-_ZN7rocprim17ROCPRIM_400000_NS6detail17trampoline_kernelINS0_14default_configENS1_38merge_sort_block_merge_config_selectorIlNS0_10empty_typeEEEZZNS1_27merge_sort_block_merge_implIS3_PlPS5_mZN2at6native12_GLOBAL__N_124unique_dim_cuda_templateIN3c104HalfEEESt5tupleIJNSA_6TensorESH_SH_EERKSH_lbbbEUlllE_EE10hipError_tT0_T1_T2_jT3_P12ihipStream_tbPNSt15iterator_traitsISN_E10value_typeEPNST_ISO_E10value_typeEPSP_NS1_7vsmem_tEENKUlT_SN_SO_SP_E_clIS8_S8_S9_S9_EESM_S12_SN_SO_SP_EUlS12_E1_NS1_11comp_targetILNS1_3genE0ELNS1_11target_archE4294967295ELNS1_3gpuE0ELNS1_3repE0EEENS1_36merge_oddeven_config_static_selectorELNS0_4arch9wavefront6targetE1EEEvSO_
                                        ; -- End function
	.set _ZN7rocprim17ROCPRIM_400000_NS6detail17trampoline_kernelINS0_14default_configENS1_38merge_sort_block_merge_config_selectorIlNS0_10empty_typeEEEZZNS1_27merge_sort_block_merge_implIS3_PlPS5_mZN2at6native12_GLOBAL__N_124unique_dim_cuda_templateIN3c104HalfEEESt5tupleIJNSA_6TensorESH_SH_EERKSH_lbbbEUlllE_EE10hipError_tT0_T1_T2_jT3_P12ihipStream_tbPNSt15iterator_traitsISN_E10value_typeEPNST_ISO_E10value_typeEPSP_NS1_7vsmem_tEENKUlT_SN_SO_SP_E_clIS8_S8_S9_S9_EESM_S12_SN_SO_SP_EUlS12_E1_NS1_11comp_targetILNS1_3genE0ELNS1_11target_archE4294967295ELNS1_3gpuE0ELNS1_3repE0EEENS1_36merge_oddeven_config_static_selectorELNS0_4arch9wavefront6targetE1EEEvSO_.num_vgpr, 19
	.set _ZN7rocprim17ROCPRIM_400000_NS6detail17trampoline_kernelINS0_14default_configENS1_38merge_sort_block_merge_config_selectorIlNS0_10empty_typeEEEZZNS1_27merge_sort_block_merge_implIS3_PlPS5_mZN2at6native12_GLOBAL__N_124unique_dim_cuda_templateIN3c104HalfEEESt5tupleIJNSA_6TensorESH_SH_EERKSH_lbbbEUlllE_EE10hipError_tT0_T1_T2_jT3_P12ihipStream_tbPNSt15iterator_traitsISN_E10value_typeEPNST_ISO_E10value_typeEPSP_NS1_7vsmem_tEENKUlT_SN_SO_SP_E_clIS8_S8_S9_S9_EESM_S12_SN_SO_SP_EUlS12_E1_NS1_11comp_targetILNS1_3genE0ELNS1_11target_archE4294967295ELNS1_3gpuE0ELNS1_3repE0EEENS1_36merge_oddeven_config_static_selectorELNS0_4arch9wavefront6targetE1EEEvSO_.num_agpr, 0
	.set _ZN7rocprim17ROCPRIM_400000_NS6detail17trampoline_kernelINS0_14default_configENS1_38merge_sort_block_merge_config_selectorIlNS0_10empty_typeEEEZZNS1_27merge_sort_block_merge_implIS3_PlPS5_mZN2at6native12_GLOBAL__N_124unique_dim_cuda_templateIN3c104HalfEEESt5tupleIJNSA_6TensorESH_SH_EERKSH_lbbbEUlllE_EE10hipError_tT0_T1_T2_jT3_P12ihipStream_tbPNSt15iterator_traitsISN_E10value_typeEPNST_ISO_E10value_typeEPSP_NS1_7vsmem_tEENKUlT_SN_SO_SP_E_clIS8_S8_S9_S9_EESM_S12_SN_SO_SP_EUlS12_E1_NS1_11comp_targetILNS1_3genE0ELNS1_11target_archE4294967295ELNS1_3gpuE0ELNS1_3repE0EEENS1_36merge_oddeven_config_static_selectorELNS0_4arch9wavefront6targetE1EEEvSO_.numbered_sgpr, 46
	.set _ZN7rocprim17ROCPRIM_400000_NS6detail17trampoline_kernelINS0_14default_configENS1_38merge_sort_block_merge_config_selectorIlNS0_10empty_typeEEEZZNS1_27merge_sort_block_merge_implIS3_PlPS5_mZN2at6native12_GLOBAL__N_124unique_dim_cuda_templateIN3c104HalfEEESt5tupleIJNSA_6TensorESH_SH_EERKSH_lbbbEUlllE_EE10hipError_tT0_T1_T2_jT3_P12ihipStream_tbPNSt15iterator_traitsISN_E10value_typeEPNST_ISO_E10value_typeEPSP_NS1_7vsmem_tEENKUlT_SN_SO_SP_E_clIS8_S8_S9_S9_EESM_S12_SN_SO_SP_EUlS12_E1_NS1_11comp_targetILNS1_3genE0ELNS1_11target_archE4294967295ELNS1_3gpuE0ELNS1_3repE0EEENS1_36merge_oddeven_config_static_selectorELNS0_4arch9wavefront6targetE1EEEvSO_.num_named_barrier, 0
	.set _ZN7rocprim17ROCPRIM_400000_NS6detail17trampoline_kernelINS0_14default_configENS1_38merge_sort_block_merge_config_selectorIlNS0_10empty_typeEEEZZNS1_27merge_sort_block_merge_implIS3_PlPS5_mZN2at6native12_GLOBAL__N_124unique_dim_cuda_templateIN3c104HalfEEESt5tupleIJNSA_6TensorESH_SH_EERKSH_lbbbEUlllE_EE10hipError_tT0_T1_T2_jT3_P12ihipStream_tbPNSt15iterator_traitsISN_E10value_typeEPNST_ISO_E10value_typeEPSP_NS1_7vsmem_tEENKUlT_SN_SO_SP_E_clIS8_S8_S9_S9_EESM_S12_SN_SO_SP_EUlS12_E1_NS1_11comp_targetILNS1_3genE0ELNS1_11target_archE4294967295ELNS1_3gpuE0ELNS1_3repE0EEENS1_36merge_oddeven_config_static_selectorELNS0_4arch9wavefront6targetE1EEEvSO_.private_seg_size, 0
	.set _ZN7rocprim17ROCPRIM_400000_NS6detail17trampoline_kernelINS0_14default_configENS1_38merge_sort_block_merge_config_selectorIlNS0_10empty_typeEEEZZNS1_27merge_sort_block_merge_implIS3_PlPS5_mZN2at6native12_GLOBAL__N_124unique_dim_cuda_templateIN3c104HalfEEESt5tupleIJNSA_6TensorESH_SH_EERKSH_lbbbEUlllE_EE10hipError_tT0_T1_T2_jT3_P12ihipStream_tbPNSt15iterator_traitsISN_E10value_typeEPNST_ISO_E10value_typeEPSP_NS1_7vsmem_tEENKUlT_SN_SO_SP_E_clIS8_S8_S9_S9_EESM_S12_SN_SO_SP_EUlS12_E1_NS1_11comp_targetILNS1_3genE0ELNS1_11target_archE4294967295ELNS1_3gpuE0ELNS1_3repE0EEENS1_36merge_oddeven_config_static_selectorELNS0_4arch9wavefront6targetE1EEEvSO_.uses_vcc, 1
	.set _ZN7rocprim17ROCPRIM_400000_NS6detail17trampoline_kernelINS0_14default_configENS1_38merge_sort_block_merge_config_selectorIlNS0_10empty_typeEEEZZNS1_27merge_sort_block_merge_implIS3_PlPS5_mZN2at6native12_GLOBAL__N_124unique_dim_cuda_templateIN3c104HalfEEESt5tupleIJNSA_6TensorESH_SH_EERKSH_lbbbEUlllE_EE10hipError_tT0_T1_T2_jT3_P12ihipStream_tbPNSt15iterator_traitsISN_E10value_typeEPNST_ISO_E10value_typeEPSP_NS1_7vsmem_tEENKUlT_SN_SO_SP_E_clIS8_S8_S9_S9_EESM_S12_SN_SO_SP_EUlS12_E1_NS1_11comp_targetILNS1_3genE0ELNS1_11target_archE4294967295ELNS1_3gpuE0ELNS1_3repE0EEENS1_36merge_oddeven_config_static_selectorELNS0_4arch9wavefront6targetE1EEEvSO_.uses_flat_scratch, 0
	.set _ZN7rocprim17ROCPRIM_400000_NS6detail17trampoline_kernelINS0_14default_configENS1_38merge_sort_block_merge_config_selectorIlNS0_10empty_typeEEEZZNS1_27merge_sort_block_merge_implIS3_PlPS5_mZN2at6native12_GLOBAL__N_124unique_dim_cuda_templateIN3c104HalfEEESt5tupleIJNSA_6TensorESH_SH_EERKSH_lbbbEUlllE_EE10hipError_tT0_T1_T2_jT3_P12ihipStream_tbPNSt15iterator_traitsISN_E10value_typeEPNST_ISO_E10value_typeEPSP_NS1_7vsmem_tEENKUlT_SN_SO_SP_E_clIS8_S8_S9_S9_EESM_S12_SN_SO_SP_EUlS12_E1_NS1_11comp_targetILNS1_3genE0ELNS1_11target_archE4294967295ELNS1_3gpuE0ELNS1_3repE0EEENS1_36merge_oddeven_config_static_selectorELNS0_4arch9wavefront6targetE1EEEvSO_.has_dyn_sized_stack, 0
	.set _ZN7rocprim17ROCPRIM_400000_NS6detail17trampoline_kernelINS0_14default_configENS1_38merge_sort_block_merge_config_selectorIlNS0_10empty_typeEEEZZNS1_27merge_sort_block_merge_implIS3_PlPS5_mZN2at6native12_GLOBAL__N_124unique_dim_cuda_templateIN3c104HalfEEESt5tupleIJNSA_6TensorESH_SH_EERKSH_lbbbEUlllE_EE10hipError_tT0_T1_T2_jT3_P12ihipStream_tbPNSt15iterator_traitsISN_E10value_typeEPNST_ISO_E10value_typeEPSP_NS1_7vsmem_tEENKUlT_SN_SO_SP_E_clIS8_S8_S9_S9_EESM_S12_SN_SO_SP_EUlS12_E1_NS1_11comp_targetILNS1_3genE0ELNS1_11target_archE4294967295ELNS1_3gpuE0ELNS1_3repE0EEENS1_36merge_oddeven_config_static_selectorELNS0_4arch9wavefront6targetE1EEEvSO_.has_recursion, 0
	.set _ZN7rocprim17ROCPRIM_400000_NS6detail17trampoline_kernelINS0_14default_configENS1_38merge_sort_block_merge_config_selectorIlNS0_10empty_typeEEEZZNS1_27merge_sort_block_merge_implIS3_PlPS5_mZN2at6native12_GLOBAL__N_124unique_dim_cuda_templateIN3c104HalfEEESt5tupleIJNSA_6TensorESH_SH_EERKSH_lbbbEUlllE_EE10hipError_tT0_T1_T2_jT3_P12ihipStream_tbPNSt15iterator_traitsISN_E10value_typeEPNST_ISO_E10value_typeEPSP_NS1_7vsmem_tEENKUlT_SN_SO_SP_E_clIS8_S8_S9_S9_EESM_S12_SN_SO_SP_EUlS12_E1_NS1_11comp_targetILNS1_3genE0ELNS1_11target_archE4294967295ELNS1_3gpuE0ELNS1_3repE0EEENS1_36merge_oddeven_config_static_selectorELNS0_4arch9wavefront6targetE1EEEvSO_.has_indirect_call, 0
	.section	.AMDGPU.csdata,"",@progbits
; Kernel info:
; codeLenInByte = 1684
; TotalNumSgprs: 52
; NumVgprs: 19
; NumAgprs: 0
; TotalNumVgprs: 19
; ScratchSize: 0
; MemoryBound: 0
; FloatMode: 240
; IeeeMode: 1
; LDSByteSize: 0 bytes/workgroup (compile time only)
; SGPRBlocks: 6
; VGPRBlocks: 2
; NumSGPRsForWavesPerEU: 52
; NumVGPRsForWavesPerEU: 19
; AccumOffset: 20
; Occupancy: 8
; WaveLimiterHint : 0
; COMPUTE_PGM_RSRC2:SCRATCH_EN: 0
; COMPUTE_PGM_RSRC2:USER_SGPR: 2
; COMPUTE_PGM_RSRC2:TRAP_HANDLER: 0
; COMPUTE_PGM_RSRC2:TGID_X_EN: 1
; COMPUTE_PGM_RSRC2:TGID_Y_EN: 0
; COMPUTE_PGM_RSRC2:TGID_Z_EN: 0
; COMPUTE_PGM_RSRC2:TIDIG_COMP_CNT: 0
; COMPUTE_PGM_RSRC3_GFX90A:ACCUM_OFFSET: 4
; COMPUTE_PGM_RSRC3_GFX90A:TG_SPLIT: 0
	.section	.text._ZN7rocprim17ROCPRIM_400000_NS6detail17trampoline_kernelINS0_14default_configENS1_38merge_sort_block_merge_config_selectorIlNS0_10empty_typeEEEZZNS1_27merge_sort_block_merge_implIS3_PlPS5_mZN2at6native12_GLOBAL__N_124unique_dim_cuda_templateIN3c104HalfEEESt5tupleIJNSA_6TensorESH_SH_EERKSH_lbbbEUlllE_EE10hipError_tT0_T1_T2_jT3_P12ihipStream_tbPNSt15iterator_traitsISN_E10value_typeEPNST_ISO_E10value_typeEPSP_NS1_7vsmem_tEENKUlT_SN_SO_SP_E_clIS8_S8_S9_S9_EESM_S12_SN_SO_SP_EUlS12_E1_NS1_11comp_targetILNS1_3genE10ELNS1_11target_archE1201ELNS1_3gpuE5ELNS1_3repE0EEENS1_36merge_oddeven_config_static_selectorELNS0_4arch9wavefront6targetE1EEEvSO_,"axG",@progbits,_ZN7rocprim17ROCPRIM_400000_NS6detail17trampoline_kernelINS0_14default_configENS1_38merge_sort_block_merge_config_selectorIlNS0_10empty_typeEEEZZNS1_27merge_sort_block_merge_implIS3_PlPS5_mZN2at6native12_GLOBAL__N_124unique_dim_cuda_templateIN3c104HalfEEESt5tupleIJNSA_6TensorESH_SH_EERKSH_lbbbEUlllE_EE10hipError_tT0_T1_T2_jT3_P12ihipStream_tbPNSt15iterator_traitsISN_E10value_typeEPNST_ISO_E10value_typeEPSP_NS1_7vsmem_tEENKUlT_SN_SO_SP_E_clIS8_S8_S9_S9_EESM_S12_SN_SO_SP_EUlS12_E1_NS1_11comp_targetILNS1_3genE10ELNS1_11target_archE1201ELNS1_3gpuE5ELNS1_3repE0EEENS1_36merge_oddeven_config_static_selectorELNS0_4arch9wavefront6targetE1EEEvSO_,comdat
	.globl	_ZN7rocprim17ROCPRIM_400000_NS6detail17trampoline_kernelINS0_14default_configENS1_38merge_sort_block_merge_config_selectorIlNS0_10empty_typeEEEZZNS1_27merge_sort_block_merge_implIS3_PlPS5_mZN2at6native12_GLOBAL__N_124unique_dim_cuda_templateIN3c104HalfEEESt5tupleIJNSA_6TensorESH_SH_EERKSH_lbbbEUlllE_EE10hipError_tT0_T1_T2_jT3_P12ihipStream_tbPNSt15iterator_traitsISN_E10value_typeEPNST_ISO_E10value_typeEPSP_NS1_7vsmem_tEENKUlT_SN_SO_SP_E_clIS8_S8_S9_S9_EESM_S12_SN_SO_SP_EUlS12_E1_NS1_11comp_targetILNS1_3genE10ELNS1_11target_archE1201ELNS1_3gpuE5ELNS1_3repE0EEENS1_36merge_oddeven_config_static_selectorELNS0_4arch9wavefront6targetE1EEEvSO_ ; -- Begin function _ZN7rocprim17ROCPRIM_400000_NS6detail17trampoline_kernelINS0_14default_configENS1_38merge_sort_block_merge_config_selectorIlNS0_10empty_typeEEEZZNS1_27merge_sort_block_merge_implIS3_PlPS5_mZN2at6native12_GLOBAL__N_124unique_dim_cuda_templateIN3c104HalfEEESt5tupleIJNSA_6TensorESH_SH_EERKSH_lbbbEUlllE_EE10hipError_tT0_T1_T2_jT3_P12ihipStream_tbPNSt15iterator_traitsISN_E10value_typeEPNST_ISO_E10value_typeEPSP_NS1_7vsmem_tEENKUlT_SN_SO_SP_E_clIS8_S8_S9_S9_EESM_S12_SN_SO_SP_EUlS12_E1_NS1_11comp_targetILNS1_3genE10ELNS1_11target_archE1201ELNS1_3gpuE5ELNS1_3repE0EEENS1_36merge_oddeven_config_static_selectorELNS0_4arch9wavefront6targetE1EEEvSO_
	.p2align	8
	.type	_ZN7rocprim17ROCPRIM_400000_NS6detail17trampoline_kernelINS0_14default_configENS1_38merge_sort_block_merge_config_selectorIlNS0_10empty_typeEEEZZNS1_27merge_sort_block_merge_implIS3_PlPS5_mZN2at6native12_GLOBAL__N_124unique_dim_cuda_templateIN3c104HalfEEESt5tupleIJNSA_6TensorESH_SH_EERKSH_lbbbEUlllE_EE10hipError_tT0_T1_T2_jT3_P12ihipStream_tbPNSt15iterator_traitsISN_E10value_typeEPNST_ISO_E10value_typeEPSP_NS1_7vsmem_tEENKUlT_SN_SO_SP_E_clIS8_S8_S9_S9_EESM_S12_SN_SO_SP_EUlS12_E1_NS1_11comp_targetILNS1_3genE10ELNS1_11target_archE1201ELNS1_3gpuE5ELNS1_3repE0EEENS1_36merge_oddeven_config_static_selectorELNS0_4arch9wavefront6targetE1EEEvSO_,@function
_ZN7rocprim17ROCPRIM_400000_NS6detail17trampoline_kernelINS0_14default_configENS1_38merge_sort_block_merge_config_selectorIlNS0_10empty_typeEEEZZNS1_27merge_sort_block_merge_implIS3_PlPS5_mZN2at6native12_GLOBAL__N_124unique_dim_cuda_templateIN3c104HalfEEESt5tupleIJNSA_6TensorESH_SH_EERKSH_lbbbEUlllE_EE10hipError_tT0_T1_T2_jT3_P12ihipStream_tbPNSt15iterator_traitsISN_E10value_typeEPNST_ISO_E10value_typeEPSP_NS1_7vsmem_tEENKUlT_SN_SO_SP_E_clIS8_S8_S9_S9_EESM_S12_SN_SO_SP_EUlS12_E1_NS1_11comp_targetILNS1_3genE10ELNS1_11target_archE1201ELNS1_3gpuE5ELNS1_3repE0EEENS1_36merge_oddeven_config_static_selectorELNS0_4arch9wavefront6targetE1EEEvSO_: ; @_ZN7rocprim17ROCPRIM_400000_NS6detail17trampoline_kernelINS0_14default_configENS1_38merge_sort_block_merge_config_selectorIlNS0_10empty_typeEEEZZNS1_27merge_sort_block_merge_implIS3_PlPS5_mZN2at6native12_GLOBAL__N_124unique_dim_cuda_templateIN3c104HalfEEESt5tupleIJNSA_6TensorESH_SH_EERKSH_lbbbEUlllE_EE10hipError_tT0_T1_T2_jT3_P12ihipStream_tbPNSt15iterator_traitsISN_E10value_typeEPNST_ISO_E10value_typeEPSP_NS1_7vsmem_tEENKUlT_SN_SO_SP_E_clIS8_S8_S9_S9_EESM_S12_SN_SO_SP_EUlS12_E1_NS1_11comp_targetILNS1_3genE10ELNS1_11target_archE1201ELNS1_3gpuE5ELNS1_3repE0EEENS1_36merge_oddeven_config_static_selectorELNS0_4arch9wavefront6targetE1EEEvSO_
; %bb.0:
	.section	.rodata,"a",@progbits
	.p2align	6, 0x0
	.amdhsa_kernel _ZN7rocprim17ROCPRIM_400000_NS6detail17trampoline_kernelINS0_14default_configENS1_38merge_sort_block_merge_config_selectorIlNS0_10empty_typeEEEZZNS1_27merge_sort_block_merge_implIS3_PlPS5_mZN2at6native12_GLOBAL__N_124unique_dim_cuda_templateIN3c104HalfEEESt5tupleIJNSA_6TensorESH_SH_EERKSH_lbbbEUlllE_EE10hipError_tT0_T1_T2_jT3_P12ihipStream_tbPNSt15iterator_traitsISN_E10value_typeEPNST_ISO_E10value_typeEPSP_NS1_7vsmem_tEENKUlT_SN_SO_SP_E_clIS8_S8_S9_S9_EESM_S12_SN_SO_SP_EUlS12_E1_NS1_11comp_targetILNS1_3genE10ELNS1_11target_archE1201ELNS1_3gpuE5ELNS1_3repE0EEENS1_36merge_oddeven_config_static_selectorELNS0_4arch9wavefront6targetE1EEEvSO_
		.amdhsa_group_segment_fixed_size 0
		.amdhsa_private_segment_fixed_size 0
		.amdhsa_kernarg_size 64
		.amdhsa_user_sgpr_count 2
		.amdhsa_user_sgpr_dispatch_ptr 0
		.amdhsa_user_sgpr_queue_ptr 0
		.amdhsa_user_sgpr_kernarg_segment_ptr 1
		.amdhsa_user_sgpr_dispatch_id 0
		.amdhsa_user_sgpr_kernarg_preload_length 0
		.amdhsa_user_sgpr_kernarg_preload_offset 0
		.amdhsa_user_sgpr_private_segment_size 0
		.amdhsa_uses_dynamic_stack 0
		.amdhsa_enable_private_segment 0
		.amdhsa_system_sgpr_workgroup_id_x 1
		.amdhsa_system_sgpr_workgroup_id_y 0
		.amdhsa_system_sgpr_workgroup_id_z 0
		.amdhsa_system_sgpr_workgroup_info 0
		.amdhsa_system_vgpr_workitem_id 0
		.amdhsa_next_free_vgpr 1
		.amdhsa_next_free_sgpr 0
		.amdhsa_accum_offset 4
		.amdhsa_reserve_vcc 0
		.amdhsa_float_round_mode_32 0
		.amdhsa_float_round_mode_16_64 0
		.amdhsa_float_denorm_mode_32 3
		.amdhsa_float_denorm_mode_16_64 3
		.amdhsa_dx10_clamp 1
		.amdhsa_ieee_mode 1
		.amdhsa_fp16_overflow 0
		.amdhsa_tg_split 0
		.amdhsa_exception_fp_ieee_invalid_op 0
		.amdhsa_exception_fp_denorm_src 0
		.amdhsa_exception_fp_ieee_div_zero 0
		.amdhsa_exception_fp_ieee_overflow 0
		.amdhsa_exception_fp_ieee_underflow 0
		.amdhsa_exception_fp_ieee_inexact 0
		.amdhsa_exception_int_div_zero 0
	.end_amdhsa_kernel
	.section	.text._ZN7rocprim17ROCPRIM_400000_NS6detail17trampoline_kernelINS0_14default_configENS1_38merge_sort_block_merge_config_selectorIlNS0_10empty_typeEEEZZNS1_27merge_sort_block_merge_implIS3_PlPS5_mZN2at6native12_GLOBAL__N_124unique_dim_cuda_templateIN3c104HalfEEESt5tupleIJNSA_6TensorESH_SH_EERKSH_lbbbEUlllE_EE10hipError_tT0_T1_T2_jT3_P12ihipStream_tbPNSt15iterator_traitsISN_E10value_typeEPNST_ISO_E10value_typeEPSP_NS1_7vsmem_tEENKUlT_SN_SO_SP_E_clIS8_S8_S9_S9_EESM_S12_SN_SO_SP_EUlS12_E1_NS1_11comp_targetILNS1_3genE10ELNS1_11target_archE1201ELNS1_3gpuE5ELNS1_3repE0EEENS1_36merge_oddeven_config_static_selectorELNS0_4arch9wavefront6targetE1EEEvSO_,"axG",@progbits,_ZN7rocprim17ROCPRIM_400000_NS6detail17trampoline_kernelINS0_14default_configENS1_38merge_sort_block_merge_config_selectorIlNS0_10empty_typeEEEZZNS1_27merge_sort_block_merge_implIS3_PlPS5_mZN2at6native12_GLOBAL__N_124unique_dim_cuda_templateIN3c104HalfEEESt5tupleIJNSA_6TensorESH_SH_EERKSH_lbbbEUlllE_EE10hipError_tT0_T1_T2_jT3_P12ihipStream_tbPNSt15iterator_traitsISN_E10value_typeEPNST_ISO_E10value_typeEPSP_NS1_7vsmem_tEENKUlT_SN_SO_SP_E_clIS8_S8_S9_S9_EESM_S12_SN_SO_SP_EUlS12_E1_NS1_11comp_targetILNS1_3genE10ELNS1_11target_archE1201ELNS1_3gpuE5ELNS1_3repE0EEENS1_36merge_oddeven_config_static_selectorELNS0_4arch9wavefront6targetE1EEEvSO_,comdat
.Lfunc_end1265:
	.size	_ZN7rocprim17ROCPRIM_400000_NS6detail17trampoline_kernelINS0_14default_configENS1_38merge_sort_block_merge_config_selectorIlNS0_10empty_typeEEEZZNS1_27merge_sort_block_merge_implIS3_PlPS5_mZN2at6native12_GLOBAL__N_124unique_dim_cuda_templateIN3c104HalfEEESt5tupleIJNSA_6TensorESH_SH_EERKSH_lbbbEUlllE_EE10hipError_tT0_T1_T2_jT3_P12ihipStream_tbPNSt15iterator_traitsISN_E10value_typeEPNST_ISO_E10value_typeEPSP_NS1_7vsmem_tEENKUlT_SN_SO_SP_E_clIS8_S8_S9_S9_EESM_S12_SN_SO_SP_EUlS12_E1_NS1_11comp_targetILNS1_3genE10ELNS1_11target_archE1201ELNS1_3gpuE5ELNS1_3repE0EEENS1_36merge_oddeven_config_static_selectorELNS0_4arch9wavefront6targetE1EEEvSO_, .Lfunc_end1265-_ZN7rocprim17ROCPRIM_400000_NS6detail17trampoline_kernelINS0_14default_configENS1_38merge_sort_block_merge_config_selectorIlNS0_10empty_typeEEEZZNS1_27merge_sort_block_merge_implIS3_PlPS5_mZN2at6native12_GLOBAL__N_124unique_dim_cuda_templateIN3c104HalfEEESt5tupleIJNSA_6TensorESH_SH_EERKSH_lbbbEUlllE_EE10hipError_tT0_T1_T2_jT3_P12ihipStream_tbPNSt15iterator_traitsISN_E10value_typeEPNST_ISO_E10value_typeEPSP_NS1_7vsmem_tEENKUlT_SN_SO_SP_E_clIS8_S8_S9_S9_EESM_S12_SN_SO_SP_EUlS12_E1_NS1_11comp_targetILNS1_3genE10ELNS1_11target_archE1201ELNS1_3gpuE5ELNS1_3repE0EEENS1_36merge_oddeven_config_static_selectorELNS0_4arch9wavefront6targetE1EEEvSO_
                                        ; -- End function
	.set _ZN7rocprim17ROCPRIM_400000_NS6detail17trampoline_kernelINS0_14default_configENS1_38merge_sort_block_merge_config_selectorIlNS0_10empty_typeEEEZZNS1_27merge_sort_block_merge_implIS3_PlPS5_mZN2at6native12_GLOBAL__N_124unique_dim_cuda_templateIN3c104HalfEEESt5tupleIJNSA_6TensorESH_SH_EERKSH_lbbbEUlllE_EE10hipError_tT0_T1_T2_jT3_P12ihipStream_tbPNSt15iterator_traitsISN_E10value_typeEPNST_ISO_E10value_typeEPSP_NS1_7vsmem_tEENKUlT_SN_SO_SP_E_clIS8_S8_S9_S9_EESM_S12_SN_SO_SP_EUlS12_E1_NS1_11comp_targetILNS1_3genE10ELNS1_11target_archE1201ELNS1_3gpuE5ELNS1_3repE0EEENS1_36merge_oddeven_config_static_selectorELNS0_4arch9wavefront6targetE1EEEvSO_.num_vgpr, 0
	.set _ZN7rocprim17ROCPRIM_400000_NS6detail17trampoline_kernelINS0_14default_configENS1_38merge_sort_block_merge_config_selectorIlNS0_10empty_typeEEEZZNS1_27merge_sort_block_merge_implIS3_PlPS5_mZN2at6native12_GLOBAL__N_124unique_dim_cuda_templateIN3c104HalfEEESt5tupleIJNSA_6TensorESH_SH_EERKSH_lbbbEUlllE_EE10hipError_tT0_T1_T2_jT3_P12ihipStream_tbPNSt15iterator_traitsISN_E10value_typeEPNST_ISO_E10value_typeEPSP_NS1_7vsmem_tEENKUlT_SN_SO_SP_E_clIS8_S8_S9_S9_EESM_S12_SN_SO_SP_EUlS12_E1_NS1_11comp_targetILNS1_3genE10ELNS1_11target_archE1201ELNS1_3gpuE5ELNS1_3repE0EEENS1_36merge_oddeven_config_static_selectorELNS0_4arch9wavefront6targetE1EEEvSO_.num_agpr, 0
	.set _ZN7rocprim17ROCPRIM_400000_NS6detail17trampoline_kernelINS0_14default_configENS1_38merge_sort_block_merge_config_selectorIlNS0_10empty_typeEEEZZNS1_27merge_sort_block_merge_implIS3_PlPS5_mZN2at6native12_GLOBAL__N_124unique_dim_cuda_templateIN3c104HalfEEESt5tupleIJNSA_6TensorESH_SH_EERKSH_lbbbEUlllE_EE10hipError_tT0_T1_T2_jT3_P12ihipStream_tbPNSt15iterator_traitsISN_E10value_typeEPNST_ISO_E10value_typeEPSP_NS1_7vsmem_tEENKUlT_SN_SO_SP_E_clIS8_S8_S9_S9_EESM_S12_SN_SO_SP_EUlS12_E1_NS1_11comp_targetILNS1_3genE10ELNS1_11target_archE1201ELNS1_3gpuE5ELNS1_3repE0EEENS1_36merge_oddeven_config_static_selectorELNS0_4arch9wavefront6targetE1EEEvSO_.numbered_sgpr, 0
	.set _ZN7rocprim17ROCPRIM_400000_NS6detail17trampoline_kernelINS0_14default_configENS1_38merge_sort_block_merge_config_selectorIlNS0_10empty_typeEEEZZNS1_27merge_sort_block_merge_implIS3_PlPS5_mZN2at6native12_GLOBAL__N_124unique_dim_cuda_templateIN3c104HalfEEESt5tupleIJNSA_6TensorESH_SH_EERKSH_lbbbEUlllE_EE10hipError_tT0_T1_T2_jT3_P12ihipStream_tbPNSt15iterator_traitsISN_E10value_typeEPNST_ISO_E10value_typeEPSP_NS1_7vsmem_tEENKUlT_SN_SO_SP_E_clIS8_S8_S9_S9_EESM_S12_SN_SO_SP_EUlS12_E1_NS1_11comp_targetILNS1_3genE10ELNS1_11target_archE1201ELNS1_3gpuE5ELNS1_3repE0EEENS1_36merge_oddeven_config_static_selectorELNS0_4arch9wavefront6targetE1EEEvSO_.num_named_barrier, 0
	.set _ZN7rocprim17ROCPRIM_400000_NS6detail17trampoline_kernelINS0_14default_configENS1_38merge_sort_block_merge_config_selectorIlNS0_10empty_typeEEEZZNS1_27merge_sort_block_merge_implIS3_PlPS5_mZN2at6native12_GLOBAL__N_124unique_dim_cuda_templateIN3c104HalfEEESt5tupleIJNSA_6TensorESH_SH_EERKSH_lbbbEUlllE_EE10hipError_tT0_T1_T2_jT3_P12ihipStream_tbPNSt15iterator_traitsISN_E10value_typeEPNST_ISO_E10value_typeEPSP_NS1_7vsmem_tEENKUlT_SN_SO_SP_E_clIS8_S8_S9_S9_EESM_S12_SN_SO_SP_EUlS12_E1_NS1_11comp_targetILNS1_3genE10ELNS1_11target_archE1201ELNS1_3gpuE5ELNS1_3repE0EEENS1_36merge_oddeven_config_static_selectorELNS0_4arch9wavefront6targetE1EEEvSO_.private_seg_size, 0
	.set _ZN7rocprim17ROCPRIM_400000_NS6detail17trampoline_kernelINS0_14default_configENS1_38merge_sort_block_merge_config_selectorIlNS0_10empty_typeEEEZZNS1_27merge_sort_block_merge_implIS3_PlPS5_mZN2at6native12_GLOBAL__N_124unique_dim_cuda_templateIN3c104HalfEEESt5tupleIJNSA_6TensorESH_SH_EERKSH_lbbbEUlllE_EE10hipError_tT0_T1_T2_jT3_P12ihipStream_tbPNSt15iterator_traitsISN_E10value_typeEPNST_ISO_E10value_typeEPSP_NS1_7vsmem_tEENKUlT_SN_SO_SP_E_clIS8_S8_S9_S9_EESM_S12_SN_SO_SP_EUlS12_E1_NS1_11comp_targetILNS1_3genE10ELNS1_11target_archE1201ELNS1_3gpuE5ELNS1_3repE0EEENS1_36merge_oddeven_config_static_selectorELNS0_4arch9wavefront6targetE1EEEvSO_.uses_vcc, 0
	.set _ZN7rocprim17ROCPRIM_400000_NS6detail17trampoline_kernelINS0_14default_configENS1_38merge_sort_block_merge_config_selectorIlNS0_10empty_typeEEEZZNS1_27merge_sort_block_merge_implIS3_PlPS5_mZN2at6native12_GLOBAL__N_124unique_dim_cuda_templateIN3c104HalfEEESt5tupleIJNSA_6TensorESH_SH_EERKSH_lbbbEUlllE_EE10hipError_tT0_T1_T2_jT3_P12ihipStream_tbPNSt15iterator_traitsISN_E10value_typeEPNST_ISO_E10value_typeEPSP_NS1_7vsmem_tEENKUlT_SN_SO_SP_E_clIS8_S8_S9_S9_EESM_S12_SN_SO_SP_EUlS12_E1_NS1_11comp_targetILNS1_3genE10ELNS1_11target_archE1201ELNS1_3gpuE5ELNS1_3repE0EEENS1_36merge_oddeven_config_static_selectorELNS0_4arch9wavefront6targetE1EEEvSO_.uses_flat_scratch, 0
	.set _ZN7rocprim17ROCPRIM_400000_NS6detail17trampoline_kernelINS0_14default_configENS1_38merge_sort_block_merge_config_selectorIlNS0_10empty_typeEEEZZNS1_27merge_sort_block_merge_implIS3_PlPS5_mZN2at6native12_GLOBAL__N_124unique_dim_cuda_templateIN3c104HalfEEESt5tupleIJNSA_6TensorESH_SH_EERKSH_lbbbEUlllE_EE10hipError_tT0_T1_T2_jT3_P12ihipStream_tbPNSt15iterator_traitsISN_E10value_typeEPNST_ISO_E10value_typeEPSP_NS1_7vsmem_tEENKUlT_SN_SO_SP_E_clIS8_S8_S9_S9_EESM_S12_SN_SO_SP_EUlS12_E1_NS1_11comp_targetILNS1_3genE10ELNS1_11target_archE1201ELNS1_3gpuE5ELNS1_3repE0EEENS1_36merge_oddeven_config_static_selectorELNS0_4arch9wavefront6targetE1EEEvSO_.has_dyn_sized_stack, 0
	.set _ZN7rocprim17ROCPRIM_400000_NS6detail17trampoline_kernelINS0_14default_configENS1_38merge_sort_block_merge_config_selectorIlNS0_10empty_typeEEEZZNS1_27merge_sort_block_merge_implIS3_PlPS5_mZN2at6native12_GLOBAL__N_124unique_dim_cuda_templateIN3c104HalfEEESt5tupleIJNSA_6TensorESH_SH_EERKSH_lbbbEUlllE_EE10hipError_tT0_T1_T2_jT3_P12ihipStream_tbPNSt15iterator_traitsISN_E10value_typeEPNST_ISO_E10value_typeEPSP_NS1_7vsmem_tEENKUlT_SN_SO_SP_E_clIS8_S8_S9_S9_EESM_S12_SN_SO_SP_EUlS12_E1_NS1_11comp_targetILNS1_3genE10ELNS1_11target_archE1201ELNS1_3gpuE5ELNS1_3repE0EEENS1_36merge_oddeven_config_static_selectorELNS0_4arch9wavefront6targetE1EEEvSO_.has_recursion, 0
	.set _ZN7rocprim17ROCPRIM_400000_NS6detail17trampoline_kernelINS0_14default_configENS1_38merge_sort_block_merge_config_selectorIlNS0_10empty_typeEEEZZNS1_27merge_sort_block_merge_implIS3_PlPS5_mZN2at6native12_GLOBAL__N_124unique_dim_cuda_templateIN3c104HalfEEESt5tupleIJNSA_6TensorESH_SH_EERKSH_lbbbEUlllE_EE10hipError_tT0_T1_T2_jT3_P12ihipStream_tbPNSt15iterator_traitsISN_E10value_typeEPNST_ISO_E10value_typeEPSP_NS1_7vsmem_tEENKUlT_SN_SO_SP_E_clIS8_S8_S9_S9_EESM_S12_SN_SO_SP_EUlS12_E1_NS1_11comp_targetILNS1_3genE10ELNS1_11target_archE1201ELNS1_3gpuE5ELNS1_3repE0EEENS1_36merge_oddeven_config_static_selectorELNS0_4arch9wavefront6targetE1EEEvSO_.has_indirect_call, 0
	.section	.AMDGPU.csdata,"",@progbits
; Kernel info:
; codeLenInByte = 0
; TotalNumSgprs: 6
; NumVgprs: 0
; NumAgprs: 0
; TotalNumVgprs: 0
; ScratchSize: 0
; MemoryBound: 0
; FloatMode: 240
; IeeeMode: 1
; LDSByteSize: 0 bytes/workgroup (compile time only)
; SGPRBlocks: 0
; VGPRBlocks: 0
; NumSGPRsForWavesPerEU: 6
; NumVGPRsForWavesPerEU: 1
; AccumOffset: 4
; Occupancy: 8
; WaveLimiterHint : 0
; COMPUTE_PGM_RSRC2:SCRATCH_EN: 0
; COMPUTE_PGM_RSRC2:USER_SGPR: 2
; COMPUTE_PGM_RSRC2:TRAP_HANDLER: 0
; COMPUTE_PGM_RSRC2:TGID_X_EN: 1
; COMPUTE_PGM_RSRC2:TGID_Y_EN: 0
; COMPUTE_PGM_RSRC2:TGID_Z_EN: 0
; COMPUTE_PGM_RSRC2:TIDIG_COMP_CNT: 0
; COMPUTE_PGM_RSRC3_GFX90A:ACCUM_OFFSET: 0
; COMPUTE_PGM_RSRC3_GFX90A:TG_SPLIT: 0
	.section	.text._ZN7rocprim17ROCPRIM_400000_NS6detail17trampoline_kernelINS0_14default_configENS1_38merge_sort_block_merge_config_selectorIlNS0_10empty_typeEEEZZNS1_27merge_sort_block_merge_implIS3_PlPS5_mZN2at6native12_GLOBAL__N_124unique_dim_cuda_templateIN3c104HalfEEESt5tupleIJNSA_6TensorESH_SH_EERKSH_lbbbEUlllE_EE10hipError_tT0_T1_T2_jT3_P12ihipStream_tbPNSt15iterator_traitsISN_E10value_typeEPNST_ISO_E10value_typeEPSP_NS1_7vsmem_tEENKUlT_SN_SO_SP_E_clIS8_S8_S9_S9_EESM_S12_SN_SO_SP_EUlS12_E1_NS1_11comp_targetILNS1_3genE5ELNS1_11target_archE942ELNS1_3gpuE9ELNS1_3repE0EEENS1_36merge_oddeven_config_static_selectorELNS0_4arch9wavefront6targetE1EEEvSO_,"axG",@progbits,_ZN7rocprim17ROCPRIM_400000_NS6detail17trampoline_kernelINS0_14default_configENS1_38merge_sort_block_merge_config_selectorIlNS0_10empty_typeEEEZZNS1_27merge_sort_block_merge_implIS3_PlPS5_mZN2at6native12_GLOBAL__N_124unique_dim_cuda_templateIN3c104HalfEEESt5tupleIJNSA_6TensorESH_SH_EERKSH_lbbbEUlllE_EE10hipError_tT0_T1_T2_jT3_P12ihipStream_tbPNSt15iterator_traitsISN_E10value_typeEPNST_ISO_E10value_typeEPSP_NS1_7vsmem_tEENKUlT_SN_SO_SP_E_clIS8_S8_S9_S9_EESM_S12_SN_SO_SP_EUlS12_E1_NS1_11comp_targetILNS1_3genE5ELNS1_11target_archE942ELNS1_3gpuE9ELNS1_3repE0EEENS1_36merge_oddeven_config_static_selectorELNS0_4arch9wavefront6targetE1EEEvSO_,comdat
	.globl	_ZN7rocprim17ROCPRIM_400000_NS6detail17trampoline_kernelINS0_14default_configENS1_38merge_sort_block_merge_config_selectorIlNS0_10empty_typeEEEZZNS1_27merge_sort_block_merge_implIS3_PlPS5_mZN2at6native12_GLOBAL__N_124unique_dim_cuda_templateIN3c104HalfEEESt5tupleIJNSA_6TensorESH_SH_EERKSH_lbbbEUlllE_EE10hipError_tT0_T1_T2_jT3_P12ihipStream_tbPNSt15iterator_traitsISN_E10value_typeEPNST_ISO_E10value_typeEPSP_NS1_7vsmem_tEENKUlT_SN_SO_SP_E_clIS8_S8_S9_S9_EESM_S12_SN_SO_SP_EUlS12_E1_NS1_11comp_targetILNS1_3genE5ELNS1_11target_archE942ELNS1_3gpuE9ELNS1_3repE0EEENS1_36merge_oddeven_config_static_selectorELNS0_4arch9wavefront6targetE1EEEvSO_ ; -- Begin function _ZN7rocprim17ROCPRIM_400000_NS6detail17trampoline_kernelINS0_14default_configENS1_38merge_sort_block_merge_config_selectorIlNS0_10empty_typeEEEZZNS1_27merge_sort_block_merge_implIS3_PlPS5_mZN2at6native12_GLOBAL__N_124unique_dim_cuda_templateIN3c104HalfEEESt5tupleIJNSA_6TensorESH_SH_EERKSH_lbbbEUlllE_EE10hipError_tT0_T1_T2_jT3_P12ihipStream_tbPNSt15iterator_traitsISN_E10value_typeEPNST_ISO_E10value_typeEPSP_NS1_7vsmem_tEENKUlT_SN_SO_SP_E_clIS8_S8_S9_S9_EESM_S12_SN_SO_SP_EUlS12_E1_NS1_11comp_targetILNS1_3genE5ELNS1_11target_archE942ELNS1_3gpuE9ELNS1_3repE0EEENS1_36merge_oddeven_config_static_selectorELNS0_4arch9wavefront6targetE1EEEvSO_
	.p2align	8
	.type	_ZN7rocprim17ROCPRIM_400000_NS6detail17trampoline_kernelINS0_14default_configENS1_38merge_sort_block_merge_config_selectorIlNS0_10empty_typeEEEZZNS1_27merge_sort_block_merge_implIS3_PlPS5_mZN2at6native12_GLOBAL__N_124unique_dim_cuda_templateIN3c104HalfEEESt5tupleIJNSA_6TensorESH_SH_EERKSH_lbbbEUlllE_EE10hipError_tT0_T1_T2_jT3_P12ihipStream_tbPNSt15iterator_traitsISN_E10value_typeEPNST_ISO_E10value_typeEPSP_NS1_7vsmem_tEENKUlT_SN_SO_SP_E_clIS8_S8_S9_S9_EESM_S12_SN_SO_SP_EUlS12_E1_NS1_11comp_targetILNS1_3genE5ELNS1_11target_archE942ELNS1_3gpuE9ELNS1_3repE0EEENS1_36merge_oddeven_config_static_selectorELNS0_4arch9wavefront6targetE1EEEvSO_,@function
_ZN7rocprim17ROCPRIM_400000_NS6detail17trampoline_kernelINS0_14default_configENS1_38merge_sort_block_merge_config_selectorIlNS0_10empty_typeEEEZZNS1_27merge_sort_block_merge_implIS3_PlPS5_mZN2at6native12_GLOBAL__N_124unique_dim_cuda_templateIN3c104HalfEEESt5tupleIJNSA_6TensorESH_SH_EERKSH_lbbbEUlllE_EE10hipError_tT0_T1_T2_jT3_P12ihipStream_tbPNSt15iterator_traitsISN_E10value_typeEPNST_ISO_E10value_typeEPSP_NS1_7vsmem_tEENKUlT_SN_SO_SP_E_clIS8_S8_S9_S9_EESM_S12_SN_SO_SP_EUlS12_E1_NS1_11comp_targetILNS1_3genE5ELNS1_11target_archE942ELNS1_3gpuE9ELNS1_3repE0EEENS1_36merge_oddeven_config_static_selectorELNS0_4arch9wavefront6targetE1EEEvSO_: ; @_ZN7rocprim17ROCPRIM_400000_NS6detail17trampoline_kernelINS0_14default_configENS1_38merge_sort_block_merge_config_selectorIlNS0_10empty_typeEEEZZNS1_27merge_sort_block_merge_implIS3_PlPS5_mZN2at6native12_GLOBAL__N_124unique_dim_cuda_templateIN3c104HalfEEESt5tupleIJNSA_6TensorESH_SH_EERKSH_lbbbEUlllE_EE10hipError_tT0_T1_T2_jT3_P12ihipStream_tbPNSt15iterator_traitsISN_E10value_typeEPNST_ISO_E10value_typeEPSP_NS1_7vsmem_tEENKUlT_SN_SO_SP_E_clIS8_S8_S9_S9_EESM_S12_SN_SO_SP_EUlS12_E1_NS1_11comp_targetILNS1_3genE5ELNS1_11target_archE942ELNS1_3gpuE9ELNS1_3repE0EEENS1_36merge_oddeven_config_static_selectorELNS0_4arch9wavefront6targetE1EEEvSO_
; %bb.0:
	.section	.rodata,"a",@progbits
	.p2align	6, 0x0
	.amdhsa_kernel _ZN7rocprim17ROCPRIM_400000_NS6detail17trampoline_kernelINS0_14default_configENS1_38merge_sort_block_merge_config_selectorIlNS0_10empty_typeEEEZZNS1_27merge_sort_block_merge_implIS3_PlPS5_mZN2at6native12_GLOBAL__N_124unique_dim_cuda_templateIN3c104HalfEEESt5tupleIJNSA_6TensorESH_SH_EERKSH_lbbbEUlllE_EE10hipError_tT0_T1_T2_jT3_P12ihipStream_tbPNSt15iterator_traitsISN_E10value_typeEPNST_ISO_E10value_typeEPSP_NS1_7vsmem_tEENKUlT_SN_SO_SP_E_clIS8_S8_S9_S9_EESM_S12_SN_SO_SP_EUlS12_E1_NS1_11comp_targetILNS1_3genE5ELNS1_11target_archE942ELNS1_3gpuE9ELNS1_3repE0EEENS1_36merge_oddeven_config_static_selectorELNS0_4arch9wavefront6targetE1EEEvSO_
		.amdhsa_group_segment_fixed_size 0
		.amdhsa_private_segment_fixed_size 0
		.amdhsa_kernarg_size 64
		.amdhsa_user_sgpr_count 2
		.amdhsa_user_sgpr_dispatch_ptr 0
		.amdhsa_user_sgpr_queue_ptr 0
		.amdhsa_user_sgpr_kernarg_segment_ptr 1
		.amdhsa_user_sgpr_dispatch_id 0
		.amdhsa_user_sgpr_kernarg_preload_length 0
		.amdhsa_user_sgpr_kernarg_preload_offset 0
		.amdhsa_user_sgpr_private_segment_size 0
		.amdhsa_uses_dynamic_stack 0
		.amdhsa_enable_private_segment 0
		.amdhsa_system_sgpr_workgroup_id_x 1
		.amdhsa_system_sgpr_workgroup_id_y 0
		.amdhsa_system_sgpr_workgroup_id_z 0
		.amdhsa_system_sgpr_workgroup_info 0
		.amdhsa_system_vgpr_workitem_id 0
		.amdhsa_next_free_vgpr 1
		.amdhsa_next_free_sgpr 0
		.amdhsa_accum_offset 4
		.amdhsa_reserve_vcc 0
		.amdhsa_float_round_mode_32 0
		.amdhsa_float_round_mode_16_64 0
		.amdhsa_float_denorm_mode_32 3
		.amdhsa_float_denorm_mode_16_64 3
		.amdhsa_dx10_clamp 1
		.amdhsa_ieee_mode 1
		.amdhsa_fp16_overflow 0
		.amdhsa_tg_split 0
		.amdhsa_exception_fp_ieee_invalid_op 0
		.amdhsa_exception_fp_denorm_src 0
		.amdhsa_exception_fp_ieee_div_zero 0
		.amdhsa_exception_fp_ieee_overflow 0
		.amdhsa_exception_fp_ieee_underflow 0
		.amdhsa_exception_fp_ieee_inexact 0
		.amdhsa_exception_int_div_zero 0
	.end_amdhsa_kernel
	.section	.text._ZN7rocprim17ROCPRIM_400000_NS6detail17trampoline_kernelINS0_14default_configENS1_38merge_sort_block_merge_config_selectorIlNS0_10empty_typeEEEZZNS1_27merge_sort_block_merge_implIS3_PlPS5_mZN2at6native12_GLOBAL__N_124unique_dim_cuda_templateIN3c104HalfEEESt5tupleIJNSA_6TensorESH_SH_EERKSH_lbbbEUlllE_EE10hipError_tT0_T1_T2_jT3_P12ihipStream_tbPNSt15iterator_traitsISN_E10value_typeEPNST_ISO_E10value_typeEPSP_NS1_7vsmem_tEENKUlT_SN_SO_SP_E_clIS8_S8_S9_S9_EESM_S12_SN_SO_SP_EUlS12_E1_NS1_11comp_targetILNS1_3genE5ELNS1_11target_archE942ELNS1_3gpuE9ELNS1_3repE0EEENS1_36merge_oddeven_config_static_selectorELNS0_4arch9wavefront6targetE1EEEvSO_,"axG",@progbits,_ZN7rocprim17ROCPRIM_400000_NS6detail17trampoline_kernelINS0_14default_configENS1_38merge_sort_block_merge_config_selectorIlNS0_10empty_typeEEEZZNS1_27merge_sort_block_merge_implIS3_PlPS5_mZN2at6native12_GLOBAL__N_124unique_dim_cuda_templateIN3c104HalfEEESt5tupleIJNSA_6TensorESH_SH_EERKSH_lbbbEUlllE_EE10hipError_tT0_T1_T2_jT3_P12ihipStream_tbPNSt15iterator_traitsISN_E10value_typeEPNST_ISO_E10value_typeEPSP_NS1_7vsmem_tEENKUlT_SN_SO_SP_E_clIS8_S8_S9_S9_EESM_S12_SN_SO_SP_EUlS12_E1_NS1_11comp_targetILNS1_3genE5ELNS1_11target_archE942ELNS1_3gpuE9ELNS1_3repE0EEENS1_36merge_oddeven_config_static_selectorELNS0_4arch9wavefront6targetE1EEEvSO_,comdat
.Lfunc_end1266:
	.size	_ZN7rocprim17ROCPRIM_400000_NS6detail17trampoline_kernelINS0_14default_configENS1_38merge_sort_block_merge_config_selectorIlNS0_10empty_typeEEEZZNS1_27merge_sort_block_merge_implIS3_PlPS5_mZN2at6native12_GLOBAL__N_124unique_dim_cuda_templateIN3c104HalfEEESt5tupleIJNSA_6TensorESH_SH_EERKSH_lbbbEUlllE_EE10hipError_tT0_T1_T2_jT3_P12ihipStream_tbPNSt15iterator_traitsISN_E10value_typeEPNST_ISO_E10value_typeEPSP_NS1_7vsmem_tEENKUlT_SN_SO_SP_E_clIS8_S8_S9_S9_EESM_S12_SN_SO_SP_EUlS12_E1_NS1_11comp_targetILNS1_3genE5ELNS1_11target_archE942ELNS1_3gpuE9ELNS1_3repE0EEENS1_36merge_oddeven_config_static_selectorELNS0_4arch9wavefront6targetE1EEEvSO_, .Lfunc_end1266-_ZN7rocprim17ROCPRIM_400000_NS6detail17trampoline_kernelINS0_14default_configENS1_38merge_sort_block_merge_config_selectorIlNS0_10empty_typeEEEZZNS1_27merge_sort_block_merge_implIS3_PlPS5_mZN2at6native12_GLOBAL__N_124unique_dim_cuda_templateIN3c104HalfEEESt5tupleIJNSA_6TensorESH_SH_EERKSH_lbbbEUlllE_EE10hipError_tT0_T1_T2_jT3_P12ihipStream_tbPNSt15iterator_traitsISN_E10value_typeEPNST_ISO_E10value_typeEPSP_NS1_7vsmem_tEENKUlT_SN_SO_SP_E_clIS8_S8_S9_S9_EESM_S12_SN_SO_SP_EUlS12_E1_NS1_11comp_targetILNS1_3genE5ELNS1_11target_archE942ELNS1_3gpuE9ELNS1_3repE0EEENS1_36merge_oddeven_config_static_selectorELNS0_4arch9wavefront6targetE1EEEvSO_
                                        ; -- End function
	.set _ZN7rocprim17ROCPRIM_400000_NS6detail17trampoline_kernelINS0_14default_configENS1_38merge_sort_block_merge_config_selectorIlNS0_10empty_typeEEEZZNS1_27merge_sort_block_merge_implIS3_PlPS5_mZN2at6native12_GLOBAL__N_124unique_dim_cuda_templateIN3c104HalfEEESt5tupleIJNSA_6TensorESH_SH_EERKSH_lbbbEUlllE_EE10hipError_tT0_T1_T2_jT3_P12ihipStream_tbPNSt15iterator_traitsISN_E10value_typeEPNST_ISO_E10value_typeEPSP_NS1_7vsmem_tEENKUlT_SN_SO_SP_E_clIS8_S8_S9_S9_EESM_S12_SN_SO_SP_EUlS12_E1_NS1_11comp_targetILNS1_3genE5ELNS1_11target_archE942ELNS1_3gpuE9ELNS1_3repE0EEENS1_36merge_oddeven_config_static_selectorELNS0_4arch9wavefront6targetE1EEEvSO_.num_vgpr, 0
	.set _ZN7rocprim17ROCPRIM_400000_NS6detail17trampoline_kernelINS0_14default_configENS1_38merge_sort_block_merge_config_selectorIlNS0_10empty_typeEEEZZNS1_27merge_sort_block_merge_implIS3_PlPS5_mZN2at6native12_GLOBAL__N_124unique_dim_cuda_templateIN3c104HalfEEESt5tupleIJNSA_6TensorESH_SH_EERKSH_lbbbEUlllE_EE10hipError_tT0_T1_T2_jT3_P12ihipStream_tbPNSt15iterator_traitsISN_E10value_typeEPNST_ISO_E10value_typeEPSP_NS1_7vsmem_tEENKUlT_SN_SO_SP_E_clIS8_S8_S9_S9_EESM_S12_SN_SO_SP_EUlS12_E1_NS1_11comp_targetILNS1_3genE5ELNS1_11target_archE942ELNS1_3gpuE9ELNS1_3repE0EEENS1_36merge_oddeven_config_static_selectorELNS0_4arch9wavefront6targetE1EEEvSO_.num_agpr, 0
	.set _ZN7rocprim17ROCPRIM_400000_NS6detail17trampoline_kernelINS0_14default_configENS1_38merge_sort_block_merge_config_selectorIlNS0_10empty_typeEEEZZNS1_27merge_sort_block_merge_implIS3_PlPS5_mZN2at6native12_GLOBAL__N_124unique_dim_cuda_templateIN3c104HalfEEESt5tupleIJNSA_6TensorESH_SH_EERKSH_lbbbEUlllE_EE10hipError_tT0_T1_T2_jT3_P12ihipStream_tbPNSt15iterator_traitsISN_E10value_typeEPNST_ISO_E10value_typeEPSP_NS1_7vsmem_tEENKUlT_SN_SO_SP_E_clIS8_S8_S9_S9_EESM_S12_SN_SO_SP_EUlS12_E1_NS1_11comp_targetILNS1_3genE5ELNS1_11target_archE942ELNS1_3gpuE9ELNS1_3repE0EEENS1_36merge_oddeven_config_static_selectorELNS0_4arch9wavefront6targetE1EEEvSO_.numbered_sgpr, 0
	.set _ZN7rocprim17ROCPRIM_400000_NS6detail17trampoline_kernelINS0_14default_configENS1_38merge_sort_block_merge_config_selectorIlNS0_10empty_typeEEEZZNS1_27merge_sort_block_merge_implIS3_PlPS5_mZN2at6native12_GLOBAL__N_124unique_dim_cuda_templateIN3c104HalfEEESt5tupleIJNSA_6TensorESH_SH_EERKSH_lbbbEUlllE_EE10hipError_tT0_T1_T2_jT3_P12ihipStream_tbPNSt15iterator_traitsISN_E10value_typeEPNST_ISO_E10value_typeEPSP_NS1_7vsmem_tEENKUlT_SN_SO_SP_E_clIS8_S8_S9_S9_EESM_S12_SN_SO_SP_EUlS12_E1_NS1_11comp_targetILNS1_3genE5ELNS1_11target_archE942ELNS1_3gpuE9ELNS1_3repE0EEENS1_36merge_oddeven_config_static_selectorELNS0_4arch9wavefront6targetE1EEEvSO_.num_named_barrier, 0
	.set _ZN7rocprim17ROCPRIM_400000_NS6detail17trampoline_kernelINS0_14default_configENS1_38merge_sort_block_merge_config_selectorIlNS0_10empty_typeEEEZZNS1_27merge_sort_block_merge_implIS3_PlPS5_mZN2at6native12_GLOBAL__N_124unique_dim_cuda_templateIN3c104HalfEEESt5tupleIJNSA_6TensorESH_SH_EERKSH_lbbbEUlllE_EE10hipError_tT0_T1_T2_jT3_P12ihipStream_tbPNSt15iterator_traitsISN_E10value_typeEPNST_ISO_E10value_typeEPSP_NS1_7vsmem_tEENKUlT_SN_SO_SP_E_clIS8_S8_S9_S9_EESM_S12_SN_SO_SP_EUlS12_E1_NS1_11comp_targetILNS1_3genE5ELNS1_11target_archE942ELNS1_3gpuE9ELNS1_3repE0EEENS1_36merge_oddeven_config_static_selectorELNS0_4arch9wavefront6targetE1EEEvSO_.private_seg_size, 0
	.set _ZN7rocprim17ROCPRIM_400000_NS6detail17trampoline_kernelINS0_14default_configENS1_38merge_sort_block_merge_config_selectorIlNS0_10empty_typeEEEZZNS1_27merge_sort_block_merge_implIS3_PlPS5_mZN2at6native12_GLOBAL__N_124unique_dim_cuda_templateIN3c104HalfEEESt5tupleIJNSA_6TensorESH_SH_EERKSH_lbbbEUlllE_EE10hipError_tT0_T1_T2_jT3_P12ihipStream_tbPNSt15iterator_traitsISN_E10value_typeEPNST_ISO_E10value_typeEPSP_NS1_7vsmem_tEENKUlT_SN_SO_SP_E_clIS8_S8_S9_S9_EESM_S12_SN_SO_SP_EUlS12_E1_NS1_11comp_targetILNS1_3genE5ELNS1_11target_archE942ELNS1_3gpuE9ELNS1_3repE0EEENS1_36merge_oddeven_config_static_selectorELNS0_4arch9wavefront6targetE1EEEvSO_.uses_vcc, 0
	.set _ZN7rocprim17ROCPRIM_400000_NS6detail17trampoline_kernelINS0_14default_configENS1_38merge_sort_block_merge_config_selectorIlNS0_10empty_typeEEEZZNS1_27merge_sort_block_merge_implIS3_PlPS5_mZN2at6native12_GLOBAL__N_124unique_dim_cuda_templateIN3c104HalfEEESt5tupleIJNSA_6TensorESH_SH_EERKSH_lbbbEUlllE_EE10hipError_tT0_T1_T2_jT3_P12ihipStream_tbPNSt15iterator_traitsISN_E10value_typeEPNST_ISO_E10value_typeEPSP_NS1_7vsmem_tEENKUlT_SN_SO_SP_E_clIS8_S8_S9_S9_EESM_S12_SN_SO_SP_EUlS12_E1_NS1_11comp_targetILNS1_3genE5ELNS1_11target_archE942ELNS1_3gpuE9ELNS1_3repE0EEENS1_36merge_oddeven_config_static_selectorELNS0_4arch9wavefront6targetE1EEEvSO_.uses_flat_scratch, 0
	.set _ZN7rocprim17ROCPRIM_400000_NS6detail17trampoline_kernelINS0_14default_configENS1_38merge_sort_block_merge_config_selectorIlNS0_10empty_typeEEEZZNS1_27merge_sort_block_merge_implIS3_PlPS5_mZN2at6native12_GLOBAL__N_124unique_dim_cuda_templateIN3c104HalfEEESt5tupleIJNSA_6TensorESH_SH_EERKSH_lbbbEUlllE_EE10hipError_tT0_T1_T2_jT3_P12ihipStream_tbPNSt15iterator_traitsISN_E10value_typeEPNST_ISO_E10value_typeEPSP_NS1_7vsmem_tEENKUlT_SN_SO_SP_E_clIS8_S8_S9_S9_EESM_S12_SN_SO_SP_EUlS12_E1_NS1_11comp_targetILNS1_3genE5ELNS1_11target_archE942ELNS1_3gpuE9ELNS1_3repE0EEENS1_36merge_oddeven_config_static_selectorELNS0_4arch9wavefront6targetE1EEEvSO_.has_dyn_sized_stack, 0
	.set _ZN7rocprim17ROCPRIM_400000_NS6detail17trampoline_kernelINS0_14default_configENS1_38merge_sort_block_merge_config_selectorIlNS0_10empty_typeEEEZZNS1_27merge_sort_block_merge_implIS3_PlPS5_mZN2at6native12_GLOBAL__N_124unique_dim_cuda_templateIN3c104HalfEEESt5tupleIJNSA_6TensorESH_SH_EERKSH_lbbbEUlllE_EE10hipError_tT0_T1_T2_jT3_P12ihipStream_tbPNSt15iterator_traitsISN_E10value_typeEPNST_ISO_E10value_typeEPSP_NS1_7vsmem_tEENKUlT_SN_SO_SP_E_clIS8_S8_S9_S9_EESM_S12_SN_SO_SP_EUlS12_E1_NS1_11comp_targetILNS1_3genE5ELNS1_11target_archE942ELNS1_3gpuE9ELNS1_3repE0EEENS1_36merge_oddeven_config_static_selectorELNS0_4arch9wavefront6targetE1EEEvSO_.has_recursion, 0
	.set _ZN7rocprim17ROCPRIM_400000_NS6detail17trampoline_kernelINS0_14default_configENS1_38merge_sort_block_merge_config_selectorIlNS0_10empty_typeEEEZZNS1_27merge_sort_block_merge_implIS3_PlPS5_mZN2at6native12_GLOBAL__N_124unique_dim_cuda_templateIN3c104HalfEEESt5tupleIJNSA_6TensorESH_SH_EERKSH_lbbbEUlllE_EE10hipError_tT0_T1_T2_jT3_P12ihipStream_tbPNSt15iterator_traitsISN_E10value_typeEPNST_ISO_E10value_typeEPSP_NS1_7vsmem_tEENKUlT_SN_SO_SP_E_clIS8_S8_S9_S9_EESM_S12_SN_SO_SP_EUlS12_E1_NS1_11comp_targetILNS1_3genE5ELNS1_11target_archE942ELNS1_3gpuE9ELNS1_3repE0EEENS1_36merge_oddeven_config_static_selectorELNS0_4arch9wavefront6targetE1EEEvSO_.has_indirect_call, 0
	.section	.AMDGPU.csdata,"",@progbits
; Kernel info:
; codeLenInByte = 0
; TotalNumSgprs: 6
; NumVgprs: 0
; NumAgprs: 0
; TotalNumVgprs: 0
; ScratchSize: 0
; MemoryBound: 0
; FloatMode: 240
; IeeeMode: 1
; LDSByteSize: 0 bytes/workgroup (compile time only)
; SGPRBlocks: 0
; VGPRBlocks: 0
; NumSGPRsForWavesPerEU: 6
; NumVGPRsForWavesPerEU: 1
; AccumOffset: 4
; Occupancy: 8
; WaveLimiterHint : 0
; COMPUTE_PGM_RSRC2:SCRATCH_EN: 0
; COMPUTE_PGM_RSRC2:USER_SGPR: 2
; COMPUTE_PGM_RSRC2:TRAP_HANDLER: 0
; COMPUTE_PGM_RSRC2:TGID_X_EN: 1
; COMPUTE_PGM_RSRC2:TGID_Y_EN: 0
; COMPUTE_PGM_RSRC2:TGID_Z_EN: 0
; COMPUTE_PGM_RSRC2:TIDIG_COMP_CNT: 0
; COMPUTE_PGM_RSRC3_GFX90A:ACCUM_OFFSET: 0
; COMPUTE_PGM_RSRC3_GFX90A:TG_SPLIT: 0
	.section	.text._ZN7rocprim17ROCPRIM_400000_NS6detail17trampoline_kernelINS0_14default_configENS1_38merge_sort_block_merge_config_selectorIlNS0_10empty_typeEEEZZNS1_27merge_sort_block_merge_implIS3_PlPS5_mZN2at6native12_GLOBAL__N_124unique_dim_cuda_templateIN3c104HalfEEESt5tupleIJNSA_6TensorESH_SH_EERKSH_lbbbEUlllE_EE10hipError_tT0_T1_T2_jT3_P12ihipStream_tbPNSt15iterator_traitsISN_E10value_typeEPNST_ISO_E10value_typeEPSP_NS1_7vsmem_tEENKUlT_SN_SO_SP_E_clIS8_S8_S9_S9_EESM_S12_SN_SO_SP_EUlS12_E1_NS1_11comp_targetILNS1_3genE4ELNS1_11target_archE910ELNS1_3gpuE8ELNS1_3repE0EEENS1_36merge_oddeven_config_static_selectorELNS0_4arch9wavefront6targetE1EEEvSO_,"axG",@progbits,_ZN7rocprim17ROCPRIM_400000_NS6detail17trampoline_kernelINS0_14default_configENS1_38merge_sort_block_merge_config_selectorIlNS0_10empty_typeEEEZZNS1_27merge_sort_block_merge_implIS3_PlPS5_mZN2at6native12_GLOBAL__N_124unique_dim_cuda_templateIN3c104HalfEEESt5tupleIJNSA_6TensorESH_SH_EERKSH_lbbbEUlllE_EE10hipError_tT0_T1_T2_jT3_P12ihipStream_tbPNSt15iterator_traitsISN_E10value_typeEPNST_ISO_E10value_typeEPSP_NS1_7vsmem_tEENKUlT_SN_SO_SP_E_clIS8_S8_S9_S9_EESM_S12_SN_SO_SP_EUlS12_E1_NS1_11comp_targetILNS1_3genE4ELNS1_11target_archE910ELNS1_3gpuE8ELNS1_3repE0EEENS1_36merge_oddeven_config_static_selectorELNS0_4arch9wavefront6targetE1EEEvSO_,comdat
	.globl	_ZN7rocprim17ROCPRIM_400000_NS6detail17trampoline_kernelINS0_14default_configENS1_38merge_sort_block_merge_config_selectorIlNS0_10empty_typeEEEZZNS1_27merge_sort_block_merge_implIS3_PlPS5_mZN2at6native12_GLOBAL__N_124unique_dim_cuda_templateIN3c104HalfEEESt5tupleIJNSA_6TensorESH_SH_EERKSH_lbbbEUlllE_EE10hipError_tT0_T1_T2_jT3_P12ihipStream_tbPNSt15iterator_traitsISN_E10value_typeEPNST_ISO_E10value_typeEPSP_NS1_7vsmem_tEENKUlT_SN_SO_SP_E_clIS8_S8_S9_S9_EESM_S12_SN_SO_SP_EUlS12_E1_NS1_11comp_targetILNS1_3genE4ELNS1_11target_archE910ELNS1_3gpuE8ELNS1_3repE0EEENS1_36merge_oddeven_config_static_selectorELNS0_4arch9wavefront6targetE1EEEvSO_ ; -- Begin function _ZN7rocprim17ROCPRIM_400000_NS6detail17trampoline_kernelINS0_14default_configENS1_38merge_sort_block_merge_config_selectorIlNS0_10empty_typeEEEZZNS1_27merge_sort_block_merge_implIS3_PlPS5_mZN2at6native12_GLOBAL__N_124unique_dim_cuda_templateIN3c104HalfEEESt5tupleIJNSA_6TensorESH_SH_EERKSH_lbbbEUlllE_EE10hipError_tT0_T1_T2_jT3_P12ihipStream_tbPNSt15iterator_traitsISN_E10value_typeEPNST_ISO_E10value_typeEPSP_NS1_7vsmem_tEENKUlT_SN_SO_SP_E_clIS8_S8_S9_S9_EESM_S12_SN_SO_SP_EUlS12_E1_NS1_11comp_targetILNS1_3genE4ELNS1_11target_archE910ELNS1_3gpuE8ELNS1_3repE0EEENS1_36merge_oddeven_config_static_selectorELNS0_4arch9wavefront6targetE1EEEvSO_
	.p2align	8
	.type	_ZN7rocprim17ROCPRIM_400000_NS6detail17trampoline_kernelINS0_14default_configENS1_38merge_sort_block_merge_config_selectorIlNS0_10empty_typeEEEZZNS1_27merge_sort_block_merge_implIS3_PlPS5_mZN2at6native12_GLOBAL__N_124unique_dim_cuda_templateIN3c104HalfEEESt5tupleIJNSA_6TensorESH_SH_EERKSH_lbbbEUlllE_EE10hipError_tT0_T1_T2_jT3_P12ihipStream_tbPNSt15iterator_traitsISN_E10value_typeEPNST_ISO_E10value_typeEPSP_NS1_7vsmem_tEENKUlT_SN_SO_SP_E_clIS8_S8_S9_S9_EESM_S12_SN_SO_SP_EUlS12_E1_NS1_11comp_targetILNS1_3genE4ELNS1_11target_archE910ELNS1_3gpuE8ELNS1_3repE0EEENS1_36merge_oddeven_config_static_selectorELNS0_4arch9wavefront6targetE1EEEvSO_,@function
_ZN7rocprim17ROCPRIM_400000_NS6detail17trampoline_kernelINS0_14default_configENS1_38merge_sort_block_merge_config_selectorIlNS0_10empty_typeEEEZZNS1_27merge_sort_block_merge_implIS3_PlPS5_mZN2at6native12_GLOBAL__N_124unique_dim_cuda_templateIN3c104HalfEEESt5tupleIJNSA_6TensorESH_SH_EERKSH_lbbbEUlllE_EE10hipError_tT0_T1_T2_jT3_P12ihipStream_tbPNSt15iterator_traitsISN_E10value_typeEPNST_ISO_E10value_typeEPSP_NS1_7vsmem_tEENKUlT_SN_SO_SP_E_clIS8_S8_S9_S9_EESM_S12_SN_SO_SP_EUlS12_E1_NS1_11comp_targetILNS1_3genE4ELNS1_11target_archE910ELNS1_3gpuE8ELNS1_3repE0EEENS1_36merge_oddeven_config_static_selectorELNS0_4arch9wavefront6targetE1EEEvSO_: ; @_ZN7rocprim17ROCPRIM_400000_NS6detail17trampoline_kernelINS0_14default_configENS1_38merge_sort_block_merge_config_selectorIlNS0_10empty_typeEEEZZNS1_27merge_sort_block_merge_implIS3_PlPS5_mZN2at6native12_GLOBAL__N_124unique_dim_cuda_templateIN3c104HalfEEESt5tupleIJNSA_6TensorESH_SH_EERKSH_lbbbEUlllE_EE10hipError_tT0_T1_T2_jT3_P12ihipStream_tbPNSt15iterator_traitsISN_E10value_typeEPNST_ISO_E10value_typeEPSP_NS1_7vsmem_tEENKUlT_SN_SO_SP_E_clIS8_S8_S9_S9_EESM_S12_SN_SO_SP_EUlS12_E1_NS1_11comp_targetILNS1_3genE4ELNS1_11target_archE910ELNS1_3gpuE8ELNS1_3repE0EEENS1_36merge_oddeven_config_static_selectorELNS0_4arch9wavefront6targetE1EEEvSO_
; %bb.0:
	.section	.rodata,"a",@progbits
	.p2align	6, 0x0
	.amdhsa_kernel _ZN7rocprim17ROCPRIM_400000_NS6detail17trampoline_kernelINS0_14default_configENS1_38merge_sort_block_merge_config_selectorIlNS0_10empty_typeEEEZZNS1_27merge_sort_block_merge_implIS3_PlPS5_mZN2at6native12_GLOBAL__N_124unique_dim_cuda_templateIN3c104HalfEEESt5tupleIJNSA_6TensorESH_SH_EERKSH_lbbbEUlllE_EE10hipError_tT0_T1_T2_jT3_P12ihipStream_tbPNSt15iterator_traitsISN_E10value_typeEPNST_ISO_E10value_typeEPSP_NS1_7vsmem_tEENKUlT_SN_SO_SP_E_clIS8_S8_S9_S9_EESM_S12_SN_SO_SP_EUlS12_E1_NS1_11comp_targetILNS1_3genE4ELNS1_11target_archE910ELNS1_3gpuE8ELNS1_3repE0EEENS1_36merge_oddeven_config_static_selectorELNS0_4arch9wavefront6targetE1EEEvSO_
		.amdhsa_group_segment_fixed_size 0
		.amdhsa_private_segment_fixed_size 0
		.amdhsa_kernarg_size 64
		.amdhsa_user_sgpr_count 2
		.amdhsa_user_sgpr_dispatch_ptr 0
		.amdhsa_user_sgpr_queue_ptr 0
		.amdhsa_user_sgpr_kernarg_segment_ptr 1
		.amdhsa_user_sgpr_dispatch_id 0
		.amdhsa_user_sgpr_kernarg_preload_length 0
		.amdhsa_user_sgpr_kernarg_preload_offset 0
		.amdhsa_user_sgpr_private_segment_size 0
		.amdhsa_uses_dynamic_stack 0
		.amdhsa_enable_private_segment 0
		.amdhsa_system_sgpr_workgroup_id_x 1
		.amdhsa_system_sgpr_workgroup_id_y 0
		.amdhsa_system_sgpr_workgroup_id_z 0
		.amdhsa_system_sgpr_workgroup_info 0
		.amdhsa_system_vgpr_workitem_id 0
		.amdhsa_next_free_vgpr 1
		.amdhsa_next_free_sgpr 0
		.amdhsa_accum_offset 4
		.amdhsa_reserve_vcc 0
		.amdhsa_float_round_mode_32 0
		.amdhsa_float_round_mode_16_64 0
		.amdhsa_float_denorm_mode_32 3
		.amdhsa_float_denorm_mode_16_64 3
		.amdhsa_dx10_clamp 1
		.amdhsa_ieee_mode 1
		.amdhsa_fp16_overflow 0
		.amdhsa_tg_split 0
		.amdhsa_exception_fp_ieee_invalid_op 0
		.amdhsa_exception_fp_denorm_src 0
		.amdhsa_exception_fp_ieee_div_zero 0
		.amdhsa_exception_fp_ieee_overflow 0
		.amdhsa_exception_fp_ieee_underflow 0
		.amdhsa_exception_fp_ieee_inexact 0
		.amdhsa_exception_int_div_zero 0
	.end_amdhsa_kernel
	.section	.text._ZN7rocprim17ROCPRIM_400000_NS6detail17trampoline_kernelINS0_14default_configENS1_38merge_sort_block_merge_config_selectorIlNS0_10empty_typeEEEZZNS1_27merge_sort_block_merge_implIS3_PlPS5_mZN2at6native12_GLOBAL__N_124unique_dim_cuda_templateIN3c104HalfEEESt5tupleIJNSA_6TensorESH_SH_EERKSH_lbbbEUlllE_EE10hipError_tT0_T1_T2_jT3_P12ihipStream_tbPNSt15iterator_traitsISN_E10value_typeEPNST_ISO_E10value_typeEPSP_NS1_7vsmem_tEENKUlT_SN_SO_SP_E_clIS8_S8_S9_S9_EESM_S12_SN_SO_SP_EUlS12_E1_NS1_11comp_targetILNS1_3genE4ELNS1_11target_archE910ELNS1_3gpuE8ELNS1_3repE0EEENS1_36merge_oddeven_config_static_selectorELNS0_4arch9wavefront6targetE1EEEvSO_,"axG",@progbits,_ZN7rocprim17ROCPRIM_400000_NS6detail17trampoline_kernelINS0_14default_configENS1_38merge_sort_block_merge_config_selectorIlNS0_10empty_typeEEEZZNS1_27merge_sort_block_merge_implIS3_PlPS5_mZN2at6native12_GLOBAL__N_124unique_dim_cuda_templateIN3c104HalfEEESt5tupleIJNSA_6TensorESH_SH_EERKSH_lbbbEUlllE_EE10hipError_tT0_T1_T2_jT3_P12ihipStream_tbPNSt15iterator_traitsISN_E10value_typeEPNST_ISO_E10value_typeEPSP_NS1_7vsmem_tEENKUlT_SN_SO_SP_E_clIS8_S8_S9_S9_EESM_S12_SN_SO_SP_EUlS12_E1_NS1_11comp_targetILNS1_3genE4ELNS1_11target_archE910ELNS1_3gpuE8ELNS1_3repE0EEENS1_36merge_oddeven_config_static_selectorELNS0_4arch9wavefront6targetE1EEEvSO_,comdat
.Lfunc_end1267:
	.size	_ZN7rocprim17ROCPRIM_400000_NS6detail17trampoline_kernelINS0_14default_configENS1_38merge_sort_block_merge_config_selectorIlNS0_10empty_typeEEEZZNS1_27merge_sort_block_merge_implIS3_PlPS5_mZN2at6native12_GLOBAL__N_124unique_dim_cuda_templateIN3c104HalfEEESt5tupleIJNSA_6TensorESH_SH_EERKSH_lbbbEUlllE_EE10hipError_tT0_T1_T2_jT3_P12ihipStream_tbPNSt15iterator_traitsISN_E10value_typeEPNST_ISO_E10value_typeEPSP_NS1_7vsmem_tEENKUlT_SN_SO_SP_E_clIS8_S8_S9_S9_EESM_S12_SN_SO_SP_EUlS12_E1_NS1_11comp_targetILNS1_3genE4ELNS1_11target_archE910ELNS1_3gpuE8ELNS1_3repE0EEENS1_36merge_oddeven_config_static_selectorELNS0_4arch9wavefront6targetE1EEEvSO_, .Lfunc_end1267-_ZN7rocprim17ROCPRIM_400000_NS6detail17trampoline_kernelINS0_14default_configENS1_38merge_sort_block_merge_config_selectorIlNS0_10empty_typeEEEZZNS1_27merge_sort_block_merge_implIS3_PlPS5_mZN2at6native12_GLOBAL__N_124unique_dim_cuda_templateIN3c104HalfEEESt5tupleIJNSA_6TensorESH_SH_EERKSH_lbbbEUlllE_EE10hipError_tT0_T1_T2_jT3_P12ihipStream_tbPNSt15iterator_traitsISN_E10value_typeEPNST_ISO_E10value_typeEPSP_NS1_7vsmem_tEENKUlT_SN_SO_SP_E_clIS8_S8_S9_S9_EESM_S12_SN_SO_SP_EUlS12_E1_NS1_11comp_targetILNS1_3genE4ELNS1_11target_archE910ELNS1_3gpuE8ELNS1_3repE0EEENS1_36merge_oddeven_config_static_selectorELNS0_4arch9wavefront6targetE1EEEvSO_
                                        ; -- End function
	.set _ZN7rocprim17ROCPRIM_400000_NS6detail17trampoline_kernelINS0_14default_configENS1_38merge_sort_block_merge_config_selectorIlNS0_10empty_typeEEEZZNS1_27merge_sort_block_merge_implIS3_PlPS5_mZN2at6native12_GLOBAL__N_124unique_dim_cuda_templateIN3c104HalfEEESt5tupleIJNSA_6TensorESH_SH_EERKSH_lbbbEUlllE_EE10hipError_tT0_T1_T2_jT3_P12ihipStream_tbPNSt15iterator_traitsISN_E10value_typeEPNST_ISO_E10value_typeEPSP_NS1_7vsmem_tEENKUlT_SN_SO_SP_E_clIS8_S8_S9_S9_EESM_S12_SN_SO_SP_EUlS12_E1_NS1_11comp_targetILNS1_3genE4ELNS1_11target_archE910ELNS1_3gpuE8ELNS1_3repE0EEENS1_36merge_oddeven_config_static_selectorELNS0_4arch9wavefront6targetE1EEEvSO_.num_vgpr, 0
	.set _ZN7rocprim17ROCPRIM_400000_NS6detail17trampoline_kernelINS0_14default_configENS1_38merge_sort_block_merge_config_selectorIlNS0_10empty_typeEEEZZNS1_27merge_sort_block_merge_implIS3_PlPS5_mZN2at6native12_GLOBAL__N_124unique_dim_cuda_templateIN3c104HalfEEESt5tupleIJNSA_6TensorESH_SH_EERKSH_lbbbEUlllE_EE10hipError_tT0_T1_T2_jT3_P12ihipStream_tbPNSt15iterator_traitsISN_E10value_typeEPNST_ISO_E10value_typeEPSP_NS1_7vsmem_tEENKUlT_SN_SO_SP_E_clIS8_S8_S9_S9_EESM_S12_SN_SO_SP_EUlS12_E1_NS1_11comp_targetILNS1_3genE4ELNS1_11target_archE910ELNS1_3gpuE8ELNS1_3repE0EEENS1_36merge_oddeven_config_static_selectorELNS0_4arch9wavefront6targetE1EEEvSO_.num_agpr, 0
	.set _ZN7rocprim17ROCPRIM_400000_NS6detail17trampoline_kernelINS0_14default_configENS1_38merge_sort_block_merge_config_selectorIlNS0_10empty_typeEEEZZNS1_27merge_sort_block_merge_implIS3_PlPS5_mZN2at6native12_GLOBAL__N_124unique_dim_cuda_templateIN3c104HalfEEESt5tupleIJNSA_6TensorESH_SH_EERKSH_lbbbEUlllE_EE10hipError_tT0_T1_T2_jT3_P12ihipStream_tbPNSt15iterator_traitsISN_E10value_typeEPNST_ISO_E10value_typeEPSP_NS1_7vsmem_tEENKUlT_SN_SO_SP_E_clIS8_S8_S9_S9_EESM_S12_SN_SO_SP_EUlS12_E1_NS1_11comp_targetILNS1_3genE4ELNS1_11target_archE910ELNS1_3gpuE8ELNS1_3repE0EEENS1_36merge_oddeven_config_static_selectorELNS0_4arch9wavefront6targetE1EEEvSO_.numbered_sgpr, 0
	.set _ZN7rocprim17ROCPRIM_400000_NS6detail17trampoline_kernelINS0_14default_configENS1_38merge_sort_block_merge_config_selectorIlNS0_10empty_typeEEEZZNS1_27merge_sort_block_merge_implIS3_PlPS5_mZN2at6native12_GLOBAL__N_124unique_dim_cuda_templateIN3c104HalfEEESt5tupleIJNSA_6TensorESH_SH_EERKSH_lbbbEUlllE_EE10hipError_tT0_T1_T2_jT3_P12ihipStream_tbPNSt15iterator_traitsISN_E10value_typeEPNST_ISO_E10value_typeEPSP_NS1_7vsmem_tEENKUlT_SN_SO_SP_E_clIS8_S8_S9_S9_EESM_S12_SN_SO_SP_EUlS12_E1_NS1_11comp_targetILNS1_3genE4ELNS1_11target_archE910ELNS1_3gpuE8ELNS1_3repE0EEENS1_36merge_oddeven_config_static_selectorELNS0_4arch9wavefront6targetE1EEEvSO_.num_named_barrier, 0
	.set _ZN7rocprim17ROCPRIM_400000_NS6detail17trampoline_kernelINS0_14default_configENS1_38merge_sort_block_merge_config_selectorIlNS0_10empty_typeEEEZZNS1_27merge_sort_block_merge_implIS3_PlPS5_mZN2at6native12_GLOBAL__N_124unique_dim_cuda_templateIN3c104HalfEEESt5tupleIJNSA_6TensorESH_SH_EERKSH_lbbbEUlllE_EE10hipError_tT0_T1_T2_jT3_P12ihipStream_tbPNSt15iterator_traitsISN_E10value_typeEPNST_ISO_E10value_typeEPSP_NS1_7vsmem_tEENKUlT_SN_SO_SP_E_clIS8_S8_S9_S9_EESM_S12_SN_SO_SP_EUlS12_E1_NS1_11comp_targetILNS1_3genE4ELNS1_11target_archE910ELNS1_3gpuE8ELNS1_3repE0EEENS1_36merge_oddeven_config_static_selectorELNS0_4arch9wavefront6targetE1EEEvSO_.private_seg_size, 0
	.set _ZN7rocprim17ROCPRIM_400000_NS6detail17trampoline_kernelINS0_14default_configENS1_38merge_sort_block_merge_config_selectorIlNS0_10empty_typeEEEZZNS1_27merge_sort_block_merge_implIS3_PlPS5_mZN2at6native12_GLOBAL__N_124unique_dim_cuda_templateIN3c104HalfEEESt5tupleIJNSA_6TensorESH_SH_EERKSH_lbbbEUlllE_EE10hipError_tT0_T1_T2_jT3_P12ihipStream_tbPNSt15iterator_traitsISN_E10value_typeEPNST_ISO_E10value_typeEPSP_NS1_7vsmem_tEENKUlT_SN_SO_SP_E_clIS8_S8_S9_S9_EESM_S12_SN_SO_SP_EUlS12_E1_NS1_11comp_targetILNS1_3genE4ELNS1_11target_archE910ELNS1_3gpuE8ELNS1_3repE0EEENS1_36merge_oddeven_config_static_selectorELNS0_4arch9wavefront6targetE1EEEvSO_.uses_vcc, 0
	.set _ZN7rocprim17ROCPRIM_400000_NS6detail17trampoline_kernelINS0_14default_configENS1_38merge_sort_block_merge_config_selectorIlNS0_10empty_typeEEEZZNS1_27merge_sort_block_merge_implIS3_PlPS5_mZN2at6native12_GLOBAL__N_124unique_dim_cuda_templateIN3c104HalfEEESt5tupleIJNSA_6TensorESH_SH_EERKSH_lbbbEUlllE_EE10hipError_tT0_T1_T2_jT3_P12ihipStream_tbPNSt15iterator_traitsISN_E10value_typeEPNST_ISO_E10value_typeEPSP_NS1_7vsmem_tEENKUlT_SN_SO_SP_E_clIS8_S8_S9_S9_EESM_S12_SN_SO_SP_EUlS12_E1_NS1_11comp_targetILNS1_3genE4ELNS1_11target_archE910ELNS1_3gpuE8ELNS1_3repE0EEENS1_36merge_oddeven_config_static_selectorELNS0_4arch9wavefront6targetE1EEEvSO_.uses_flat_scratch, 0
	.set _ZN7rocprim17ROCPRIM_400000_NS6detail17trampoline_kernelINS0_14default_configENS1_38merge_sort_block_merge_config_selectorIlNS0_10empty_typeEEEZZNS1_27merge_sort_block_merge_implIS3_PlPS5_mZN2at6native12_GLOBAL__N_124unique_dim_cuda_templateIN3c104HalfEEESt5tupleIJNSA_6TensorESH_SH_EERKSH_lbbbEUlllE_EE10hipError_tT0_T1_T2_jT3_P12ihipStream_tbPNSt15iterator_traitsISN_E10value_typeEPNST_ISO_E10value_typeEPSP_NS1_7vsmem_tEENKUlT_SN_SO_SP_E_clIS8_S8_S9_S9_EESM_S12_SN_SO_SP_EUlS12_E1_NS1_11comp_targetILNS1_3genE4ELNS1_11target_archE910ELNS1_3gpuE8ELNS1_3repE0EEENS1_36merge_oddeven_config_static_selectorELNS0_4arch9wavefront6targetE1EEEvSO_.has_dyn_sized_stack, 0
	.set _ZN7rocprim17ROCPRIM_400000_NS6detail17trampoline_kernelINS0_14default_configENS1_38merge_sort_block_merge_config_selectorIlNS0_10empty_typeEEEZZNS1_27merge_sort_block_merge_implIS3_PlPS5_mZN2at6native12_GLOBAL__N_124unique_dim_cuda_templateIN3c104HalfEEESt5tupleIJNSA_6TensorESH_SH_EERKSH_lbbbEUlllE_EE10hipError_tT0_T1_T2_jT3_P12ihipStream_tbPNSt15iterator_traitsISN_E10value_typeEPNST_ISO_E10value_typeEPSP_NS1_7vsmem_tEENKUlT_SN_SO_SP_E_clIS8_S8_S9_S9_EESM_S12_SN_SO_SP_EUlS12_E1_NS1_11comp_targetILNS1_3genE4ELNS1_11target_archE910ELNS1_3gpuE8ELNS1_3repE0EEENS1_36merge_oddeven_config_static_selectorELNS0_4arch9wavefront6targetE1EEEvSO_.has_recursion, 0
	.set _ZN7rocprim17ROCPRIM_400000_NS6detail17trampoline_kernelINS0_14default_configENS1_38merge_sort_block_merge_config_selectorIlNS0_10empty_typeEEEZZNS1_27merge_sort_block_merge_implIS3_PlPS5_mZN2at6native12_GLOBAL__N_124unique_dim_cuda_templateIN3c104HalfEEESt5tupleIJNSA_6TensorESH_SH_EERKSH_lbbbEUlllE_EE10hipError_tT0_T1_T2_jT3_P12ihipStream_tbPNSt15iterator_traitsISN_E10value_typeEPNST_ISO_E10value_typeEPSP_NS1_7vsmem_tEENKUlT_SN_SO_SP_E_clIS8_S8_S9_S9_EESM_S12_SN_SO_SP_EUlS12_E1_NS1_11comp_targetILNS1_3genE4ELNS1_11target_archE910ELNS1_3gpuE8ELNS1_3repE0EEENS1_36merge_oddeven_config_static_selectorELNS0_4arch9wavefront6targetE1EEEvSO_.has_indirect_call, 0
	.section	.AMDGPU.csdata,"",@progbits
; Kernel info:
; codeLenInByte = 0
; TotalNumSgprs: 6
; NumVgprs: 0
; NumAgprs: 0
; TotalNumVgprs: 0
; ScratchSize: 0
; MemoryBound: 0
; FloatMode: 240
; IeeeMode: 1
; LDSByteSize: 0 bytes/workgroup (compile time only)
; SGPRBlocks: 0
; VGPRBlocks: 0
; NumSGPRsForWavesPerEU: 6
; NumVGPRsForWavesPerEU: 1
; AccumOffset: 4
; Occupancy: 8
; WaveLimiterHint : 0
; COMPUTE_PGM_RSRC2:SCRATCH_EN: 0
; COMPUTE_PGM_RSRC2:USER_SGPR: 2
; COMPUTE_PGM_RSRC2:TRAP_HANDLER: 0
; COMPUTE_PGM_RSRC2:TGID_X_EN: 1
; COMPUTE_PGM_RSRC2:TGID_Y_EN: 0
; COMPUTE_PGM_RSRC2:TGID_Z_EN: 0
; COMPUTE_PGM_RSRC2:TIDIG_COMP_CNT: 0
; COMPUTE_PGM_RSRC3_GFX90A:ACCUM_OFFSET: 0
; COMPUTE_PGM_RSRC3_GFX90A:TG_SPLIT: 0
	.section	.text._ZN7rocprim17ROCPRIM_400000_NS6detail17trampoline_kernelINS0_14default_configENS1_38merge_sort_block_merge_config_selectorIlNS0_10empty_typeEEEZZNS1_27merge_sort_block_merge_implIS3_PlPS5_mZN2at6native12_GLOBAL__N_124unique_dim_cuda_templateIN3c104HalfEEESt5tupleIJNSA_6TensorESH_SH_EERKSH_lbbbEUlllE_EE10hipError_tT0_T1_T2_jT3_P12ihipStream_tbPNSt15iterator_traitsISN_E10value_typeEPNST_ISO_E10value_typeEPSP_NS1_7vsmem_tEENKUlT_SN_SO_SP_E_clIS8_S8_S9_S9_EESM_S12_SN_SO_SP_EUlS12_E1_NS1_11comp_targetILNS1_3genE3ELNS1_11target_archE908ELNS1_3gpuE7ELNS1_3repE0EEENS1_36merge_oddeven_config_static_selectorELNS0_4arch9wavefront6targetE1EEEvSO_,"axG",@progbits,_ZN7rocprim17ROCPRIM_400000_NS6detail17trampoline_kernelINS0_14default_configENS1_38merge_sort_block_merge_config_selectorIlNS0_10empty_typeEEEZZNS1_27merge_sort_block_merge_implIS3_PlPS5_mZN2at6native12_GLOBAL__N_124unique_dim_cuda_templateIN3c104HalfEEESt5tupleIJNSA_6TensorESH_SH_EERKSH_lbbbEUlllE_EE10hipError_tT0_T1_T2_jT3_P12ihipStream_tbPNSt15iterator_traitsISN_E10value_typeEPNST_ISO_E10value_typeEPSP_NS1_7vsmem_tEENKUlT_SN_SO_SP_E_clIS8_S8_S9_S9_EESM_S12_SN_SO_SP_EUlS12_E1_NS1_11comp_targetILNS1_3genE3ELNS1_11target_archE908ELNS1_3gpuE7ELNS1_3repE0EEENS1_36merge_oddeven_config_static_selectorELNS0_4arch9wavefront6targetE1EEEvSO_,comdat
	.globl	_ZN7rocprim17ROCPRIM_400000_NS6detail17trampoline_kernelINS0_14default_configENS1_38merge_sort_block_merge_config_selectorIlNS0_10empty_typeEEEZZNS1_27merge_sort_block_merge_implIS3_PlPS5_mZN2at6native12_GLOBAL__N_124unique_dim_cuda_templateIN3c104HalfEEESt5tupleIJNSA_6TensorESH_SH_EERKSH_lbbbEUlllE_EE10hipError_tT0_T1_T2_jT3_P12ihipStream_tbPNSt15iterator_traitsISN_E10value_typeEPNST_ISO_E10value_typeEPSP_NS1_7vsmem_tEENKUlT_SN_SO_SP_E_clIS8_S8_S9_S9_EESM_S12_SN_SO_SP_EUlS12_E1_NS1_11comp_targetILNS1_3genE3ELNS1_11target_archE908ELNS1_3gpuE7ELNS1_3repE0EEENS1_36merge_oddeven_config_static_selectorELNS0_4arch9wavefront6targetE1EEEvSO_ ; -- Begin function _ZN7rocprim17ROCPRIM_400000_NS6detail17trampoline_kernelINS0_14default_configENS1_38merge_sort_block_merge_config_selectorIlNS0_10empty_typeEEEZZNS1_27merge_sort_block_merge_implIS3_PlPS5_mZN2at6native12_GLOBAL__N_124unique_dim_cuda_templateIN3c104HalfEEESt5tupleIJNSA_6TensorESH_SH_EERKSH_lbbbEUlllE_EE10hipError_tT0_T1_T2_jT3_P12ihipStream_tbPNSt15iterator_traitsISN_E10value_typeEPNST_ISO_E10value_typeEPSP_NS1_7vsmem_tEENKUlT_SN_SO_SP_E_clIS8_S8_S9_S9_EESM_S12_SN_SO_SP_EUlS12_E1_NS1_11comp_targetILNS1_3genE3ELNS1_11target_archE908ELNS1_3gpuE7ELNS1_3repE0EEENS1_36merge_oddeven_config_static_selectorELNS0_4arch9wavefront6targetE1EEEvSO_
	.p2align	8
	.type	_ZN7rocprim17ROCPRIM_400000_NS6detail17trampoline_kernelINS0_14default_configENS1_38merge_sort_block_merge_config_selectorIlNS0_10empty_typeEEEZZNS1_27merge_sort_block_merge_implIS3_PlPS5_mZN2at6native12_GLOBAL__N_124unique_dim_cuda_templateIN3c104HalfEEESt5tupleIJNSA_6TensorESH_SH_EERKSH_lbbbEUlllE_EE10hipError_tT0_T1_T2_jT3_P12ihipStream_tbPNSt15iterator_traitsISN_E10value_typeEPNST_ISO_E10value_typeEPSP_NS1_7vsmem_tEENKUlT_SN_SO_SP_E_clIS8_S8_S9_S9_EESM_S12_SN_SO_SP_EUlS12_E1_NS1_11comp_targetILNS1_3genE3ELNS1_11target_archE908ELNS1_3gpuE7ELNS1_3repE0EEENS1_36merge_oddeven_config_static_selectorELNS0_4arch9wavefront6targetE1EEEvSO_,@function
_ZN7rocprim17ROCPRIM_400000_NS6detail17trampoline_kernelINS0_14default_configENS1_38merge_sort_block_merge_config_selectorIlNS0_10empty_typeEEEZZNS1_27merge_sort_block_merge_implIS3_PlPS5_mZN2at6native12_GLOBAL__N_124unique_dim_cuda_templateIN3c104HalfEEESt5tupleIJNSA_6TensorESH_SH_EERKSH_lbbbEUlllE_EE10hipError_tT0_T1_T2_jT3_P12ihipStream_tbPNSt15iterator_traitsISN_E10value_typeEPNST_ISO_E10value_typeEPSP_NS1_7vsmem_tEENKUlT_SN_SO_SP_E_clIS8_S8_S9_S9_EESM_S12_SN_SO_SP_EUlS12_E1_NS1_11comp_targetILNS1_3genE3ELNS1_11target_archE908ELNS1_3gpuE7ELNS1_3repE0EEENS1_36merge_oddeven_config_static_selectorELNS0_4arch9wavefront6targetE1EEEvSO_: ; @_ZN7rocprim17ROCPRIM_400000_NS6detail17trampoline_kernelINS0_14default_configENS1_38merge_sort_block_merge_config_selectorIlNS0_10empty_typeEEEZZNS1_27merge_sort_block_merge_implIS3_PlPS5_mZN2at6native12_GLOBAL__N_124unique_dim_cuda_templateIN3c104HalfEEESt5tupleIJNSA_6TensorESH_SH_EERKSH_lbbbEUlllE_EE10hipError_tT0_T1_T2_jT3_P12ihipStream_tbPNSt15iterator_traitsISN_E10value_typeEPNST_ISO_E10value_typeEPSP_NS1_7vsmem_tEENKUlT_SN_SO_SP_E_clIS8_S8_S9_S9_EESM_S12_SN_SO_SP_EUlS12_E1_NS1_11comp_targetILNS1_3genE3ELNS1_11target_archE908ELNS1_3gpuE7ELNS1_3repE0EEENS1_36merge_oddeven_config_static_selectorELNS0_4arch9wavefront6targetE1EEEvSO_
; %bb.0:
	.section	.rodata,"a",@progbits
	.p2align	6, 0x0
	.amdhsa_kernel _ZN7rocprim17ROCPRIM_400000_NS6detail17trampoline_kernelINS0_14default_configENS1_38merge_sort_block_merge_config_selectorIlNS0_10empty_typeEEEZZNS1_27merge_sort_block_merge_implIS3_PlPS5_mZN2at6native12_GLOBAL__N_124unique_dim_cuda_templateIN3c104HalfEEESt5tupleIJNSA_6TensorESH_SH_EERKSH_lbbbEUlllE_EE10hipError_tT0_T1_T2_jT3_P12ihipStream_tbPNSt15iterator_traitsISN_E10value_typeEPNST_ISO_E10value_typeEPSP_NS1_7vsmem_tEENKUlT_SN_SO_SP_E_clIS8_S8_S9_S9_EESM_S12_SN_SO_SP_EUlS12_E1_NS1_11comp_targetILNS1_3genE3ELNS1_11target_archE908ELNS1_3gpuE7ELNS1_3repE0EEENS1_36merge_oddeven_config_static_selectorELNS0_4arch9wavefront6targetE1EEEvSO_
		.amdhsa_group_segment_fixed_size 0
		.amdhsa_private_segment_fixed_size 0
		.amdhsa_kernarg_size 64
		.amdhsa_user_sgpr_count 2
		.amdhsa_user_sgpr_dispatch_ptr 0
		.amdhsa_user_sgpr_queue_ptr 0
		.amdhsa_user_sgpr_kernarg_segment_ptr 1
		.amdhsa_user_sgpr_dispatch_id 0
		.amdhsa_user_sgpr_kernarg_preload_length 0
		.amdhsa_user_sgpr_kernarg_preload_offset 0
		.amdhsa_user_sgpr_private_segment_size 0
		.amdhsa_uses_dynamic_stack 0
		.amdhsa_enable_private_segment 0
		.amdhsa_system_sgpr_workgroup_id_x 1
		.amdhsa_system_sgpr_workgroup_id_y 0
		.amdhsa_system_sgpr_workgroup_id_z 0
		.amdhsa_system_sgpr_workgroup_info 0
		.amdhsa_system_vgpr_workitem_id 0
		.amdhsa_next_free_vgpr 1
		.amdhsa_next_free_sgpr 0
		.amdhsa_accum_offset 4
		.amdhsa_reserve_vcc 0
		.amdhsa_float_round_mode_32 0
		.amdhsa_float_round_mode_16_64 0
		.amdhsa_float_denorm_mode_32 3
		.amdhsa_float_denorm_mode_16_64 3
		.amdhsa_dx10_clamp 1
		.amdhsa_ieee_mode 1
		.amdhsa_fp16_overflow 0
		.amdhsa_tg_split 0
		.amdhsa_exception_fp_ieee_invalid_op 0
		.amdhsa_exception_fp_denorm_src 0
		.amdhsa_exception_fp_ieee_div_zero 0
		.amdhsa_exception_fp_ieee_overflow 0
		.amdhsa_exception_fp_ieee_underflow 0
		.amdhsa_exception_fp_ieee_inexact 0
		.amdhsa_exception_int_div_zero 0
	.end_amdhsa_kernel
	.section	.text._ZN7rocprim17ROCPRIM_400000_NS6detail17trampoline_kernelINS0_14default_configENS1_38merge_sort_block_merge_config_selectorIlNS0_10empty_typeEEEZZNS1_27merge_sort_block_merge_implIS3_PlPS5_mZN2at6native12_GLOBAL__N_124unique_dim_cuda_templateIN3c104HalfEEESt5tupleIJNSA_6TensorESH_SH_EERKSH_lbbbEUlllE_EE10hipError_tT0_T1_T2_jT3_P12ihipStream_tbPNSt15iterator_traitsISN_E10value_typeEPNST_ISO_E10value_typeEPSP_NS1_7vsmem_tEENKUlT_SN_SO_SP_E_clIS8_S8_S9_S9_EESM_S12_SN_SO_SP_EUlS12_E1_NS1_11comp_targetILNS1_3genE3ELNS1_11target_archE908ELNS1_3gpuE7ELNS1_3repE0EEENS1_36merge_oddeven_config_static_selectorELNS0_4arch9wavefront6targetE1EEEvSO_,"axG",@progbits,_ZN7rocprim17ROCPRIM_400000_NS6detail17trampoline_kernelINS0_14default_configENS1_38merge_sort_block_merge_config_selectorIlNS0_10empty_typeEEEZZNS1_27merge_sort_block_merge_implIS3_PlPS5_mZN2at6native12_GLOBAL__N_124unique_dim_cuda_templateIN3c104HalfEEESt5tupleIJNSA_6TensorESH_SH_EERKSH_lbbbEUlllE_EE10hipError_tT0_T1_T2_jT3_P12ihipStream_tbPNSt15iterator_traitsISN_E10value_typeEPNST_ISO_E10value_typeEPSP_NS1_7vsmem_tEENKUlT_SN_SO_SP_E_clIS8_S8_S9_S9_EESM_S12_SN_SO_SP_EUlS12_E1_NS1_11comp_targetILNS1_3genE3ELNS1_11target_archE908ELNS1_3gpuE7ELNS1_3repE0EEENS1_36merge_oddeven_config_static_selectorELNS0_4arch9wavefront6targetE1EEEvSO_,comdat
.Lfunc_end1268:
	.size	_ZN7rocprim17ROCPRIM_400000_NS6detail17trampoline_kernelINS0_14default_configENS1_38merge_sort_block_merge_config_selectorIlNS0_10empty_typeEEEZZNS1_27merge_sort_block_merge_implIS3_PlPS5_mZN2at6native12_GLOBAL__N_124unique_dim_cuda_templateIN3c104HalfEEESt5tupleIJNSA_6TensorESH_SH_EERKSH_lbbbEUlllE_EE10hipError_tT0_T1_T2_jT3_P12ihipStream_tbPNSt15iterator_traitsISN_E10value_typeEPNST_ISO_E10value_typeEPSP_NS1_7vsmem_tEENKUlT_SN_SO_SP_E_clIS8_S8_S9_S9_EESM_S12_SN_SO_SP_EUlS12_E1_NS1_11comp_targetILNS1_3genE3ELNS1_11target_archE908ELNS1_3gpuE7ELNS1_3repE0EEENS1_36merge_oddeven_config_static_selectorELNS0_4arch9wavefront6targetE1EEEvSO_, .Lfunc_end1268-_ZN7rocprim17ROCPRIM_400000_NS6detail17trampoline_kernelINS0_14default_configENS1_38merge_sort_block_merge_config_selectorIlNS0_10empty_typeEEEZZNS1_27merge_sort_block_merge_implIS3_PlPS5_mZN2at6native12_GLOBAL__N_124unique_dim_cuda_templateIN3c104HalfEEESt5tupleIJNSA_6TensorESH_SH_EERKSH_lbbbEUlllE_EE10hipError_tT0_T1_T2_jT3_P12ihipStream_tbPNSt15iterator_traitsISN_E10value_typeEPNST_ISO_E10value_typeEPSP_NS1_7vsmem_tEENKUlT_SN_SO_SP_E_clIS8_S8_S9_S9_EESM_S12_SN_SO_SP_EUlS12_E1_NS1_11comp_targetILNS1_3genE3ELNS1_11target_archE908ELNS1_3gpuE7ELNS1_3repE0EEENS1_36merge_oddeven_config_static_selectorELNS0_4arch9wavefront6targetE1EEEvSO_
                                        ; -- End function
	.set _ZN7rocprim17ROCPRIM_400000_NS6detail17trampoline_kernelINS0_14default_configENS1_38merge_sort_block_merge_config_selectorIlNS0_10empty_typeEEEZZNS1_27merge_sort_block_merge_implIS3_PlPS5_mZN2at6native12_GLOBAL__N_124unique_dim_cuda_templateIN3c104HalfEEESt5tupleIJNSA_6TensorESH_SH_EERKSH_lbbbEUlllE_EE10hipError_tT0_T1_T2_jT3_P12ihipStream_tbPNSt15iterator_traitsISN_E10value_typeEPNST_ISO_E10value_typeEPSP_NS1_7vsmem_tEENKUlT_SN_SO_SP_E_clIS8_S8_S9_S9_EESM_S12_SN_SO_SP_EUlS12_E1_NS1_11comp_targetILNS1_3genE3ELNS1_11target_archE908ELNS1_3gpuE7ELNS1_3repE0EEENS1_36merge_oddeven_config_static_selectorELNS0_4arch9wavefront6targetE1EEEvSO_.num_vgpr, 0
	.set _ZN7rocprim17ROCPRIM_400000_NS6detail17trampoline_kernelINS0_14default_configENS1_38merge_sort_block_merge_config_selectorIlNS0_10empty_typeEEEZZNS1_27merge_sort_block_merge_implIS3_PlPS5_mZN2at6native12_GLOBAL__N_124unique_dim_cuda_templateIN3c104HalfEEESt5tupleIJNSA_6TensorESH_SH_EERKSH_lbbbEUlllE_EE10hipError_tT0_T1_T2_jT3_P12ihipStream_tbPNSt15iterator_traitsISN_E10value_typeEPNST_ISO_E10value_typeEPSP_NS1_7vsmem_tEENKUlT_SN_SO_SP_E_clIS8_S8_S9_S9_EESM_S12_SN_SO_SP_EUlS12_E1_NS1_11comp_targetILNS1_3genE3ELNS1_11target_archE908ELNS1_3gpuE7ELNS1_3repE0EEENS1_36merge_oddeven_config_static_selectorELNS0_4arch9wavefront6targetE1EEEvSO_.num_agpr, 0
	.set _ZN7rocprim17ROCPRIM_400000_NS6detail17trampoline_kernelINS0_14default_configENS1_38merge_sort_block_merge_config_selectorIlNS0_10empty_typeEEEZZNS1_27merge_sort_block_merge_implIS3_PlPS5_mZN2at6native12_GLOBAL__N_124unique_dim_cuda_templateIN3c104HalfEEESt5tupleIJNSA_6TensorESH_SH_EERKSH_lbbbEUlllE_EE10hipError_tT0_T1_T2_jT3_P12ihipStream_tbPNSt15iterator_traitsISN_E10value_typeEPNST_ISO_E10value_typeEPSP_NS1_7vsmem_tEENKUlT_SN_SO_SP_E_clIS8_S8_S9_S9_EESM_S12_SN_SO_SP_EUlS12_E1_NS1_11comp_targetILNS1_3genE3ELNS1_11target_archE908ELNS1_3gpuE7ELNS1_3repE0EEENS1_36merge_oddeven_config_static_selectorELNS0_4arch9wavefront6targetE1EEEvSO_.numbered_sgpr, 0
	.set _ZN7rocprim17ROCPRIM_400000_NS6detail17trampoline_kernelINS0_14default_configENS1_38merge_sort_block_merge_config_selectorIlNS0_10empty_typeEEEZZNS1_27merge_sort_block_merge_implIS3_PlPS5_mZN2at6native12_GLOBAL__N_124unique_dim_cuda_templateIN3c104HalfEEESt5tupleIJNSA_6TensorESH_SH_EERKSH_lbbbEUlllE_EE10hipError_tT0_T1_T2_jT3_P12ihipStream_tbPNSt15iterator_traitsISN_E10value_typeEPNST_ISO_E10value_typeEPSP_NS1_7vsmem_tEENKUlT_SN_SO_SP_E_clIS8_S8_S9_S9_EESM_S12_SN_SO_SP_EUlS12_E1_NS1_11comp_targetILNS1_3genE3ELNS1_11target_archE908ELNS1_3gpuE7ELNS1_3repE0EEENS1_36merge_oddeven_config_static_selectorELNS0_4arch9wavefront6targetE1EEEvSO_.num_named_barrier, 0
	.set _ZN7rocprim17ROCPRIM_400000_NS6detail17trampoline_kernelINS0_14default_configENS1_38merge_sort_block_merge_config_selectorIlNS0_10empty_typeEEEZZNS1_27merge_sort_block_merge_implIS3_PlPS5_mZN2at6native12_GLOBAL__N_124unique_dim_cuda_templateIN3c104HalfEEESt5tupleIJNSA_6TensorESH_SH_EERKSH_lbbbEUlllE_EE10hipError_tT0_T1_T2_jT3_P12ihipStream_tbPNSt15iterator_traitsISN_E10value_typeEPNST_ISO_E10value_typeEPSP_NS1_7vsmem_tEENKUlT_SN_SO_SP_E_clIS8_S8_S9_S9_EESM_S12_SN_SO_SP_EUlS12_E1_NS1_11comp_targetILNS1_3genE3ELNS1_11target_archE908ELNS1_3gpuE7ELNS1_3repE0EEENS1_36merge_oddeven_config_static_selectorELNS0_4arch9wavefront6targetE1EEEvSO_.private_seg_size, 0
	.set _ZN7rocprim17ROCPRIM_400000_NS6detail17trampoline_kernelINS0_14default_configENS1_38merge_sort_block_merge_config_selectorIlNS0_10empty_typeEEEZZNS1_27merge_sort_block_merge_implIS3_PlPS5_mZN2at6native12_GLOBAL__N_124unique_dim_cuda_templateIN3c104HalfEEESt5tupleIJNSA_6TensorESH_SH_EERKSH_lbbbEUlllE_EE10hipError_tT0_T1_T2_jT3_P12ihipStream_tbPNSt15iterator_traitsISN_E10value_typeEPNST_ISO_E10value_typeEPSP_NS1_7vsmem_tEENKUlT_SN_SO_SP_E_clIS8_S8_S9_S9_EESM_S12_SN_SO_SP_EUlS12_E1_NS1_11comp_targetILNS1_3genE3ELNS1_11target_archE908ELNS1_3gpuE7ELNS1_3repE0EEENS1_36merge_oddeven_config_static_selectorELNS0_4arch9wavefront6targetE1EEEvSO_.uses_vcc, 0
	.set _ZN7rocprim17ROCPRIM_400000_NS6detail17trampoline_kernelINS0_14default_configENS1_38merge_sort_block_merge_config_selectorIlNS0_10empty_typeEEEZZNS1_27merge_sort_block_merge_implIS3_PlPS5_mZN2at6native12_GLOBAL__N_124unique_dim_cuda_templateIN3c104HalfEEESt5tupleIJNSA_6TensorESH_SH_EERKSH_lbbbEUlllE_EE10hipError_tT0_T1_T2_jT3_P12ihipStream_tbPNSt15iterator_traitsISN_E10value_typeEPNST_ISO_E10value_typeEPSP_NS1_7vsmem_tEENKUlT_SN_SO_SP_E_clIS8_S8_S9_S9_EESM_S12_SN_SO_SP_EUlS12_E1_NS1_11comp_targetILNS1_3genE3ELNS1_11target_archE908ELNS1_3gpuE7ELNS1_3repE0EEENS1_36merge_oddeven_config_static_selectorELNS0_4arch9wavefront6targetE1EEEvSO_.uses_flat_scratch, 0
	.set _ZN7rocprim17ROCPRIM_400000_NS6detail17trampoline_kernelINS0_14default_configENS1_38merge_sort_block_merge_config_selectorIlNS0_10empty_typeEEEZZNS1_27merge_sort_block_merge_implIS3_PlPS5_mZN2at6native12_GLOBAL__N_124unique_dim_cuda_templateIN3c104HalfEEESt5tupleIJNSA_6TensorESH_SH_EERKSH_lbbbEUlllE_EE10hipError_tT0_T1_T2_jT3_P12ihipStream_tbPNSt15iterator_traitsISN_E10value_typeEPNST_ISO_E10value_typeEPSP_NS1_7vsmem_tEENKUlT_SN_SO_SP_E_clIS8_S8_S9_S9_EESM_S12_SN_SO_SP_EUlS12_E1_NS1_11comp_targetILNS1_3genE3ELNS1_11target_archE908ELNS1_3gpuE7ELNS1_3repE0EEENS1_36merge_oddeven_config_static_selectorELNS0_4arch9wavefront6targetE1EEEvSO_.has_dyn_sized_stack, 0
	.set _ZN7rocprim17ROCPRIM_400000_NS6detail17trampoline_kernelINS0_14default_configENS1_38merge_sort_block_merge_config_selectorIlNS0_10empty_typeEEEZZNS1_27merge_sort_block_merge_implIS3_PlPS5_mZN2at6native12_GLOBAL__N_124unique_dim_cuda_templateIN3c104HalfEEESt5tupleIJNSA_6TensorESH_SH_EERKSH_lbbbEUlllE_EE10hipError_tT0_T1_T2_jT3_P12ihipStream_tbPNSt15iterator_traitsISN_E10value_typeEPNST_ISO_E10value_typeEPSP_NS1_7vsmem_tEENKUlT_SN_SO_SP_E_clIS8_S8_S9_S9_EESM_S12_SN_SO_SP_EUlS12_E1_NS1_11comp_targetILNS1_3genE3ELNS1_11target_archE908ELNS1_3gpuE7ELNS1_3repE0EEENS1_36merge_oddeven_config_static_selectorELNS0_4arch9wavefront6targetE1EEEvSO_.has_recursion, 0
	.set _ZN7rocprim17ROCPRIM_400000_NS6detail17trampoline_kernelINS0_14default_configENS1_38merge_sort_block_merge_config_selectorIlNS0_10empty_typeEEEZZNS1_27merge_sort_block_merge_implIS3_PlPS5_mZN2at6native12_GLOBAL__N_124unique_dim_cuda_templateIN3c104HalfEEESt5tupleIJNSA_6TensorESH_SH_EERKSH_lbbbEUlllE_EE10hipError_tT0_T1_T2_jT3_P12ihipStream_tbPNSt15iterator_traitsISN_E10value_typeEPNST_ISO_E10value_typeEPSP_NS1_7vsmem_tEENKUlT_SN_SO_SP_E_clIS8_S8_S9_S9_EESM_S12_SN_SO_SP_EUlS12_E1_NS1_11comp_targetILNS1_3genE3ELNS1_11target_archE908ELNS1_3gpuE7ELNS1_3repE0EEENS1_36merge_oddeven_config_static_selectorELNS0_4arch9wavefront6targetE1EEEvSO_.has_indirect_call, 0
	.section	.AMDGPU.csdata,"",@progbits
; Kernel info:
; codeLenInByte = 0
; TotalNumSgprs: 6
; NumVgprs: 0
; NumAgprs: 0
; TotalNumVgprs: 0
; ScratchSize: 0
; MemoryBound: 0
; FloatMode: 240
; IeeeMode: 1
; LDSByteSize: 0 bytes/workgroup (compile time only)
; SGPRBlocks: 0
; VGPRBlocks: 0
; NumSGPRsForWavesPerEU: 6
; NumVGPRsForWavesPerEU: 1
; AccumOffset: 4
; Occupancy: 8
; WaveLimiterHint : 0
; COMPUTE_PGM_RSRC2:SCRATCH_EN: 0
; COMPUTE_PGM_RSRC2:USER_SGPR: 2
; COMPUTE_PGM_RSRC2:TRAP_HANDLER: 0
; COMPUTE_PGM_RSRC2:TGID_X_EN: 1
; COMPUTE_PGM_RSRC2:TGID_Y_EN: 0
; COMPUTE_PGM_RSRC2:TGID_Z_EN: 0
; COMPUTE_PGM_RSRC2:TIDIG_COMP_CNT: 0
; COMPUTE_PGM_RSRC3_GFX90A:ACCUM_OFFSET: 0
; COMPUTE_PGM_RSRC3_GFX90A:TG_SPLIT: 0
	.section	.text._ZN7rocprim17ROCPRIM_400000_NS6detail17trampoline_kernelINS0_14default_configENS1_38merge_sort_block_merge_config_selectorIlNS0_10empty_typeEEEZZNS1_27merge_sort_block_merge_implIS3_PlPS5_mZN2at6native12_GLOBAL__N_124unique_dim_cuda_templateIN3c104HalfEEESt5tupleIJNSA_6TensorESH_SH_EERKSH_lbbbEUlllE_EE10hipError_tT0_T1_T2_jT3_P12ihipStream_tbPNSt15iterator_traitsISN_E10value_typeEPNST_ISO_E10value_typeEPSP_NS1_7vsmem_tEENKUlT_SN_SO_SP_E_clIS8_S8_S9_S9_EESM_S12_SN_SO_SP_EUlS12_E1_NS1_11comp_targetILNS1_3genE2ELNS1_11target_archE906ELNS1_3gpuE6ELNS1_3repE0EEENS1_36merge_oddeven_config_static_selectorELNS0_4arch9wavefront6targetE1EEEvSO_,"axG",@progbits,_ZN7rocprim17ROCPRIM_400000_NS6detail17trampoline_kernelINS0_14default_configENS1_38merge_sort_block_merge_config_selectorIlNS0_10empty_typeEEEZZNS1_27merge_sort_block_merge_implIS3_PlPS5_mZN2at6native12_GLOBAL__N_124unique_dim_cuda_templateIN3c104HalfEEESt5tupleIJNSA_6TensorESH_SH_EERKSH_lbbbEUlllE_EE10hipError_tT0_T1_T2_jT3_P12ihipStream_tbPNSt15iterator_traitsISN_E10value_typeEPNST_ISO_E10value_typeEPSP_NS1_7vsmem_tEENKUlT_SN_SO_SP_E_clIS8_S8_S9_S9_EESM_S12_SN_SO_SP_EUlS12_E1_NS1_11comp_targetILNS1_3genE2ELNS1_11target_archE906ELNS1_3gpuE6ELNS1_3repE0EEENS1_36merge_oddeven_config_static_selectorELNS0_4arch9wavefront6targetE1EEEvSO_,comdat
	.globl	_ZN7rocprim17ROCPRIM_400000_NS6detail17trampoline_kernelINS0_14default_configENS1_38merge_sort_block_merge_config_selectorIlNS0_10empty_typeEEEZZNS1_27merge_sort_block_merge_implIS3_PlPS5_mZN2at6native12_GLOBAL__N_124unique_dim_cuda_templateIN3c104HalfEEESt5tupleIJNSA_6TensorESH_SH_EERKSH_lbbbEUlllE_EE10hipError_tT0_T1_T2_jT3_P12ihipStream_tbPNSt15iterator_traitsISN_E10value_typeEPNST_ISO_E10value_typeEPSP_NS1_7vsmem_tEENKUlT_SN_SO_SP_E_clIS8_S8_S9_S9_EESM_S12_SN_SO_SP_EUlS12_E1_NS1_11comp_targetILNS1_3genE2ELNS1_11target_archE906ELNS1_3gpuE6ELNS1_3repE0EEENS1_36merge_oddeven_config_static_selectorELNS0_4arch9wavefront6targetE1EEEvSO_ ; -- Begin function _ZN7rocprim17ROCPRIM_400000_NS6detail17trampoline_kernelINS0_14default_configENS1_38merge_sort_block_merge_config_selectorIlNS0_10empty_typeEEEZZNS1_27merge_sort_block_merge_implIS3_PlPS5_mZN2at6native12_GLOBAL__N_124unique_dim_cuda_templateIN3c104HalfEEESt5tupleIJNSA_6TensorESH_SH_EERKSH_lbbbEUlllE_EE10hipError_tT0_T1_T2_jT3_P12ihipStream_tbPNSt15iterator_traitsISN_E10value_typeEPNST_ISO_E10value_typeEPSP_NS1_7vsmem_tEENKUlT_SN_SO_SP_E_clIS8_S8_S9_S9_EESM_S12_SN_SO_SP_EUlS12_E1_NS1_11comp_targetILNS1_3genE2ELNS1_11target_archE906ELNS1_3gpuE6ELNS1_3repE0EEENS1_36merge_oddeven_config_static_selectorELNS0_4arch9wavefront6targetE1EEEvSO_
	.p2align	8
	.type	_ZN7rocprim17ROCPRIM_400000_NS6detail17trampoline_kernelINS0_14default_configENS1_38merge_sort_block_merge_config_selectorIlNS0_10empty_typeEEEZZNS1_27merge_sort_block_merge_implIS3_PlPS5_mZN2at6native12_GLOBAL__N_124unique_dim_cuda_templateIN3c104HalfEEESt5tupleIJNSA_6TensorESH_SH_EERKSH_lbbbEUlllE_EE10hipError_tT0_T1_T2_jT3_P12ihipStream_tbPNSt15iterator_traitsISN_E10value_typeEPNST_ISO_E10value_typeEPSP_NS1_7vsmem_tEENKUlT_SN_SO_SP_E_clIS8_S8_S9_S9_EESM_S12_SN_SO_SP_EUlS12_E1_NS1_11comp_targetILNS1_3genE2ELNS1_11target_archE906ELNS1_3gpuE6ELNS1_3repE0EEENS1_36merge_oddeven_config_static_selectorELNS0_4arch9wavefront6targetE1EEEvSO_,@function
_ZN7rocprim17ROCPRIM_400000_NS6detail17trampoline_kernelINS0_14default_configENS1_38merge_sort_block_merge_config_selectorIlNS0_10empty_typeEEEZZNS1_27merge_sort_block_merge_implIS3_PlPS5_mZN2at6native12_GLOBAL__N_124unique_dim_cuda_templateIN3c104HalfEEESt5tupleIJNSA_6TensorESH_SH_EERKSH_lbbbEUlllE_EE10hipError_tT0_T1_T2_jT3_P12ihipStream_tbPNSt15iterator_traitsISN_E10value_typeEPNST_ISO_E10value_typeEPSP_NS1_7vsmem_tEENKUlT_SN_SO_SP_E_clIS8_S8_S9_S9_EESM_S12_SN_SO_SP_EUlS12_E1_NS1_11comp_targetILNS1_3genE2ELNS1_11target_archE906ELNS1_3gpuE6ELNS1_3repE0EEENS1_36merge_oddeven_config_static_selectorELNS0_4arch9wavefront6targetE1EEEvSO_: ; @_ZN7rocprim17ROCPRIM_400000_NS6detail17trampoline_kernelINS0_14default_configENS1_38merge_sort_block_merge_config_selectorIlNS0_10empty_typeEEEZZNS1_27merge_sort_block_merge_implIS3_PlPS5_mZN2at6native12_GLOBAL__N_124unique_dim_cuda_templateIN3c104HalfEEESt5tupleIJNSA_6TensorESH_SH_EERKSH_lbbbEUlllE_EE10hipError_tT0_T1_T2_jT3_P12ihipStream_tbPNSt15iterator_traitsISN_E10value_typeEPNST_ISO_E10value_typeEPSP_NS1_7vsmem_tEENKUlT_SN_SO_SP_E_clIS8_S8_S9_S9_EESM_S12_SN_SO_SP_EUlS12_E1_NS1_11comp_targetILNS1_3genE2ELNS1_11target_archE906ELNS1_3gpuE6ELNS1_3repE0EEENS1_36merge_oddeven_config_static_selectorELNS0_4arch9wavefront6targetE1EEEvSO_
; %bb.0:
	.section	.rodata,"a",@progbits
	.p2align	6, 0x0
	.amdhsa_kernel _ZN7rocprim17ROCPRIM_400000_NS6detail17trampoline_kernelINS0_14default_configENS1_38merge_sort_block_merge_config_selectorIlNS0_10empty_typeEEEZZNS1_27merge_sort_block_merge_implIS3_PlPS5_mZN2at6native12_GLOBAL__N_124unique_dim_cuda_templateIN3c104HalfEEESt5tupleIJNSA_6TensorESH_SH_EERKSH_lbbbEUlllE_EE10hipError_tT0_T1_T2_jT3_P12ihipStream_tbPNSt15iterator_traitsISN_E10value_typeEPNST_ISO_E10value_typeEPSP_NS1_7vsmem_tEENKUlT_SN_SO_SP_E_clIS8_S8_S9_S9_EESM_S12_SN_SO_SP_EUlS12_E1_NS1_11comp_targetILNS1_3genE2ELNS1_11target_archE906ELNS1_3gpuE6ELNS1_3repE0EEENS1_36merge_oddeven_config_static_selectorELNS0_4arch9wavefront6targetE1EEEvSO_
		.amdhsa_group_segment_fixed_size 0
		.amdhsa_private_segment_fixed_size 0
		.amdhsa_kernarg_size 64
		.amdhsa_user_sgpr_count 2
		.amdhsa_user_sgpr_dispatch_ptr 0
		.amdhsa_user_sgpr_queue_ptr 0
		.amdhsa_user_sgpr_kernarg_segment_ptr 1
		.amdhsa_user_sgpr_dispatch_id 0
		.amdhsa_user_sgpr_kernarg_preload_length 0
		.amdhsa_user_sgpr_kernarg_preload_offset 0
		.amdhsa_user_sgpr_private_segment_size 0
		.amdhsa_uses_dynamic_stack 0
		.amdhsa_enable_private_segment 0
		.amdhsa_system_sgpr_workgroup_id_x 1
		.amdhsa_system_sgpr_workgroup_id_y 0
		.amdhsa_system_sgpr_workgroup_id_z 0
		.amdhsa_system_sgpr_workgroup_info 0
		.amdhsa_system_vgpr_workitem_id 0
		.amdhsa_next_free_vgpr 1
		.amdhsa_next_free_sgpr 0
		.amdhsa_accum_offset 4
		.amdhsa_reserve_vcc 0
		.amdhsa_float_round_mode_32 0
		.amdhsa_float_round_mode_16_64 0
		.amdhsa_float_denorm_mode_32 3
		.amdhsa_float_denorm_mode_16_64 3
		.amdhsa_dx10_clamp 1
		.amdhsa_ieee_mode 1
		.amdhsa_fp16_overflow 0
		.amdhsa_tg_split 0
		.amdhsa_exception_fp_ieee_invalid_op 0
		.amdhsa_exception_fp_denorm_src 0
		.amdhsa_exception_fp_ieee_div_zero 0
		.amdhsa_exception_fp_ieee_overflow 0
		.amdhsa_exception_fp_ieee_underflow 0
		.amdhsa_exception_fp_ieee_inexact 0
		.amdhsa_exception_int_div_zero 0
	.end_amdhsa_kernel
	.section	.text._ZN7rocprim17ROCPRIM_400000_NS6detail17trampoline_kernelINS0_14default_configENS1_38merge_sort_block_merge_config_selectorIlNS0_10empty_typeEEEZZNS1_27merge_sort_block_merge_implIS3_PlPS5_mZN2at6native12_GLOBAL__N_124unique_dim_cuda_templateIN3c104HalfEEESt5tupleIJNSA_6TensorESH_SH_EERKSH_lbbbEUlllE_EE10hipError_tT0_T1_T2_jT3_P12ihipStream_tbPNSt15iterator_traitsISN_E10value_typeEPNST_ISO_E10value_typeEPSP_NS1_7vsmem_tEENKUlT_SN_SO_SP_E_clIS8_S8_S9_S9_EESM_S12_SN_SO_SP_EUlS12_E1_NS1_11comp_targetILNS1_3genE2ELNS1_11target_archE906ELNS1_3gpuE6ELNS1_3repE0EEENS1_36merge_oddeven_config_static_selectorELNS0_4arch9wavefront6targetE1EEEvSO_,"axG",@progbits,_ZN7rocprim17ROCPRIM_400000_NS6detail17trampoline_kernelINS0_14default_configENS1_38merge_sort_block_merge_config_selectorIlNS0_10empty_typeEEEZZNS1_27merge_sort_block_merge_implIS3_PlPS5_mZN2at6native12_GLOBAL__N_124unique_dim_cuda_templateIN3c104HalfEEESt5tupleIJNSA_6TensorESH_SH_EERKSH_lbbbEUlllE_EE10hipError_tT0_T1_T2_jT3_P12ihipStream_tbPNSt15iterator_traitsISN_E10value_typeEPNST_ISO_E10value_typeEPSP_NS1_7vsmem_tEENKUlT_SN_SO_SP_E_clIS8_S8_S9_S9_EESM_S12_SN_SO_SP_EUlS12_E1_NS1_11comp_targetILNS1_3genE2ELNS1_11target_archE906ELNS1_3gpuE6ELNS1_3repE0EEENS1_36merge_oddeven_config_static_selectorELNS0_4arch9wavefront6targetE1EEEvSO_,comdat
.Lfunc_end1269:
	.size	_ZN7rocprim17ROCPRIM_400000_NS6detail17trampoline_kernelINS0_14default_configENS1_38merge_sort_block_merge_config_selectorIlNS0_10empty_typeEEEZZNS1_27merge_sort_block_merge_implIS3_PlPS5_mZN2at6native12_GLOBAL__N_124unique_dim_cuda_templateIN3c104HalfEEESt5tupleIJNSA_6TensorESH_SH_EERKSH_lbbbEUlllE_EE10hipError_tT0_T1_T2_jT3_P12ihipStream_tbPNSt15iterator_traitsISN_E10value_typeEPNST_ISO_E10value_typeEPSP_NS1_7vsmem_tEENKUlT_SN_SO_SP_E_clIS8_S8_S9_S9_EESM_S12_SN_SO_SP_EUlS12_E1_NS1_11comp_targetILNS1_3genE2ELNS1_11target_archE906ELNS1_3gpuE6ELNS1_3repE0EEENS1_36merge_oddeven_config_static_selectorELNS0_4arch9wavefront6targetE1EEEvSO_, .Lfunc_end1269-_ZN7rocprim17ROCPRIM_400000_NS6detail17trampoline_kernelINS0_14default_configENS1_38merge_sort_block_merge_config_selectorIlNS0_10empty_typeEEEZZNS1_27merge_sort_block_merge_implIS3_PlPS5_mZN2at6native12_GLOBAL__N_124unique_dim_cuda_templateIN3c104HalfEEESt5tupleIJNSA_6TensorESH_SH_EERKSH_lbbbEUlllE_EE10hipError_tT0_T1_T2_jT3_P12ihipStream_tbPNSt15iterator_traitsISN_E10value_typeEPNST_ISO_E10value_typeEPSP_NS1_7vsmem_tEENKUlT_SN_SO_SP_E_clIS8_S8_S9_S9_EESM_S12_SN_SO_SP_EUlS12_E1_NS1_11comp_targetILNS1_3genE2ELNS1_11target_archE906ELNS1_3gpuE6ELNS1_3repE0EEENS1_36merge_oddeven_config_static_selectorELNS0_4arch9wavefront6targetE1EEEvSO_
                                        ; -- End function
	.set _ZN7rocprim17ROCPRIM_400000_NS6detail17trampoline_kernelINS0_14default_configENS1_38merge_sort_block_merge_config_selectorIlNS0_10empty_typeEEEZZNS1_27merge_sort_block_merge_implIS3_PlPS5_mZN2at6native12_GLOBAL__N_124unique_dim_cuda_templateIN3c104HalfEEESt5tupleIJNSA_6TensorESH_SH_EERKSH_lbbbEUlllE_EE10hipError_tT0_T1_T2_jT3_P12ihipStream_tbPNSt15iterator_traitsISN_E10value_typeEPNST_ISO_E10value_typeEPSP_NS1_7vsmem_tEENKUlT_SN_SO_SP_E_clIS8_S8_S9_S9_EESM_S12_SN_SO_SP_EUlS12_E1_NS1_11comp_targetILNS1_3genE2ELNS1_11target_archE906ELNS1_3gpuE6ELNS1_3repE0EEENS1_36merge_oddeven_config_static_selectorELNS0_4arch9wavefront6targetE1EEEvSO_.num_vgpr, 0
	.set _ZN7rocprim17ROCPRIM_400000_NS6detail17trampoline_kernelINS0_14default_configENS1_38merge_sort_block_merge_config_selectorIlNS0_10empty_typeEEEZZNS1_27merge_sort_block_merge_implIS3_PlPS5_mZN2at6native12_GLOBAL__N_124unique_dim_cuda_templateIN3c104HalfEEESt5tupleIJNSA_6TensorESH_SH_EERKSH_lbbbEUlllE_EE10hipError_tT0_T1_T2_jT3_P12ihipStream_tbPNSt15iterator_traitsISN_E10value_typeEPNST_ISO_E10value_typeEPSP_NS1_7vsmem_tEENKUlT_SN_SO_SP_E_clIS8_S8_S9_S9_EESM_S12_SN_SO_SP_EUlS12_E1_NS1_11comp_targetILNS1_3genE2ELNS1_11target_archE906ELNS1_3gpuE6ELNS1_3repE0EEENS1_36merge_oddeven_config_static_selectorELNS0_4arch9wavefront6targetE1EEEvSO_.num_agpr, 0
	.set _ZN7rocprim17ROCPRIM_400000_NS6detail17trampoline_kernelINS0_14default_configENS1_38merge_sort_block_merge_config_selectorIlNS0_10empty_typeEEEZZNS1_27merge_sort_block_merge_implIS3_PlPS5_mZN2at6native12_GLOBAL__N_124unique_dim_cuda_templateIN3c104HalfEEESt5tupleIJNSA_6TensorESH_SH_EERKSH_lbbbEUlllE_EE10hipError_tT0_T1_T2_jT3_P12ihipStream_tbPNSt15iterator_traitsISN_E10value_typeEPNST_ISO_E10value_typeEPSP_NS1_7vsmem_tEENKUlT_SN_SO_SP_E_clIS8_S8_S9_S9_EESM_S12_SN_SO_SP_EUlS12_E1_NS1_11comp_targetILNS1_3genE2ELNS1_11target_archE906ELNS1_3gpuE6ELNS1_3repE0EEENS1_36merge_oddeven_config_static_selectorELNS0_4arch9wavefront6targetE1EEEvSO_.numbered_sgpr, 0
	.set _ZN7rocprim17ROCPRIM_400000_NS6detail17trampoline_kernelINS0_14default_configENS1_38merge_sort_block_merge_config_selectorIlNS0_10empty_typeEEEZZNS1_27merge_sort_block_merge_implIS3_PlPS5_mZN2at6native12_GLOBAL__N_124unique_dim_cuda_templateIN3c104HalfEEESt5tupleIJNSA_6TensorESH_SH_EERKSH_lbbbEUlllE_EE10hipError_tT0_T1_T2_jT3_P12ihipStream_tbPNSt15iterator_traitsISN_E10value_typeEPNST_ISO_E10value_typeEPSP_NS1_7vsmem_tEENKUlT_SN_SO_SP_E_clIS8_S8_S9_S9_EESM_S12_SN_SO_SP_EUlS12_E1_NS1_11comp_targetILNS1_3genE2ELNS1_11target_archE906ELNS1_3gpuE6ELNS1_3repE0EEENS1_36merge_oddeven_config_static_selectorELNS0_4arch9wavefront6targetE1EEEvSO_.num_named_barrier, 0
	.set _ZN7rocprim17ROCPRIM_400000_NS6detail17trampoline_kernelINS0_14default_configENS1_38merge_sort_block_merge_config_selectorIlNS0_10empty_typeEEEZZNS1_27merge_sort_block_merge_implIS3_PlPS5_mZN2at6native12_GLOBAL__N_124unique_dim_cuda_templateIN3c104HalfEEESt5tupleIJNSA_6TensorESH_SH_EERKSH_lbbbEUlllE_EE10hipError_tT0_T1_T2_jT3_P12ihipStream_tbPNSt15iterator_traitsISN_E10value_typeEPNST_ISO_E10value_typeEPSP_NS1_7vsmem_tEENKUlT_SN_SO_SP_E_clIS8_S8_S9_S9_EESM_S12_SN_SO_SP_EUlS12_E1_NS1_11comp_targetILNS1_3genE2ELNS1_11target_archE906ELNS1_3gpuE6ELNS1_3repE0EEENS1_36merge_oddeven_config_static_selectorELNS0_4arch9wavefront6targetE1EEEvSO_.private_seg_size, 0
	.set _ZN7rocprim17ROCPRIM_400000_NS6detail17trampoline_kernelINS0_14default_configENS1_38merge_sort_block_merge_config_selectorIlNS0_10empty_typeEEEZZNS1_27merge_sort_block_merge_implIS3_PlPS5_mZN2at6native12_GLOBAL__N_124unique_dim_cuda_templateIN3c104HalfEEESt5tupleIJNSA_6TensorESH_SH_EERKSH_lbbbEUlllE_EE10hipError_tT0_T1_T2_jT3_P12ihipStream_tbPNSt15iterator_traitsISN_E10value_typeEPNST_ISO_E10value_typeEPSP_NS1_7vsmem_tEENKUlT_SN_SO_SP_E_clIS8_S8_S9_S9_EESM_S12_SN_SO_SP_EUlS12_E1_NS1_11comp_targetILNS1_3genE2ELNS1_11target_archE906ELNS1_3gpuE6ELNS1_3repE0EEENS1_36merge_oddeven_config_static_selectorELNS0_4arch9wavefront6targetE1EEEvSO_.uses_vcc, 0
	.set _ZN7rocprim17ROCPRIM_400000_NS6detail17trampoline_kernelINS0_14default_configENS1_38merge_sort_block_merge_config_selectorIlNS0_10empty_typeEEEZZNS1_27merge_sort_block_merge_implIS3_PlPS5_mZN2at6native12_GLOBAL__N_124unique_dim_cuda_templateIN3c104HalfEEESt5tupleIJNSA_6TensorESH_SH_EERKSH_lbbbEUlllE_EE10hipError_tT0_T1_T2_jT3_P12ihipStream_tbPNSt15iterator_traitsISN_E10value_typeEPNST_ISO_E10value_typeEPSP_NS1_7vsmem_tEENKUlT_SN_SO_SP_E_clIS8_S8_S9_S9_EESM_S12_SN_SO_SP_EUlS12_E1_NS1_11comp_targetILNS1_3genE2ELNS1_11target_archE906ELNS1_3gpuE6ELNS1_3repE0EEENS1_36merge_oddeven_config_static_selectorELNS0_4arch9wavefront6targetE1EEEvSO_.uses_flat_scratch, 0
	.set _ZN7rocprim17ROCPRIM_400000_NS6detail17trampoline_kernelINS0_14default_configENS1_38merge_sort_block_merge_config_selectorIlNS0_10empty_typeEEEZZNS1_27merge_sort_block_merge_implIS3_PlPS5_mZN2at6native12_GLOBAL__N_124unique_dim_cuda_templateIN3c104HalfEEESt5tupleIJNSA_6TensorESH_SH_EERKSH_lbbbEUlllE_EE10hipError_tT0_T1_T2_jT3_P12ihipStream_tbPNSt15iterator_traitsISN_E10value_typeEPNST_ISO_E10value_typeEPSP_NS1_7vsmem_tEENKUlT_SN_SO_SP_E_clIS8_S8_S9_S9_EESM_S12_SN_SO_SP_EUlS12_E1_NS1_11comp_targetILNS1_3genE2ELNS1_11target_archE906ELNS1_3gpuE6ELNS1_3repE0EEENS1_36merge_oddeven_config_static_selectorELNS0_4arch9wavefront6targetE1EEEvSO_.has_dyn_sized_stack, 0
	.set _ZN7rocprim17ROCPRIM_400000_NS6detail17trampoline_kernelINS0_14default_configENS1_38merge_sort_block_merge_config_selectorIlNS0_10empty_typeEEEZZNS1_27merge_sort_block_merge_implIS3_PlPS5_mZN2at6native12_GLOBAL__N_124unique_dim_cuda_templateIN3c104HalfEEESt5tupleIJNSA_6TensorESH_SH_EERKSH_lbbbEUlllE_EE10hipError_tT0_T1_T2_jT3_P12ihipStream_tbPNSt15iterator_traitsISN_E10value_typeEPNST_ISO_E10value_typeEPSP_NS1_7vsmem_tEENKUlT_SN_SO_SP_E_clIS8_S8_S9_S9_EESM_S12_SN_SO_SP_EUlS12_E1_NS1_11comp_targetILNS1_3genE2ELNS1_11target_archE906ELNS1_3gpuE6ELNS1_3repE0EEENS1_36merge_oddeven_config_static_selectorELNS0_4arch9wavefront6targetE1EEEvSO_.has_recursion, 0
	.set _ZN7rocprim17ROCPRIM_400000_NS6detail17trampoline_kernelINS0_14default_configENS1_38merge_sort_block_merge_config_selectorIlNS0_10empty_typeEEEZZNS1_27merge_sort_block_merge_implIS3_PlPS5_mZN2at6native12_GLOBAL__N_124unique_dim_cuda_templateIN3c104HalfEEESt5tupleIJNSA_6TensorESH_SH_EERKSH_lbbbEUlllE_EE10hipError_tT0_T1_T2_jT3_P12ihipStream_tbPNSt15iterator_traitsISN_E10value_typeEPNST_ISO_E10value_typeEPSP_NS1_7vsmem_tEENKUlT_SN_SO_SP_E_clIS8_S8_S9_S9_EESM_S12_SN_SO_SP_EUlS12_E1_NS1_11comp_targetILNS1_3genE2ELNS1_11target_archE906ELNS1_3gpuE6ELNS1_3repE0EEENS1_36merge_oddeven_config_static_selectorELNS0_4arch9wavefront6targetE1EEEvSO_.has_indirect_call, 0
	.section	.AMDGPU.csdata,"",@progbits
; Kernel info:
; codeLenInByte = 0
; TotalNumSgprs: 6
; NumVgprs: 0
; NumAgprs: 0
; TotalNumVgprs: 0
; ScratchSize: 0
; MemoryBound: 0
; FloatMode: 240
; IeeeMode: 1
; LDSByteSize: 0 bytes/workgroup (compile time only)
; SGPRBlocks: 0
; VGPRBlocks: 0
; NumSGPRsForWavesPerEU: 6
; NumVGPRsForWavesPerEU: 1
; AccumOffset: 4
; Occupancy: 8
; WaveLimiterHint : 0
; COMPUTE_PGM_RSRC2:SCRATCH_EN: 0
; COMPUTE_PGM_RSRC2:USER_SGPR: 2
; COMPUTE_PGM_RSRC2:TRAP_HANDLER: 0
; COMPUTE_PGM_RSRC2:TGID_X_EN: 1
; COMPUTE_PGM_RSRC2:TGID_Y_EN: 0
; COMPUTE_PGM_RSRC2:TGID_Z_EN: 0
; COMPUTE_PGM_RSRC2:TIDIG_COMP_CNT: 0
; COMPUTE_PGM_RSRC3_GFX90A:ACCUM_OFFSET: 0
; COMPUTE_PGM_RSRC3_GFX90A:TG_SPLIT: 0
	.section	.text._ZN7rocprim17ROCPRIM_400000_NS6detail17trampoline_kernelINS0_14default_configENS1_38merge_sort_block_merge_config_selectorIlNS0_10empty_typeEEEZZNS1_27merge_sort_block_merge_implIS3_PlPS5_mZN2at6native12_GLOBAL__N_124unique_dim_cuda_templateIN3c104HalfEEESt5tupleIJNSA_6TensorESH_SH_EERKSH_lbbbEUlllE_EE10hipError_tT0_T1_T2_jT3_P12ihipStream_tbPNSt15iterator_traitsISN_E10value_typeEPNST_ISO_E10value_typeEPSP_NS1_7vsmem_tEENKUlT_SN_SO_SP_E_clIS8_S8_S9_S9_EESM_S12_SN_SO_SP_EUlS12_E1_NS1_11comp_targetILNS1_3genE9ELNS1_11target_archE1100ELNS1_3gpuE3ELNS1_3repE0EEENS1_36merge_oddeven_config_static_selectorELNS0_4arch9wavefront6targetE1EEEvSO_,"axG",@progbits,_ZN7rocprim17ROCPRIM_400000_NS6detail17trampoline_kernelINS0_14default_configENS1_38merge_sort_block_merge_config_selectorIlNS0_10empty_typeEEEZZNS1_27merge_sort_block_merge_implIS3_PlPS5_mZN2at6native12_GLOBAL__N_124unique_dim_cuda_templateIN3c104HalfEEESt5tupleIJNSA_6TensorESH_SH_EERKSH_lbbbEUlllE_EE10hipError_tT0_T1_T2_jT3_P12ihipStream_tbPNSt15iterator_traitsISN_E10value_typeEPNST_ISO_E10value_typeEPSP_NS1_7vsmem_tEENKUlT_SN_SO_SP_E_clIS8_S8_S9_S9_EESM_S12_SN_SO_SP_EUlS12_E1_NS1_11comp_targetILNS1_3genE9ELNS1_11target_archE1100ELNS1_3gpuE3ELNS1_3repE0EEENS1_36merge_oddeven_config_static_selectorELNS0_4arch9wavefront6targetE1EEEvSO_,comdat
	.globl	_ZN7rocprim17ROCPRIM_400000_NS6detail17trampoline_kernelINS0_14default_configENS1_38merge_sort_block_merge_config_selectorIlNS0_10empty_typeEEEZZNS1_27merge_sort_block_merge_implIS3_PlPS5_mZN2at6native12_GLOBAL__N_124unique_dim_cuda_templateIN3c104HalfEEESt5tupleIJNSA_6TensorESH_SH_EERKSH_lbbbEUlllE_EE10hipError_tT0_T1_T2_jT3_P12ihipStream_tbPNSt15iterator_traitsISN_E10value_typeEPNST_ISO_E10value_typeEPSP_NS1_7vsmem_tEENKUlT_SN_SO_SP_E_clIS8_S8_S9_S9_EESM_S12_SN_SO_SP_EUlS12_E1_NS1_11comp_targetILNS1_3genE9ELNS1_11target_archE1100ELNS1_3gpuE3ELNS1_3repE0EEENS1_36merge_oddeven_config_static_selectorELNS0_4arch9wavefront6targetE1EEEvSO_ ; -- Begin function _ZN7rocprim17ROCPRIM_400000_NS6detail17trampoline_kernelINS0_14default_configENS1_38merge_sort_block_merge_config_selectorIlNS0_10empty_typeEEEZZNS1_27merge_sort_block_merge_implIS3_PlPS5_mZN2at6native12_GLOBAL__N_124unique_dim_cuda_templateIN3c104HalfEEESt5tupleIJNSA_6TensorESH_SH_EERKSH_lbbbEUlllE_EE10hipError_tT0_T1_T2_jT3_P12ihipStream_tbPNSt15iterator_traitsISN_E10value_typeEPNST_ISO_E10value_typeEPSP_NS1_7vsmem_tEENKUlT_SN_SO_SP_E_clIS8_S8_S9_S9_EESM_S12_SN_SO_SP_EUlS12_E1_NS1_11comp_targetILNS1_3genE9ELNS1_11target_archE1100ELNS1_3gpuE3ELNS1_3repE0EEENS1_36merge_oddeven_config_static_selectorELNS0_4arch9wavefront6targetE1EEEvSO_
	.p2align	8
	.type	_ZN7rocprim17ROCPRIM_400000_NS6detail17trampoline_kernelINS0_14default_configENS1_38merge_sort_block_merge_config_selectorIlNS0_10empty_typeEEEZZNS1_27merge_sort_block_merge_implIS3_PlPS5_mZN2at6native12_GLOBAL__N_124unique_dim_cuda_templateIN3c104HalfEEESt5tupleIJNSA_6TensorESH_SH_EERKSH_lbbbEUlllE_EE10hipError_tT0_T1_T2_jT3_P12ihipStream_tbPNSt15iterator_traitsISN_E10value_typeEPNST_ISO_E10value_typeEPSP_NS1_7vsmem_tEENKUlT_SN_SO_SP_E_clIS8_S8_S9_S9_EESM_S12_SN_SO_SP_EUlS12_E1_NS1_11comp_targetILNS1_3genE9ELNS1_11target_archE1100ELNS1_3gpuE3ELNS1_3repE0EEENS1_36merge_oddeven_config_static_selectorELNS0_4arch9wavefront6targetE1EEEvSO_,@function
_ZN7rocprim17ROCPRIM_400000_NS6detail17trampoline_kernelINS0_14default_configENS1_38merge_sort_block_merge_config_selectorIlNS0_10empty_typeEEEZZNS1_27merge_sort_block_merge_implIS3_PlPS5_mZN2at6native12_GLOBAL__N_124unique_dim_cuda_templateIN3c104HalfEEESt5tupleIJNSA_6TensorESH_SH_EERKSH_lbbbEUlllE_EE10hipError_tT0_T1_T2_jT3_P12ihipStream_tbPNSt15iterator_traitsISN_E10value_typeEPNST_ISO_E10value_typeEPSP_NS1_7vsmem_tEENKUlT_SN_SO_SP_E_clIS8_S8_S9_S9_EESM_S12_SN_SO_SP_EUlS12_E1_NS1_11comp_targetILNS1_3genE9ELNS1_11target_archE1100ELNS1_3gpuE3ELNS1_3repE0EEENS1_36merge_oddeven_config_static_selectorELNS0_4arch9wavefront6targetE1EEEvSO_: ; @_ZN7rocprim17ROCPRIM_400000_NS6detail17trampoline_kernelINS0_14default_configENS1_38merge_sort_block_merge_config_selectorIlNS0_10empty_typeEEEZZNS1_27merge_sort_block_merge_implIS3_PlPS5_mZN2at6native12_GLOBAL__N_124unique_dim_cuda_templateIN3c104HalfEEESt5tupleIJNSA_6TensorESH_SH_EERKSH_lbbbEUlllE_EE10hipError_tT0_T1_T2_jT3_P12ihipStream_tbPNSt15iterator_traitsISN_E10value_typeEPNST_ISO_E10value_typeEPSP_NS1_7vsmem_tEENKUlT_SN_SO_SP_E_clIS8_S8_S9_S9_EESM_S12_SN_SO_SP_EUlS12_E1_NS1_11comp_targetILNS1_3genE9ELNS1_11target_archE1100ELNS1_3gpuE3ELNS1_3repE0EEENS1_36merge_oddeven_config_static_selectorELNS0_4arch9wavefront6targetE1EEEvSO_
; %bb.0:
	.section	.rodata,"a",@progbits
	.p2align	6, 0x0
	.amdhsa_kernel _ZN7rocprim17ROCPRIM_400000_NS6detail17trampoline_kernelINS0_14default_configENS1_38merge_sort_block_merge_config_selectorIlNS0_10empty_typeEEEZZNS1_27merge_sort_block_merge_implIS3_PlPS5_mZN2at6native12_GLOBAL__N_124unique_dim_cuda_templateIN3c104HalfEEESt5tupleIJNSA_6TensorESH_SH_EERKSH_lbbbEUlllE_EE10hipError_tT0_T1_T2_jT3_P12ihipStream_tbPNSt15iterator_traitsISN_E10value_typeEPNST_ISO_E10value_typeEPSP_NS1_7vsmem_tEENKUlT_SN_SO_SP_E_clIS8_S8_S9_S9_EESM_S12_SN_SO_SP_EUlS12_E1_NS1_11comp_targetILNS1_3genE9ELNS1_11target_archE1100ELNS1_3gpuE3ELNS1_3repE0EEENS1_36merge_oddeven_config_static_selectorELNS0_4arch9wavefront6targetE1EEEvSO_
		.amdhsa_group_segment_fixed_size 0
		.amdhsa_private_segment_fixed_size 0
		.amdhsa_kernarg_size 64
		.amdhsa_user_sgpr_count 2
		.amdhsa_user_sgpr_dispatch_ptr 0
		.amdhsa_user_sgpr_queue_ptr 0
		.amdhsa_user_sgpr_kernarg_segment_ptr 1
		.amdhsa_user_sgpr_dispatch_id 0
		.amdhsa_user_sgpr_kernarg_preload_length 0
		.amdhsa_user_sgpr_kernarg_preload_offset 0
		.amdhsa_user_sgpr_private_segment_size 0
		.amdhsa_uses_dynamic_stack 0
		.amdhsa_enable_private_segment 0
		.amdhsa_system_sgpr_workgroup_id_x 1
		.amdhsa_system_sgpr_workgroup_id_y 0
		.amdhsa_system_sgpr_workgroup_id_z 0
		.amdhsa_system_sgpr_workgroup_info 0
		.amdhsa_system_vgpr_workitem_id 0
		.amdhsa_next_free_vgpr 1
		.amdhsa_next_free_sgpr 0
		.amdhsa_accum_offset 4
		.amdhsa_reserve_vcc 0
		.amdhsa_float_round_mode_32 0
		.amdhsa_float_round_mode_16_64 0
		.amdhsa_float_denorm_mode_32 3
		.amdhsa_float_denorm_mode_16_64 3
		.amdhsa_dx10_clamp 1
		.amdhsa_ieee_mode 1
		.amdhsa_fp16_overflow 0
		.amdhsa_tg_split 0
		.amdhsa_exception_fp_ieee_invalid_op 0
		.amdhsa_exception_fp_denorm_src 0
		.amdhsa_exception_fp_ieee_div_zero 0
		.amdhsa_exception_fp_ieee_overflow 0
		.amdhsa_exception_fp_ieee_underflow 0
		.amdhsa_exception_fp_ieee_inexact 0
		.amdhsa_exception_int_div_zero 0
	.end_amdhsa_kernel
	.section	.text._ZN7rocprim17ROCPRIM_400000_NS6detail17trampoline_kernelINS0_14default_configENS1_38merge_sort_block_merge_config_selectorIlNS0_10empty_typeEEEZZNS1_27merge_sort_block_merge_implIS3_PlPS5_mZN2at6native12_GLOBAL__N_124unique_dim_cuda_templateIN3c104HalfEEESt5tupleIJNSA_6TensorESH_SH_EERKSH_lbbbEUlllE_EE10hipError_tT0_T1_T2_jT3_P12ihipStream_tbPNSt15iterator_traitsISN_E10value_typeEPNST_ISO_E10value_typeEPSP_NS1_7vsmem_tEENKUlT_SN_SO_SP_E_clIS8_S8_S9_S9_EESM_S12_SN_SO_SP_EUlS12_E1_NS1_11comp_targetILNS1_3genE9ELNS1_11target_archE1100ELNS1_3gpuE3ELNS1_3repE0EEENS1_36merge_oddeven_config_static_selectorELNS0_4arch9wavefront6targetE1EEEvSO_,"axG",@progbits,_ZN7rocprim17ROCPRIM_400000_NS6detail17trampoline_kernelINS0_14default_configENS1_38merge_sort_block_merge_config_selectorIlNS0_10empty_typeEEEZZNS1_27merge_sort_block_merge_implIS3_PlPS5_mZN2at6native12_GLOBAL__N_124unique_dim_cuda_templateIN3c104HalfEEESt5tupleIJNSA_6TensorESH_SH_EERKSH_lbbbEUlllE_EE10hipError_tT0_T1_T2_jT3_P12ihipStream_tbPNSt15iterator_traitsISN_E10value_typeEPNST_ISO_E10value_typeEPSP_NS1_7vsmem_tEENKUlT_SN_SO_SP_E_clIS8_S8_S9_S9_EESM_S12_SN_SO_SP_EUlS12_E1_NS1_11comp_targetILNS1_3genE9ELNS1_11target_archE1100ELNS1_3gpuE3ELNS1_3repE0EEENS1_36merge_oddeven_config_static_selectorELNS0_4arch9wavefront6targetE1EEEvSO_,comdat
.Lfunc_end1270:
	.size	_ZN7rocprim17ROCPRIM_400000_NS6detail17trampoline_kernelINS0_14default_configENS1_38merge_sort_block_merge_config_selectorIlNS0_10empty_typeEEEZZNS1_27merge_sort_block_merge_implIS3_PlPS5_mZN2at6native12_GLOBAL__N_124unique_dim_cuda_templateIN3c104HalfEEESt5tupleIJNSA_6TensorESH_SH_EERKSH_lbbbEUlllE_EE10hipError_tT0_T1_T2_jT3_P12ihipStream_tbPNSt15iterator_traitsISN_E10value_typeEPNST_ISO_E10value_typeEPSP_NS1_7vsmem_tEENKUlT_SN_SO_SP_E_clIS8_S8_S9_S9_EESM_S12_SN_SO_SP_EUlS12_E1_NS1_11comp_targetILNS1_3genE9ELNS1_11target_archE1100ELNS1_3gpuE3ELNS1_3repE0EEENS1_36merge_oddeven_config_static_selectorELNS0_4arch9wavefront6targetE1EEEvSO_, .Lfunc_end1270-_ZN7rocprim17ROCPRIM_400000_NS6detail17trampoline_kernelINS0_14default_configENS1_38merge_sort_block_merge_config_selectorIlNS0_10empty_typeEEEZZNS1_27merge_sort_block_merge_implIS3_PlPS5_mZN2at6native12_GLOBAL__N_124unique_dim_cuda_templateIN3c104HalfEEESt5tupleIJNSA_6TensorESH_SH_EERKSH_lbbbEUlllE_EE10hipError_tT0_T1_T2_jT3_P12ihipStream_tbPNSt15iterator_traitsISN_E10value_typeEPNST_ISO_E10value_typeEPSP_NS1_7vsmem_tEENKUlT_SN_SO_SP_E_clIS8_S8_S9_S9_EESM_S12_SN_SO_SP_EUlS12_E1_NS1_11comp_targetILNS1_3genE9ELNS1_11target_archE1100ELNS1_3gpuE3ELNS1_3repE0EEENS1_36merge_oddeven_config_static_selectorELNS0_4arch9wavefront6targetE1EEEvSO_
                                        ; -- End function
	.set _ZN7rocprim17ROCPRIM_400000_NS6detail17trampoline_kernelINS0_14default_configENS1_38merge_sort_block_merge_config_selectorIlNS0_10empty_typeEEEZZNS1_27merge_sort_block_merge_implIS3_PlPS5_mZN2at6native12_GLOBAL__N_124unique_dim_cuda_templateIN3c104HalfEEESt5tupleIJNSA_6TensorESH_SH_EERKSH_lbbbEUlllE_EE10hipError_tT0_T1_T2_jT3_P12ihipStream_tbPNSt15iterator_traitsISN_E10value_typeEPNST_ISO_E10value_typeEPSP_NS1_7vsmem_tEENKUlT_SN_SO_SP_E_clIS8_S8_S9_S9_EESM_S12_SN_SO_SP_EUlS12_E1_NS1_11comp_targetILNS1_3genE9ELNS1_11target_archE1100ELNS1_3gpuE3ELNS1_3repE0EEENS1_36merge_oddeven_config_static_selectorELNS0_4arch9wavefront6targetE1EEEvSO_.num_vgpr, 0
	.set _ZN7rocprim17ROCPRIM_400000_NS6detail17trampoline_kernelINS0_14default_configENS1_38merge_sort_block_merge_config_selectorIlNS0_10empty_typeEEEZZNS1_27merge_sort_block_merge_implIS3_PlPS5_mZN2at6native12_GLOBAL__N_124unique_dim_cuda_templateIN3c104HalfEEESt5tupleIJNSA_6TensorESH_SH_EERKSH_lbbbEUlllE_EE10hipError_tT0_T1_T2_jT3_P12ihipStream_tbPNSt15iterator_traitsISN_E10value_typeEPNST_ISO_E10value_typeEPSP_NS1_7vsmem_tEENKUlT_SN_SO_SP_E_clIS8_S8_S9_S9_EESM_S12_SN_SO_SP_EUlS12_E1_NS1_11comp_targetILNS1_3genE9ELNS1_11target_archE1100ELNS1_3gpuE3ELNS1_3repE0EEENS1_36merge_oddeven_config_static_selectorELNS0_4arch9wavefront6targetE1EEEvSO_.num_agpr, 0
	.set _ZN7rocprim17ROCPRIM_400000_NS6detail17trampoline_kernelINS0_14default_configENS1_38merge_sort_block_merge_config_selectorIlNS0_10empty_typeEEEZZNS1_27merge_sort_block_merge_implIS3_PlPS5_mZN2at6native12_GLOBAL__N_124unique_dim_cuda_templateIN3c104HalfEEESt5tupleIJNSA_6TensorESH_SH_EERKSH_lbbbEUlllE_EE10hipError_tT0_T1_T2_jT3_P12ihipStream_tbPNSt15iterator_traitsISN_E10value_typeEPNST_ISO_E10value_typeEPSP_NS1_7vsmem_tEENKUlT_SN_SO_SP_E_clIS8_S8_S9_S9_EESM_S12_SN_SO_SP_EUlS12_E1_NS1_11comp_targetILNS1_3genE9ELNS1_11target_archE1100ELNS1_3gpuE3ELNS1_3repE0EEENS1_36merge_oddeven_config_static_selectorELNS0_4arch9wavefront6targetE1EEEvSO_.numbered_sgpr, 0
	.set _ZN7rocprim17ROCPRIM_400000_NS6detail17trampoline_kernelINS0_14default_configENS1_38merge_sort_block_merge_config_selectorIlNS0_10empty_typeEEEZZNS1_27merge_sort_block_merge_implIS3_PlPS5_mZN2at6native12_GLOBAL__N_124unique_dim_cuda_templateIN3c104HalfEEESt5tupleIJNSA_6TensorESH_SH_EERKSH_lbbbEUlllE_EE10hipError_tT0_T1_T2_jT3_P12ihipStream_tbPNSt15iterator_traitsISN_E10value_typeEPNST_ISO_E10value_typeEPSP_NS1_7vsmem_tEENKUlT_SN_SO_SP_E_clIS8_S8_S9_S9_EESM_S12_SN_SO_SP_EUlS12_E1_NS1_11comp_targetILNS1_3genE9ELNS1_11target_archE1100ELNS1_3gpuE3ELNS1_3repE0EEENS1_36merge_oddeven_config_static_selectorELNS0_4arch9wavefront6targetE1EEEvSO_.num_named_barrier, 0
	.set _ZN7rocprim17ROCPRIM_400000_NS6detail17trampoline_kernelINS0_14default_configENS1_38merge_sort_block_merge_config_selectorIlNS0_10empty_typeEEEZZNS1_27merge_sort_block_merge_implIS3_PlPS5_mZN2at6native12_GLOBAL__N_124unique_dim_cuda_templateIN3c104HalfEEESt5tupleIJNSA_6TensorESH_SH_EERKSH_lbbbEUlllE_EE10hipError_tT0_T1_T2_jT3_P12ihipStream_tbPNSt15iterator_traitsISN_E10value_typeEPNST_ISO_E10value_typeEPSP_NS1_7vsmem_tEENKUlT_SN_SO_SP_E_clIS8_S8_S9_S9_EESM_S12_SN_SO_SP_EUlS12_E1_NS1_11comp_targetILNS1_3genE9ELNS1_11target_archE1100ELNS1_3gpuE3ELNS1_3repE0EEENS1_36merge_oddeven_config_static_selectorELNS0_4arch9wavefront6targetE1EEEvSO_.private_seg_size, 0
	.set _ZN7rocprim17ROCPRIM_400000_NS6detail17trampoline_kernelINS0_14default_configENS1_38merge_sort_block_merge_config_selectorIlNS0_10empty_typeEEEZZNS1_27merge_sort_block_merge_implIS3_PlPS5_mZN2at6native12_GLOBAL__N_124unique_dim_cuda_templateIN3c104HalfEEESt5tupleIJNSA_6TensorESH_SH_EERKSH_lbbbEUlllE_EE10hipError_tT0_T1_T2_jT3_P12ihipStream_tbPNSt15iterator_traitsISN_E10value_typeEPNST_ISO_E10value_typeEPSP_NS1_7vsmem_tEENKUlT_SN_SO_SP_E_clIS8_S8_S9_S9_EESM_S12_SN_SO_SP_EUlS12_E1_NS1_11comp_targetILNS1_3genE9ELNS1_11target_archE1100ELNS1_3gpuE3ELNS1_3repE0EEENS1_36merge_oddeven_config_static_selectorELNS0_4arch9wavefront6targetE1EEEvSO_.uses_vcc, 0
	.set _ZN7rocprim17ROCPRIM_400000_NS6detail17trampoline_kernelINS0_14default_configENS1_38merge_sort_block_merge_config_selectorIlNS0_10empty_typeEEEZZNS1_27merge_sort_block_merge_implIS3_PlPS5_mZN2at6native12_GLOBAL__N_124unique_dim_cuda_templateIN3c104HalfEEESt5tupleIJNSA_6TensorESH_SH_EERKSH_lbbbEUlllE_EE10hipError_tT0_T1_T2_jT3_P12ihipStream_tbPNSt15iterator_traitsISN_E10value_typeEPNST_ISO_E10value_typeEPSP_NS1_7vsmem_tEENKUlT_SN_SO_SP_E_clIS8_S8_S9_S9_EESM_S12_SN_SO_SP_EUlS12_E1_NS1_11comp_targetILNS1_3genE9ELNS1_11target_archE1100ELNS1_3gpuE3ELNS1_3repE0EEENS1_36merge_oddeven_config_static_selectorELNS0_4arch9wavefront6targetE1EEEvSO_.uses_flat_scratch, 0
	.set _ZN7rocprim17ROCPRIM_400000_NS6detail17trampoline_kernelINS0_14default_configENS1_38merge_sort_block_merge_config_selectorIlNS0_10empty_typeEEEZZNS1_27merge_sort_block_merge_implIS3_PlPS5_mZN2at6native12_GLOBAL__N_124unique_dim_cuda_templateIN3c104HalfEEESt5tupleIJNSA_6TensorESH_SH_EERKSH_lbbbEUlllE_EE10hipError_tT0_T1_T2_jT3_P12ihipStream_tbPNSt15iterator_traitsISN_E10value_typeEPNST_ISO_E10value_typeEPSP_NS1_7vsmem_tEENKUlT_SN_SO_SP_E_clIS8_S8_S9_S9_EESM_S12_SN_SO_SP_EUlS12_E1_NS1_11comp_targetILNS1_3genE9ELNS1_11target_archE1100ELNS1_3gpuE3ELNS1_3repE0EEENS1_36merge_oddeven_config_static_selectorELNS0_4arch9wavefront6targetE1EEEvSO_.has_dyn_sized_stack, 0
	.set _ZN7rocprim17ROCPRIM_400000_NS6detail17trampoline_kernelINS0_14default_configENS1_38merge_sort_block_merge_config_selectorIlNS0_10empty_typeEEEZZNS1_27merge_sort_block_merge_implIS3_PlPS5_mZN2at6native12_GLOBAL__N_124unique_dim_cuda_templateIN3c104HalfEEESt5tupleIJNSA_6TensorESH_SH_EERKSH_lbbbEUlllE_EE10hipError_tT0_T1_T2_jT3_P12ihipStream_tbPNSt15iterator_traitsISN_E10value_typeEPNST_ISO_E10value_typeEPSP_NS1_7vsmem_tEENKUlT_SN_SO_SP_E_clIS8_S8_S9_S9_EESM_S12_SN_SO_SP_EUlS12_E1_NS1_11comp_targetILNS1_3genE9ELNS1_11target_archE1100ELNS1_3gpuE3ELNS1_3repE0EEENS1_36merge_oddeven_config_static_selectorELNS0_4arch9wavefront6targetE1EEEvSO_.has_recursion, 0
	.set _ZN7rocprim17ROCPRIM_400000_NS6detail17trampoline_kernelINS0_14default_configENS1_38merge_sort_block_merge_config_selectorIlNS0_10empty_typeEEEZZNS1_27merge_sort_block_merge_implIS3_PlPS5_mZN2at6native12_GLOBAL__N_124unique_dim_cuda_templateIN3c104HalfEEESt5tupleIJNSA_6TensorESH_SH_EERKSH_lbbbEUlllE_EE10hipError_tT0_T1_T2_jT3_P12ihipStream_tbPNSt15iterator_traitsISN_E10value_typeEPNST_ISO_E10value_typeEPSP_NS1_7vsmem_tEENKUlT_SN_SO_SP_E_clIS8_S8_S9_S9_EESM_S12_SN_SO_SP_EUlS12_E1_NS1_11comp_targetILNS1_3genE9ELNS1_11target_archE1100ELNS1_3gpuE3ELNS1_3repE0EEENS1_36merge_oddeven_config_static_selectorELNS0_4arch9wavefront6targetE1EEEvSO_.has_indirect_call, 0
	.section	.AMDGPU.csdata,"",@progbits
; Kernel info:
; codeLenInByte = 0
; TotalNumSgprs: 6
; NumVgprs: 0
; NumAgprs: 0
; TotalNumVgprs: 0
; ScratchSize: 0
; MemoryBound: 0
; FloatMode: 240
; IeeeMode: 1
; LDSByteSize: 0 bytes/workgroup (compile time only)
; SGPRBlocks: 0
; VGPRBlocks: 0
; NumSGPRsForWavesPerEU: 6
; NumVGPRsForWavesPerEU: 1
; AccumOffset: 4
; Occupancy: 8
; WaveLimiterHint : 0
; COMPUTE_PGM_RSRC2:SCRATCH_EN: 0
; COMPUTE_PGM_RSRC2:USER_SGPR: 2
; COMPUTE_PGM_RSRC2:TRAP_HANDLER: 0
; COMPUTE_PGM_RSRC2:TGID_X_EN: 1
; COMPUTE_PGM_RSRC2:TGID_Y_EN: 0
; COMPUTE_PGM_RSRC2:TGID_Z_EN: 0
; COMPUTE_PGM_RSRC2:TIDIG_COMP_CNT: 0
; COMPUTE_PGM_RSRC3_GFX90A:ACCUM_OFFSET: 0
; COMPUTE_PGM_RSRC3_GFX90A:TG_SPLIT: 0
	.section	.text._ZN7rocprim17ROCPRIM_400000_NS6detail17trampoline_kernelINS0_14default_configENS1_38merge_sort_block_merge_config_selectorIlNS0_10empty_typeEEEZZNS1_27merge_sort_block_merge_implIS3_PlPS5_mZN2at6native12_GLOBAL__N_124unique_dim_cuda_templateIN3c104HalfEEESt5tupleIJNSA_6TensorESH_SH_EERKSH_lbbbEUlllE_EE10hipError_tT0_T1_T2_jT3_P12ihipStream_tbPNSt15iterator_traitsISN_E10value_typeEPNST_ISO_E10value_typeEPSP_NS1_7vsmem_tEENKUlT_SN_SO_SP_E_clIS8_S8_S9_S9_EESM_S12_SN_SO_SP_EUlS12_E1_NS1_11comp_targetILNS1_3genE8ELNS1_11target_archE1030ELNS1_3gpuE2ELNS1_3repE0EEENS1_36merge_oddeven_config_static_selectorELNS0_4arch9wavefront6targetE1EEEvSO_,"axG",@progbits,_ZN7rocprim17ROCPRIM_400000_NS6detail17trampoline_kernelINS0_14default_configENS1_38merge_sort_block_merge_config_selectorIlNS0_10empty_typeEEEZZNS1_27merge_sort_block_merge_implIS3_PlPS5_mZN2at6native12_GLOBAL__N_124unique_dim_cuda_templateIN3c104HalfEEESt5tupleIJNSA_6TensorESH_SH_EERKSH_lbbbEUlllE_EE10hipError_tT0_T1_T2_jT3_P12ihipStream_tbPNSt15iterator_traitsISN_E10value_typeEPNST_ISO_E10value_typeEPSP_NS1_7vsmem_tEENKUlT_SN_SO_SP_E_clIS8_S8_S9_S9_EESM_S12_SN_SO_SP_EUlS12_E1_NS1_11comp_targetILNS1_3genE8ELNS1_11target_archE1030ELNS1_3gpuE2ELNS1_3repE0EEENS1_36merge_oddeven_config_static_selectorELNS0_4arch9wavefront6targetE1EEEvSO_,comdat
	.globl	_ZN7rocprim17ROCPRIM_400000_NS6detail17trampoline_kernelINS0_14default_configENS1_38merge_sort_block_merge_config_selectorIlNS0_10empty_typeEEEZZNS1_27merge_sort_block_merge_implIS3_PlPS5_mZN2at6native12_GLOBAL__N_124unique_dim_cuda_templateIN3c104HalfEEESt5tupleIJNSA_6TensorESH_SH_EERKSH_lbbbEUlllE_EE10hipError_tT0_T1_T2_jT3_P12ihipStream_tbPNSt15iterator_traitsISN_E10value_typeEPNST_ISO_E10value_typeEPSP_NS1_7vsmem_tEENKUlT_SN_SO_SP_E_clIS8_S8_S9_S9_EESM_S12_SN_SO_SP_EUlS12_E1_NS1_11comp_targetILNS1_3genE8ELNS1_11target_archE1030ELNS1_3gpuE2ELNS1_3repE0EEENS1_36merge_oddeven_config_static_selectorELNS0_4arch9wavefront6targetE1EEEvSO_ ; -- Begin function _ZN7rocprim17ROCPRIM_400000_NS6detail17trampoline_kernelINS0_14default_configENS1_38merge_sort_block_merge_config_selectorIlNS0_10empty_typeEEEZZNS1_27merge_sort_block_merge_implIS3_PlPS5_mZN2at6native12_GLOBAL__N_124unique_dim_cuda_templateIN3c104HalfEEESt5tupleIJNSA_6TensorESH_SH_EERKSH_lbbbEUlllE_EE10hipError_tT0_T1_T2_jT3_P12ihipStream_tbPNSt15iterator_traitsISN_E10value_typeEPNST_ISO_E10value_typeEPSP_NS1_7vsmem_tEENKUlT_SN_SO_SP_E_clIS8_S8_S9_S9_EESM_S12_SN_SO_SP_EUlS12_E1_NS1_11comp_targetILNS1_3genE8ELNS1_11target_archE1030ELNS1_3gpuE2ELNS1_3repE0EEENS1_36merge_oddeven_config_static_selectorELNS0_4arch9wavefront6targetE1EEEvSO_
	.p2align	8
	.type	_ZN7rocprim17ROCPRIM_400000_NS6detail17trampoline_kernelINS0_14default_configENS1_38merge_sort_block_merge_config_selectorIlNS0_10empty_typeEEEZZNS1_27merge_sort_block_merge_implIS3_PlPS5_mZN2at6native12_GLOBAL__N_124unique_dim_cuda_templateIN3c104HalfEEESt5tupleIJNSA_6TensorESH_SH_EERKSH_lbbbEUlllE_EE10hipError_tT0_T1_T2_jT3_P12ihipStream_tbPNSt15iterator_traitsISN_E10value_typeEPNST_ISO_E10value_typeEPSP_NS1_7vsmem_tEENKUlT_SN_SO_SP_E_clIS8_S8_S9_S9_EESM_S12_SN_SO_SP_EUlS12_E1_NS1_11comp_targetILNS1_3genE8ELNS1_11target_archE1030ELNS1_3gpuE2ELNS1_3repE0EEENS1_36merge_oddeven_config_static_selectorELNS0_4arch9wavefront6targetE1EEEvSO_,@function
_ZN7rocprim17ROCPRIM_400000_NS6detail17trampoline_kernelINS0_14default_configENS1_38merge_sort_block_merge_config_selectorIlNS0_10empty_typeEEEZZNS1_27merge_sort_block_merge_implIS3_PlPS5_mZN2at6native12_GLOBAL__N_124unique_dim_cuda_templateIN3c104HalfEEESt5tupleIJNSA_6TensorESH_SH_EERKSH_lbbbEUlllE_EE10hipError_tT0_T1_T2_jT3_P12ihipStream_tbPNSt15iterator_traitsISN_E10value_typeEPNST_ISO_E10value_typeEPSP_NS1_7vsmem_tEENKUlT_SN_SO_SP_E_clIS8_S8_S9_S9_EESM_S12_SN_SO_SP_EUlS12_E1_NS1_11comp_targetILNS1_3genE8ELNS1_11target_archE1030ELNS1_3gpuE2ELNS1_3repE0EEENS1_36merge_oddeven_config_static_selectorELNS0_4arch9wavefront6targetE1EEEvSO_: ; @_ZN7rocprim17ROCPRIM_400000_NS6detail17trampoline_kernelINS0_14default_configENS1_38merge_sort_block_merge_config_selectorIlNS0_10empty_typeEEEZZNS1_27merge_sort_block_merge_implIS3_PlPS5_mZN2at6native12_GLOBAL__N_124unique_dim_cuda_templateIN3c104HalfEEESt5tupleIJNSA_6TensorESH_SH_EERKSH_lbbbEUlllE_EE10hipError_tT0_T1_T2_jT3_P12ihipStream_tbPNSt15iterator_traitsISN_E10value_typeEPNST_ISO_E10value_typeEPSP_NS1_7vsmem_tEENKUlT_SN_SO_SP_E_clIS8_S8_S9_S9_EESM_S12_SN_SO_SP_EUlS12_E1_NS1_11comp_targetILNS1_3genE8ELNS1_11target_archE1030ELNS1_3gpuE2ELNS1_3repE0EEENS1_36merge_oddeven_config_static_selectorELNS0_4arch9wavefront6targetE1EEEvSO_
; %bb.0:
	.section	.rodata,"a",@progbits
	.p2align	6, 0x0
	.amdhsa_kernel _ZN7rocprim17ROCPRIM_400000_NS6detail17trampoline_kernelINS0_14default_configENS1_38merge_sort_block_merge_config_selectorIlNS0_10empty_typeEEEZZNS1_27merge_sort_block_merge_implIS3_PlPS5_mZN2at6native12_GLOBAL__N_124unique_dim_cuda_templateIN3c104HalfEEESt5tupleIJNSA_6TensorESH_SH_EERKSH_lbbbEUlllE_EE10hipError_tT0_T1_T2_jT3_P12ihipStream_tbPNSt15iterator_traitsISN_E10value_typeEPNST_ISO_E10value_typeEPSP_NS1_7vsmem_tEENKUlT_SN_SO_SP_E_clIS8_S8_S9_S9_EESM_S12_SN_SO_SP_EUlS12_E1_NS1_11comp_targetILNS1_3genE8ELNS1_11target_archE1030ELNS1_3gpuE2ELNS1_3repE0EEENS1_36merge_oddeven_config_static_selectorELNS0_4arch9wavefront6targetE1EEEvSO_
		.amdhsa_group_segment_fixed_size 0
		.amdhsa_private_segment_fixed_size 0
		.amdhsa_kernarg_size 64
		.amdhsa_user_sgpr_count 2
		.amdhsa_user_sgpr_dispatch_ptr 0
		.amdhsa_user_sgpr_queue_ptr 0
		.amdhsa_user_sgpr_kernarg_segment_ptr 1
		.amdhsa_user_sgpr_dispatch_id 0
		.amdhsa_user_sgpr_kernarg_preload_length 0
		.amdhsa_user_sgpr_kernarg_preload_offset 0
		.amdhsa_user_sgpr_private_segment_size 0
		.amdhsa_uses_dynamic_stack 0
		.amdhsa_enable_private_segment 0
		.amdhsa_system_sgpr_workgroup_id_x 1
		.amdhsa_system_sgpr_workgroup_id_y 0
		.amdhsa_system_sgpr_workgroup_id_z 0
		.amdhsa_system_sgpr_workgroup_info 0
		.amdhsa_system_vgpr_workitem_id 0
		.amdhsa_next_free_vgpr 1
		.amdhsa_next_free_sgpr 0
		.amdhsa_accum_offset 4
		.amdhsa_reserve_vcc 0
		.amdhsa_float_round_mode_32 0
		.amdhsa_float_round_mode_16_64 0
		.amdhsa_float_denorm_mode_32 3
		.amdhsa_float_denorm_mode_16_64 3
		.amdhsa_dx10_clamp 1
		.amdhsa_ieee_mode 1
		.amdhsa_fp16_overflow 0
		.amdhsa_tg_split 0
		.amdhsa_exception_fp_ieee_invalid_op 0
		.amdhsa_exception_fp_denorm_src 0
		.amdhsa_exception_fp_ieee_div_zero 0
		.amdhsa_exception_fp_ieee_overflow 0
		.amdhsa_exception_fp_ieee_underflow 0
		.amdhsa_exception_fp_ieee_inexact 0
		.amdhsa_exception_int_div_zero 0
	.end_amdhsa_kernel
	.section	.text._ZN7rocprim17ROCPRIM_400000_NS6detail17trampoline_kernelINS0_14default_configENS1_38merge_sort_block_merge_config_selectorIlNS0_10empty_typeEEEZZNS1_27merge_sort_block_merge_implIS3_PlPS5_mZN2at6native12_GLOBAL__N_124unique_dim_cuda_templateIN3c104HalfEEESt5tupleIJNSA_6TensorESH_SH_EERKSH_lbbbEUlllE_EE10hipError_tT0_T1_T2_jT3_P12ihipStream_tbPNSt15iterator_traitsISN_E10value_typeEPNST_ISO_E10value_typeEPSP_NS1_7vsmem_tEENKUlT_SN_SO_SP_E_clIS8_S8_S9_S9_EESM_S12_SN_SO_SP_EUlS12_E1_NS1_11comp_targetILNS1_3genE8ELNS1_11target_archE1030ELNS1_3gpuE2ELNS1_3repE0EEENS1_36merge_oddeven_config_static_selectorELNS0_4arch9wavefront6targetE1EEEvSO_,"axG",@progbits,_ZN7rocprim17ROCPRIM_400000_NS6detail17trampoline_kernelINS0_14default_configENS1_38merge_sort_block_merge_config_selectorIlNS0_10empty_typeEEEZZNS1_27merge_sort_block_merge_implIS3_PlPS5_mZN2at6native12_GLOBAL__N_124unique_dim_cuda_templateIN3c104HalfEEESt5tupleIJNSA_6TensorESH_SH_EERKSH_lbbbEUlllE_EE10hipError_tT0_T1_T2_jT3_P12ihipStream_tbPNSt15iterator_traitsISN_E10value_typeEPNST_ISO_E10value_typeEPSP_NS1_7vsmem_tEENKUlT_SN_SO_SP_E_clIS8_S8_S9_S9_EESM_S12_SN_SO_SP_EUlS12_E1_NS1_11comp_targetILNS1_3genE8ELNS1_11target_archE1030ELNS1_3gpuE2ELNS1_3repE0EEENS1_36merge_oddeven_config_static_selectorELNS0_4arch9wavefront6targetE1EEEvSO_,comdat
.Lfunc_end1271:
	.size	_ZN7rocprim17ROCPRIM_400000_NS6detail17trampoline_kernelINS0_14default_configENS1_38merge_sort_block_merge_config_selectorIlNS0_10empty_typeEEEZZNS1_27merge_sort_block_merge_implIS3_PlPS5_mZN2at6native12_GLOBAL__N_124unique_dim_cuda_templateIN3c104HalfEEESt5tupleIJNSA_6TensorESH_SH_EERKSH_lbbbEUlllE_EE10hipError_tT0_T1_T2_jT3_P12ihipStream_tbPNSt15iterator_traitsISN_E10value_typeEPNST_ISO_E10value_typeEPSP_NS1_7vsmem_tEENKUlT_SN_SO_SP_E_clIS8_S8_S9_S9_EESM_S12_SN_SO_SP_EUlS12_E1_NS1_11comp_targetILNS1_3genE8ELNS1_11target_archE1030ELNS1_3gpuE2ELNS1_3repE0EEENS1_36merge_oddeven_config_static_selectorELNS0_4arch9wavefront6targetE1EEEvSO_, .Lfunc_end1271-_ZN7rocprim17ROCPRIM_400000_NS6detail17trampoline_kernelINS0_14default_configENS1_38merge_sort_block_merge_config_selectorIlNS0_10empty_typeEEEZZNS1_27merge_sort_block_merge_implIS3_PlPS5_mZN2at6native12_GLOBAL__N_124unique_dim_cuda_templateIN3c104HalfEEESt5tupleIJNSA_6TensorESH_SH_EERKSH_lbbbEUlllE_EE10hipError_tT0_T1_T2_jT3_P12ihipStream_tbPNSt15iterator_traitsISN_E10value_typeEPNST_ISO_E10value_typeEPSP_NS1_7vsmem_tEENKUlT_SN_SO_SP_E_clIS8_S8_S9_S9_EESM_S12_SN_SO_SP_EUlS12_E1_NS1_11comp_targetILNS1_3genE8ELNS1_11target_archE1030ELNS1_3gpuE2ELNS1_3repE0EEENS1_36merge_oddeven_config_static_selectorELNS0_4arch9wavefront6targetE1EEEvSO_
                                        ; -- End function
	.set _ZN7rocprim17ROCPRIM_400000_NS6detail17trampoline_kernelINS0_14default_configENS1_38merge_sort_block_merge_config_selectorIlNS0_10empty_typeEEEZZNS1_27merge_sort_block_merge_implIS3_PlPS5_mZN2at6native12_GLOBAL__N_124unique_dim_cuda_templateIN3c104HalfEEESt5tupleIJNSA_6TensorESH_SH_EERKSH_lbbbEUlllE_EE10hipError_tT0_T1_T2_jT3_P12ihipStream_tbPNSt15iterator_traitsISN_E10value_typeEPNST_ISO_E10value_typeEPSP_NS1_7vsmem_tEENKUlT_SN_SO_SP_E_clIS8_S8_S9_S9_EESM_S12_SN_SO_SP_EUlS12_E1_NS1_11comp_targetILNS1_3genE8ELNS1_11target_archE1030ELNS1_3gpuE2ELNS1_3repE0EEENS1_36merge_oddeven_config_static_selectorELNS0_4arch9wavefront6targetE1EEEvSO_.num_vgpr, 0
	.set _ZN7rocprim17ROCPRIM_400000_NS6detail17trampoline_kernelINS0_14default_configENS1_38merge_sort_block_merge_config_selectorIlNS0_10empty_typeEEEZZNS1_27merge_sort_block_merge_implIS3_PlPS5_mZN2at6native12_GLOBAL__N_124unique_dim_cuda_templateIN3c104HalfEEESt5tupleIJNSA_6TensorESH_SH_EERKSH_lbbbEUlllE_EE10hipError_tT0_T1_T2_jT3_P12ihipStream_tbPNSt15iterator_traitsISN_E10value_typeEPNST_ISO_E10value_typeEPSP_NS1_7vsmem_tEENKUlT_SN_SO_SP_E_clIS8_S8_S9_S9_EESM_S12_SN_SO_SP_EUlS12_E1_NS1_11comp_targetILNS1_3genE8ELNS1_11target_archE1030ELNS1_3gpuE2ELNS1_3repE0EEENS1_36merge_oddeven_config_static_selectorELNS0_4arch9wavefront6targetE1EEEvSO_.num_agpr, 0
	.set _ZN7rocprim17ROCPRIM_400000_NS6detail17trampoline_kernelINS0_14default_configENS1_38merge_sort_block_merge_config_selectorIlNS0_10empty_typeEEEZZNS1_27merge_sort_block_merge_implIS3_PlPS5_mZN2at6native12_GLOBAL__N_124unique_dim_cuda_templateIN3c104HalfEEESt5tupleIJNSA_6TensorESH_SH_EERKSH_lbbbEUlllE_EE10hipError_tT0_T1_T2_jT3_P12ihipStream_tbPNSt15iterator_traitsISN_E10value_typeEPNST_ISO_E10value_typeEPSP_NS1_7vsmem_tEENKUlT_SN_SO_SP_E_clIS8_S8_S9_S9_EESM_S12_SN_SO_SP_EUlS12_E1_NS1_11comp_targetILNS1_3genE8ELNS1_11target_archE1030ELNS1_3gpuE2ELNS1_3repE0EEENS1_36merge_oddeven_config_static_selectorELNS0_4arch9wavefront6targetE1EEEvSO_.numbered_sgpr, 0
	.set _ZN7rocprim17ROCPRIM_400000_NS6detail17trampoline_kernelINS0_14default_configENS1_38merge_sort_block_merge_config_selectorIlNS0_10empty_typeEEEZZNS1_27merge_sort_block_merge_implIS3_PlPS5_mZN2at6native12_GLOBAL__N_124unique_dim_cuda_templateIN3c104HalfEEESt5tupleIJNSA_6TensorESH_SH_EERKSH_lbbbEUlllE_EE10hipError_tT0_T1_T2_jT3_P12ihipStream_tbPNSt15iterator_traitsISN_E10value_typeEPNST_ISO_E10value_typeEPSP_NS1_7vsmem_tEENKUlT_SN_SO_SP_E_clIS8_S8_S9_S9_EESM_S12_SN_SO_SP_EUlS12_E1_NS1_11comp_targetILNS1_3genE8ELNS1_11target_archE1030ELNS1_3gpuE2ELNS1_3repE0EEENS1_36merge_oddeven_config_static_selectorELNS0_4arch9wavefront6targetE1EEEvSO_.num_named_barrier, 0
	.set _ZN7rocprim17ROCPRIM_400000_NS6detail17trampoline_kernelINS0_14default_configENS1_38merge_sort_block_merge_config_selectorIlNS0_10empty_typeEEEZZNS1_27merge_sort_block_merge_implIS3_PlPS5_mZN2at6native12_GLOBAL__N_124unique_dim_cuda_templateIN3c104HalfEEESt5tupleIJNSA_6TensorESH_SH_EERKSH_lbbbEUlllE_EE10hipError_tT0_T1_T2_jT3_P12ihipStream_tbPNSt15iterator_traitsISN_E10value_typeEPNST_ISO_E10value_typeEPSP_NS1_7vsmem_tEENKUlT_SN_SO_SP_E_clIS8_S8_S9_S9_EESM_S12_SN_SO_SP_EUlS12_E1_NS1_11comp_targetILNS1_3genE8ELNS1_11target_archE1030ELNS1_3gpuE2ELNS1_3repE0EEENS1_36merge_oddeven_config_static_selectorELNS0_4arch9wavefront6targetE1EEEvSO_.private_seg_size, 0
	.set _ZN7rocprim17ROCPRIM_400000_NS6detail17trampoline_kernelINS0_14default_configENS1_38merge_sort_block_merge_config_selectorIlNS0_10empty_typeEEEZZNS1_27merge_sort_block_merge_implIS3_PlPS5_mZN2at6native12_GLOBAL__N_124unique_dim_cuda_templateIN3c104HalfEEESt5tupleIJNSA_6TensorESH_SH_EERKSH_lbbbEUlllE_EE10hipError_tT0_T1_T2_jT3_P12ihipStream_tbPNSt15iterator_traitsISN_E10value_typeEPNST_ISO_E10value_typeEPSP_NS1_7vsmem_tEENKUlT_SN_SO_SP_E_clIS8_S8_S9_S9_EESM_S12_SN_SO_SP_EUlS12_E1_NS1_11comp_targetILNS1_3genE8ELNS1_11target_archE1030ELNS1_3gpuE2ELNS1_3repE0EEENS1_36merge_oddeven_config_static_selectorELNS0_4arch9wavefront6targetE1EEEvSO_.uses_vcc, 0
	.set _ZN7rocprim17ROCPRIM_400000_NS6detail17trampoline_kernelINS0_14default_configENS1_38merge_sort_block_merge_config_selectorIlNS0_10empty_typeEEEZZNS1_27merge_sort_block_merge_implIS3_PlPS5_mZN2at6native12_GLOBAL__N_124unique_dim_cuda_templateIN3c104HalfEEESt5tupleIJNSA_6TensorESH_SH_EERKSH_lbbbEUlllE_EE10hipError_tT0_T1_T2_jT3_P12ihipStream_tbPNSt15iterator_traitsISN_E10value_typeEPNST_ISO_E10value_typeEPSP_NS1_7vsmem_tEENKUlT_SN_SO_SP_E_clIS8_S8_S9_S9_EESM_S12_SN_SO_SP_EUlS12_E1_NS1_11comp_targetILNS1_3genE8ELNS1_11target_archE1030ELNS1_3gpuE2ELNS1_3repE0EEENS1_36merge_oddeven_config_static_selectorELNS0_4arch9wavefront6targetE1EEEvSO_.uses_flat_scratch, 0
	.set _ZN7rocprim17ROCPRIM_400000_NS6detail17trampoline_kernelINS0_14default_configENS1_38merge_sort_block_merge_config_selectorIlNS0_10empty_typeEEEZZNS1_27merge_sort_block_merge_implIS3_PlPS5_mZN2at6native12_GLOBAL__N_124unique_dim_cuda_templateIN3c104HalfEEESt5tupleIJNSA_6TensorESH_SH_EERKSH_lbbbEUlllE_EE10hipError_tT0_T1_T2_jT3_P12ihipStream_tbPNSt15iterator_traitsISN_E10value_typeEPNST_ISO_E10value_typeEPSP_NS1_7vsmem_tEENKUlT_SN_SO_SP_E_clIS8_S8_S9_S9_EESM_S12_SN_SO_SP_EUlS12_E1_NS1_11comp_targetILNS1_3genE8ELNS1_11target_archE1030ELNS1_3gpuE2ELNS1_3repE0EEENS1_36merge_oddeven_config_static_selectorELNS0_4arch9wavefront6targetE1EEEvSO_.has_dyn_sized_stack, 0
	.set _ZN7rocprim17ROCPRIM_400000_NS6detail17trampoline_kernelINS0_14default_configENS1_38merge_sort_block_merge_config_selectorIlNS0_10empty_typeEEEZZNS1_27merge_sort_block_merge_implIS3_PlPS5_mZN2at6native12_GLOBAL__N_124unique_dim_cuda_templateIN3c104HalfEEESt5tupleIJNSA_6TensorESH_SH_EERKSH_lbbbEUlllE_EE10hipError_tT0_T1_T2_jT3_P12ihipStream_tbPNSt15iterator_traitsISN_E10value_typeEPNST_ISO_E10value_typeEPSP_NS1_7vsmem_tEENKUlT_SN_SO_SP_E_clIS8_S8_S9_S9_EESM_S12_SN_SO_SP_EUlS12_E1_NS1_11comp_targetILNS1_3genE8ELNS1_11target_archE1030ELNS1_3gpuE2ELNS1_3repE0EEENS1_36merge_oddeven_config_static_selectorELNS0_4arch9wavefront6targetE1EEEvSO_.has_recursion, 0
	.set _ZN7rocprim17ROCPRIM_400000_NS6detail17trampoline_kernelINS0_14default_configENS1_38merge_sort_block_merge_config_selectorIlNS0_10empty_typeEEEZZNS1_27merge_sort_block_merge_implIS3_PlPS5_mZN2at6native12_GLOBAL__N_124unique_dim_cuda_templateIN3c104HalfEEESt5tupleIJNSA_6TensorESH_SH_EERKSH_lbbbEUlllE_EE10hipError_tT0_T1_T2_jT3_P12ihipStream_tbPNSt15iterator_traitsISN_E10value_typeEPNST_ISO_E10value_typeEPSP_NS1_7vsmem_tEENKUlT_SN_SO_SP_E_clIS8_S8_S9_S9_EESM_S12_SN_SO_SP_EUlS12_E1_NS1_11comp_targetILNS1_3genE8ELNS1_11target_archE1030ELNS1_3gpuE2ELNS1_3repE0EEENS1_36merge_oddeven_config_static_selectorELNS0_4arch9wavefront6targetE1EEEvSO_.has_indirect_call, 0
	.section	.AMDGPU.csdata,"",@progbits
; Kernel info:
; codeLenInByte = 0
; TotalNumSgprs: 6
; NumVgprs: 0
; NumAgprs: 0
; TotalNumVgprs: 0
; ScratchSize: 0
; MemoryBound: 0
; FloatMode: 240
; IeeeMode: 1
; LDSByteSize: 0 bytes/workgroup (compile time only)
; SGPRBlocks: 0
; VGPRBlocks: 0
; NumSGPRsForWavesPerEU: 6
; NumVGPRsForWavesPerEU: 1
; AccumOffset: 4
; Occupancy: 8
; WaveLimiterHint : 0
; COMPUTE_PGM_RSRC2:SCRATCH_EN: 0
; COMPUTE_PGM_RSRC2:USER_SGPR: 2
; COMPUTE_PGM_RSRC2:TRAP_HANDLER: 0
; COMPUTE_PGM_RSRC2:TGID_X_EN: 1
; COMPUTE_PGM_RSRC2:TGID_Y_EN: 0
; COMPUTE_PGM_RSRC2:TGID_Z_EN: 0
; COMPUTE_PGM_RSRC2:TIDIG_COMP_CNT: 0
; COMPUTE_PGM_RSRC3_GFX90A:ACCUM_OFFSET: 0
; COMPUTE_PGM_RSRC3_GFX90A:TG_SPLIT: 0
	.section	.text._ZN7rocprim17ROCPRIM_400000_NS6detail17trampoline_kernelINS0_14default_configENS1_35adjacent_difference_config_selectorILb0ElEEZNS1_24adjacent_difference_implIS3_Lb0ELb0EPlS7_ZN2at6native12_GLOBAL__N_124unique_dim_cuda_templateIN3c104HalfEEESt5tupleIJNS8_6TensorESF_SF_EERKSF_lbbbEUlllE1_EE10hipError_tPvRmT2_T3_mT4_P12ihipStream_tbEUlT_E_NS1_11comp_targetILNS1_3genE0ELNS1_11target_archE4294967295ELNS1_3gpuE0ELNS1_3repE0EEENS1_30default_config_static_selectorELNS0_4arch9wavefront6targetE1EEEvT1_,"axG",@progbits,_ZN7rocprim17ROCPRIM_400000_NS6detail17trampoline_kernelINS0_14default_configENS1_35adjacent_difference_config_selectorILb0ElEEZNS1_24adjacent_difference_implIS3_Lb0ELb0EPlS7_ZN2at6native12_GLOBAL__N_124unique_dim_cuda_templateIN3c104HalfEEESt5tupleIJNS8_6TensorESF_SF_EERKSF_lbbbEUlllE1_EE10hipError_tPvRmT2_T3_mT4_P12ihipStream_tbEUlT_E_NS1_11comp_targetILNS1_3genE0ELNS1_11target_archE4294967295ELNS1_3gpuE0ELNS1_3repE0EEENS1_30default_config_static_selectorELNS0_4arch9wavefront6targetE1EEEvT1_,comdat
	.globl	_ZN7rocprim17ROCPRIM_400000_NS6detail17trampoline_kernelINS0_14default_configENS1_35adjacent_difference_config_selectorILb0ElEEZNS1_24adjacent_difference_implIS3_Lb0ELb0EPlS7_ZN2at6native12_GLOBAL__N_124unique_dim_cuda_templateIN3c104HalfEEESt5tupleIJNS8_6TensorESF_SF_EERKSF_lbbbEUlllE1_EE10hipError_tPvRmT2_T3_mT4_P12ihipStream_tbEUlT_E_NS1_11comp_targetILNS1_3genE0ELNS1_11target_archE4294967295ELNS1_3gpuE0ELNS1_3repE0EEENS1_30default_config_static_selectorELNS0_4arch9wavefront6targetE1EEEvT1_ ; -- Begin function _ZN7rocprim17ROCPRIM_400000_NS6detail17trampoline_kernelINS0_14default_configENS1_35adjacent_difference_config_selectorILb0ElEEZNS1_24adjacent_difference_implIS3_Lb0ELb0EPlS7_ZN2at6native12_GLOBAL__N_124unique_dim_cuda_templateIN3c104HalfEEESt5tupleIJNS8_6TensorESF_SF_EERKSF_lbbbEUlllE1_EE10hipError_tPvRmT2_T3_mT4_P12ihipStream_tbEUlT_E_NS1_11comp_targetILNS1_3genE0ELNS1_11target_archE4294967295ELNS1_3gpuE0ELNS1_3repE0EEENS1_30default_config_static_selectorELNS0_4arch9wavefront6targetE1EEEvT1_
	.p2align	8
	.type	_ZN7rocprim17ROCPRIM_400000_NS6detail17trampoline_kernelINS0_14default_configENS1_35adjacent_difference_config_selectorILb0ElEEZNS1_24adjacent_difference_implIS3_Lb0ELb0EPlS7_ZN2at6native12_GLOBAL__N_124unique_dim_cuda_templateIN3c104HalfEEESt5tupleIJNS8_6TensorESF_SF_EERKSF_lbbbEUlllE1_EE10hipError_tPvRmT2_T3_mT4_P12ihipStream_tbEUlT_E_NS1_11comp_targetILNS1_3genE0ELNS1_11target_archE4294967295ELNS1_3gpuE0ELNS1_3repE0EEENS1_30default_config_static_selectorELNS0_4arch9wavefront6targetE1EEEvT1_,@function
_ZN7rocprim17ROCPRIM_400000_NS6detail17trampoline_kernelINS0_14default_configENS1_35adjacent_difference_config_selectorILb0ElEEZNS1_24adjacent_difference_implIS3_Lb0ELb0EPlS7_ZN2at6native12_GLOBAL__N_124unique_dim_cuda_templateIN3c104HalfEEESt5tupleIJNS8_6TensorESF_SF_EERKSF_lbbbEUlllE1_EE10hipError_tPvRmT2_T3_mT4_P12ihipStream_tbEUlT_E_NS1_11comp_targetILNS1_3genE0ELNS1_11target_archE4294967295ELNS1_3gpuE0ELNS1_3repE0EEENS1_30default_config_static_selectorELNS0_4arch9wavefront6targetE1EEEvT1_: ; @_ZN7rocprim17ROCPRIM_400000_NS6detail17trampoline_kernelINS0_14default_configENS1_35adjacent_difference_config_selectorILb0ElEEZNS1_24adjacent_difference_implIS3_Lb0ELb0EPlS7_ZN2at6native12_GLOBAL__N_124unique_dim_cuda_templateIN3c104HalfEEESt5tupleIJNS8_6TensorESF_SF_EERKSF_lbbbEUlllE1_EE10hipError_tPvRmT2_T3_mT4_P12ihipStream_tbEUlT_E_NS1_11comp_targetILNS1_3genE0ELNS1_11target_archE4294967295ELNS1_3gpuE0ELNS1_3repE0EEENS1_30default_config_static_selectorELNS0_4arch9wavefront6targetE1EEEvT1_
; %bb.0:
	s_load_dwordx8 s[4:11], s[0:1], 0x0
	s_load_dwordx4 s[12:15], s[0:1], 0x20
	s_load_dwordx2 s[16:17], s[0:1], 0x38
	s_mov_b32 s19, 0
	s_mov_b64 s[20:21], -1
	s_waitcnt lgkmcnt(0)
	s_lshl_b64 s[6:7], s[6:7], 3
	s_add_u32 s22, s4, s6
	s_addc_u32 s23, s5, s7
	s_lshl_b32 s4, s2, 7
	s_lshr_b64 s[0:1], s[10:11], 7
	s_and_b32 s18, s10, 0x7f
	s_cmp_lg_u64 s[18:19], 0
	s_cselect_b64 s[18:19], -1, 0
	v_cndmask_b32_e64 v1, 0, 1, s[18:19]
	s_nop 0
	v_readfirstlane_b32 s3, v1
	s_add_u32 s18, s0, s3
	s_addc_u32 s19, s1, 0
	s_add_u32 s2, s16, s2
	s_addc_u32 s3, s17, 0
	s_add_u32 s16, s18, -1
	s_addc_u32 s17, s19, -1
	v_mov_b64_e32 v[2:3], s[16:17]
	v_cmp_ge_u64_e64 s[0:1], s[2:3], v[2:3]
	s_and_b64 vcc, exec, s[0:1]
                                        ; implicit-def: $vgpr1
	s_cbranch_vccz .LBB1272_4
; %bb.1:
	s_lshl_b32 s5, s16, 7
	s_sub_i32 s5, s10, s5
	v_cmp_gt_u32_e32 vcc, s5, v0
                                        ; implicit-def: $vgpr2_vgpr3
	s_and_saveexec_b64 s[20:21], vcc
	s_cbranch_execz .LBB1272_3
; %bb.2:
	s_mov_b32 s5, 0
	s_lshl_b64 s[24:25], s[4:5], 3
	s_add_u32 s24, s22, s24
	s_addc_u32 s25, s23, s25
	v_lshlrev_b32_e32 v1, 3, v0
	global_load_dwordx2 v[2:3], v1, s[24:25]
.LBB1272_3:
	s_or_b64 exec, exec, s[20:21]
	v_lshlrev_b32_e32 v1, 3, v0
	s_mov_b64 s[20:21], 0
	s_waitcnt vmcnt(0)
	ds_write_b64 v1, v[2:3]
	s_waitcnt lgkmcnt(0)
	s_barrier
.LBB1272_4:
	s_and_b64 vcc, exec, s[20:21]
	s_cbranch_vccz .LBB1272_6
; %bb.5:
	s_mov_b32 s5, 0
	s_lshl_b64 s[20:21], s[4:5], 3
	s_add_u32 s20, s22, s20
	s_addc_u32 s21, s23, s21
	v_lshlrev_b32_e32 v1, 3, v0
	global_load_dwordx2 v[2:3], v1, s[20:21]
	s_waitcnt vmcnt(0)
	ds_write_b64 v1, v[2:3]
	s_waitcnt lgkmcnt(0)
	s_barrier
.LBB1272_6:
	ds_read_b64 v[2:3], v1
	s_cmp_eq_u64 s[2:3], 0
	s_waitcnt lgkmcnt(0)
	s_barrier
	s_cbranch_scc1 .LBB1272_15
; %bb.7:
	s_mov_b32 s5, 0
	s_lshl_b64 s[20:21], s[4:5], 3
	s_add_u32 s5, s22, s20
	s_addc_u32 s11, s23, s21
	s_add_u32 s20, s5, -8
	s_addc_u32 s21, s11, -1
	s_load_dwordx2 s[20:21], s[20:21], 0x0
	s_cmp_eq_u64 s[2:3], s[16:17]
	s_cbranch_scc1 .LBB1272_16
; %bb.8:
	v_lshlrev_b32_e32 v1, 3, v0
	v_cmp_ne_u32_e32 vcc, 0, v0
	s_waitcnt lgkmcnt(0)
	v_mov_b64_e32 v[6:7], s[20:21]
	ds_write_b64 v1, v[2:3]
	s_waitcnt lgkmcnt(0)
	s_barrier
	s_and_saveexec_b64 s[22:23], vcc
; %bb.9:
	v_add_u32_e32 v1, -8, v1
	ds_read_b64 v[6:7], v1
; %bb.10:
	s_or_b64 exec, exec, s[22:23]
	v_cmp_lt_i64_e64 s[22:23], s[12:13], 1
	s_and_b64 vcc, exec, s[22:23]
	s_cbranch_vccnz .LBB1272_18
; %bb.11:
	v_mul_lo_u32 v1, v3, s12
	v_mul_lo_u32 v8, v2, s13
	v_mad_u64_u32 v[4:5], s[22:23], v2, s12, 0
	v_add3_u32 v5, v5, v8, v1
	s_waitcnt lgkmcnt(0)
	v_mul_lo_u32 v1, v7, s12
	v_mul_lo_u32 v8, v6, s13
	v_mad_u64_u32 v[6:7], s[22:23], v6, s12, 0
	v_add3_u32 v7, v7, v8, v1
	v_lshl_add_u64 v[4:5], v[4:5], 1, s[14:15]
	v_lshl_add_u64 v[6:7], v[6:7], 1, s[14:15]
	s_mov_b64 s[22:23], 0
	s_mov_b64 s[24:25], s[12:13]
                                        ; implicit-def: $sgpr26_sgpr27
	s_branch .LBB1272_13
.LBB1272_12:                            ;   in Loop: Header=BB1272_13 Depth=1
	s_or_b64 exec, exec, s[28:29]
	s_and_b64 s[28:29], exec, s[26:27]
	s_or_b64 s[22:23], s[28:29], s[22:23]
	s_andn2_b64 exec, exec, s[22:23]
	s_cbranch_execz .LBB1272_17
.LBB1272_13:                            ; =>This Inner Loop Header: Depth=1
	global_load_ushort v1, v[4:5], off
	global_load_ushort v10, v[6:7], off
	v_mov_b64_e32 v[8:9], 1
	s_or_b64 s[26:27], s[26:27], exec
	s_waitcnt vmcnt(0)
	v_cmp_eq_f16_e32 vcc, v1, v10
	s_and_saveexec_b64 s[28:29], vcc
	s_cbranch_execz .LBB1272_12
; %bb.14:                               ;   in Loop: Header=BB1272_13 Depth=1
	s_add_u32 s24, s24, -1
	s_addc_u32 s25, s25, -1
	s_cmp_eq_u64 s[24:25], 0
	s_cselect_b64 s[30:31], -1, 0
	s_andn2_b64 s[26:27], s[26:27], exec
	s_and_b64 s[30:31], s[30:31], exec
	v_lshl_add_u64 v[4:5], v[4:5], 0, 2
	v_lshl_add_u64 v[6:7], v[6:7], 0, 2
	v_mov_b64_e32 v[8:9], 0
	s_or_b64 s[26:27], s[26:27], s[30:31]
	s_branch .LBB1272_12
.LBB1272_15:
                                        ; implicit-def: $vgpr8_vgpr9
	s_branch .LBB1272_31
.LBB1272_16:
                                        ; implicit-def: $vgpr8_vgpr9
	s_cbranch_execnz .LBB1272_19
	s_branch .LBB1272_30
.LBB1272_17:
	s_or_b64 exec, exec, s[22:23]
	s_branch .LBB1272_30
.LBB1272_18:
	v_mov_b64_e32 v[8:9], 0
	s_branch .LBB1272_30
.LBB1272_19:
	v_lshlrev_b32_e32 v1, 3, v0
	v_cmp_ne_u32_e32 vcc, 0, v0
	s_waitcnt lgkmcnt(0)
	v_mov_b64_e32 v[6:7], s[20:21]
	ds_write_b64 v1, v[2:3]
	s_waitcnt lgkmcnt(0)
	s_barrier
	s_and_saveexec_b64 s[20:21], vcc
; %bb.20:
	v_add_u32_e32 v1, -8, v1
	ds_read_b64 v[6:7], v1
; %bb.21:
	s_or_b64 exec, exec, s[20:21]
	s_lshl_b32 s2, s2, 7
	s_sub_i32 s2, s10, s2
	v_cmp_gt_u32_e32 vcc, s2, v0
	v_mov_b64_e32 v[8:9], v[2:3]
	s_and_saveexec_b64 s[2:3], vcc
	s_cbranch_execz .LBB1272_29
; %bb.22:
	v_cmp_lt_i64_e64 s[20:21], s[12:13], 1
	s_and_b64 vcc, exec, s[20:21]
	s_cbranch_vccnz .LBB1272_28
; %bb.23:
	v_mul_lo_u32 v1, v3, s12
	v_mul_lo_u32 v8, v2, s13
	v_mad_u64_u32 v[4:5], s[20:21], v2, s12, 0
	v_add3_u32 v5, v5, v8, v1
	s_waitcnt lgkmcnt(0)
	v_mul_lo_u32 v1, v7, s12
	v_mul_lo_u32 v8, v6, s13
	v_mad_u64_u32 v[6:7], s[20:21], v6, s12, 0
	v_add3_u32 v7, v7, v8, v1
	v_lshl_add_u64 v[4:5], v[4:5], 1, s[14:15]
	v_lshl_add_u64 v[6:7], v[6:7], 1, s[14:15]
	s_mov_b64 s[20:21], 0
	s_mov_b64 s[22:23], s[12:13]
                                        ; implicit-def: $sgpr24_sgpr25
	s_branch .LBB1272_25
.LBB1272_24:                            ;   in Loop: Header=BB1272_25 Depth=1
	s_or_b64 exec, exec, s[26:27]
	s_and_b64 s[26:27], exec, s[24:25]
	s_or_b64 s[20:21], s[26:27], s[20:21]
	s_andn2_b64 exec, exec, s[20:21]
	s_cbranch_execz .LBB1272_27
.LBB1272_25:                            ; =>This Inner Loop Header: Depth=1
	global_load_ushort v1, v[4:5], off
	global_load_ushort v10, v[6:7], off
	v_mov_b64_e32 v[8:9], 1
	s_or_b64 s[24:25], s[24:25], exec
	s_waitcnt vmcnt(0)
	v_cmp_eq_f16_e32 vcc, v1, v10
	s_and_saveexec_b64 s[26:27], vcc
	s_cbranch_execz .LBB1272_24
; %bb.26:                               ;   in Loop: Header=BB1272_25 Depth=1
	s_add_u32 s22, s22, -1
	s_addc_u32 s23, s23, -1
	s_cmp_eq_u64 s[22:23], 0
	s_cselect_b64 s[28:29], -1, 0
	s_andn2_b64 s[24:25], s[24:25], exec
	s_and_b64 s[28:29], s[28:29], exec
	v_lshl_add_u64 v[4:5], v[4:5], 0, 2
	v_lshl_add_u64 v[6:7], v[6:7], 0, 2
	v_mov_b64_e32 v[8:9], 0
	s_or_b64 s[24:25], s[24:25], s[28:29]
	s_branch .LBB1272_24
.LBB1272_27:
	s_or_b64 exec, exec, s[20:21]
	s_branch .LBB1272_29
.LBB1272_28:
	v_mov_b64_e32 v[8:9], 0
.LBB1272_29:
	s_or_b64 exec, exec, s[2:3]
.LBB1272_30:
	s_cbranch_execnz .LBB1272_51
.LBB1272_31:
	s_cmp_eq_u64 s[18:19], 1
	v_cmp_ne_u32_e32 vcc, 0, v0
	s_cbranch_scc1 .LBB1272_38
; %bb.32:
	v_lshlrev_b32_e32 v1, 3, v0
	v_mov_b64_e32 v[8:9], v[2:3]
	ds_write_b64 v1, v[2:3]
	s_waitcnt lgkmcnt(0)
	s_barrier
	s_and_saveexec_b64 s[2:3], vcc
	s_cbranch_execz .LBB1272_41
; %bb.33:
	v_cmp_lt_i64_e64 s[18:19], s[12:13], 1
	s_and_b64 vcc, exec, s[18:19]
	s_cbranch_vccnz .LBB1272_40
; %bb.34:
	v_add_u32_e32 v1, -8, v1
	ds_read_b64 v[6:7], v1
	v_mul_lo_u32 v1, v3, s12
	v_mul_lo_u32 v8, v2, s13
	v_mad_u64_u32 v[4:5], s[18:19], v2, s12, 0
	v_add3_u32 v5, v5, v8, v1
	s_waitcnt lgkmcnt(0)
	v_mul_lo_u32 v1, s13, v6
	v_mul_lo_u32 v8, s12, v7
	v_mad_u64_u32 v[6:7], s[18:19], s12, v6, 0
	v_add3_u32 v7, v7, v8, v1
	v_lshl_add_u64 v[4:5], v[4:5], 1, s[14:15]
	v_lshl_add_u64 v[6:7], v[6:7], 1, s[14:15]
	s_mov_b64 s[18:19], 0
	s_mov_b64 s[20:21], s[12:13]
                                        ; implicit-def: $sgpr22_sgpr23
	s_branch .LBB1272_36
.LBB1272_35:                            ;   in Loop: Header=BB1272_36 Depth=1
	s_or_b64 exec, exec, s[24:25]
	s_and_b64 s[24:25], exec, s[22:23]
	s_or_b64 s[18:19], s[24:25], s[18:19]
	s_andn2_b64 exec, exec, s[18:19]
	s_cbranch_execz .LBB1272_39
.LBB1272_36:                            ; =>This Inner Loop Header: Depth=1
	global_load_ushort v1, v[4:5], off
	global_load_ushort v10, v[6:7], off
	v_mov_b64_e32 v[8:9], 1
	s_or_b64 s[22:23], s[22:23], exec
	s_waitcnt vmcnt(0)
	v_cmp_eq_f16_e32 vcc, v1, v10
	s_and_saveexec_b64 s[24:25], vcc
	s_cbranch_execz .LBB1272_35
; %bb.37:                               ;   in Loop: Header=BB1272_36 Depth=1
	s_add_u32 s20, s20, -1
	s_addc_u32 s21, s21, -1
	s_cmp_eq_u64 s[20:21], 0
	s_cselect_b64 s[26:27], -1, 0
	s_andn2_b64 s[22:23], s[22:23], exec
	s_and_b64 s[26:27], s[26:27], exec
	v_lshl_add_u64 v[4:5], v[4:5], 0, 2
	v_lshl_add_u64 v[6:7], v[6:7], 0, 2
	v_mov_b64_e32 v[8:9], 0
	s_or_b64 s[22:23], s[22:23], s[26:27]
	s_branch .LBB1272_35
.LBB1272_38:
                                        ; implicit-def: $vgpr8_vgpr9
	s_branch .LBB1272_42
.LBB1272_39:
	s_or_b64 exec, exec, s[18:19]
	s_branch .LBB1272_41
.LBB1272_40:
	v_mov_b64_e32 v[8:9], 0
.LBB1272_41:
	s_or_b64 exec, exec, s[2:3]
	s_cbranch_execnz .LBB1272_51
.LBB1272_42:
	v_cmp_ne_u32_e32 vcc, 0, v0
	v_cmp_gt_u32_e64 s[2:3], s10, v0
	v_lshlrev_b32_e32 v1, 3, v0
	s_and_b64 s[18:19], vcc, s[2:3]
	ds_write_b64 v1, v[2:3]
	s_waitcnt lgkmcnt(0)
	s_barrier
	s_and_saveexec_b64 s[2:3], s[18:19]
	s_cbranch_execz .LBB1272_50
; %bb.43:
	v_cmp_lt_i64_e64 s[18:19], s[12:13], 1
	s_and_b64 vcc, exec, s[18:19]
	s_cbranch_vccnz .LBB1272_49
; %bb.44:
	v_add_u32_e32 v1, -8, v1
	ds_read_b64 v[6:7], v1
	v_mul_lo_u32 v1, v3, s12
	v_mul_lo_u32 v4, v2, s13
	v_mad_u64_u32 v[2:3], s[18:19], v2, s12, 0
	v_add3_u32 v3, v3, v4, v1
	v_lshl_add_u64 v[4:5], v[2:3], 1, s[14:15]
	s_waitcnt lgkmcnt(0)
	v_mul_lo_u32 v1, s13, v6
	v_mul_lo_u32 v7, s12, v7
	v_mad_u64_u32 v[2:3], s[18:19], s12, v6, 0
	v_add3_u32 v3, v3, v7, v1
	v_lshl_add_u64 v[6:7], v[2:3], 1, s[14:15]
	s_mov_b64 s[14:15], 0
                                        ; implicit-def: $sgpr18_sgpr19
	s_branch .LBB1272_46
.LBB1272_45:                            ;   in Loop: Header=BB1272_46 Depth=1
	s_or_b64 exec, exec, s[20:21]
	s_and_b64 s[20:21], exec, s[18:19]
	s_or_b64 s[14:15], s[20:21], s[14:15]
	s_andn2_b64 exec, exec, s[14:15]
	s_cbranch_execz .LBB1272_48
.LBB1272_46:                            ; =>This Inner Loop Header: Depth=1
	global_load_ushort v1, v[4:5], off
	global_load_ushort v8, v[6:7], off
	v_mov_b64_e32 v[2:3], 1
	s_or_b64 s[18:19], s[18:19], exec
	s_waitcnt vmcnt(0)
	v_cmp_eq_f16_e32 vcc, v1, v8
	s_and_saveexec_b64 s[20:21], vcc
	s_cbranch_execz .LBB1272_45
; %bb.47:                               ;   in Loop: Header=BB1272_46 Depth=1
	s_add_u32 s12, s12, -1
	s_addc_u32 s13, s13, -1
	s_cmp_eq_u64 s[12:13], 0
	s_cselect_b64 s[22:23], -1, 0
	s_andn2_b64 s[18:19], s[18:19], exec
	s_and_b64 s[22:23], s[22:23], exec
	v_lshl_add_u64 v[4:5], v[4:5], 0, 2
	v_lshl_add_u64 v[6:7], v[6:7], 0, 2
	v_mov_b64_e32 v[2:3], 0
	s_or_b64 s[18:19], s[18:19], s[22:23]
	s_branch .LBB1272_45
.LBB1272_48:
	s_or_b64 exec, exec, s[14:15]
	s_branch .LBB1272_50
.LBB1272_49:
	v_mov_b64_e32 v[2:3], 0
.LBB1272_50:
	s_or_b64 exec, exec, s[2:3]
	v_mov_b64_e32 v[8:9], v[2:3]
.LBB1272_51:
	s_add_u32 s6, s8, s6
	s_addc_u32 s7, s9, s7
	s_mov_b64 s[2:3], -1
	s_and_b64 vcc, exec, s[0:1]
	s_waitcnt lgkmcnt(0)
	s_barrier
	s_cbranch_vccnz .LBB1272_54
; %bb.52:
	s_andn2_b64 vcc, exec, s[2:3]
	s_cbranch_vccz .LBB1272_57
.LBB1272_53:
	s_endpgm
.LBB1272_54:
	s_lshl_b32 s0, s16, 7
	s_sub_i32 s0, s10, s0
	v_lshlrev_b32_e32 v1, 3, v0
	v_cmp_gt_u32_e32 vcc, s0, v0
	ds_write_b64 v1, v[8:9]
	s_waitcnt lgkmcnt(0)
	s_barrier
	s_and_saveexec_b64 s[0:1], vcc
	s_cbranch_execz .LBB1272_56
; %bb.55:
	ds_read_b64 v[2:3], v1
	s_mov_b32 s5, 0
	s_lshl_b64 s[2:3], s[4:5], 3
	s_add_u32 s2, s6, s2
	s_addc_u32 s3, s7, s3
	s_waitcnt lgkmcnt(0)
	global_store_dwordx2 v1, v[2:3], s[2:3]
.LBB1272_56:
	s_or_b64 exec, exec, s[0:1]
	s_cbranch_execnz .LBB1272_53
.LBB1272_57:
	v_lshlrev_b32_e32 v2, 3, v0
	ds_write_b64 v2, v[8:9]
	s_waitcnt lgkmcnt(0)
	s_barrier
	ds_read_b64 v[0:1], v2
	s_mov_b32 s5, 0
	s_lshl_b64 s[0:1], s[4:5], 3
	s_add_u32 s0, s6, s0
	s_addc_u32 s1, s7, s1
	s_waitcnt lgkmcnt(0)
	global_store_dwordx2 v2, v[0:1], s[0:1]
	s_endpgm
	.section	.rodata,"a",@progbits
	.p2align	6, 0x0
	.amdhsa_kernel _ZN7rocprim17ROCPRIM_400000_NS6detail17trampoline_kernelINS0_14default_configENS1_35adjacent_difference_config_selectorILb0ElEEZNS1_24adjacent_difference_implIS3_Lb0ELb0EPlS7_ZN2at6native12_GLOBAL__N_124unique_dim_cuda_templateIN3c104HalfEEESt5tupleIJNS8_6TensorESF_SF_EERKSF_lbbbEUlllE1_EE10hipError_tPvRmT2_T3_mT4_P12ihipStream_tbEUlT_E_NS1_11comp_targetILNS1_3genE0ELNS1_11target_archE4294967295ELNS1_3gpuE0ELNS1_3repE0EEENS1_30default_config_static_selectorELNS0_4arch9wavefront6targetE1EEEvT1_
		.amdhsa_group_segment_fixed_size 2048
		.amdhsa_private_segment_fixed_size 0
		.amdhsa_kernarg_size 64
		.amdhsa_user_sgpr_count 2
		.amdhsa_user_sgpr_dispatch_ptr 0
		.amdhsa_user_sgpr_queue_ptr 0
		.amdhsa_user_sgpr_kernarg_segment_ptr 1
		.amdhsa_user_sgpr_dispatch_id 0
		.amdhsa_user_sgpr_kernarg_preload_length 0
		.amdhsa_user_sgpr_kernarg_preload_offset 0
		.amdhsa_user_sgpr_private_segment_size 0
		.amdhsa_uses_dynamic_stack 0
		.amdhsa_enable_private_segment 0
		.amdhsa_system_sgpr_workgroup_id_x 1
		.amdhsa_system_sgpr_workgroup_id_y 0
		.amdhsa_system_sgpr_workgroup_id_z 0
		.amdhsa_system_sgpr_workgroup_info 0
		.amdhsa_system_vgpr_workitem_id 0
		.amdhsa_next_free_vgpr 11
		.amdhsa_next_free_sgpr 32
		.amdhsa_accum_offset 12
		.amdhsa_reserve_vcc 1
		.amdhsa_float_round_mode_32 0
		.amdhsa_float_round_mode_16_64 0
		.amdhsa_float_denorm_mode_32 3
		.amdhsa_float_denorm_mode_16_64 3
		.amdhsa_dx10_clamp 1
		.amdhsa_ieee_mode 1
		.amdhsa_fp16_overflow 0
		.amdhsa_tg_split 0
		.amdhsa_exception_fp_ieee_invalid_op 0
		.amdhsa_exception_fp_denorm_src 0
		.amdhsa_exception_fp_ieee_div_zero 0
		.amdhsa_exception_fp_ieee_overflow 0
		.amdhsa_exception_fp_ieee_underflow 0
		.amdhsa_exception_fp_ieee_inexact 0
		.amdhsa_exception_int_div_zero 0
	.end_amdhsa_kernel
	.section	.text._ZN7rocprim17ROCPRIM_400000_NS6detail17trampoline_kernelINS0_14default_configENS1_35adjacent_difference_config_selectorILb0ElEEZNS1_24adjacent_difference_implIS3_Lb0ELb0EPlS7_ZN2at6native12_GLOBAL__N_124unique_dim_cuda_templateIN3c104HalfEEESt5tupleIJNS8_6TensorESF_SF_EERKSF_lbbbEUlllE1_EE10hipError_tPvRmT2_T3_mT4_P12ihipStream_tbEUlT_E_NS1_11comp_targetILNS1_3genE0ELNS1_11target_archE4294967295ELNS1_3gpuE0ELNS1_3repE0EEENS1_30default_config_static_selectorELNS0_4arch9wavefront6targetE1EEEvT1_,"axG",@progbits,_ZN7rocprim17ROCPRIM_400000_NS6detail17trampoline_kernelINS0_14default_configENS1_35adjacent_difference_config_selectorILb0ElEEZNS1_24adjacent_difference_implIS3_Lb0ELb0EPlS7_ZN2at6native12_GLOBAL__N_124unique_dim_cuda_templateIN3c104HalfEEESt5tupleIJNS8_6TensorESF_SF_EERKSF_lbbbEUlllE1_EE10hipError_tPvRmT2_T3_mT4_P12ihipStream_tbEUlT_E_NS1_11comp_targetILNS1_3genE0ELNS1_11target_archE4294967295ELNS1_3gpuE0ELNS1_3repE0EEENS1_30default_config_static_selectorELNS0_4arch9wavefront6targetE1EEEvT1_,comdat
.Lfunc_end1272:
	.size	_ZN7rocprim17ROCPRIM_400000_NS6detail17trampoline_kernelINS0_14default_configENS1_35adjacent_difference_config_selectorILb0ElEEZNS1_24adjacent_difference_implIS3_Lb0ELb0EPlS7_ZN2at6native12_GLOBAL__N_124unique_dim_cuda_templateIN3c104HalfEEESt5tupleIJNS8_6TensorESF_SF_EERKSF_lbbbEUlllE1_EE10hipError_tPvRmT2_T3_mT4_P12ihipStream_tbEUlT_E_NS1_11comp_targetILNS1_3genE0ELNS1_11target_archE4294967295ELNS1_3gpuE0ELNS1_3repE0EEENS1_30default_config_static_selectorELNS0_4arch9wavefront6targetE1EEEvT1_, .Lfunc_end1272-_ZN7rocprim17ROCPRIM_400000_NS6detail17trampoline_kernelINS0_14default_configENS1_35adjacent_difference_config_selectorILb0ElEEZNS1_24adjacent_difference_implIS3_Lb0ELb0EPlS7_ZN2at6native12_GLOBAL__N_124unique_dim_cuda_templateIN3c104HalfEEESt5tupleIJNS8_6TensorESF_SF_EERKSF_lbbbEUlllE1_EE10hipError_tPvRmT2_T3_mT4_P12ihipStream_tbEUlT_E_NS1_11comp_targetILNS1_3genE0ELNS1_11target_archE4294967295ELNS1_3gpuE0ELNS1_3repE0EEENS1_30default_config_static_selectorELNS0_4arch9wavefront6targetE1EEEvT1_
                                        ; -- End function
	.set _ZN7rocprim17ROCPRIM_400000_NS6detail17trampoline_kernelINS0_14default_configENS1_35adjacent_difference_config_selectorILb0ElEEZNS1_24adjacent_difference_implIS3_Lb0ELb0EPlS7_ZN2at6native12_GLOBAL__N_124unique_dim_cuda_templateIN3c104HalfEEESt5tupleIJNS8_6TensorESF_SF_EERKSF_lbbbEUlllE1_EE10hipError_tPvRmT2_T3_mT4_P12ihipStream_tbEUlT_E_NS1_11comp_targetILNS1_3genE0ELNS1_11target_archE4294967295ELNS1_3gpuE0ELNS1_3repE0EEENS1_30default_config_static_selectorELNS0_4arch9wavefront6targetE1EEEvT1_.num_vgpr, 11
	.set _ZN7rocprim17ROCPRIM_400000_NS6detail17trampoline_kernelINS0_14default_configENS1_35adjacent_difference_config_selectorILb0ElEEZNS1_24adjacent_difference_implIS3_Lb0ELb0EPlS7_ZN2at6native12_GLOBAL__N_124unique_dim_cuda_templateIN3c104HalfEEESt5tupleIJNS8_6TensorESF_SF_EERKSF_lbbbEUlllE1_EE10hipError_tPvRmT2_T3_mT4_P12ihipStream_tbEUlT_E_NS1_11comp_targetILNS1_3genE0ELNS1_11target_archE4294967295ELNS1_3gpuE0ELNS1_3repE0EEENS1_30default_config_static_selectorELNS0_4arch9wavefront6targetE1EEEvT1_.num_agpr, 0
	.set _ZN7rocprim17ROCPRIM_400000_NS6detail17trampoline_kernelINS0_14default_configENS1_35adjacent_difference_config_selectorILb0ElEEZNS1_24adjacent_difference_implIS3_Lb0ELb0EPlS7_ZN2at6native12_GLOBAL__N_124unique_dim_cuda_templateIN3c104HalfEEESt5tupleIJNS8_6TensorESF_SF_EERKSF_lbbbEUlllE1_EE10hipError_tPvRmT2_T3_mT4_P12ihipStream_tbEUlT_E_NS1_11comp_targetILNS1_3genE0ELNS1_11target_archE4294967295ELNS1_3gpuE0ELNS1_3repE0EEENS1_30default_config_static_selectorELNS0_4arch9wavefront6targetE1EEEvT1_.numbered_sgpr, 32
	.set _ZN7rocprim17ROCPRIM_400000_NS6detail17trampoline_kernelINS0_14default_configENS1_35adjacent_difference_config_selectorILb0ElEEZNS1_24adjacent_difference_implIS3_Lb0ELb0EPlS7_ZN2at6native12_GLOBAL__N_124unique_dim_cuda_templateIN3c104HalfEEESt5tupleIJNS8_6TensorESF_SF_EERKSF_lbbbEUlllE1_EE10hipError_tPvRmT2_T3_mT4_P12ihipStream_tbEUlT_E_NS1_11comp_targetILNS1_3genE0ELNS1_11target_archE4294967295ELNS1_3gpuE0ELNS1_3repE0EEENS1_30default_config_static_selectorELNS0_4arch9wavefront6targetE1EEEvT1_.num_named_barrier, 0
	.set _ZN7rocprim17ROCPRIM_400000_NS6detail17trampoline_kernelINS0_14default_configENS1_35adjacent_difference_config_selectorILb0ElEEZNS1_24adjacent_difference_implIS3_Lb0ELb0EPlS7_ZN2at6native12_GLOBAL__N_124unique_dim_cuda_templateIN3c104HalfEEESt5tupleIJNS8_6TensorESF_SF_EERKSF_lbbbEUlllE1_EE10hipError_tPvRmT2_T3_mT4_P12ihipStream_tbEUlT_E_NS1_11comp_targetILNS1_3genE0ELNS1_11target_archE4294967295ELNS1_3gpuE0ELNS1_3repE0EEENS1_30default_config_static_selectorELNS0_4arch9wavefront6targetE1EEEvT1_.private_seg_size, 0
	.set _ZN7rocprim17ROCPRIM_400000_NS6detail17trampoline_kernelINS0_14default_configENS1_35adjacent_difference_config_selectorILb0ElEEZNS1_24adjacent_difference_implIS3_Lb0ELb0EPlS7_ZN2at6native12_GLOBAL__N_124unique_dim_cuda_templateIN3c104HalfEEESt5tupleIJNS8_6TensorESF_SF_EERKSF_lbbbEUlllE1_EE10hipError_tPvRmT2_T3_mT4_P12ihipStream_tbEUlT_E_NS1_11comp_targetILNS1_3genE0ELNS1_11target_archE4294967295ELNS1_3gpuE0ELNS1_3repE0EEENS1_30default_config_static_selectorELNS0_4arch9wavefront6targetE1EEEvT1_.uses_vcc, 1
	.set _ZN7rocprim17ROCPRIM_400000_NS6detail17trampoline_kernelINS0_14default_configENS1_35adjacent_difference_config_selectorILb0ElEEZNS1_24adjacent_difference_implIS3_Lb0ELb0EPlS7_ZN2at6native12_GLOBAL__N_124unique_dim_cuda_templateIN3c104HalfEEESt5tupleIJNS8_6TensorESF_SF_EERKSF_lbbbEUlllE1_EE10hipError_tPvRmT2_T3_mT4_P12ihipStream_tbEUlT_E_NS1_11comp_targetILNS1_3genE0ELNS1_11target_archE4294967295ELNS1_3gpuE0ELNS1_3repE0EEENS1_30default_config_static_selectorELNS0_4arch9wavefront6targetE1EEEvT1_.uses_flat_scratch, 0
	.set _ZN7rocprim17ROCPRIM_400000_NS6detail17trampoline_kernelINS0_14default_configENS1_35adjacent_difference_config_selectorILb0ElEEZNS1_24adjacent_difference_implIS3_Lb0ELb0EPlS7_ZN2at6native12_GLOBAL__N_124unique_dim_cuda_templateIN3c104HalfEEESt5tupleIJNS8_6TensorESF_SF_EERKSF_lbbbEUlllE1_EE10hipError_tPvRmT2_T3_mT4_P12ihipStream_tbEUlT_E_NS1_11comp_targetILNS1_3genE0ELNS1_11target_archE4294967295ELNS1_3gpuE0ELNS1_3repE0EEENS1_30default_config_static_selectorELNS0_4arch9wavefront6targetE1EEEvT1_.has_dyn_sized_stack, 0
	.set _ZN7rocprim17ROCPRIM_400000_NS6detail17trampoline_kernelINS0_14default_configENS1_35adjacent_difference_config_selectorILb0ElEEZNS1_24adjacent_difference_implIS3_Lb0ELb0EPlS7_ZN2at6native12_GLOBAL__N_124unique_dim_cuda_templateIN3c104HalfEEESt5tupleIJNS8_6TensorESF_SF_EERKSF_lbbbEUlllE1_EE10hipError_tPvRmT2_T3_mT4_P12ihipStream_tbEUlT_E_NS1_11comp_targetILNS1_3genE0ELNS1_11target_archE4294967295ELNS1_3gpuE0ELNS1_3repE0EEENS1_30default_config_static_selectorELNS0_4arch9wavefront6targetE1EEEvT1_.has_recursion, 0
	.set _ZN7rocprim17ROCPRIM_400000_NS6detail17trampoline_kernelINS0_14default_configENS1_35adjacent_difference_config_selectorILb0ElEEZNS1_24adjacent_difference_implIS3_Lb0ELb0EPlS7_ZN2at6native12_GLOBAL__N_124unique_dim_cuda_templateIN3c104HalfEEESt5tupleIJNS8_6TensorESF_SF_EERKSF_lbbbEUlllE1_EE10hipError_tPvRmT2_T3_mT4_P12ihipStream_tbEUlT_E_NS1_11comp_targetILNS1_3genE0ELNS1_11target_archE4294967295ELNS1_3gpuE0ELNS1_3repE0EEENS1_30default_config_static_selectorELNS0_4arch9wavefront6targetE1EEEvT1_.has_indirect_call, 0
	.section	.AMDGPU.csdata,"",@progbits
; Kernel info:
; codeLenInByte = 1740
; TotalNumSgprs: 38
; NumVgprs: 11
; NumAgprs: 0
; TotalNumVgprs: 11
; ScratchSize: 0
; MemoryBound: 0
; FloatMode: 240
; IeeeMode: 1
; LDSByteSize: 2048 bytes/workgroup (compile time only)
; SGPRBlocks: 4
; VGPRBlocks: 1
; NumSGPRsForWavesPerEU: 38
; NumVGPRsForWavesPerEU: 11
; AccumOffset: 12
; Occupancy: 8
; WaveLimiterHint : 0
; COMPUTE_PGM_RSRC2:SCRATCH_EN: 0
; COMPUTE_PGM_RSRC2:USER_SGPR: 2
; COMPUTE_PGM_RSRC2:TRAP_HANDLER: 0
; COMPUTE_PGM_RSRC2:TGID_X_EN: 1
; COMPUTE_PGM_RSRC2:TGID_Y_EN: 0
; COMPUTE_PGM_RSRC2:TGID_Z_EN: 0
; COMPUTE_PGM_RSRC2:TIDIG_COMP_CNT: 0
; COMPUTE_PGM_RSRC3_GFX90A:ACCUM_OFFSET: 2
; COMPUTE_PGM_RSRC3_GFX90A:TG_SPLIT: 0
	.section	.text._ZN7rocprim17ROCPRIM_400000_NS6detail17trampoline_kernelINS0_14default_configENS1_35adjacent_difference_config_selectorILb0ElEEZNS1_24adjacent_difference_implIS3_Lb0ELb0EPlS7_ZN2at6native12_GLOBAL__N_124unique_dim_cuda_templateIN3c104HalfEEESt5tupleIJNS8_6TensorESF_SF_EERKSF_lbbbEUlllE1_EE10hipError_tPvRmT2_T3_mT4_P12ihipStream_tbEUlT_E_NS1_11comp_targetILNS1_3genE10ELNS1_11target_archE1201ELNS1_3gpuE5ELNS1_3repE0EEENS1_30default_config_static_selectorELNS0_4arch9wavefront6targetE1EEEvT1_,"axG",@progbits,_ZN7rocprim17ROCPRIM_400000_NS6detail17trampoline_kernelINS0_14default_configENS1_35adjacent_difference_config_selectorILb0ElEEZNS1_24adjacent_difference_implIS3_Lb0ELb0EPlS7_ZN2at6native12_GLOBAL__N_124unique_dim_cuda_templateIN3c104HalfEEESt5tupleIJNS8_6TensorESF_SF_EERKSF_lbbbEUlllE1_EE10hipError_tPvRmT2_T3_mT4_P12ihipStream_tbEUlT_E_NS1_11comp_targetILNS1_3genE10ELNS1_11target_archE1201ELNS1_3gpuE5ELNS1_3repE0EEENS1_30default_config_static_selectorELNS0_4arch9wavefront6targetE1EEEvT1_,comdat
	.globl	_ZN7rocprim17ROCPRIM_400000_NS6detail17trampoline_kernelINS0_14default_configENS1_35adjacent_difference_config_selectorILb0ElEEZNS1_24adjacent_difference_implIS3_Lb0ELb0EPlS7_ZN2at6native12_GLOBAL__N_124unique_dim_cuda_templateIN3c104HalfEEESt5tupleIJNS8_6TensorESF_SF_EERKSF_lbbbEUlllE1_EE10hipError_tPvRmT2_T3_mT4_P12ihipStream_tbEUlT_E_NS1_11comp_targetILNS1_3genE10ELNS1_11target_archE1201ELNS1_3gpuE5ELNS1_3repE0EEENS1_30default_config_static_selectorELNS0_4arch9wavefront6targetE1EEEvT1_ ; -- Begin function _ZN7rocprim17ROCPRIM_400000_NS6detail17trampoline_kernelINS0_14default_configENS1_35adjacent_difference_config_selectorILb0ElEEZNS1_24adjacent_difference_implIS3_Lb0ELb0EPlS7_ZN2at6native12_GLOBAL__N_124unique_dim_cuda_templateIN3c104HalfEEESt5tupleIJNS8_6TensorESF_SF_EERKSF_lbbbEUlllE1_EE10hipError_tPvRmT2_T3_mT4_P12ihipStream_tbEUlT_E_NS1_11comp_targetILNS1_3genE10ELNS1_11target_archE1201ELNS1_3gpuE5ELNS1_3repE0EEENS1_30default_config_static_selectorELNS0_4arch9wavefront6targetE1EEEvT1_
	.p2align	8
	.type	_ZN7rocprim17ROCPRIM_400000_NS6detail17trampoline_kernelINS0_14default_configENS1_35adjacent_difference_config_selectorILb0ElEEZNS1_24adjacent_difference_implIS3_Lb0ELb0EPlS7_ZN2at6native12_GLOBAL__N_124unique_dim_cuda_templateIN3c104HalfEEESt5tupleIJNS8_6TensorESF_SF_EERKSF_lbbbEUlllE1_EE10hipError_tPvRmT2_T3_mT4_P12ihipStream_tbEUlT_E_NS1_11comp_targetILNS1_3genE10ELNS1_11target_archE1201ELNS1_3gpuE5ELNS1_3repE0EEENS1_30default_config_static_selectorELNS0_4arch9wavefront6targetE1EEEvT1_,@function
_ZN7rocprim17ROCPRIM_400000_NS6detail17trampoline_kernelINS0_14default_configENS1_35adjacent_difference_config_selectorILb0ElEEZNS1_24adjacent_difference_implIS3_Lb0ELb0EPlS7_ZN2at6native12_GLOBAL__N_124unique_dim_cuda_templateIN3c104HalfEEESt5tupleIJNS8_6TensorESF_SF_EERKSF_lbbbEUlllE1_EE10hipError_tPvRmT2_T3_mT4_P12ihipStream_tbEUlT_E_NS1_11comp_targetILNS1_3genE10ELNS1_11target_archE1201ELNS1_3gpuE5ELNS1_3repE0EEENS1_30default_config_static_selectorELNS0_4arch9wavefront6targetE1EEEvT1_: ; @_ZN7rocprim17ROCPRIM_400000_NS6detail17trampoline_kernelINS0_14default_configENS1_35adjacent_difference_config_selectorILb0ElEEZNS1_24adjacent_difference_implIS3_Lb0ELb0EPlS7_ZN2at6native12_GLOBAL__N_124unique_dim_cuda_templateIN3c104HalfEEESt5tupleIJNS8_6TensorESF_SF_EERKSF_lbbbEUlllE1_EE10hipError_tPvRmT2_T3_mT4_P12ihipStream_tbEUlT_E_NS1_11comp_targetILNS1_3genE10ELNS1_11target_archE1201ELNS1_3gpuE5ELNS1_3repE0EEENS1_30default_config_static_selectorELNS0_4arch9wavefront6targetE1EEEvT1_
; %bb.0:
	.section	.rodata,"a",@progbits
	.p2align	6, 0x0
	.amdhsa_kernel _ZN7rocprim17ROCPRIM_400000_NS6detail17trampoline_kernelINS0_14default_configENS1_35adjacent_difference_config_selectorILb0ElEEZNS1_24adjacent_difference_implIS3_Lb0ELb0EPlS7_ZN2at6native12_GLOBAL__N_124unique_dim_cuda_templateIN3c104HalfEEESt5tupleIJNS8_6TensorESF_SF_EERKSF_lbbbEUlllE1_EE10hipError_tPvRmT2_T3_mT4_P12ihipStream_tbEUlT_E_NS1_11comp_targetILNS1_3genE10ELNS1_11target_archE1201ELNS1_3gpuE5ELNS1_3repE0EEENS1_30default_config_static_selectorELNS0_4arch9wavefront6targetE1EEEvT1_
		.amdhsa_group_segment_fixed_size 0
		.amdhsa_private_segment_fixed_size 0
		.amdhsa_kernarg_size 64
		.amdhsa_user_sgpr_count 2
		.amdhsa_user_sgpr_dispatch_ptr 0
		.amdhsa_user_sgpr_queue_ptr 0
		.amdhsa_user_sgpr_kernarg_segment_ptr 1
		.amdhsa_user_sgpr_dispatch_id 0
		.amdhsa_user_sgpr_kernarg_preload_length 0
		.amdhsa_user_sgpr_kernarg_preload_offset 0
		.amdhsa_user_sgpr_private_segment_size 0
		.amdhsa_uses_dynamic_stack 0
		.amdhsa_enable_private_segment 0
		.amdhsa_system_sgpr_workgroup_id_x 1
		.amdhsa_system_sgpr_workgroup_id_y 0
		.amdhsa_system_sgpr_workgroup_id_z 0
		.amdhsa_system_sgpr_workgroup_info 0
		.amdhsa_system_vgpr_workitem_id 0
		.amdhsa_next_free_vgpr 1
		.amdhsa_next_free_sgpr 0
		.amdhsa_accum_offset 4
		.amdhsa_reserve_vcc 0
		.amdhsa_float_round_mode_32 0
		.amdhsa_float_round_mode_16_64 0
		.amdhsa_float_denorm_mode_32 3
		.amdhsa_float_denorm_mode_16_64 3
		.amdhsa_dx10_clamp 1
		.amdhsa_ieee_mode 1
		.amdhsa_fp16_overflow 0
		.amdhsa_tg_split 0
		.amdhsa_exception_fp_ieee_invalid_op 0
		.amdhsa_exception_fp_denorm_src 0
		.amdhsa_exception_fp_ieee_div_zero 0
		.amdhsa_exception_fp_ieee_overflow 0
		.amdhsa_exception_fp_ieee_underflow 0
		.amdhsa_exception_fp_ieee_inexact 0
		.amdhsa_exception_int_div_zero 0
	.end_amdhsa_kernel
	.section	.text._ZN7rocprim17ROCPRIM_400000_NS6detail17trampoline_kernelINS0_14default_configENS1_35adjacent_difference_config_selectorILb0ElEEZNS1_24adjacent_difference_implIS3_Lb0ELb0EPlS7_ZN2at6native12_GLOBAL__N_124unique_dim_cuda_templateIN3c104HalfEEESt5tupleIJNS8_6TensorESF_SF_EERKSF_lbbbEUlllE1_EE10hipError_tPvRmT2_T3_mT4_P12ihipStream_tbEUlT_E_NS1_11comp_targetILNS1_3genE10ELNS1_11target_archE1201ELNS1_3gpuE5ELNS1_3repE0EEENS1_30default_config_static_selectorELNS0_4arch9wavefront6targetE1EEEvT1_,"axG",@progbits,_ZN7rocprim17ROCPRIM_400000_NS6detail17trampoline_kernelINS0_14default_configENS1_35adjacent_difference_config_selectorILb0ElEEZNS1_24adjacent_difference_implIS3_Lb0ELb0EPlS7_ZN2at6native12_GLOBAL__N_124unique_dim_cuda_templateIN3c104HalfEEESt5tupleIJNS8_6TensorESF_SF_EERKSF_lbbbEUlllE1_EE10hipError_tPvRmT2_T3_mT4_P12ihipStream_tbEUlT_E_NS1_11comp_targetILNS1_3genE10ELNS1_11target_archE1201ELNS1_3gpuE5ELNS1_3repE0EEENS1_30default_config_static_selectorELNS0_4arch9wavefront6targetE1EEEvT1_,comdat
.Lfunc_end1273:
	.size	_ZN7rocprim17ROCPRIM_400000_NS6detail17trampoline_kernelINS0_14default_configENS1_35adjacent_difference_config_selectorILb0ElEEZNS1_24adjacent_difference_implIS3_Lb0ELb0EPlS7_ZN2at6native12_GLOBAL__N_124unique_dim_cuda_templateIN3c104HalfEEESt5tupleIJNS8_6TensorESF_SF_EERKSF_lbbbEUlllE1_EE10hipError_tPvRmT2_T3_mT4_P12ihipStream_tbEUlT_E_NS1_11comp_targetILNS1_3genE10ELNS1_11target_archE1201ELNS1_3gpuE5ELNS1_3repE0EEENS1_30default_config_static_selectorELNS0_4arch9wavefront6targetE1EEEvT1_, .Lfunc_end1273-_ZN7rocprim17ROCPRIM_400000_NS6detail17trampoline_kernelINS0_14default_configENS1_35adjacent_difference_config_selectorILb0ElEEZNS1_24adjacent_difference_implIS3_Lb0ELb0EPlS7_ZN2at6native12_GLOBAL__N_124unique_dim_cuda_templateIN3c104HalfEEESt5tupleIJNS8_6TensorESF_SF_EERKSF_lbbbEUlllE1_EE10hipError_tPvRmT2_T3_mT4_P12ihipStream_tbEUlT_E_NS1_11comp_targetILNS1_3genE10ELNS1_11target_archE1201ELNS1_3gpuE5ELNS1_3repE0EEENS1_30default_config_static_selectorELNS0_4arch9wavefront6targetE1EEEvT1_
                                        ; -- End function
	.set _ZN7rocprim17ROCPRIM_400000_NS6detail17trampoline_kernelINS0_14default_configENS1_35adjacent_difference_config_selectorILb0ElEEZNS1_24adjacent_difference_implIS3_Lb0ELb0EPlS7_ZN2at6native12_GLOBAL__N_124unique_dim_cuda_templateIN3c104HalfEEESt5tupleIJNS8_6TensorESF_SF_EERKSF_lbbbEUlllE1_EE10hipError_tPvRmT2_T3_mT4_P12ihipStream_tbEUlT_E_NS1_11comp_targetILNS1_3genE10ELNS1_11target_archE1201ELNS1_3gpuE5ELNS1_3repE0EEENS1_30default_config_static_selectorELNS0_4arch9wavefront6targetE1EEEvT1_.num_vgpr, 0
	.set _ZN7rocprim17ROCPRIM_400000_NS6detail17trampoline_kernelINS0_14default_configENS1_35adjacent_difference_config_selectorILb0ElEEZNS1_24adjacent_difference_implIS3_Lb0ELb0EPlS7_ZN2at6native12_GLOBAL__N_124unique_dim_cuda_templateIN3c104HalfEEESt5tupleIJNS8_6TensorESF_SF_EERKSF_lbbbEUlllE1_EE10hipError_tPvRmT2_T3_mT4_P12ihipStream_tbEUlT_E_NS1_11comp_targetILNS1_3genE10ELNS1_11target_archE1201ELNS1_3gpuE5ELNS1_3repE0EEENS1_30default_config_static_selectorELNS0_4arch9wavefront6targetE1EEEvT1_.num_agpr, 0
	.set _ZN7rocprim17ROCPRIM_400000_NS6detail17trampoline_kernelINS0_14default_configENS1_35adjacent_difference_config_selectorILb0ElEEZNS1_24adjacent_difference_implIS3_Lb0ELb0EPlS7_ZN2at6native12_GLOBAL__N_124unique_dim_cuda_templateIN3c104HalfEEESt5tupleIJNS8_6TensorESF_SF_EERKSF_lbbbEUlllE1_EE10hipError_tPvRmT2_T3_mT4_P12ihipStream_tbEUlT_E_NS1_11comp_targetILNS1_3genE10ELNS1_11target_archE1201ELNS1_3gpuE5ELNS1_3repE0EEENS1_30default_config_static_selectorELNS0_4arch9wavefront6targetE1EEEvT1_.numbered_sgpr, 0
	.set _ZN7rocprim17ROCPRIM_400000_NS6detail17trampoline_kernelINS0_14default_configENS1_35adjacent_difference_config_selectorILb0ElEEZNS1_24adjacent_difference_implIS3_Lb0ELb0EPlS7_ZN2at6native12_GLOBAL__N_124unique_dim_cuda_templateIN3c104HalfEEESt5tupleIJNS8_6TensorESF_SF_EERKSF_lbbbEUlllE1_EE10hipError_tPvRmT2_T3_mT4_P12ihipStream_tbEUlT_E_NS1_11comp_targetILNS1_3genE10ELNS1_11target_archE1201ELNS1_3gpuE5ELNS1_3repE0EEENS1_30default_config_static_selectorELNS0_4arch9wavefront6targetE1EEEvT1_.num_named_barrier, 0
	.set _ZN7rocprim17ROCPRIM_400000_NS6detail17trampoline_kernelINS0_14default_configENS1_35adjacent_difference_config_selectorILb0ElEEZNS1_24adjacent_difference_implIS3_Lb0ELb0EPlS7_ZN2at6native12_GLOBAL__N_124unique_dim_cuda_templateIN3c104HalfEEESt5tupleIJNS8_6TensorESF_SF_EERKSF_lbbbEUlllE1_EE10hipError_tPvRmT2_T3_mT4_P12ihipStream_tbEUlT_E_NS1_11comp_targetILNS1_3genE10ELNS1_11target_archE1201ELNS1_3gpuE5ELNS1_3repE0EEENS1_30default_config_static_selectorELNS0_4arch9wavefront6targetE1EEEvT1_.private_seg_size, 0
	.set _ZN7rocprim17ROCPRIM_400000_NS6detail17trampoline_kernelINS0_14default_configENS1_35adjacent_difference_config_selectorILb0ElEEZNS1_24adjacent_difference_implIS3_Lb0ELb0EPlS7_ZN2at6native12_GLOBAL__N_124unique_dim_cuda_templateIN3c104HalfEEESt5tupleIJNS8_6TensorESF_SF_EERKSF_lbbbEUlllE1_EE10hipError_tPvRmT2_T3_mT4_P12ihipStream_tbEUlT_E_NS1_11comp_targetILNS1_3genE10ELNS1_11target_archE1201ELNS1_3gpuE5ELNS1_3repE0EEENS1_30default_config_static_selectorELNS0_4arch9wavefront6targetE1EEEvT1_.uses_vcc, 0
	.set _ZN7rocprim17ROCPRIM_400000_NS6detail17trampoline_kernelINS0_14default_configENS1_35adjacent_difference_config_selectorILb0ElEEZNS1_24adjacent_difference_implIS3_Lb0ELb0EPlS7_ZN2at6native12_GLOBAL__N_124unique_dim_cuda_templateIN3c104HalfEEESt5tupleIJNS8_6TensorESF_SF_EERKSF_lbbbEUlllE1_EE10hipError_tPvRmT2_T3_mT4_P12ihipStream_tbEUlT_E_NS1_11comp_targetILNS1_3genE10ELNS1_11target_archE1201ELNS1_3gpuE5ELNS1_3repE0EEENS1_30default_config_static_selectorELNS0_4arch9wavefront6targetE1EEEvT1_.uses_flat_scratch, 0
	.set _ZN7rocprim17ROCPRIM_400000_NS6detail17trampoline_kernelINS0_14default_configENS1_35adjacent_difference_config_selectorILb0ElEEZNS1_24adjacent_difference_implIS3_Lb0ELb0EPlS7_ZN2at6native12_GLOBAL__N_124unique_dim_cuda_templateIN3c104HalfEEESt5tupleIJNS8_6TensorESF_SF_EERKSF_lbbbEUlllE1_EE10hipError_tPvRmT2_T3_mT4_P12ihipStream_tbEUlT_E_NS1_11comp_targetILNS1_3genE10ELNS1_11target_archE1201ELNS1_3gpuE5ELNS1_3repE0EEENS1_30default_config_static_selectorELNS0_4arch9wavefront6targetE1EEEvT1_.has_dyn_sized_stack, 0
	.set _ZN7rocprim17ROCPRIM_400000_NS6detail17trampoline_kernelINS0_14default_configENS1_35adjacent_difference_config_selectorILb0ElEEZNS1_24adjacent_difference_implIS3_Lb0ELb0EPlS7_ZN2at6native12_GLOBAL__N_124unique_dim_cuda_templateIN3c104HalfEEESt5tupleIJNS8_6TensorESF_SF_EERKSF_lbbbEUlllE1_EE10hipError_tPvRmT2_T3_mT4_P12ihipStream_tbEUlT_E_NS1_11comp_targetILNS1_3genE10ELNS1_11target_archE1201ELNS1_3gpuE5ELNS1_3repE0EEENS1_30default_config_static_selectorELNS0_4arch9wavefront6targetE1EEEvT1_.has_recursion, 0
	.set _ZN7rocprim17ROCPRIM_400000_NS6detail17trampoline_kernelINS0_14default_configENS1_35adjacent_difference_config_selectorILb0ElEEZNS1_24adjacent_difference_implIS3_Lb0ELb0EPlS7_ZN2at6native12_GLOBAL__N_124unique_dim_cuda_templateIN3c104HalfEEESt5tupleIJNS8_6TensorESF_SF_EERKSF_lbbbEUlllE1_EE10hipError_tPvRmT2_T3_mT4_P12ihipStream_tbEUlT_E_NS1_11comp_targetILNS1_3genE10ELNS1_11target_archE1201ELNS1_3gpuE5ELNS1_3repE0EEENS1_30default_config_static_selectorELNS0_4arch9wavefront6targetE1EEEvT1_.has_indirect_call, 0
	.section	.AMDGPU.csdata,"",@progbits
; Kernel info:
; codeLenInByte = 0
; TotalNumSgprs: 6
; NumVgprs: 0
; NumAgprs: 0
; TotalNumVgprs: 0
; ScratchSize: 0
; MemoryBound: 0
; FloatMode: 240
; IeeeMode: 1
; LDSByteSize: 0 bytes/workgroup (compile time only)
; SGPRBlocks: 0
; VGPRBlocks: 0
; NumSGPRsForWavesPerEU: 6
; NumVGPRsForWavesPerEU: 1
; AccumOffset: 4
; Occupancy: 8
; WaveLimiterHint : 0
; COMPUTE_PGM_RSRC2:SCRATCH_EN: 0
; COMPUTE_PGM_RSRC2:USER_SGPR: 2
; COMPUTE_PGM_RSRC2:TRAP_HANDLER: 0
; COMPUTE_PGM_RSRC2:TGID_X_EN: 1
; COMPUTE_PGM_RSRC2:TGID_Y_EN: 0
; COMPUTE_PGM_RSRC2:TGID_Z_EN: 0
; COMPUTE_PGM_RSRC2:TIDIG_COMP_CNT: 0
; COMPUTE_PGM_RSRC3_GFX90A:ACCUM_OFFSET: 0
; COMPUTE_PGM_RSRC3_GFX90A:TG_SPLIT: 0
	.section	.text._ZN7rocprim17ROCPRIM_400000_NS6detail17trampoline_kernelINS0_14default_configENS1_35adjacent_difference_config_selectorILb0ElEEZNS1_24adjacent_difference_implIS3_Lb0ELb0EPlS7_ZN2at6native12_GLOBAL__N_124unique_dim_cuda_templateIN3c104HalfEEESt5tupleIJNS8_6TensorESF_SF_EERKSF_lbbbEUlllE1_EE10hipError_tPvRmT2_T3_mT4_P12ihipStream_tbEUlT_E_NS1_11comp_targetILNS1_3genE5ELNS1_11target_archE942ELNS1_3gpuE9ELNS1_3repE0EEENS1_30default_config_static_selectorELNS0_4arch9wavefront6targetE1EEEvT1_,"axG",@progbits,_ZN7rocprim17ROCPRIM_400000_NS6detail17trampoline_kernelINS0_14default_configENS1_35adjacent_difference_config_selectorILb0ElEEZNS1_24adjacent_difference_implIS3_Lb0ELb0EPlS7_ZN2at6native12_GLOBAL__N_124unique_dim_cuda_templateIN3c104HalfEEESt5tupleIJNS8_6TensorESF_SF_EERKSF_lbbbEUlllE1_EE10hipError_tPvRmT2_T3_mT4_P12ihipStream_tbEUlT_E_NS1_11comp_targetILNS1_3genE5ELNS1_11target_archE942ELNS1_3gpuE9ELNS1_3repE0EEENS1_30default_config_static_selectorELNS0_4arch9wavefront6targetE1EEEvT1_,comdat
	.globl	_ZN7rocprim17ROCPRIM_400000_NS6detail17trampoline_kernelINS0_14default_configENS1_35adjacent_difference_config_selectorILb0ElEEZNS1_24adjacent_difference_implIS3_Lb0ELb0EPlS7_ZN2at6native12_GLOBAL__N_124unique_dim_cuda_templateIN3c104HalfEEESt5tupleIJNS8_6TensorESF_SF_EERKSF_lbbbEUlllE1_EE10hipError_tPvRmT2_T3_mT4_P12ihipStream_tbEUlT_E_NS1_11comp_targetILNS1_3genE5ELNS1_11target_archE942ELNS1_3gpuE9ELNS1_3repE0EEENS1_30default_config_static_selectorELNS0_4arch9wavefront6targetE1EEEvT1_ ; -- Begin function _ZN7rocprim17ROCPRIM_400000_NS6detail17trampoline_kernelINS0_14default_configENS1_35adjacent_difference_config_selectorILb0ElEEZNS1_24adjacent_difference_implIS3_Lb0ELb0EPlS7_ZN2at6native12_GLOBAL__N_124unique_dim_cuda_templateIN3c104HalfEEESt5tupleIJNS8_6TensorESF_SF_EERKSF_lbbbEUlllE1_EE10hipError_tPvRmT2_T3_mT4_P12ihipStream_tbEUlT_E_NS1_11comp_targetILNS1_3genE5ELNS1_11target_archE942ELNS1_3gpuE9ELNS1_3repE0EEENS1_30default_config_static_selectorELNS0_4arch9wavefront6targetE1EEEvT1_
	.p2align	8
	.type	_ZN7rocprim17ROCPRIM_400000_NS6detail17trampoline_kernelINS0_14default_configENS1_35adjacent_difference_config_selectorILb0ElEEZNS1_24adjacent_difference_implIS3_Lb0ELb0EPlS7_ZN2at6native12_GLOBAL__N_124unique_dim_cuda_templateIN3c104HalfEEESt5tupleIJNS8_6TensorESF_SF_EERKSF_lbbbEUlllE1_EE10hipError_tPvRmT2_T3_mT4_P12ihipStream_tbEUlT_E_NS1_11comp_targetILNS1_3genE5ELNS1_11target_archE942ELNS1_3gpuE9ELNS1_3repE0EEENS1_30default_config_static_selectorELNS0_4arch9wavefront6targetE1EEEvT1_,@function
_ZN7rocprim17ROCPRIM_400000_NS6detail17trampoline_kernelINS0_14default_configENS1_35adjacent_difference_config_selectorILb0ElEEZNS1_24adjacent_difference_implIS3_Lb0ELb0EPlS7_ZN2at6native12_GLOBAL__N_124unique_dim_cuda_templateIN3c104HalfEEESt5tupleIJNS8_6TensorESF_SF_EERKSF_lbbbEUlllE1_EE10hipError_tPvRmT2_T3_mT4_P12ihipStream_tbEUlT_E_NS1_11comp_targetILNS1_3genE5ELNS1_11target_archE942ELNS1_3gpuE9ELNS1_3repE0EEENS1_30default_config_static_selectorELNS0_4arch9wavefront6targetE1EEEvT1_: ; @_ZN7rocprim17ROCPRIM_400000_NS6detail17trampoline_kernelINS0_14default_configENS1_35adjacent_difference_config_selectorILb0ElEEZNS1_24adjacent_difference_implIS3_Lb0ELb0EPlS7_ZN2at6native12_GLOBAL__N_124unique_dim_cuda_templateIN3c104HalfEEESt5tupleIJNS8_6TensorESF_SF_EERKSF_lbbbEUlllE1_EE10hipError_tPvRmT2_T3_mT4_P12ihipStream_tbEUlT_E_NS1_11comp_targetILNS1_3genE5ELNS1_11target_archE942ELNS1_3gpuE9ELNS1_3repE0EEENS1_30default_config_static_selectorELNS0_4arch9wavefront6targetE1EEEvT1_
; %bb.0:
	.section	.rodata,"a",@progbits
	.p2align	6, 0x0
	.amdhsa_kernel _ZN7rocprim17ROCPRIM_400000_NS6detail17trampoline_kernelINS0_14default_configENS1_35adjacent_difference_config_selectorILb0ElEEZNS1_24adjacent_difference_implIS3_Lb0ELb0EPlS7_ZN2at6native12_GLOBAL__N_124unique_dim_cuda_templateIN3c104HalfEEESt5tupleIJNS8_6TensorESF_SF_EERKSF_lbbbEUlllE1_EE10hipError_tPvRmT2_T3_mT4_P12ihipStream_tbEUlT_E_NS1_11comp_targetILNS1_3genE5ELNS1_11target_archE942ELNS1_3gpuE9ELNS1_3repE0EEENS1_30default_config_static_selectorELNS0_4arch9wavefront6targetE1EEEvT1_
		.amdhsa_group_segment_fixed_size 0
		.amdhsa_private_segment_fixed_size 0
		.amdhsa_kernarg_size 64
		.amdhsa_user_sgpr_count 2
		.amdhsa_user_sgpr_dispatch_ptr 0
		.amdhsa_user_sgpr_queue_ptr 0
		.amdhsa_user_sgpr_kernarg_segment_ptr 1
		.amdhsa_user_sgpr_dispatch_id 0
		.amdhsa_user_sgpr_kernarg_preload_length 0
		.amdhsa_user_sgpr_kernarg_preload_offset 0
		.amdhsa_user_sgpr_private_segment_size 0
		.amdhsa_uses_dynamic_stack 0
		.amdhsa_enable_private_segment 0
		.amdhsa_system_sgpr_workgroup_id_x 1
		.amdhsa_system_sgpr_workgroup_id_y 0
		.amdhsa_system_sgpr_workgroup_id_z 0
		.amdhsa_system_sgpr_workgroup_info 0
		.amdhsa_system_vgpr_workitem_id 0
		.amdhsa_next_free_vgpr 1
		.amdhsa_next_free_sgpr 0
		.amdhsa_accum_offset 4
		.amdhsa_reserve_vcc 0
		.amdhsa_float_round_mode_32 0
		.amdhsa_float_round_mode_16_64 0
		.amdhsa_float_denorm_mode_32 3
		.amdhsa_float_denorm_mode_16_64 3
		.amdhsa_dx10_clamp 1
		.amdhsa_ieee_mode 1
		.amdhsa_fp16_overflow 0
		.amdhsa_tg_split 0
		.amdhsa_exception_fp_ieee_invalid_op 0
		.amdhsa_exception_fp_denorm_src 0
		.amdhsa_exception_fp_ieee_div_zero 0
		.amdhsa_exception_fp_ieee_overflow 0
		.amdhsa_exception_fp_ieee_underflow 0
		.amdhsa_exception_fp_ieee_inexact 0
		.amdhsa_exception_int_div_zero 0
	.end_amdhsa_kernel
	.section	.text._ZN7rocprim17ROCPRIM_400000_NS6detail17trampoline_kernelINS0_14default_configENS1_35adjacent_difference_config_selectorILb0ElEEZNS1_24adjacent_difference_implIS3_Lb0ELb0EPlS7_ZN2at6native12_GLOBAL__N_124unique_dim_cuda_templateIN3c104HalfEEESt5tupleIJNS8_6TensorESF_SF_EERKSF_lbbbEUlllE1_EE10hipError_tPvRmT2_T3_mT4_P12ihipStream_tbEUlT_E_NS1_11comp_targetILNS1_3genE5ELNS1_11target_archE942ELNS1_3gpuE9ELNS1_3repE0EEENS1_30default_config_static_selectorELNS0_4arch9wavefront6targetE1EEEvT1_,"axG",@progbits,_ZN7rocprim17ROCPRIM_400000_NS6detail17trampoline_kernelINS0_14default_configENS1_35adjacent_difference_config_selectorILb0ElEEZNS1_24adjacent_difference_implIS3_Lb0ELb0EPlS7_ZN2at6native12_GLOBAL__N_124unique_dim_cuda_templateIN3c104HalfEEESt5tupleIJNS8_6TensorESF_SF_EERKSF_lbbbEUlllE1_EE10hipError_tPvRmT2_T3_mT4_P12ihipStream_tbEUlT_E_NS1_11comp_targetILNS1_3genE5ELNS1_11target_archE942ELNS1_3gpuE9ELNS1_3repE0EEENS1_30default_config_static_selectorELNS0_4arch9wavefront6targetE1EEEvT1_,comdat
.Lfunc_end1274:
	.size	_ZN7rocprim17ROCPRIM_400000_NS6detail17trampoline_kernelINS0_14default_configENS1_35adjacent_difference_config_selectorILb0ElEEZNS1_24adjacent_difference_implIS3_Lb0ELb0EPlS7_ZN2at6native12_GLOBAL__N_124unique_dim_cuda_templateIN3c104HalfEEESt5tupleIJNS8_6TensorESF_SF_EERKSF_lbbbEUlllE1_EE10hipError_tPvRmT2_T3_mT4_P12ihipStream_tbEUlT_E_NS1_11comp_targetILNS1_3genE5ELNS1_11target_archE942ELNS1_3gpuE9ELNS1_3repE0EEENS1_30default_config_static_selectorELNS0_4arch9wavefront6targetE1EEEvT1_, .Lfunc_end1274-_ZN7rocprim17ROCPRIM_400000_NS6detail17trampoline_kernelINS0_14default_configENS1_35adjacent_difference_config_selectorILb0ElEEZNS1_24adjacent_difference_implIS3_Lb0ELb0EPlS7_ZN2at6native12_GLOBAL__N_124unique_dim_cuda_templateIN3c104HalfEEESt5tupleIJNS8_6TensorESF_SF_EERKSF_lbbbEUlllE1_EE10hipError_tPvRmT2_T3_mT4_P12ihipStream_tbEUlT_E_NS1_11comp_targetILNS1_3genE5ELNS1_11target_archE942ELNS1_3gpuE9ELNS1_3repE0EEENS1_30default_config_static_selectorELNS0_4arch9wavefront6targetE1EEEvT1_
                                        ; -- End function
	.set _ZN7rocprim17ROCPRIM_400000_NS6detail17trampoline_kernelINS0_14default_configENS1_35adjacent_difference_config_selectorILb0ElEEZNS1_24adjacent_difference_implIS3_Lb0ELb0EPlS7_ZN2at6native12_GLOBAL__N_124unique_dim_cuda_templateIN3c104HalfEEESt5tupleIJNS8_6TensorESF_SF_EERKSF_lbbbEUlllE1_EE10hipError_tPvRmT2_T3_mT4_P12ihipStream_tbEUlT_E_NS1_11comp_targetILNS1_3genE5ELNS1_11target_archE942ELNS1_3gpuE9ELNS1_3repE0EEENS1_30default_config_static_selectorELNS0_4arch9wavefront6targetE1EEEvT1_.num_vgpr, 0
	.set _ZN7rocprim17ROCPRIM_400000_NS6detail17trampoline_kernelINS0_14default_configENS1_35adjacent_difference_config_selectorILb0ElEEZNS1_24adjacent_difference_implIS3_Lb0ELb0EPlS7_ZN2at6native12_GLOBAL__N_124unique_dim_cuda_templateIN3c104HalfEEESt5tupleIJNS8_6TensorESF_SF_EERKSF_lbbbEUlllE1_EE10hipError_tPvRmT2_T3_mT4_P12ihipStream_tbEUlT_E_NS1_11comp_targetILNS1_3genE5ELNS1_11target_archE942ELNS1_3gpuE9ELNS1_3repE0EEENS1_30default_config_static_selectorELNS0_4arch9wavefront6targetE1EEEvT1_.num_agpr, 0
	.set _ZN7rocprim17ROCPRIM_400000_NS6detail17trampoline_kernelINS0_14default_configENS1_35adjacent_difference_config_selectorILb0ElEEZNS1_24adjacent_difference_implIS3_Lb0ELb0EPlS7_ZN2at6native12_GLOBAL__N_124unique_dim_cuda_templateIN3c104HalfEEESt5tupleIJNS8_6TensorESF_SF_EERKSF_lbbbEUlllE1_EE10hipError_tPvRmT2_T3_mT4_P12ihipStream_tbEUlT_E_NS1_11comp_targetILNS1_3genE5ELNS1_11target_archE942ELNS1_3gpuE9ELNS1_3repE0EEENS1_30default_config_static_selectorELNS0_4arch9wavefront6targetE1EEEvT1_.numbered_sgpr, 0
	.set _ZN7rocprim17ROCPRIM_400000_NS6detail17trampoline_kernelINS0_14default_configENS1_35adjacent_difference_config_selectorILb0ElEEZNS1_24adjacent_difference_implIS3_Lb0ELb0EPlS7_ZN2at6native12_GLOBAL__N_124unique_dim_cuda_templateIN3c104HalfEEESt5tupleIJNS8_6TensorESF_SF_EERKSF_lbbbEUlllE1_EE10hipError_tPvRmT2_T3_mT4_P12ihipStream_tbEUlT_E_NS1_11comp_targetILNS1_3genE5ELNS1_11target_archE942ELNS1_3gpuE9ELNS1_3repE0EEENS1_30default_config_static_selectorELNS0_4arch9wavefront6targetE1EEEvT1_.num_named_barrier, 0
	.set _ZN7rocprim17ROCPRIM_400000_NS6detail17trampoline_kernelINS0_14default_configENS1_35adjacent_difference_config_selectorILb0ElEEZNS1_24adjacent_difference_implIS3_Lb0ELb0EPlS7_ZN2at6native12_GLOBAL__N_124unique_dim_cuda_templateIN3c104HalfEEESt5tupleIJNS8_6TensorESF_SF_EERKSF_lbbbEUlllE1_EE10hipError_tPvRmT2_T3_mT4_P12ihipStream_tbEUlT_E_NS1_11comp_targetILNS1_3genE5ELNS1_11target_archE942ELNS1_3gpuE9ELNS1_3repE0EEENS1_30default_config_static_selectorELNS0_4arch9wavefront6targetE1EEEvT1_.private_seg_size, 0
	.set _ZN7rocprim17ROCPRIM_400000_NS6detail17trampoline_kernelINS0_14default_configENS1_35adjacent_difference_config_selectorILb0ElEEZNS1_24adjacent_difference_implIS3_Lb0ELb0EPlS7_ZN2at6native12_GLOBAL__N_124unique_dim_cuda_templateIN3c104HalfEEESt5tupleIJNS8_6TensorESF_SF_EERKSF_lbbbEUlllE1_EE10hipError_tPvRmT2_T3_mT4_P12ihipStream_tbEUlT_E_NS1_11comp_targetILNS1_3genE5ELNS1_11target_archE942ELNS1_3gpuE9ELNS1_3repE0EEENS1_30default_config_static_selectorELNS0_4arch9wavefront6targetE1EEEvT1_.uses_vcc, 0
	.set _ZN7rocprim17ROCPRIM_400000_NS6detail17trampoline_kernelINS0_14default_configENS1_35adjacent_difference_config_selectorILb0ElEEZNS1_24adjacent_difference_implIS3_Lb0ELb0EPlS7_ZN2at6native12_GLOBAL__N_124unique_dim_cuda_templateIN3c104HalfEEESt5tupleIJNS8_6TensorESF_SF_EERKSF_lbbbEUlllE1_EE10hipError_tPvRmT2_T3_mT4_P12ihipStream_tbEUlT_E_NS1_11comp_targetILNS1_3genE5ELNS1_11target_archE942ELNS1_3gpuE9ELNS1_3repE0EEENS1_30default_config_static_selectorELNS0_4arch9wavefront6targetE1EEEvT1_.uses_flat_scratch, 0
	.set _ZN7rocprim17ROCPRIM_400000_NS6detail17trampoline_kernelINS0_14default_configENS1_35adjacent_difference_config_selectorILb0ElEEZNS1_24adjacent_difference_implIS3_Lb0ELb0EPlS7_ZN2at6native12_GLOBAL__N_124unique_dim_cuda_templateIN3c104HalfEEESt5tupleIJNS8_6TensorESF_SF_EERKSF_lbbbEUlllE1_EE10hipError_tPvRmT2_T3_mT4_P12ihipStream_tbEUlT_E_NS1_11comp_targetILNS1_3genE5ELNS1_11target_archE942ELNS1_3gpuE9ELNS1_3repE0EEENS1_30default_config_static_selectorELNS0_4arch9wavefront6targetE1EEEvT1_.has_dyn_sized_stack, 0
	.set _ZN7rocprim17ROCPRIM_400000_NS6detail17trampoline_kernelINS0_14default_configENS1_35adjacent_difference_config_selectorILb0ElEEZNS1_24adjacent_difference_implIS3_Lb0ELb0EPlS7_ZN2at6native12_GLOBAL__N_124unique_dim_cuda_templateIN3c104HalfEEESt5tupleIJNS8_6TensorESF_SF_EERKSF_lbbbEUlllE1_EE10hipError_tPvRmT2_T3_mT4_P12ihipStream_tbEUlT_E_NS1_11comp_targetILNS1_3genE5ELNS1_11target_archE942ELNS1_3gpuE9ELNS1_3repE0EEENS1_30default_config_static_selectorELNS0_4arch9wavefront6targetE1EEEvT1_.has_recursion, 0
	.set _ZN7rocprim17ROCPRIM_400000_NS6detail17trampoline_kernelINS0_14default_configENS1_35adjacent_difference_config_selectorILb0ElEEZNS1_24adjacent_difference_implIS3_Lb0ELb0EPlS7_ZN2at6native12_GLOBAL__N_124unique_dim_cuda_templateIN3c104HalfEEESt5tupleIJNS8_6TensorESF_SF_EERKSF_lbbbEUlllE1_EE10hipError_tPvRmT2_T3_mT4_P12ihipStream_tbEUlT_E_NS1_11comp_targetILNS1_3genE5ELNS1_11target_archE942ELNS1_3gpuE9ELNS1_3repE0EEENS1_30default_config_static_selectorELNS0_4arch9wavefront6targetE1EEEvT1_.has_indirect_call, 0
	.section	.AMDGPU.csdata,"",@progbits
; Kernel info:
; codeLenInByte = 0
; TotalNumSgprs: 6
; NumVgprs: 0
; NumAgprs: 0
; TotalNumVgprs: 0
; ScratchSize: 0
; MemoryBound: 0
; FloatMode: 240
; IeeeMode: 1
; LDSByteSize: 0 bytes/workgroup (compile time only)
; SGPRBlocks: 0
; VGPRBlocks: 0
; NumSGPRsForWavesPerEU: 6
; NumVGPRsForWavesPerEU: 1
; AccumOffset: 4
; Occupancy: 8
; WaveLimiterHint : 0
; COMPUTE_PGM_RSRC2:SCRATCH_EN: 0
; COMPUTE_PGM_RSRC2:USER_SGPR: 2
; COMPUTE_PGM_RSRC2:TRAP_HANDLER: 0
; COMPUTE_PGM_RSRC2:TGID_X_EN: 1
; COMPUTE_PGM_RSRC2:TGID_Y_EN: 0
; COMPUTE_PGM_RSRC2:TGID_Z_EN: 0
; COMPUTE_PGM_RSRC2:TIDIG_COMP_CNT: 0
; COMPUTE_PGM_RSRC3_GFX90A:ACCUM_OFFSET: 0
; COMPUTE_PGM_RSRC3_GFX90A:TG_SPLIT: 0
	.section	.text._ZN7rocprim17ROCPRIM_400000_NS6detail17trampoline_kernelINS0_14default_configENS1_35adjacent_difference_config_selectorILb0ElEEZNS1_24adjacent_difference_implIS3_Lb0ELb0EPlS7_ZN2at6native12_GLOBAL__N_124unique_dim_cuda_templateIN3c104HalfEEESt5tupleIJNS8_6TensorESF_SF_EERKSF_lbbbEUlllE1_EE10hipError_tPvRmT2_T3_mT4_P12ihipStream_tbEUlT_E_NS1_11comp_targetILNS1_3genE4ELNS1_11target_archE910ELNS1_3gpuE8ELNS1_3repE0EEENS1_30default_config_static_selectorELNS0_4arch9wavefront6targetE1EEEvT1_,"axG",@progbits,_ZN7rocprim17ROCPRIM_400000_NS6detail17trampoline_kernelINS0_14default_configENS1_35adjacent_difference_config_selectorILb0ElEEZNS1_24adjacent_difference_implIS3_Lb0ELb0EPlS7_ZN2at6native12_GLOBAL__N_124unique_dim_cuda_templateIN3c104HalfEEESt5tupleIJNS8_6TensorESF_SF_EERKSF_lbbbEUlllE1_EE10hipError_tPvRmT2_T3_mT4_P12ihipStream_tbEUlT_E_NS1_11comp_targetILNS1_3genE4ELNS1_11target_archE910ELNS1_3gpuE8ELNS1_3repE0EEENS1_30default_config_static_selectorELNS0_4arch9wavefront6targetE1EEEvT1_,comdat
	.globl	_ZN7rocprim17ROCPRIM_400000_NS6detail17trampoline_kernelINS0_14default_configENS1_35adjacent_difference_config_selectorILb0ElEEZNS1_24adjacent_difference_implIS3_Lb0ELb0EPlS7_ZN2at6native12_GLOBAL__N_124unique_dim_cuda_templateIN3c104HalfEEESt5tupleIJNS8_6TensorESF_SF_EERKSF_lbbbEUlllE1_EE10hipError_tPvRmT2_T3_mT4_P12ihipStream_tbEUlT_E_NS1_11comp_targetILNS1_3genE4ELNS1_11target_archE910ELNS1_3gpuE8ELNS1_3repE0EEENS1_30default_config_static_selectorELNS0_4arch9wavefront6targetE1EEEvT1_ ; -- Begin function _ZN7rocprim17ROCPRIM_400000_NS6detail17trampoline_kernelINS0_14default_configENS1_35adjacent_difference_config_selectorILb0ElEEZNS1_24adjacent_difference_implIS3_Lb0ELb0EPlS7_ZN2at6native12_GLOBAL__N_124unique_dim_cuda_templateIN3c104HalfEEESt5tupleIJNS8_6TensorESF_SF_EERKSF_lbbbEUlllE1_EE10hipError_tPvRmT2_T3_mT4_P12ihipStream_tbEUlT_E_NS1_11comp_targetILNS1_3genE4ELNS1_11target_archE910ELNS1_3gpuE8ELNS1_3repE0EEENS1_30default_config_static_selectorELNS0_4arch9wavefront6targetE1EEEvT1_
	.p2align	8
	.type	_ZN7rocprim17ROCPRIM_400000_NS6detail17trampoline_kernelINS0_14default_configENS1_35adjacent_difference_config_selectorILb0ElEEZNS1_24adjacent_difference_implIS3_Lb0ELb0EPlS7_ZN2at6native12_GLOBAL__N_124unique_dim_cuda_templateIN3c104HalfEEESt5tupleIJNS8_6TensorESF_SF_EERKSF_lbbbEUlllE1_EE10hipError_tPvRmT2_T3_mT4_P12ihipStream_tbEUlT_E_NS1_11comp_targetILNS1_3genE4ELNS1_11target_archE910ELNS1_3gpuE8ELNS1_3repE0EEENS1_30default_config_static_selectorELNS0_4arch9wavefront6targetE1EEEvT1_,@function
_ZN7rocprim17ROCPRIM_400000_NS6detail17trampoline_kernelINS0_14default_configENS1_35adjacent_difference_config_selectorILb0ElEEZNS1_24adjacent_difference_implIS3_Lb0ELb0EPlS7_ZN2at6native12_GLOBAL__N_124unique_dim_cuda_templateIN3c104HalfEEESt5tupleIJNS8_6TensorESF_SF_EERKSF_lbbbEUlllE1_EE10hipError_tPvRmT2_T3_mT4_P12ihipStream_tbEUlT_E_NS1_11comp_targetILNS1_3genE4ELNS1_11target_archE910ELNS1_3gpuE8ELNS1_3repE0EEENS1_30default_config_static_selectorELNS0_4arch9wavefront6targetE1EEEvT1_: ; @_ZN7rocprim17ROCPRIM_400000_NS6detail17trampoline_kernelINS0_14default_configENS1_35adjacent_difference_config_selectorILb0ElEEZNS1_24adjacent_difference_implIS3_Lb0ELb0EPlS7_ZN2at6native12_GLOBAL__N_124unique_dim_cuda_templateIN3c104HalfEEESt5tupleIJNS8_6TensorESF_SF_EERKSF_lbbbEUlllE1_EE10hipError_tPvRmT2_T3_mT4_P12ihipStream_tbEUlT_E_NS1_11comp_targetILNS1_3genE4ELNS1_11target_archE910ELNS1_3gpuE8ELNS1_3repE0EEENS1_30default_config_static_selectorELNS0_4arch9wavefront6targetE1EEEvT1_
; %bb.0:
	.section	.rodata,"a",@progbits
	.p2align	6, 0x0
	.amdhsa_kernel _ZN7rocprim17ROCPRIM_400000_NS6detail17trampoline_kernelINS0_14default_configENS1_35adjacent_difference_config_selectorILb0ElEEZNS1_24adjacent_difference_implIS3_Lb0ELb0EPlS7_ZN2at6native12_GLOBAL__N_124unique_dim_cuda_templateIN3c104HalfEEESt5tupleIJNS8_6TensorESF_SF_EERKSF_lbbbEUlllE1_EE10hipError_tPvRmT2_T3_mT4_P12ihipStream_tbEUlT_E_NS1_11comp_targetILNS1_3genE4ELNS1_11target_archE910ELNS1_3gpuE8ELNS1_3repE0EEENS1_30default_config_static_selectorELNS0_4arch9wavefront6targetE1EEEvT1_
		.amdhsa_group_segment_fixed_size 0
		.amdhsa_private_segment_fixed_size 0
		.amdhsa_kernarg_size 64
		.amdhsa_user_sgpr_count 2
		.amdhsa_user_sgpr_dispatch_ptr 0
		.amdhsa_user_sgpr_queue_ptr 0
		.amdhsa_user_sgpr_kernarg_segment_ptr 1
		.amdhsa_user_sgpr_dispatch_id 0
		.amdhsa_user_sgpr_kernarg_preload_length 0
		.amdhsa_user_sgpr_kernarg_preload_offset 0
		.amdhsa_user_sgpr_private_segment_size 0
		.amdhsa_uses_dynamic_stack 0
		.amdhsa_enable_private_segment 0
		.amdhsa_system_sgpr_workgroup_id_x 1
		.amdhsa_system_sgpr_workgroup_id_y 0
		.amdhsa_system_sgpr_workgroup_id_z 0
		.amdhsa_system_sgpr_workgroup_info 0
		.amdhsa_system_vgpr_workitem_id 0
		.amdhsa_next_free_vgpr 1
		.amdhsa_next_free_sgpr 0
		.amdhsa_accum_offset 4
		.amdhsa_reserve_vcc 0
		.amdhsa_float_round_mode_32 0
		.amdhsa_float_round_mode_16_64 0
		.amdhsa_float_denorm_mode_32 3
		.amdhsa_float_denorm_mode_16_64 3
		.amdhsa_dx10_clamp 1
		.amdhsa_ieee_mode 1
		.amdhsa_fp16_overflow 0
		.amdhsa_tg_split 0
		.amdhsa_exception_fp_ieee_invalid_op 0
		.amdhsa_exception_fp_denorm_src 0
		.amdhsa_exception_fp_ieee_div_zero 0
		.amdhsa_exception_fp_ieee_overflow 0
		.amdhsa_exception_fp_ieee_underflow 0
		.amdhsa_exception_fp_ieee_inexact 0
		.amdhsa_exception_int_div_zero 0
	.end_amdhsa_kernel
	.section	.text._ZN7rocprim17ROCPRIM_400000_NS6detail17trampoline_kernelINS0_14default_configENS1_35adjacent_difference_config_selectorILb0ElEEZNS1_24adjacent_difference_implIS3_Lb0ELb0EPlS7_ZN2at6native12_GLOBAL__N_124unique_dim_cuda_templateIN3c104HalfEEESt5tupleIJNS8_6TensorESF_SF_EERKSF_lbbbEUlllE1_EE10hipError_tPvRmT2_T3_mT4_P12ihipStream_tbEUlT_E_NS1_11comp_targetILNS1_3genE4ELNS1_11target_archE910ELNS1_3gpuE8ELNS1_3repE0EEENS1_30default_config_static_selectorELNS0_4arch9wavefront6targetE1EEEvT1_,"axG",@progbits,_ZN7rocprim17ROCPRIM_400000_NS6detail17trampoline_kernelINS0_14default_configENS1_35adjacent_difference_config_selectorILb0ElEEZNS1_24adjacent_difference_implIS3_Lb0ELb0EPlS7_ZN2at6native12_GLOBAL__N_124unique_dim_cuda_templateIN3c104HalfEEESt5tupleIJNS8_6TensorESF_SF_EERKSF_lbbbEUlllE1_EE10hipError_tPvRmT2_T3_mT4_P12ihipStream_tbEUlT_E_NS1_11comp_targetILNS1_3genE4ELNS1_11target_archE910ELNS1_3gpuE8ELNS1_3repE0EEENS1_30default_config_static_selectorELNS0_4arch9wavefront6targetE1EEEvT1_,comdat
.Lfunc_end1275:
	.size	_ZN7rocprim17ROCPRIM_400000_NS6detail17trampoline_kernelINS0_14default_configENS1_35adjacent_difference_config_selectorILb0ElEEZNS1_24adjacent_difference_implIS3_Lb0ELb0EPlS7_ZN2at6native12_GLOBAL__N_124unique_dim_cuda_templateIN3c104HalfEEESt5tupleIJNS8_6TensorESF_SF_EERKSF_lbbbEUlllE1_EE10hipError_tPvRmT2_T3_mT4_P12ihipStream_tbEUlT_E_NS1_11comp_targetILNS1_3genE4ELNS1_11target_archE910ELNS1_3gpuE8ELNS1_3repE0EEENS1_30default_config_static_selectorELNS0_4arch9wavefront6targetE1EEEvT1_, .Lfunc_end1275-_ZN7rocprim17ROCPRIM_400000_NS6detail17trampoline_kernelINS0_14default_configENS1_35adjacent_difference_config_selectorILb0ElEEZNS1_24adjacent_difference_implIS3_Lb0ELb0EPlS7_ZN2at6native12_GLOBAL__N_124unique_dim_cuda_templateIN3c104HalfEEESt5tupleIJNS8_6TensorESF_SF_EERKSF_lbbbEUlllE1_EE10hipError_tPvRmT2_T3_mT4_P12ihipStream_tbEUlT_E_NS1_11comp_targetILNS1_3genE4ELNS1_11target_archE910ELNS1_3gpuE8ELNS1_3repE0EEENS1_30default_config_static_selectorELNS0_4arch9wavefront6targetE1EEEvT1_
                                        ; -- End function
	.set _ZN7rocprim17ROCPRIM_400000_NS6detail17trampoline_kernelINS0_14default_configENS1_35adjacent_difference_config_selectorILb0ElEEZNS1_24adjacent_difference_implIS3_Lb0ELb0EPlS7_ZN2at6native12_GLOBAL__N_124unique_dim_cuda_templateIN3c104HalfEEESt5tupleIJNS8_6TensorESF_SF_EERKSF_lbbbEUlllE1_EE10hipError_tPvRmT2_T3_mT4_P12ihipStream_tbEUlT_E_NS1_11comp_targetILNS1_3genE4ELNS1_11target_archE910ELNS1_3gpuE8ELNS1_3repE0EEENS1_30default_config_static_selectorELNS0_4arch9wavefront6targetE1EEEvT1_.num_vgpr, 0
	.set _ZN7rocprim17ROCPRIM_400000_NS6detail17trampoline_kernelINS0_14default_configENS1_35adjacent_difference_config_selectorILb0ElEEZNS1_24adjacent_difference_implIS3_Lb0ELb0EPlS7_ZN2at6native12_GLOBAL__N_124unique_dim_cuda_templateIN3c104HalfEEESt5tupleIJNS8_6TensorESF_SF_EERKSF_lbbbEUlllE1_EE10hipError_tPvRmT2_T3_mT4_P12ihipStream_tbEUlT_E_NS1_11comp_targetILNS1_3genE4ELNS1_11target_archE910ELNS1_3gpuE8ELNS1_3repE0EEENS1_30default_config_static_selectorELNS0_4arch9wavefront6targetE1EEEvT1_.num_agpr, 0
	.set _ZN7rocprim17ROCPRIM_400000_NS6detail17trampoline_kernelINS0_14default_configENS1_35adjacent_difference_config_selectorILb0ElEEZNS1_24adjacent_difference_implIS3_Lb0ELb0EPlS7_ZN2at6native12_GLOBAL__N_124unique_dim_cuda_templateIN3c104HalfEEESt5tupleIJNS8_6TensorESF_SF_EERKSF_lbbbEUlllE1_EE10hipError_tPvRmT2_T3_mT4_P12ihipStream_tbEUlT_E_NS1_11comp_targetILNS1_3genE4ELNS1_11target_archE910ELNS1_3gpuE8ELNS1_3repE0EEENS1_30default_config_static_selectorELNS0_4arch9wavefront6targetE1EEEvT1_.numbered_sgpr, 0
	.set _ZN7rocprim17ROCPRIM_400000_NS6detail17trampoline_kernelINS0_14default_configENS1_35adjacent_difference_config_selectorILb0ElEEZNS1_24adjacent_difference_implIS3_Lb0ELb0EPlS7_ZN2at6native12_GLOBAL__N_124unique_dim_cuda_templateIN3c104HalfEEESt5tupleIJNS8_6TensorESF_SF_EERKSF_lbbbEUlllE1_EE10hipError_tPvRmT2_T3_mT4_P12ihipStream_tbEUlT_E_NS1_11comp_targetILNS1_3genE4ELNS1_11target_archE910ELNS1_3gpuE8ELNS1_3repE0EEENS1_30default_config_static_selectorELNS0_4arch9wavefront6targetE1EEEvT1_.num_named_barrier, 0
	.set _ZN7rocprim17ROCPRIM_400000_NS6detail17trampoline_kernelINS0_14default_configENS1_35adjacent_difference_config_selectorILb0ElEEZNS1_24adjacent_difference_implIS3_Lb0ELb0EPlS7_ZN2at6native12_GLOBAL__N_124unique_dim_cuda_templateIN3c104HalfEEESt5tupleIJNS8_6TensorESF_SF_EERKSF_lbbbEUlllE1_EE10hipError_tPvRmT2_T3_mT4_P12ihipStream_tbEUlT_E_NS1_11comp_targetILNS1_3genE4ELNS1_11target_archE910ELNS1_3gpuE8ELNS1_3repE0EEENS1_30default_config_static_selectorELNS0_4arch9wavefront6targetE1EEEvT1_.private_seg_size, 0
	.set _ZN7rocprim17ROCPRIM_400000_NS6detail17trampoline_kernelINS0_14default_configENS1_35adjacent_difference_config_selectorILb0ElEEZNS1_24adjacent_difference_implIS3_Lb0ELb0EPlS7_ZN2at6native12_GLOBAL__N_124unique_dim_cuda_templateIN3c104HalfEEESt5tupleIJNS8_6TensorESF_SF_EERKSF_lbbbEUlllE1_EE10hipError_tPvRmT2_T3_mT4_P12ihipStream_tbEUlT_E_NS1_11comp_targetILNS1_3genE4ELNS1_11target_archE910ELNS1_3gpuE8ELNS1_3repE0EEENS1_30default_config_static_selectorELNS0_4arch9wavefront6targetE1EEEvT1_.uses_vcc, 0
	.set _ZN7rocprim17ROCPRIM_400000_NS6detail17trampoline_kernelINS0_14default_configENS1_35adjacent_difference_config_selectorILb0ElEEZNS1_24adjacent_difference_implIS3_Lb0ELb0EPlS7_ZN2at6native12_GLOBAL__N_124unique_dim_cuda_templateIN3c104HalfEEESt5tupleIJNS8_6TensorESF_SF_EERKSF_lbbbEUlllE1_EE10hipError_tPvRmT2_T3_mT4_P12ihipStream_tbEUlT_E_NS1_11comp_targetILNS1_3genE4ELNS1_11target_archE910ELNS1_3gpuE8ELNS1_3repE0EEENS1_30default_config_static_selectorELNS0_4arch9wavefront6targetE1EEEvT1_.uses_flat_scratch, 0
	.set _ZN7rocprim17ROCPRIM_400000_NS6detail17trampoline_kernelINS0_14default_configENS1_35adjacent_difference_config_selectorILb0ElEEZNS1_24adjacent_difference_implIS3_Lb0ELb0EPlS7_ZN2at6native12_GLOBAL__N_124unique_dim_cuda_templateIN3c104HalfEEESt5tupleIJNS8_6TensorESF_SF_EERKSF_lbbbEUlllE1_EE10hipError_tPvRmT2_T3_mT4_P12ihipStream_tbEUlT_E_NS1_11comp_targetILNS1_3genE4ELNS1_11target_archE910ELNS1_3gpuE8ELNS1_3repE0EEENS1_30default_config_static_selectorELNS0_4arch9wavefront6targetE1EEEvT1_.has_dyn_sized_stack, 0
	.set _ZN7rocprim17ROCPRIM_400000_NS6detail17trampoline_kernelINS0_14default_configENS1_35adjacent_difference_config_selectorILb0ElEEZNS1_24adjacent_difference_implIS3_Lb0ELb0EPlS7_ZN2at6native12_GLOBAL__N_124unique_dim_cuda_templateIN3c104HalfEEESt5tupleIJNS8_6TensorESF_SF_EERKSF_lbbbEUlllE1_EE10hipError_tPvRmT2_T3_mT4_P12ihipStream_tbEUlT_E_NS1_11comp_targetILNS1_3genE4ELNS1_11target_archE910ELNS1_3gpuE8ELNS1_3repE0EEENS1_30default_config_static_selectorELNS0_4arch9wavefront6targetE1EEEvT1_.has_recursion, 0
	.set _ZN7rocprim17ROCPRIM_400000_NS6detail17trampoline_kernelINS0_14default_configENS1_35adjacent_difference_config_selectorILb0ElEEZNS1_24adjacent_difference_implIS3_Lb0ELb0EPlS7_ZN2at6native12_GLOBAL__N_124unique_dim_cuda_templateIN3c104HalfEEESt5tupleIJNS8_6TensorESF_SF_EERKSF_lbbbEUlllE1_EE10hipError_tPvRmT2_T3_mT4_P12ihipStream_tbEUlT_E_NS1_11comp_targetILNS1_3genE4ELNS1_11target_archE910ELNS1_3gpuE8ELNS1_3repE0EEENS1_30default_config_static_selectorELNS0_4arch9wavefront6targetE1EEEvT1_.has_indirect_call, 0
	.section	.AMDGPU.csdata,"",@progbits
; Kernel info:
; codeLenInByte = 0
; TotalNumSgprs: 6
; NumVgprs: 0
; NumAgprs: 0
; TotalNumVgprs: 0
; ScratchSize: 0
; MemoryBound: 0
; FloatMode: 240
; IeeeMode: 1
; LDSByteSize: 0 bytes/workgroup (compile time only)
; SGPRBlocks: 0
; VGPRBlocks: 0
; NumSGPRsForWavesPerEU: 6
; NumVGPRsForWavesPerEU: 1
; AccumOffset: 4
; Occupancy: 8
; WaveLimiterHint : 0
; COMPUTE_PGM_RSRC2:SCRATCH_EN: 0
; COMPUTE_PGM_RSRC2:USER_SGPR: 2
; COMPUTE_PGM_RSRC2:TRAP_HANDLER: 0
; COMPUTE_PGM_RSRC2:TGID_X_EN: 1
; COMPUTE_PGM_RSRC2:TGID_Y_EN: 0
; COMPUTE_PGM_RSRC2:TGID_Z_EN: 0
; COMPUTE_PGM_RSRC2:TIDIG_COMP_CNT: 0
; COMPUTE_PGM_RSRC3_GFX90A:ACCUM_OFFSET: 0
; COMPUTE_PGM_RSRC3_GFX90A:TG_SPLIT: 0
	.section	.text._ZN7rocprim17ROCPRIM_400000_NS6detail17trampoline_kernelINS0_14default_configENS1_35adjacent_difference_config_selectorILb0ElEEZNS1_24adjacent_difference_implIS3_Lb0ELb0EPlS7_ZN2at6native12_GLOBAL__N_124unique_dim_cuda_templateIN3c104HalfEEESt5tupleIJNS8_6TensorESF_SF_EERKSF_lbbbEUlllE1_EE10hipError_tPvRmT2_T3_mT4_P12ihipStream_tbEUlT_E_NS1_11comp_targetILNS1_3genE3ELNS1_11target_archE908ELNS1_3gpuE7ELNS1_3repE0EEENS1_30default_config_static_selectorELNS0_4arch9wavefront6targetE1EEEvT1_,"axG",@progbits,_ZN7rocprim17ROCPRIM_400000_NS6detail17trampoline_kernelINS0_14default_configENS1_35adjacent_difference_config_selectorILb0ElEEZNS1_24adjacent_difference_implIS3_Lb0ELb0EPlS7_ZN2at6native12_GLOBAL__N_124unique_dim_cuda_templateIN3c104HalfEEESt5tupleIJNS8_6TensorESF_SF_EERKSF_lbbbEUlllE1_EE10hipError_tPvRmT2_T3_mT4_P12ihipStream_tbEUlT_E_NS1_11comp_targetILNS1_3genE3ELNS1_11target_archE908ELNS1_3gpuE7ELNS1_3repE0EEENS1_30default_config_static_selectorELNS0_4arch9wavefront6targetE1EEEvT1_,comdat
	.globl	_ZN7rocprim17ROCPRIM_400000_NS6detail17trampoline_kernelINS0_14default_configENS1_35adjacent_difference_config_selectorILb0ElEEZNS1_24adjacent_difference_implIS3_Lb0ELb0EPlS7_ZN2at6native12_GLOBAL__N_124unique_dim_cuda_templateIN3c104HalfEEESt5tupleIJNS8_6TensorESF_SF_EERKSF_lbbbEUlllE1_EE10hipError_tPvRmT2_T3_mT4_P12ihipStream_tbEUlT_E_NS1_11comp_targetILNS1_3genE3ELNS1_11target_archE908ELNS1_3gpuE7ELNS1_3repE0EEENS1_30default_config_static_selectorELNS0_4arch9wavefront6targetE1EEEvT1_ ; -- Begin function _ZN7rocprim17ROCPRIM_400000_NS6detail17trampoline_kernelINS0_14default_configENS1_35adjacent_difference_config_selectorILb0ElEEZNS1_24adjacent_difference_implIS3_Lb0ELb0EPlS7_ZN2at6native12_GLOBAL__N_124unique_dim_cuda_templateIN3c104HalfEEESt5tupleIJNS8_6TensorESF_SF_EERKSF_lbbbEUlllE1_EE10hipError_tPvRmT2_T3_mT4_P12ihipStream_tbEUlT_E_NS1_11comp_targetILNS1_3genE3ELNS1_11target_archE908ELNS1_3gpuE7ELNS1_3repE0EEENS1_30default_config_static_selectorELNS0_4arch9wavefront6targetE1EEEvT1_
	.p2align	8
	.type	_ZN7rocprim17ROCPRIM_400000_NS6detail17trampoline_kernelINS0_14default_configENS1_35adjacent_difference_config_selectorILb0ElEEZNS1_24adjacent_difference_implIS3_Lb0ELb0EPlS7_ZN2at6native12_GLOBAL__N_124unique_dim_cuda_templateIN3c104HalfEEESt5tupleIJNS8_6TensorESF_SF_EERKSF_lbbbEUlllE1_EE10hipError_tPvRmT2_T3_mT4_P12ihipStream_tbEUlT_E_NS1_11comp_targetILNS1_3genE3ELNS1_11target_archE908ELNS1_3gpuE7ELNS1_3repE0EEENS1_30default_config_static_selectorELNS0_4arch9wavefront6targetE1EEEvT1_,@function
_ZN7rocprim17ROCPRIM_400000_NS6detail17trampoline_kernelINS0_14default_configENS1_35adjacent_difference_config_selectorILb0ElEEZNS1_24adjacent_difference_implIS3_Lb0ELb0EPlS7_ZN2at6native12_GLOBAL__N_124unique_dim_cuda_templateIN3c104HalfEEESt5tupleIJNS8_6TensorESF_SF_EERKSF_lbbbEUlllE1_EE10hipError_tPvRmT2_T3_mT4_P12ihipStream_tbEUlT_E_NS1_11comp_targetILNS1_3genE3ELNS1_11target_archE908ELNS1_3gpuE7ELNS1_3repE0EEENS1_30default_config_static_selectorELNS0_4arch9wavefront6targetE1EEEvT1_: ; @_ZN7rocprim17ROCPRIM_400000_NS6detail17trampoline_kernelINS0_14default_configENS1_35adjacent_difference_config_selectorILb0ElEEZNS1_24adjacent_difference_implIS3_Lb0ELb0EPlS7_ZN2at6native12_GLOBAL__N_124unique_dim_cuda_templateIN3c104HalfEEESt5tupleIJNS8_6TensorESF_SF_EERKSF_lbbbEUlllE1_EE10hipError_tPvRmT2_T3_mT4_P12ihipStream_tbEUlT_E_NS1_11comp_targetILNS1_3genE3ELNS1_11target_archE908ELNS1_3gpuE7ELNS1_3repE0EEENS1_30default_config_static_selectorELNS0_4arch9wavefront6targetE1EEEvT1_
; %bb.0:
	.section	.rodata,"a",@progbits
	.p2align	6, 0x0
	.amdhsa_kernel _ZN7rocprim17ROCPRIM_400000_NS6detail17trampoline_kernelINS0_14default_configENS1_35adjacent_difference_config_selectorILb0ElEEZNS1_24adjacent_difference_implIS3_Lb0ELb0EPlS7_ZN2at6native12_GLOBAL__N_124unique_dim_cuda_templateIN3c104HalfEEESt5tupleIJNS8_6TensorESF_SF_EERKSF_lbbbEUlllE1_EE10hipError_tPvRmT2_T3_mT4_P12ihipStream_tbEUlT_E_NS1_11comp_targetILNS1_3genE3ELNS1_11target_archE908ELNS1_3gpuE7ELNS1_3repE0EEENS1_30default_config_static_selectorELNS0_4arch9wavefront6targetE1EEEvT1_
		.amdhsa_group_segment_fixed_size 0
		.amdhsa_private_segment_fixed_size 0
		.amdhsa_kernarg_size 64
		.amdhsa_user_sgpr_count 2
		.amdhsa_user_sgpr_dispatch_ptr 0
		.amdhsa_user_sgpr_queue_ptr 0
		.amdhsa_user_sgpr_kernarg_segment_ptr 1
		.amdhsa_user_sgpr_dispatch_id 0
		.amdhsa_user_sgpr_kernarg_preload_length 0
		.amdhsa_user_sgpr_kernarg_preload_offset 0
		.amdhsa_user_sgpr_private_segment_size 0
		.amdhsa_uses_dynamic_stack 0
		.amdhsa_enable_private_segment 0
		.amdhsa_system_sgpr_workgroup_id_x 1
		.amdhsa_system_sgpr_workgroup_id_y 0
		.amdhsa_system_sgpr_workgroup_id_z 0
		.amdhsa_system_sgpr_workgroup_info 0
		.amdhsa_system_vgpr_workitem_id 0
		.amdhsa_next_free_vgpr 1
		.amdhsa_next_free_sgpr 0
		.amdhsa_accum_offset 4
		.amdhsa_reserve_vcc 0
		.amdhsa_float_round_mode_32 0
		.amdhsa_float_round_mode_16_64 0
		.amdhsa_float_denorm_mode_32 3
		.amdhsa_float_denorm_mode_16_64 3
		.amdhsa_dx10_clamp 1
		.amdhsa_ieee_mode 1
		.amdhsa_fp16_overflow 0
		.amdhsa_tg_split 0
		.amdhsa_exception_fp_ieee_invalid_op 0
		.amdhsa_exception_fp_denorm_src 0
		.amdhsa_exception_fp_ieee_div_zero 0
		.amdhsa_exception_fp_ieee_overflow 0
		.amdhsa_exception_fp_ieee_underflow 0
		.amdhsa_exception_fp_ieee_inexact 0
		.amdhsa_exception_int_div_zero 0
	.end_amdhsa_kernel
	.section	.text._ZN7rocprim17ROCPRIM_400000_NS6detail17trampoline_kernelINS0_14default_configENS1_35adjacent_difference_config_selectorILb0ElEEZNS1_24adjacent_difference_implIS3_Lb0ELb0EPlS7_ZN2at6native12_GLOBAL__N_124unique_dim_cuda_templateIN3c104HalfEEESt5tupleIJNS8_6TensorESF_SF_EERKSF_lbbbEUlllE1_EE10hipError_tPvRmT2_T3_mT4_P12ihipStream_tbEUlT_E_NS1_11comp_targetILNS1_3genE3ELNS1_11target_archE908ELNS1_3gpuE7ELNS1_3repE0EEENS1_30default_config_static_selectorELNS0_4arch9wavefront6targetE1EEEvT1_,"axG",@progbits,_ZN7rocprim17ROCPRIM_400000_NS6detail17trampoline_kernelINS0_14default_configENS1_35adjacent_difference_config_selectorILb0ElEEZNS1_24adjacent_difference_implIS3_Lb0ELb0EPlS7_ZN2at6native12_GLOBAL__N_124unique_dim_cuda_templateIN3c104HalfEEESt5tupleIJNS8_6TensorESF_SF_EERKSF_lbbbEUlllE1_EE10hipError_tPvRmT2_T3_mT4_P12ihipStream_tbEUlT_E_NS1_11comp_targetILNS1_3genE3ELNS1_11target_archE908ELNS1_3gpuE7ELNS1_3repE0EEENS1_30default_config_static_selectorELNS0_4arch9wavefront6targetE1EEEvT1_,comdat
.Lfunc_end1276:
	.size	_ZN7rocprim17ROCPRIM_400000_NS6detail17trampoline_kernelINS0_14default_configENS1_35adjacent_difference_config_selectorILb0ElEEZNS1_24adjacent_difference_implIS3_Lb0ELb0EPlS7_ZN2at6native12_GLOBAL__N_124unique_dim_cuda_templateIN3c104HalfEEESt5tupleIJNS8_6TensorESF_SF_EERKSF_lbbbEUlllE1_EE10hipError_tPvRmT2_T3_mT4_P12ihipStream_tbEUlT_E_NS1_11comp_targetILNS1_3genE3ELNS1_11target_archE908ELNS1_3gpuE7ELNS1_3repE0EEENS1_30default_config_static_selectorELNS0_4arch9wavefront6targetE1EEEvT1_, .Lfunc_end1276-_ZN7rocprim17ROCPRIM_400000_NS6detail17trampoline_kernelINS0_14default_configENS1_35adjacent_difference_config_selectorILb0ElEEZNS1_24adjacent_difference_implIS3_Lb0ELb0EPlS7_ZN2at6native12_GLOBAL__N_124unique_dim_cuda_templateIN3c104HalfEEESt5tupleIJNS8_6TensorESF_SF_EERKSF_lbbbEUlllE1_EE10hipError_tPvRmT2_T3_mT4_P12ihipStream_tbEUlT_E_NS1_11comp_targetILNS1_3genE3ELNS1_11target_archE908ELNS1_3gpuE7ELNS1_3repE0EEENS1_30default_config_static_selectorELNS0_4arch9wavefront6targetE1EEEvT1_
                                        ; -- End function
	.set _ZN7rocprim17ROCPRIM_400000_NS6detail17trampoline_kernelINS0_14default_configENS1_35adjacent_difference_config_selectorILb0ElEEZNS1_24adjacent_difference_implIS3_Lb0ELb0EPlS7_ZN2at6native12_GLOBAL__N_124unique_dim_cuda_templateIN3c104HalfEEESt5tupleIJNS8_6TensorESF_SF_EERKSF_lbbbEUlllE1_EE10hipError_tPvRmT2_T3_mT4_P12ihipStream_tbEUlT_E_NS1_11comp_targetILNS1_3genE3ELNS1_11target_archE908ELNS1_3gpuE7ELNS1_3repE0EEENS1_30default_config_static_selectorELNS0_4arch9wavefront6targetE1EEEvT1_.num_vgpr, 0
	.set _ZN7rocprim17ROCPRIM_400000_NS6detail17trampoline_kernelINS0_14default_configENS1_35adjacent_difference_config_selectorILb0ElEEZNS1_24adjacent_difference_implIS3_Lb0ELb0EPlS7_ZN2at6native12_GLOBAL__N_124unique_dim_cuda_templateIN3c104HalfEEESt5tupleIJNS8_6TensorESF_SF_EERKSF_lbbbEUlllE1_EE10hipError_tPvRmT2_T3_mT4_P12ihipStream_tbEUlT_E_NS1_11comp_targetILNS1_3genE3ELNS1_11target_archE908ELNS1_3gpuE7ELNS1_3repE0EEENS1_30default_config_static_selectorELNS0_4arch9wavefront6targetE1EEEvT1_.num_agpr, 0
	.set _ZN7rocprim17ROCPRIM_400000_NS6detail17trampoline_kernelINS0_14default_configENS1_35adjacent_difference_config_selectorILb0ElEEZNS1_24adjacent_difference_implIS3_Lb0ELb0EPlS7_ZN2at6native12_GLOBAL__N_124unique_dim_cuda_templateIN3c104HalfEEESt5tupleIJNS8_6TensorESF_SF_EERKSF_lbbbEUlllE1_EE10hipError_tPvRmT2_T3_mT4_P12ihipStream_tbEUlT_E_NS1_11comp_targetILNS1_3genE3ELNS1_11target_archE908ELNS1_3gpuE7ELNS1_3repE0EEENS1_30default_config_static_selectorELNS0_4arch9wavefront6targetE1EEEvT1_.numbered_sgpr, 0
	.set _ZN7rocprim17ROCPRIM_400000_NS6detail17trampoline_kernelINS0_14default_configENS1_35adjacent_difference_config_selectorILb0ElEEZNS1_24adjacent_difference_implIS3_Lb0ELb0EPlS7_ZN2at6native12_GLOBAL__N_124unique_dim_cuda_templateIN3c104HalfEEESt5tupleIJNS8_6TensorESF_SF_EERKSF_lbbbEUlllE1_EE10hipError_tPvRmT2_T3_mT4_P12ihipStream_tbEUlT_E_NS1_11comp_targetILNS1_3genE3ELNS1_11target_archE908ELNS1_3gpuE7ELNS1_3repE0EEENS1_30default_config_static_selectorELNS0_4arch9wavefront6targetE1EEEvT1_.num_named_barrier, 0
	.set _ZN7rocprim17ROCPRIM_400000_NS6detail17trampoline_kernelINS0_14default_configENS1_35adjacent_difference_config_selectorILb0ElEEZNS1_24adjacent_difference_implIS3_Lb0ELb0EPlS7_ZN2at6native12_GLOBAL__N_124unique_dim_cuda_templateIN3c104HalfEEESt5tupleIJNS8_6TensorESF_SF_EERKSF_lbbbEUlllE1_EE10hipError_tPvRmT2_T3_mT4_P12ihipStream_tbEUlT_E_NS1_11comp_targetILNS1_3genE3ELNS1_11target_archE908ELNS1_3gpuE7ELNS1_3repE0EEENS1_30default_config_static_selectorELNS0_4arch9wavefront6targetE1EEEvT1_.private_seg_size, 0
	.set _ZN7rocprim17ROCPRIM_400000_NS6detail17trampoline_kernelINS0_14default_configENS1_35adjacent_difference_config_selectorILb0ElEEZNS1_24adjacent_difference_implIS3_Lb0ELb0EPlS7_ZN2at6native12_GLOBAL__N_124unique_dim_cuda_templateIN3c104HalfEEESt5tupleIJNS8_6TensorESF_SF_EERKSF_lbbbEUlllE1_EE10hipError_tPvRmT2_T3_mT4_P12ihipStream_tbEUlT_E_NS1_11comp_targetILNS1_3genE3ELNS1_11target_archE908ELNS1_3gpuE7ELNS1_3repE0EEENS1_30default_config_static_selectorELNS0_4arch9wavefront6targetE1EEEvT1_.uses_vcc, 0
	.set _ZN7rocprim17ROCPRIM_400000_NS6detail17trampoline_kernelINS0_14default_configENS1_35adjacent_difference_config_selectorILb0ElEEZNS1_24adjacent_difference_implIS3_Lb0ELb0EPlS7_ZN2at6native12_GLOBAL__N_124unique_dim_cuda_templateIN3c104HalfEEESt5tupleIJNS8_6TensorESF_SF_EERKSF_lbbbEUlllE1_EE10hipError_tPvRmT2_T3_mT4_P12ihipStream_tbEUlT_E_NS1_11comp_targetILNS1_3genE3ELNS1_11target_archE908ELNS1_3gpuE7ELNS1_3repE0EEENS1_30default_config_static_selectorELNS0_4arch9wavefront6targetE1EEEvT1_.uses_flat_scratch, 0
	.set _ZN7rocprim17ROCPRIM_400000_NS6detail17trampoline_kernelINS0_14default_configENS1_35adjacent_difference_config_selectorILb0ElEEZNS1_24adjacent_difference_implIS3_Lb0ELb0EPlS7_ZN2at6native12_GLOBAL__N_124unique_dim_cuda_templateIN3c104HalfEEESt5tupleIJNS8_6TensorESF_SF_EERKSF_lbbbEUlllE1_EE10hipError_tPvRmT2_T3_mT4_P12ihipStream_tbEUlT_E_NS1_11comp_targetILNS1_3genE3ELNS1_11target_archE908ELNS1_3gpuE7ELNS1_3repE0EEENS1_30default_config_static_selectorELNS0_4arch9wavefront6targetE1EEEvT1_.has_dyn_sized_stack, 0
	.set _ZN7rocprim17ROCPRIM_400000_NS6detail17trampoline_kernelINS0_14default_configENS1_35adjacent_difference_config_selectorILb0ElEEZNS1_24adjacent_difference_implIS3_Lb0ELb0EPlS7_ZN2at6native12_GLOBAL__N_124unique_dim_cuda_templateIN3c104HalfEEESt5tupleIJNS8_6TensorESF_SF_EERKSF_lbbbEUlllE1_EE10hipError_tPvRmT2_T3_mT4_P12ihipStream_tbEUlT_E_NS1_11comp_targetILNS1_3genE3ELNS1_11target_archE908ELNS1_3gpuE7ELNS1_3repE0EEENS1_30default_config_static_selectorELNS0_4arch9wavefront6targetE1EEEvT1_.has_recursion, 0
	.set _ZN7rocprim17ROCPRIM_400000_NS6detail17trampoline_kernelINS0_14default_configENS1_35adjacent_difference_config_selectorILb0ElEEZNS1_24adjacent_difference_implIS3_Lb0ELb0EPlS7_ZN2at6native12_GLOBAL__N_124unique_dim_cuda_templateIN3c104HalfEEESt5tupleIJNS8_6TensorESF_SF_EERKSF_lbbbEUlllE1_EE10hipError_tPvRmT2_T3_mT4_P12ihipStream_tbEUlT_E_NS1_11comp_targetILNS1_3genE3ELNS1_11target_archE908ELNS1_3gpuE7ELNS1_3repE0EEENS1_30default_config_static_selectorELNS0_4arch9wavefront6targetE1EEEvT1_.has_indirect_call, 0
	.section	.AMDGPU.csdata,"",@progbits
; Kernel info:
; codeLenInByte = 0
; TotalNumSgprs: 6
; NumVgprs: 0
; NumAgprs: 0
; TotalNumVgprs: 0
; ScratchSize: 0
; MemoryBound: 0
; FloatMode: 240
; IeeeMode: 1
; LDSByteSize: 0 bytes/workgroup (compile time only)
; SGPRBlocks: 0
; VGPRBlocks: 0
; NumSGPRsForWavesPerEU: 6
; NumVGPRsForWavesPerEU: 1
; AccumOffset: 4
; Occupancy: 8
; WaveLimiterHint : 0
; COMPUTE_PGM_RSRC2:SCRATCH_EN: 0
; COMPUTE_PGM_RSRC2:USER_SGPR: 2
; COMPUTE_PGM_RSRC2:TRAP_HANDLER: 0
; COMPUTE_PGM_RSRC2:TGID_X_EN: 1
; COMPUTE_PGM_RSRC2:TGID_Y_EN: 0
; COMPUTE_PGM_RSRC2:TGID_Z_EN: 0
; COMPUTE_PGM_RSRC2:TIDIG_COMP_CNT: 0
; COMPUTE_PGM_RSRC3_GFX90A:ACCUM_OFFSET: 0
; COMPUTE_PGM_RSRC3_GFX90A:TG_SPLIT: 0
	.section	.text._ZN7rocprim17ROCPRIM_400000_NS6detail17trampoline_kernelINS0_14default_configENS1_35adjacent_difference_config_selectorILb0ElEEZNS1_24adjacent_difference_implIS3_Lb0ELb0EPlS7_ZN2at6native12_GLOBAL__N_124unique_dim_cuda_templateIN3c104HalfEEESt5tupleIJNS8_6TensorESF_SF_EERKSF_lbbbEUlllE1_EE10hipError_tPvRmT2_T3_mT4_P12ihipStream_tbEUlT_E_NS1_11comp_targetILNS1_3genE2ELNS1_11target_archE906ELNS1_3gpuE6ELNS1_3repE0EEENS1_30default_config_static_selectorELNS0_4arch9wavefront6targetE1EEEvT1_,"axG",@progbits,_ZN7rocprim17ROCPRIM_400000_NS6detail17trampoline_kernelINS0_14default_configENS1_35adjacent_difference_config_selectorILb0ElEEZNS1_24adjacent_difference_implIS3_Lb0ELb0EPlS7_ZN2at6native12_GLOBAL__N_124unique_dim_cuda_templateIN3c104HalfEEESt5tupleIJNS8_6TensorESF_SF_EERKSF_lbbbEUlllE1_EE10hipError_tPvRmT2_T3_mT4_P12ihipStream_tbEUlT_E_NS1_11comp_targetILNS1_3genE2ELNS1_11target_archE906ELNS1_3gpuE6ELNS1_3repE0EEENS1_30default_config_static_selectorELNS0_4arch9wavefront6targetE1EEEvT1_,comdat
	.globl	_ZN7rocprim17ROCPRIM_400000_NS6detail17trampoline_kernelINS0_14default_configENS1_35adjacent_difference_config_selectorILb0ElEEZNS1_24adjacent_difference_implIS3_Lb0ELb0EPlS7_ZN2at6native12_GLOBAL__N_124unique_dim_cuda_templateIN3c104HalfEEESt5tupleIJNS8_6TensorESF_SF_EERKSF_lbbbEUlllE1_EE10hipError_tPvRmT2_T3_mT4_P12ihipStream_tbEUlT_E_NS1_11comp_targetILNS1_3genE2ELNS1_11target_archE906ELNS1_3gpuE6ELNS1_3repE0EEENS1_30default_config_static_selectorELNS0_4arch9wavefront6targetE1EEEvT1_ ; -- Begin function _ZN7rocprim17ROCPRIM_400000_NS6detail17trampoline_kernelINS0_14default_configENS1_35adjacent_difference_config_selectorILb0ElEEZNS1_24adjacent_difference_implIS3_Lb0ELb0EPlS7_ZN2at6native12_GLOBAL__N_124unique_dim_cuda_templateIN3c104HalfEEESt5tupleIJNS8_6TensorESF_SF_EERKSF_lbbbEUlllE1_EE10hipError_tPvRmT2_T3_mT4_P12ihipStream_tbEUlT_E_NS1_11comp_targetILNS1_3genE2ELNS1_11target_archE906ELNS1_3gpuE6ELNS1_3repE0EEENS1_30default_config_static_selectorELNS0_4arch9wavefront6targetE1EEEvT1_
	.p2align	8
	.type	_ZN7rocprim17ROCPRIM_400000_NS6detail17trampoline_kernelINS0_14default_configENS1_35adjacent_difference_config_selectorILb0ElEEZNS1_24adjacent_difference_implIS3_Lb0ELb0EPlS7_ZN2at6native12_GLOBAL__N_124unique_dim_cuda_templateIN3c104HalfEEESt5tupleIJNS8_6TensorESF_SF_EERKSF_lbbbEUlllE1_EE10hipError_tPvRmT2_T3_mT4_P12ihipStream_tbEUlT_E_NS1_11comp_targetILNS1_3genE2ELNS1_11target_archE906ELNS1_3gpuE6ELNS1_3repE0EEENS1_30default_config_static_selectorELNS0_4arch9wavefront6targetE1EEEvT1_,@function
_ZN7rocprim17ROCPRIM_400000_NS6detail17trampoline_kernelINS0_14default_configENS1_35adjacent_difference_config_selectorILb0ElEEZNS1_24adjacent_difference_implIS3_Lb0ELb0EPlS7_ZN2at6native12_GLOBAL__N_124unique_dim_cuda_templateIN3c104HalfEEESt5tupleIJNS8_6TensorESF_SF_EERKSF_lbbbEUlllE1_EE10hipError_tPvRmT2_T3_mT4_P12ihipStream_tbEUlT_E_NS1_11comp_targetILNS1_3genE2ELNS1_11target_archE906ELNS1_3gpuE6ELNS1_3repE0EEENS1_30default_config_static_selectorELNS0_4arch9wavefront6targetE1EEEvT1_: ; @_ZN7rocprim17ROCPRIM_400000_NS6detail17trampoline_kernelINS0_14default_configENS1_35adjacent_difference_config_selectorILb0ElEEZNS1_24adjacent_difference_implIS3_Lb0ELb0EPlS7_ZN2at6native12_GLOBAL__N_124unique_dim_cuda_templateIN3c104HalfEEESt5tupleIJNS8_6TensorESF_SF_EERKSF_lbbbEUlllE1_EE10hipError_tPvRmT2_T3_mT4_P12ihipStream_tbEUlT_E_NS1_11comp_targetILNS1_3genE2ELNS1_11target_archE906ELNS1_3gpuE6ELNS1_3repE0EEENS1_30default_config_static_selectorELNS0_4arch9wavefront6targetE1EEEvT1_
; %bb.0:
	.section	.rodata,"a",@progbits
	.p2align	6, 0x0
	.amdhsa_kernel _ZN7rocprim17ROCPRIM_400000_NS6detail17trampoline_kernelINS0_14default_configENS1_35adjacent_difference_config_selectorILb0ElEEZNS1_24adjacent_difference_implIS3_Lb0ELb0EPlS7_ZN2at6native12_GLOBAL__N_124unique_dim_cuda_templateIN3c104HalfEEESt5tupleIJNS8_6TensorESF_SF_EERKSF_lbbbEUlllE1_EE10hipError_tPvRmT2_T3_mT4_P12ihipStream_tbEUlT_E_NS1_11comp_targetILNS1_3genE2ELNS1_11target_archE906ELNS1_3gpuE6ELNS1_3repE0EEENS1_30default_config_static_selectorELNS0_4arch9wavefront6targetE1EEEvT1_
		.amdhsa_group_segment_fixed_size 0
		.amdhsa_private_segment_fixed_size 0
		.amdhsa_kernarg_size 64
		.amdhsa_user_sgpr_count 2
		.amdhsa_user_sgpr_dispatch_ptr 0
		.amdhsa_user_sgpr_queue_ptr 0
		.amdhsa_user_sgpr_kernarg_segment_ptr 1
		.amdhsa_user_sgpr_dispatch_id 0
		.amdhsa_user_sgpr_kernarg_preload_length 0
		.amdhsa_user_sgpr_kernarg_preload_offset 0
		.amdhsa_user_sgpr_private_segment_size 0
		.amdhsa_uses_dynamic_stack 0
		.amdhsa_enable_private_segment 0
		.amdhsa_system_sgpr_workgroup_id_x 1
		.amdhsa_system_sgpr_workgroup_id_y 0
		.amdhsa_system_sgpr_workgroup_id_z 0
		.amdhsa_system_sgpr_workgroup_info 0
		.amdhsa_system_vgpr_workitem_id 0
		.amdhsa_next_free_vgpr 1
		.amdhsa_next_free_sgpr 0
		.amdhsa_accum_offset 4
		.amdhsa_reserve_vcc 0
		.amdhsa_float_round_mode_32 0
		.amdhsa_float_round_mode_16_64 0
		.amdhsa_float_denorm_mode_32 3
		.amdhsa_float_denorm_mode_16_64 3
		.amdhsa_dx10_clamp 1
		.amdhsa_ieee_mode 1
		.amdhsa_fp16_overflow 0
		.amdhsa_tg_split 0
		.amdhsa_exception_fp_ieee_invalid_op 0
		.amdhsa_exception_fp_denorm_src 0
		.amdhsa_exception_fp_ieee_div_zero 0
		.amdhsa_exception_fp_ieee_overflow 0
		.amdhsa_exception_fp_ieee_underflow 0
		.amdhsa_exception_fp_ieee_inexact 0
		.amdhsa_exception_int_div_zero 0
	.end_amdhsa_kernel
	.section	.text._ZN7rocprim17ROCPRIM_400000_NS6detail17trampoline_kernelINS0_14default_configENS1_35adjacent_difference_config_selectorILb0ElEEZNS1_24adjacent_difference_implIS3_Lb0ELb0EPlS7_ZN2at6native12_GLOBAL__N_124unique_dim_cuda_templateIN3c104HalfEEESt5tupleIJNS8_6TensorESF_SF_EERKSF_lbbbEUlllE1_EE10hipError_tPvRmT2_T3_mT4_P12ihipStream_tbEUlT_E_NS1_11comp_targetILNS1_3genE2ELNS1_11target_archE906ELNS1_3gpuE6ELNS1_3repE0EEENS1_30default_config_static_selectorELNS0_4arch9wavefront6targetE1EEEvT1_,"axG",@progbits,_ZN7rocprim17ROCPRIM_400000_NS6detail17trampoline_kernelINS0_14default_configENS1_35adjacent_difference_config_selectorILb0ElEEZNS1_24adjacent_difference_implIS3_Lb0ELb0EPlS7_ZN2at6native12_GLOBAL__N_124unique_dim_cuda_templateIN3c104HalfEEESt5tupleIJNS8_6TensorESF_SF_EERKSF_lbbbEUlllE1_EE10hipError_tPvRmT2_T3_mT4_P12ihipStream_tbEUlT_E_NS1_11comp_targetILNS1_3genE2ELNS1_11target_archE906ELNS1_3gpuE6ELNS1_3repE0EEENS1_30default_config_static_selectorELNS0_4arch9wavefront6targetE1EEEvT1_,comdat
.Lfunc_end1277:
	.size	_ZN7rocprim17ROCPRIM_400000_NS6detail17trampoline_kernelINS0_14default_configENS1_35adjacent_difference_config_selectorILb0ElEEZNS1_24adjacent_difference_implIS3_Lb0ELb0EPlS7_ZN2at6native12_GLOBAL__N_124unique_dim_cuda_templateIN3c104HalfEEESt5tupleIJNS8_6TensorESF_SF_EERKSF_lbbbEUlllE1_EE10hipError_tPvRmT2_T3_mT4_P12ihipStream_tbEUlT_E_NS1_11comp_targetILNS1_3genE2ELNS1_11target_archE906ELNS1_3gpuE6ELNS1_3repE0EEENS1_30default_config_static_selectorELNS0_4arch9wavefront6targetE1EEEvT1_, .Lfunc_end1277-_ZN7rocprim17ROCPRIM_400000_NS6detail17trampoline_kernelINS0_14default_configENS1_35adjacent_difference_config_selectorILb0ElEEZNS1_24adjacent_difference_implIS3_Lb0ELb0EPlS7_ZN2at6native12_GLOBAL__N_124unique_dim_cuda_templateIN3c104HalfEEESt5tupleIJNS8_6TensorESF_SF_EERKSF_lbbbEUlllE1_EE10hipError_tPvRmT2_T3_mT4_P12ihipStream_tbEUlT_E_NS1_11comp_targetILNS1_3genE2ELNS1_11target_archE906ELNS1_3gpuE6ELNS1_3repE0EEENS1_30default_config_static_selectorELNS0_4arch9wavefront6targetE1EEEvT1_
                                        ; -- End function
	.set _ZN7rocprim17ROCPRIM_400000_NS6detail17trampoline_kernelINS0_14default_configENS1_35adjacent_difference_config_selectorILb0ElEEZNS1_24adjacent_difference_implIS3_Lb0ELb0EPlS7_ZN2at6native12_GLOBAL__N_124unique_dim_cuda_templateIN3c104HalfEEESt5tupleIJNS8_6TensorESF_SF_EERKSF_lbbbEUlllE1_EE10hipError_tPvRmT2_T3_mT4_P12ihipStream_tbEUlT_E_NS1_11comp_targetILNS1_3genE2ELNS1_11target_archE906ELNS1_3gpuE6ELNS1_3repE0EEENS1_30default_config_static_selectorELNS0_4arch9wavefront6targetE1EEEvT1_.num_vgpr, 0
	.set _ZN7rocprim17ROCPRIM_400000_NS6detail17trampoline_kernelINS0_14default_configENS1_35adjacent_difference_config_selectorILb0ElEEZNS1_24adjacent_difference_implIS3_Lb0ELb0EPlS7_ZN2at6native12_GLOBAL__N_124unique_dim_cuda_templateIN3c104HalfEEESt5tupleIJNS8_6TensorESF_SF_EERKSF_lbbbEUlllE1_EE10hipError_tPvRmT2_T3_mT4_P12ihipStream_tbEUlT_E_NS1_11comp_targetILNS1_3genE2ELNS1_11target_archE906ELNS1_3gpuE6ELNS1_3repE0EEENS1_30default_config_static_selectorELNS0_4arch9wavefront6targetE1EEEvT1_.num_agpr, 0
	.set _ZN7rocprim17ROCPRIM_400000_NS6detail17trampoline_kernelINS0_14default_configENS1_35adjacent_difference_config_selectorILb0ElEEZNS1_24adjacent_difference_implIS3_Lb0ELb0EPlS7_ZN2at6native12_GLOBAL__N_124unique_dim_cuda_templateIN3c104HalfEEESt5tupleIJNS8_6TensorESF_SF_EERKSF_lbbbEUlllE1_EE10hipError_tPvRmT2_T3_mT4_P12ihipStream_tbEUlT_E_NS1_11comp_targetILNS1_3genE2ELNS1_11target_archE906ELNS1_3gpuE6ELNS1_3repE0EEENS1_30default_config_static_selectorELNS0_4arch9wavefront6targetE1EEEvT1_.numbered_sgpr, 0
	.set _ZN7rocprim17ROCPRIM_400000_NS6detail17trampoline_kernelINS0_14default_configENS1_35adjacent_difference_config_selectorILb0ElEEZNS1_24adjacent_difference_implIS3_Lb0ELb0EPlS7_ZN2at6native12_GLOBAL__N_124unique_dim_cuda_templateIN3c104HalfEEESt5tupleIJNS8_6TensorESF_SF_EERKSF_lbbbEUlllE1_EE10hipError_tPvRmT2_T3_mT4_P12ihipStream_tbEUlT_E_NS1_11comp_targetILNS1_3genE2ELNS1_11target_archE906ELNS1_3gpuE6ELNS1_3repE0EEENS1_30default_config_static_selectorELNS0_4arch9wavefront6targetE1EEEvT1_.num_named_barrier, 0
	.set _ZN7rocprim17ROCPRIM_400000_NS6detail17trampoline_kernelINS0_14default_configENS1_35adjacent_difference_config_selectorILb0ElEEZNS1_24adjacent_difference_implIS3_Lb0ELb0EPlS7_ZN2at6native12_GLOBAL__N_124unique_dim_cuda_templateIN3c104HalfEEESt5tupleIJNS8_6TensorESF_SF_EERKSF_lbbbEUlllE1_EE10hipError_tPvRmT2_T3_mT4_P12ihipStream_tbEUlT_E_NS1_11comp_targetILNS1_3genE2ELNS1_11target_archE906ELNS1_3gpuE6ELNS1_3repE0EEENS1_30default_config_static_selectorELNS0_4arch9wavefront6targetE1EEEvT1_.private_seg_size, 0
	.set _ZN7rocprim17ROCPRIM_400000_NS6detail17trampoline_kernelINS0_14default_configENS1_35adjacent_difference_config_selectorILb0ElEEZNS1_24adjacent_difference_implIS3_Lb0ELb0EPlS7_ZN2at6native12_GLOBAL__N_124unique_dim_cuda_templateIN3c104HalfEEESt5tupleIJNS8_6TensorESF_SF_EERKSF_lbbbEUlllE1_EE10hipError_tPvRmT2_T3_mT4_P12ihipStream_tbEUlT_E_NS1_11comp_targetILNS1_3genE2ELNS1_11target_archE906ELNS1_3gpuE6ELNS1_3repE0EEENS1_30default_config_static_selectorELNS0_4arch9wavefront6targetE1EEEvT1_.uses_vcc, 0
	.set _ZN7rocprim17ROCPRIM_400000_NS6detail17trampoline_kernelINS0_14default_configENS1_35adjacent_difference_config_selectorILb0ElEEZNS1_24adjacent_difference_implIS3_Lb0ELb0EPlS7_ZN2at6native12_GLOBAL__N_124unique_dim_cuda_templateIN3c104HalfEEESt5tupleIJNS8_6TensorESF_SF_EERKSF_lbbbEUlllE1_EE10hipError_tPvRmT2_T3_mT4_P12ihipStream_tbEUlT_E_NS1_11comp_targetILNS1_3genE2ELNS1_11target_archE906ELNS1_3gpuE6ELNS1_3repE0EEENS1_30default_config_static_selectorELNS0_4arch9wavefront6targetE1EEEvT1_.uses_flat_scratch, 0
	.set _ZN7rocprim17ROCPRIM_400000_NS6detail17trampoline_kernelINS0_14default_configENS1_35adjacent_difference_config_selectorILb0ElEEZNS1_24adjacent_difference_implIS3_Lb0ELb0EPlS7_ZN2at6native12_GLOBAL__N_124unique_dim_cuda_templateIN3c104HalfEEESt5tupleIJNS8_6TensorESF_SF_EERKSF_lbbbEUlllE1_EE10hipError_tPvRmT2_T3_mT4_P12ihipStream_tbEUlT_E_NS1_11comp_targetILNS1_3genE2ELNS1_11target_archE906ELNS1_3gpuE6ELNS1_3repE0EEENS1_30default_config_static_selectorELNS0_4arch9wavefront6targetE1EEEvT1_.has_dyn_sized_stack, 0
	.set _ZN7rocprim17ROCPRIM_400000_NS6detail17trampoline_kernelINS0_14default_configENS1_35adjacent_difference_config_selectorILb0ElEEZNS1_24adjacent_difference_implIS3_Lb0ELb0EPlS7_ZN2at6native12_GLOBAL__N_124unique_dim_cuda_templateIN3c104HalfEEESt5tupleIJNS8_6TensorESF_SF_EERKSF_lbbbEUlllE1_EE10hipError_tPvRmT2_T3_mT4_P12ihipStream_tbEUlT_E_NS1_11comp_targetILNS1_3genE2ELNS1_11target_archE906ELNS1_3gpuE6ELNS1_3repE0EEENS1_30default_config_static_selectorELNS0_4arch9wavefront6targetE1EEEvT1_.has_recursion, 0
	.set _ZN7rocprim17ROCPRIM_400000_NS6detail17trampoline_kernelINS0_14default_configENS1_35adjacent_difference_config_selectorILb0ElEEZNS1_24adjacent_difference_implIS3_Lb0ELb0EPlS7_ZN2at6native12_GLOBAL__N_124unique_dim_cuda_templateIN3c104HalfEEESt5tupleIJNS8_6TensorESF_SF_EERKSF_lbbbEUlllE1_EE10hipError_tPvRmT2_T3_mT4_P12ihipStream_tbEUlT_E_NS1_11comp_targetILNS1_3genE2ELNS1_11target_archE906ELNS1_3gpuE6ELNS1_3repE0EEENS1_30default_config_static_selectorELNS0_4arch9wavefront6targetE1EEEvT1_.has_indirect_call, 0
	.section	.AMDGPU.csdata,"",@progbits
; Kernel info:
; codeLenInByte = 0
; TotalNumSgprs: 6
; NumVgprs: 0
; NumAgprs: 0
; TotalNumVgprs: 0
; ScratchSize: 0
; MemoryBound: 0
; FloatMode: 240
; IeeeMode: 1
; LDSByteSize: 0 bytes/workgroup (compile time only)
; SGPRBlocks: 0
; VGPRBlocks: 0
; NumSGPRsForWavesPerEU: 6
; NumVGPRsForWavesPerEU: 1
; AccumOffset: 4
; Occupancy: 8
; WaveLimiterHint : 0
; COMPUTE_PGM_RSRC2:SCRATCH_EN: 0
; COMPUTE_PGM_RSRC2:USER_SGPR: 2
; COMPUTE_PGM_RSRC2:TRAP_HANDLER: 0
; COMPUTE_PGM_RSRC2:TGID_X_EN: 1
; COMPUTE_PGM_RSRC2:TGID_Y_EN: 0
; COMPUTE_PGM_RSRC2:TGID_Z_EN: 0
; COMPUTE_PGM_RSRC2:TIDIG_COMP_CNT: 0
; COMPUTE_PGM_RSRC3_GFX90A:ACCUM_OFFSET: 0
; COMPUTE_PGM_RSRC3_GFX90A:TG_SPLIT: 0
	.section	.text._ZN7rocprim17ROCPRIM_400000_NS6detail17trampoline_kernelINS0_14default_configENS1_35adjacent_difference_config_selectorILb0ElEEZNS1_24adjacent_difference_implIS3_Lb0ELb0EPlS7_ZN2at6native12_GLOBAL__N_124unique_dim_cuda_templateIN3c104HalfEEESt5tupleIJNS8_6TensorESF_SF_EERKSF_lbbbEUlllE1_EE10hipError_tPvRmT2_T3_mT4_P12ihipStream_tbEUlT_E_NS1_11comp_targetILNS1_3genE9ELNS1_11target_archE1100ELNS1_3gpuE3ELNS1_3repE0EEENS1_30default_config_static_selectorELNS0_4arch9wavefront6targetE1EEEvT1_,"axG",@progbits,_ZN7rocprim17ROCPRIM_400000_NS6detail17trampoline_kernelINS0_14default_configENS1_35adjacent_difference_config_selectorILb0ElEEZNS1_24adjacent_difference_implIS3_Lb0ELb0EPlS7_ZN2at6native12_GLOBAL__N_124unique_dim_cuda_templateIN3c104HalfEEESt5tupleIJNS8_6TensorESF_SF_EERKSF_lbbbEUlllE1_EE10hipError_tPvRmT2_T3_mT4_P12ihipStream_tbEUlT_E_NS1_11comp_targetILNS1_3genE9ELNS1_11target_archE1100ELNS1_3gpuE3ELNS1_3repE0EEENS1_30default_config_static_selectorELNS0_4arch9wavefront6targetE1EEEvT1_,comdat
	.globl	_ZN7rocprim17ROCPRIM_400000_NS6detail17trampoline_kernelINS0_14default_configENS1_35adjacent_difference_config_selectorILb0ElEEZNS1_24adjacent_difference_implIS3_Lb0ELb0EPlS7_ZN2at6native12_GLOBAL__N_124unique_dim_cuda_templateIN3c104HalfEEESt5tupleIJNS8_6TensorESF_SF_EERKSF_lbbbEUlllE1_EE10hipError_tPvRmT2_T3_mT4_P12ihipStream_tbEUlT_E_NS1_11comp_targetILNS1_3genE9ELNS1_11target_archE1100ELNS1_3gpuE3ELNS1_3repE0EEENS1_30default_config_static_selectorELNS0_4arch9wavefront6targetE1EEEvT1_ ; -- Begin function _ZN7rocprim17ROCPRIM_400000_NS6detail17trampoline_kernelINS0_14default_configENS1_35adjacent_difference_config_selectorILb0ElEEZNS1_24adjacent_difference_implIS3_Lb0ELb0EPlS7_ZN2at6native12_GLOBAL__N_124unique_dim_cuda_templateIN3c104HalfEEESt5tupleIJNS8_6TensorESF_SF_EERKSF_lbbbEUlllE1_EE10hipError_tPvRmT2_T3_mT4_P12ihipStream_tbEUlT_E_NS1_11comp_targetILNS1_3genE9ELNS1_11target_archE1100ELNS1_3gpuE3ELNS1_3repE0EEENS1_30default_config_static_selectorELNS0_4arch9wavefront6targetE1EEEvT1_
	.p2align	8
	.type	_ZN7rocprim17ROCPRIM_400000_NS6detail17trampoline_kernelINS0_14default_configENS1_35adjacent_difference_config_selectorILb0ElEEZNS1_24adjacent_difference_implIS3_Lb0ELb0EPlS7_ZN2at6native12_GLOBAL__N_124unique_dim_cuda_templateIN3c104HalfEEESt5tupleIJNS8_6TensorESF_SF_EERKSF_lbbbEUlllE1_EE10hipError_tPvRmT2_T3_mT4_P12ihipStream_tbEUlT_E_NS1_11comp_targetILNS1_3genE9ELNS1_11target_archE1100ELNS1_3gpuE3ELNS1_3repE0EEENS1_30default_config_static_selectorELNS0_4arch9wavefront6targetE1EEEvT1_,@function
_ZN7rocprim17ROCPRIM_400000_NS6detail17trampoline_kernelINS0_14default_configENS1_35adjacent_difference_config_selectorILb0ElEEZNS1_24adjacent_difference_implIS3_Lb0ELb0EPlS7_ZN2at6native12_GLOBAL__N_124unique_dim_cuda_templateIN3c104HalfEEESt5tupleIJNS8_6TensorESF_SF_EERKSF_lbbbEUlllE1_EE10hipError_tPvRmT2_T3_mT4_P12ihipStream_tbEUlT_E_NS1_11comp_targetILNS1_3genE9ELNS1_11target_archE1100ELNS1_3gpuE3ELNS1_3repE0EEENS1_30default_config_static_selectorELNS0_4arch9wavefront6targetE1EEEvT1_: ; @_ZN7rocprim17ROCPRIM_400000_NS6detail17trampoline_kernelINS0_14default_configENS1_35adjacent_difference_config_selectorILb0ElEEZNS1_24adjacent_difference_implIS3_Lb0ELb0EPlS7_ZN2at6native12_GLOBAL__N_124unique_dim_cuda_templateIN3c104HalfEEESt5tupleIJNS8_6TensorESF_SF_EERKSF_lbbbEUlllE1_EE10hipError_tPvRmT2_T3_mT4_P12ihipStream_tbEUlT_E_NS1_11comp_targetILNS1_3genE9ELNS1_11target_archE1100ELNS1_3gpuE3ELNS1_3repE0EEENS1_30default_config_static_selectorELNS0_4arch9wavefront6targetE1EEEvT1_
; %bb.0:
	.section	.rodata,"a",@progbits
	.p2align	6, 0x0
	.amdhsa_kernel _ZN7rocprim17ROCPRIM_400000_NS6detail17trampoline_kernelINS0_14default_configENS1_35adjacent_difference_config_selectorILb0ElEEZNS1_24adjacent_difference_implIS3_Lb0ELb0EPlS7_ZN2at6native12_GLOBAL__N_124unique_dim_cuda_templateIN3c104HalfEEESt5tupleIJNS8_6TensorESF_SF_EERKSF_lbbbEUlllE1_EE10hipError_tPvRmT2_T3_mT4_P12ihipStream_tbEUlT_E_NS1_11comp_targetILNS1_3genE9ELNS1_11target_archE1100ELNS1_3gpuE3ELNS1_3repE0EEENS1_30default_config_static_selectorELNS0_4arch9wavefront6targetE1EEEvT1_
		.amdhsa_group_segment_fixed_size 0
		.amdhsa_private_segment_fixed_size 0
		.amdhsa_kernarg_size 64
		.amdhsa_user_sgpr_count 2
		.amdhsa_user_sgpr_dispatch_ptr 0
		.amdhsa_user_sgpr_queue_ptr 0
		.amdhsa_user_sgpr_kernarg_segment_ptr 1
		.amdhsa_user_sgpr_dispatch_id 0
		.amdhsa_user_sgpr_kernarg_preload_length 0
		.amdhsa_user_sgpr_kernarg_preload_offset 0
		.amdhsa_user_sgpr_private_segment_size 0
		.amdhsa_uses_dynamic_stack 0
		.amdhsa_enable_private_segment 0
		.amdhsa_system_sgpr_workgroup_id_x 1
		.amdhsa_system_sgpr_workgroup_id_y 0
		.amdhsa_system_sgpr_workgroup_id_z 0
		.amdhsa_system_sgpr_workgroup_info 0
		.amdhsa_system_vgpr_workitem_id 0
		.amdhsa_next_free_vgpr 1
		.amdhsa_next_free_sgpr 0
		.amdhsa_accum_offset 4
		.amdhsa_reserve_vcc 0
		.amdhsa_float_round_mode_32 0
		.amdhsa_float_round_mode_16_64 0
		.amdhsa_float_denorm_mode_32 3
		.amdhsa_float_denorm_mode_16_64 3
		.amdhsa_dx10_clamp 1
		.amdhsa_ieee_mode 1
		.amdhsa_fp16_overflow 0
		.amdhsa_tg_split 0
		.amdhsa_exception_fp_ieee_invalid_op 0
		.amdhsa_exception_fp_denorm_src 0
		.amdhsa_exception_fp_ieee_div_zero 0
		.amdhsa_exception_fp_ieee_overflow 0
		.amdhsa_exception_fp_ieee_underflow 0
		.amdhsa_exception_fp_ieee_inexact 0
		.amdhsa_exception_int_div_zero 0
	.end_amdhsa_kernel
	.section	.text._ZN7rocprim17ROCPRIM_400000_NS6detail17trampoline_kernelINS0_14default_configENS1_35adjacent_difference_config_selectorILb0ElEEZNS1_24adjacent_difference_implIS3_Lb0ELb0EPlS7_ZN2at6native12_GLOBAL__N_124unique_dim_cuda_templateIN3c104HalfEEESt5tupleIJNS8_6TensorESF_SF_EERKSF_lbbbEUlllE1_EE10hipError_tPvRmT2_T3_mT4_P12ihipStream_tbEUlT_E_NS1_11comp_targetILNS1_3genE9ELNS1_11target_archE1100ELNS1_3gpuE3ELNS1_3repE0EEENS1_30default_config_static_selectorELNS0_4arch9wavefront6targetE1EEEvT1_,"axG",@progbits,_ZN7rocprim17ROCPRIM_400000_NS6detail17trampoline_kernelINS0_14default_configENS1_35adjacent_difference_config_selectorILb0ElEEZNS1_24adjacent_difference_implIS3_Lb0ELb0EPlS7_ZN2at6native12_GLOBAL__N_124unique_dim_cuda_templateIN3c104HalfEEESt5tupleIJNS8_6TensorESF_SF_EERKSF_lbbbEUlllE1_EE10hipError_tPvRmT2_T3_mT4_P12ihipStream_tbEUlT_E_NS1_11comp_targetILNS1_3genE9ELNS1_11target_archE1100ELNS1_3gpuE3ELNS1_3repE0EEENS1_30default_config_static_selectorELNS0_4arch9wavefront6targetE1EEEvT1_,comdat
.Lfunc_end1278:
	.size	_ZN7rocprim17ROCPRIM_400000_NS6detail17trampoline_kernelINS0_14default_configENS1_35adjacent_difference_config_selectorILb0ElEEZNS1_24adjacent_difference_implIS3_Lb0ELb0EPlS7_ZN2at6native12_GLOBAL__N_124unique_dim_cuda_templateIN3c104HalfEEESt5tupleIJNS8_6TensorESF_SF_EERKSF_lbbbEUlllE1_EE10hipError_tPvRmT2_T3_mT4_P12ihipStream_tbEUlT_E_NS1_11comp_targetILNS1_3genE9ELNS1_11target_archE1100ELNS1_3gpuE3ELNS1_3repE0EEENS1_30default_config_static_selectorELNS0_4arch9wavefront6targetE1EEEvT1_, .Lfunc_end1278-_ZN7rocprim17ROCPRIM_400000_NS6detail17trampoline_kernelINS0_14default_configENS1_35adjacent_difference_config_selectorILb0ElEEZNS1_24adjacent_difference_implIS3_Lb0ELb0EPlS7_ZN2at6native12_GLOBAL__N_124unique_dim_cuda_templateIN3c104HalfEEESt5tupleIJNS8_6TensorESF_SF_EERKSF_lbbbEUlllE1_EE10hipError_tPvRmT2_T3_mT4_P12ihipStream_tbEUlT_E_NS1_11comp_targetILNS1_3genE9ELNS1_11target_archE1100ELNS1_3gpuE3ELNS1_3repE0EEENS1_30default_config_static_selectorELNS0_4arch9wavefront6targetE1EEEvT1_
                                        ; -- End function
	.set _ZN7rocprim17ROCPRIM_400000_NS6detail17trampoline_kernelINS0_14default_configENS1_35adjacent_difference_config_selectorILb0ElEEZNS1_24adjacent_difference_implIS3_Lb0ELb0EPlS7_ZN2at6native12_GLOBAL__N_124unique_dim_cuda_templateIN3c104HalfEEESt5tupleIJNS8_6TensorESF_SF_EERKSF_lbbbEUlllE1_EE10hipError_tPvRmT2_T3_mT4_P12ihipStream_tbEUlT_E_NS1_11comp_targetILNS1_3genE9ELNS1_11target_archE1100ELNS1_3gpuE3ELNS1_3repE0EEENS1_30default_config_static_selectorELNS0_4arch9wavefront6targetE1EEEvT1_.num_vgpr, 0
	.set _ZN7rocprim17ROCPRIM_400000_NS6detail17trampoline_kernelINS0_14default_configENS1_35adjacent_difference_config_selectorILb0ElEEZNS1_24adjacent_difference_implIS3_Lb0ELb0EPlS7_ZN2at6native12_GLOBAL__N_124unique_dim_cuda_templateIN3c104HalfEEESt5tupleIJNS8_6TensorESF_SF_EERKSF_lbbbEUlllE1_EE10hipError_tPvRmT2_T3_mT4_P12ihipStream_tbEUlT_E_NS1_11comp_targetILNS1_3genE9ELNS1_11target_archE1100ELNS1_3gpuE3ELNS1_3repE0EEENS1_30default_config_static_selectorELNS0_4arch9wavefront6targetE1EEEvT1_.num_agpr, 0
	.set _ZN7rocprim17ROCPRIM_400000_NS6detail17trampoline_kernelINS0_14default_configENS1_35adjacent_difference_config_selectorILb0ElEEZNS1_24adjacent_difference_implIS3_Lb0ELb0EPlS7_ZN2at6native12_GLOBAL__N_124unique_dim_cuda_templateIN3c104HalfEEESt5tupleIJNS8_6TensorESF_SF_EERKSF_lbbbEUlllE1_EE10hipError_tPvRmT2_T3_mT4_P12ihipStream_tbEUlT_E_NS1_11comp_targetILNS1_3genE9ELNS1_11target_archE1100ELNS1_3gpuE3ELNS1_3repE0EEENS1_30default_config_static_selectorELNS0_4arch9wavefront6targetE1EEEvT1_.numbered_sgpr, 0
	.set _ZN7rocprim17ROCPRIM_400000_NS6detail17trampoline_kernelINS0_14default_configENS1_35adjacent_difference_config_selectorILb0ElEEZNS1_24adjacent_difference_implIS3_Lb0ELb0EPlS7_ZN2at6native12_GLOBAL__N_124unique_dim_cuda_templateIN3c104HalfEEESt5tupleIJNS8_6TensorESF_SF_EERKSF_lbbbEUlllE1_EE10hipError_tPvRmT2_T3_mT4_P12ihipStream_tbEUlT_E_NS1_11comp_targetILNS1_3genE9ELNS1_11target_archE1100ELNS1_3gpuE3ELNS1_3repE0EEENS1_30default_config_static_selectorELNS0_4arch9wavefront6targetE1EEEvT1_.num_named_barrier, 0
	.set _ZN7rocprim17ROCPRIM_400000_NS6detail17trampoline_kernelINS0_14default_configENS1_35adjacent_difference_config_selectorILb0ElEEZNS1_24adjacent_difference_implIS3_Lb0ELb0EPlS7_ZN2at6native12_GLOBAL__N_124unique_dim_cuda_templateIN3c104HalfEEESt5tupleIJNS8_6TensorESF_SF_EERKSF_lbbbEUlllE1_EE10hipError_tPvRmT2_T3_mT4_P12ihipStream_tbEUlT_E_NS1_11comp_targetILNS1_3genE9ELNS1_11target_archE1100ELNS1_3gpuE3ELNS1_3repE0EEENS1_30default_config_static_selectorELNS0_4arch9wavefront6targetE1EEEvT1_.private_seg_size, 0
	.set _ZN7rocprim17ROCPRIM_400000_NS6detail17trampoline_kernelINS0_14default_configENS1_35adjacent_difference_config_selectorILb0ElEEZNS1_24adjacent_difference_implIS3_Lb0ELb0EPlS7_ZN2at6native12_GLOBAL__N_124unique_dim_cuda_templateIN3c104HalfEEESt5tupleIJNS8_6TensorESF_SF_EERKSF_lbbbEUlllE1_EE10hipError_tPvRmT2_T3_mT4_P12ihipStream_tbEUlT_E_NS1_11comp_targetILNS1_3genE9ELNS1_11target_archE1100ELNS1_3gpuE3ELNS1_3repE0EEENS1_30default_config_static_selectorELNS0_4arch9wavefront6targetE1EEEvT1_.uses_vcc, 0
	.set _ZN7rocprim17ROCPRIM_400000_NS6detail17trampoline_kernelINS0_14default_configENS1_35adjacent_difference_config_selectorILb0ElEEZNS1_24adjacent_difference_implIS3_Lb0ELb0EPlS7_ZN2at6native12_GLOBAL__N_124unique_dim_cuda_templateIN3c104HalfEEESt5tupleIJNS8_6TensorESF_SF_EERKSF_lbbbEUlllE1_EE10hipError_tPvRmT2_T3_mT4_P12ihipStream_tbEUlT_E_NS1_11comp_targetILNS1_3genE9ELNS1_11target_archE1100ELNS1_3gpuE3ELNS1_3repE0EEENS1_30default_config_static_selectorELNS0_4arch9wavefront6targetE1EEEvT1_.uses_flat_scratch, 0
	.set _ZN7rocprim17ROCPRIM_400000_NS6detail17trampoline_kernelINS0_14default_configENS1_35adjacent_difference_config_selectorILb0ElEEZNS1_24adjacent_difference_implIS3_Lb0ELb0EPlS7_ZN2at6native12_GLOBAL__N_124unique_dim_cuda_templateIN3c104HalfEEESt5tupleIJNS8_6TensorESF_SF_EERKSF_lbbbEUlllE1_EE10hipError_tPvRmT2_T3_mT4_P12ihipStream_tbEUlT_E_NS1_11comp_targetILNS1_3genE9ELNS1_11target_archE1100ELNS1_3gpuE3ELNS1_3repE0EEENS1_30default_config_static_selectorELNS0_4arch9wavefront6targetE1EEEvT1_.has_dyn_sized_stack, 0
	.set _ZN7rocprim17ROCPRIM_400000_NS6detail17trampoline_kernelINS0_14default_configENS1_35adjacent_difference_config_selectorILb0ElEEZNS1_24adjacent_difference_implIS3_Lb0ELb0EPlS7_ZN2at6native12_GLOBAL__N_124unique_dim_cuda_templateIN3c104HalfEEESt5tupleIJNS8_6TensorESF_SF_EERKSF_lbbbEUlllE1_EE10hipError_tPvRmT2_T3_mT4_P12ihipStream_tbEUlT_E_NS1_11comp_targetILNS1_3genE9ELNS1_11target_archE1100ELNS1_3gpuE3ELNS1_3repE0EEENS1_30default_config_static_selectorELNS0_4arch9wavefront6targetE1EEEvT1_.has_recursion, 0
	.set _ZN7rocprim17ROCPRIM_400000_NS6detail17trampoline_kernelINS0_14default_configENS1_35adjacent_difference_config_selectorILb0ElEEZNS1_24adjacent_difference_implIS3_Lb0ELb0EPlS7_ZN2at6native12_GLOBAL__N_124unique_dim_cuda_templateIN3c104HalfEEESt5tupleIJNS8_6TensorESF_SF_EERKSF_lbbbEUlllE1_EE10hipError_tPvRmT2_T3_mT4_P12ihipStream_tbEUlT_E_NS1_11comp_targetILNS1_3genE9ELNS1_11target_archE1100ELNS1_3gpuE3ELNS1_3repE0EEENS1_30default_config_static_selectorELNS0_4arch9wavefront6targetE1EEEvT1_.has_indirect_call, 0
	.section	.AMDGPU.csdata,"",@progbits
; Kernel info:
; codeLenInByte = 0
; TotalNumSgprs: 6
; NumVgprs: 0
; NumAgprs: 0
; TotalNumVgprs: 0
; ScratchSize: 0
; MemoryBound: 0
; FloatMode: 240
; IeeeMode: 1
; LDSByteSize: 0 bytes/workgroup (compile time only)
; SGPRBlocks: 0
; VGPRBlocks: 0
; NumSGPRsForWavesPerEU: 6
; NumVGPRsForWavesPerEU: 1
; AccumOffset: 4
; Occupancy: 8
; WaveLimiterHint : 0
; COMPUTE_PGM_RSRC2:SCRATCH_EN: 0
; COMPUTE_PGM_RSRC2:USER_SGPR: 2
; COMPUTE_PGM_RSRC2:TRAP_HANDLER: 0
; COMPUTE_PGM_RSRC2:TGID_X_EN: 1
; COMPUTE_PGM_RSRC2:TGID_Y_EN: 0
; COMPUTE_PGM_RSRC2:TGID_Z_EN: 0
; COMPUTE_PGM_RSRC2:TIDIG_COMP_CNT: 0
; COMPUTE_PGM_RSRC3_GFX90A:ACCUM_OFFSET: 0
; COMPUTE_PGM_RSRC3_GFX90A:TG_SPLIT: 0
	.section	.text._ZN7rocprim17ROCPRIM_400000_NS6detail17trampoline_kernelINS0_14default_configENS1_35adjacent_difference_config_selectorILb0ElEEZNS1_24adjacent_difference_implIS3_Lb0ELb0EPlS7_ZN2at6native12_GLOBAL__N_124unique_dim_cuda_templateIN3c104HalfEEESt5tupleIJNS8_6TensorESF_SF_EERKSF_lbbbEUlllE1_EE10hipError_tPvRmT2_T3_mT4_P12ihipStream_tbEUlT_E_NS1_11comp_targetILNS1_3genE8ELNS1_11target_archE1030ELNS1_3gpuE2ELNS1_3repE0EEENS1_30default_config_static_selectorELNS0_4arch9wavefront6targetE1EEEvT1_,"axG",@progbits,_ZN7rocprim17ROCPRIM_400000_NS6detail17trampoline_kernelINS0_14default_configENS1_35adjacent_difference_config_selectorILb0ElEEZNS1_24adjacent_difference_implIS3_Lb0ELb0EPlS7_ZN2at6native12_GLOBAL__N_124unique_dim_cuda_templateIN3c104HalfEEESt5tupleIJNS8_6TensorESF_SF_EERKSF_lbbbEUlllE1_EE10hipError_tPvRmT2_T3_mT4_P12ihipStream_tbEUlT_E_NS1_11comp_targetILNS1_3genE8ELNS1_11target_archE1030ELNS1_3gpuE2ELNS1_3repE0EEENS1_30default_config_static_selectorELNS0_4arch9wavefront6targetE1EEEvT1_,comdat
	.globl	_ZN7rocprim17ROCPRIM_400000_NS6detail17trampoline_kernelINS0_14default_configENS1_35adjacent_difference_config_selectorILb0ElEEZNS1_24adjacent_difference_implIS3_Lb0ELb0EPlS7_ZN2at6native12_GLOBAL__N_124unique_dim_cuda_templateIN3c104HalfEEESt5tupleIJNS8_6TensorESF_SF_EERKSF_lbbbEUlllE1_EE10hipError_tPvRmT2_T3_mT4_P12ihipStream_tbEUlT_E_NS1_11comp_targetILNS1_3genE8ELNS1_11target_archE1030ELNS1_3gpuE2ELNS1_3repE0EEENS1_30default_config_static_selectorELNS0_4arch9wavefront6targetE1EEEvT1_ ; -- Begin function _ZN7rocprim17ROCPRIM_400000_NS6detail17trampoline_kernelINS0_14default_configENS1_35adjacent_difference_config_selectorILb0ElEEZNS1_24adjacent_difference_implIS3_Lb0ELb0EPlS7_ZN2at6native12_GLOBAL__N_124unique_dim_cuda_templateIN3c104HalfEEESt5tupleIJNS8_6TensorESF_SF_EERKSF_lbbbEUlllE1_EE10hipError_tPvRmT2_T3_mT4_P12ihipStream_tbEUlT_E_NS1_11comp_targetILNS1_3genE8ELNS1_11target_archE1030ELNS1_3gpuE2ELNS1_3repE0EEENS1_30default_config_static_selectorELNS0_4arch9wavefront6targetE1EEEvT1_
	.p2align	8
	.type	_ZN7rocprim17ROCPRIM_400000_NS6detail17trampoline_kernelINS0_14default_configENS1_35adjacent_difference_config_selectorILb0ElEEZNS1_24adjacent_difference_implIS3_Lb0ELb0EPlS7_ZN2at6native12_GLOBAL__N_124unique_dim_cuda_templateIN3c104HalfEEESt5tupleIJNS8_6TensorESF_SF_EERKSF_lbbbEUlllE1_EE10hipError_tPvRmT2_T3_mT4_P12ihipStream_tbEUlT_E_NS1_11comp_targetILNS1_3genE8ELNS1_11target_archE1030ELNS1_3gpuE2ELNS1_3repE0EEENS1_30default_config_static_selectorELNS0_4arch9wavefront6targetE1EEEvT1_,@function
_ZN7rocprim17ROCPRIM_400000_NS6detail17trampoline_kernelINS0_14default_configENS1_35adjacent_difference_config_selectorILb0ElEEZNS1_24adjacent_difference_implIS3_Lb0ELb0EPlS7_ZN2at6native12_GLOBAL__N_124unique_dim_cuda_templateIN3c104HalfEEESt5tupleIJNS8_6TensorESF_SF_EERKSF_lbbbEUlllE1_EE10hipError_tPvRmT2_T3_mT4_P12ihipStream_tbEUlT_E_NS1_11comp_targetILNS1_3genE8ELNS1_11target_archE1030ELNS1_3gpuE2ELNS1_3repE0EEENS1_30default_config_static_selectorELNS0_4arch9wavefront6targetE1EEEvT1_: ; @_ZN7rocprim17ROCPRIM_400000_NS6detail17trampoline_kernelINS0_14default_configENS1_35adjacent_difference_config_selectorILb0ElEEZNS1_24adjacent_difference_implIS3_Lb0ELb0EPlS7_ZN2at6native12_GLOBAL__N_124unique_dim_cuda_templateIN3c104HalfEEESt5tupleIJNS8_6TensorESF_SF_EERKSF_lbbbEUlllE1_EE10hipError_tPvRmT2_T3_mT4_P12ihipStream_tbEUlT_E_NS1_11comp_targetILNS1_3genE8ELNS1_11target_archE1030ELNS1_3gpuE2ELNS1_3repE0EEENS1_30default_config_static_selectorELNS0_4arch9wavefront6targetE1EEEvT1_
; %bb.0:
	.section	.rodata,"a",@progbits
	.p2align	6, 0x0
	.amdhsa_kernel _ZN7rocprim17ROCPRIM_400000_NS6detail17trampoline_kernelINS0_14default_configENS1_35adjacent_difference_config_selectorILb0ElEEZNS1_24adjacent_difference_implIS3_Lb0ELb0EPlS7_ZN2at6native12_GLOBAL__N_124unique_dim_cuda_templateIN3c104HalfEEESt5tupleIJNS8_6TensorESF_SF_EERKSF_lbbbEUlllE1_EE10hipError_tPvRmT2_T3_mT4_P12ihipStream_tbEUlT_E_NS1_11comp_targetILNS1_3genE8ELNS1_11target_archE1030ELNS1_3gpuE2ELNS1_3repE0EEENS1_30default_config_static_selectorELNS0_4arch9wavefront6targetE1EEEvT1_
		.amdhsa_group_segment_fixed_size 0
		.amdhsa_private_segment_fixed_size 0
		.amdhsa_kernarg_size 64
		.amdhsa_user_sgpr_count 2
		.amdhsa_user_sgpr_dispatch_ptr 0
		.amdhsa_user_sgpr_queue_ptr 0
		.amdhsa_user_sgpr_kernarg_segment_ptr 1
		.amdhsa_user_sgpr_dispatch_id 0
		.amdhsa_user_sgpr_kernarg_preload_length 0
		.amdhsa_user_sgpr_kernarg_preload_offset 0
		.amdhsa_user_sgpr_private_segment_size 0
		.amdhsa_uses_dynamic_stack 0
		.amdhsa_enable_private_segment 0
		.amdhsa_system_sgpr_workgroup_id_x 1
		.amdhsa_system_sgpr_workgroup_id_y 0
		.amdhsa_system_sgpr_workgroup_id_z 0
		.amdhsa_system_sgpr_workgroup_info 0
		.amdhsa_system_vgpr_workitem_id 0
		.amdhsa_next_free_vgpr 1
		.amdhsa_next_free_sgpr 0
		.amdhsa_accum_offset 4
		.amdhsa_reserve_vcc 0
		.amdhsa_float_round_mode_32 0
		.amdhsa_float_round_mode_16_64 0
		.amdhsa_float_denorm_mode_32 3
		.amdhsa_float_denorm_mode_16_64 3
		.amdhsa_dx10_clamp 1
		.amdhsa_ieee_mode 1
		.amdhsa_fp16_overflow 0
		.amdhsa_tg_split 0
		.amdhsa_exception_fp_ieee_invalid_op 0
		.amdhsa_exception_fp_denorm_src 0
		.amdhsa_exception_fp_ieee_div_zero 0
		.amdhsa_exception_fp_ieee_overflow 0
		.amdhsa_exception_fp_ieee_underflow 0
		.amdhsa_exception_fp_ieee_inexact 0
		.amdhsa_exception_int_div_zero 0
	.end_amdhsa_kernel
	.section	.text._ZN7rocprim17ROCPRIM_400000_NS6detail17trampoline_kernelINS0_14default_configENS1_35adjacent_difference_config_selectorILb0ElEEZNS1_24adjacent_difference_implIS3_Lb0ELb0EPlS7_ZN2at6native12_GLOBAL__N_124unique_dim_cuda_templateIN3c104HalfEEESt5tupleIJNS8_6TensorESF_SF_EERKSF_lbbbEUlllE1_EE10hipError_tPvRmT2_T3_mT4_P12ihipStream_tbEUlT_E_NS1_11comp_targetILNS1_3genE8ELNS1_11target_archE1030ELNS1_3gpuE2ELNS1_3repE0EEENS1_30default_config_static_selectorELNS0_4arch9wavefront6targetE1EEEvT1_,"axG",@progbits,_ZN7rocprim17ROCPRIM_400000_NS6detail17trampoline_kernelINS0_14default_configENS1_35adjacent_difference_config_selectorILb0ElEEZNS1_24adjacent_difference_implIS3_Lb0ELb0EPlS7_ZN2at6native12_GLOBAL__N_124unique_dim_cuda_templateIN3c104HalfEEESt5tupleIJNS8_6TensorESF_SF_EERKSF_lbbbEUlllE1_EE10hipError_tPvRmT2_T3_mT4_P12ihipStream_tbEUlT_E_NS1_11comp_targetILNS1_3genE8ELNS1_11target_archE1030ELNS1_3gpuE2ELNS1_3repE0EEENS1_30default_config_static_selectorELNS0_4arch9wavefront6targetE1EEEvT1_,comdat
.Lfunc_end1279:
	.size	_ZN7rocprim17ROCPRIM_400000_NS6detail17trampoline_kernelINS0_14default_configENS1_35adjacent_difference_config_selectorILb0ElEEZNS1_24adjacent_difference_implIS3_Lb0ELb0EPlS7_ZN2at6native12_GLOBAL__N_124unique_dim_cuda_templateIN3c104HalfEEESt5tupleIJNS8_6TensorESF_SF_EERKSF_lbbbEUlllE1_EE10hipError_tPvRmT2_T3_mT4_P12ihipStream_tbEUlT_E_NS1_11comp_targetILNS1_3genE8ELNS1_11target_archE1030ELNS1_3gpuE2ELNS1_3repE0EEENS1_30default_config_static_selectorELNS0_4arch9wavefront6targetE1EEEvT1_, .Lfunc_end1279-_ZN7rocprim17ROCPRIM_400000_NS6detail17trampoline_kernelINS0_14default_configENS1_35adjacent_difference_config_selectorILb0ElEEZNS1_24adjacent_difference_implIS3_Lb0ELb0EPlS7_ZN2at6native12_GLOBAL__N_124unique_dim_cuda_templateIN3c104HalfEEESt5tupleIJNS8_6TensorESF_SF_EERKSF_lbbbEUlllE1_EE10hipError_tPvRmT2_T3_mT4_P12ihipStream_tbEUlT_E_NS1_11comp_targetILNS1_3genE8ELNS1_11target_archE1030ELNS1_3gpuE2ELNS1_3repE0EEENS1_30default_config_static_selectorELNS0_4arch9wavefront6targetE1EEEvT1_
                                        ; -- End function
	.set _ZN7rocprim17ROCPRIM_400000_NS6detail17trampoline_kernelINS0_14default_configENS1_35adjacent_difference_config_selectorILb0ElEEZNS1_24adjacent_difference_implIS3_Lb0ELb0EPlS7_ZN2at6native12_GLOBAL__N_124unique_dim_cuda_templateIN3c104HalfEEESt5tupleIJNS8_6TensorESF_SF_EERKSF_lbbbEUlllE1_EE10hipError_tPvRmT2_T3_mT4_P12ihipStream_tbEUlT_E_NS1_11comp_targetILNS1_3genE8ELNS1_11target_archE1030ELNS1_3gpuE2ELNS1_3repE0EEENS1_30default_config_static_selectorELNS0_4arch9wavefront6targetE1EEEvT1_.num_vgpr, 0
	.set _ZN7rocprim17ROCPRIM_400000_NS6detail17trampoline_kernelINS0_14default_configENS1_35adjacent_difference_config_selectorILb0ElEEZNS1_24adjacent_difference_implIS3_Lb0ELb0EPlS7_ZN2at6native12_GLOBAL__N_124unique_dim_cuda_templateIN3c104HalfEEESt5tupleIJNS8_6TensorESF_SF_EERKSF_lbbbEUlllE1_EE10hipError_tPvRmT2_T3_mT4_P12ihipStream_tbEUlT_E_NS1_11comp_targetILNS1_3genE8ELNS1_11target_archE1030ELNS1_3gpuE2ELNS1_3repE0EEENS1_30default_config_static_selectorELNS0_4arch9wavefront6targetE1EEEvT1_.num_agpr, 0
	.set _ZN7rocprim17ROCPRIM_400000_NS6detail17trampoline_kernelINS0_14default_configENS1_35adjacent_difference_config_selectorILb0ElEEZNS1_24adjacent_difference_implIS3_Lb0ELb0EPlS7_ZN2at6native12_GLOBAL__N_124unique_dim_cuda_templateIN3c104HalfEEESt5tupleIJNS8_6TensorESF_SF_EERKSF_lbbbEUlllE1_EE10hipError_tPvRmT2_T3_mT4_P12ihipStream_tbEUlT_E_NS1_11comp_targetILNS1_3genE8ELNS1_11target_archE1030ELNS1_3gpuE2ELNS1_3repE0EEENS1_30default_config_static_selectorELNS0_4arch9wavefront6targetE1EEEvT1_.numbered_sgpr, 0
	.set _ZN7rocprim17ROCPRIM_400000_NS6detail17trampoline_kernelINS0_14default_configENS1_35adjacent_difference_config_selectorILb0ElEEZNS1_24adjacent_difference_implIS3_Lb0ELb0EPlS7_ZN2at6native12_GLOBAL__N_124unique_dim_cuda_templateIN3c104HalfEEESt5tupleIJNS8_6TensorESF_SF_EERKSF_lbbbEUlllE1_EE10hipError_tPvRmT2_T3_mT4_P12ihipStream_tbEUlT_E_NS1_11comp_targetILNS1_3genE8ELNS1_11target_archE1030ELNS1_3gpuE2ELNS1_3repE0EEENS1_30default_config_static_selectorELNS0_4arch9wavefront6targetE1EEEvT1_.num_named_barrier, 0
	.set _ZN7rocprim17ROCPRIM_400000_NS6detail17trampoline_kernelINS0_14default_configENS1_35adjacent_difference_config_selectorILb0ElEEZNS1_24adjacent_difference_implIS3_Lb0ELb0EPlS7_ZN2at6native12_GLOBAL__N_124unique_dim_cuda_templateIN3c104HalfEEESt5tupleIJNS8_6TensorESF_SF_EERKSF_lbbbEUlllE1_EE10hipError_tPvRmT2_T3_mT4_P12ihipStream_tbEUlT_E_NS1_11comp_targetILNS1_3genE8ELNS1_11target_archE1030ELNS1_3gpuE2ELNS1_3repE0EEENS1_30default_config_static_selectorELNS0_4arch9wavefront6targetE1EEEvT1_.private_seg_size, 0
	.set _ZN7rocprim17ROCPRIM_400000_NS6detail17trampoline_kernelINS0_14default_configENS1_35adjacent_difference_config_selectorILb0ElEEZNS1_24adjacent_difference_implIS3_Lb0ELb0EPlS7_ZN2at6native12_GLOBAL__N_124unique_dim_cuda_templateIN3c104HalfEEESt5tupleIJNS8_6TensorESF_SF_EERKSF_lbbbEUlllE1_EE10hipError_tPvRmT2_T3_mT4_P12ihipStream_tbEUlT_E_NS1_11comp_targetILNS1_3genE8ELNS1_11target_archE1030ELNS1_3gpuE2ELNS1_3repE0EEENS1_30default_config_static_selectorELNS0_4arch9wavefront6targetE1EEEvT1_.uses_vcc, 0
	.set _ZN7rocprim17ROCPRIM_400000_NS6detail17trampoline_kernelINS0_14default_configENS1_35adjacent_difference_config_selectorILb0ElEEZNS1_24adjacent_difference_implIS3_Lb0ELb0EPlS7_ZN2at6native12_GLOBAL__N_124unique_dim_cuda_templateIN3c104HalfEEESt5tupleIJNS8_6TensorESF_SF_EERKSF_lbbbEUlllE1_EE10hipError_tPvRmT2_T3_mT4_P12ihipStream_tbEUlT_E_NS1_11comp_targetILNS1_3genE8ELNS1_11target_archE1030ELNS1_3gpuE2ELNS1_3repE0EEENS1_30default_config_static_selectorELNS0_4arch9wavefront6targetE1EEEvT1_.uses_flat_scratch, 0
	.set _ZN7rocprim17ROCPRIM_400000_NS6detail17trampoline_kernelINS0_14default_configENS1_35adjacent_difference_config_selectorILb0ElEEZNS1_24adjacent_difference_implIS3_Lb0ELb0EPlS7_ZN2at6native12_GLOBAL__N_124unique_dim_cuda_templateIN3c104HalfEEESt5tupleIJNS8_6TensorESF_SF_EERKSF_lbbbEUlllE1_EE10hipError_tPvRmT2_T3_mT4_P12ihipStream_tbEUlT_E_NS1_11comp_targetILNS1_3genE8ELNS1_11target_archE1030ELNS1_3gpuE2ELNS1_3repE0EEENS1_30default_config_static_selectorELNS0_4arch9wavefront6targetE1EEEvT1_.has_dyn_sized_stack, 0
	.set _ZN7rocprim17ROCPRIM_400000_NS6detail17trampoline_kernelINS0_14default_configENS1_35adjacent_difference_config_selectorILb0ElEEZNS1_24adjacent_difference_implIS3_Lb0ELb0EPlS7_ZN2at6native12_GLOBAL__N_124unique_dim_cuda_templateIN3c104HalfEEESt5tupleIJNS8_6TensorESF_SF_EERKSF_lbbbEUlllE1_EE10hipError_tPvRmT2_T3_mT4_P12ihipStream_tbEUlT_E_NS1_11comp_targetILNS1_3genE8ELNS1_11target_archE1030ELNS1_3gpuE2ELNS1_3repE0EEENS1_30default_config_static_selectorELNS0_4arch9wavefront6targetE1EEEvT1_.has_recursion, 0
	.set _ZN7rocprim17ROCPRIM_400000_NS6detail17trampoline_kernelINS0_14default_configENS1_35adjacent_difference_config_selectorILb0ElEEZNS1_24adjacent_difference_implIS3_Lb0ELb0EPlS7_ZN2at6native12_GLOBAL__N_124unique_dim_cuda_templateIN3c104HalfEEESt5tupleIJNS8_6TensorESF_SF_EERKSF_lbbbEUlllE1_EE10hipError_tPvRmT2_T3_mT4_P12ihipStream_tbEUlT_E_NS1_11comp_targetILNS1_3genE8ELNS1_11target_archE1030ELNS1_3gpuE2ELNS1_3repE0EEENS1_30default_config_static_selectorELNS0_4arch9wavefront6targetE1EEEvT1_.has_indirect_call, 0
	.section	.AMDGPU.csdata,"",@progbits
; Kernel info:
; codeLenInByte = 0
; TotalNumSgprs: 6
; NumVgprs: 0
; NumAgprs: 0
; TotalNumVgprs: 0
; ScratchSize: 0
; MemoryBound: 0
; FloatMode: 240
; IeeeMode: 1
; LDSByteSize: 0 bytes/workgroup (compile time only)
; SGPRBlocks: 0
; VGPRBlocks: 0
; NumSGPRsForWavesPerEU: 6
; NumVGPRsForWavesPerEU: 1
; AccumOffset: 4
; Occupancy: 8
; WaveLimiterHint : 0
; COMPUTE_PGM_RSRC2:SCRATCH_EN: 0
; COMPUTE_PGM_RSRC2:USER_SGPR: 2
; COMPUTE_PGM_RSRC2:TRAP_HANDLER: 0
; COMPUTE_PGM_RSRC2:TGID_X_EN: 1
; COMPUTE_PGM_RSRC2:TGID_Y_EN: 0
; COMPUTE_PGM_RSRC2:TGID_Z_EN: 0
; COMPUTE_PGM_RSRC2:TIDIG_COMP_CNT: 0
; COMPUTE_PGM_RSRC3_GFX90A:ACCUM_OFFSET: 0
; COMPUTE_PGM_RSRC3_GFX90A:TG_SPLIT: 0
	.section	.text._ZN7rocprim17ROCPRIM_400000_NS6detail17trampoline_kernelINS0_14default_configENS1_25transform_config_selectorIlLb0EEEZNS1_14transform_implILb0ES3_S5_NS0_18transform_iteratorINS0_17counting_iteratorImlEEZNS1_24adjacent_difference_implIS3_Lb1ELb0EPlSB_ZN2at6native12_GLOBAL__N_124unique_dim_cuda_templateIN3c104HalfEEESt5tupleIJNSC_6TensorESJ_SJ_EERKSJ_lbbbEUlllE1_EE10hipError_tPvRmT2_T3_mT4_P12ihipStream_tbEUlmE_lEESB_NS0_8identityIvEEEESO_SR_SS_mST_SV_bEUlT_E_NS1_11comp_targetILNS1_3genE0ELNS1_11target_archE4294967295ELNS1_3gpuE0ELNS1_3repE0EEENS1_30default_config_static_selectorELNS0_4arch9wavefront6targetE1EEEvT1_,"axG",@progbits,_ZN7rocprim17ROCPRIM_400000_NS6detail17trampoline_kernelINS0_14default_configENS1_25transform_config_selectorIlLb0EEEZNS1_14transform_implILb0ES3_S5_NS0_18transform_iteratorINS0_17counting_iteratorImlEEZNS1_24adjacent_difference_implIS3_Lb1ELb0EPlSB_ZN2at6native12_GLOBAL__N_124unique_dim_cuda_templateIN3c104HalfEEESt5tupleIJNSC_6TensorESJ_SJ_EERKSJ_lbbbEUlllE1_EE10hipError_tPvRmT2_T3_mT4_P12ihipStream_tbEUlmE_lEESB_NS0_8identityIvEEEESO_SR_SS_mST_SV_bEUlT_E_NS1_11comp_targetILNS1_3genE0ELNS1_11target_archE4294967295ELNS1_3gpuE0ELNS1_3repE0EEENS1_30default_config_static_selectorELNS0_4arch9wavefront6targetE1EEEvT1_,comdat
	.globl	_ZN7rocprim17ROCPRIM_400000_NS6detail17trampoline_kernelINS0_14default_configENS1_25transform_config_selectorIlLb0EEEZNS1_14transform_implILb0ES3_S5_NS0_18transform_iteratorINS0_17counting_iteratorImlEEZNS1_24adjacent_difference_implIS3_Lb1ELb0EPlSB_ZN2at6native12_GLOBAL__N_124unique_dim_cuda_templateIN3c104HalfEEESt5tupleIJNSC_6TensorESJ_SJ_EERKSJ_lbbbEUlllE1_EE10hipError_tPvRmT2_T3_mT4_P12ihipStream_tbEUlmE_lEESB_NS0_8identityIvEEEESO_SR_SS_mST_SV_bEUlT_E_NS1_11comp_targetILNS1_3genE0ELNS1_11target_archE4294967295ELNS1_3gpuE0ELNS1_3repE0EEENS1_30default_config_static_selectorELNS0_4arch9wavefront6targetE1EEEvT1_ ; -- Begin function _ZN7rocprim17ROCPRIM_400000_NS6detail17trampoline_kernelINS0_14default_configENS1_25transform_config_selectorIlLb0EEEZNS1_14transform_implILb0ES3_S5_NS0_18transform_iteratorINS0_17counting_iteratorImlEEZNS1_24adjacent_difference_implIS3_Lb1ELb0EPlSB_ZN2at6native12_GLOBAL__N_124unique_dim_cuda_templateIN3c104HalfEEESt5tupleIJNSC_6TensorESJ_SJ_EERKSJ_lbbbEUlllE1_EE10hipError_tPvRmT2_T3_mT4_P12ihipStream_tbEUlmE_lEESB_NS0_8identityIvEEEESO_SR_SS_mST_SV_bEUlT_E_NS1_11comp_targetILNS1_3genE0ELNS1_11target_archE4294967295ELNS1_3gpuE0ELNS1_3repE0EEENS1_30default_config_static_selectorELNS0_4arch9wavefront6targetE1EEEvT1_
	.p2align	8
	.type	_ZN7rocprim17ROCPRIM_400000_NS6detail17trampoline_kernelINS0_14default_configENS1_25transform_config_selectorIlLb0EEEZNS1_14transform_implILb0ES3_S5_NS0_18transform_iteratorINS0_17counting_iteratorImlEEZNS1_24adjacent_difference_implIS3_Lb1ELb0EPlSB_ZN2at6native12_GLOBAL__N_124unique_dim_cuda_templateIN3c104HalfEEESt5tupleIJNSC_6TensorESJ_SJ_EERKSJ_lbbbEUlllE1_EE10hipError_tPvRmT2_T3_mT4_P12ihipStream_tbEUlmE_lEESB_NS0_8identityIvEEEESO_SR_SS_mST_SV_bEUlT_E_NS1_11comp_targetILNS1_3genE0ELNS1_11target_archE4294967295ELNS1_3gpuE0ELNS1_3repE0EEENS1_30default_config_static_selectorELNS0_4arch9wavefront6targetE1EEEvT1_,@function
_ZN7rocprim17ROCPRIM_400000_NS6detail17trampoline_kernelINS0_14default_configENS1_25transform_config_selectorIlLb0EEEZNS1_14transform_implILb0ES3_S5_NS0_18transform_iteratorINS0_17counting_iteratorImlEEZNS1_24adjacent_difference_implIS3_Lb1ELb0EPlSB_ZN2at6native12_GLOBAL__N_124unique_dim_cuda_templateIN3c104HalfEEESt5tupleIJNSC_6TensorESJ_SJ_EERKSJ_lbbbEUlllE1_EE10hipError_tPvRmT2_T3_mT4_P12ihipStream_tbEUlmE_lEESB_NS0_8identityIvEEEESO_SR_SS_mST_SV_bEUlT_E_NS1_11comp_targetILNS1_3genE0ELNS1_11target_archE4294967295ELNS1_3gpuE0ELNS1_3repE0EEENS1_30default_config_static_selectorELNS0_4arch9wavefront6targetE1EEEvT1_: ; @_ZN7rocprim17ROCPRIM_400000_NS6detail17trampoline_kernelINS0_14default_configENS1_25transform_config_selectorIlLb0EEEZNS1_14transform_implILb0ES3_S5_NS0_18transform_iteratorINS0_17counting_iteratorImlEEZNS1_24adjacent_difference_implIS3_Lb1ELb0EPlSB_ZN2at6native12_GLOBAL__N_124unique_dim_cuda_templateIN3c104HalfEEESt5tupleIJNSC_6TensorESJ_SJ_EERKSJ_lbbbEUlllE1_EE10hipError_tPvRmT2_T3_mT4_P12ihipStream_tbEUlmE_lEESB_NS0_8identityIvEEEESO_SR_SS_mST_SV_bEUlT_E_NS1_11comp_targetILNS1_3genE0ELNS1_11target_archE4294967295ELNS1_3gpuE0ELNS1_3repE0EEENS1_30default_config_static_selectorELNS0_4arch9wavefront6targetE1EEEvT1_
; %bb.0:
	s_load_dword s3, s[0:1], 0x38
	s_load_dword s5, s[0:1], 0x20
	s_lshl_b32 s4, s2, 7
	s_waitcnt lgkmcnt(0)
	s_add_i32 s3, s3, -1
	s_cmp_lg_u32 s2, s3
	s_cselect_b64 s[2:3], -1, 0
	s_sub_i32 s5, s5, s4
	v_cmp_gt_u32_e32 vcc, s5, v0
	s_or_b64 s[2:3], s[2:3], vcc
	s_and_saveexec_b64 s[6:7], s[2:3]
	s_cbranch_execz .LBB1280_2
; %bb.1:
	s_load_dwordx2 s[2:3], s[0:1], 0x18
	s_load_dwordx4 s[8:11], s[0:1], 0x0
	s_load_dwordx2 s[6:7], s[0:1], 0x28
	s_load_dword s5, s[0:1], 0x10
	v_mov_b32_e32 v1, 0
	s_waitcnt lgkmcnt(0)
	s_lshl_b64 s[0:1], s[2:3], 3
	v_mov_b32_e32 v2, s10
	s_add_u32 s6, s6, s0
	s_addc_u32 s7, s7, s1
	s_add_u32 s0, s8, s2
	s_addc_u32 s1, s9, s3
	;; [unrolled: 2-line block ×3, first 2 shown]
	v_lshl_add_u64 v[4:5], s[0:1], 0, v[0:1]
	v_mad_u64_u32 v[6:7], s[0:1], v4, s5, 0
	v_mov_b32_e32 v4, v7
	v_mad_u64_u32 v[4:5], s[0:1], v5, s5, v[4:5]
	v_mov_b32_e32 v3, s11
	v_mov_b32_e32 v7, v4
	v_lshl_add_u64 v[2:3], v[6:7], 3, v[2:3]
	global_load_dwordx2 v[2:3], v[2:3], off
	s_mov_b32 s5, 0
	s_lshl_b64 s[0:1], s[4:5], 3
	s_add_u32 s0, s6, s0
	s_addc_u32 s1, s7, s1
	v_lshl_add_u64 v[0:1], v[0:1], 3, s[0:1]
	s_waitcnt vmcnt(0)
	global_store_dwordx2 v[0:1], v[2:3], off
.LBB1280_2:
	s_endpgm
	.section	.rodata,"a",@progbits
	.p2align	6, 0x0
	.amdhsa_kernel _ZN7rocprim17ROCPRIM_400000_NS6detail17trampoline_kernelINS0_14default_configENS1_25transform_config_selectorIlLb0EEEZNS1_14transform_implILb0ES3_S5_NS0_18transform_iteratorINS0_17counting_iteratorImlEEZNS1_24adjacent_difference_implIS3_Lb1ELb0EPlSB_ZN2at6native12_GLOBAL__N_124unique_dim_cuda_templateIN3c104HalfEEESt5tupleIJNSC_6TensorESJ_SJ_EERKSJ_lbbbEUlllE1_EE10hipError_tPvRmT2_T3_mT4_P12ihipStream_tbEUlmE_lEESB_NS0_8identityIvEEEESO_SR_SS_mST_SV_bEUlT_E_NS1_11comp_targetILNS1_3genE0ELNS1_11target_archE4294967295ELNS1_3gpuE0ELNS1_3repE0EEENS1_30default_config_static_selectorELNS0_4arch9wavefront6targetE1EEEvT1_
		.amdhsa_group_segment_fixed_size 0
		.amdhsa_private_segment_fixed_size 0
		.amdhsa_kernarg_size 312
		.amdhsa_user_sgpr_count 2
		.amdhsa_user_sgpr_dispatch_ptr 0
		.amdhsa_user_sgpr_queue_ptr 0
		.amdhsa_user_sgpr_kernarg_segment_ptr 1
		.amdhsa_user_sgpr_dispatch_id 0
		.amdhsa_user_sgpr_kernarg_preload_length 0
		.amdhsa_user_sgpr_kernarg_preload_offset 0
		.amdhsa_user_sgpr_private_segment_size 0
		.amdhsa_uses_dynamic_stack 0
		.amdhsa_enable_private_segment 0
		.amdhsa_system_sgpr_workgroup_id_x 1
		.amdhsa_system_sgpr_workgroup_id_y 0
		.amdhsa_system_sgpr_workgroup_id_z 0
		.amdhsa_system_sgpr_workgroup_info 0
		.amdhsa_system_vgpr_workitem_id 0
		.amdhsa_next_free_vgpr 8
		.amdhsa_next_free_sgpr 12
		.amdhsa_accum_offset 8
		.amdhsa_reserve_vcc 1
		.amdhsa_float_round_mode_32 0
		.amdhsa_float_round_mode_16_64 0
		.amdhsa_float_denorm_mode_32 3
		.amdhsa_float_denorm_mode_16_64 3
		.amdhsa_dx10_clamp 1
		.amdhsa_ieee_mode 1
		.amdhsa_fp16_overflow 0
		.amdhsa_tg_split 0
		.amdhsa_exception_fp_ieee_invalid_op 0
		.amdhsa_exception_fp_denorm_src 0
		.amdhsa_exception_fp_ieee_div_zero 0
		.amdhsa_exception_fp_ieee_overflow 0
		.amdhsa_exception_fp_ieee_underflow 0
		.amdhsa_exception_fp_ieee_inexact 0
		.amdhsa_exception_int_div_zero 0
	.end_amdhsa_kernel
	.section	.text._ZN7rocprim17ROCPRIM_400000_NS6detail17trampoline_kernelINS0_14default_configENS1_25transform_config_selectorIlLb0EEEZNS1_14transform_implILb0ES3_S5_NS0_18transform_iteratorINS0_17counting_iteratorImlEEZNS1_24adjacent_difference_implIS3_Lb1ELb0EPlSB_ZN2at6native12_GLOBAL__N_124unique_dim_cuda_templateIN3c104HalfEEESt5tupleIJNSC_6TensorESJ_SJ_EERKSJ_lbbbEUlllE1_EE10hipError_tPvRmT2_T3_mT4_P12ihipStream_tbEUlmE_lEESB_NS0_8identityIvEEEESO_SR_SS_mST_SV_bEUlT_E_NS1_11comp_targetILNS1_3genE0ELNS1_11target_archE4294967295ELNS1_3gpuE0ELNS1_3repE0EEENS1_30default_config_static_selectorELNS0_4arch9wavefront6targetE1EEEvT1_,"axG",@progbits,_ZN7rocprim17ROCPRIM_400000_NS6detail17trampoline_kernelINS0_14default_configENS1_25transform_config_selectorIlLb0EEEZNS1_14transform_implILb0ES3_S5_NS0_18transform_iteratorINS0_17counting_iteratorImlEEZNS1_24adjacent_difference_implIS3_Lb1ELb0EPlSB_ZN2at6native12_GLOBAL__N_124unique_dim_cuda_templateIN3c104HalfEEESt5tupleIJNSC_6TensorESJ_SJ_EERKSJ_lbbbEUlllE1_EE10hipError_tPvRmT2_T3_mT4_P12ihipStream_tbEUlmE_lEESB_NS0_8identityIvEEEESO_SR_SS_mST_SV_bEUlT_E_NS1_11comp_targetILNS1_3genE0ELNS1_11target_archE4294967295ELNS1_3gpuE0ELNS1_3repE0EEENS1_30default_config_static_selectorELNS0_4arch9wavefront6targetE1EEEvT1_,comdat
.Lfunc_end1280:
	.size	_ZN7rocprim17ROCPRIM_400000_NS6detail17trampoline_kernelINS0_14default_configENS1_25transform_config_selectorIlLb0EEEZNS1_14transform_implILb0ES3_S5_NS0_18transform_iteratorINS0_17counting_iteratorImlEEZNS1_24adjacent_difference_implIS3_Lb1ELb0EPlSB_ZN2at6native12_GLOBAL__N_124unique_dim_cuda_templateIN3c104HalfEEESt5tupleIJNSC_6TensorESJ_SJ_EERKSJ_lbbbEUlllE1_EE10hipError_tPvRmT2_T3_mT4_P12ihipStream_tbEUlmE_lEESB_NS0_8identityIvEEEESO_SR_SS_mST_SV_bEUlT_E_NS1_11comp_targetILNS1_3genE0ELNS1_11target_archE4294967295ELNS1_3gpuE0ELNS1_3repE0EEENS1_30default_config_static_selectorELNS0_4arch9wavefront6targetE1EEEvT1_, .Lfunc_end1280-_ZN7rocprim17ROCPRIM_400000_NS6detail17trampoline_kernelINS0_14default_configENS1_25transform_config_selectorIlLb0EEEZNS1_14transform_implILb0ES3_S5_NS0_18transform_iteratorINS0_17counting_iteratorImlEEZNS1_24adjacent_difference_implIS3_Lb1ELb0EPlSB_ZN2at6native12_GLOBAL__N_124unique_dim_cuda_templateIN3c104HalfEEESt5tupleIJNSC_6TensorESJ_SJ_EERKSJ_lbbbEUlllE1_EE10hipError_tPvRmT2_T3_mT4_P12ihipStream_tbEUlmE_lEESB_NS0_8identityIvEEEESO_SR_SS_mST_SV_bEUlT_E_NS1_11comp_targetILNS1_3genE0ELNS1_11target_archE4294967295ELNS1_3gpuE0ELNS1_3repE0EEENS1_30default_config_static_selectorELNS0_4arch9wavefront6targetE1EEEvT1_
                                        ; -- End function
	.set _ZN7rocprim17ROCPRIM_400000_NS6detail17trampoline_kernelINS0_14default_configENS1_25transform_config_selectorIlLb0EEEZNS1_14transform_implILb0ES3_S5_NS0_18transform_iteratorINS0_17counting_iteratorImlEEZNS1_24adjacent_difference_implIS3_Lb1ELb0EPlSB_ZN2at6native12_GLOBAL__N_124unique_dim_cuda_templateIN3c104HalfEEESt5tupleIJNSC_6TensorESJ_SJ_EERKSJ_lbbbEUlllE1_EE10hipError_tPvRmT2_T3_mT4_P12ihipStream_tbEUlmE_lEESB_NS0_8identityIvEEEESO_SR_SS_mST_SV_bEUlT_E_NS1_11comp_targetILNS1_3genE0ELNS1_11target_archE4294967295ELNS1_3gpuE0ELNS1_3repE0EEENS1_30default_config_static_selectorELNS0_4arch9wavefront6targetE1EEEvT1_.num_vgpr, 8
	.set _ZN7rocprim17ROCPRIM_400000_NS6detail17trampoline_kernelINS0_14default_configENS1_25transform_config_selectorIlLb0EEEZNS1_14transform_implILb0ES3_S5_NS0_18transform_iteratorINS0_17counting_iteratorImlEEZNS1_24adjacent_difference_implIS3_Lb1ELb0EPlSB_ZN2at6native12_GLOBAL__N_124unique_dim_cuda_templateIN3c104HalfEEESt5tupleIJNSC_6TensorESJ_SJ_EERKSJ_lbbbEUlllE1_EE10hipError_tPvRmT2_T3_mT4_P12ihipStream_tbEUlmE_lEESB_NS0_8identityIvEEEESO_SR_SS_mST_SV_bEUlT_E_NS1_11comp_targetILNS1_3genE0ELNS1_11target_archE4294967295ELNS1_3gpuE0ELNS1_3repE0EEENS1_30default_config_static_selectorELNS0_4arch9wavefront6targetE1EEEvT1_.num_agpr, 0
	.set _ZN7rocprim17ROCPRIM_400000_NS6detail17trampoline_kernelINS0_14default_configENS1_25transform_config_selectorIlLb0EEEZNS1_14transform_implILb0ES3_S5_NS0_18transform_iteratorINS0_17counting_iteratorImlEEZNS1_24adjacent_difference_implIS3_Lb1ELb0EPlSB_ZN2at6native12_GLOBAL__N_124unique_dim_cuda_templateIN3c104HalfEEESt5tupleIJNSC_6TensorESJ_SJ_EERKSJ_lbbbEUlllE1_EE10hipError_tPvRmT2_T3_mT4_P12ihipStream_tbEUlmE_lEESB_NS0_8identityIvEEEESO_SR_SS_mST_SV_bEUlT_E_NS1_11comp_targetILNS1_3genE0ELNS1_11target_archE4294967295ELNS1_3gpuE0ELNS1_3repE0EEENS1_30default_config_static_selectorELNS0_4arch9wavefront6targetE1EEEvT1_.numbered_sgpr, 12
	.set _ZN7rocprim17ROCPRIM_400000_NS6detail17trampoline_kernelINS0_14default_configENS1_25transform_config_selectorIlLb0EEEZNS1_14transform_implILb0ES3_S5_NS0_18transform_iteratorINS0_17counting_iteratorImlEEZNS1_24adjacent_difference_implIS3_Lb1ELb0EPlSB_ZN2at6native12_GLOBAL__N_124unique_dim_cuda_templateIN3c104HalfEEESt5tupleIJNSC_6TensorESJ_SJ_EERKSJ_lbbbEUlllE1_EE10hipError_tPvRmT2_T3_mT4_P12ihipStream_tbEUlmE_lEESB_NS0_8identityIvEEEESO_SR_SS_mST_SV_bEUlT_E_NS1_11comp_targetILNS1_3genE0ELNS1_11target_archE4294967295ELNS1_3gpuE0ELNS1_3repE0EEENS1_30default_config_static_selectorELNS0_4arch9wavefront6targetE1EEEvT1_.num_named_barrier, 0
	.set _ZN7rocprim17ROCPRIM_400000_NS6detail17trampoline_kernelINS0_14default_configENS1_25transform_config_selectorIlLb0EEEZNS1_14transform_implILb0ES3_S5_NS0_18transform_iteratorINS0_17counting_iteratorImlEEZNS1_24adjacent_difference_implIS3_Lb1ELb0EPlSB_ZN2at6native12_GLOBAL__N_124unique_dim_cuda_templateIN3c104HalfEEESt5tupleIJNSC_6TensorESJ_SJ_EERKSJ_lbbbEUlllE1_EE10hipError_tPvRmT2_T3_mT4_P12ihipStream_tbEUlmE_lEESB_NS0_8identityIvEEEESO_SR_SS_mST_SV_bEUlT_E_NS1_11comp_targetILNS1_3genE0ELNS1_11target_archE4294967295ELNS1_3gpuE0ELNS1_3repE0EEENS1_30default_config_static_selectorELNS0_4arch9wavefront6targetE1EEEvT1_.private_seg_size, 0
	.set _ZN7rocprim17ROCPRIM_400000_NS6detail17trampoline_kernelINS0_14default_configENS1_25transform_config_selectorIlLb0EEEZNS1_14transform_implILb0ES3_S5_NS0_18transform_iteratorINS0_17counting_iteratorImlEEZNS1_24adjacent_difference_implIS3_Lb1ELb0EPlSB_ZN2at6native12_GLOBAL__N_124unique_dim_cuda_templateIN3c104HalfEEESt5tupleIJNSC_6TensorESJ_SJ_EERKSJ_lbbbEUlllE1_EE10hipError_tPvRmT2_T3_mT4_P12ihipStream_tbEUlmE_lEESB_NS0_8identityIvEEEESO_SR_SS_mST_SV_bEUlT_E_NS1_11comp_targetILNS1_3genE0ELNS1_11target_archE4294967295ELNS1_3gpuE0ELNS1_3repE0EEENS1_30default_config_static_selectorELNS0_4arch9wavefront6targetE1EEEvT1_.uses_vcc, 1
	.set _ZN7rocprim17ROCPRIM_400000_NS6detail17trampoline_kernelINS0_14default_configENS1_25transform_config_selectorIlLb0EEEZNS1_14transform_implILb0ES3_S5_NS0_18transform_iteratorINS0_17counting_iteratorImlEEZNS1_24adjacent_difference_implIS3_Lb1ELb0EPlSB_ZN2at6native12_GLOBAL__N_124unique_dim_cuda_templateIN3c104HalfEEESt5tupleIJNSC_6TensorESJ_SJ_EERKSJ_lbbbEUlllE1_EE10hipError_tPvRmT2_T3_mT4_P12ihipStream_tbEUlmE_lEESB_NS0_8identityIvEEEESO_SR_SS_mST_SV_bEUlT_E_NS1_11comp_targetILNS1_3genE0ELNS1_11target_archE4294967295ELNS1_3gpuE0ELNS1_3repE0EEENS1_30default_config_static_selectorELNS0_4arch9wavefront6targetE1EEEvT1_.uses_flat_scratch, 0
	.set _ZN7rocprim17ROCPRIM_400000_NS6detail17trampoline_kernelINS0_14default_configENS1_25transform_config_selectorIlLb0EEEZNS1_14transform_implILb0ES3_S5_NS0_18transform_iteratorINS0_17counting_iteratorImlEEZNS1_24adjacent_difference_implIS3_Lb1ELb0EPlSB_ZN2at6native12_GLOBAL__N_124unique_dim_cuda_templateIN3c104HalfEEESt5tupleIJNSC_6TensorESJ_SJ_EERKSJ_lbbbEUlllE1_EE10hipError_tPvRmT2_T3_mT4_P12ihipStream_tbEUlmE_lEESB_NS0_8identityIvEEEESO_SR_SS_mST_SV_bEUlT_E_NS1_11comp_targetILNS1_3genE0ELNS1_11target_archE4294967295ELNS1_3gpuE0ELNS1_3repE0EEENS1_30default_config_static_selectorELNS0_4arch9wavefront6targetE1EEEvT1_.has_dyn_sized_stack, 0
	.set _ZN7rocprim17ROCPRIM_400000_NS6detail17trampoline_kernelINS0_14default_configENS1_25transform_config_selectorIlLb0EEEZNS1_14transform_implILb0ES3_S5_NS0_18transform_iteratorINS0_17counting_iteratorImlEEZNS1_24adjacent_difference_implIS3_Lb1ELb0EPlSB_ZN2at6native12_GLOBAL__N_124unique_dim_cuda_templateIN3c104HalfEEESt5tupleIJNSC_6TensorESJ_SJ_EERKSJ_lbbbEUlllE1_EE10hipError_tPvRmT2_T3_mT4_P12ihipStream_tbEUlmE_lEESB_NS0_8identityIvEEEESO_SR_SS_mST_SV_bEUlT_E_NS1_11comp_targetILNS1_3genE0ELNS1_11target_archE4294967295ELNS1_3gpuE0ELNS1_3repE0EEENS1_30default_config_static_selectorELNS0_4arch9wavefront6targetE1EEEvT1_.has_recursion, 0
	.set _ZN7rocprim17ROCPRIM_400000_NS6detail17trampoline_kernelINS0_14default_configENS1_25transform_config_selectorIlLb0EEEZNS1_14transform_implILb0ES3_S5_NS0_18transform_iteratorINS0_17counting_iteratorImlEEZNS1_24adjacent_difference_implIS3_Lb1ELb0EPlSB_ZN2at6native12_GLOBAL__N_124unique_dim_cuda_templateIN3c104HalfEEESt5tupleIJNSC_6TensorESJ_SJ_EERKSJ_lbbbEUlllE1_EE10hipError_tPvRmT2_T3_mT4_P12ihipStream_tbEUlmE_lEESB_NS0_8identityIvEEEESO_SR_SS_mST_SV_bEUlT_E_NS1_11comp_targetILNS1_3genE0ELNS1_11target_archE4294967295ELNS1_3gpuE0ELNS1_3repE0EEENS1_30default_config_static_selectorELNS0_4arch9wavefront6targetE1EEEvT1_.has_indirect_call, 0
	.section	.AMDGPU.csdata,"",@progbits
; Kernel info:
; codeLenInByte = 220
; TotalNumSgprs: 18
; NumVgprs: 8
; NumAgprs: 0
; TotalNumVgprs: 8
; ScratchSize: 0
; MemoryBound: 0
; FloatMode: 240
; IeeeMode: 1
; LDSByteSize: 0 bytes/workgroup (compile time only)
; SGPRBlocks: 2
; VGPRBlocks: 0
; NumSGPRsForWavesPerEU: 18
; NumVGPRsForWavesPerEU: 8
; AccumOffset: 8
; Occupancy: 8
; WaveLimiterHint : 0
; COMPUTE_PGM_RSRC2:SCRATCH_EN: 0
; COMPUTE_PGM_RSRC2:USER_SGPR: 2
; COMPUTE_PGM_RSRC2:TRAP_HANDLER: 0
; COMPUTE_PGM_RSRC2:TGID_X_EN: 1
; COMPUTE_PGM_RSRC2:TGID_Y_EN: 0
; COMPUTE_PGM_RSRC2:TGID_Z_EN: 0
; COMPUTE_PGM_RSRC2:TIDIG_COMP_CNT: 0
; COMPUTE_PGM_RSRC3_GFX90A:ACCUM_OFFSET: 1
; COMPUTE_PGM_RSRC3_GFX90A:TG_SPLIT: 0
	.section	.text._ZN7rocprim17ROCPRIM_400000_NS6detail17trampoline_kernelINS0_14default_configENS1_25transform_config_selectorIlLb0EEEZNS1_14transform_implILb0ES3_S5_NS0_18transform_iteratorINS0_17counting_iteratorImlEEZNS1_24adjacent_difference_implIS3_Lb1ELb0EPlSB_ZN2at6native12_GLOBAL__N_124unique_dim_cuda_templateIN3c104HalfEEESt5tupleIJNSC_6TensorESJ_SJ_EERKSJ_lbbbEUlllE1_EE10hipError_tPvRmT2_T3_mT4_P12ihipStream_tbEUlmE_lEESB_NS0_8identityIvEEEESO_SR_SS_mST_SV_bEUlT_E_NS1_11comp_targetILNS1_3genE5ELNS1_11target_archE942ELNS1_3gpuE9ELNS1_3repE0EEENS1_30default_config_static_selectorELNS0_4arch9wavefront6targetE1EEEvT1_,"axG",@progbits,_ZN7rocprim17ROCPRIM_400000_NS6detail17trampoline_kernelINS0_14default_configENS1_25transform_config_selectorIlLb0EEEZNS1_14transform_implILb0ES3_S5_NS0_18transform_iteratorINS0_17counting_iteratorImlEEZNS1_24adjacent_difference_implIS3_Lb1ELb0EPlSB_ZN2at6native12_GLOBAL__N_124unique_dim_cuda_templateIN3c104HalfEEESt5tupleIJNSC_6TensorESJ_SJ_EERKSJ_lbbbEUlllE1_EE10hipError_tPvRmT2_T3_mT4_P12ihipStream_tbEUlmE_lEESB_NS0_8identityIvEEEESO_SR_SS_mST_SV_bEUlT_E_NS1_11comp_targetILNS1_3genE5ELNS1_11target_archE942ELNS1_3gpuE9ELNS1_3repE0EEENS1_30default_config_static_selectorELNS0_4arch9wavefront6targetE1EEEvT1_,comdat
	.globl	_ZN7rocprim17ROCPRIM_400000_NS6detail17trampoline_kernelINS0_14default_configENS1_25transform_config_selectorIlLb0EEEZNS1_14transform_implILb0ES3_S5_NS0_18transform_iteratorINS0_17counting_iteratorImlEEZNS1_24adjacent_difference_implIS3_Lb1ELb0EPlSB_ZN2at6native12_GLOBAL__N_124unique_dim_cuda_templateIN3c104HalfEEESt5tupleIJNSC_6TensorESJ_SJ_EERKSJ_lbbbEUlllE1_EE10hipError_tPvRmT2_T3_mT4_P12ihipStream_tbEUlmE_lEESB_NS0_8identityIvEEEESO_SR_SS_mST_SV_bEUlT_E_NS1_11comp_targetILNS1_3genE5ELNS1_11target_archE942ELNS1_3gpuE9ELNS1_3repE0EEENS1_30default_config_static_selectorELNS0_4arch9wavefront6targetE1EEEvT1_ ; -- Begin function _ZN7rocprim17ROCPRIM_400000_NS6detail17trampoline_kernelINS0_14default_configENS1_25transform_config_selectorIlLb0EEEZNS1_14transform_implILb0ES3_S5_NS0_18transform_iteratorINS0_17counting_iteratorImlEEZNS1_24adjacent_difference_implIS3_Lb1ELb0EPlSB_ZN2at6native12_GLOBAL__N_124unique_dim_cuda_templateIN3c104HalfEEESt5tupleIJNSC_6TensorESJ_SJ_EERKSJ_lbbbEUlllE1_EE10hipError_tPvRmT2_T3_mT4_P12ihipStream_tbEUlmE_lEESB_NS0_8identityIvEEEESO_SR_SS_mST_SV_bEUlT_E_NS1_11comp_targetILNS1_3genE5ELNS1_11target_archE942ELNS1_3gpuE9ELNS1_3repE0EEENS1_30default_config_static_selectorELNS0_4arch9wavefront6targetE1EEEvT1_
	.p2align	8
	.type	_ZN7rocprim17ROCPRIM_400000_NS6detail17trampoline_kernelINS0_14default_configENS1_25transform_config_selectorIlLb0EEEZNS1_14transform_implILb0ES3_S5_NS0_18transform_iteratorINS0_17counting_iteratorImlEEZNS1_24adjacent_difference_implIS3_Lb1ELb0EPlSB_ZN2at6native12_GLOBAL__N_124unique_dim_cuda_templateIN3c104HalfEEESt5tupleIJNSC_6TensorESJ_SJ_EERKSJ_lbbbEUlllE1_EE10hipError_tPvRmT2_T3_mT4_P12ihipStream_tbEUlmE_lEESB_NS0_8identityIvEEEESO_SR_SS_mST_SV_bEUlT_E_NS1_11comp_targetILNS1_3genE5ELNS1_11target_archE942ELNS1_3gpuE9ELNS1_3repE0EEENS1_30default_config_static_selectorELNS0_4arch9wavefront6targetE1EEEvT1_,@function
_ZN7rocprim17ROCPRIM_400000_NS6detail17trampoline_kernelINS0_14default_configENS1_25transform_config_selectorIlLb0EEEZNS1_14transform_implILb0ES3_S5_NS0_18transform_iteratorINS0_17counting_iteratorImlEEZNS1_24adjacent_difference_implIS3_Lb1ELb0EPlSB_ZN2at6native12_GLOBAL__N_124unique_dim_cuda_templateIN3c104HalfEEESt5tupleIJNSC_6TensorESJ_SJ_EERKSJ_lbbbEUlllE1_EE10hipError_tPvRmT2_T3_mT4_P12ihipStream_tbEUlmE_lEESB_NS0_8identityIvEEEESO_SR_SS_mST_SV_bEUlT_E_NS1_11comp_targetILNS1_3genE5ELNS1_11target_archE942ELNS1_3gpuE9ELNS1_3repE0EEENS1_30default_config_static_selectorELNS0_4arch9wavefront6targetE1EEEvT1_: ; @_ZN7rocprim17ROCPRIM_400000_NS6detail17trampoline_kernelINS0_14default_configENS1_25transform_config_selectorIlLb0EEEZNS1_14transform_implILb0ES3_S5_NS0_18transform_iteratorINS0_17counting_iteratorImlEEZNS1_24adjacent_difference_implIS3_Lb1ELb0EPlSB_ZN2at6native12_GLOBAL__N_124unique_dim_cuda_templateIN3c104HalfEEESt5tupleIJNSC_6TensorESJ_SJ_EERKSJ_lbbbEUlllE1_EE10hipError_tPvRmT2_T3_mT4_P12ihipStream_tbEUlmE_lEESB_NS0_8identityIvEEEESO_SR_SS_mST_SV_bEUlT_E_NS1_11comp_targetILNS1_3genE5ELNS1_11target_archE942ELNS1_3gpuE9ELNS1_3repE0EEENS1_30default_config_static_selectorELNS0_4arch9wavefront6targetE1EEEvT1_
; %bb.0:
	.section	.rodata,"a",@progbits
	.p2align	6, 0x0
	.amdhsa_kernel _ZN7rocprim17ROCPRIM_400000_NS6detail17trampoline_kernelINS0_14default_configENS1_25transform_config_selectorIlLb0EEEZNS1_14transform_implILb0ES3_S5_NS0_18transform_iteratorINS0_17counting_iteratorImlEEZNS1_24adjacent_difference_implIS3_Lb1ELb0EPlSB_ZN2at6native12_GLOBAL__N_124unique_dim_cuda_templateIN3c104HalfEEESt5tupleIJNSC_6TensorESJ_SJ_EERKSJ_lbbbEUlllE1_EE10hipError_tPvRmT2_T3_mT4_P12ihipStream_tbEUlmE_lEESB_NS0_8identityIvEEEESO_SR_SS_mST_SV_bEUlT_E_NS1_11comp_targetILNS1_3genE5ELNS1_11target_archE942ELNS1_3gpuE9ELNS1_3repE0EEENS1_30default_config_static_selectorELNS0_4arch9wavefront6targetE1EEEvT1_
		.amdhsa_group_segment_fixed_size 0
		.amdhsa_private_segment_fixed_size 0
		.amdhsa_kernarg_size 56
		.amdhsa_user_sgpr_count 2
		.amdhsa_user_sgpr_dispatch_ptr 0
		.amdhsa_user_sgpr_queue_ptr 0
		.amdhsa_user_sgpr_kernarg_segment_ptr 1
		.amdhsa_user_sgpr_dispatch_id 0
		.amdhsa_user_sgpr_kernarg_preload_length 0
		.amdhsa_user_sgpr_kernarg_preload_offset 0
		.amdhsa_user_sgpr_private_segment_size 0
		.amdhsa_uses_dynamic_stack 0
		.amdhsa_enable_private_segment 0
		.amdhsa_system_sgpr_workgroup_id_x 1
		.amdhsa_system_sgpr_workgroup_id_y 0
		.amdhsa_system_sgpr_workgroup_id_z 0
		.amdhsa_system_sgpr_workgroup_info 0
		.amdhsa_system_vgpr_workitem_id 0
		.amdhsa_next_free_vgpr 1
		.amdhsa_next_free_sgpr 0
		.amdhsa_accum_offset 4
		.amdhsa_reserve_vcc 0
		.amdhsa_float_round_mode_32 0
		.amdhsa_float_round_mode_16_64 0
		.amdhsa_float_denorm_mode_32 3
		.amdhsa_float_denorm_mode_16_64 3
		.amdhsa_dx10_clamp 1
		.amdhsa_ieee_mode 1
		.amdhsa_fp16_overflow 0
		.amdhsa_tg_split 0
		.amdhsa_exception_fp_ieee_invalid_op 0
		.amdhsa_exception_fp_denorm_src 0
		.amdhsa_exception_fp_ieee_div_zero 0
		.amdhsa_exception_fp_ieee_overflow 0
		.amdhsa_exception_fp_ieee_underflow 0
		.amdhsa_exception_fp_ieee_inexact 0
		.amdhsa_exception_int_div_zero 0
	.end_amdhsa_kernel
	.section	.text._ZN7rocprim17ROCPRIM_400000_NS6detail17trampoline_kernelINS0_14default_configENS1_25transform_config_selectorIlLb0EEEZNS1_14transform_implILb0ES3_S5_NS0_18transform_iteratorINS0_17counting_iteratorImlEEZNS1_24adjacent_difference_implIS3_Lb1ELb0EPlSB_ZN2at6native12_GLOBAL__N_124unique_dim_cuda_templateIN3c104HalfEEESt5tupleIJNSC_6TensorESJ_SJ_EERKSJ_lbbbEUlllE1_EE10hipError_tPvRmT2_T3_mT4_P12ihipStream_tbEUlmE_lEESB_NS0_8identityIvEEEESO_SR_SS_mST_SV_bEUlT_E_NS1_11comp_targetILNS1_3genE5ELNS1_11target_archE942ELNS1_3gpuE9ELNS1_3repE0EEENS1_30default_config_static_selectorELNS0_4arch9wavefront6targetE1EEEvT1_,"axG",@progbits,_ZN7rocprim17ROCPRIM_400000_NS6detail17trampoline_kernelINS0_14default_configENS1_25transform_config_selectorIlLb0EEEZNS1_14transform_implILb0ES3_S5_NS0_18transform_iteratorINS0_17counting_iteratorImlEEZNS1_24adjacent_difference_implIS3_Lb1ELb0EPlSB_ZN2at6native12_GLOBAL__N_124unique_dim_cuda_templateIN3c104HalfEEESt5tupleIJNSC_6TensorESJ_SJ_EERKSJ_lbbbEUlllE1_EE10hipError_tPvRmT2_T3_mT4_P12ihipStream_tbEUlmE_lEESB_NS0_8identityIvEEEESO_SR_SS_mST_SV_bEUlT_E_NS1_11comp_targetILNS1_3genE5ELNS1_11target_archE942ELNS1_3gpuE9ELNS1_3repE0EEENS1_30default_config_static_selectorELNS0_4arch9wavefront6targetE1EEEvT1_,comdat
.Lfunc_end1281:
	.size	_ZN7rocprim17ROCPRIM_400000_NS6detail17trampoline_kernelINS0_14default_configENS1_25transform_config_selectorIlLb0EEEZNS1_14transform_implILb0ES3_S5_NS0_18transform_iteratorINS0_17counting_iteratorImlEEZNS1_24adjacent_difference_implIS3_Lb1ELb0EPlSB_ZN2at6native12_GLOBAL__N_124unique_dim_cuda_templateIN3c104HalfEEESt5tupleIJNSC_6TensorESJ_SJ_EERKSJ_lbbbEUlllE1_EE10hipError_tPvRmT2_T3_mT4_P12ihipStream_tbEUlmE_lEESB_NS0_8identityIvEEEESO_SR_SS_mST_SV_bEUlT_E_NS1_11comp_targetILNS1_3genE5ELNS1_11target_archE942ELNS1_3gpuE9ELNS1_3repE0EEENS1_30default_config_static_selectorELNS0_4arch9wavefront6targetE1EEEvT1_, .Lfunc_end1281-_ZN7rocprim17ROCPRIM_400000_NS6detail17trampoline_kernelINS0_14default_configENS1_25transform_config_selectorIlLb0EEEZNS1_14transform_implILb0ES3_S5_NS0_18transform_iteratorINS0_17counting_iteratorImlEEZNS1_24adjacent_difference_implIS3_Lb1ELb0EPlSB_ZN2at6native12_GLOBAL__N_124unique_dim_cuda_templateIN3c104HalfEEESt5tupleIJNSC_6TensorESJ_SJ_EERKSJ_lbbbEUlllE1_EE10hipError_tPvRmT2_T3_mT4_P12ihipStream_tbEUlmE_lEESB_NS0_8identityIvEEEESO_SR_SS_mST_SV_bEUlT_E_NS1_11comp_targetILNS1_3genE5ELNS1_11target_archE942ELNS1_3gpuE9ELNS1_3repE0EEENS1_30default_config_static_selectorELNS0_4arch9wavefront6targetE1EEEvT1_
                                        ; -- End function
	.set _ZN7rocprim17ROCPRIM_400000_NS6detail17trampoline_kernelINS0_14default_configENS1_25transform_config_selectorIlLb0EEEZNS1_14transform_implILb0ES3_S5_NS0_18transform_iteratorINS0_17counting_iteratorImlEEZNS1_24adjacent_difference_implIS3_Lb1ELb0EPlSB_ZN2at6native12_GLOBAL__N_124unique_dim_cuda_templateIN3c104HalfEEESt5tupleIJNSC_6TensorESJ_SJ_EERKSJ_lbbbEUlllE1_EE10hipError_tPvRmT2_T3_mT4_P12ihipStream_tbEUlmE_lEESB_NS0_8identityIvEEEESO_SR_SS_mST_SV_bEUlT_E_NS1_11comp_targetILNS1_3genE5ELNS1_11target_archE942ELNS1_3gpuE9ELNS1_3repE0EEENS1_30default_config_static_selectorELNS0_4arch9wavefront6targetE1EEEvT1_.num_vgpr, 0
	.set _ZN7rocprim17ROCPRIM_400000_NS6detail17trampoline_kernelINS0_14default_configENS1_25transform_config_selectorIlLb0EEEZNS1_14transform_implILb0ES3_S5_NS0_18transform_iteratorINS0_17counting_iteratorImlEEZNS1_24adjacent_difference_implIS3_Lb1ELb0EPlSB_ZN2at6native12_GLOBAL__N_124unique_dim_cuda_templateIN3c104HalfEEESt5tupleIJNSC_6TensorESJ_SJ_EERKSJ_lbbbEUlllE1_EE10hipError_tPvRmT2_T3_mT4_P12ihipStream_tbEUlmE_lEESB_NS0_8identityIvEEEESO_SR_SS_mST_SV_bEUlT_E_NS1_11comp_targetILNS1_3genE5ELNS1_11target_archE942ELNS1_3gpuE9ELNS1_3repE0EEENS1_30default_config_static_selectorELNS0_4arch9wavefront6targetE1EEEvT1_.num_agpr, 0
	.set _ZN7rocprim17ROCPRIM_400000_NS6detail17trampoline_kernelINS0_14default_configENS1_25transform_config_selectorIlLb0EEEZNS1_14transform_implILb0ES3_S5_NS0_18transform_iteratorINS0_17counting_iteratorImlEEZNS1_24adjacent_difference_implIS3_Lb1ELb0EPlSB_ZN2at6native12_GLOBAL__N_124unique_dim_cuda_templateIN3c104HalfEEESt5tupleIJNSC_6TensorESJ_SJ_EERKSJ_lbbbEUlllE1_EE10hipError_tPvRmT2_T3_mT4_P12ihipStream_tbEUlmE_lEESB_NS0_8identityIvEEEESO_SR_SS_mST_SV_bEUlT_E_NS1_11comp_targetILNS1_3genE5ELNS1_11target_archE942ELNS1_3gpuE9ELNS1_3repE0EEENS1_30default_config_static_selectorELNS0_4arch9wavefront6targetE1EEEvT1_.numbered_sgpr, 0
	.set _ZN7rocprim17ROCPRIM_400000_NS6detail17trampoline_kernelINS0_14default_configENS1_25transform_config_selectorIlLb0EEEZNS1_14transform_implILb0ES3_S5_NS0_18transform_iteratorINS0_17counting_iteratorImlEEZNS1_24adjacent_difference_implIS3_Lb1ELb0EPlSB_ZN2at6native12_GLOBAL__N_124unique_dim_cuda_templateIN3c104HalfEEESt5tupleIJNSC_6TensorESJ_SJ_EERKSJ_lbbbEUlllE1_EE10hipError_tPvRmT2_T3_mT4_P12ihipStream_tbEUlmE_lEESB_NS0_8identityIvEEEESO_SR_SS_mST_SV_bEUlT_E_NS1_11comp_targetILNS1_3genE5ELNS1_11target_archE942ELNS1_3gpuE9ELNS1_3repE0EEENS1_30default_config_static_selectorELNS0_4arch9wavefront6targetE1EEEvT1_.num_named_barrier, 0
	.set _ZN7rocprim17ROCPRIM_400000_NS6detail17trampoline_kernelINS0_14default_configENS1_25transform_config_selectorIlLb0EEEZNS1_14transform_implILb0ES3_S5_NS0_18transform_iteratorINS0_17counting_iteratorImlEEZNS1_24adjacent_difference_implIS3_Lb1ELb0EPlSB_ZN2at6native12_GLOBAL__N_124unique_dim_cuda_templateIN3c104HalfEEESt5tupleIJNSC_6TensorESJ_SJ_EERKSJ_lbbbEUlllE1_EE10hipError_tPvRmT2_T3_mT4_P12ihipStream_tbEUlmE_lEESB_NS0_8identityIvEEEESO_SR_SS_mST_SV_bEUlT_E_NS1_11comp_targetILNS1_3genE5ELNS1_11target_archE942ELNS1_3gpuE9ELNS1_3repE0EEENS1_30default_config_static_selectorELNS0_4arch9wavefront6targetE1EEEvT1_.private_seg_size, 0
	.set _ZN7rocprim17ROCPRIM_400000_NS6detail17trampoline_kernelINS0_14default_configENS1_25transform_config_selectorIlLb0EEEZNS1_14transform_implILb0ES3_S5_NS0_18transform_iteratorINS0_17counting_iteratorImlEEZNS1_24adjacent_difference_implIS3_Lb1ELb0EPlSB_ZN2at6native12_GLOBAL__N_124unique_dim_cuda_templateIN3c104HalfEEESt5tupleIJNSC_6TensorESJ_SJ_EERKSJ_lbbbEUlllE1_EE10hipError_tPvRmT2_T3_mT4_P12ihipStream_tbEUlmE_lEESB_NS0_8identityIvEEEESO_SR_SS_mST_SV_bEUlT_E_NS1_11comp_targetILNS1_3genE5ELNS1_11target_archE942ELNS1_3gpuE9ELNS1_3repE0EEENS1_30default_config_static_selectorELNS0_4arch9wavefront6targetE1EEEvT1_.uses_vcc, 0
	.set _ZN7rocprim17ROCPRIM_400000_NS6detail17trampoline_kernelINS0_14default_configENS1_25transform_config_selectorIlLb0EEEZNS1_14transform_implILb0ES3_S5_NS0_18transform_iteratorINS0_17counting_iteratorImlEEZNS1_24adjacent_difference_implIS3_Lb1ELb0EPlSB_ZN2at6native12_GLOBAL__N_124unique_dim_cuda_templateIN3c104HalfEEESt5tupleIJNSC_6TensorESJ_SJ_EERKSJ_lbbbEUlllE1_EE10hipError_tPvRmT2_T3_mT4_P12ihipStream_tbEUlmE_lEESB_NS0_8identityIvEEEESO_SR_SS_mST_SV_bEUlT_E_NS1_11comp_targetILNS1_3genE5ELNS1_11target_archE942ELNS1_3gpuE9ELNS1_3repE0EEENS1_30default_config_static_selectorELNS0_4arch9wavefront6targetE1EEEvT1_.uses_flat_scratch, 0
	.set _ZN7rocprim17ROCPRIM_400000_NS6detail17trampoline_kernelINS0_14default_configENS1_25transform_config_selectorIlLb0EEEZNS1_14transform_implILb0ES3_S5_NS0_18transform_iteratorINS0_17counting_iteratorImlEEZNS1_24adjacent_difference_implIS3_Lb1ELb0EPlSB_ZN2at6native12_GLOBAL__N_124unique_dim_cuda_templateIN3c104HalfEEESt5tupleIJNSC_6TensorESJ_SJ_EERKSJ_lbbbEUlllE1_EE10hipError_tPvRmT2_T3_mT4_P12ihipStream_tbEUlmE_lEESB_NS0_8identityIvEEEESO_SR_SS_mST_SV_bEUlT_E_NS1_11comp_targetILNS1_3genE5ELNS1_11target_archE942ELNS1_3gpuE9ELNS1_3repE0EEENS1_30default_config_static_selectorELNS0_4arch9wavefront6targetE1EEEvT1_.has_dyn_sized_stack, 0
	.set _ZN7rocprim17ROCPRIM_400000_NS6detail17trampoline_kernelINS0_14default_configENS1_25transform_config_selectorIlLb0EEEZNS1_14transform_implILb0ES3_S5_NS0_18transform_iteratorINS0_17counting_iteratorImlEEZNS1_24adjacent_difference_implIS3_Lb1ELb0EPlSB_ZN2at6native12_GLOBAL__N_124unique_dim_cuda_templateIN3c104HalfEEESt5tupleIJNSC_6TensorESJ_SJ_EERKSJ_lbbbEUlllE1_EE10hipError_tPvRmT2_T3_mT4_P12ihipStream_tbEUlmE_lEESB_NS0_8identityIvEEEESO_SR_SS_mST_SV_bEUlT_E_NS1_11comp_targetILNS1_3genE5ELNS1_11target_archE942ELNS1_3gpuE9ELNS1_3repE0EEENS1_30default_config_static_selectorELNS0_4arch9wavefront6targetE1EEEvT1_.has_recursion, 0
	.set _ZN7rocprim17ROCPRIM_400000_NS6detail17trampoline_kernelINS0_14default_configENS1_25transform_config_selectorIlLb0EEEZNS1_14transform_implILb0ES3_S5_NS0_18transform_iteratorINS0_17counting_iteratorImlEEZNS1_24adjacent_difference_implIS3_Lb1ELb0EPlSB_ZN2at6native12_GLOBAL__N_124unique_dim_cuda_templateIN3c104HalfEEESt5tupleIJNSC_6TensorESJ_SJ_EERKSJ_lbbbEUlllE1_EE10hipError_tPvRmT2_T3_mT4_P12ihipStream_tbEUlmE_lEESB_NS0_8identityIvEEEESO_SR_SS_mST_SV_bEUlT_E_NS1_11comp_targetILNS1_3genE5ELNS1_11target_archE942ELNS1_3gpuE9ELNS1_3repE0EEENS1_30default_config_static_selectorELNS0_4arch9wavefront6targetE1EEEvT1_.has_indirect_call, 0
	.section	.AMDGPU.csdata,"",@progbits
; Kernel info:
; codeLenInByte = 0
; TotalNumSgprs: 6
; NumVgprs: 0
; NumAgprs: 0
; TotalNumVgprs: 0
; ScratchSize: 0
; MemoryBound: 0
; FloatMode: 240
; IeeeMode: 1
; LDSByteSize: 0 bytes/workgroup (compile time only)
; SGPRBlocks: 0
; VGPRBlocks: 0
; NumSGPRsForWavesPerEU: 6
; NumVGPRsForWavesPerEU: 1
; AccumOffset: 4
; Occupancy: 8
; WaveLimiterHint : 0
; COMPUTE_PGM_RSRC2:SCRATCH_EN: 0
; COMPUTE_PGM_RSRC2:USER_SGPR: 2
; COMPUTE_PGM_RSRC2:TRAP_HANDLER: 0
; COMPUTE_PGM_RSRC2:TGID_X_EN: 1
; COMPUTE_PGM_RSRC2:TGID_Y_EN: 0
; COMPUTE_PGM_RSRC2:TGID_Z_EN: 0
; COMPUTE_PGM_RSRC2:TIDIG_COMP_CNT: 0
; COMPUTE_PGM_RSRC3_GFX90A:ACCUM_OFFSET: 0
; COMPUTE_PGM_RSRC3_GFX90A:TG_SPLIT: 0
	.section	.text._ZN7rocprim17ROCPRIM_400000_NS6detail17trampoline_kernelINS0_14default_configENS1_25transform_config_selectorIlLb0EEEZNS1_14transform_implILb0ES3_S5_NS0_18transform_iteratorINS0_17counting_iteratorImlEEZNS1_24adjacent_difference_implIS3_Lb1ELb0EPlSB_ZN2at6native12_GLOBAL__N_124unique_dim_cuda_templateIN3c104HalfEEESt5tupleIJNSC_6TensorESJ_SJ_EERKSJ_lbbbEUlllE1_EE10hipError_tPvRmT2_T3_mT4_P12ihipStream_tbEUlmE_lEESB_NS0_8identityIvEEEESO_SR_SS_mST_SV_bEUlT_E_NS1_11comp_targetILNS1_3genE4ELNS1_11target_archE910ELNS1_3gpuE8ELNS1_3repE0EEENS1_30default_config_static_selectorELNS0_4arch9wavefront6targetE1EEEvT1_,"axG",@progbits,_ZN7rocprim17ROCPRIM_400000_NS6detail17trampoline_kernelINS0_14default_configENS1_25transform_config_selectorIlLb0EEEZNS1_14transform_implILb0ES3_S5_NS0_18transform_iteratorINS0_17counting_iteratorImlEEZNS1_24adjacent_difference_implIS3_Lb1ELb0EPlSB_ZN2at6native12_GLOBAL__N_124unique_dim_cuda_templateIN3c104HalfEEESt5tupleIJNSC_6TensorESJ_SJ_EERKSJ_lbbbEUlllE1_EE10hipError_tPvRmT2_T3_mT4_P12ihipStream_tbEUlmE_lEESB_NS0_8identityIvEEEESO_SR_SS_mST_SV_bEUlT_E_NS1_11comp_targetILNS1_3genE4ELNS1_11target_archE910ELNS1_3gpuE8ELNS1_3repE0EEENS1_30default_config_static_selectorELNS0_4arch9wavefront6targetE1EEEvT1_,comdat
	.globl	_ZN7rocprim17ROCPRIM_400000_NS6detail17trampoline_kernelINS0_14default_configENS1_25transform_config_selectorIlLb0EEEZNS1_14transform_implILb0ES3_S5_NS0_18transform_iteratorINS0_17counting_iteratorImlEEZNS1_24adjacent_difference_implIS3_Lb1ELb0EPlSB_ZN2at6native12_GLOBAL__N_124unique_dim_cuda_templateIN3c104HalfEEESt5tupleIJNSC_6TensorESJ_SJ_EERKSJ_lbbbEUlllE1_EE10hipError_tPvRmT2_T3_mT4_P12ihipStream_tbEUlmE_lEESB_NS0_8identityIvEEEESO_SR_SS_mST_SV_bEUlT_E_NS1_11comp_targetILNS1_3genE4ELNS1_11target_archE910ELNS1_3gpuE8ELNS1_3repE0EEENS1_30default_config_static_selectorELNS0_4arch9wavefront6targetE1EEEvT1_ ; -- Begin function _ZN7rocprim17ROCPRIM_400000_NS6detail17trampoline_kernelINS0_14default_configENS1_25transform_config_selectorIlLb0EEEZNS1_14transform_implILb0ES3_S5_NS0_18transform_iteratorINS0_17counting_iteratorImlEEZNS1_24adjacent_difference_implIS3_Lb1ELb0EPlSB_ZN2at6native12_GLOBAL__N_124unique_dim_cuda_templateIN3c104HalfEEESt5tupleIJNSC_6TensorESJ_SJ_EERKSJ_lbbbEUlllE1_EE10hipError_tPvRmT2_T3_mT4_P12ihipStream_tbEUlmE_lEESB_NS0_8identityIvEEEESO_SR_SS_mST_SV_bEUlT_E_NS1_11comp_targetILNS1_3genE4ELNS1_11target_archE910ELNS1_3gpuE8ELNS1_3repE0EEENS1_30default_config_static_selectorELNS0_4arch9wavefront6targetE1EEEvT1_
	.p2align	8
	.type	_ZN7rocprim17ROCPRIM_400000_NS6detail17trampoline_kernelINS0_14default_configENS1_25transform_config_selectorIlLb0EEEZNS1_14transform_implILb0ES3_S5_NS0_18transform_iteratorINS0_17counting_iteratorImlEEZNS1_24adjacent_difference_implIS3_Lb1ELb0EPlSB_ZN2at6native12_GLOBAL__N_124unique_dim_cuda_templateIN3c104HalfEEESt5tupleIJNSC_6TensorESJ_SJ_EERKSJ_lbbbEUlllE1_EE10hipError_tPvRmT2_T3_mT4_P12ihipStream_tbEUlmE_lEESB_NS0_8identityIvEEEESO_SR_SS_mST_SV_bEUlT_E_NS1_11comp_targetILNS1_3genE4ELNS1_11target_archE910ELNS1_3gpuE8ELNS1_3repE0EEENS1_30default_config_static_selectorELNS0_4arch9wavefront6targetE1EEEvT1_,@function
_ZN7rocprim17ROCPRIM_400000_NS6detail17trampoline_kernelINS0_14default_configENS1_25transform_config_selectorIlLb0EEEZNS1_14transform_implILb0ES3_S5_NS0_18transform_iteratorINS0_17counting_iteratorImlEEZNS1_24adjacent_difference_implIS3_Lb1ELb0EPlSB_ZN2at6native12_GLOBAL__N_124unique_dim_cuda_templateIN3c104HalfEEESt5tupleIJNSC_6TensorESJ_SJ_EERKSJ_lbbbEUlllE1_EE10hipError_tPvRmT2_T3_mT4_P12ihipStream_tbEUlmE_lEESB_NS0_8identityIvEEEESO_SR_SS_mST_SV_bEUlT_E_NS1_11comp_targetILNS1_3genE4ELNS1_11target_archE910ELNS1_3gpuE8ELNS1_3repE0EEENS1_30default_config_static_selectorELNS0_4arch9wavefront6targetE1EEEvT1_: ; @_ZN7rocprim17ROCPRIM_400000_NS6detail17trampoline_kernelINS0_14default_configENS1_25transform_config_selectorIlLb0EEEZNS1_14transform_implILb0ES3_S5_NS0_18transform_iteratorINS0_17counting_iteratorImlEEZNS1_24adjacent_difference_implIS3_Lb1ELb0EPlSB_ZN2at6native12_GLOBAL__N_124unique_dim_cuda_templateIN3c104HalfEEESt5tupleIJNSC_6TensorESJ_SJ_EERKSJ_lbbbEUlllE1_EE10hipError_tPvRmT2_T3_mT4_P12ihipStream_tbEUlmE_lEESB_NS0_8identityIvEEEESO_SR_SS_mST_SV_bEUlT_E_NS1_11comp_targetILNS1_3genE4ELNS1_11target_archE910ELNS1_3gpuE8ELNS1_3repE0EEENS1_30default_config_static_selectorELNS0_4arch9wavefront6targetE1EEEvT1_
; %bb.0:
	.section	.rodata,"a",@progbits
	.p2align	6, 0x0
	.amdhsa_kernel _ZN7rocprim17ROCPRIM_400000_NS6detail17trampoline_kernelINS0_14default_configENS1_25transform_config_selectorIlLb0EEEZNS1_14transform_implILb0ES3_S5_NS0_18transform_iteratorINS0_17counting_iteratorImlEEZNS1_24adjacent_difference_implIS3_Lb1ELb0EPlSB_ZN2at6native12_GLOBAL__N_124unique_dim_cuda_templateIN3c104HalfEEESt5tupleIJNSC_6TensorESJ_SJ_EERKSJ_lbbbEUlllE1_EE10hipError_tPvRmT2_T3_mT4_P12ihipStream_tbEUlmE_lEESB_NS0_8identityIvEEEESO_SR_SS_mST_SV_bEUlT_E_NS1_11comp_targetILNS1_3genE4ELNS1_11target_archE910ELNS1_3gpuE8ELNS1_3repE0EEENS1_30default_config_static_selectorELNS0_4arch9wavefront6targetE1EEEvT1_
		.amdhsa_group_segment_fixed_size 0
		.amdhsa_private_segment_fixed_size 0
		.amdhsa_kernarg_size 56
		.amdhsa_user_sgpr_count 2
		.amdhsa_user_sgpr_dispatch_ptr 0
		.amdhsa_user_sgpr_queue_ptr 0
		.amdhsa_user_sgpr_kernarg_segment_ptr 1
		.amdhsa_user_sgpr_dispatch_id 0
		.amdhsa_user_sgpr_kernarg_preload_length 0
		.amdhsa_user_sgpr_kernarg_preload_offset 0
		.amdhsa_user_sgpr_private_segment_size 0
		.amdhsa_uses_dynamic_stack 0
		.amdhsa_enable_private_segment 0
		.amdhsa_system_sgpr_workgroup_id_x 1
		.amdhsa_system_sgpr_workgroup_id_y 0
		.amdhsa_system_sgpr_workgroup_id_z 0
		.amdhsa_system_sgpr_workgroup_info 0
		.amdhsa_system_vgpr_workitem_id 0
		.amdhsa_next_free_vgpr 1
		.amdhsa_next_free_sgpr 0
		.amdhsa_accum_offset 4
		.amdhsa_reserve_vcc 0
		.amdhsa_float_round_mode_32 0
		.amdhsa_float_round_mode_16_64 0
		.amdhsa_float_denorm_mode_32 3
		.amdhsa_float_denorm_mode_16_64 3
		.amdhsa_dx10_clamp 1
		.amdhsa_ieee_mode 1
		.amdhsa_fp16_overflow 0
		.amdhsa_tg_split 0
		.amdhsa_exception_fp_ieee_invalid_op 0
		.amdhsa_exception_fp_denorm_src 0
		.amdhsa_exception_fp_ieee_div_zero 0
		.amdhsa_exception_fp_ieee_overflow 0
		.amdhsa_exception_fp_ieee_underflow 0
		.amdhsa_exception_fp_ieee_inexact 0
		.amdhsa_exception_int_div_zero 0
	.end_amdhsa_kernel
	.section	.text._ZN7rocprim17ROCPRIM_400000_NS6detail17trampoline_kernelINS0_14default_configENS1_25transform_config_selectorIlLb0EEEZNS1_14transform_implILb0ES3_S5_NS0_18transform_iteratorINS0_17counting_iteratorImlEEZNS1_24adjacent_difference_implIS3_Lb1ELb0EPlSB_ZN2at6native12_GLOBAL__N_124unique_dim_cuda_templateIN3c104HalfEEESt5tupleIJNSC_6TensorESJ_SJ_EERKSJ_lbbbEUlllE1_EE10hipError_tPvRmT2_T3_mT4_P12ihipStream_tbEUlmE_lEESB_NS0_8identityIvEEEESO_SR_SS_mST_SV_bEUlT_E_NS1_11comp_targetILNS1_3genE4ELNS1_11target_archE910ELNS1_3gpuE8ELNS1_3repE0EEENS1_30default_config_static_selectorELNS0_4arch9wavefront6targetE1EEEvT1_,"axG",@progbits,_ZN7rocprim17ROCPRIM_400000_NS6detail17trampoline_kernelINS0_14default_configENS1_25transform_config_selectorIlLb0EEEZNS1_14transform_implILb0ES3_S5_NS0_18transform_iteratorINS0_17counting_iteratorImlEEZNS1_24adjacent_difference_implIS3_Lb1ELb0EPlSB_ZN2at6native12_GLOBAL__N_124unique_dim_cuda_templateIN3c104HalfEEESt5tupleIJNSC_6TensorESJ_SJ_EERKSJ_lbbbEUlllE1_EE10hipError_tPvRmT2_T3_mT4_P12ihipStream_tbEUlmE_lEESB_NS0_8identityIvEEEESO_SR_SS_mST_SV_bEUlT_E_NS1_11comp_targetILNS1_3genE4ELNS1_11target_archE910ELNS1_3gpuE8ELNS1_3repE0EEENS1_30default_config_static_selectorELNS0_4arch9wavefront6targetE1EEEvT1_,comdat
.Lfunc_end1282:
	.size	_ZN7rocprim17ROCPRIM_400000_NS6detail17trampoline_kernelINS0_14default_configENS1_25transform_config_selectorIlLb0EEEZNS1_14transform_implILb0ES3_S5_NS0_18transform_iteratorINS0_17counting_iteratorImlEEZNS1_24adjacent_difference_implIS3_Lb1ELb0EPlSB_ZN2at6native12_GLOBAL__N_124unique_dim_cuda_templateIN3c104HalfEEESt5tupleIJNSC_6TensorESJ_SJ_EERKSJ_lbbbEUlllE1_EE10hipError_tPvRmT2_T3_mT4_P12ihipStream_tbEUlmE_lEESB_NS0_8identityIvEEEESO_SR_SS_mST_SV_bEUlT_E_NS1_11comp_targetILNS1_3genE4ELNS1_11target_archE910ELNS1_3gpuE8ELNS1_3repE0EEENS1_30default_config_static_selectorELNS0_4arch9wavefront6targetE1EEEvT1_, .Lfunc_end1282-_ZN7rocprim17ROCPRIM_400000_NS6detail17trampoline_kernelINS0_14default_configENS1_25transform_config_selectorIlLb0EEEZNS1_14transform_implILb0ES3_S5_NS0_18transform_iteratorINS0_17counting_iteratorImlEEZNS1_24adjacent_difference_implIS3_Lb1ELb0EPlSB_ZN2at6native12_GLOBAL__N_124unique_dim_cuda_templateIN3c104HalfEEESt5tupleIJNSC_6TensorESJ_SJ_EERKSJ_lbbbEUlllE1_EE10hipError_tPvRmT2_T3_mT4_P12ihipStream_tbEUlmE_lEESB_NS0_8identityIvEEEESO_SR_SS_mST_SV_bEUlT_E_NS1_11comp_targetILNS1_3genE4ELNS1_11target_archE910ELNS1_3gpuE8ELNS1_3repE0EEENS1_30default_config_static_selectorELNS0_4arch9wavefront6targetE1EEEvT1_
                                        ; -- End function
	.set _ZN7rocprim17ROCPRIM_400000_NS6detail17trampoline_kernelINS0_14default_configENS1_25transform_config_selectorIlLb0EEEZNS1_14transform_implILb0ES3_S5_NS0_18transform_iteratorINS0_17counting_iteratorImlEEZNS1_24adjacent_difference_implIS3_Lb1ELb0EPlSB_ZN2at6native12_GLOBAL__N_124unique_dim_cuda_templateIN3c104HalfEEESt5tupleIJNSC_6TensorESJ_SJ_EERKSJ_lbbbEUlllE1_EE10hipError_tPvRmT2_T3_mT4_P12ihipStream_tbEUlmE_lEESB_NS0_8identityIvEEEESO_SR_SS_mST_SV_bEUlT_E_NS1_11comp_targetILNS1_3genE4ELNS1_11target_archE910ELNS1_3gpuE8ELNS1_3repE0EEENS1_30default_config_static_selectorELNS0_4arch9wavefront6targetE1EEEvT1_.num_vgpr, 0
	.set _ZN7rocprim17ROCPRIM_400000_NS6detail17trampoline_kernelINS0_14default_configENS1_25transform_config_selectorIlLb0EEEZNS1_14transform_implILb0ES3_S5_NS0_18transform_iteratorINS0_17counting_iteratorImlEEZNS1_24adjacent_difference_implIS3_Lb1ELb0EPlSB_ZN2at6native12_GLOBAL__N_124unique_dim_cuda_templateIN3c104HalfEEESt5tupleIJNSC_6TensorESJ_SJ_EERKSJ_lbbbEUlllE1_EE10hipError_tPvRmT2_T3_mT4_P12ihipStream_tbEUlmE_lEESB_NS0_8identityIvEEEESO_SR_SS_mST_SV_bEUlT_E_NS1_11comp_targetILNS1_3genE4ELNS1_11target_archE910ELNS1_3gpuE8ELNS1_3repE0EEENS1_30default_config_static_selectorELNS0_4arch9wavefront6targetE1EEEvT1_.num_agpr, 0
	.set _ZN7rocprim17ROCPRIM_400000_NS6detail17trampoline_kernelINS0_14default_configENS1_25transform_config_selectorIlLb0EEEZNS1_14transform_implILb0ES3_S5_NS0_18transform_iteratorINS0_17counting_iteratorImlEEZNS1_24adjacent_difference_implIS3_Lb1ELb0EPlSB_ZN2at6native12_GLOBAL__N_124unique_dim_cuda_templateIN3c104HalfEEESt5tupleIJNSC_6TensorESJ_SJ_EERKSJ_lbbbEUlllE1_EE10hipError_tPvRmT2_T3_mT4_P12ihipStream_tbEUlmE_lEESB_NS0_8identityIvEEEESO_SR_SS_mST_SV_bEUlT_E_NS1_11comp_targetILNS1_3genE4ELNS1_11target_archE910ELNS1_3gpuE8ELNS1_3repE0EEENS1_30default_config_static_selectorELNS0_4arch9wavefront6targetE1EEEvT1_.numbered_sgpr, 0
	.set _ZN7rocprim17ROCPRIM_400000_NS6detail17trampoline_kernelINS0_14default_configENS1_25transform_config_selectorIlLb0EEEZNS1_14transform_implILb0ES3_S5_NS0_18transform_iteratorINS0_17counting_iteratorImlEEZNS1_24adjacent_difference_implIS3_Lb1ELb0EPlSB_ZN2at6native12_GLOBAL__N_124unique_dim_cuda_templateIN3c104HalfEEESt5tupleIJNSC_6TensorESJ_SJ_EERKSJ_lbbbEUlllE1_EE10hipError_tPvRmT2_T3_mT4_P12ihipStream_tbEUlmE_lEESB_NS0_8identityIvEEEESO_SR_SS_mST_SV_bEUlT_E_NS1_11comp_targetILNS1_3genE4ELNS1_11target_archE910ELNS1_3gpuE8ELNS1_3repE0EEENS1_30default_config_static_selectorELNS0_4arch9wavefront6targetE1EEEvT1_.num_named_barrier, 0
	.set _ZN7rocprim17ROCPRIM_400000_NS6detail17trampoline_kernelINS0_14default_configENS1_25transform_config_selectorIlLb0EEEZNS1_14transform_implILb0ES3_S5_NS0_18transform_iteratorINS0_17counting_iteratorImlEEZNS1_24adjacent_difference_implIS3_Lb1ELb0EPlSB_ZN2at6native12_GLOBAL__N_124unique_dim_cuda_templateIN3c104HalfEEESt5tupleIJNSC_6TensorESJ_SJ_EERKSJ_lbbbEUlllE1_EE10hipError_tPvRmT2_T3_mT4_P12ihipStream_tbEUlmE_lEESB_NS0_8identityIvEEEESO_SR_SS_mST_SV_bEUlT_E_NS1_11comp_targetILNS1_3genE4ELNS1_11target_archE910ELNS1_3gpuE8ELNS1_3repE0EEENS1_30default_config_static_selectorELNS0_4arch9wavefront6targetE1EEEvT1_.private_seg_size, 0
	.set _ZN7rocprim17ROCPRIM_400000_NS6detail17trampoline_kernelINS0_14default_configENS1_25transform_config_selectorIlLb0EEEZNS1_14transform_implILb0ES3_S5_NS0_18transform_iteratorINS0_17counting_iteratorImlEEZNS1_24adjacent_difference_implIS3_Lb1ELb0EPlSB_ZN2at6native12_GLOBAL__N_124unique_dim_cuda_templateIN3c104HalfEEESt5tupleIJNSC_6TensorESJ_SJ_EERKSJ_lbbbEUlllE1_EE10hipError_tPvRmT2_T3_mT4_P12ihipStream_tbEUlmE_lEESB_NS0_8identityIvEEEESO_SR_SS_mST_SV_bEUlT_E_NS1_11comp_targetILNS1_3genE4ELNS1_11target_archE910ELNS1_3gpuE8ELNS1_3repE0EEENS1_30default_config_static_selectorELNS0_4arch9wavefront6targetE1EEEvT1_.uses_vcc, 0
	.set _ZN7rocprim17ROCPRIM_400000_NS6detail17trampoline_kernelINS0_14default_configENS1_25transform_config_selectorIlLb0EEEZNS1_14transform_implILb0ES3_S5_NS0_18transform_iteratorINS0_17counting_iteratorImlEEZNS1_24adjacent_difference_implIS3_Lb1ELb0EPlSB_ZN2at6native12_GLOBAL__N_124unique_dim_cuda_templateIN3c104HalfEEESt5tupleIJNSC_6TensorESJ_SJ_EERKSJ_lbbbEUlllE1_EE10hipError_tPvRmT2_T3_mT4_P12ihipStream_tbEUlmE_lEESB_NS0_8identityIvEEEESO_SR_SS_mST_SV_bEUlT_E_NS1_11comp_targetILNS1_3genE4ELNS1_11target_archE910ELNS1_3gpuE8ELNS1_3repE0EEENS1_30default_config_static_selectorELNS0_4arch9wavefront6targetE1EEEvT1_.uses_flat_scratch, 0
	.set _ZN7rocprim17ROCPRIM_400000_NS6detail17trampoline_kernelINS0_14default_configENS1_25transform_config_selectorIlLb0EEEZNS1_14transform_implILb0ES3_S5_NS0_18transform_iteratorINS0_17counting_iteratorImlEEZNS1_24adjacent_difference_implIS3_Lb1ELb0EPlSB_ZN2at6native12_GLOBAL__N_124unique_dim_cuda_templateIN3c104HalfEEESt5tupleIJNSC_6TensorESJ_SJ_EERKSJ_lbbbEUlllE1_EE10hipError_tPvRmT2_T3_mT4_P12ihipStream_tbEUlmE_lEESB_NS0_8identityIvEEEESO_SR_SS_mST_SV_bEUlT_E_NS1_11comp_targetILNS1_3genE4ELNS1_11target_archE910ELNS1_3gpuE8ELNS1_3repE0EEENS1_30default_config_static_selectorELNS0_4arch9wavefront6targetE1EEEvT1_.has_dyn_sized_stack, 0
	.set _ZN7rocprim17ROCPRIM_400000_NS6detail17trampoline_kernelINS0_14default_configENS1_25transform_config_selectorIlLb0EEEZNS1_14transform_implILb0ES3_S5_NS0_18transform_iteratorINS0_17counting_iteratorImlEEZNS1_24adjacent_difference_implIS3_Lb1ELb0EPlSB_ZN2at6native12_GLOBAL__N_124unique_dim_cuda_templateIN3c104HalfEEESt5tupleIJNSC_6TensorESJ_SJ_EERKSJ_lbbbEUlllE1_EE10hipError_tPvRmT2_T3_mT4_P12ihipStream_tbEUlmE_lEESB_NS0_8identityIvEEEESO_SR_SS_mST_SV_bEUlT_E_NS1_11comp_targetILNS1_3genE4ELNS1_11target_archE910ELNS1_3gpuE8ELNS1_3repE0EEENS1_30default_config_static_selectorELNS0_4arch9wavefront6targetE1EEEvT1_.has_recursion, 0
	.set _ZN7rocprim17ROCPRIM_400000_NS6detail17trampoline_kernelINS0_14default_configENS1_25transform_config_selectorIlLb0EEEZNS1_14transform_implILb0ES3_S5_NS0_18transform_iteratorINS0_17counting_iteratorImlEEZNS1_24adjacent_difference_implIS3_Lb1ELb0EPlSB_ZN2at6native12_GLOBAL__N_124unique_dim_cuda_templateIN3c104HalfEEESt5tupleIJNSC_6TensorESJ_SJ_EERKSJ_lbbbEUlllE1_EE10hipError_tPvRmT2_T3_mT4_P12ihipStream_tbEUlmE_lEESB_NS0_8identityIvEEEESO_SR_SS_mST_SV_bEUlT_E_NS1_11comp_targetILNS1_3genE4ELNS1_11target_archE910ELNS1_3gpuE8ELNS1_3repE0EEENS1_30default_config_static_selectorELNS0_4arch9wavefront6targetE1EEEvT1_.has_indirect_call, 0
	.section	.AMDGPU.csdata,"",@progbits
; Kernel info:
; codeLenInByte = 0
; TotalNumSgprs: 6
; NumVgprs: 0
; NumAgprs: 0
; TotalNumVgprs: 0
; ScratchSize: 0
; MemoryBound: 0
; FloatMode: 240
; IeeeMode: 1
; LDSByteSize: 0 bytes/workgroup (compile time only)
; SGPRBlocks: 0
; VGPRBlocks: 0
; NumSGPRsForWavesPerEU: 6
; NumVGPRsForWavesPerEU: 1
; AccumOffset: 4
; Occupancy: 8
; WaveLimiterHint : 0
; COMPUTE_PGM_RSRC2:SCRATCH_EN: 0
; COMPUTE_PGM_RSRC2:USER_SGPR: 2
; COMPUTE_PGM_RSRC2:TRAP_HANDLER: 0
; COMPUTE_PGM_RSRC2:TGID_X_EN: 1
; COMPUTE_PGM_RSRC2:TGID_Y_EN: 0
; COMPUTE_PGM_RSRC2:TGID_Z_EN: 0
; COMPUTE_PGM_RSRC2:TIDIG_COMP_CNT: 0
; COMPUTE_PGM_RSRC3_GFX90A:ACCUM_OFFSET: 0
; COMPUTE_PGM_RSRC3_GFX90A:TG_SPLIT: 0
	.section	.text._ZN7rocprim17ROCPRIM_400000_NS6detail17trampoline_kernelINS0_14default_configENS1_25transform_config_selectorIlLb0EEEZNS1_14transform_implILb0ES3_S5_NS0_18transform_iteratorINS0_17counting_iteratorImlEEZNS1_24adjacent_difference_implIS3_Lb1ELb0EPlSB_ZN2at6native12_GLOBAL__N_124unique_dim_cuda_templateIN3c104HalfEEESt5tupleIJNSC_6TensorESJ_SJ_EERKSJ_lbbbEUlllE1_EE10hipError_tPvRmT2_T3_mT4_P12ihipStream_tbEUlmE_lEESB_NS0_8identityIvEEEESO_SR_SS_mST_SV_bEUlT_E_NS1_11comp_targetILNS1_3genE3ELNS1_11target_archE908ELNS1_3gpuE7ELNS1_3repE0EEENS1_30default_config_static_selectorELNS0_4arch9wavefront6targetE1EEEvT1_,"axG",@progbits,_ZN7rocprim17ROCPRIM_400000_NS6detail17trampoline_kernelINS0_14default_configENS1_25transform_config_selectorIlLb0EEEZNS1_14transform_implILb0ES3_S5_NS0_18transform_iteratorINS0_17counting_iteratorImlEEZNS1_24adjacent_difference_implIS3_Lb1ELb0EPlSB_ZN2at6native12_GLOBAL__N_124unique_dim_cuda_templateIN3c104HalfEEESt5tupleIJNSC_6TensorESJ_SJ_EERKSJ_lbbbEUlllE1_EE10hipError_tPvRmT2_T3_mT4_P12ihipStream_tbEUlmE_lEESB_NS0_8identityIvEEEESO_SR_SS_mST_SV_bEUlT_E_NS1_11comp_targetILNS1_3genE3ELNS1_11target_archE908ELNS1_3gpuE7ELNS1_3repE0EEENS1_30default_config_static_selectorELNS0_4arch9wavefront6targetE1EEEvT1_,comdat
	.globl	_ZN7rocprim17ROCPRIM_400000_NS6detail17trampoline_kernelINS0_14default_configENS1_25transform_config_selectorIlLb0EEEZNS1_14transform_implILb0ES3_S5_NS0_18transform_iteratorINS0_17counting_iteratorImlEEZNS1_24adjacent_difference_implIS3_Lb1ELb0EPlSB_ZN2at6native12_GLOBAL__N_124unique_dim_cuda_templateIN3c104HalfEEESt5tupleIJNSC_6TensorESJ_SJ_EERKSJ_lbbbEUlllE1_EE10hipError_tPvRmT2_T3_mT4_P12ihipStream_tbEUlmE_lEESB_NS0_8identityIvEEEESO_SR_SS_mST_SV_bEUlT_E_NS1_11comp_targetILNS1_3genE3ELNS1_11target_archE908ELNS1_3gpuE7ELNS1_3repE0EEENS1_30default_config_static_selectorELNS0_4arch9wavefront6targetE1EEEvT1_ ; -- Begin function _ZN7rocprim17ROCPRIM_400000_NS6detail17trampoline_kernelINS0_14default_configENS1_25transform_config_selectorIlLb0EEEZNS1_14transform_implILb0ES3_S5_NS0_18transform_iteratorINS0_17counting_iteratorImlEEZNS1_24adjacent_difference_implIS3_Lb1ELb0EPlSB_ZN2at6native12_GLOBAL__N_124unique_dim_cuda_templateIN3c104HalfEEESt5tupleIJNSC_6TensorESJ_SJ_EERKSJ_lbbbEUlllE1_EE10hipError_tPvRmT2_T3_mT4_P12ihipStream_tbEUlmE_lEESB_NS0_8identityIvEEEESO_SR_SS_mST_SV_bEUlT_E_NS1_11comp_targetILNS1_3genE3ELNS1_11target_archE908ELNS1_3gpuE7ELNS1_3repE0EEENS1_30default_config_static_selectorELNS0_4arch9wavefront6targetE1EEEvT1_
	.p2align	8
	.type	_ZN7rocprim17ROCPRIM_400000_NS6detail17trampoline_kernelINS0_14default_configENS1_25transform_config_selectorIlLb0EEEZNS1_14transform_implILb0ES3_S5_NS0_18transform_iteratorINS0_17counting_iteratorImlEEZNS1_24adjacent_difference_implIS3_Lb1ELb0EPlSB_ZN2at6native12_GLOBAL__N_124unique_dim_cuda_templateIN3c104HalfEEESt5tupleIJNSC_6TensorESJ_SJ_EERKSJ_lbbbEUlllE1_EE10hipError_tPvRmT2_T3_mT4_P12ihipStream_tbEUlmE_lEESB_NS0_8identityIvEEEESO_SR_SS_mST_SV_bEUlT_E_NS1_11comp_targetILNS1_3genE3ELNS1_11target_archE908ELNS1_3gpuE7ELNS1_3repE0EEENS1_30default_config_static_selectorELNS0_4arch9wavefront6targetE1EEEvT1_,@function
_ZN7rocprim17ROCPRIM_400000_NS6detail17trampoline_kernelINS0_14default_configENS1_25transform_config_selectorIlLb0EEEZNS1_14transform_implILb0ES3_S5_NS0_18transform_iteratorINS0_17counting_iteratorImlEEZNS1_24adjacent_difference_implIS3_Lb1ELb0EPlSB_ZN2at6native12_GLOBAL__N_124unique_dim_cuda_templateIN3c104HalfEEESt5tupleIJNSC_6TensorESJ_SJ_EERKSJ_lbbbEUlllE1_EE10hipError_tPvRmT2_T3_mT4_P12ihipStream_tbEUlmE_lEESB_NS0_8identityIvEEEESO_SR_SS_mST_SV_bEUlT_E_NS1_11comp_targetILNS1_3genE3ELNS1_11target_archE908ELNS1_3gpuE7ELNS1_3repE0EEENS1_30default_config_static_selectorELNS0_4arch9wavefront6targetE1EEEvT1_: ; @_ZN7rocprim17ROCPRIM_400000_NS6detail17trampoline_kernelINS0_14default_configENS1_25transform_config_selectorIlLb0EEEZNS1_14transform_implILb0ES3_S5_NS0_18transform_iteratorINS0_17counting_iteratorImlEEZNS1_24adjacent_difference_implIS3_Lb1ELb0EPlSB_ZN2at6native12_GLOBAL__N_124unique_dim_cuda_templateIN3c104HalfEEESt5tupleIJNSC_6TensorESJ_SJ_EERKSJ_lbbbEUlllE1_EE10hipError_tPvRmT2_T3_mT4_P12ihipStream_tbEUlmE_lEESB_NS0_8identityIvEEEESO_SR_SS_mST_SV_bEUlT_E_NS1_11comp_targetILNS1_3genE3ELNS1_11target_archE908ELNS1_3gpuE7ELNS1_3repE0EEENS1_30default_config_static_selectorELNS0_4arch9wavefront6targetE1EEEvT1_
; %bb.0:
	.section	.rodata,"a",@progbits
	.p2align	6, 0x0
	.amdhsa_kernel _ZN7rocprim17ROCPRIM_400000_NS6detail17trampoline_kernelINS0_14default_configENS1_25transform_config_selectorIlLb0EEEZNS1_14transform_implILb0ES3_S5_NS0_18transform_iteratorINS0_17counting_iteratorImlEEZNS1_24adjacent_difference_implIS3_Lb1ELb0EPlSB_ZN2at6native12_GLOBAL__N_124unique_dim_cuda_templateIN3c104HalfEEESt5tupleIJNSC_6TensorESJ_SJ_EERKSJ_lbbbEUlllE1_EE10hipError_tPvRmT2_T3_mT4_P12ihipStream_tbEUlmE_lEESB_NS0_8identityIvEEEESO_SR_SS_mST_SV_bEUlT_E_NS1_11comp_targetILNS1_3genE3ELNS1_11target_archE908ELNS1_3gpuE7ELNS1_3repE0EEENS1_30default_config_static_selectorELNS0_4arch9wavefront6targetE1EEEvT1_
		.amdhsa_group_segment_fixed_size 0
		.amdhsa_private_segment_fixed_size 0
		.amdhsa_kernarg_size 56
		.amdhsa_user_sgpr_count 2
		.amdhsa_user_sgpr_dispatch_ptr 0
		.amdhsa_user_sgpr_queue_ptr 0
		.amdhsa_user_sgpr_kernarg_segment_ptr 1
		.amdhsa_user_sgpr_dispatch_id 0
		.amdhsa_user_sgpr_kernarg_preload_length 0
		.amdhsa_user_sgpr_kernarg_preload_offset 0
		.amdhsa_user_sgpr_private_segment_size 0
		.amdhsa_uses_dynamic_stack 0
		.amdhsa_enable_private_segment 0
		.amdhsa_system_sgpr_workgroup_id_x 1
		.amdhsa_system_sgpr_workgroup_id_y 0
		.amdhsa_system_sgpr_workgroup_id_z 0
		.amdhsa_system_sgpr_workgroup_info 0
		.amdhsa_system_vgpr_workitem_id 0
		.amdhsa_next_free_vgpr 1
		.amdhsa_next_free_sgpr 0
		.amdhsa_accum_offset 4
		.amdhsa_reserve_vcc 0
		.amdhsa_float_round_mode_32 0
		.amdhsa_float_round_mode_16_64 0
		.amdhsa_float_denorm_mode_32 3
		.amdhsa_float_denorm_mode_16_64 3
		.amdhsa_dx10_clamp 1
		.amdhsa_ieee_mode 1
		.amdhsa_fp16_overflow 0
		.amdhsa_tg_split 0
		.amdhsa_exception_fp_ieee_invalid_op 0
		.amdhsa_exception_fp_denorm_src 0
		.amdhsa_exception_fp_ieee_div_zero 0
		.amdhsa_exception_fp_ieee_overflow 0
		.amdhsa_exception_fp_ieee_underflow 0
		.amdhsa_exception_fp_ieee_inexact 0
		.amdhsa_exception_int_div_zero 0
	.end_amdhsa_kernel
	.section	.text._ZN7rocprim17ROCPRIM_400000_NS6detail17trampoline_kernelINS0_14default_configENS1_25transform_config_selectorIlLb0EEEZNS1_14transform_implILb0ES3_S5_NS0_18transform_iteratorINS0_17counting_iteratorImlEEZNS1_24adjacent_difference_implIS3_Lb1ELb0EPlSB_ZN2at6native12_GLOBAL__N_124unique_dim_cuda_templateIN3c104HalfEEESt5tupleIJNSC_6TensorESJ_SJ_EERKSJ_lbbbEUlllE1_EE10hipError_tPvRmT2_T3_mT4_P12ihipStream_tbEUlmE_lEESB_NS0_8identityIvEEEESO_SR_SS_mST_SV_bEUlT_E_NS1_11comp_targetILNS1_3genE3ELNS1_11target_archE908ELNS1_3gpuE7ELNS1_3repE0EEENS1_30default_config_static_selectorELNS0_4arch9wavefront6targetE1EEEvT1_,"axG",@progbits,_ZN7rocprim17ROCPRIM_400000_NS6detail17trampoline_kernelINS0_14default_configENS1_25transform_config_selectorIlLb0EEEZNS1_14transform_implILb0ES3_S5_NS0_18transform_iteratorINS0_17counting_iteratorImlEEZNS1_24adjacent_difference_implIS3_Lb1ELb0EPlSB_ZN2at6native12_GLOBAL__N_124unique_dim_cuda_templateIN3c104HalfEEESt5tupleIJNSC_6TensorESJ_SJ_EERKSJ_lbbbEUlllE1_EE10hipError_tPvRmT2_T3_mT4_P12ihipStream_tbEUlmE_lEESB_NS0_8identityIvEEEESO_SR_SS_mST_SV_bEUlT_E_NS1_11comp_targetILNS1_3genE3ELNS1_11target_archE908ELNS1_3gpuE7ELNS1_3repE0EEENS1_30default_config_static_selectorELNS0_4arch9wavefront6targetE1EEEvT1_,comdat
.Lfunc_end1283:
	.size	_ZN7rocprim17ROCPRIM_400000_NS6detail17trampoline_kernelINS0_14default_configENS1_25transform_config_selectorIlLb0EEEZNS1_14transform_implILb0ES3_S5_NS0_18transform_iteratorINS0_17counting_iteratorImlEEZNS1_24adjacent_difference_implIS3_Lb1ELb0EPlSB_ZN2at6native12_GLOBAL__N_124unique_dim_cuda_templateIN3c104HalfEEESt5tupleIJNSC_6TensorESJ_SJ_EERKSJ_lbbbEUlllE1_EE10hipError_tPvRmT2_T3_mT4_P12ihipStream_tbEUlmE_lEESB_NS0_8identityIvEEEESO_SR_SS_mST_SV_bEUlT_E_NS1_11comp_targetILNS1_3genE3ELNS1_11target_archE908ELNS1_3gpuE7ELNS1_3repE0EEENS1_30default_config_static_selectorELNS0_4arch9wavefront6targetE1EEEvT1_, .Lfunc_end1283-_ZN7rocprim17ROCPRIM_400000_NS6detail17trampoline_kernelINS0_14default_configENS1_25transform_config_selectorIlLb0EEEZNS1_14transform_implILb0ES3_S5_NS0_18transform_iteratorINS0_17counting_iteratorImlEEZNS1_24adjacent_difference_implIS3_Lb1ELb0EPlSB_ZN2at6native12_GLOBAL__N_124unique_dim_cuda_templateIN3c104HalfEEESt5tupleIJNSC_6TensorESJ_SJ_EERKSJ_lbbbEUlllE1_EE10hipError_tPvRmT2_T3_mT4_P12ihipStream_tbEUlmE_lEESB_NS0_8identityIvEEEESO_SR_SS_mST_SV_bEUlT_E_NS1_11comp_targetILNS1_3genE3ELNS1_11target_archE908ELNS1_3gpuE7ELNS1_3repE0EEENS1_30default_config_static_selectorELNS0_4arch9wavefront6targetE1EEEvT1_
                                        ; -- End function
	.set _ZN7rocprim17ROCPRIM_400000_NS6detail17trampoline_kernelINS0_14default_configENS1_25transform_config_selectorIlLb0EEEZNS1_14transform_implILb0ES3_S5_NS0_18transform_iteratorINS0_17counting_iteratorImlEEZNS1_24adjacent_difference_implIS3_Lb1ELb0EPlSB_ZN2at6native12_GLOBAL__N_124unique_dim_cuda_templateIN3c104HalfEEESt5tupleIJNSC_6TensorESJ_SJ_EERKSJ_lbbbEUlllE1_EE10hipError_tPvRmT2_T3_mT4_P12ihipStream_tbEUlmE_lEESB_NS0_8identityIvEEEESO_SR_SS_mST_SV_bEUlT_E_NS1_11comp_targetILNS1_3genE3ELNS1_11target_archE908ELNS1_3gpuE7ELNS1_3repE0EEENS1_30default_config_static_selectorELNS0_4arch9wavefront6targetE1EEEvT1_.num_vgpr, 0
	.set _ZN7rocprim17ROCPRIM_400000_NS6detail17trampoline_kernelINS0_14default_configENS1_25transform_config_selectorIlLb0EEEZNS1_14transform_implILb0ES3_S5_NS0_18transform_iteratorINS0_17counting_iteratorImlEEZNS1_24adjacent_difference_implIS3_Lb1ELb0EPlSB_ZN2at6native12_GLOBAL__N_124unique_dim_cuda_templateIN3c104HalfEEESt5tupleIJNSC_6TensorESJ_SJ_EERKSJ_lbbbEUlllE1_EE10hipError_tPvRmT2_T3_mT4_P12ihipStream_tbEUlmE_lEESB_NS0_8identityIvEEEESO_SR_SS_mST_SV_bEUlT_E_NS1_11comp_targetILNS1_3genE3ELNS1_11target_archE908ELNS1_3gpuE7ELNS1_3repE0EEENS1_30default_config_static_selectorELNS0_4arch9wavefront6targetE1EEEvT1_.num_agpr, 0
	.set _ZN7rocprim17ROCPRIM_400000_NS6detail17trampoline_kernelINS0_14default_configENS1_25transform_config_selectorIlLb0EEEZNS1_14transform_implILb0ES3_S5_NS0_18transform_iteratorINS0_17counting_iteratorImlEEZNS1_24adjacent_difference_implIS3_Lb1ELb0EPlSB_ZN2at6native12_GLOBAL__N_124unique_dim_cuda_templateIN3c104HalfEEESt5tupleIJNSC_6TensorESJ_SJ_EERKSJ_lbbbEUlllE1_EE10hipError_tPvRmT2_T3_mT4_P12ihipStream_tbEUlmE_lEESB_NS0_8identityIvEEEESO_SR_SS_mST_SV_bEUlT_E_NS1_11comp_targetILNS1_3genE3ELNS1_11target_archE908ELNS1_3gpuE7ELNS1_3repE0EEENS1_30default_config_static_selectorELNS0_4arch9wavefront6targetE1EEEvT1_.numbered_sgpr, 0
	.set _ZN7rocprim17ROCPRIM_400000_NS6detail17trampoline_kernelINS0_14default_configENS1_25transform_config_selectorIlLb0EEEZNS1_14transform_implILb0ES3_S5_NS0_18transform_iteratorINS0_17counting_iteratorImlEEZNS1_24adjacent_difference_implIS3_Lb1ELb0EPlSB_ZN2at6native12_GLOBAL__N_124unique_dim_cuda_templateIN3c104HalfEEESt5tupleIJNSC_6TensorESJ_SJ_EERKSJ_lbbbEUlllE1_EE10hipError_tPvRmT2_T3_mT4_P12ihipStream_tbEUlmE_lEESB_NS0_8identityIvEEEESO_SR_SS_mST_SV_bEUlT_E_NS1_11comp_targetILNS1_3genE3ELNS1_11target_archE908ELNS1_3gpuE7ELNS1_3repE0EEENS1_30default_config_static_selectorELNS0_4arch9wavefront6targetE1EEEvT1_.num_named_barrier, 0
	.set _ZN7rocprim17ROCPRIM_400000_NS6detail17trampoline_kernelINS0_14default_configENS1_25transform_config_selectorIlLb0EEEZNS1_14transform_implILb0ES3_S5_NS0_18transform_iteratorINS0_17counting_iteratorImlEEZNS1_24adjacent_difference_implIS3_Lb1ELb0EPlSB_ZN2at6native12_GLOBAL__N_124unique_dim_cuda_templateIN3c104HalfEEESt5tupleIJNSC_6TensorESJ_SJ_EERKSJ_lbbbEUlllE1_EE10hipError_tPvRmT2_T3_mT4_P12ihipStream_tbEUlmE_lEESB_NS0_8identityIvEEEESO_SR_SS_mST_SV_bEUlT_E_NS1_11comp_targetILNS1_3genE3ELNS1_11target_archE908ELNS1_3gpuE7ELNS1_3repE0EEENS1_30default_config_static_selectorELNS0_4arch9wavefront6targetE1EEEvT1_.private_seg_size, 0
	.set _ZN7rocprim17ROCPRIM_400000_NS6detail17trampoline_kernelINS0_14default_configENS1_25transform_config_selectorIlLb0EEEZNS1_14transform_implILb0ES3_S5_NS0_18transform_iteratorINS0_17counting_iteratorImlEEZNS1_24adjacent_difference_implIS3_Lb1ELb0EPlSB_ZN2at6native12_GLOBAL__N_124unique_dim_cuda_templateIN3c104HalfEEESt5tupleIJNSC_6TensorESJ_SJ_EERKSJ_lbbbEUlllE1_EE10hipError_tPvRmT2_T3_mT4_P12ihipStream_tbEUlmE_lEESB_NS0_8identityIvEEEESO_SR_SS_mST_SV_bEUlT_E_NS1_11comp_targetILNS1_3genE3ELNS1_11target_archE908ELNS1_3gpuE7ELNS1_3repE0EEENS1_30default_config_static_selectorELNS0_4arch9wavefront6targetE1EEEvT1_.uses_vcc, 0
	.set _ZN7rocprim17ROCPRIM_400000_NS6detail17trampoline_kernelINS0_14default_configENS1_25transform_config_selectorIlLb0EEEZNS1_14transform_implILb0ES3_S5_NS0_18transform_iteratorINS0_17counting_iteratorImlEEZNS1_24adjacent_difference_implIS3_Lb1ELb0EPlSB_ZN2at6native12_GLOBAL__N_124unique_dim_cuda_templateIN3c104HalfEEESt5tupleIJNSC_6TensorESJ_SJ_EERKSJ_lbbbEUlllE1_EE10hipError_tPvRmT2_T3_mT4_P12ihipStream_tbEUlmE_lEESB_NS0_8identityIvEEEESO_SR_SS_mST_SV_bEUlT_E_NS1_11comp_targetILNS1_3genE3ELNS1_11target_archE908ELNS1_3gpuE7ELNS1_3repE0EEENS1_30default_config_static_selectorELNS0_4arch9wavefront6targetE1EEEvT1_.uses_flat_scratch, 0
	.set _ZN7rocprim17ROCPRIM_400000_NS6detail17trampoline_kernelINS0_14default_configENS1_25transform_config_selectorIlLb0EEEZNS1_14transform_implILb0ES3_S5_NS0_18transform_iteratorINS0_17counting_iteratorImlEEZNS1_24adjacent_difference_implIS3_Lb1ELb0EPlSB_ZN2at6native12_GLOBAL__N_124unique_dim_cuda_templateIN3c104HalfEEESt5tupleIJNSC_6TensorESJ_SJ_EERKSJ_lbbbEUlllE1_EE10hipError_tPvRmT2_T3_mT4_P12ihipStream_tbEUlmE_lEESB_NS0_8identityIvEEEESO_SR_SS_mST_SV_bEUlT_E_NS1_11comp_targetILNS1_3genE3ELNS1_11target_archE908ELNS1_3gpuE7ELNS1_3repE0EEENS1_30default_config_static_selectorELNS0_4arch9wavefront6targetE1EEEvT1_.has_dyn_sized_stack, 0
	.set _ZN7rocprim17ROCPRIM_400000_NS6detail17trampoline_kernelINS0_14default_configENS1_25transform_config_selectorIlLb0EEEZNS1_14transform_implILb0ES3_S5_NS0_18transform_iteratorINS0_17counting_iteratorImlEEZNS1_24adjacent_difference_implIS3_Lb1ELb0EPlSB_ZN2at6native12_GLOBAL__N_124unique_dim_cuda_templateIN3c104HalfEEESt5tupleIJNSC_6TensorESJ_SJ_EERKSJ_lbbbEUlllE1_EE10hipError_tPvRmT2_T3_mT4_P12ihipStream_tbEUlmE_lEESB_NS0_8identityIvEEEESO_SR_SS_mST_SV_bEUlT_E_NS1_11comp_targetILNS1_3genE3ELNS1_11target_archE908ELNS1_3gpuE7ELNS1_3repE0EEENS1_30default_config_static_selectorELNS0_4arch9wavefront6targetE1EEEvT1_.has_recursion, 0
	.set _ZN7rocprim17ROCPRIM_400000_NS6detail17trampoline_kernelINS0_14default_configENS1_25transform_config_selectorIlLb0EEEZNS1_14transform_implILb0ES3_S5_NS0_18transform_iteratorINS0_17counting_iteratorImlEEZNS1_24adjacent_difference_implIS3_Lb1ELb0EPlSB_ZN2at6native12_GLOBAL__N_124unique_dim_cuda_templateIN3c104HalfEEESt5tupleIJNSC_6TensorESJ_SJ_EERKSJ_lbbbEUlllE1_EE10hipError_tPvRmT2_T3_mT4_P12ihipStream_tbEUlmE_lEESB_NS0_8identityIvEEEESO_SR_SS_mST_SV_bEUlT_E_NS1_11comp_targetILNS1_3genE3ELNS1_11target_archE908ELNS1_3gpuE7ELNS1_3repE0EEENS1_30default_config_static_selectorELNS0_4arch9wavefront6targetE1EEEvT1_.has_indirect_call, 0
	.section	.AMDGPU.csdata,"",@progbits
; Kernel info:
; codeLenInByte = 0
; TotalNumSgprs: 6
; NumVgprs: 0
; NumAgprs: 0
; TotalNumVgprs: 0
; ScratchSize: 0
; MemoryBound: 0
; FloatMode: 240
; IeeeMode: 1
; LDSByteSize: 0 bytes/workgroup (compile time only)
; SGPRBlocks: 0
; VGPRBlocks: 0
; NumSGPRsForWavesPerEU: 6
; NumVGPRsForWavesPerEU: 1
; AccumOffset: 4
; Occupancy: 8
; WaveLimiterHint : 0
; COMPUTE_PGM_RSRC2:SCRATCH_EN: 0
; COMPUTE_PGM_RSRC2:USER_SGPR: 2
; COMPUTE_PGM_RSRC2:TRAP_HANDLER: 0
; COMPUTE_PGM_RSRC2:TGID_X_EN: 1
; COMPUTE_PGM_RSRC2:TGID_Y_EN: 0
; COMPUTE_PGM_RSRC2:TGID_Z_EN: 0
; COMPUTE_PGM_RSRC2:TIDIG_COMP_CNT: 0
; COMPUTE_PGM_RSRC3_GFX90A:ACCUM_OFFSET: 0
; COMPUTE_PGM_RSRC3_GFX90A:TG_SPLIT: 0
	.section	.text._ZN7rocprim17ROCPRIM_400000_NS6detail17trampoline_kernelINS0_14default_configENS1_25transform_config_selectorIlLb0EEEZNS1_14transform_implILb0ES3_S5_NS0_18transform_iteratorINS0_17counting_iteratorImlEEZNS1_24adjacent_difference_implIS3_Lb1ELb0EPlSB_ZN2at6native12_GLOBAL__N_124unique_dim_cuda_templateIN3c104HalfEEESt5tupleIJNSC_6TensorESJ_SJ_EERKSJ_lbbbEUlllE1_EE10hipError_tPvRmT2_T3_mT4_P12ihipStream_tbEUlmE_lEESB_NS0_8identityIvEEEESO_SR_SS_mST_SV_bEUlT_E_NS1_11comp_targetILNS1_3genE2ELNS1_11target_archE906ELNS1_3gpuE6ELNS1_3repE0EEENS1_30default_config_static_selectorELNS0_4arch9wavefront6targetE1EEEvT1_,"axG",@progbits,_ZN7rocprim17ROCPRIM_400000_NS6detail17trampoline_kernelINS0_14default_configENS1_25transform_config_selectorIlLb0EEEZNS1_14transform_implILb0ES3_S5_NS0_18transform_iteratorINS0_17counting_iteratorImlEEZNS1_24adjacent_difference_implIS3_Lb1ELb0EPlSB_ZN2at6native12_GLOBAL__N_124unique_dim_cuda_templateIN3c104HalfEEESt5tupleIJNSC_6TensorESJ_SJ_EERKSJ_lbbbEUlllE1_EE10hipError_tPvRmT2_T3_mT4_P12ihipStream_tbEUlmE_lEESB_NS0_8identityIvEEEESO_SR_SS_mST_SV_bEUlT_E_NS1_11comp_targetILNS1_3genE2ELNS1_11target_archE906ELNS1_3gpuE6ELNS1_3repE0EEENS1_30default_config_static_selectorELNS0_4arch9wavefront6targetE1EEEvT1_,comdat
	.globl	_ZN7rocprim17ROCPRIM_400000_NS6detail17trampoline_kernelINS0_14default_configENS1_25transform_config_selectorIlLb0EEEZNS1_14transform_implILb0ES3_S5_NS0_18transform_iteratorINS0_17counting_iteratorImlEEZNS1_24adjacent_difference_implIS3_Lb1ELb0EPlSB_ZN2at6native12_GLOBAL__N_124unique_dim_cuda_templateIN3c104HalfEEESt5tupleIJNSC_6TensorESJ_SJ_EERKSJ_lbbbEUlllE1_EE10hipError_tPvRmT2_T3_mT4_P12ihipStream_tbEUlmE_lEESB_NS0_8identityIvEEEESO_SR_SS_mST_SV_bEUlT_E_NS1_11comp_targetILNS1_3genE2ELNS1_11target_archE906ELNS1_3gpuE6ELNS1_3repE0EEENS1_30default_config_static_selectorELNS0_4arch9wavefront6targetE1EEEvT1_ ; -- Begin function _ZN7rocprim17ROCPRIM_400000_NS6detail17trampoline_kernelINS0_14default_configENS1_25transform_config_selectorIlLb0EEEZNS1_14transform_implILb0ES3_S5_NS0_18transform_iteratorINS0_17counting_iteratorImlEEZNS1_24adjacent_difference_implIS3_Lb1ELb0EPlSB_ZN2at6native12_GLOBAL__N_124unique_dim_cuda_templateIN3c104HalfEEESt5tupleIJNSC_6TensorESJ_SJ_EERKSJ_lbbbEUlllE1_EE10hipError_tPvRmT2_T3_mT4_P12ihipStream_tbEUlmE_lEESB_NS0_8identityIvEEEESO_SR_SS_mST_SV_bEUlT_E_NS1_11comp_targetILNS1_3genE2ELNS1_11target_archE906ELNS1_3gpuE6ELNS1_3repE0EEENS1_30default_config_static_selectorELNS0_4arch9wavefront6targetE1EEEvT1_
	.p2align	8
	.type	_ZN7rocprim17ROCPRIM_400000_NS6detail17trampoline_kernelINS0_14default_configENS1_25transform_config_selectorIlLb0EEEZNS1_14transform_implILb0ES3_S5_NS0_18transform_iteratorINS0_17counting_iteratorImlEEZNS1_24adjacent_difference_implIS3_Lb1ELb0EPlSB_ZN2at6native12_GLOBAL__N_124unique_dim_cuda_templateIN3c104HalfEEESt5tupleIJNSC_6TensorESJ_SJ_EERKSJ_lbbbEUlllE1_EE10hipError_tPvRmT2_T3_mT4_P12ihipStream_tbEUlmE_lEESB_NS0_8identityIvEEEESO_SR_SS_mST_SV_bEUlT_E_NS1_11comp_targetILNS1_3genE2ELNS1_11target_archE906ELNS1_3gpuE6ELNS1_3repE0EEENS1_30default_config_static_selectorELNS0_4arch9wavefront6targetE1EEEvT1_,@function
_ZN7rocprim17ROCPRIM_400000_NS6detail17trampoline_kernelINS0_14default_configENS1_25transform_config_selectorIlLb0EEEZNS1_14transform_implILb0ES3_S5_NS0_18transform_iteratorINS0_17counting_iteratorImlEEZNS1_24adjacent_difference_implIS3_Lb1ELb0EPlSB_ZN2at6native12_GLOBAL__N_124unique_dim_cuda_templateIN3c104HalfEEESt5tupleIJNSC_6TensorESJ_SJ_EERKSJ_lbbbEUlllE1_EE10hipError_tPvRmT2_T3_mT4_P12ihipStream_tbEUlmE_lEESB_NS0_8identityIvEEEESO_SR_SS_mST_SV_bEUlT_E_NS1_11comp_targetILNS1_3genE2ELNS1_11target_archE906ELNS1_3gpuE6ELNS1_3repE0EEENS1_30default_config_static_selectorELNS0_4arch9wavefront6targetE1EEEvT1_: ; @_ZN7rocprim17ROCPRIM_400000_NS6detail17trampoline_kernelINS0_14default_configENS1_25transform_config_selectorIlLb0EEEZNS1_14transform_implILb0ES3_S5_NS0_18transform_iteratorINS0_17counting_iteratorImlEEZNS1_24adjacent_difference_implIS3_Lb1ELb0EPlSB_ZN2at6native12_GLOBAL__N_124unique_dim_cuda_templateIN3c104HalfEEESt5tupleIJNSC_6TensorESJ_SJ_EERKSJ_lbbbEUlllE1_EE10hipError_tPvRmT2_T3_mT4_P12ihipStream_tbEUlmE_lEESB_NS0_8identityIvEEEESO_SR_SS_mST_SV_bEUlT_E_NS1_11comp_targetILNS1_3genE2ELNS1_11target_archE906ELNS1_3gpuE6ELNS1_3repE0EEENS1_30default_config_static_selectorELNS0_4arch9wavefront6targetE1EEEvT1_
; %bb.0:
	.section	.rodata,"a",@progbits
	.p2align	6, 0x0
	.amdhsa_kernel _ZN7rocprim17ROCPRIM_400000_NS6detail17trampoline_kernelINS0_14default_configENS1_25transform_config_selectorIlLb0EEEZNS1_14transform_implILb0ES3_S5_NS0_18transform_iteratorINS0_17counting_iteratorImlEEZNS1_24adjacent_difference_implIS3_Lb1ELb0EPlSB_ZN2at6native12_GLOBAL__N_124unique_dim_cuda_templateIN3c104HalfEEESt5tupleIJNSC_6TensorESJ_SJ_EERKSJ_lbbbEUlllE1_EE10hipError_tPvRmT2_T3_mT4_P12ihipStream_tbEUlmE_lEESB_NS0_8identityIvEEEESO_SR_SS_mST_SV_bEUlT_E_NS1_11comp_targetILNS1_3genE2ELNS1_11target_archE906ELNS1_3gpuE6ELNS1_3repE0EEENS1_30default_config_static_selectorELNS0_4arch9wavefront6targetE1EEEvT1_
		.amdhsa_group_segment_fixed_size 0
		.amdhsa_private_segment_fixed_size 0
		.amdhsa_kernarg_size 56
		.amdhsa_user_sgpr_count 2
		.amdhsa_user_sgpr_dispatch_ptr 0
		.amdhsa_user_sgpr_queue_ptr 0
		.amdhsa_user_sgpr_kernarg_segment_ptr 1
		.amdhsa_user_sgpr_dispatch_id 0
		.amdhsa_user_sgpr_kernarg_preload_length 0
		.amdhsa_user_sgpr_kernarg_preload_offset 0
		.amdhsa_user_sgpr_private_segment_size 0
		.amdhsa_uses_dynamic_stack 0
		.amdhsa_enable_private_segment 0
		.amdhsa_system_sgpr_workgroup_id_x 1
		.amdhsa_system_sgpr_workgroup_id_y 0
		.amdhsa_system_sgpr_workgroup_id_z 0
		.amdhsa_system_sgpr_workgroup_info 0
		.amdhsa_system_vgpr_workitem_id 0
		.amdhsa_next_free_vgpr 1
		.amdhsa_next_free_sgpr 0
		.amdhsa_accum_offset 4
		.amdhsa_reserve_vcc 0
		.amdhsa_float_round_mode_32 0
		.amdhsa_float_round_mode_16_64 0
		.amdhsa_float_denorm_mode_32 3
		.amdhsa_float_denorm_mode_16_64 3
		.amdhsa_dx10_clamp 1
		.amdhsa_ieee_mode 1
		.amdhsa_fp16_overflow 0
		.amdhsa_tg_split 0
		.amdhsa_exception_fp_ieee_invalid_op 0
		.amdhsa_exception_fp_denorm_src 0
		.amdhsa_exception_fp_ieee_div_zero 0
		.amdhsa_exception_fp_ieee_overflow 0
		.amdhsa_exception_fp_ieee_underflow 0
		.amdhsa_exception_fp_ieee_inexact 0
		.amdhsa_exception_int_div_zero 0
	.end_amdhsa_kernel
	.section	.text._ZN7rocprim17ROCPRIM_400000_NS6detail17trampoline_kernelINS0_14default_configENS1_25transform_config_selectorIlLb0EEEZNS1_14transform_implILb0ES3_S5_NS0_18transform_iteratorINS0_17counting_iteratorImlEEZNS1_24adjacent_difference_implIS3_Lb1ELb0EPlSB_ZN2at6native12_GLOBAL__N_124unique_dim_cuda_templateIN3c104HalfEEESt5tupleIJNSC_6TensorESJ_SJ_EERKSJ_lbbbEUlllE1_EE10hipError_tPvRmT2_T3_mT4_P12ihipStream_tbEUlmE_lEESB_NS0_8identityIvEEEESO_SR_SS_mST_SV_bEUlT_E_NS1_11comp_targetILNS1_3genE2ELNS1_11target_archE906ELNS1_3gpuE6ELNS1_3repE0EEENS1_30default_config_static_selectorELNS0_4arch9wavefront6targetE1EEEvT1_,"axG",@progbits,_ZN7rocprim17ROCPRIM_400000_NS6detail17trampoline_kernelINS0_14default_configENS1_25transform_config_selectorIlLb0EEEZNS1_14transform_implILb0ES3_S5_NS0_18transform_iteratorINS0_17counting_iteratorImlEEZNS1_24adjacent_difference_implIS3_Lb1ELb0EPlSB_ZN2at6native12_GLOBAL__N_124unique_dim_cuda_templateIN3c104HalfEEESt5tupleIJNSC_6TensorESJ_SJ_EERKSJ_lbbbEUlllE1_EE10hipError_tPvRmT2_T3_mT4_P12ihipStream_tbEUlmE_lEESB_NS0_8identityIvEEEESO_SR_SS_mST_SV_bEUlT_E_NS1_11comp_targetILNS1_3genE2ELNS1_11target_archE906ELNS1_3gpuE6ELNS1_3repE0EEENS1_30default_config_static_selectorELNS0_4arch9wavefront6targetE1EEEvT1_,comdat
.Lfunc_end1284:
	.size	_ZN7rocprim17ROCPRIM_400000_NS6detail17trampoline_kernelINS0_14default_configENS1_25transform_config_selectorIlLb0EEEZNS1_14transform_implILb0ES3_S5_NS0_18transform_iteratorINS0_17counting_iteratorImlEEZNS1_24adjacent_difference_implIS3_Lb1ELb0EPlSB_ZN2at6native12_GLOBAL__N_124unique_dim_cuda_templateIN3c104HalfEEESt5tupleIJNSC_6TensorESJ_SJ_EERKSJ_lbbbEUlllE1_EE10hipError_tPvRmT2_T3_mT4_P12ihipStream_tbEUlmE_lEESB_NS0_8identityIvEEEESO_SR_SS_mST_SV_bEUlT_E_NS1_11comp_targetILNS1_3genE2ELNS1_11target_archE906ELNS1_3gpuE6ELNS1_3repE0EEENS1_30default_config_static_selectorELNS0_4arch9wavefront6targetE1EEEvT1_, .Lfunc_end1284-_ZN7rocprim17ROCPRIM_400000_NS6detail17trampoline_kernelINS0_14default_configENS1_25transform_config_selectorIlLb0EEEZNS1_14transform_implILb0ES3_S5_NS0_18transform_iteratorINS0_17counting_iteratorImlEEZNS1_24adjacent_difference_implIS3_Lb1ELb0EPlSB_ZN2at6native12_GLOBAL__N_124unique_dim_cuda_templateIN3c104HalfEEESt5tupleIJNSC_6TensorESJ_SJ_EERKSJ_lbbbEUlllE1_EE10hipError_tPvRmT2_T3_mT4_P12ihipStream_tbEUlmE_lEESB_NS0_8identityIvEEEESO_SR_SS_mST_SV_bEUlT_E_NS1_11comp_targetILNS1_3genE2ELNS1_11target_archE906ELNS1_3gpuE6ELNS1_3repE0EEENS1_30default_config_static_selectorELNS0_4arch9wavefront6targetE1EEEvT1_
                                        ; -- End function
	.set _ZN7rocprim17ROCPRIM_400000_NS6detail17trampoline_kernelINS0_14default_configENS1_25transform_config_selectorIlLb0EEEZNS1_14transform_implILb0ES3_S5_NS0_18transform_iteratorINS0_17counting_iteratorImlEEZNS1_24adjacent_difference_implIS3_Lb1ELb0EPlSB_ZN2at6native12_GLOBAL__N_124unique_dim_cuda_templateIN3c104HalfEEESt5tupleIJNSC_6TensorESJ_SJ_EERKSJ_lbbbEUlllE1_EE10hipError_tPvRmT2_T3_mT4_P12ihipStream_tbEUlmE_lEESB_NS0_8identityIvEEEESO_SR_SS_mST_SV_bEUlT_E_NS1_11comp_targetILNS1_3genE2ELNS1_11target_archE906ELNS1_3gpuE6ELNS1_3repE0EEENS1_30default_config_static_selectorELNS0_4arch9wavefront6targetE1EEEvT1_.num_vgpr, 0
	.set _ZN7rocprim17ROCPRIM_400000_NS6detail17trampoline_kernelINS0_14default_configENS1_25transform_config_selectorIlLb0EEEZNS1_14transform_implILb0ES3_S5_NS0_18transform_iteratorINS0_17counting_iteratorImlEEZNS1_24adjacent_difference_implIS3_Lb1ELb0EPlSB_ZN2at6native12_GLOBAL__N_124unique_dim_cuda_templateIN3c104HalfEEESt5tupleIJNSC_6TensorESJ_SJ_EERKSJ_lbbbEUlllE1_EE10hipError_tPvRmT2_T3_mT4_P12ihipStream_tbEUlmE_lEESB_NS0_8identityIvEEEESO_SR_SS_mST_SV_bEUlT_E_NS1_11comp_targetILNS1_3genE2ELNS1_11target_archE906ELNS1_3gpuE6ELNS1_3repE0EEENS1_30default_config_static_selectorELNS0_4arch9wavefront6targetE1EEEvT1_.num_agpr, 0
	.set _ZN7rocprim17ROCPRIM_400000_NS6detail17trampoline_kernelINS0_14default_configENS1_25transform_config_selectorIlLb0EEEZNS1_14transform_implILb0ES3_S5_NS0_18transform_iteratorINS0_17counting_iteratorImlEEZNS1_24adjacent_difference_implIS3_Lb1ELb0EPlSB_ZN2at6native12_GLOBAL__N_124unique_dim_cuda_templateIN3c104HalfEEESt5tupleIJNSC_6TensorESJ_SJ_EERKSJ_lbbbEUlllE1_EE10hipError_tPvRmT2_T3_mT4_P12ihipStream_tbEUlmE_lEESB_NS0_8identityIvEEEESO_SR_SS_mST_SV_bEUlT_E_NS1_11comp_targetILNS1_3genE2ELNS1_11target_archE906ELNS1_3gpuE6ELNS1_3repE0EEENS1_30default_config_static_selectorELNS0_4arch9wavefront6targetE1EEEvT1_.numbered_sgpr, 0
	.set _ZN7rocprim17ROCPRIM_400000_NS6detail17trampoline_kernelINS0_14default_configENS1_25transform_config_selectorIlLb0EEEZNS1_14transform_implILb0ES3_S5_NS0_18transform_iteratorINS0_17counting_iteratorImlEEZNS1_24adjacent_difference_implIS3_Lb1ELb0EPlSB_ZN2at6native12_GLOBAL__N_124unique_dim_cuda_templateIN3c104HalfEEESt5tupleIJNSC_6TensorESJ_SJ_EERKSJ_lbbbEUlllE1_EE10hipError_tPvRmT2_T3_mT4_P12ihipStream_tbEUlmE_lEESB_NS0_8identityIvEEEESO_SR_SS_mST_SV_bEUlT_E_NS1_11comp_targetILNS1_3genE2ELNS1_11target_archE906ELNS1_3gpuE6ELNS1_3repE0EEENS1_30default_config_static_selectorELNS0_4arch9wavefront6targetE1EEEvT1_.num_named_barrier, 0
	.set _ZN7rocprim17ROCPRIM_400000_NS6detail17trampoline_kernelINS0_14default_configENS1_25transform_config_selectorIlLb0EEEZNS1_14transform_implILb0ES3_S5_NS0_18transform_iteratorINS0_17counting_iteratorImlEEZNS1_24adjacent_difference_implIS3_Lb1ELb0EPlSB_ZN2at6native12_GLOBAL__N_124unique_dim_cuda_templateIN3c104HalfEEESt5tupleIJNSC_6TensorESJ_SJ_EERKSJ_lbbbEUlllE1_EE10hipError_tPvRmT2_T3_mT4_P12ihipStream_tbEUlmE_lEESB_NS0_8identityIvEEEESO_SR_SS_mST_SV_bEUlT_E_NS1_11comp_targetILNS1_3genE2ELNS1_11target_archE906ELNS1_3gpuE6ELNS1_3repE0EEENS1_30default_config_static_selectorELNS0_4arch9wavefront6targetE1EEEvT1_.private_seg_size, 0
	.set _ZN7rocprim17ROCPRIM_400000_NS6detail17trampoline_kernelINS0_14default_configENS1_25transform_config_selectorIlLb0EEEZNS1_14transform_implILb0ES3_S5_NS0_18transform_iteratorINS0_17counting_iteratorImlEEZNS1_24adjacent_difference_implIS3_Lb1ELb0EPlSB_ZN2at6native12_GLOBAL__N_124unique_dim_cuda_templateIN3c104HalfEEESt5tupleIJNSC_6TensorESJ_SJ_EERKSJ_lbbbEUlllE1_EE10hipError_tPvRmT2_T3_mT4_P12ihipStream_tbEUlmE_lEESB_NS0_8identityIvEEEESO_SR_SS_mST_SV_bEUlT_E_NS1_11comp_targetILNS1_3genE2ELNS1_11target_archE906ELNS1_3gpuE6ELNS1_3repE0EEENS1_30default_config_static_selectorELNS0_4arch9wavefront6targetE1EEEvT1_.uses_vcc, 0
	.set _ZN7rocprim17ROCPRIM_400000_NS6detail17trampoline_kernelINS0_14default_configENS1_25transform_config_selectorIlLb0EEEZNS1_14transform_implILb0ES3_S5_NS0_18transform_iteratorINS0_17counting_iteratorImlEEZNS1_24adjacent_difference_implIS3_Lb1ELb0EPlSB_ZN2at6native12_GLOBAL__N_124unique_dim_cuda_templateIN3c104HalfEEESt5tupleIJNSC_6TensorESJ_SJ_EERKSJ_lbbbEUlllE1_EE10hipError_tPvRmT2_T3_mT4_P12ihipStream_tbEUlmE_lEESB_NS0_8identityIvEEEESO_SR_SS_mST_SV_bEUlT_E_NS1_11comp_targetILNS1_3genE2ELNS1_11target_archE906ELNS1_3gpuE6ELNS1_3repE0EEENS1_30default_config_static_selectorELNS0_4arch9wavefront6targetE1EEEvT1_.uses_flat_scratch, 0
	.set _ZN7rocprim17ROCPRIM_400000_NS6detail17trampoline_kernelINS0_14default_configENS1_25transform_config_selectorIlLb0EEEZNS1_14transform_implILb0ES3_S5_NS0_18transform_iteratorINS0_17counting_iteratorImlEEZNS1_24adjacent_difference_implIS3_Lb1ELb0EPlSB_ZN2at6native12_GLOBAL__N_124unique_dim_cuda_templateIN3c104HalfEEESt5tupleIJNSC_6TensorESJ_SJ_EERKSJ_lbbbEUlllE1_EE10hipError_tPvRmT2_T3_mT4_P12ihipStream_tbEUlmE_lEESB_NS0_8identityIvEEEESO_SR_SS_mST_SV_bEUlT_E_NS1_11comp_targetILNS1_3genE2ELNS1_11target_archE906ELNS1_3gpuE6ELNS1_3repE0EEENS1_30default_config_static_selectorELNS0_4arch9wavefront6targetE1EEEvT1_.has_dyn_sized_stack, 0
	.set _ZN7rocprim17ROCPRIM_400000_NS6detail17trampoline_kernelINS0_14default_configENS1_25transform_config_selectorIlLb0EEEZNS1_14transform_implILb0ES3_S5_NS0_18transform_iteratorINS0_17counting_iteratorImlEEZNS1_24adjacent_difference_implIS3_Lb1ELb0EPlSB_ZN2at6native12_GLOBAL__N_124unique_dim_cuda_templateIN3c104HalfEEESt5tupleIJNSC_6TensorESJ_SJ_EERKSJ_lbbbEUlllE1_EE10hipError_tPvRmT2_T3_mT4_P12ihipStream_tbEUlmE_lEESB_NS0_8identityIvEEEESO_SR_SS_mST_SV_bEUlT_E_NS1_11comp_targetILNS1_3genE2ELNS1_11target_archE906ELNS1_3gpuE6ELNS1_3repE0EEENS1_30default_config_static_selectorELNS0_4arch9wavefront6targetE1EEEvT1_.has_recursion, 0
	.set _ZN7rocprim17ROCPRIM_400000_NS6detail17trampoline_kernelINS0_14default_configENS1_25transform_config_selectorIlLb0EEEZNS1_14transform_implILb0ES3_S5_NS0_18transform_iteratorINS0_17counting_iteratorImlEEZNS1_24adjacent_difference_implIS3_Lb1ELb0EPlSB_ZN2at6native12_GLOBAL__N_124unique_dim_cuda_templateIN3c104HalfEEESt5tupleIJNSC_6TensorESJ_SJ_EERKSJ_lbbbEUlllE1_EE10hipError_tPvRmT2_T3_mT4_P12ihipStream_tbEUlmE_lEESB_NS0_8identityIvEEEESO_SR_SS_mST_SV_bEUlT_E_NS1_11comp_targetILNS1_3genE2ELNS1_11target_archE906ELNS1_3gpuE6ELNS1_3repE0EEENS1_30default_config_static_selectorELNS0_4arch9wavefront6targetE1EEEvT1_.has_indirect_call, 0
	.section	.AMDGPU.csdata,"",@progbits
; Kernel info:
; codeLenInByte = 0
; TotalNumSgprs: 6
; NumVgprs: 0
; NumAgprs: 0
; TotalNumVgprs: 0
; ScratchSize: 0
; MemoryBound: 0
; FloatMode: 240
; IeeeMode: 1
; LDSByteSize: 0 bytes/workgroup (compile time only)
; SGPRBlocks: 0
; VGPRBlocks: 0
; NumSGPRsForWavesPerEU: 6
; NumVGPRsForWavesPerEU: 1
; AccumOffset: 4
; Occupancy: 8
; WaveLimiterHint : 0
; COMPUTE_PGM_RSRC2:SCRATCH_EN: 0
; COMPUTE_PGM_RSRC2:USER_SGPR: 2
; COMPUTE_PGM_RSRC2:TRAP_HANDLER: 0
; COMPUTE_PGM_RSRC2:TGID_X_EN: 1
; COMPUTE_PGM_RSRC2:TGID_Y_EN: 0
; COMPUTE_PGM_RSRC2:TGID_Z_EN: 0
; COMPUTE_PGM_RSRC2:TIDIG_COMP_CNT: 0
; COMPUTE_PGM_RSRC3_GFX90A:ACCUM_OFFSET: 0
; COMPUTE_PGM_RSRC3_GFX90A:TG_SPLIT: 0
	.section	.text._ZN7rocprim17ROCPRIM_400000_NS6detail17trampoline_kernelINS0_14default_configENS1_25transform_config_selectorIlLb0EEEZNS1_14transform_implILb0ES3_S5_NS0_18transform_iteratorINS0_17counting_iteratorImlEEZNS1_24adjacent_difference_implIS3_Lb1ELb0EPlSB_ZN2at6native12_GLOBAL__N_124unique_dim_cuda_templateIN3c104HalfEEESt5tupleIJNSC_6TensorESJ_SJ_EERKSJ_lbbbEUlllE1_EE10hipError_tPvRmT2_T3_mT4_P12ihipStream_tbEUlmE_lEESB_NS0_8identityIvEEEESO_SR_SS_mST_SV_bEUlT_E_NS1_11comp_targetILNS1_3genE10ELNS1_11target_archE1201ELNS1_3gpuE5ELNS1_3repE0EEENS1_30default_config_static_selectorELNS0_4arch9wavefront6targetE1EEEvT1_,"axG",@progbits,_ZN7rocprim17ROCPRIM_400000_NS6detail17trampoline_kernelINS0_14default_configENS1_25transform_config_selectorIlLb0EEEZNS1_14transform_implILb0ES3_S5_NS0_18transform_iteratorINS0_17counting_iteratorImlEEZNS1_24adjacent_difference_implIS3_Lb1ELb0EPlSB_ZN2at6native12_GLOBAL__N_124unique_dim_cuda_templateIN3c104HalfEEESt5tupleIJNSC_6TensorESJ_SJ_EERKSJ_lbbbEUlllE1_EE10hipError_tPvRmT2_T3_mT4_P12ihipStream_tbEUlmE_lEESB_NS0_8identityIvEEEESO_SR_SS_mST_SV_bEUlT_E_NS1_11comp_targetILNS1_3genE10ELNS1_11target_archE1201ELNS1_3gpuE5ELNS1_3repE0EEENS1_30default_config_static_selectorELNS0_4arch9wavefront6targetE1EEEvT1_,comdat
	.globl	_ZN7rocprim17ROCPRIM_400000_NS6detail17trampoline_kernelINS0_14default_configENS1_25transform_config_selectorIlLb0EEEZNS1_14transform_implILb0ES3_S5_NS0_18transform_iteratorINS0_17counting_iteratorImlEEZNS1_24adjacent_difference_implIS3_Lb1ELb0EPlSB_ZN2at6native12_GLOBAL__N_124unique_dim_cuda_templateIN3c104HalfEEESt5tupleIJNSC_6TensorESJ_SJ_EERKSJ_lbbbEUlllE1_EE10hipError_tPvRmT2_T3_mT4_P12ihipStream_tbEUlmE_lEESB_NS0_8identityIvEEEESO_SR_SS_mST_SV_bEUlT_E_NS1_11comp_targetILNS1_3genE10ELNS1_11target_archE1201ELNS1_3gpuE5ELNS1_3repE0EEENS1_30default_config_static_selectorELNS0_4arch9wavefront6targetE1EEEvT1_ ; -- Begin function _ZN7rocprim17ROCPRIM_400000_NS6detail17trampoline_kernelINS0_14default_configENS1_25transform_config_selectorIlLb0EEEZNS1_14transform_implILb0ES3_S5_NS0_18transform_iteratorINS0_17counting_iteratorImlEEZNS1_24adjacent_difference_implIS3_Lb1ELb0EPlSB_ZN2at6native12_GLOBAL__N_124unique_dim_cuda_templateIN3c104HalfEEESt5tupleIJNSC_6TensorESJ_SJ_EERKSJ_lbbbEUlllE1_EE10hipError_tPvRmT2_T3_mT4_P12ihipStream_tbEUlmE_lEESB_NS0_8identityIvEEEESO_SR_SS_mST_SV_bEUlT_E_NS1_11comp_targetILNS1_3genE10ELNS1_11target_archE1201ELNS1_3gpuE5ELNS1_3repE0EEENS1_30default_config_static_selectorELNS0_4arch9wavefront6targetE1EEEvT1_
	.p2align	8
	.type	_ZN7rocprim17ROCPRIM_400000_NS6detail17trampoline_kernelINS0_14default_configENS1_25transform_config_selectorIlLb0EEEZNS1_14transform_implILb0ES3_S5_NS0_18transform_iteratorINS0_17counting_iteratorImlEEZNS1_24adjacent_difference_implIS3_Lb1ELb0EPlSB_ZN2at6native12_GLOBAL__N_124unique_dim_cuda_templateIN3c104HalfEEESt5tupleIJNSC_6TensorESJ_SJ_EERKSJ_lbbbEUlllE1_EE10hipError_tPvRmT2_T3_mT4_P12ihipStream_tbEUlmE_lEESB_NS0_8identityIvEEEESO_SR_SS_mST_SV_bEUlT_E_NS1_11comp_targetILNS1_3genE10ELNS1_11target_archE1201ELNS1_3gpuE5ELNS1_3repE0EEENS1_30default_config_static_selectorELNS0_4arch9wavefront6targetE1EEEvT1_,@function
_ZN7rocprim17ROCPRIM_400000_NS6detail17trampoline_kernelINS0_14default_configENS1_25transform_config_selectorIlLb0EEEZNS1_14transform_implILb0ES3_S5_NS0_18transform_iteratorINS0_17counting_iteratorImlEEZNS1_24adjacent_difference_implIS3_Lb1ELb0EPlSB_ZN2at6native12_GLOBAL__N_124unique_dim_cuda_templateIN3c104HalfEEESt5tupleIJNSC_6TensorESJ_SJ_EERKSJ_lbbbEUlllE1_EE10hipError_tPvRmT2_T3_mT4_P12ihipStream_tbEUlmE_lEESB_NS0_8identityIvEEEESO_SR_SS_mST_SV_bEUlT_E_NS1_11comp_targetILNS1_3genE10ELNS1_11target_archE1201ELNS1_3gpuE5ELNS1_3repE0EEENS1_30default_config_static_selectorELNS0_4arch9wavefront6targetE1EEEvT1_: ; @_ZN7rocprim17ROCPRIM_400000_NS6detail17trampoline_kernelINS0_14default_configENS1_25transform_config_selectorIlLb0EEEZNS1_14transform_implILb0ES3_S5_NS0_18transform_iteratorINS0_17counting_iteratorImlEEZNS1_24adjacent_difference_implIS3_Lb1ELb0EPlSB_ZN2at6native12_GLOBAL__N_124unique_dim_cuda_templateIN3c104HalfEEESt5tupleIJNSC_6TensorESJ_SJ_EERKSJ_lbbbEUlllE1_EE10hipError_tPvRmT2_T3_mT4_P12ihipStream_tbEUlmE_lEESB_NS0_8identityIvEEEESO_SR_SS_mST_SV_bEUlT_E_NS1_11comp_targetILNS1_3genE10ELNS1_11target_archE1201ELNS1_3gpuE5ELNS1_3repE0EEENS1_30default_config_static_selectorELNS0_4arch9wavefront6targetE1EEEvT1_
; %bb.0:
	.section	.rodata,"a",@progbits
	.p2align	6, 0x0
	.amdhsa_kernel _ZN7rocprim17ROCPRIM_400000_NS6detail17trampoline_kernelINS0_14default_configENS1_25transform_config_selectorIlLb0EEEZNS1_14transform_implILb0ES3_S5_NS0_18transform_iteratorINS0_17counting_iteratorImlEEZNS1_24adjacent_difference_implIS3_Lb1ELb0EPlSB_ZN2at6native12_GLOBAL__N_124unique_dim_cuda_templateIN3c104HalfEEESt5tupleIJNSC_6TensorESJ_SJ_EERKSJ_lbbbEUlllE1_EE10hipError_tPvRmT2_T3_mT4_P12ihipStream_tbEUlmE_lEESB_NS0_8identityIvEEEESO_SR_SS_mST_SV_bEUlT_E_NS1_11comp_targetILNS1_3genE10ELNS1_11target_archE1201ELNS1_3gpuE5ELNS1_3repE0EEENS1_30default_config_static_selectorELNS0_4arch9wavefront6targetE1EEEvT1_
		.amdhsa_group_segment_fixed_size 0
		.amdhsa_private_segment_fixed_size 0
		.amdhsa_kernarg_size 56
		.amdhsa_user_sgpr_count 2
		.amdhsa_user_sgpr_dispatch_ptr 0
		.amdhsa_user_sgpr_queue_ptr 0
		.amdhsa_user_sgpr_kernarg_segment_ptr 1
		.amdhsa_user_sgpr_dispatch_id 0
		.amdhsa_user_sgpr_kernarg_preload_length 0
		.amdhsa_user_sgpr_kernarg_preload_offset 0
		.amdhsa_user_sgpr_private_segment_size 0
		.amdhsa_uses_dynamic_stack 0
		.amdhsa_enable_private_segment 0
		.amdhsa_system_sgpr_workgroup_id_x 1
		.amdhsa_system_sgpr_workgroup_id_y 0
		.amdhsa_system_sgpr_workgroup_id_z 0
		.amdhsa_system_sgpr_workgroup_info 0
		.amdhsa_system_vgpr_workitem_id 0
		.amdhsa_next_free_vgpr 1
		.amdhsa_next_free_sgpr 0
		.amdhsa_accum_offset 4
		.amdhsa_reserve_vcc 0
		.amdhsa_float_round_mode_32 0
		.amdhsa_float_round_mode_16_64 0
		.amdhsa_float_denorm_mode_32 3
		.amdhsa_float_denorm_mode_16_64 3
		.amdhsa_dx10_clamp 1
		.amdhsa_ieee_mode 1
		.amdhsa_fp16_overflow 0
		.amdhsa_tg_split 0
		.amdhsa_exception_fp_ieee_invalid_op 0
		.amdhsa_exception_fp_denorm_src 0
		.amdhsa_exception_fp_ieee_div_zero 0
		.amdhsa_exception_fp_ieee_overflow 0
		.amdhsa_exception_fp_ieee_underflow 0
		.amdhsa_exception_fp_ieee_inexact 0
		.amdhsa_exception_int_div_zero 0
	.end_amdhsa_kernel
	.section	.text._ZN7rocprim17ROCPRIM_400000_NS6detail17trampoline_kernelINS0_14default_configENS1_25transform_config_selectorIlLb0EEEZNS1_14transform_implILb0ES3_S5_NS0_18transform_iteratorINS0_17counting_iteratorImlEEZNS1_24adjacent_difference_implIS3_Lb1ELb0EPlSB_ZN2at6native12_GLOBAL__N_124unique_dim_cuda_templateIN3c104HalfEEESt5tupleIJNSC_6TensorESJ_SJ_EERKSJ_lbbbEUlllE1_EE10hipError_tPvRmT2_T3_mT4_P12ihipStream_tbEUlmE_lEESB_NS0_8identityIvEEEESO_SR_SS_mST_SV_bEUlT_E_NS1_11comp_targetILNS1_3genE10ELNS1_11target_archE1201ELNS1_3gpuE5ELNS1_3repE0EEENS1_30default_config_static_selectorELNS0_4arch9wavefront6targetE1EEEvT1_,"axG",@progbits,_ZN7rocprim17ROCPRIM_400000_NS6detail17trampoline_kernelINS0_14default_configENS1_25transform_config_selectorIlLb0EEEZNS1_14transform_implILb0ES3_S5_NS0_18transform_iteratorINS0_17counting_iteratorImlEEZNS1_24adjacent_difference_implIS3_Lb1ELb0EPlSB_ZN2at6native12_GLOBAL__N_124unique_dim_cuda_templateIN3c104HalfEEESt5tupleIJNSC_6TensorESJ_SJ_EERKSJ_lbbbEUlllE1_EE10hipError_tPvRmT2_T3_mT4_P12ihipStream_tbEUlmE_lEESB_NS0_8identityIvEEEESO_SR_SS_mST_SV_bEUlT_E_NS1_11comp_targetILNS1_3genE10ELNS1_11target_archE1201ELNS1_3gpuE5ELNS1_3repE0EEENS1_30default_config_static_selectorELNS0_4arch9wavefront6targetE1EEEvT1_,comdat
.Lfunc_end1285:
	.size	_ZN7rocprim17ROCPRIM_400000_NS6detail17trampoline_kernelINS0_14default_configENS1_25transform_config_selectorIlLb0EEEZNS1_14transform_implILb0ES3_S5_NS0_18transform_iteratorINS0_17counting_iteratorImlEEZNS1_24adjacent_difference_implIS3_Lb1ELb0EPlSB_ZN2at6native12_GLOBAL__N_124unique_dim_cuda_templateIN3c104HalfEEESt5tupleIJNSC_6TensorESJ_SJ_EERKSJ_lbbbEUlllE1_EE10hipError_tPvRmT2_T3_mT4_P12ihipStream_tbEUlmE_lEESB_NS0_8identityIvEEEESO_SR_SS_mST_SV_bEUlT_E_NS1_11comp_targetILNS1_3genE10ELNS1_11target_archE1201ELNS1_3gpuE5ELNS1_3repE0EEENS1_30default_config_static_selectorELNS0_4arch9wavefront6targetE1EEEvT1_, .Lfunc_end1285-_ZN7rocprim17ROCPRIM_400000_NS6detail17trampoline_kernelINS0_14default_configENS1_25transform_config_selectorIlLb0EEEZNS1_14transform_implILb0ES3_S5_NS0_18transform_iteratorINS0_17counting_iteratorImlEEZNS1_24adjacent_difference_implIS3_Lb1ELb0EPlSB_ZN2at6native12_GLOBAL__N_124unique_dim_cuda_templateIN3c104HalfEEESt5tupleIJNSC_6TensorESJ_SJ_EERKSJ_lbbbEUlllE1_EE10hipError_tPvRmT2_T3_mT4_P12ihipStream_tbEUlmE_lEESB_NS0_8identityIvEEEESO_SR_SS_mST_SV_bEUlT_E_NS1_11comp_targetILNS1_3genE10ELNS1_11target_archE1201ELNS1_3gpuE5ELNS1_3repE0EEENS1_30default_config_static_selectorELNS0_4arch9wavefront6targetE1EEEvT1_
                                        ; -- End function
	.set _ZN7rocprim17ROCPRIM_400000_NS6detail17trampoline_kernelINS0_14default_configENS1_25transform_config_selectorIlLb0EEEZNS1_14transform_implILb0ES3_S5_NS0_18transform_iteratorINS0_17counting_iteratorImlEEZNS1_24adjacent_difference_implIS3_Lb1ELb0EPlSB_ZN2at6native12_GLOBAL__N_124unique_dim_cuda_templateIN3c104HalfEEESt5tupleIJNSC_6TensorESJ_SJ_EERKSJ_lbbbEUlllE1_EE10hipError_tPvRmT2_T3_mT4_P12ihipStream_tbEUlmE_lEESB_NS0_8identityIvEEEESO_SR_SS_mST_SV_bEUlT_E_NS1_11comp_targetILNS1_3genE10ELNS1_11target_archE1201ELNS1_3gpuE5ELNS1_3repE0EEENS1_30default_config_static_selectorELNS0_4arch9wavefront6targetE1EEEvT1_.num_vgpr, 0
	.set _ZN7rocprim17ROCPRIM_400000_NS6detail17trampoline_kernelINS0_14default_configENS1_25transform_config_selectorIlLb0EEEZNS1_14transform_implILb0ES3_S5_NS0_18transform_iteratorINS0_17counting_iteratorImlEEZNS1_24adjacent_difference_implIS3_Lb1ELb0EPlSB_ZN2at6native12_GLOBAL__N_124unique_dim_cuda_templateIN3c104HalfEEESt5tupleIJNSC_6TensorESJ_SJ_EERKSJ_lbbbEUlllE1_EE10hipError_tPvRmT2_T3_mT4_P12ihipStream_tbEUlmE_lEESB_NS0_8identityIvEEEESO_SR_SS_mST_SV_bEUlT_E_NS1_11comp_targetILNS1_3genE10ELNS1_11target_archE1201ELNS1_3gpuE5ELNS1_3repE0EEENS1_30default_config_static_selectorELNS0_4arch9wavefront6targetE1EEEvT1_.num_agpr, 0
	.set _ZN7rocprim17ROCPRIM_400000_NS6detail17trampoline_kernelINS0_14default_configENS1_25transform_config_selectorIlLb0EEEZNS1_14transform_implILb0ES3_S5_NS0_18transform_iteratorINS0_17counting_iteratorImlEEZNS1_24adjacent_difference_implIS3_Lb1ELb0EPlSB_ZN2at6native12_GLOBAL__N_124unique_dim_cuda_templateIN3c104HalfEEESt5tupleIJNSC_6TensorESJ_SJ_EERKSJ_lbbbEUlllE1_EE10hipError_tPvRmT2_T3_mT4_P12ihipStream_tbEUlmE_lEESB_NS0_8identityIvEEEESO_SR_SS_mST_SV_bEUlT_E_NS1_11comp_targetILNS1_3genE10ELNS1_11target_archE1201ELNS1_3gpuE5ELNS1_3repE0EEENS1_30default_config_static_selectorELNS0_4arch9wavefront6targetE1EEEvT1_.numbered_sgpr, 0
	.set _ZN7rocprim17ROCPRIM_400000_NS6detail17trampoline_kernelINS0_14default_configENS1_25transform_config_selectorIlLb0EEEZNS1_14transform_implILb0ES3_S5_NS0_18transform_iteratorINS0_17counting_iteratorImlEEZNS1_24adjacent_difference_implIS3_Lb1ELb0EPlSB_ZN2at6native12_GLOBAL__N_124unique_dim_cuda_templateIN3c104HalfEEESt5tupleIJNSC_6TensorESJ_SJ_EERKSJ_lbbbEUlllE1_EE10hipError_tPvRmT2_T3_mT4_P12ihipStream_tbEUlmE_lEESB_NS0_8identityIvEEEESO_SR_SS_mST_SV_bEUlT_E_NS1_11comp_targetILNS1_3genE10ELNS1_11target_archE1201ELNS1_3gpuE5ELNS1_3repE0EEENS1_30default_config_static_selectorELNS0_4arch9wavefront6targetE1EEEvT1_.num_named_barrier, 0
	.set _ZN7rocprim17ROCPRIM_400000_NS6detail17trampoline_kernelINS0_14default_configENS1_25transform_config_selectorIlLb0EEEZNS1_14transform_implILb0ES3_S5_NS0_18transform_iteratorINS0_17counting_iteratorImlEEZNS1_24adjacent_difference_implIS3_Lb1ELb0EPlSB_ZN2at6native12_GLOBAL__N_124unique_dim_cuda_templateIN3c104HalfEEESt5tupleIJNSC_6TensorESJ_SJ_EERKSJ_lbbbEUlllE1_EE10hipError_tPvRmT2_T3_mT4_P12ihipStream_tbEUlmE_lEESB_NS0_8identityIvEEEESO_SR_SS_mST_SV_bEUlT_E_NS1_11comp_targetILNS1_3genE10ELNS1_11target_archE1201ELNS1_3gpuE5ELNS1_3repE0EEENS1_30default_config_static_selectorELNS0_4arch9wavefront6targetE1EEEvT1_.private_seg_size, 0
	.set _ZN7rocprim17ROCPRIM_400000_NS6detail17trampoline_kernelINS0_14default_configENS1_25transform_config_selectorIlLb0EEEZNS1_14transform_implILb0ES3_S5_NS0_18transform_iteratorINS0_17counting_iteratorImlEEZNS1_24adjacent_difference_implIS3_Lb1ELb0EPlSB_ZN2at6native12_GLOBAL__N_124unique_dim_cuda_templateIN3c104HalfEEESt5tupleIJNSC_6TensorESJ_SJ_EERKSJ_lbbbEUlllE1_EE10hipError_tPvRmT2_T3_mT4_P12ihipStream_tbEUlmE_lEESB_NS0_8identityIvEEEESO_SR_SS_mST_SV_bEUlT_E_NS1_11comp_targetILNS1_3genE10ELNS1_11target_archE1201ELNS1_3gpuE5ELNS1_3repE0EEENS1_30default_config_static_selectorELNS0_4arch9wavefront6targetE1EEEvT1_.uses_vcc, 0
	.set _ZN7rocprim17ROCPRIM_400000_NS6detail17trampoline_kernelINS0_14default_configENS1_25transform_config_selectorIlLb0EEEZNS1_14transform_implILb0ES3_S5_NS0_18transform_iteratorINS0_17counting_iteratorImlEEZNS1_24adjacent_difference_implIS3_Lb1ELb0EPlSB_ZN2at6native12_GLOBAL__N_124unique_dim_cuda_templateIN3c104HalfEEESt5tupleIJNSC_6TensorESJ_SJ_EERKSJ_lbbbEUlllE1_EE10hipError_tPvRmT2_T3_mT4_P12ihipStream_tbEUlmE_lEESB_NS0_8identityIvEEEESO_SR_SS_mST_SV_bEUlT_E_NS1_11comp_targetILNS1_3genE10ELNS1_11target_archE1201ELNS1_3gpuE5ELNS1_3repE0EEENS1_30default_config_static_selectorELNS0_4arch9wavefront6targetE1EEEvT1_.uses_flat_scratch, 0
	.set _ZN7rocprim17ROCPRIM_400000_NS6detail17trampoline_kernelINS0_14default_configENS1_25transform_config_selectorIlLb0EEEZNS1_14transform_implILb0ES3_S5_NS0_18transform_iteratorINS0_17counting_iteratorImlEEZNS1_24adjacent_difference_implIS3_Lb1ELb0EPlSB_ZN2at6native12_GLOBAL__N_124unique_dim_cuda_templateIN3c104HalfEEESt5tupleIJNSC_6TensorESJ_SJ_EERKSJ_lbbbEUlllE1_EE10hipError_tPvRmT2_T3_mT4_P12ihipStream_tbEUlmE_lEESB_NS0_8identityIvEEEESO_SR_SS_mST_SV_bEUlT_E_NS1_11comp_targetILNS1_3genE10ELNS1_11target_archE1201ELNS1_3gpuE5ELNS1_3repE0EEENS1_30default_config_static_selectorELNS0_4arch9wavefront6targetE1EEEvT1_.has_dyn_sized_stack, 0
	.set _ZN7rocprim17ROCPRIM_400000_NS6detail17trampoline_kernelINS0_14default_configENS1_25transform_config_selectorIlLb0EEEZNS1_14transform_implILb0ES3_S5_NS0_18transform_iteratorINS0_17counting_iteratorImlEEZNS1_24adjacent_difference_implIS3_Lb1ELb0EPlSB_ZN2at6native12_GLOBAL__N_124unique_dim_cuda_templateIN3c104HalfEEESt5tupleIJNSC_6TensorESJ_SJ_EERKSJ_lbbbEUlllE1_EE10hipError_tPvRmT2_T3_mT4_P12ihipStream_tbEUlmE_lEESB_NS0_8identityIvEEEESO_SR_SS_mST_SV_bEUlT_E_NS1_11comp_targetILNS1_3genE10ELNS1_11target_archE1201ELNS1_3gpuE5ELNS1_3repE0EEENS1_30default_config_static_selectorELNS0_4arch9wavefront6targetE1EEEvT1_.has_recursion, 0
	.set _ZN7rocprim17ROCPRIM_400000_NS6detail17trampoline_kernelINS0_14default_configENS1_25transform_config_selectorIlLb0EEEZNS1_14transform_implILb0ES3_S5_NS0_18transform_iteratorINS0_17counting_iteratorImlEEZNS1_24adjacent_difference_implIS3_Lb1ELb0EPlSB_ZN2at6native12_GLOBAL__N_124unique_dim_cuda_templateIN3c104HalfEEESt5tupleIJNSC_6TensorESJ_SJ_EERKSJ_lbbbEUlllE1_EE10hipError_tPvRmT2_T3_mT4_P12ihipStream_tbEUlmE_lEESB_NS0_8identityIvEEEESO_SR_SS_mST_SV_bEUlT_E_NS1_11comp_targetILNS1_3genE10ELNS1_11target_archE1201ELNS1_3gpuE5ELNS1_3repE0EEENS1_30default_config_static_selectorELNS0_4arch9wavefront6targetE1EEEvT1_.has_indirect_call, 0
	.section	.AMDGPU.csdata,"",@progbits
; Kernel info:
; codeLenInByte = 0
; TotalNumSgprs: 6
; NumVgprs: 0
; NumAgprs: 0
; TotalNumVgprs: 0
; ScratchSize: 0
; MemoryBound: 0
; FloatMode: 240
; IeeeMode: 1
; LDSByteSize: 0 bytes/workgroup (compile time only)
; SGPRBlocks: 0
; VGPRBlocks: 0
; NumSGPRsForWavesPerEU: 6
; NumVGPRsForWavesPerEU: 1
; AccumOffset: 4
; Occupancy: 8
; WaveLimiterHint : 0
; COMPUTE_PGM_RSRC2:SCRATCH_EN: 0
; COMPUTE_PGM_RSRC2:USER_SGPR: 2
; COMPUTE_PGM_RSRC2:TRAP_HANDLER: 0
; COMPUTE_PGM_RSRC2:TGID_X_EN: 1
; COMPUTE_PGM_RSRC2:TGID_Y_EN: 0
; COMPUTE_PGM_RSRC2:TGID_Z_EN: 0
; COMPUTE_PGM_RSRC2:TIDIG_COMP_CNT: 0
; COMPUTE_PGM_RSRC3_GFX90A:ACCUM_OFFSET: 0
; COMPUTE_PGM_RSRC3_GFX90A:TG_SPLIT: 0
	.section	.text._ZN7rocprim17ROCPRIM_400000_NS6detail17trampoline_kernelINS0_14default_configENS1_25transform_config_selectorIlLb0EEEZNS1_14transform_implILb0ES3_S5_NS0_18transform_iteratorINS0_17counting_iteratorImlEEZNS1_24adjacent_difference_implIS3_Lb1ELb0EPlSB_ZN2at6native12_GLOBAL__N_124unique_dim_cuda_templateIN3c104HalfEEESt5tupleIJNSC_6TensorESJ_SJ_EERKSJ_lbbbEUlllE1_EE10hipError_tPvRmT2_T3_mT4_P12ihipStream_tbEUlmE_lEESB_NS0_8identityIvEEEESO_SR_SS_mST_SV_bEUlT_E_NS1_11comp_targetILNS1_3genE10ELNS1_11target_archE1200ELNS1_3gpuE4ELNS1_3repE0EEENS1_30default_config_static_selectorELNS0_4arch9wavefront6targetE1EEEvT1_,"axG",@progbits,_ZN7rocprim17ROCPRIM_400000_NS6detail17trampoline_kernelINS0_14default_configENS1_25transform_config_selectorIlLb0EEEZNS1_14transform_implILb0ES3_S5_NS0_18transform_iteratorINS0_17counting_iteratorImlEEZNS1_24adjacent_difference_implIS3_Lb1ELb0EPlSB_ZN2at6native12_GLOBAL__N_124unique_dim_cuda_templateIN3c104HalfEEESt5tupleIJNSC_6TensorESJ_SJ_EERKSJ_lbbbEUlllE1_EE10hipError_tPvRmT2_T3_mT4_P12ihipStream_tbEUlmE_lEESB_NS0_8identityIvEEEESO_SR_SS_mST_SV_bEUlT_E_NS1_11comp_targetILNS1_3genE10ELNS1_11target_archE1200ELNS1_3gpuE4ELNS1_3repE0EEENS1_30default_config_static_selectorELNS0_4arch9wavefront6targetE1EEEvT1_,comdat
	.globl	_ZN7rocprim17ROCPRIM_400000_NS6detail17trampoline_kernelINS0_14default_configENS1_25transform_config_selectorIlLb0EEEZNS1_14transform_implILb0ES3_S5_NS0_18transform_iteratorINS0_17counting_iteratorImlEEZNS1_24adjacent_difference_implIS3_Lb1ELb0EPlSB_ZN2at6native12_GLOBAL__N_124unique_dim_cuda_templateIN3c104HalfEEESt5tupleIJNSC_6TensorESJ_SJ_EERKSJ_lbbbEUlllE1_EE10hipError_tPvRmT2_T3_mT4_P12ihipStream_tbEUlmE_lEESB_NS0_8identityIvEEEESO_SR_SS_mST_SV_bEUlT_E_NS1_11comp_targetILNS1_3genE10ELNS1_11target_archE1200ELNS1_3gpuE4ELNS1_3repE0EEENS1_30default_config_static_selectorELNS0_4arch9wavefront6targetE1EEEvT1_ ; -- Begin function _ZN7rocprim17ROCPRIM_400000_NS6detail17trampoline_kernelINS0_14default_configENS1_25transform_config_selectorIlLb0EEEZNS1_14transform_implILb0ES3_S5_NS0_18transform_iteratorINS0_17counting_iteratorImlEEZNS1_24adjacent_difference_implIS3_Lb1ELb0EPlSB_ZN2at6native12_GLOBAL__N_124unique_dim_cuda_templateIN3c104HalfEEESt5tupleIJNSC_6TensorESJ_SJ_EERKSJ_lbbbEUlllE1_EE10hipError_tPvRmT2_T3_mT4_P12ihipStream_tbEUlmE_lEESB_NS0_8identityIvEEEESO_SR_SS_mST_SV_bEUlT_E_NS1_11comp_targetILNS1_3genE10ELNS1_11target_archE1200ELNS1_3gpuE4ELNS1_3repE0EEENS1_30default_config_static_selectorELNS0_4arch9wavefront6targetE1EEEvT1_
	.p2align	8
	.type	_ZN7rocprim17ROCPRIM_400000_NS6detail17trampoline_kernelINS0_14default_configENS1_25transform_config_selectorIlLb0EEEZNS1_14transform_implILb0ES3_S5_NS0_18transform_iteratorINS0_17counting_iteratorImlEEZNS1_24adjacent_difference_implIS3_Lb1ELb0EPlSB_ZN2at6native12_GLOBAL__N_124unique_dim_cuda_templateIN3c104HalfEEESt5tupleIJNSC_6TensorESJ_SJ_EERKSJ_lbbbEUlllE1_EE10hipError_tPvRmT2_T3_mT4_P12ihipStream_tbEUlmE_lEESB_NS0_8identityIvEEEESO_SR_SS_mST_SV_bEUlT_E_NS1_11comp_targetILNS1_3genE10ELNS1_11target_archE1200ELNS1_3gpuE4ELNS1_3repE0EEENS1_30default_config_static_selectorELNS0_4arch9wavefront6targetE1EEEvT1_,@function
_ZN7rocprim17ROCPRIM_400000_NS6detail17trampoline_kernelINS0_14default_configENS1_25transform_config_selectorIlLb0EEEZNS1_14transform_implILb0ES3_S5_NS0_18transform_iteratorINS0_17counting_iteratorImlEEZNS1_24adjacent_difference_implIS3_Lb1ELb0EPlSB_ZN2at6native12_GLOBAL__N_124unique_dim_cuda_templateIN3c104HalfEEESt5tupleIJNSC_6TensorESJ_SJ_EERKSJ_lbbbEUlllE1_EE10hipError_tPvRmT2_T3_mT4_P12ihipStream_tbEUlmE_lEESB_NS0_8identityIvEEEESO_SR_SS_mST_SV_bEUlT_E_NS1_11comp_targetILNS1_3genE10ELNS1_11target_archE1200ELNS1_3gpuE4ELNS1_3repE0EEENS1_30default_config_static_selectorELNS0_4arch9wavefront6targetE1EEEvT1_: ; @_ZN7rocprim17ROCPRIM_400000_NS6detail17trampoline_kernelINS0_14default_configENS1_25transform_config_selectorIlLb0EEEZNS1_14transform_implILb0ES3_S5_NS0_18transform_iteratorINS0_17counting_iteratorImlEEZNS1_24adjacent_difference_implIS3_Lb1ELb0EPlSB_ZN2at6native12_GLOBAL__N_124unique_dim_cuda_templateIN3c104HalfEEESt5tupleIJNSC_6TensorESJ_SJ_EERKSJ_lbbbEUlllE1_EE10hipError_tPvRmT2_T3_mT4_P12ihipStream_tbEUlmE_lEESB_NS0_8identityIvEEEESO_SR_SS_mST_SV_bEUlT_E_NS1_11comp_targetILNS1_3genE10ELNS1_11target_archE1200ELNS1_3gpuE4ELNS1_3repE0EEENS1_30default_config_static_selectorELNS0_4arch9wavefront6targetE1EEEvT1_
; %bb.0:
	.section	.rodata,"a",@progbits
	.p2align	6, 0x0
	.amdhsa_kernel _ZN7rocprim17ROCPRIM_400000_NS6detail17trampoline_kernelINS0_14default_configENS1_25transform_config_selectorIlLb0EEEZNS1_14transform_implILb0ES3_S5_NS0_18transform_iteratorINS0_17counting_iteratorImlEEZNS1_24adjacent_difference_implIS3_Lb1ELb0EPlSB_ZN2at6native12_GLOBAL__N_124unique_dim_cuda_templateIN3c104HalfEEESt5tupleIJNSC_6TensorESJ_SJ_EERKSJ_lbbbEUlllE1_EE10hipError_tPvRmT2_T3_mT4_P12ihipStream_tbEUlmE_lEESB_NS0_8identityIvEEEESO_SR_SS_mST_SV_bEUlT_E_NS1_11comp_targetILNS1_3genE10ELNS1_11target_archE1200ELNS1_3gpuE4ELNS1_3repE0EEENS1_30default_config_static_selectorELNS0_4arch9wavefront6targetE1EEEvT1_
		.amdhsa_group_segment_fixed_size 0
		.amdhsa_private_segment_fixed_size 0
		.amdhsa_kernarg_size 56
		.amdhsa_user_sgpr_count 2
		.amdhsa_user_sgpr_dispatch_ptr 0
		.amdhsa_user_sgpr_queue_ptr 0
		.amdhsa_user_sgpr_kernarg_segment_ptr 1
		.amdhsa_user_sgpr_dispatch_id 0
		.amdhsa_user_sgpr_kernarg_preload_length 0
		.amdhsa_user_sgpr_kernarg_preload_offset 0
		.amdhsa_user_sgpr_private_segment_size 0
		.amdhsa_uses_dynamic_stack 0
		.amdhsa_enable_private_segment 0
		.amdhsa_system_sgpr_workgroup_id_x 1
		.amdhsa_system_sgpr_workgroup_id_y 0
		.amdhsa_system_sgpr_workgroup_id_z 0
		.amdhsa_system_sgpr_workgroup_info 0
		.amdhsa_system_vgpr_workitem_id 0
		.amdhsa_next_free_vgpr 1
		.amdhsa_next_free_sgpr 0
		.amdhsa_accum_offset 4
		.amdhsa_reserve_vcc 0
		.amdhsa_float_round_mode_32 0
		.amdhsa_float_round_mode_16_64 0
		.amdhsa_float_denorm_mode_32 3
		.amdhsa_float_denorm_mode_16_64 3
		.amdhsa_dx10_clamp 1
		.amdhsa_ieee_mode 1
		.amdhsa_fp16_overflow 0
		.amdhsa_tg_split 0
		.amdhsa_exception_fp_ieee_invalid_op 0
		.amdhsa_exception_fp_denorm_src 0
		.amdhsa_exception_fp_ieee_div_zero 0
		.amdhsa_exception_fp_ieee_overflow 0
		.amdhsa_exception_fp_ieee_underflow 0
		.amdhsa_exception_fp_ieee_inexact 0
		.amdhsa_exception_int_div_zero 0
	.end_amdhsa_kernel
	.section	.text._ZN7rocprim17ROCPRIM_400000_NS6detail17trampoline_kernelINS0_14default_configENS1_25transform_config_selectorIlLb0EEEZNS1_14transform_implILb0ES3_S5_NS0_18transform_iteratorINS0_17counting_iteratorImlEEZNS1_24adjacent_difference_implIS3_Lb1ELb0EPlSB_ZN2at6native12_GLOBAL__N_124unique_dim_cuda_templateIN3c104HalfEEESt5tupleIJNSC_6TensorESJ_SJ_EERKSJ_lbbbEUlllE1_EE10hipError_tPvRmT2_T3_mT4_P12ihipStream_tbEUlmE_lEESB_NS0_8identityIvEEEESO_SR_SS_mST_SV_bEUlT_E_NS1_11comp_targetILNS1_3genE10ELNS1_11target_archE1200ELNS1_3gpuE4ELNS1_3repE0EEENS1_30default_config_static_selectorELNS0_4arch9wavefront6targetE1EEEvT1_,"axG",@progbits,_ZN7rocprim17ROCPRIM_400000_NS6detail17trampoline_kernelINS0_14default_configENS1_25transform_config_selectorIlLb0EEEZNS1_14transform_implILb0ES3_S5_NS0_18transform_iteratorINS0_17counting_iteratorImlEEZNS1_24adjacent_difference_implIS3_Lb1ELb0EPlSB_ZN2at6native12_GLOBAL__N_124unique_dim_cuda_templateIN3c104HalfEEESt5tupleIJNSC_6TensorESJ_SJ_EERKSJ_lbbbEUlllE1_EE10hipError_tPvRmT2_T3_mT4_P12ihipStream_tbEUlmE_lEESB_NS0_8identityIvEEEESO_SR_SS_mST_SV_bEUlT_E_NS1_11comp_targetILNS1_3genE10ELNS1_11target_archE1200ELNS1_3gpuE4ELNS1_3repE0EEENS1_30default_config_static_selectorELNS0_4arch9wavefront6targetE1EEEvT1_,comdat
.Lfunc_end1286:
	.size	_ZN7rocprim17ROCPRIM_400000_NS6detail17trampoline_kernelINS0_14default_configENS1_25transform_config_selectorIlLb0EEEZNS1_14transform_implILb0ES3_S5_NS0_18transform_iteratorINS0_17counting_iteratorImlEEZNS1_24adjacent_difference_implIS3_Lb1ELb0EPlSB_ZN2at6native12_GLOBAL__N_124unique_dim_cuda_templateIN3c104HalfEEESt5tupleIJNSC_6TensorESJ_SJ_EERKSJ_lbbbEUlllE1_EE10hipError_tPvRmT2_T3_mT4_P12ihipStream_tbEUlmE_lEESB_NS0_8identityIvEEEESO_SR_SS_mST_SV_bEUlT_E_NS1_11comp_targetILNS1_3genE10ELNS1_11target_archE1200ELNS1_3gpuE4ELNS1_3repE0EEENS1_30default_config_static_selectorELNS0_4arch9wavefront6targetE1EEEvT1_, .Lfunc_end1286-_ZN7rocprim17ROCPRIM_400000_NS6detail17trampoline_kernelINS0_14default_configENS1_25transform_config_selectorIlLb0EEEZNS1_14transform_implILb0ES3_S5_NS0_18transform_iteratorINS0_17counting_iteratorImlEEZNS1_24adjacent_difference_implIS3_Lb1ELb0EPlSB_ZN2at6native12_GLOBAL__N_124unique_dim_cuda_templateIN3c104HalfEEESt5tupleIJNSC_6TensorESJ_SJ_EERKSJ_lbbbEUlllE1_EE10hipError_tPvRmT2_T3_mT4_P12ihipStream_tbEUlmE_lEESB_NS0_8identityIvEEEESO_SR_SS_mST_SV_bEUlT_E_NS1_11comp_targetILNS1_3genE10ELNS1_11target_archE1200ELNS1_3gpuE4ELNS1_3repE0EEENS1_30default_config_static_selectorELNS0_4arch9wavefront6targetE1EEEvT1_
                                        ; -- End function
	.set _ZN7rocprim17ROCPRIM_400000_NS6detail17trampoline_kernelINS0_14default_configENS1_25transform_config_selectorIlLb0EEEZNS1_14transform_implILb0ES3_S5_NS0_18transform_iteratorINS0_17counting_iteratorImlEEZNS1_24adjacent_difference_implIS3_Lb1ELb0EPlSB_ZN2at6native12_GLOBAL__N_124unique_dim_cuda_templateIN3c104HalfEEESt5tupleIJNSC_6TensorESJ_SJ_EERKSJ_lbbbEUlllE1_EE10hipError_tPvRmT2_T3_mT4_P12ihipStream_tbEUlmE_lEESB_NS0_8identityIvEEEESO_SR_SS_mST_SV_bEUlT_E_NS1_11comp_targetILNS1_3genE10ELNS1_11target_archE1200ELNS1_3gpuE4ELNS1_3repE0EEENS1_30default_config_static_selectorELNS0_4arch9wavefront6targetE1EEEvT1_.num_vgpr, 0
	.set _ZN7rocprim17ROCPRIM_400000_NS6detail17trampoline_kernelINS0_14default_configENS1_25transform_config_selectorIlLb0EEEZNS1_14transform_implILb0ES3_S5_NS0_18transform_iteratorINS0_17counting_iteratorImlEEZNS1_24adjacent_difference_implIS3_Lb1ELb0EPlSB_ZN2at6native12_GLOBAL__N_124unique_dim_cuda_templateIN3c104HalfEEESt5tupleIJNSC_6TensorESJ_SJ_EERKSJ_lbbbEUlllE1_EE10hipError_tPvRmT2_T3_mT4_P12ihipStream_tbEUlmE_lEESB_NS0_8identityIvEEEESO_SR_SS_mST_SV_bEUlT_E_NS1_11comp_targetILNS1_3genE10ELNS1_11target_archE1200ELNS1_3gpuE4ELNS1_3repE0EEENS1_30default_config_static_selectorELNS0_4arch9wavefront6targetE1EEEvT1_.num_agpr, 0
	.set _ZN7rocprim17ROCPRIM_400000_NS6detail17trampoline_kernelINS0_14default_configENS1_25transform_config_selectorIlLb0EEEZNS1_14transform_implILb0ES3_S5_NS0_18transform_iteratorINS0_17counting_iteratorImlEEZNS1_24adjacent_difference_implIS3_Lb1ELb0EPlSB_ZN2at6native12_GLOBAL__N_124unique_dim_cuda_templateIN3c104HalfEEESt5tupleIJNSC_6TensorESJ_SJ_EERKSJ_lbbbEUlllE1_EE10hipError_tPvRmT2_T3_mT4_P12ihipStream_tbEUlmE_lEESB_NS0_8identityIvEEEESO_SR_SS_mST_SV_bEUlT_E_NS1_11comp_targetILNS1_3genE10ELNS1_11target_archE1200ELNS1_3gpuE4ELNS1_3repE0EEENS1_30default_config_static_selectorELNS0_4arch9wavefront6targetE1EEEvT1_.numbered_sgpr, 0
	.set _ZN7rocprim17ROCPRIM_400000_NS6detail17trampoline_kernelINS0_14default_configENS1_25transform_config_selectorIlLb0EEEZNS1_14transform_implILb0ES3_S5_NS0_18transform_iteratorINS0_17counting_iteratorImlEEZNS1_24adjacent_difference_implIS3_Lb1ELb0EPlSB_ZN2at6native12_GLOBAL__N_124unique_dim_cuda_templateIN3c104HalfEEESt5tupleIJNSC_6TensorESJ_SJ_EERKSJ_lbbbEUlllE1_EE10hipError_tPvRmT2_T3_mT4_P12ihipStream_tbEUlmE_lEESB_NS0_8identityIvEEEESO_SR_SS_mST_SV_bEUlT_E_NS1_11comp_targetILNS1_3genE10ELNS1_11target_archE1200ELNS1_3gpuE4ELNS1_3repE0EEENS1_30default_config_static_selectorELNS0_4arch9wavefront6targetE1EEEvT1_.num_named_barrier, 0
	.set _ZN7rocprim17ROCPRIM_400000_NS6detail17trampoline_kernelINS0_14default_configENS1_25transform_config_selectorIlLb0EEEZNS1_14transform_implILb0ES3_S5_NS0_18transform_iteratorINS0_17counting_iteratorImlEEZNS1_24adjacent_difference_implIS3_Lb1ELb0EPlSB_ZN2at6native12_GLOBAL__N_124unique_dim_cuda_templateIN3c104HalfEEESt5tupleIJNSC_6TensorESJ_SJ_EERKSJ_lbbbEUlllE1_EE10hipError_tPvRmT2_T3_mT4_P12ihipStream_tbEUlmE_lEESB_NS0_8identityIvEEEESO_SR_SS_mST_SV_bEUlT_E_NS1_11comp_targetILNS1_3genE10ELNS1_11target_archE1200ELNS1_3gpuE4ELNS1_3repE0EEENS1_30default_config_static_selectorELNS0_4arch9wavefront6targetE1EEEvT1_.private_seg_size, 0
	.set _ZN7rocprim17ROCPRIM_400000_NS6detail17trampoline_kernelINS0_14default_configENS1_25transform_config_selectorIlLb0EEEZNS1_14transform_implILb0ES3_S5_NS0_18transform_iteratorINS0_17counting_iteratorImlEEZNS1_24adjacent_difference_implIS3_Lb1ELb0EPlSB_ZN2at6native12_GLOBAL__N_124unique_dim_cuda_templateIN3c104HalfEEESt5tupleIJNSC_6TensorESJ_SJ_EERKSJ_lbbbEUlllE1_EE10hipError_tPvRmT2_T3_mT4_P12ihipStream_tbEUlmE_lEESB_NS0_8identityIvEEEESO_SR_SS_mST_SV_bEUlT_E_NS1_11comp_targetILNS1_3genE10ELNS1_11target_archE1200ELNS1_3gpuE4ELNS1_3repE0EEENS1_30default_config_static_selectorELNS0_4arch9wavefront6targetE1EEEvT1_.uses_vcc, 0
	.set _ZN7rocprim17ROCPRIM_400000_NS6detail17trampoline_kernelINS0_14default_configENS1_25transform_config_selectorIlLb0EEEZNS1_14transform_implILb0ES3_S5_NS0_18transform_iteratorINS0_17counting_iteratorImlEEZNS1_24adjacent_difference_implIS3_Lb1ELb0EPlSB_ZN2at6native12_GLOBAL__N_124unique_dim_cuda_templateIN3c104HalfEEESt5tupleIJNSC_6TensorESJ_SJ_EERKSJ_lbbbEUlllE1_EE10hipError_tPvRmT2_T3_mT4_P12ihipStream_tbEUlmE_lEESB_NS0_8identityIvEEEESO_SR_SS_mST_SV_bEUlT_E_NS1_11comp_targetILNS1_3genE10ELNS1_11target_archE1200ELNS1_3gpuE4ELNS1_3repE0EEENS1_30default_config_static_selectorELNS0_4arch9wavefront6targetE1EEEvT1_.uses_flat_scratch, 0
	.set _ZN7rocprim17ROCPRIM_400000_NS6detail17trampoline_kernelINS0_14default_configENS1_25transform_config_selectorIlLb0EEEZNS1_14transform_implILb0ES3_S5_NS0_18transform_iteratorINS0_17counting_iteratorImlEEZNS1_24adjacent_difference_implIS3_Lb1ELb0EPlSB_ZN2at6native12_GLOBAL__N_124unique_dim_cuda_templateIN3c104HalfEEESt5tupleIJNSC_6TensorESJ_SJ_EERKSJ_lbbbEUlllE1_EE10hipError_tPvRmT2_T3_mT4_P12ihipStream_tbEUlmE_lEESB_NS0_8identityIvEEEESO_SR_SS_mST_SV_bEUlT_E_NS1_11comp_targetILNS1_3genE10ELNS1_11target_archE1200ELNS1_3gpuE4ELNS1_3repE0EEENS1_30default_config_static_selectorELNS0_4arch9wavefront6targetE1EEEvT1_.has_dyn_sized_stack, 0
	.set _ZN7rocprim17ROCPRIM_400000_NS6detail17trampoline_kernelINS0_14default_configENS1_25transform_config_selectorIlLb0EEEZNS1_14transform_implILb0ES3_S5_NS0_18transform_iteratorINS0_17counting_iteratorImlEEZNS1_24adjacent_difference_implIS3_Lb1ELb0EPlSB_ZN2at6native12_GLOBAL__N_124unique_dim_cuda_templateIN3c104HalfEEESt5tupleIJNSC_6TensorESJ_SJ_EERKSJ_lbbbEUlllE1_EE10hipError_tPvRmT2_T3_mT4_P12ihipStream_tbEUlmE_lEESB_NS0_8identityIvEEEESO_SR_SS_mST_SV_bEUlT_E_NS1_11comp_targetILNS1_3genE10ELNS1_11target_archE1200ELNS1_3gpuE4ELNS1_3repE0EEENS1_30default_config_static_selectorELNS0_4arch9wavefront6targetE1EEEvT1_.has_recursion, 0
	.set _ZN7rocprim17ROCPRIM_400000_NS6detail17trampoline_kernelINS0_14default_configENS1_25transform_config_selectorIlLb0EEEZNS1_14transform_implILb0ES3_S5_NS0_18transform_iteratorINS0_17counting_iteratorImlEEZNS1_24adjacent_difference_implIS3_Lb1ELb0EPlSB_ZN2at6native12_GLOBAL__N_124unique_dim_cuda_templateIN3c104HalfEEESt5tupleIJNSC_6TensorESJ_SJ_EERKSJ_lbbbEUlllE1_EE10hipError_tPvRmT2_T3_mT4_P12ihipStream_tbEUlmE_lEESB_NS0_8identityIvEEEESO_SR_SS_mST_SV_bEUlT_E_NS1_11comp_targetILNS1_3genE10ELNS1_11target_archE1200ELNS1_3gpuE4ELNS1_3repE0EEENS1_30default_config_static_selectorELNS0_4arch9wavefront6targetE1EEEvT1_.has_indirect_call, 0
	.section	.AMDGPU.csdata,"",@progbits
; Kernel info:
; codeLenInByte = 0
; TotalNumSgprs: 6
; NumVgprs: 0
; NumAgprs: 0
; TotalNumVgprs: 0
; ScratchSize: 0
; MemoryBound: 0
; FloatMode: 240
; IeeeMode: 1
; LDSByteSize: 0 bytes/workgroup (compile time only)
; SGPRBlocks: 0
; VGPRBlocks: 0
; NumSGPRsForWavesPerEU: 6
; NumVGPRsForWavesPerEU: 1
; AccumOffset: 4
; Occupancy: 8
; WaveLimiterHint : 0
; COMPUTE_PGM_RSRC2:SCRATCH_EN: 0
; COMPUTE_PGM_RSRC2:USER_SGPR: 2
; COMPUTE_PGM_RSRC2:TRAP_HANDLER: 0
; COMPUTE_PGM_RSRC2:TGID_X_EN: 1
; COMPUTE_PGM_RSRC2:TGID_Y_EN: 0
; COMPUTE_PGM_RSRC2:TGID_Z_EN: 0
; COMPUTE_PGM_RSRC2:TIDIG_COMP_CNT: 0
; COMPUTE_PGM_RSRC3_GFX90A:ACCUM_OFFSET: 0
; COMPUTE_PGM_RSRC3_GFX90A:TG_SPLIT: 0
	.section	.text._ZN7rocprim17ROCPRIM_400000_NS6detail17trampoline_kernelINS0_14default_configENS1_25transform_config_selectorIlLb0EEEZNS1_14transform_implILb0ES3_S5_NS0_18transform_iteratorINS0_17counting_iteratorImlEEZNS1_24adjacent_difference_implIS3_Lb1ELb0EPlSB_ZN2at6native12_GLOBAL__N_124unique_dim_cuda_templateIN3c104HalfEEESt5tupleIJNSC_6TensorESJ_SJ_EERKSJ_lbbbEUlllE1_EE10hipError_tPvRmT2_T3_mT4_P12ihipStream_tbEUlmE_lEESB_NS0_8identityIvEEEESO_SR_SS_mST_SV_bEUlT_E_NS1_11comp_targetILNS1_3genE9ELNS1_11target_archE1100ELNS1_3gpuE3ELNS1_3repE0EEENS1_30default_config_static_selectorELNS0_4arch9wavefront6targetE1EEEvT1_,"axG",@progbits,_ZN7rocprim17ROCPRIM_400000_NS6detail17trampoline_kernelINS0_14default_configENS1_25transform_config_selectorIlLb0EEEZNS1_14transform_implILb0ES3_S5_NS0_18transform_iteratorINS0_17counting_iteratorImlEEZNS1_24adjacent_difference_implIS3_Lb1ELb0EPlSB_ZN2at6native12_GLOBAL__N_124unique_dim_cuda_templateIN3c104HalfEEESt5tupleIJNSC_6TensorESJ_SJ_EERKSJ_lbbbEUlllE1_EE10hipError_tPvRmT2_T3_mT4_P12ihipStream_tbEUlmE_lEESB_NS0_8identityIvEEEESO_SR_SS_mST_SV_bEUlT_E_NS1_11comp_targetILNS1_3genE9ELNS1_11target_archE1100ELNS1_3gpuE3ELNS1_3repE0EEENS1_30default_config_static_selectorELNS0_4arch9wavefront6targetE1EEEvT1_,comdat
	.globl	_ZN7rocprim17ROCPRIM_400000_NS6detail17trampoline_kernelINS0_14default_configENS1_25transform_config_selectorIlLb0EEEZNS1_14transform_implILb0ES3_S5_NS0_18transform_iteratorINS0_17counting_iteratorImlEEZNS1_24adjacent_difference_implIS3_Lb1ELb0EPlSB_ZN2at6native12_GLOBAL__N_124unique_dim_cuda_templateIN3c104HalfEEESt5tupleIJNSC_6TensorESJ_SJ_EERKSJ_lbbbEUlllE1_EE10hipError_tPvRmT2_T3_mT4_P12ihipStream_tbEUlmE_lEESB_NS0_8identityIvEEEESO_SR_SS_mST_SV_bEUlT_E_NS1_11comp_targetILNS1_3genE9ELNS1_11target_archE1100ELNS1_3gpuE3ELNS1_3repE0EEENS1_30default_config_static_selectorELNS0_4arch9wavefront6targetE1EEEvT1_ ; -- Begin function _ZN7rocprim17ROCPRIM_400000_NS6detail17trampoline_kernelINS0_14default_configENS1_25transform_config_selectorIlLb0EEEZNS1_14transform_implILb0ES3_S5_NS0_18transform_iteratorINS0_17counting_iteratorImlEEZNS1_24adjacent_difference_implIS3_Lb1ELb0EPlSB_ZN2at6native12_GLOBAL__N_124unique_dim_cuda_templateIN3c104HalfEEESt5tupleIJNSC_6TensorESJ_SJ_EERKSJ_lbbbEUlllE1_EE10hipError_tPvRmT2_T3_mT4_P12ihipStream_tbEUlmE_lEESB_NS0_8identityIvEEEESO_SR_SS_mST_SV_bEUlT_E_NS1_11comp_targetILNS1_3genE9ELNS1_11target_archE1100ELNS1_3gpuE3ELNS1_3repE0EEENS1_30default_config_static_selectorELNS0_4arch9wavefront6targetE1EEEvT1_
	.p2align	8
	.type	_ZN7rocprim17ROCPRIM_400000_NS6detail17trampoline_kernelINS0_14default_configENS1_25transform_config_selectorIlLb0EEEZNS1_14transform_implILb0ES3_S5_NS0_18transform_iteratorINS0_17counting_iteratorImlEEZNS1_24adjacent_difference_implIS3_Lb1ELb0EPlSB_ZN2at6native12_GLOBAL__N_124unique_dim_cuda_templateIN3c104HalfEEESt5tupleIJNSC_6TensorESJ_SJ_EERKSJ_lbbbEUlllE1_EE10hipError_tPvRmT2_T3_mT4_P12ihipStream_tbEUlmE_lEESB_NS0_8identityIvEEEESO_SR_SS_mST_SV_bEUlT_E_NS1_11comp_targetILNS1_3genE9ELNS1_11target_archE1100ELNS1_3gpuE3ELNS1_3repE0EEENS1_30default_config_static_selectorELNS0_4arch9wavefront6targetE1EEEvT1_,@function
_ZN7rocprim17ROCPRIM_400000_NS6detail17trampoline_kernelINS0_14default_configENS1_25transform_config_selectorIlLb0EEEZNS1_14transform_implILb0ES3_S5_NS0_18transform_iteratorINS0_17counting_iteratorImlEEZNS1_24adjacent_difference_implIS3_Lb1ELb0EPlSB_ZN2at6native12_GLOBAL__N_124unique_dim_cuda_templateIN3c104HalfEEESt5tupleIJNSC_6TensorESJ_SJ_EERKSJ_lbbbEUlllE1_EE10hipError_tPvRmT2_T3_mT4_P12ihipStream_tbEUlmE_lEESB_NS0_8identityIvEEEESO_SR_SS_mST_SV_bEUlT_E_NS1_11comp_targetILNS1_3genE9ELNS1_11target_archE1100ELNS1_3gpuE3ELNS1_3repE0EEENS1_30default_config_static_selectorELNS0_4arch9wavefront6targetE1EEEvT1_: ; @_ZN7rocprim17ROCPRIM_400000_NS6detail17trampoline_kernelINS0_14default_configENS1_25transform_config_selectorIlLb0EEEZNS1_14transform_implILb0ES3_S5_NS0_18transform_iteratorINS0_17counting_iteratorImlEEZNS1_24adjacent_difference_implIS3_Lb1ELb0EPlSB_ZN2at6native12_GLOBAL__N_124unique_dim_cuda_templateIN3c104HalfEEESt5tupleIJNSC_6TensorESJ_SJ_EERKSJ_lbbbEUlllE1_EE10hipError_tPvRmT2_T3_mT4_P12ihipStream_tbEUlmE_lEESB_NS0_8identityIvEEEESO_SR_SS_mST_SV_bEUlT_E_NS1_11comp_targetILNS1_3genE9ELNS1_11target_archE1100ELNS1_3gpuE3ELNS1_3repE0EEENS1_30default_config_static_selectorELNS0_4arch9wavefront6targetE1EEEvT1_
; %bb.0:
	.section	.rodata,"a",@progbits
	.p2align	6, 0x0
	.amdhsa_kernel _ZN7rocprim17ROCPRIM_400000_NS6detail17trampoline_kernelINS0_14default_configENS1_25transform_config_selectorIlLb0EEEZNS1_14transform_implILb0ES3_S5_NS0_18transform_iteratorINS0_17counting_iteratorImlEEZNS1_24adjacent_difference_implIS3_Lb1ELb0EPlSB_ZN2at6native12_GLOBAL__N_124unique_dim_cuda_templateIN3c104HalfEEESt5tupleIJNSC_6TensorESJ_SJ_EERKSJ_lbbbEUlllE1_EE10hipError_tPvRmT2_T3_mT4_P12ihipStream_tbEUlmE_lEESB_NS0_8identityIvEEEESO_SR_SS_mST_SV_bEUlT_E_NS1_11comp_targetILNS1_3genE9ELNS1_11target_archE1100ELNS1_3gpuE3ELNS1_3repE0EEENS1_30default_config_static_selectorELNS0_4arch9wavefront6targetE1EEEvT1_
		.amdhsa_group_segment_fixed_size 0
		.amdhsa_private_segment_fixed_size 0
		.amdhsa_kernarg_size 56
		.amdhsa_user_sgpr_count 2
		.amdhsa_user_sgpr_dispatch_ptr 0
		.amdhsa_user_sgpr_queue_ptr 0
		.amdhsa_user_sgpr_kernarg_segment_ptr 1
		.amdhsa_user_sgpr_dispatch_id 0
		.amdhsa_user_sgpr_kernarg_preload_length 0
		.amdhsa_user_sgpr_kernarg_preload_offset 0
		.amdhsa_user_sgpr_private_segment_size 0
		.amdhsa_uses_dynamic_stack 0
		.amdhsa_enable_private_segment 0
		.amdhsa_system_sgpr_workgroup_id_x 1
		.amdhsa_system_sgpr_workgroup_id_y 0
		.amdhsa_system_sgpr_workgroup_id_z 0
		.amdhsa_system_sgpr_workgroup_info 0
		.amdhsa_system_vgpr_workitem_id 0
		.amdhsa_next_free_vgpr 1
		.amdhsa_next_free_sgpr 0
		.amdhsa_accum_offset 4
		.amdhsa_reserve_vcc 0
		.amdhsa_float_round_mode_32 0
		.amdhsa_float_round_mode_16_64 0
		.amdhsa_float_denorm_mode_32 3
		.amdhsa_float_denorm_mode_16_64 3
		.amdhsa_dx10_clamp 1
		.amdhsa_ieee_mode 1
		.amdhsa_fp16_overflow 0
		.amdhsa_tg_split 0
		.amdhsa_exception_fp_ieee_invalid_op 0
		.amdhsa_exception_fp_denorm_src 0
		.amdhsa_exception_fp_ieee_div_zero 0
		.amdhsa_exception_fp_ieee_overflow 0
		.amdhsa_exception_fp_ieee_underflow 0
		.amdhsa_exception_fp_ieee_inexact 0
		.amdhsa_exception_int_div_zero 0
	.end_amdhsa_kernel
	.section	.text._ZN7rocprim17ROCPRIM_400000_NS6detail17trampoline_kernelINS0_14default_configENS1_25transform_config_selectorIlLb0EEEZNS1_14transform_implILb0ES3_S5_NS0_18transform_iteratorINS0_17counting_iteratorImlEEZNS1_24adjacent_difference_implIS3_Lb1ELb0EPlSB_ZN2at6native12_GLOBAL__N_124unique_dim_cuda_templateIN3c104HalfEEESt5tupleIJNSC_6TensorESJ_SJ_EERKSJ_lbbbEUlllE1_EE10hipError_tPvRmT2_T3_mT4_P12ihipStream_tbEUlmE_lEESB_NS0_8identityIvEEEESO_SR_SS_mST_SV_bEUlT_E_NS1_11comp_targetILNS1_3genE9ELNS1_11target_archE1100ELNS1_3gpuE3ELNS1_3repE0EEENS1_30default_config_static_selectorELNS0_4arch9wavefront6targetE1EEEvT1_,"axG",@progbits,_ZN7rocprim17ROCPRIM_400000_NS6detail17trampoline_kernelINS0_14default_configENS1_25transform_config_selectorIlLb0EEEZNS1_14transform_implILb0ES3_S5_NS0_18transform_iteratorINS0_17counting_iteratorImlEEZNS1_24adjacent_difference_implIS3_Lb1ELb0EPlSB_ZN2at6native12_GLOBAL__N_124unique_dim_cuda_templateIN3c104HalfEEESt5tupleIJNSC_6TensorESJ_SJ_EERKSJ_lbbbEUlllE1_EE10hipError_tPvRmT2_T3_mT4_P12ihipStream_tbEUlmE_lEESB_NS0_8identityIvEEEESO_SR_SS_mST_SV_bEUlT_E_NS1_11comp_targetILNS1_3genE9ELNS1_11target_archE1100ELNS1_3gpuE3ELNS1_3repE0EEENS1_30default_config_static_selectorELNS0_4arch9wavefront6targetE1EEEvT1_,comdat
.Lfunc_end1287:
	.size	_ZN7rocprim17ROCPRIM_400000_NS6detail17trampoline_kernelINS0_14default_configENS1_25transform_config_selectorIlLb0EEEZNS1_14transform_implILb0ES3_S5_NS0_18transform_iteratorINS0_17counting_iteratorImlEEZNS1_24adjacent_difference_implIS3_Lb1ELb0EPlSB_ZN2at6native12_GLOBAL__N_124unique_dim_cuda_templateIN3c104HalfEEESt5tupleIJNSC_6TensorESJ_SJ_EERKSJ_lbbbEUlllE1_EE10hipError_tPvRmT2_T3_mT4_P12ihipStream_tbEUlmE_lEESB_NS0_8identityIvEEEESO_SR_SS_mST_SV_bEUlT_E_NS1_11comp_targetILNS1_3genE9ELNS1_11target_archE1100ELNS1_3gpuE3ELNS1_3repE0EEENS1_30default_config_static_selectorELNS0_4arch9wavefront6targetE1EEEvT1_, .Lfunc_end1287-_ZN7rocprim17ROCPRIM_400000_NS6detail17trampoline_kernelINS0_14default_configENS1_25transform_config_selectorIlLb0EEEZNS1_14transform_implILb0ES3_S5_NS0_18transform_iteratorINS0_17counting_iteratorImlEEZNS1_24adjacent_difference_implIS3_Lb1ELb0EPlSB_ZN2at6native12_GLOBAL__N_124unique_dim_cuda_templateIN3c104HalfEEESt5tupleIJNSC_6TensorESJ_SJ_EERKSJ_lbbbEUlllE1_EE10hipError_tPvRmT2_T3_mT4_P12ihipStream_tbEUlmE_lEESB_NS0_8identityIvEEEESO_SR_SS_mST_SV_bEUlT_E_NS1_11comp_targetILNS1_3genE9ELNS1_11target_archE1100ELNS1_3gpuE3ELNS1_3repE0EEENS1_30default_config_static_selectorELNS0_4arch9wavefront6targetE1EEEvT1_
                                        ; -- End function
	.set _ZN7rocprim17ROCPRIM_400000_NS6detail17trampoline_kernelINS0_14default_configENS1_25transform_config_selectorIlLb0EEEZNS1_14transform_implILb0ES3_S5_NS0_18transform_iteratorINS0_17counting_iteratorImlEEZNS1_24adjacent_difference_implIS3_Lb1ELb0EPlSB_ZN2at6native12_GLOBAL__N_124unique_dim_cuda_templateIN3c104HalfEEESt5tupleIJNSC_6TensorESJ_SJ_EERKSJ_lbbbEUlllE1_EE10hipError_tPvRmT2_T3_mT4_P12ihipStream_tbEUlmE_lEESB_NS0_8identityIvEEEESO_SR_SS_mST_SV_bEUlT_E_NS1_11comp_targetILNS1_3genE9ELNS1_11target_archE1100ELNS1_3gpuE3ELNS1_3repE0EEENS1_30default_config_static_selectorELNS0_4arch9wavefront6targetE1EEEvT1_.num_vgpr, 0
	.set _ZN7rocprim17ROCPRIM_400000_NS6detail17trampoline_kernelINS0_14default_configENS1_25transform_config_selectorIlLb0EEEZNS1_14transform_implILb0ES3_S5_NS0_18transform_iteratorINS0_17counting_iteratorImlEEZNS1_24adjacent_difference_implIS3_Lb1ELb0EPlSB_ZN2at6native12_GLOBAL__N_124unique_dim_cuda_templateIN3c104HalfEEESt5tupleIJNSC_6TensorESJ_SJ_EERKSJ_lbbbEUlllE1_EE10hipError_tPvRmT2_T3_mT4_P12ihipStream_tbEUlmE_lEESB_NS0_8identityIvEEEESO_SR_SS_mST_SV_bEUlT_E_NS1_11comp_targetILNS1_3genE9ELNS1_11target_archE1100ELNS1_3gpuE3ELNS1_3repE0EEENS1_30default_config_static_selectorELNS0_4arch9wavefront6targetE1EEEvT1_.num_agpr, 0
	.set _ZN7rocprim17ROCPRIM_400000_NS6detail17trampoline_kernelINS0_14default_configENS1_25transform_config_selectorIlLb0EEEZNS1_14transform_implILb0ES3_S5_NS0_18transform_iteratorINS0_17counting_iteratorImlEEZNS1_24adjacent_difference_implIS3_Lb1ELb0EPlSB_ZN2at6native12_GLOBAL__N_124unique_dim_cuda_templateIN3c104HalfEEESt5tupleIJNSC_6TensorESJ_SJ_EERKSJ_lbbbEUlllE1_EE10hipError_tPvRmT2_T3_mT4_P12ihipStream_tbEUlmE_lEESB_NS0_8identityIvEEEESO_SR_SS_mST_SV_bEUlT_E_NS1_11comp_targetILNS1_3genE9ELNS1_11target_archE1100ELNS1_3gpuE3ELNS1_3repE0EEENS1_30default_config_static_selectorELNS0_4arch9wavefront6targetE1EEEvT1_.numbered_sgpr, 0
	.set _ZN7rocprim17ROCPRIM_400000_NS6detail17trampoline_kernelINS0_14default_configENS1_25transform_config_selectorIlLb0EEEZNS1_14transform_implILb0ES3_S5_NS0_18transform_iteratorINS0_17counting_iteratorImlEEZNS1_24adjacent_difference_implIS3_Lb1ELb0EPlSB_ZN2at6native12_GLOBAL__N_124unique_dim_cuda_templateIN3c104HalfEEESt5tupleIJNSC_6TensorESJ_SJ_EERKSJ_lbbbEUlllE1_EE10hipError_tPvRmT2_T3_mT4_P12ihipStream_tbEUlmE_lEESB_NS0_8identityIvEEEESO_SR_SS_mST_SV_bEUlT_E_NS1_11comp_targetILNS1_3genE9ELNS1_11target_archE1100ELNS1_3gpuE3ELNS1_3repE0EEENS1_30default_config_static_selectorELNS0_4arch9wavefront6targetE1EEEvT1_.num_named_barrier, 0
	.set _ZN7rocprim17ROCPRIM_400000_NS6detail17trampoline_kernelINS0_14default_configENS1_25transform_config_selectorIlLb0EEEZNS1_14transform_implILb0ES3_S5_NS0_18transform_iteratorINS0_17counting_iteratorImlEEZNS1_24adjacent_difference_implIS3_Lb1ELb0EPlSB_ZN2at6native12_GLOBAL__N_124unique_dim_cuda_templateIN3c104HalfEEESt5tupleIJNSC_6TensorESJ_SJ_EERKSJ_lbbbEUlllE1_EE10hipError_tPvRmT2_T3_mT4_P12ihipStream_tbEUlmE_lEESB_NS0_8identityIvEEEESO_SR_SS_mST_SV_bEUlT_E_NS1_11comp_targetILNS1_3genE9ELNS1_11target_archE1100ELNS1_3gpuE3ELNS1_3repE0EEENS1_30default_config_static_selectorELNS0_4arch9wavefront6targetE1EEEvT1_.private_seg_size, 0
	.set _ZN7rocprim17ROCPRIM_400000_NS6detail17trampoline_kernelINS0_14default_configENS1_25transform_config_selectorIlLb0EEEZNS1_14transform_implILb0ES3_S5_NS0_18transform_iteratorINS0_17counting_iteratorImlEEZNS1_24adjacent_difference_implIS3_Lb1ELb0EPlSB_ZN2at6native12_GLOBAL__N_124unique_dim_cuda_templateIN3c104HalfEEESt5tupleIJNSC_6TensorESJ_SJ_EERKSJ_lbbbEUlllE1_EE10hipError_tPvRmT2_T3_mT4_P12ihipStream_tbEUlmE_lEESB_NS0_8identityIvEEEESO_SR_SS_mST_SV_bEUlT_E_NS1_11comp_targetILNS1_3genE9ELNS1_11target_archE1100ELNS1_3gpuE3ELNS1_3repE0EEENS1_30default_config_static_selectorELNS0_4arch9wavefront6targetE1EEEvT1_.uses_vcc, 0
	.set _ZN7rocprim17ROCPRIM_400000_NS6detail17trampoline_kernelINS0_14default_configENS1_25transform_config_selectorIlLb0EEEZNS1_14transform_implILb0ES3_S5_NS0_18transform_iteratorINS0_17counting_iteratorImlEEZNS1_24adjacent_difference_implIS3_Lb1ELb0EPlSB_ZN2at6native12_GLOBAL__N_124unique_dim_cuda_templateIN3c104HalfEEESt5tupleIJNSC_6TensorESJ_SJ_EERKSJ_lbbbEUlllE1_EE10hipError_tPvRmT2_T3_mT4_P12ihipStream_tbEUlmE_lEESB_NS0_8identityIvEEEESO_SR_SS_mST_SV_bEUlT_E_NS1_11comp_targetILNS1_3genE9ELNS1_11target_archE1100ELNS1_3gpuE3ELNS1_3repE0EEENS1_30default_config_static_selectorELNS0_4arch9wavefront6targetE1EEEvT1_.uses_flat_scratch, 0
	.set _ZN7rocprim17ROCPRIM_400000_NS6detail17trampoline_kernelINS0_14default_configENS1_25transform_config_selectorIlLb0EEEZNS1_14transform_implILb0ES3_S5_NS0_18transform_iteratorINS0_17counting_iteratorImlEEZNS1_24adjacent_difference_implIS3_Lb1ELb0EPlSB_ZN2at6native12_GLOBAL__N_124unique_dim_cuda_templateIN3c104HalfEEESt5tupleIJNSC_6TensorESJ_SJ_EERKSJ_lbbbEUlllE1_EE10hipError_tPvRmT2_T3_mT4_P12ihipStream_tbEUlmE_lEESB_NS0_8identityIvEEEESO_SR_SS_mST_SV_bEUlT_E_NS1_11comp_targetILNS1_3genE9ELNS1_11target_archE1100ELNS1_3gpuE3ELNS1_3repE0EEENS1_30default_config_static_selectorELNS0_4arch9wavefront6targetE1EEEvT1_.has_dyn_sized_stack, 0
	.set _ZN7rocprim17ROCPRIM_400000_NS6detail17trampoline_kernelINS0_14default_configENS1_25transform_config_selectorIlLb0EEEZNS1_14transform_implILb0ES3_S5_NS0_18transform_iteratorINS0_17counting_iteratorImlEEZNS1_24adjacent_difference_implIS3_Lb1ELb0EPlSB_ZN2at6native12_GLOBAL__N_124unique_dim_cuda_templateIN3c104HalfEEESt5tupleIJNSC_6TensorESJ_SJ_EERKSJ_lbbbEUlllE1_EE10hipError_tPvRmT2_T3_mT4_P12ihipStream_tbEUlmE_lEESB_NS0_8identityIvEEEESO_SR_SS_mST_SV_bEUlT_E_NS1_11comp_targetILNS1_3genE9ELNS1_11target_archE1100ELNS1_3gpuE3ELNS1_3repE0EEENS1_30default_config_static_selectorELNS0_4arch9wavefront6targetE1EEEvT1_.has_recursion, 0
	.set _ZN7rocprim17ROCPRIM_400000_NS6detail17trampoline_kernelINS0_14default_configENS1_25transform_config_selectorIlLb0EEEZNS1_14transform_implILb0ES3_S5_NS0_18transform_iteratorINS0_17counting_iteratorImlEEZNS1_24adjacent_difference_implIS3_Lb1ELb0EPlSB_ZN2at6native12_GLOBAL__N_124unique_dim_cuda_templateIN3c104HalfEEESt5tupleIJNSC_6TensorESJ_SJ_EERKSJ_lbbbEUlllE1_EE10hipError_tPvRmT2_T3_mT4_P12ihipStream_tbEUlmE_lEESB_NS0_8identityIvEEEESO_SR_SS_mST_SV_bEUlT_E_NS1_11comp_targetILNS1_3genE9ELNS1_11target_archE1100ELNS1_3gpuE3ELNS1_3repE0EEENS1_30default_config_static_selectorELNS0_4arch9wavefront6targetE1EEEvT1_.has_indirect_call, 0
	.section	.AMDGPU.csdata,"",@progbits
; Kernel info:
; codeLenInByte = 0
; TotalNumSgprs: 6
; NumVgprs: 0
; NumAgprs: 0
; TotalNumVgprs: 0
; ScratchSize: 0
; MemoryBound: 0
; FloatMode: 240
; IeeeMode: 1
; LDSByteSize: 0 bytes/workgroup (compile time only)
; SGPRBlocks: 0
; VGPRBlocks: 0
; NumSGPRsForWavesPerEU: 6
; NumVGPRsForWavesPerEU: 1
; AccumOffset: 4
; Occupancy: 8
; WaveLimiterHint : 0
; COMPUTE_PGM_RSRC2:SCRATCH_EN: 0
; COMPUTE_PGM_RSRC2:USER_SGPR: 2
; COMPUTE_PGM_RSRC2:TRAP_HANDLER: 0
; COMPUTE_PGM_RSRC2:TGID_X_EN: 1
; COMPUTE_PGM_RSRC2:TGID_Y_EN: 0
; COMPUTE_PGM_RSRC2:TGID_Z_EN: 0
; COMPUTE_PGM_RSRC2:TIDIG_COMP_CNT: 0
; COMPUTE_PGM_RSRC3_GFX90A:ACCUM_OFFSET: 0
; COMPUTE_PGM_RSRC3_GFX90A:TG_SPLIT: 0
	.section	.text._ZN7rocprim17ROCPRIM_400000_NS6detail17trampoline_kernelINS0_14default_configENS1_25transform_config_selectorIlLb0EEEZNS1_14transform_implILb0ES3_S5_NS0_18transform_iteratorINS0_17counting_iteratorImlEEZNS1_24adjacent_difference_implIS3_Lb1ELb0EPlSB_ZN2at6native12_GLOBAL__N_124unique_dim_cuda_templateIN3c104HalfEEESt5tupleIJNSC_6TensorESJ_SJ_EERKSJ_lbbbEUlllE1_EE10hipError_tPvRmT2_T3_mT4_P12ihipStream_tbEUlmE_lEESB_NS0_8identityIvEEEESO_SR_SS_mST_SV_bEUlT_E_NS1_11comp_targetILNS1_3genE8ELNS1_11target_archE1030ELNS1_3gpuE2ELNS1_3repE0EEENS1_30default_config_static_selectorELNS0_4arch9wavefront6targetE1EEEvT1_,"axG",@progbits,_ZN7rocprim17ROCPRIM_400000_NS6detail17trampoline_kernelINS0_14default_configENS1_25transform_config_selectorIlLb0EEEZNS1_14transform_implILb0ES3_S5_NS0_18transform_iteratorINS0_17counting_iteratorImlEEZNS1_24adjacent_difference_implIS3_Lb1ELb0EPlSB_ZN2at6native12_GLOBAL__N_124unique_dim_cuda_templateIN3c104HalfEEESt5tupleIJNSC_6TensorESJ_SJ_EERKSJ_lbbbEUlllE1_EE10hipError_tPvRmT2_T3_mT4_P12ihipStream_tbEUlmE_lEESB_NS0_8identityIvEEEESO_SR_SS_mST_SV_bEUlT_E_NS1_11comp_targetILNS1_3genE8ELNS1_11target_archE1030ELNS1_3gpuE2ELNS1_3repE0EEENS1_30default_config_static_selectorELNS0_4arch9wavefront6targetE1EEEvT1_,comdat
	.globl	_ZN7rocprim17ROCPRIM_400000_NS6detail17trampoline_kernelINS0_14default_configENS1_25transform_config_selectorIlLb0EEEZNS1_14transform_implILb0ES3_S5_NS0_18transform_iteratorINS0_17counting_iteratorImlEEZNS1_24adjacent_difference_implIS3_Lb1ELb0EPlSB_ZN2at6native12_GLOBAL__N_124unique_dim_cuda_templateIN3c104HalfEEESt5tupleIJNSC_6TensorESJ_SJ_EERKSJ_lbbbEUlllE1_EE10hipError_tPvRmT2_T3_mT4_P12ihipStream_tbEUlmE_lEESB_NS0_8identityIvEEEESO_SR_SS_mST_SV_bEUlT_E_NS1_11comp_targetILNS1_3genE8ELNS1_11target_archE1030ELNS1_3gpuE2ELNS1_3repE0EEENS1_30default_config_static_selectorELNS0_4arch9wavefront6targetE1EEEvT1_ ; -- Begin function _ZN7rocprim17ROCPRIM_400000_NS6detail17trampoline_kernelINS0_14default_configENS1_25transform_config_selectorIlLb0EEEZNS1_14transform_implILb0ES3_S5_NS0_18transform_iteratorINS0_17counting_iteratorImlEEZNS1_24adjacent_difference_implIS3_Lb1ELb0EPlSB_ZN2at6native12_GLOBAL__N_124unique_dim_cuda_templateIN3c104HalfEEESt5tupleIJNSC_6TensorESJ_SJ_EERKSJ_lbbbEUlllE1_EE10hipError_tPvRmT2_T3_mT4_P12ihipStream_tbEUlmE_lEESB_NS0_8identityIvEEEESO_SR_SS_mST_SV_bEUlT_E_NS1_11comp_targetILNS1_3genE8ELNS1_11target_archE1030ELNS1_3gpuE2ELNS1_3repE0EEENS1_30default_config_static_selectorELNS0_4arch9wavefront6targetE1EEEvT1_
	.p2align	8
	.type	_ZN7rocprim17ROCPRIM_400000_NS6detail17trampoline_kernelINS0_14default_configENS1_25transform_config_selectorIlLb0EEEZNS1_14transform_implILb0ES3_S5_NS0_18transform_iteratorINS0_17counting_iteratorImlEEZNS1_24adjacent_difference_implIS3_Lb1ELb0EPlSB_ZN2at6native12_GLOBAL__N_124unique_dim_cuda_templateIN3c104HalfEEESt5tupleIJNSC_6TensorESJ_SJ_EERKSJ_lbbbEUlllE1_EE10hipError_tPvRmT2_T3_mT4_P12ihipStream_tbEUlmE_lEESB_NS0_8identityIvEEEESO_SR_SS_mST_SV_bEUlT_E_NS1_11comp_targetILNS1_3genE8ELNS1_11target_archE1030ELNS1_3gpuE2ELNS1_3repE0EEENS1_30default_config_static_selectorELNS0_4arch9wavefront6targetE1EEEvT1_,@function
_ZN7rocprim17ROCPRIM_400000_NS6detail17trampoline_kernelINS0_14default_configENS1_25transform_config_selectorIlLb0EEEZNS1_14transform_implILb0ES3_S5_NS0_18transform_iteratorINS0_17counting_iteratorImlEEZNS1_24adjacent_difference_implIS3_Lb1ELb0EPlSB_ZN2at6native12_GLOBAL__N_124unique_dim_cuda_templateIN3c104HalfEEESt5tupleIJNSC_6TensorESJ_SJ_EERKSJ_lbbbEUlllE1_EE10hipError_tPvRmT2_T3_mT4_P12ihipStream_tbEUlmE_lEESB_NS0_8identityIvEEEESO_SR_SS_mST_SV_bEUlT_E_NS1_11comp_targetILNS1_3genE8ELNS1_11target_archE1030ELNS1_3gpuE2ELNS1_3repE0EEENS1_30default_config_static_selectorELNS0_4arch9wavefront6targetE1EEEvT1_: ; @_ZN7rocprim17ROCPRIM_400000_NS6detail17trampoline_kernelINS0_14default_configENS1_25transform_config_selectorIlLb0EEEZNS1_14transform_implILb0ES3_S5_NS0_18transform_iteratorINS0_17counting_iteratorImlEEZNS1_24adjacent_difference_implIS3_Lb1ELb0EPlSB_ZN2at6native12_GLOBAL__N_124unique_dim_cuda_templateIN3c104HalfEEESt5tupleIJNSC_6TensorESJ_SJ_EERKSJ_lbbbEUlllE1_EE10hipError_tPvRmT2_T3_mT4_P12ihipStream_tbEUlmE_lEESB_NS0_8identityIvEEEESO_SR_SS_mST_SV_bEUlT_E_NS1_11comp_targetILNS1_3genE8ELNS1_11target_archE1030ELNS1_3gpuE2ELNS1_3repE0EEENS1_30default_config_static_selectorELNS0_4arch9wavefront6targetE1EEEvT1_
; %bb.0:
	.section	.rodata,"a",@progbits
	.p2align	6, 0x0
	.amdhsa_kernel _ZN7rocprim17ROCPRIM_400000_NS6detail17trampoline_kernelINS0_14default_configENS1_25transform_config_selectorIlLb0EEEZNS1_14transform_implILb0ES3_S5_NS0_18transform_iteratorINS0_17counting_iteratorImlEEZNS1_24adjacent_difference_implIS3_Lb1ELb0EPlSB_ZN2at6native12_GLOBAL__N_124unique_dim_cuda_templateIN3c104HalfEEESt5tupleIJNSC_6TensorESJ_SJ_EERKSJ_lbbbEUlllE1_EE10hipError_tPvRmT2_T3_mT4_P12ihipStream_tbEUlmE_lEESB_NS0_8identityIvEEEESO_SR_SS_mST_SV_bEUlT_E_NS1_11comp_targetILNS1_3genE8ELNS1_11target_archE1030ELNS1_3gpuE2ELNS1_3repE0EEENS1_30default_config_static_selectorELNS0_4arch9wavefront6targetE1EEEvT1_
		.amdhsa_group_segment_fixed_size 0
		.amdhsa_private_segment_fixed_size 0
		.amdhsa_kernarg_size 56
		.amdhsa_user_sgpr_count 2
		.amdhsa_user_sgpr_dispatch_ptr 0
		.amdhsa_user_sgpr_queue_ptr 0
		.amdhsa_user_sgpr_kernarg_segment_ptr 1
		.amdhsa_user_sgpr_dispatch_id 0
		.amdhsa_user_sgpr_kernarg_preload_length 0
		.amdhsa_user_sgpr_kernarg_preload_offset 0
		.amdhsa_user_sgpr_private_segment_size 0
		.amdhsa_uses_dynamic_stack 0
		.amdhsa_enable_private_segment 0
		.amdhsa_system_sgpr_workgroup_id_x 1
		.amdhsa_system_sgpr_workgroup_id_y 0
		.amdhsa_system_sgpr_workgroup_id_z 0
		.amdhsa_system_sgpr_workgroup_info 0
		.amdhsa_system_vgpr_workitem_id 0
		.amdhsa_next_free_vgpr 1
		.amdhsa_next_free_sgpr 0
		.amdhsa_accum_offset 4
		.amdhsa_reserve_vcc 0
		.amdhsa_float_round_mode_32 0
		.amdhsa_float_round_mode_16_64 0
		.amdhsa_float_denorm_mode_32 3
		.amdhsa_float_denorm_mode_16_64 3
		.amdhsa_dx10_clamp 1
		.amdhsa_ieee_mode 1
		.amdhsa_fp16_overflow 0
		.amdhsa_tg_split 0
		.amdhsa_exception_fp_ieee_invalid_op 0
		.amdhsa_exception_fp_denorm_src 0
		.amdhsa_exception_fp_ieee_div_zero 0
		.amdhsa_exception_fp_ieee_overflow 0
		.amdhsa_exception_fp_ieee_underflow 0
		.amdhsa_exception_fp_ieee_inexact 0
		.amdhsa_exception_int_div_zero 0
	.end_amdhsa_kernel
	.section	.text._ZN7rocprim17ROCPRIM_400000_NS6detail17trampoline_kernelINS0_14default_configENS1_25transform_config_selectorIlLb0EEEZNS1_14transform_implILb0ES3_S5_NS0_18transform_iteratorINS0_17counting_iteratorImlEEZNS1_24adjacent_difference_implIS3_Lb1ELb0EPlSB_ZN2at6native12_GLOBAL__N_124unique_dim_cuda_templateIN3c104HalfEEESt5tupleIJNSC_6TensorESJ_SJ_EERKSJ_lbbbEUlllE1_EE10hipError_tPvRmT2_T3_mT4_P12ihipStream_tbEUlmE_lEESB_NS0_8identityIvEEEESO_SR_SS_mST_SV_bEUlT_E_NS1_11comp_targetILNS1_3genE8ELNS1_11target_archE1030ELNS1_3gpuE2ELNS1_3repE0EEENS1_30default_config_static_selectorELNS0_4arch9wavefront6targetE1EEEvT1_,"axG",@progbits,_ZN7rocprim17ROCPRIM_400000_NS6detail17trampoline_kernelINS0_14default_configENS1_25transform_config_selectorIlLb0EEEZNS1_14transform_implILb0ES3_S5_NS0_18transform_iteratorINS0_17counting_iteratorImlEEZNS1_24adjacent_difference_implIS3_Lb1ELb0EPlSB_ZN2at6native12_GLOBAL__N_124unique_dim_cuda_templateIN3c104HalfEEESt5tupleIJNSC_6TensorESJ_SJ_EERKSJ_lbbbEUlllE1_EE10hipError_tPvRmT2_T3_mT4_P12ihipStream_tbEUlmE_lEESB_NS0_8identityIvEEEESO_SR_SS_mST_SV_bEUlT_E_NS1_11comp_targetILNS1_3genE8ELNS1_11target_archE1030ELNS1_3gpuE2ELNS1_3repE0EEENS1_30default_config_static_selectorELNS0_4arch9wavefront6targetE1EEEvT1_,comdat
.Lfunc_end1288:
	.size	_ZN7rocprim17ROCPRIM_400000_NS6detail17trampoline_kernelINS0_14default_configENS1_25transform_config_selectorIlLb0EEEZNS1_14transform_implILb0ES3_S5_NS0_18transform_iteratorINS0_17counting_iteratorImlEEZNS1_24adjacent_difference_implIS3_Lb1ELb0EPlSB_ZN2at6native12_GLOBAL__N_124unique_dim_cuda_templateIN3c104HalfEEESt5tupleIJNSC_6TensorESJ_SJ_EERKSJ_lbbbEUlllE1_EE10hipError_tPvRmT2_T3_mT4_P12ihipStream_tbEUlmE_lEESB_NS0_8identityIvEEEESO_SR_SS_mST_SV_bEUlT_E_NS1_11comp_targetILNS1_3genE8ELNS1_11target_archE1030ELNS1_3gpuE2ELNS1_3repE0EEENS1_30default_config_static_selectorELNS0_4arch9wavefront6targetE1EEEvT1_, .Lfunc_end1288-_ZN7rocprim17ROCPRIM_400000_NS6detail17trampoline_kernelINS0_14default_configENS1_25transform_config_selectorIlLb0EEEZNS1_14transform_implILb0ES3_S5_NS0_18transform_iteratorINS0_17counting_iteratorImlEEZNS1_24adjacent_difference_implIS3_Lb1ELb0EPlSB_ZN2at6native12_GLOBAL__N_124unique_dim_cuda_templateIN3c104HalfEEESt5tupleIJNSC_6TensorESJ_SJ_EERKSJ_lbbbEUlllE1_EE10hipError_tPvRmT2_T3_mT4_P12ihipStream_tbEUlmE_lEESB_NS0_8identityIvEEEESO_SR_SS_mST_SV_bEUlT_E_NS1_11comp_targetILNS1_3genE8ELNS1_11target_archE1030ELNS1_3gpuE2ELNS1_3repE0EEENS1_30default_config_static_selectorELNS0_4arch9wavefront6targetE1EEEvT1_
                                        ; -- End function
	.set _ZN7rocprim17ROCPRIM_400000_NS6detail17trampoline_kernelINS0_14default_configENS1_25transform_config_selectorIlLb0EEEZNS1_14transform_implILb0ES3_S5_NS0_18transform_iteratorINS0_17counting_iteratorImlEEZNS1_24adjacent_difference_implIS3_Lb1ELb0EPlSB_ZN2at6native12_GLOBAL__N_124unique_dim_cuda_templateIN3c104HalfEEESt5tupleIJNSC_6TensorESJ_SJ_EERKSJ_lbbbEUlllE1_EE10hipError_tPvRmT2_T3_mT4_P12ihipStream_tbEUlmE_lEESB_NS0_8identityIvEEEESO_SR_SS_mST_SV_bEUlT_E_NS1_11comp_targetILNS1_3genE8ELNS1_11target_archE1030ELNS1_3gpuE2ELNS1_3repE0EEENS1_30default_config_static_selectorELNS0_4arch9wavefront6targetE1EEEvT1_.num_vgpr, 0
	.set _ZN7rocprim17ROCPRIM_400000_NS6detail17trampoline_kernelINS0_14default_configENS1_25transform_config_selectorIlLb0EEEZNS1_14transform_implILb0ES3_S5_NS0_18transform_iteratorINS0_17counting_iteratorImlEEZNS1_24adjacent_difference_implIS3_Lb1ELb0EPlSB_ZN2at6native12_GLOBAL__N_124unique_dim_cuda_templateIN3c104HalfEEESt5tupleIJNSC_6TensorESJ_SJ_EERKSJ_lbbbEUlllE1_EE10hipError_tPvRmT2_T3_mT4_P12ihipStream_tbEUlmE_lEESB_NS0_8identityIvEEEESO_SR_SS_mST_SV_bEUlT_E_NS1_11comp_targetILNS1_3genE8ELNS1_11target_archE1030ELNS1_3gpuE2ELNS1_3repE0EEENS1_30default_config_static_selectorELNS0_4arch9wavefront6targetE1EEEvT1_.num_agpr, 0
	.set _ZN7rocprim17ROCPRIM_400000_NS6detail17trampoline_kernelINS0_14default_configENS1_25transform_config_selectorIlLb0EEEZNS1_14transform_implILb0ES3_S5_NS0_18transform_iteratorINS0_17counting_iteratorImlEEZNS1_24adjacent_difference_implIS3_Lb1ELb0EPlSB_ZN2at6native12_GLOBAL__N_124unique_dim_cuda_templateIN3c104HalfEEESt5tupleIJNSC_6TensorESJ_SJ_EERKSJ_lbbbEUlllE1_EE10hipError_tPvRmT2_T3_mT4_P12ihipStream_tbEUlmE_lEESB_NS0_8identityIvEEEESO_SR_SS_mST_SV_bEUlT_E_NS1_11comp_targetILNS1_3genE8ELNS1_11target_archE1030ELNS1_3gpuE2ELNS1_3repE0EEENS1_30default_config_static_selectorELNS0_4arch9wavefront6targetE1EEEvT1_.numbered_sgpr, 0
	.set _ZN7rocprim17ROCPRIM_400000_NS6detail17trampoline_kernelINS0_14default_configENS1_25transform_config_selectorIlLb0EEEZNS1_14transform_implILb0ES3_S5_NS0_18transform_iteratorINS0_17counting_iteratorImlEEZNS1_24adjacent_difference_implIS3_Lb1ELb0EPlSB_ZN2at6native12_GLOBAL__N_124unique_dim_cuda_templateIN3c104HalfEEESt5tupleIJNSC_6TensorESJ_SJ_EERKSJ_lbbbEUlllE1_EE10hipError_tPvRmT2_T3_mT4_P12ihipStream_tbEUlmE_lEESB_NS0_8identityIvEEEESO_SR_SS_mST_SV_bEUlT_E_NS1_11comp_targetILNS1_3genE8ELNS1_11target_archE1030ELNS1_3gpuE2ELNS1_3repE0EEENS1_30default_config_static_selectorELNS0_4arch9wavefront6targetE1EEEvT1_.num_named_barrier, 0
	.set _ZN7rocprim17ROCPRIM_400000_NS6detail17trampoline_kernelINS0_14default_configENS1_25transform_config_selectorIlLb0EEEZNS1_14transform_implILb0ES3_S5_NS0_18transform_iteratorINS0_17counting_iteratorImlEEZNS1_24adjacent_difference_implIS3_Lb1ELb0EPlSB_ZN2at6native12_GLOBAL__N_124unique_dim_cuda_templateIN3c104HalfEEESt5tupleIJNSC_6TensorESJ_SJ_EERKSJ_lbbbEUlllE1_EE10hipError_tPvRmT2_T3_mT4_P12ihipStream_tbEUlmE_lEESB_NS0_8identityIvEEEESO_SR_SS_mST_SV_bEUlT_E_NS1_11comp_targetILNS1_3genE8ELNS1_11target_archE1030ELNS1_3gpuE2ELNS1_3repE0EEENS1_30default_config_static_selectorELNS0_4arch9wavefront6targetE1EEEvT1_.private_seg_size, 0
	.set _ZN7rocprim17ROCPRIM_400000_NS6detail17trampoline_kernelINS0_14default_configENS1_25transform_config_selectorIlLb0EEEZNS1_14transform_implILb0ES3_S5_NS0_18transform_iteratorINS0_17counting_iteratorImlEEZNS1_24adjacent_difference_implIS3_Lb1ELb0EPlSB_ZN2at6native12_GLOBAL__N_124unique_dim_cuda_templateIN3c104HalfEEESt5tupleIJNSC_6TensorESJ_SJ_EERKSJ_lbbbEUlllE1_EE10hipError_tPvRmT2_T3_mT4_P12ihipStream_tbEUlmE_lEESB_NS0_8identityIvEEEESO_SR_SS_mST_SV_bEUlT_E_NS1_11comp_targetILNS1_3genE8ELNS1_11target_archE1030ELNS1_3gpuE2ELNS1_3repE0EEENS1_30default_config_static_selectorELNS0_4arch9wavefront6targetE1EEEvT1_.uses_vcc, 0
	.set _ZN7rocprim17ROCPRIM_400000_NS6detail17trampoline_kernelINS0_14default_configENS1_25transform_config_selectorIlLb0EEEZNS1_14transform_implILb0ES3_S5_NS0_18transform_iteratorINS0_17counting_iteratorImlEEZNS1_24adjacent_difference_implIS3_Lb1ELb0EPlSB_ZN2at6native12_GLOBAL__N_124unique_dim_cuda_templateIN3c104HalfEEESt5tupleIJNSC_6TensorESJ_SJ_EERKSJ_lbbbEUlllE1_EE10hipError_tPvRmT2_T3_mT4_P12ihipStream_tbEUlmE_lEESB_NS0_8identityIvEEEESO_SR_SS_mST_SV_bEUlT_E_NS1_11comp_targetILNS1_3genE8ELNS1_11target_archE1030ELNS1_3gpuE2ELNS1_3repE0EEENS1_30default_config_static_selectorELNS0_4arch9wavefront6targetE1EEEvT1_.uses_flat_scratch, 0
	.set _ZN7rocprim17ROCPRIM_400000_NS6detail17trampoline_kernelINS0_14default_configENS1_25transform_config_selectorIlLb0EEEZNS1_14transform_implILb0ES3_S5_NS0_18transform_iteratorINS0_17counting_iteratorImlEEZNS1_24adjacent_difference_implIS3_Lb1ELb0EPlSB_ZN2at6native12_GLOBAL__N_124unique_dim_cuda_templateIN3c104HalfEEESt5tupleIJNSC_6TensorESJ_SJ_EERKSJ_lbbbEUlllE1_EE10hipError_tPvRmT2_T3_mT4_P12ihipStream_tbEUlmE_lEESB_NS0_8identityIvEEEESO_SR_SS_mST_SV_bEUlT_E_NS1_11comp_targetILNS1_3genE8ELNS1_11target_archE1030ELNS1_3gpuE2ELNS1_3repE0EEENS1_30default_config_static_selectorELNS0_4arch9wavefront6targetE1EEEvT1_.has_dyn_sized_stack, 0
	.set _ZN7rocprim17ROCPRIM_400000_NS6detail17trampoline_kernelINS0_14default_configENS1_25transform_config_selectorIlLb0EEEZNS1_14transform_implILb0ES3_S5_NS0_18transform_iteratorINS0_17counting_iteratorImlEEZNS1_24adjacent_difference_implIS3_Lb1ELb0EPlSB_ZN2at6native12_GLOBAL__N_124unique_dim_cuda_templateIN3c104HalfEEESt5tupleIJNSC_6TensorESJ_SJ_EERKSJ_lbbbEUlllE1_EE10hipError_tPvRmT2_T3_mT4_P12ihipStream_tbEUlmE_lEESB_NS0_8identityIvEEEESO_SR_SS_mST_SV_bEUlT_E_NS1_11comp_targetILNS1_3genE8ELNS1_11target_archE1030ELNS1_3gpuE2ELNS1_3repE0EEENS1_30default_config_static_selectorELNS0_4arch9wavefront6targetE1EEEvT1_.has_recursion, 0
	.set _ZN7rocprim17ROCPRIM_400000_NS6detail17trampoline_kernelINS0_14default_configENS1_25transform_config_selectorIlLb0EEEZNS1_14transform_implILb0ES3_S5_NS0_18transform_iteratorINS0_17counting_iteratorImlEEZNS1_24adjacent_difference_implIS3_Lb1ELb0EPlSB_ZN2at6native12_GLOBAL__N_124unique_dim_cuda_templateIN3c104HalfEEESt5tupleIJNSC_6TensorESJ_SJ_EERKSJ_lbbbEUlllE1_EE10hipError_tPvRmT2_T3_mT4_P12ihipStream_tbEUlmE_lEESB_NS0_8identityIvEEEESO_SR_SS_mST_SV_bEUlT_E_NS1_11comp_targetILNS1_3genE8ELNS1_11target_archE1030ELNS1_3gpuE2ELNS1_3repE0EEENS1_30default_config_static_selectorELNS0_4arch9wavefront6targetE1EEEvT1_.has_indirect_call, 0
	.section	.AMDGPU.csdata,"",@progbits
; Kernel info:
; codeLenInByte = 0
; TotalNumSgprs: 6
; NumVgprs: 0
; NumAgprs: 0
; TotalNumVgprs: 0
; ScratchSize: 0
; MemoryBound: 0
; FloatMode: 240
; IeeeMode: 1
; LDSByteSize: 0 bytes/workgroup (compile time only)
; SGPRBlocks: 0
; VGPRBlocks: 0
; NumSGPRsForWavesPerEU: 6
; NumVGPRsForWavesPerEU: 1
; AccumOffset: 4
; Occupancy: 8
; WaveLimiterHint : 0
; COMPUTE_PGM_RSRC2:SCRATCH_EN: 0
; COMPUTE_PGM_RSRC2:USER_SGPR: 2
; COMPUTE_PGM_RSRC2:TRAP_HANDLER: 0
; COMPUTE_PGM_RSRC2:TGID_X_EN: 1
; COMPUTE_PGM_RSRC2:TGID_Y_EN: 0
; COMPUTE_PGM_RSRC2:TGID_Z_EN: 0
; COMPUTE_PGM_RSRC2:TIDIG_COMP_CNT: 0
; COMPUTE_PGM_RSRC3_GFX90A:ACCUM_OFFSET: 0
; COMPUTE_PGM_RSRC3_GFX90A:TG_SPLIT: 0
	.section	.text._ZN7rocprim17ROCPRIM_400000_NS6detail17trampoline_kernelINS0_14default_configENS1_35adjacent_difference_config_selectorILb1ElEEZNS1_24adjacent_difference_implIS3_Lb1ELb0EPlS7_ZN2at6native12_GLOBAL__N_124unique_dim_cuda_templateIN3c104HalfEEESt5tupleIJNS8_6TensorESF_SF_EERKSF_lbbbEUlllE1_EE10hipError_tPvRmT2_T3_mT4_P12ihipStream_tbEUlT_E_NS1_11comp_targetILNS1_3genE0ELNS1_11target_archE4294967295ELNS1_3gpuE0ELNS1_3repE0EEENS1_30default_config_static_selectorELNS0_4arch9wavefront6targetE1EEEvT1_,"axG",@progbits,_ZN7rocprim17ROCPRIM_400000_NS6detail17trampoline_kernelINS0_14default_configENS1_35adjacent_difference_config_selectorILb1ElEEZNS1_24adjacent_difference_implIS3_Lb1ELb0EPlS7_ZN2at6native12_GLOBAL__N_124unique_dim_cuda_templateIN3c104HalfEEESt5tupleIJNS8_6TensorESF_SF_EERKSF_lbbbEUlllE1_EE10hipError_tPvRmT2_T3_mT4_P12ihipStream_tbEUlT_E_NS1_11comp_targetILNS1_3genE0ELNS1_11target_archE4294967295ELNS1_3gpuE0ELNS1_3repE0EEENS1_30default_config_static_selectorELNS0_4arch9wavefront6targetE1EEEvT1_,comdat
	.globl	_ZN7rocprim17ROCPRIM_400000_NS6detail17trampoline_kernelINS0_14default_configENS1_35adjacent_difference_config_selectorILb1ElEEZNS1_24adjacent_difference_implIS3_Lb1ELb0EPlS7_ZN2at6native12_GLOBAL__N_124unique_dim_cuda_templateIN3c104HalfEEESt5tupleIJNS8_6TensorESF_SF_EERKSF_lbbbEUlllE1_EE10hipError_tPvRmT2_T3_mT4_P12ihipStream_tbEUlT_E_NS1_11comp_targetILNS1_3genE0ELNS1_11target_archE4294967295ELNS1_3gpuE0ELNS1_3repE0EEENS1_30default_config_static_selectorELNS0_4arch9wavefront6targetE1EEEvT1_ ; -- Begin function _ZN7rocprim17ROCPRIM_400000_NS6detail17trampoline_kernelINS0_14default_configENS1_35adjacent_difference_config_selectorILb1ElEEZNS1_24adjacent_difference_implIS3_Lb1ELb0EPlS7_ZN2at6native12_GLOBAL__N_124unique_dim_cuda_templateIN3c104HalfEEESt5tupleIJNS8_6TensorESF_SF_EERKSF_lbbbEUlllE1_EE10hipError_tPvRmT2_T3_mT4_P12ihipStream_tbEUlT_E_NS1_11comp_targetILNS1_3genE0ELNS1_11target_archE4294967295ELNS1_3gpuE0ELNS1_3repE0EEENS1_30default_config_static_selectorELNS0_4arch9wavefront6targetE1EEEvT1_
	.p2align	8
	.type	_ZN7rocprim17ROCPRIM_400000_NS6detail17trampoline_kernelINS0_14default_configENS1_35adjacent_difference_config_selectorILb1ElEEZNS1_24adjacent_difference_implIS3_Lb1ELb0EPlS7_ZN2at6native12_GLOBAL__N_124unique_dim_cuda_templateIN3c104HalfEEESt5tupleIJNS8_6TensorESF_SF_EERKSF_lbbbEUlllE1_EE10hipError_tPvRmT2_T3_mT4_P12ihipStream_tbEUlT_E_NS1_11comp_targetILNS1_3genE0ELNS1_11target_archE4294967295ELNS1_3gpuE0ELNS1_3repE0EEENS1_30default_config_static_selectorELNS0_4arch9wavefront6targetE1EEEvT1_,@function
_ZN7rocprim17ROCPRIM_400000_NS6detail17trampoline_kernelINS0_14default_configENS1_35adjacent_difference_config_selectorILb1ElEEZNS1_24adjacent_difference_implIS3_Lb1ELb0EPlS7_ZN2at6native12_GLOBAL__N_124unique_dim_cuda_templateIN3c104HalfEEESt5tupleIJNS8_6TensorESF_SF_EERKSF_lbbbEUlllE1_EE10hipError_tPvRmT2_T3_mT4_P12ihipStream_tbEUlT_E_NS1_11comp_targetILNS1_3genE0ELNS1_11target_archE4294967295ELNS1_3gpuE0ELNS1_3repE0EEENS1_30default_config_static_selectorELNS0_4arch9wavefront6targetE1EEEvT1_: ; @_ZN7rocprim17ROCPRIM_400000_NS6detail17trampoline_kernelINS0_14default_configENS1_35adjacent_difference_config_selectorILb1ElEEZNS1_24adjacent_difference_implIS3_Lb1ELb0EPlS7_ZN2at6native12_GLOBAL__N_124unique_dim_cuda_templateIN3c104HalfEEESt5tupleIJNS8_6TensorESF_SF_EERKSF_lbbbEUlllE1_EE10hipError_tPvRmT2_T3_mT4_P12ihipStream_tbEUlT_E_NS1_11comp_targetILNS1_3genE0ELNS1_11target_archE4294967295ELNS1_3gpuE0ELNS1_3repE0EEENS1_30default_config_static_selectorELNS0_4arch9wavefront6targetE1EEEvT1_
; %bb.0:
	s_load_dwordx16 s[4:19], s[0:1], 0x0
	s_mov_b32 s25, 0
	s_mov_b64 s[26:27], -1
	s_waitcnt lgkmcnt(0)
	s_lshl_b64 s[6:7], s[6:7], 3
	s_add_u32 s30, s4, s6
	s_addc_u32 s31, s5, s7
	s_lshl_b32 s4, s2, 10
	s_lshr_b64 s[0:1], s[10:11], 10
	s_and_b32 s24, s10, 0x3ff
	s_cmp_lg_u64 s[24:25], 0
	s_cselect_b64 s[20:21], -1, 0
	v_cndmask_b32_e64 v1, 0, 1, s[20:21]
	s_mov_b32 s24, s2
	v_readfirstlane_b32 s3, v1
	s_add_u32 s22, s0, s3
	s_addc_u32 s23, s1, 0
	s_add_u32 s2, s18, s2
	s_addc_u32 s3, s19, 0
	s_add_u32 s20, s22, -1
	s_addc_u32 s21, s23, -1
	v_mov_b64_e32 v[2:3], s[20:21]
	v_cmp_ge_u64_e64 s[0:1], s[2:3], v[2:3]
	s_and_b64 vcc, exec, s[0:1]
	s_cbranch_vccz .LBB1289_6
; %bb.1:
	s_lshl_b32 s5, s20, 10
	s_sub_i32 s11, s10, s5
	s_mov_b32 s5, s25
	s_lshl_b64 s[26:27], s[4:5], 3
	s_add_u32 s26, s30, s26
	v_mov_b32_e32 v2, 0
	s_addc_u32 s27, s31, s27
	v_cmp_gt_u32_e32 vcc, s11, v0
	v_mov_b32_e32 v3, v2
	v_mov_b32_e32 v4, v2
	;; [unrolled: 1-line block ×3, first 2 shown]
	s_and_saveexec_b64 s[28:29], vcc
	s_cbranch_execz .LBB1289_3
; %bb.2:
	v_lshlrev_b32_e32 v1, 3, v0
	global_load_dwordx2 v[4:5], v1, s[26:27]
	v_mov_b32_e32 v6, v2
	v_mov_b32_e32 v7, v2
	s_waitcnt vmcnt(0)
	v_mov_b64_e32 v[2:3], v[4:5]
	v_mov_b64_e32 v[4:5], v[6:7]
.LBB1289_3:
	s_or_b64 exec, exec, s[28:29]
	v_or_b32_e32 v1, 0x200, v0
	v_cmp_gt_u32_e32 vcc, s11, v1
	s_and_saveexec_b64 s[28:29], vcc
	s_cbranch_execz .LBB1289_5
; %bb.4:
	v_lshlrev_b32_e32 v4, 3, v1
	global_load_dwordx2 v[4:5], v4, s[26:27]
.LBB1289_5:
	s_or_b64 exec, exec, s[28:29]
	v_lshrrev_b32_e32 v6, 2, v0
	v_lshrrev_b32_e32 v1, 2, v1
	v_and_b32_e32 v6, 0x78, v6
	v_lshlrev_b32_e32 v7, 3, v0
	v_and_b32_e32 v1, 0xf8, v1
	v_add_u32_e32 v6, v6, v7
	v_add_u32_e32 v1, v1, v7
	s_mov_b64 s[26:27], 0
	ds_write_b64 v6, v[2:3]
	s_waitcnt vmcnt(0)
	ds_write_b64 v1, v[4:5] offset:4096
	s_waitcnt lgkmcnt(0)
	s_barrier
.LBB1289_6:
	s_and_b64 vcc, exec, s[26:27]
	s_cbranch_vccz .LBB1289_8
; %bb.7:
	s_mov_b32 s5, 0
	s_lshl_b64 s[26:27], s[4:5], 3
	s_add_u32 s26, s30, s26
	s_addc_u32 s27, s31, s27
	v_lshlrev_b32_e32 v2, 3, v0
	v_mov_b32_e32 v3, 0
	v_lshl_add_u64 v[4:5], s[26:27], 0, v[2:3]
	v_add_co_u32_e32 v4, vcc, 0x1000, v4
	v_lshrrev_b32_e32 v1, 2, v0
	s_nop 0
	v_addc_co_u32_e32 v5, vcc, 0, v5, vcc
	global_load_dwordx2 v[6:7], v2, s[26:27]
	global_load_dwordx2 v[8:9], v[4:5], off
	v_or_b32_e32 v3, 0x200, v0
	v_and_b32_e32 v1, 0x78, v1
	v_lshrrev_b32_e32 v3, 2, v3
	v_add_u32_e32 v1, v1, v2
	v_and_b32_e32 v3, 0xf8, v3
	v_add_u32_e32 v2, v3, v2
	s_waitcnt vmcnt(1)
	ds_write_b64 v1, v[6:7]
	s_waitcnt vmcnt(0)
	ds_write_b64 v2, v[8:9] offset:4096
	s_waitcnt lgkmcnt(0)
	s_barrier
.LBB1289_8:
	v_lshrrev_b32_e32 v1, 1, v0
	v_and_b32_e32 v2, 0xf8, v1
	v_lshl_add_u32 v2, v0, 4, v2
	ds_read2_b64 v[2:5], v2 offset1:1
	s_cmp_eq_u64 s[2:3], 0
	s_waitcnt lgkmcnt(0)
	s_barrier
	s_cbranch_scc1 .LBB1289_15
; %bb.9:
	s_lshl_b64 s[18:19], s[18:19], 3
	s_add_u32 s5, s16, s18
	s_addc_u32 s11, s17, s19
	s_lshl_b64 s[16:17], s[24:25], 3
	s_add_u32 s5, s5, s16
	s_addc_u32 s11, s11, s17
	s_add_u32 s16, s5, -8
	s_addc_u32 s17, s11, -1
	s_load_dwordx2 s[16:17], s[16:17], 0x0
	s_cmp_eq_u64 s[2:3], s[20:21]
	s_cbranch_scc1 .LBB1289_16
; %bb.10:
	v_cmp_lt_i64_e64 s[24:25], s[12:13], 1
	v_lshlrev_b32_e32 v12, 3, v0
	v_mov_b64_e32 v[8:9], 0
	v_cmp_gt_i64_e64 s[18:19], s[12:13], 0
	s_and_b64 vcc, exec, s[24:25]
	ds_write_b64 v12, v[4:5]
	s_cbranch_vccnz .LBB1289_18
; %bb.11:
	v_mul_lo_u32 v8, v5, s12
	v_mul_lo_u32 v9, v4, s13
	v_mad_u64_u32 v[6:7], s[24:25], v4, s12, 0
	v_add3_u32 v7, v7, v9, v8
	v_mul_lo_u32 v10, v3, s12
	v_mul_lo_u32 v11, v2, s13
	v_mad_u64_u32 v[8:9], s[24:25], v2, s12, 0
	v_add3_u32 v9, v9, v11, v10
	v_lshl_add_u64 v[6:7], v[6:7], 1, s[14:15]
	v_lshl_add_u64 v[10:11], v[8:9], 1, s[14:15]
	s_mov_b64 s[24:25], 0
	s_mov_b64 s[26:27], s[12:13]
                                        ; implicit-def: $sgpr28_sgpr29
	s_branch .LBB1289_13
.LBB1289_12:                            ;   in Loop: Header=BB1289_13 Depth=1
	s_or_b64 exec, exec, s[30:31]
	s_and_b64 s[30:31], exec, s[28:29]
	s_or_b64 s[24:25], s[30:31], s[24:25]
	s_andn2_b64 exec, exec, s[24:25]
	s_cbranch_execz .LBB1289_17
.LBB1289_13:                            ; =>This Inner Loop Header: Depth=1
	global_load_ushort v13, v[6:7], off
	global_load_ushort v14, v[10:11], off
	v_mov_b64_e32 v[8:9], 1
	s_or_b64 s[28:29], s[28:29], exec
	s_waitcnt vmcnt(0)
	v_cmp_eq_f16_e32 vcc, v13, v14
	s_and_saveexec_b64 s[30:31], vcc
	s_cbranch_execz .LBB1289_12
; %bb.14:                               ;   in Loop: Header=BB1289_13 Depth=1
	s_add_u32 s26, s26, -1
	s_addc_u32 s27, s27, -1
	s_cmp_eq_u64 s[26:27], 0
	s_cselect_b64 s[34:35], -1, 0
	s_andn2_b64 s[28:29], s[28:29], exec
	s_and_b64 s[34:35], s[34:35], exec
	v_lshl_add_u64 v[6:7], v[6:7], 0, 2
	v_lshl_add_u64 v[10:11], v[10:11], 0, 2
	v_mov_b64_e32 v[8:9], 0
	s_or_b64 s[28:29], s[28:29], s[34:35]
	s_branch .LBB1289_12
.LBB1289_15:
                                        ; implicit-def: $vgpr8_vgpr9
                                        ; implicit-def: $vgpr6_vgpr7
	s_branch .LBB1289_47
.LBB1289_16:
                                        ; implicit-def: $vgpr8_vgpr9
                                        ; implicit-def: $vgpr6_vgpr7
	s_cbranch_execnz .LBB1289_27
	s_branch .LBB1289_46
.LBB1289_17:
	s_or_b64 exec, exec, s[24:25]
.LBB1289_18:
	v_cmp_ne_u32_e32 vcc, 0, v0
	s_waitcnt lgkmcnt(0)
	v_mov_b64_e32 v[6:7], s[16:17]
	s_barrier
	s_and_saveexec_b64 s[24:25], vcc
; %bb.19:
	v_add_u32_e32 v6, -8, v12
	ds_read_b64 v[6:7], v6
; %bb.20:
	s_or_b64 exec, exec, s[24:25]
	s_andn2_b64 vcc, exec, s[18:19]
	s_cbranch_vccnz .LBB1289_26
; %bb.21:
	v_mul_lo_u32 v12, v3, s12
	v_mul_lo_u32 v13, v2, s13
	v_mad_u64_u32 v[10:11], s[18:19], v2, s12, 0
	v_add3_u32 v11, v11, v13, v12
	s_waitcnt lgkmcnt(0)
	v_mul_lo_u32 v12, v7, s12
	v_mul_lo_u32 v13, v6, s13
	v_mad_u64_u32 v[6:7], s[18:19], v6, s12, 0
	v_add3_u32 v7, v7, v13, v12
	v_lshl_add_u64 v[10:11], v[10:11], 1, s[14:15]
	v_lshl_add_u64 v[12:13], v[6:7], 1, s[14:15]
	s_mov_b64 s[18:19], 0
	s_mov_b64 s[24:25], s[12:13]
                                        ; implicit-def: $sgpr26_sgpr27
	s_branch .LBB1289_23
.LBB1289_22:                            ;   in Loop: Header=BB1289_23 Depth=1
	s_or_b64 exec, exec, s[28:29]
	s_and_b64 s[28:29], exec, s[26:27]
	s_or_b64 s[18:19], s[28:29], s[18:19]
	s_andn2_b64 exec, exec, s[18:19]
	s_cbranch_execz .LBB1289_25
.LBB1289_23:                            ; =>This Inner Loop Header: Depth=1
	global_load_ushort v14, v[10:11], off
	global_load_ushort v15, v[12:13], off
	v_mov_b64_e32 v[6:7], 1
	s_or_b64 s[26:27], s[26:27], exec
	s_waitcnt vmcnt(0)
	v_cmp_eq_f16_e32 vcc, v14, v15
	s_and_saveexec_b64 s[28:29], vcc
	s_cbranch_execz .LBB1289_22
; %bb.24:                               ;   in Loop: Header=BB1289_23 Depth=1
	s_add_u32 s24, s24, -1
	s_addc_u32 s25, s25, -1
	s_cmp_eq_u64 s[24:25], 0
	s_cselect_b64 s[30:31], -1, 0
	s_andn2_b64 s[26:27], s[26:27], exec
	s_and_b64 s[30:31], s[30:31], exec
	v_lshl_add_u64 v[10:11], v[10:11], 0, 2
	v_lshl_add_u64 v[12:13], v[12:13], 0, 2
	v_mov_b64_e32 v[6:7], 0
	s_or_b64 s[26:27], s[26:27], s[30:31]
	s_branch .LBB1289_22
.LBB1289_25:
	s_or_b64 exec, exec, s[18:19]
	s_branch .LBB1289_46
.LBB1289_26:
	s_waitcnt lgkmcnt(0)
	v_mov_b64_e32 v[6:7], 0
	s_branch .LBB1289_46
.LBB1289_27:
	s_lshl_b32 s2, s2, 10
	v_lshlrev_b32_e32 v14, 1, v0
	s_sub_i32 s5, s10, s2
	v_or_b32_e32 v6, 1, v14
	v_lshlrev_b32_e32 v15, 3, v0
	v_cmp_gt_u32_e32 vcc, s5, v6
	v_mov_b64_e32 v[8:9], v[4:5]
	ds_write_b64 v15, v[4:5]
	v_mov_b64_e32 v[6:7], v[2:3]
	s_and_saveexec_b64 s[2:3], vcc
	s_cbranch_execz .LBB1289_35
; %bb.28:
	v_cmp_lt_i64_e64 s[18:19], s[12:13], 1
	s_and_b64 vcc, exec, s[18:19]
	s_cbranch_vccnz .LBB1289_34
; %bb.29:
	v_mul_lo_u32 v8, v5, s12
	v_mul_lo_u32 v9, v4, s13
	v_mad_u64_u32 v[6:7], s[18:19], v4, s12, 0
	v_add3_u32 v7, v7, v9, v8
	v_mul_lo_u32 v10, v3, s12
	v_mul_lo_u32 v11, v2, s13
	v_mad_u64_u32 v[8:9], s[18:19], v2, s12, 0
	v_add3_u32 v9, v9, v11, v10
	v_lshl_add_u64 v[6:7], v[6:7], 1, s[14:15]
	v_lshl_add_u64 v[10:11], v[8:9], 1, s[14:15]
	s_mov_b64 s[18:19], 0
	s_mov_b64 s[24:25], s[12:13]
                                        ; implicit-def: $sgpr26_sgpr27
	s_branch .LBB1289_31
.LBB1289_30:                            ;   in Loop: Header=BB1289_31 Depth=1
	s_or_b64 exec, exec, s[28:29]
	s_and_b64 s[28:29], exec, s[26:27]
	s_or_b64 s[18:19], s[28:29], s[18:19]
	s_andn2_b64 exec, exec, s[18:19]
	s_cbranch_execz .LBB1289_33
.LBB1289_31:                            ; =>This Inner Loop Header: Depth=1
	global_load_ushort v12, v[6:7], off
	global_load_ushort v13, v[10:11], off
	v_mov_b64_e32 v[8:9], 1
	s_or_b64 s[26:27], s[26:27], exec
	s_waitcnt vmcnt(0)
	v_cmp_eq_f16_e32 vcc, v12, v13
	s_and_saveexec_b64 s[28:29], vcc
	s_cbranch_execz .LBB1289_30
; %bb.32:                               ;   in Loop: Header=BB1289_31 Depth=1
	s_add_u32 s24, s24, -1
	s_addc_u32 s25, s25, -1
	s_cmp_eq_u64 s[24:25], 0
	s_cselect_b64 s[30:31], -1, 0
	s_andn2_b64 s[26:27], s[26:27], exec
	s_and_b64 s[30:31], s[30:31], exec
	v_lshl_add_u64 v[6:7], v[6:7], 0, 2
	v_lshl_add_u64 v[10:11], v[10:11], 0, 2
	v_mov_b64_e32 v[8:9], 0
	s_or_b64 s[26:27], s[26:27], s[30:31]
	s_branch .LBB1289_30
.LBB1289_33:
	s_or_b64 exec, exec, s[18:19]
	s_branch .LBB1289_35
.LBB1289_34:
	v_mov_b64_e32 v[8:9], 0
.LBB1289_35:
	s_or_b64 exec, exec, s[2:3]
	v_cmp_ne_u32_e32 vcc, 0, v0
	s_waitcnt lgkmcnt(0)
	v_mov_b64_e32 v[12:13], s[16:17]
	s_barrier
	s_and_saveexec_b64 s[2:3], vcc
; %bb.36:
	v_add_u32_e32 v6, -8, v15
	ds_read_b64 v[12:13], v6
; %bb.37:
	s_or_b64 exec, exec, s[2:3]
	v_cmp_gt_u32_e32 vcc, s5, v14
	v_mov_b64_e32 v[6:7], v[2:3]
	s_and_saveexec_b64 s[2:3], vcc
	s_cbranch_execz .LBB1289_45
; %bb.38:
	v_cmp_lt_i64_e64 s[16:17], s[12:13], 1
	s_and_b64 vcc, exec, s[16:17]
	s_cbranch_vccnz .LBB1289_44
; %bb.39:
	v_mul_lo_u32 v10, v3, s12
	v_mul_lo_u32 v11, v2, s13
	v_mad_u64_u32 v[6:7], s[16:17], v2, s12, 0
	v_add3_u32 v7, v7, v11, v10
	v_lshl_add_u64 v[10:11], v[6:7], 1, s[14:15]
	s_waitcnt lgkmcnt(0)
	v_mul_lo_u32 v13, v13, s12
	v_mul_lo_u32 v14, v12, s13
	v_mad_u64_u32 v[6:7], s[16:17], v12, s12, 0
	v_add3_u32 v7, v7, v14, v13
	v_lshl_add_u64 v[12:13], v[6:7], 1, s[14:15]
	s_mov_b64 s[16:17], 0
	s_mov_b64 s[18:19], s[12:13]
                                        ; implicit-def: $sgpr24_sgpr25
	s_branch .LBB1289_41
.LBB1289_40:                            ;   in Loop: Header=BB1289_41 Depth=1
	s_or_b64 exec, exec, s[26:27]
	s_and_b64 s[26:27], exec, s[24:25]
	s_or_b64 s[16:17], s[26:27], s[16:17]
	s_andn2_b64 exec, exec, s[16:17]
	s_cbranch_execz .LBB1289_43
.LBB1289_41:                            ; =>This Inner Loop Header: Depth=1
	global_load_ushort v14, v[10:11], off
	global_load_ushort v15, v[12:13], off
	v_mov_b64_e32 v[6:7], 1
	s_or_b64 s[24:25], s[24:25], exec
	s_waitcnt vmcnt(0)
	v_cmp_eq_f16_e32 vcc, v14, v15
	s_and_saveexec_b64 s[26:27], vcc
	s_cbranch_execz .LBB1289_40
; %bb.42:                               ;   in Loop: Header=BB1289_41 Depth=1
	s_add_u32 s18, s18, -1
	s_addc_u32 s19, s19, -1
	s_cmp_eq_u64 s[18:19], 0
	s_cselect_b64 s[28:29], -1, 0
	s_andn2_b64 s[24:25], s[24:25], exec
	s_and_b64 s[28:29], s[28:29], exec
	v_lshl_add_u64 v[10:11], v[10:11], 0, 2
	v_lshl_add_u64 v[12:13], v[12:13], 0, 2
	v_mov_b64_e32 v[6:7], 0
	s_or_b64 s[24:25], s[24:25], s[28:29]
	s_branch .LBB1289_40
.LBB1289_43:
	s_or_b64 exec, exec, s[16:17]
	s_branch .LBB1289_45
.LBB1289_44:
	v_mov_b64_e32 v[6:7], 0
.LBB1289_45:
	s_or_b64 exec, exec, s[2:3]
.LBB1289_46:
	s_cbranch_execnz .LBB1289_81
.LBB1289_47:
	s_cmp_eq_u64 s[22:23], 1
	s_cbranch_scc1 .LBB1289_53
; %bb.48:
	s_waitcnt lgkmcnt(0)
	v_cmp_lt_i64_e64 s[16:17], s[12:13], 1
	v_lshlrev_b32_e32 v12, 3, v0
	v_mov_b64_e32 v[8:9], 0
	v_cmp_gt_i64_e64 s[2:3], s[12:13], 0
	s_and_b64 vcc, exec, s[16:17]
	ds_write_b64 v12, v[4:5]
	s_cbranch_vccnz .LBB1289_55
; %bb.49:
	v_mul_lo_u32 v8, v5, s12
	v_mul_lo_u32 v9, v4, s13
	v_mad_u64_u32 v[6:7], s[16:17], v4, s12, 0
	v_add3_u32 v7, v7, v9, v8
	v_mul_lo_u32 v10, v3, s12
	v_mul_lo_u32 v11, v2, s13
	v_mad_u64_u32 v[8:9], s[16:17], v2, s12, 0
	v_add3_u32 v9, v9, v11, v10
	v_lshl_add_u64 v[6:7], v[6:7], 1, s[14:15]
	v_lshl_add_u64 v[10:11], v[8:9], 1, s[14:15]
	s_mov_b64 s[16:17], 0
	s_mov_b64 s[18:19], s[12:13]
                                        ; implicit-def: $sgpr22_sgpr23
	s_branch .LBB1289_51
.LBB1289_50:                            ;   in Loop: Header=BB1289_51 Depth=1
	s_or_b64 exec, exec, s[24:25]
	s_and_b64 s[24:25], exec, s[22:23]
	s_or_b64 s[16:17], s[24:25], s[16:17]
	s_andn2_b64 exec, exec, s[16:17]
	s_cbranch_execz .LBB1289_54
.LBB1289_51:                            ; =>This Inner Loop Header: Depth=1
	global_load_ushort v13, v[6:7], off
	global_load_ushort v14, v[10:11], off
	v_mov_b64_e32 v[8:9], 1
	s_or_b64 s[22:23], s[22:23], exec
	s_waitcnt vmcnt(0)
	v_cmp_eq_f16_e32 vcc, v13, v14
	s_and_saveexec_b64 s[24:25], vcc
	s_cbranch_execz .LBB1289_50
; %bb.52:                               ;   in Loop: Header=BB1289_51 Depth=1
	s_add_u32 s18, s18, -1
	s_addc_u32 s19, s19, -1
	s_cmp_eq_u64 s[18:19], 0
	s_cselect_b64 s[26:27], -1, 0
	s_andn2_b64 s[22:23], s[22:23], exec
	s_and_b64 s[26:27], s[26:27], exec
	v_lshl_add_u64 v[6:7], v[6:7], 0, 2
	v_lshl_add_u64 v[10:11], v[10:11], 0, 2
	v_mov_b64_e32 v[8:9], 0
	s_or_b64 s[22:23], s[22:23], s[26:27]
	s_branch .LBB1289_50
.LBB1289_53:
                                        ; implicit-def: $vgpr8_vgpr9
                                        ; implicit-def: $vgpr6_vgpr7
	s_cbranch_execnz .LBB1289_64
	s_branch .LBB1289_81
.LBB1289_54:
	s_or_b64 exec, exec, s[16:17]
.LBB1289_55:
	v_cmp_ne_u32_e32 vcc, 0, v0
	v_mov_b64_e32 v[6:7], v[2:3]
	s_waitcnt lgkmcnt(0)
	s_barrier
	s_and_saveexec_b64 s[16:17], vcc
	s_cbranch_execz .LBB1289_63
; %bb.56:
	s_andn2_b64 vcc, exec, s[2:3]
	s_cbranch_vccnz .LBB1289_62
; %bb.57:
	v_add_u32_e32 v6, -8, v12
	ds_read_b64 v[6:7], v6
	v_mul_lo_u32 v12, v3, s12
	v_mul_lo_u32 v13, v2, s13
	v_mad_u64_u32 v[10:11], s[2:3], v2, s12, 0
	v_add3_u32 v11, v11, v13, v12
	s_waitcnt lgkmcnt(0)
	v_mul_lo_u32 v12, s13, v6
	v_mul_lo_u32 v13, s12, v7
	v_mad_u64_u32 v[6:7], s[2:3], s12, v6, 0
	v_add3_u32 v7, v7, v13, v12
	v_lshl_add_u64 v[10:11], v[10:11], 1, s[14:15]
	v_lshl_add_u64 v[12:13], v[6:7], 1, s[14:15]
	s_mov_b64 s[2:3], 0
	s_mov_b64 s[18:19], s[12:13]
                                        ; implicit-def: $sgpr22_sgpr23
	s_branch .LBB1289_59
.LBB1289_58:                            ;   in Loop: Header=BB1289_59 Depth=1
	s_or_b64 exec, exec, s[24:25]
	s_and_b64 s[24:25], exec, s[22:23]
	s_or_b64 s[2:3], s[24:25], s[2:3]
	s_andn2_b64 exec, exec, s[2:3]
	s_cbranch_execz .LBB1289_61
.LBB1289_59:                            ; =>This Inner Loop Header: Depth=1
	global_load_ushort v14, v[10:11], off
	global_load_ushort v15, v[12:13], off
	v_mov_b64_e32 v[6:7], 1
	s_or_b64 s[22:23], s[22:23], exec
	s_waitcnt vmcnt(0)
	v_cmp_eq_f16_e32 vcc, v14, v15
	s_and_saveexec_b64 s[24:25], vcc
	s_cbranch_execz .LBB1289_58
; %bb.60:                               ;   in Loop: Header=BB1289_59 Depth=1
	s_add_u32 s18, s18, -1
	s_addc_u32 s19, s19, -1
	s_cmp_eq_u64 s[18:19], 0
	s_cselect_b64 s[26:27], -1, 0
	s_andn2_b64 s[22:23], s[22:23], exec
	s_and_b64 s[26:27], s[26:27], exec
	v_lshl_add_u64 v[10:11], v[10:11], 0, 2
	v_lshl_add_u64 v[12:13], v[12:13], 0, 2
	v_mov_b64_e32 v[6:7], 0
	s_or_b64 s[22:23], s[22:23], s[26:27]
	s_branch .LBB1289_58
.LBB1289_61:
	s_or_b64 exec, exec, s[2:3]
	s_branch .LBB1289_63
.LBB1289_62:
	v_mov_b64_e32 v[6:7], 0
.LBB1289_63:
	s_or_b64 exec, exec, s[16:17]
	s_branch .LBB1289_81
.LBB1289_64:
	v_lshlrev_b32_e32 v11, 1, v0
	v_or_b32_e32 v6, 1, v11
	v_lshlrev_b32_e32 v10, 3, v0
	v_cmp_gt_u32_e32 vcc, s10, v6
	v_mov_b64_e32 v[8:9], v[4:5]
	ds_write_b64 v10, v[4:5]
	v_mov_b64_e32 v[6:7], v[2:3]
	s_and_saveexec_b64 s[2:3], vcc
	s_cbranch_execz .LBB1289_72
; %bb.65:
	s_waitcnt lgkmcnt(0)
	v_cmp_lt_i64_e64 s[16:17], s[12:13], 1
	s_and_b64 vcc, exec, s[16:17]
	s_cbranch_vccnz .LBB1289_71
; %bb.66:
	v_mul_lo_u32 v6, v5, s12
	v_mul_lo_u32 v7, v4, s13
	v_mad_u64_u32 v[4:5], s[16:17], v4, s12, 0
	v_add3_u32 v5, v5, v7, v6
	v_mul_lo_u32 v8, v3, s12
	v_mul_lo_u32 v9, v2, s13
	v_mad_u64_u32 v[6:7], s[16:17], v2, s12, 0
	v_add3_u32 v7, v7, v9, v8
	v_lshl_add_u64 v[4:5], v[4:5], 1, s[14:15]
	v_lshl_add_u64 v[6:7], v[6:7], 1, s[14:15]
	s_mov_b64 s[16:17], 0
	s_mov_b64 s[18:19], s[12:13]
                                        ; implicit-def: $sgpr22_sgpr23
	s_branch .LBB1289_68
.LBB1289_67:                            ;   in Loop: Header=BB1289_68 Depth=1
	s_or_b64 exec, exec, s[24:25]
	s_and_b64 s[24:25], exec, s[22:23]
	s_or_b64 s[16:17], s[24:25], s[16:17]
	s_andn2_b64 exec, exec, s[16:17]
	s_cbranch_execz .LBB1289_70
.LBB1289_68:                            ; =>This Inner Loop Header: Depth=1
	global_load_ushort v12, v[4:5], off
	global_load_ushort v13, v[6:7], off
	v_mov_b64_e32 v[8:9], 1
	s_or_b64 s[22:23], s[22:23], exec
	s_waitcnt vmcnt(0)
	v_cmp_eq_f16_e32 vcc, v12, v13
	s_and_saveexec_b64 s[24:25], vcc
	s_cbranch_execz .LBB1289_67
; %bb.69:                               ;   in Loop: Header=BB1289_68 Depth=1
	s_add_u32 s18, s18, -1
	s_addc_u32 s19, s19, -1
	s_cmp_eq_u64 s[18:19], 0
	s_cselect_b64 s[26:27], -1, 0
	s_andn2_b64 s[22:23], s[22:23], exec
	s_and_b64 s[26:27], s[26:27], exec
	v_lshl_add_u64 v[4:5], v[4:5], 0, 2
	v_lshl_add_u64 v[6:7], v[6:7], 0, 2
	v_mov_b64_e32 v[8:9], 0
	s_or_b64 s[22:23], s[22:23], s[26:27]
	s_branch .LBB1289_67
.LBB1289_70:
	s_or_b64 exec, exec, s[16:17]
	s_branch .LBB1289_72
.LBB1289_71:
	v_mov_b64_e32 v[8:9], 0
.LBB1289_72:
	s_or_b64 exec, exec, s[2:3]
	v_cmp_ne_u32_e32 vcc, 0, v0
	v_cmp_gt_u32_e64 s[2:3], s10, v11
	s_waitcnt lgkmcnt(0)
	s_and_b64 s[16:17], vcc, s[2:3]
	s_barrier
	s_and_saveexec_b64 s[2:3], s[16:17]
	s_cbranch_execz .LBB1289_80
; %bb.73:
	v_cmp_lt_i64_e64 s[16:17], s[12:13], 1
	s_and_b64 vcc, exec, s[16:17]
	s_cbranch_vccnz .LBB1289_79
; %bb.74:
	v_add_u32_e32 v4, -8, v10
	ds_read_b64 v[6:7], v4
	v_mul_lo_u32 v4, v3, s12
	v_mul_lo_u32 v5, v2, s13
	v_mad_u64_u32 v[2:3], s[16:17], v2, s12, 0
	v_add3_u32 v3, v3, v5, v4
	v_lshl_add_u64 v[4:5], v[2:3], 1, s[14:15]
	s_waitcnt lgkmcnt(0)
	v_mul_lo_u32 v10, s13, v6
	v_mul_lo_u32 v7, s12, v7
	v_mad_u64_u32 v[2:3], s[16:17], s12, v6, 0
	v_add3_u32 v3, v3, v7, v10
	v_lshl_add_u64 v[6:7], v[2:3], 1, s[14:15]
	s_mov_b64 s[14:15], 0
                                        ; implicit-def: $sgpr16_sgpr17
	s_branch .LBB1289_76
.LBB1289_75:                            ;   in Loop: Header=BB1289_76 Depth=1
	s_or_b64 exec, exec, s[18:19]
	s_and_b64 s[18:19], exec, s[16:17]
	s_or_b64 s[14:15], s[18:19], s[14:15]
	s_andn2_b64 exec, exec, s[14:15]
	s_cbranch_execz .LBB1289_78
.LBB1289_76:                            ; =>This Inner Loop Header: Depth=1
	global_load_ushort v10, v[4:5], off
	global_load_ushort v11, v[6:7], off
	v_mov_b64_e32 v[2:3], 1
	s_or_b64 s[16:17], s[16:17], exec
	s_waitcnt vmcnt(0)
	v_cmp_eq_f16_e32 vcc, v10, v11
	s_and_saveexec_b64 s[18:19], vcc
	s_cbranch_execz .LBB1289_75
; %bb.77:                               ;   in Loop: Header=BB1289_76 Depth=1
	s_add_u32 s12, s12, -1
	s_addc_u32 s13, s13, -1
	s_cmp_eq_u64 s[12:13], 0
	s_cselect_b64 s[22:23], -1, 0
	s_andn2_b64 s[16:17], s[16:17], exec
	s_and_b64 s[22:23], s[22:23], exec
	v_lshl_add_u64 v[4:5], v[4:5], 0, 2
	v_lshl_add_u64 v[6:7], v[6:7], 0, 2
	v_mov_b64_e32 v[2:3], 0
	s_or_b64 s[16:17], s[16:17], s[22:23]
	s_branch .LBB1289_75
.LBB1289_78:
	s_or_b64 exec, exec, s[14:15]
	s_branch .LBB1289_80
.LBB1289_79:
	v_mov_b64_e32 v[2:3], 0
.LBB1289_80:
	s_or_b64 exec, exec, s[2:3]
	v_mov_b64_e32 v[6:7], v[2:3]
.LBB1289_81:
	s_add_u32 s6, s8, s6
	s_addc_u32 s7, s9, s7
	s_and_b64 vcc, exec, s[0:1]
	s_waitcnt lgkmcnt(0)
	s_barrier
	s_cbranch_vccz .LBB1289_85
; %bb.82:
	v_and_b32_e32 v2, 0xf8, v1
	v_lshl_add_u32 v2, v0, 4, v2
	v_or_b32_e32 v10, 0x200, v0
	ds_write2_b64 v2, v[6:7], v[8:9] offset1:1
	v_lshrrev_b32_e32 v2, 2, v10
	v_and_b32_e32 v2, 0xf8, v2
	v_lshlrev_b32_e32 v4, 3, v0
	v_add_u32_e32 v2, v2, v4
	s_lshl_b32 s0, s20, 10
	s_mov_b32 s5, 0
	s_waitcnt lgkmcnt(0)
	s_barrier
	ds_read_b64 v[2:3], v2 offset:4096
	s_sub_i32 s2, s10, s0
	s_lshl_b64 s[0:1], s[4:5], 3
	s_add_u32 s0, s6, s0
	s_addc_u32 s1, s7, s1
	v_mov_b32_e32 v5, 0
	v_lshl_add_u64 v[4:5], s[0:1], 0, v[4:5]
	v_cmp_gt_u32_e32 vcc, s2, v0
	s_and_saveexec_b64 s[0:1], vcc
	s_cbranch_execz .LBB1289_84
; %bb.83:
	v_lshrrev_b32_e32 v11, 2, v0
	v_and_b32_e32 v11, 0x78, v11
	v_lshl_add_u32 v11, v0, 3, v11
	ds_read_b64 v[12:13], v11
	s_waitcnt lgkmcnt(0)
	global_store_dwordx2 v[4:5], v[12:13], off
.LBB1289_84:
	s_or_b64 exec, exec, s[0:1]
	v_cmp_gt_u32_e64 s[0:1], s2, v10
	s_branch .LBB1289_87
.LBB1289_85:
	s_mov_b64 s[0:1], 0
                                        ; implicit-def: $vgpr2_vgpr3
                                        ; implicit-def: $vgpr4_vgpr5
	s_cbranch_execz .LBB1289_87
; %bb.86:
	v_and_b32_e32 v1, 0xf8, v1
	v_lshl_add_u32 v1, v0, 4, v1
	ds_write2_b64 v1, v[6:7], v[8:9] offset1:1
	v_lshrrev_b32_e32 v1, 2, v0
	v_lshlrev_b32_e32 v6, 3, v0
	v_or_b32_e32 v0, 0x200, v0
	v_lshrrev_b32_e32 v0, 2, v0
	v_and_b32_e32 v1, 0x78, v1
	v_and_b32_e32 v0, 0xf8, v0
	v_add_u32_e32 v1, v1, v6
	v_add_u32_e32 v0, v0, v6
	s_mov_b32 s5, 0
	s_waitcnt lgkmcnt(0)
	s_barrier
	ds_read_b64 v[8:9], v1
	ds_read_b64 v[2:3], v0 offset:4096
	s_lshl_b64 s[2:3], s[4:5], 3
	s_add_u32 s2, s6, s2
	s_addc_u32 s3, s7, s3
	v_mov_b32_e32 v7, 0
	v_lshl_add_u64 v[4:5], s[2:3], 0, v[6:7]
	s_or_b64 s[0:1], s[0:1], exec
	s_waitcnt lgkmcnt(1)
	global_store_dwordx2 v6, v[8:9], s[2:3]
.LBB1289_87:
	s_and_saveexec_b64 s[2:3], s[0:1]
	s_cbranch_execnz .LBB1289_89
; %bb.88:
	s_endpgm
.LBB1289_89:
	v_add_co_u32_e32 v0, vcc, 0x1000, v4
	s_nop 1
	v_addc_co_u32_e32 v1, vcc, 0, v5, vcc
	s_waitcnt lgkmcnt(0)
	global_store_dwordx2 v[0:1], v[2:3], off
	s_endpgm
	.section	.rodata,"a",@progbits
	.p2align	6, 0x0
	.amdhsa_kernel _ZN7rocprim17ROCPRIM_400000_NS6detail17trampoline_kernelINS0_14default_configENS1_35adjacent_difference_config_selectorILb1ElEEZNS1_24adjacent_difference_implIS3_Lb1ELb0EPlS7_ZN2at6native12_GLOBAL__N_124unique_dim_cuda_templateIN3c104HalfEEESt5tupleIJNS8_6TensorESF_SF_EERKSF_lbbbEUlllE1_EE10hipError_tPvRmT2_T3_mT4_P12ihipStream_tbEUlT_E_NS1_11comp_targetILNS1_3genE0ELNS1_11target_archE4294967295ELNS1_3gpuE0ELNS1_3repE0EEENS1_30default_config_static_selectorELNS0_4arch9wavefront6targetE1EEEvT1_
		.amdhsa_group_segment_fixed_size 8448
		.amdhsa_private_segment_fixed_size 0
		.amdhsa_kernarg_size 64
		.amdhsa_user_sgpr_count 2
		.amdhsa_user_sgpr_dispatch_ptr 0
		.amdhsa_user_sgpr_queue_ptr 0
		.amdhsa_user_sgpr_kernarg_segment_ptr 1
		.amdhsa_user_sgpr_dispatch_id 0
		.amdhsa_user_sgpr_kernarg_preload_length 0
		.amdhsa_user_sgpr_kernarg_preload_offset 0
		.amdhsa_user_sgpr_private_segment_size 0
		.amdhsa_uses_dynamic_stack 0
		.amdhsa_enable_private_segment 0
		.amdhsa_system_sgpr_workgroup_id_x 1
		.amdhsa_system_sgpr_workgroup_id_y 0
		.amdhsa_system_sgpr_workgroup_id_z 0
		.amdhsa_system_sgpr_workgroup_info 0
		.amdhsa_system_vgpr_workitem_id 0
		.amdhsa_next_free_vgpr 16
		.amdhsa_next_free_sgpr 36
		.amdhsa_accum_offset 16
		.amdhsa_reserve_vcc 1
		.amdhsa_float_round_mode_32 0
		.amdhsa_float_round_mode_16_64 0
		.amdhsa_float_denorm_mode_32 3
		.amdhsa_float_denorm_mode_16_64 3
		.amdhsa_dx10_clamp 1
		.amdhsa_ieee_mode 1
		.amdhsa_fp16_overflow 0
		.amdhsa_tg_split 0
		.amdhsa_exception_fp_ieee_invalid_op 0
		.amdhsa_exception_fp_denorm_src 0
		.amdhsa_exception_fp_ieee_div_zero 0
		.amdhsa_exception_fp_ieee_overflow 0
		.amdhsa_exception_fp_ieee_underflow 0
		.amdhsa_exception_fp_ieee_inexact 0
		.amdhsa_exception_int_div_zero 0
	.end_amdhsa_kernel
	.section	.text._ZN7rocprim17ROCPRIM_400000_NS6detail17trampoline_kernelINS0_14default_configENS1_35adjacent_difference_config_selectorILb1ElEEZNS1_24adjacent_difference_implIS3_Lb1ELb0EPlS7_ZN2at6native12_GLOBAL__N_124unique_dim_cuda_templateIN3c104HalfEEESt5tupleIJNS8_6TensorESF_SF_EERKSF_lbbbEUlllE1_EE10hipError_tPvRmT2_T3_mT4_P12ihipStream_tbEUlT_E_NS1_11comp_targetILNS1_3genE0ELNS1_11target_archE4294967295ELNS1_3gpuE0ELNS1_3repE0EEENS1_30default_config_static_selectorELNS0_4arch9wavefront6targetE1EEEvT1_,"axG",@progbits,_ZN7rocprim17ROCPRIM_400000_NS6detail17trampoline_kernelINS0_14default_configENS1_35adjacent_difference_config_selectorILb1ElEEZNS1_24adjacent_difference_implIS3_Lb1ELb0EPlS7_ZN2at6native12_GLOBAL__N_124unique_dim_cuda_templateIN3c104HalfEEESt5tupleIJNS8_6TensorESF_SF_EERKSF_lbbbEUlllE1_EE10hipError_tPvRmT2_T3_mT4_P12ihipStream_tbEUlT_E_NS1_11comp_targetILNS1_3genE0ELNS1_11target_archE4294967295ELNS1_3gpuE0ELNS1_3repE0EEENS1_30default_config_static_selectorELNS0_4arch9wavefront6targetE1EEEvT1_,comdat
.Lfunc_end1289:
	.size	_ZN7rocprim17ROCPRIM_400000_NS6detail17trampoline_kernelINS0_14default_configENS1_35adjacent_difference_config_selectorILb1ElEEZNS1_24adjacent_difference_implIS3_Lb1ELb0EPlS7_ZN2at6native12_GLOBAL__N_124unique_dim_cuda_templateIN3c104HalfEEESt5tupleIJNS8_6TensorESF_SF_EERKSF_lbbbEUlllE1_EE10hipError_tPvRmT2_T3_mT4_P12ihipStream_tbEUlT_E_NS1_11comp_targetILNS1_3genE0ELNS1_11target_archE4294967295ELNS1_3gpuE0ELNS1_3repE0EEENS1_30default_config_static_selectorELNS0_4arch9wavefront6targetE1EEEvT1_, .Lfunc_end1289-_ZN7rocprim17ROCPRIM_400000_NS6detail17trampoline_kernelINS0_14default_configENS1_35adjacent_difference_config_selectorILb1ElEEZNS1_24adjacent_difference_implIS3_Lb1ELb0EPlS7_ZN2at6native12_GLOBAL__N_124unique_dim_cuda_templateIN3c104HalfEEESt5tupleIJNS8_6TensorESF_SF_EERKSF_lbbbEUlllE1_EE10hipError_tPvRmT2_T3_mT4_P12ihipStream_tbEUlT_E_NS1_11comp_targetILNS1_3genE0ELNS1_11target_archE4294967295ELNS1_3gpuE0ELNS1_3repE0EEENS1_30default_config_static_selectorELNS0_4arch9wavefront6targetE1EEEvT1_
                                        ; -- End function
	.set _ZN7rocprim17ROCPRIM_400000_NS6detail17trampoline_kernelINS0_14default_configENS1_35adjacent_difference_config_selectorILb1ElEEZNS1_24adjacent_difference_implIS3_Lb1ELb0EPlS7_ZN2at6native12_GLOBAL__N_124unique_dim_cuda_templateIN3c104HalfEEESt5tupleIJNS8_6TensorESF_SF_EERKSF_lbbbEUlllE1_EE10hipError_tPvRmT2_T3_mT4_P12ihipStream_tbEUlT_E_NS1_11comp_targetILNS1_3genE0ELNS1_11target_archE4294967295ELNS1_3gpuE0ELNS1_3repE0EEENS1_30default_config_static_selectorELNS0_4arch9wavefront6targetE1EEEvT1_.num_vgpr, 16
	.set _ZN7rocprim17ROCPRIM_400000_NS6detail17trampoline_kernelINS0_14default_configENS1_35adjacent_difference_config_selectorILb1ElEEZNS1_24adjacent_difference_implIS3_Lb1ELb0EPlS7_ZN2at6native12_GLOBAL__N_124unique_dim_cuda_templateIN3c104HalfEEESt5tupleIJNS8_6TensorESF_SF_EERKSF_lbbbEUlllE1_EE10hipError_tPvRmT2_T3_mT4_P12ihipStream_tbEUlT_E_NS1_11comp_targetILNS1_3genE0ELNS1_11target_archE4294967295ELNS1_3gpuE0ELNS1_3repE0EEENS1_30default_config_static_selectorELNS0_4arch9wavefront6targetE1EEEvT1_.num_agpr, 0
	.set _ZN7rocprim17ROCPRIM_400000_NS6detail17trampoline_kernelINS0_14default_configENS1_35adjacent_difference_config_selectorILb1ElEEZNS1_24adjacent_difference_implIS3_Lb1ELb0EPlS7_ZN2at6native12_GLOBAL__N_124unique_dim_cuda_templateIN3c104HalfEEESt5tupleIJNS8_6TensorESF_SF_EERKSF_lbbbEUlllE1_EE10hipError_tPvRmT2_T3_mT4_P12ihipStream_tbEUlT_E_NS1_11comp_targetILNS1_3genE0ELNS1_11target_archE4294967295ELNS1_3gpuE0ELNS1_3repE0EEENS1_30default_config_static_selectorELNS0_4arch9wavefront6targetE1EEEvT1_.numbered_sgpr, 36
	.set _ZN7rocprim17ROCPRIM_400000_NS6detail17trampoline_kernelINS0_14default_configENS1_35adjacent_difference_config_selectorILb1ElEEZNS1_24adjacent_difference_implIS3_Lb1ELb0EPlS7_ZN2at6native12_GLOBAL__N_124unique_dim_cuda_templateIN3c104HalfEEESt5tupleIJNS8_6TensorESF_SF_EERKSF_lbbbEUlllE1_EE10hipError_tPvRmT2_T3_mT4_P12ihipStream_tbEUlT_E_NS1_11comp_targetILNS1_3genE0ELNS1_11target_archE4294967295ELNS1_3gpuE0ELNS1_3repE0EEENS1_30default_config_static_selectorELNS0_4arch9wavefront6targetE1EEEvT1_.num_named_barrier, 0
	.set _ZN7rocprim17ROCPRIM_400000_NS6detail17trampoline_kernelINS0_14default_configENS1_35adjacent_difference_config_selectorILb1ElEEZNS1_24adjacent_difference_implIS3_Lb1ELb0EPlS7_ZN2at6native12_GLOBAL__N_124unique_dim_cuda_templateIN3c104HalfEEESt5tupleIJNS8_6TensorESF_SF_EERKSF_lbbbEUlllE1_EE10hipError_tPvRmT2_T3_mT4_P12ihipStream_tbEUlT_E_NS1_11comp_targetILNS1_3genE0ELNS1_11target_archE4294967295ELNS1_3gpuE0ELNS1_3repE0EEENS1_30default_config_static_selectorELNS0_4arch9wavefront6targetE1EEEvT1_.private_seg_size, 0
	.set _ZN7rocprim17ROCPRIM_400000_NS6detail17trampoline_kernelINS0_14default_configENS1_35adjacent_difference_config_selectorILb1ElEEZNS1_24adjacent_difference_implIS3_Lb1ELb0EPlS7_ZN2at6native12_GLOBAL__N_124unique_dim_cuda_templateIN3c104HalfEEESt5tupleIJNS8_6TensorESF_SF_EERKSF_lbbbEUlllE1_EE10hipError_tPvRmT2_T3_mT4_P12ihipStream_tbEUlT_E_NS1_11comp_targetILNS1_3genE0ELNS1_11target_archE4294967295ELNS1_3gpuE0ELNS1_3repE0EEENS1_30default_config_static_selectorELNS0_4arch9wavefront6targetE1EEEvT1_.uses_vcc, 1
	.set _ZN7rocprim17ROCPRIM_400000_NS6detail17trampoline_kernelINS0_14default_configENS1_35adjacent_difference_config_selectorILb1ElEEZNS1_24adjacent_difference_implIS3_Lb1ELb0EPlS7_ZN2at6native12_GLOBAL__N_124unique_dim_cuda_templateIN3c104HalfEEESt5tupleIJNS8_6TensorESF_SF_EERKSF_lbbbEUlllE1_EE10hipError_tPvRmT2_T3_mT4_P12ihipStream_tbEUlT_E_NS1_11comp_targetILNS1_3genE0ELNS1_11target_archE4294967295ELNS1_3gpuE0ELNS1_3repE0EEENS1_30default_config_static_selectorELNS0_4arch9wavefront6targetE1EEEvT1_.uses_flat_scratch, 0
	.set _ZN7rocprim17ROCPRIM_400000_NS6detail17trampoline_kernelINS0_14default_configENS1_35adjacent_difference_config_selectorILb1ElEEZNS1_24adjacent_difference_implIS3_Lb1ELb0EPlS7_ZN2at6native12_GLOBAL__N_124unique_dim_cuda_templateIN3c104HalfEEESt5tupleIJNS8_6TensorESF_SF_EERKSF_lbbbEUlllE1_EE10hipError_tPvRmT2_T3_mT4_P12ihipStream_tbEUlT_E_NS1_11comp_targetILNS1_3genE0ELNS1_11target_archE4294967295ELNS1_3gpuE0ELNS1_3repE0EEENS1_30default_config_static_selectorELNS0_4arch9wavefront6targetE1EEEvT1_.has_dyn_sized_stack, 0
	.set _ZN7rocprim17ROCPRIM_400000_NS6detail17trampoline_kernelINS0_14default_configENS1_35adjacent_difference_config_selectorILb1ElEEZNS1_24adjacent_difference_implIS3_Lb1ELb0EPlS7_ZN2at6native12_GLOBAL__N_124unique_dim_cuda_templateIN3c104HalfEEESt5tupleIJNS8_6TensorESF_SF_EERKSF_lbbbEUlllE1_EE10hipError_tPvRmT2_T3_mT4_P12ihipStream_tbEUlT_E_NS1_11comp_targetILNS1_3genE0ELNS1_11target_archE4294967295ELNS1_3gpuE0ELNS1_3repE0EEENS1_30default_config_static_selectorELNS0_4arch9wavefront6targetE1EEEvT1_.has_recursion, 0
	.set _ZN7rocprim17ROCPRIM_400000_NS6detail17trampoline_kernelINS0_14default_configENS1_35adjacent_difference_config_selectorILb1ElEEZNS1_24adjacent_difference_implIS3_Lb1ELb0EPlS7_ZN2at6native12_GLOBAL__N_124unique_dim_cuda_templateIN3c104HalfEEESt5tupleIJNS8_6TensorESF_SF_EERKSF_lbbbEUlllE1_EE10hipError_tPvRmT2_T3_mT4_P12ihipStream_tbEUlT_E_NS1_11comp_targetILNS1_3genE0ELNS1_11target_archE4294967295ELNS1_3gpuE0ELNS1_3repE0EEENS1_30default_config_static_selectorELNS0_4arch9wavefront6targetE1EEEvT1_.has_indirect_call, 0
	.section	.AMDGPU.csdata,"",@progbits
; Kernel info:
; codeLenInByte = 3144
; TotalNumSgprs: 42
; NumVgprs: 16
; NumAgprs: 0
; TotalNumVgprs: 16
; ScratchSize: 0
; MemoryBound: 0
; FloatMode: 240
; IeeeMode: 1
; LDSByteSize: 8448 bytes/workgroup (compile time only)
; SGPRBlocks: 5
; VGPRBlocks: 1
; NumSGPRsForWavesPerEU: 42
; NumVGPRsForWavesPerEU: 16
; AccumOffset: 16
; Occupancy: 8
; WaveLimiterHint : 1
; COMPUTE_PGM_RSRC2:SCRATCH_EN: 0
; COMPUTE_PGM_RSRC2:USER_SGPR: 2
; COMPUTE_PGM_RSRC2:TRAP_HANDLER: 0
; COMPUTE_PGM_RSRC2:TGID_X_EN: 1
; COMPUTE_PGM_RSRC2:TGID_Y_EN: 0
; COMPUTE_PGM_RSRC2:TGID_Z_EN: 0
; COMPUTE_PGM_RSRC2:TIDIG_COMP_CNT: 0
; COMPUTE_PGM_RSRC3_GFX90A:ACCUM_OFFSET: 3
; COMPUTE_PGM_RSRC3_GFX90A:TG_SPLIT: 0
	.section	.text._ZN7rocprim17ROCPRIM_400000_NS6detail17trampoline_kernelINS0_14default_configENS1_35adjacent_difference_config_selectorILb1ElEEZNS1_24adjacent_difference_implIS3_Lb1ELb0EPlS7_ZN2at6native12_GLOBAL__N_124unique_dim_cuda_templateIN3c104HalfEEESt5tupleIJNS8_6TensorESF_SF_EERKSF_lbbbEUlllE1_EE10hipError_tPvRmT2_T3_mT4_P12ihipStream_tbEUlT_E_NS1_11comp_targetILNS1_3genE10ELNS1_11target_archE1201ELNS1_3gpuE5ELNS1_3repE0EEENS1_30default_config_static_selectorELNS0_4arch9wavefront6targetE1EEEvT1_,"axG",@progbits,_ZN7rocprim17ROCPRIM_400000_NS6detail17trampoline_kernelINS0_14default_configENS1_35adjacent_difference_config_selectorILb1ElEEZNS1_24adjacent_difference_implIS3_Lb1ELb0EPlS7_ZN2at6native12_GLOBAL__N_124unique_dim_cuda_templateIN3c104HalfEEESt5tupleIJNS8_6TensorESF_SF_EERKSF_lbbbEUlllE1_EE10hipError_tPvRmT2_T3_mT4_P12ihipStream_tbEUlT_E_NS1_11comp_targetILNS1_3genE10ELNS1_11target_archE1201ELNS1_3gpuE5ELNS1_3repE0EEENS1_30default_config_static_selectorELNS0_4arch9wavefront6targetE1EEEvT1_,comdat
	.globl	_ZN7rocprim17ROCPRIM_400000_NS6detail17trampoline_kernelINS0_14default_configENS1_35adjacent_difference_config_selectorILb1ElEEZNS1_24adjacent_difference_implIS3_Lb1ELb0EPlS7_ZN2at6native12_GLOBAL__N_124unique_dim_cuda_templateIN3c104HalfEEESt5tupleIJNS8_6TensorESF_SF_EERKSF_lbbbEUlllE1_EE10hipError_tPvRmT2_T3_mT4_P12ihipStream_tbEUlT_E_NS1_11comp_targetILNS1_3genE10ELNS1_11target_archE1201ELNS1_3gpuE5ELNS1_3repE0EEENS1_30default_config_static_selectorELNS0_4arch9wavefront6targetE1EEEvT1_ ; -- Begin function _ZN7rocprim17ROCPRIM_400000_NS6detail17trampoline_kernelINS0_14default_configENS1_35adjacent_difference_config_selectorILb1ElEEZNS1_24adjacent_difference_implIS3_Lb1ELb0EPlS7_ZN2at6native12_GLOBAL__N_124unique_dim_cuda_templateIN3c104HalfEEESt5tupleIJNS8_6TensorESF_SF_EERKSF_lbbbEUlllE1_EE10hipError_tPvRmT2_T3_mT4_P12ihipStream_tbEUlT_E_NS1_11comp_targetILNS1_3genE10ELNS1_11target_archE1201ELNS1_3gpuE5ELNS1_3repE0EEENS1_30default_config_static_selectorELNS0_4arch9wavefront6targetE1EEEvT1_
	.p2align	8
	.type	_ZN7rocprim17ROCPRIM_400000_NS6detail17trampoline_kernelINS0_14default_configENS1_35adjacent_difference_config_selectorILb1ElEEZNS1_24adjacent_difference_implIS3_Lb1ELb0EPlS7_ZN2at6native12_GLOBAL__N_124unique_dim_cuda_templateIN3c104HalfEEESt5tupleIJNS8_6TensorESF_SF_EERKSF_lbbbEUlllE1_EE10hipError_tPvRmT2_T3_mT4_P12ihipStream_tbEUlT_E_NS1_11comp_targetILNS1_3genE10ELNS1_11target_archE1201ELNS1_3gpuE5ELNS1_3repE0EEENS1_30default_config_static_selectorELNS0_4arch9wavefront6targetE1EEEvT1_,@function
_ZN7rocprim17ROCPRIM_400000_NS6detail17trampoline_kernelINS0_14default_configENS1_35adjacent_difference_config_selectorILb1ElEEZNS1_24adjacent_difference_implIS3_Lb1ELb0EPlS7_ZN2at6native12_GLOBAL__N_124unique_dim_cuda_templateIN3c104HalfEEESt5tupleIJNS8_6TensorESF_SF_EERKSF_lbbbEUlllE1_EE10hipError_tPvRmT2_T3_mT4_P12ihipStream_tbEUlT_E_NS1_11comp_targetILNS1_3genE10ELNS1_11target_archE1201ELNS1_3gpuE5ELNS1_3repE0EEENS1_30default_config_static_selectorELNS0_4arch9wavefront6targetE1EEEvT1_: ; @_ZN7rocprim17ROCPRIM_400000_NS6detail17trampoline_kernelINS0_14default_configENS1_35adjacent_difference_config_selectorILb1ElEEZNS1_24adjacent_difference_implIS3_Lb1ELb0EPlS7_ZN2at6native12_GLOBAL__N_124unique_dim_cuda_templateIN3c104HalfEEESt5tupleIJNS8_6TensorESF_SF_EERKSF_lbbbEUlllE1_EE10hipError_tPvRmT2_T3_mT4_P12ihipStream_tbEUlT_E_NS1_11comp_targetILNS1_3genE10ELNS1_11target_archE1201ELNS1_3gpuE5ELNS1_3repE0EEENS1_30default_config_static_selectorELNS0_4arch9wavefront6targetE1EEEvT1_
; %bb.0:
	.section	.rodata,"a",@progbits
	.p2align	6, 0x0
	.amdhsa_kernel _ZN7rocprim17ROCPRIM_400000_NS6detail17trampoline_kernelINS0_14default_configENS1_35adjacent_difference_config_selectorILb1ElEEZNS1_24adjacent_difference_implIS3_Lb1ELb0EPlS7_ZN2at6native12_GLOBAL__N_124unique_dim_cuda_templateIN3c104HalfEEESt5tupleIJNS8_6TensorESF_SF_EERKSF_lbbbEUlllE1_EE10hipError_tPvRmT2_T3_mT4_P12ihipStream_tbEUlT_E_NS1_11comp_targetILNS1_3genE10ELNS1_11target_archE1201ELNS1_3gpuE5ELNS1_3repE0EEENS1_30default_config_static_selectorELNS0_4arch9wavefront6targetE1EEEvT1_
		.amdhsa_group_segment_fixed_size 0
		.amdhsa_private_segment_fixed_size 0
		.amdhsa_kernarg_size 64
		.amdhsa_user_sgpr_count 2
		.amdhsa_user_sgpr_dispatch_ptr 0
		.amdhsa_user_sgpr_queue_ptr 0
		.amdhsa_user_sgpr_kernarg_segment_ptr 1
		.amdhsa_user_sgpr_dispatch_id 0
		.amdhsa_user_sgpr_kernarg_preload_length 0
		.amdhsa_user_sgpr_kernarg_preload_offset 0
		.amdhsa_user_sgpr_private_segment_size 0
		.amdhsa_uses_dynamic_stack 0
		.amdhsa_enable_private_segment 0
		.amdhsa_system_sgpr_workgroup_id_x 1
		.amdhsa_system_sgpr_workgroup_id_y 0
		.amdhsa_system_sgpr_workgroup_id_z 0
		.amdhsa_system_sgpr_workgroup_info 0
		.amdhsa_system_vgpr_workitem_id 0
		.amdhsa_next_free_vgpr 1
		.amdhsa_next_free_sgpr 0
		.amdhsa_accum_offset 4
		.amdhsa_reserve_vcc 0
		.amdhsa_float_round_mode_32 0
		.amdhsa_float_round_mode_16_64 0
		.amdhsa_float_denorm_mode_32 3
		.amdhsa_float_denorm_mode_16_64 3
		.amdhsa_dx10_clamp 1
		.amdhsa_ieee_mode 1
		.amdhsa_fp16_overflow 0
		.amdhsa_tg_split 0
		.amdhsa_exception_fp_ieee_invalid_op 0
		.amdhsa_exception_fp_denorm_src 0
		.amdhsa_exception_fp_ieee_div_zero 0
		.amdhsa_exception_fp_ieee_overflow 0
		.amdhsa_exception_fp_ieee_underflow 0
		.amdhsa_exception_fp_ieee_inexact 0
		.amdhsa_exception_int_div_zero 0
	.end_amdhsa_kernel
	.section	.text._ZN7rocprim17ROCPRIM_400000_NS6detail17trampoline_kernelINS0_14default_configENS1_35adjacent_difference_config_selectorILb1ElEEZNS1_24adjacent_difference_implIS3_Lb1ELb0EPlS7_ZN2at6native12_GLOBAL__N_124unique_dim_cuda_templateIN3c104HalfEEESt5tupleIJNS8_6TensorESF_SF_EERKSF_lbbbEUlllE1_EE10hipError_tPvRmT2_T3_mT4_P12ihipStream_tbEUlT_E_NS1_11comp_targetILNS1_3genE10ELNS1_11target_archE1201ELNS1_3gpuE5ELNS1_3repE0EEENS1_30default_config_static_selectorELNS0_4arch9wavefront6targetE1EEEvT1_,"axG",@progbits,_ZN7rocprim17ROCPRIM_400000_NS6detail17trampoline_kernelINS0_14default_configENS1_35adjacent_difference_config_selectorILb1ElEEZNS1_24adjacent_difference_implIS3_Lb1ELb0EPlS7_ZN2at6native12_GLOBAL__N_124unique_dim_cuda_templateIN3c104HalfEEESt5tupleIJNS8_6TensorESF_SF_EERKSF_lbbbEUlllE1_EE10hipError_tPvRmT2_T3_mT4_P12ihipStream_tbEUlT_E_NS1_11comp_targetILNS1_3genE10ELNS1_11target_archE1201ELNS1_3gpuE5ELNS1_3repE0EEENS1_30default_config_static_selectorELNS0_4arch9wavefront6targetE1EEEvT1_,comdat
.Lfunc_end1290:
	.size	_ZN7rocprim17ROCPRIM_400000_NS6detail17trampoline_kernelINS0_14default_configENS1_35adjacent_difference_config_selectorILb1ElEEZNS1_24adjacent_difference_implIS3_Lb1ELb0EPlS7_ZN2at6native12_GLOBAL__N_124unique_dim_cuda_templateIN3c104HalfEEESt5tupleIJNS8_6TensorESF_SF_EERKSF_lbbbEUlllE1_EE10hipError_tPvRmT2_T3_mT4_P12ihipStream_tbEUlT_E_NS1_11comp_targetILNS1_3genE10ELNS1_11target_archE1201ELNS1_3gpuE5ELNS1_3repE0EEENS1_30default_config_static_selectorELNS0_4arch9wavefront6targetE1EEEvT1_, .Lfunc_end1290-_ZN7rocprim17ROCPRIM_400000_NS6detail17trampoline_kernelINS0_14default_configENS1_35adjacent_difference_config_selectorILb1ElEEZNS1_24adjacent_difference_implIS3_Lb1ELb0EPlS7_ZN2at6native12_GLOBAL__N_124unique_dim_cuda_templateIN3c104HalfEEESt5tupleIJNS8_6TensorESF_SF_EERKSF_lbbbEUlllE1_EE10hipError_tPvRmT2_T3_mT4_P12ihipStream_tbEUlT_E_NS1_11comp_targetILNS1_3genE10ELNS1_11target_archE1201ELNS1_3gpuE5ELNS1_3repE0EEENS1_30default_config_static_selectorELNS0_4arch9wavefront6targetE1EEEvT1_
                                        ; -- End function
	.set _ZN7rocprim17ROCPRIM_400000_NS6detail17trampoline_kernelINS0_14default_configENS1_35adjacent_difference_config_selectorILb1ElEEZNS1_24adjacent_difference_implIS3_Lb1ELb0EPlS7_ZN2at6native12_GLOBAL__N_124unique_dim_cuda_templateIN3c104HalfEEESt5tupleIJNS8_6TensorESF_SF_EERKSF_lbbbEUlllE1_EE10hipError_tPvRmT2_T3_mT4_P12ihipStream_tbEUlT_E_NS1_11comp_targetILNS1_3genE10ELNS1_11target_archE1201ELNS1_3gpuE5ELNS1_3repE0EEENS1_30default_config_static_selectorELNS0_4arch9wavefront6targetE1EEEvT1_.num_vgpr, 0
	.set _ZN7rocprim17ROCPRIM_400000_NS6detail17trampoline_kernelINS0_14default_configENS1_35adjacent_difference_config_selectorILb1ElEEZNS1_24adjacent_difference_implIS3_Lb1ELb0EPlS7_ZN2at6native12_GLOBAL__N_124unique_dim_cuda_templateIN3c104HalfEEESt5tupleIJNS8_6TensorESF_SF_EERKSF_lbbbEUlllE1_EE10hipError_tPvRmT2_T3_mT4_P12ihipStream_tbEUlT_E_NS1_11comp_targetILNS1_3genE10ELNS1_11target_archE1201ELNS1_3gpuE5ELNS1_3repE0EEENS1_30default_config_static_selectorELNS0_4arch9wavefront6targetE1EEEvT1_.num_agpr, 0
	.set _ZN7rocprim17ROCPRIM_400000_NS6detail17trampoline_kernelINS0_14default_configENS1_35adjacent_difference_config_selectorILb1ElEEZNS1_24adjacent_difference_implIS3_Lb1ELb0EPlS7_ZN2at6native12_GLOBAL__N_124unique_dim_cuda_templateIN3c104HalfEEESt5tupleIJNS8_6TensorESF_SF_EERKSF_lbbbEUlllE1_EE10hipError_tPvRmT2_T3_mT4_P12ihipStream_tbEUlT_E_NS1_11comp_targetILNS1_3genE10ELNS1_11target_archE1201ELNS1_3gpuE5ELNS1_3repE0EEENS1_30default_config_static_selectorELNS0_4arch9wavefront6targetE1EEEvT1_.numbered_sgpr, 0
	.set _ZN7rocprim17ROCPRIM_400000_NS6detail17trampoline_kernelINS0_14default_configENS1_35adjacent_difference_config_selectorILb1ElEEZNS1_24adjacent_difference_implIS3_Lb1ELb0EPlS7_ZN2at6native12_GLOBAL__N_124unique_dim_cuda_templateIN3c104HalfEEESt5tupleIJNS8_6TensorESF_SF_EERKSF_lbbbEUlllE1_EE10hipError_tPvRmT2_T3_mT4_P12ihipStream_tbEUlT_E_NS1_11comp_targetILNS1_3genE10ELNS1_11target_archE1201ELNS1_3gpuE5ELNS1_3repE0EEENS1_30default_config_static_selectorELNS0_4arch9wavefront6targetE1EEEvT1_.num_named_barrier, 0
	.set _ZN7rocprim17ROCPRIM_400000_NS6detail17trampoline_kernelINS0_14default_configENS1_35adjacent_difference_config_selectorILb1ElEEZNS1_24adjacent_difference_implIS3_Lb1ELb0EPlS7_ZN2at6native12_GLOBAL__N_124unique_dim_cuda_templateIN3c104HalfEEESt5tupleIJNS8_6TensorESF_SF_EERKSF_lbbbEUlllE1_EE10hipError_tPvRmT2_T3_mT4_P12ihipStream_tbEUlT_E_NS1_11comp_targetILNS1_3genE10ELNS1_11target_archE1201ELNS1_3gpuE5ELNS1_3repE0EEENS1_30default_config_static_selectorELNS0_4arch9wavefront6targetE1EEEvT1_.private_seg_size, 0
	.set _ZN7rocprim17ROCPRIM_400000_NS6detail17trampoline_kernelINS0_14default_configENS1_35adjacent_difference_config_selectorILb1ElEEZNS1_24adjacent_difference_implIS3_Lb1ELb0EPlS7_ZN2at6native12_GLOBAL__N_124unique_dim_cuda_templateIN3c104HalfEEESt5tupleIJNS8_6TensorESF_SF_EERKSF_lbbbEUlllE1_EE10hipError_tPvRmT2_T3_mT4_P12ihipStream_tbEUlT_E_NS1_11comp_targetILNS1_3genE10ELNS1_11target_archE1201ELNS1_3gpuE5ELNS1_3repE0EEENS1_30default_config_static_selectorELNS0_4arch9wavefront6targetE1EEEvT1_.uses_vcc, 0
	.set _ZN7rocprim17ROCPRIM_400000_NS6detail17trampoline_kernelINS0_14default_configENS1_35adjacent_difference_config_selectorILb1ElEEZNS1_24adjacent_difference_implIS3_Lb1ELb0EPlS7_ZN2at6native12_GLOBAL__N_124unique_dim_cuda_templateIN3c104HalfEEESt5tupleIJNS8_6TensorESF_SF_EERKSF_lbbbEUlllE1_EE10hipError_tPvRmT2_T3_mT4_P12ihipStream_tbEUlT_E_NS1_11comp_targetILNS1_3genE10ELNS1_11target_archE1201ELNS1_3gpuE5ELNS1_3repE0EEENS1_30default_config_static_selectorELNS0_4arch9wavefront6targetE1EEEvT1_.uses_flat_scratch, 0
	.set _ZN7rocprim17ROCPRIM_400000_NS6detail17trampoline_kernelINS0_14default_configENS1_35adjacent_difference_config_selectorILb1ElEEZNS1_24adjacent_difference_implIS3_Lb1ELb0EPlS7_ZN2at6native12_GLOBAL__N_124unique_dim_cuda_templateIN3c104HalfEEESt5tupleIJNS8_6TensorESF_SF_EERKSF_lbbbEUlllE1_EE10hipError_tPvRmT2_T3_mT4_P12ihipStream_tbEUlT_E_NS1_11comp_targetILNS1_3genE10ELNS1_11target_archE1201ELNS1_3gpuE5ELNS1_3repE0EEENS1_30default_config_static_selectorELNS0_4arch9wavefront6targetE1EEEvT1_.has_dyn_sized_stack, 0
	.set _ZN7rocprim17ROCPRIM_400000_NS6detail17trampoline_kernelINS0_14default_configENS1_35adjacent_difference_config_selectorILb1ElEEZNS1_24adjacent_difference_implIS3_Lb1ELb0EPlS7_ZN2at6native12_GLOBAL__N_124unique_dim_cuda_templateIN3c104HalfEEESt5tupleIJNS8_6TensorESF_SF_EERKSF_lbbbEUlllE1_EE10hipError_tPvRmT2_T3_mT4_P12ihipStream_tbEUlT_E_NS1_11comp_targetILNS1_3genE10ELNS1_11target_archE1201ELNS1_3gpuE5ELNS1_3repE0EEENS1_30default_config_static_selectorELNS0_4arch9wavefront6targetE1EEEvT1_.has_recursion, 0
	.set _ZN7rocprim17ROCPRIM_400000_NS6detail17trampoline_kernelINS0_14default_configENS1_35adjacent_difference_config_selectorILb1ElEEZNS1_24adjacent_difference_implIS3_Lb1ELb0EPlS7_ZN2at6native12_GLOBAL__N_124unique_dim_cuda_templateIN3c104HalfEEESt5tupleIJNS8_6TensorESF_SF_EERKSF_lbbbEUlllE1_EE10hipError_tPvRmT2_T3_mT4_P12ihipStream_tbEUlT_E_NS1_11comp_targetILNS1_3genE10ELNS1_11target_archE1201ELNS1_3gpuE5ELNS1_3repE0EEENS1_30default_config_static_selectorELNS0_4arch9wavefront6targetE1EEEvT1_.has_indirect_call, 0
	.section	.AMDGPU.csdata,"",@progbits
; Kernel info:
; codeLenInByte = 0
; TotalNumSgprs: 6
; NumVgprs: 0
; NumAgprs: 0
; TotalNumVgprs: 0
; ScratchSize: 0
; MemoryBound: 0
; FloatMode: 240
; IeeeMode: 1
; LDSByteSize: 0 bytes/workgroup (compile time only)
; SGPRBlocks: 0
; VGPRBlocks: 0
; NumSGPRsForWavesPerEU: 6
; NumVGPRsForWavesPerEU: 1
; AccumOffset: 4
; Occupancy: 8
; WaveLimiterHint : 0
; COMPUTE_PGM_RSRC2:SCRATCH_EN: 0
; COMPUTE_PGM_RSRC2:USER_SGPR: 2
; COMPUTE_PGM_RSRC2:TRAP_HANDLER: 0
; COMPUTE_PGM_RSRC2:TGID_X_EN: 1
; COMPUTE_PGM_RSRC2:TGID_Y_EN: 0
; COMPUTE_PGM_RSRC2:TGID_Z_EN: 0
; COMPUTE_PGM_RSRC2:TIDIG_COMP_CNT: 0
; COMPUTE_PGM_RSRC3_GFX90A:ACCUM_OFFSET: 0
; COMPUTE_PGM_RSRC3_GFX90A:TG_SPLIT: 0
	.section	.text._ZN7rocprim17ROCPRIM_400000_NS6detail17trampoline_kernelINS0_14default_configENS1_35adjacent_difference_config_selectorILb1ElEEZNS1_24adjacent_difference_implIS3_Lb1ELb0EPlS7_ZN2at6native12_GLOBAL__N_124unique_dim_cuda_templateIN3c104HalfEEESt5tupleIJNS8_6TensorESF_SF_EERKSF_lbbbEUlllE1_EE10hipError_tPvRmT2_T3_mT4_P12ihipStream_tbEUlT_E_NS1_11comp_targetILNS1_3genE5ELNS1_11target_archE942ELNS1_3gpuE9ELNS1_3repE0EEENS1_30default_config_static_selectorELNS0_4arch9wavefront6targetE1EEEvT1_,"axG",@progbits,_ZN7rocprim17ROCPRIM_400000_NS6detail17trampoline_kernelINS0_14default_configENS1_35adjacent_difference_config_selectorILb1ElEEZNS1_24adjacent_difference_implIS3_Lb1ELb0EPlS7_ZN2at6native12_GLOBAL__N_124unique_dim_cuda_templateIN3c104HalfEEESt5tupleIJNS8_6TensorESF_SF_EERKSF_lbbbEUlllE1_EE10hipError_tPvRmT2_T3_mT4_P12ihipStream_tbEUlT_E_NS1_11comp_targetILNS1_3genE5ELNS1_11target_archE942ELNS1_3gpuE9ELNS1_3repE0EEENS1_30default_config_static_selectorELNS0_4arch9wavefront6targetE1EEEvT1_,comdat
	.globl	_ZN7rocprim17ROCPRIM_400000_NS6detail17trampoline_kernelINS0_14default_configENS1_35adjacent_difference_config_selectorILb1ElEEZNS1_24adjacent_difference_implIS3_Lb1ELb0EPlS7_ZN2at6native12_GLOBAL__N_124unique_dim_cuda_templateIN3c104HalfEEESt5tupleIJNS8_6TensorESF_SF_EERKSF_lbbbEUlllE1_EE10hipError_tPvRmT2_T3_mT4_P12ihipStream_tbEUlT_E_NS1_11comp_targetILNS1_3genE5ELNS1_11target_archE942ELNS1_3gpuE9ELNS1_3repE0EEENS1_30default_config_static_selectorELNS0_4arch9wavefront6targetE1EEEvT1_ ; -- Begin function _ZN7rocprim17ROCPRIM_400000_NS6detail17trampoline_kernelINS0_14default_configENS1_35adjacent_difference_config_selectorILb1ElEEZNS1_24adjacent_difference_implIS3_Lb1ELb0EPlS7_ZN2at6native12_GLOBAL__N_124unique_dim_cuda_templateIN3c104HalfEEESt5tupleIJNS8_6TensorESF_SF_EERKSF_lbbbEUlllE1_EE10hipError_tPvRmT2_T3_mT4_P12ihipStream_tbEUlT_E_NS1_11comp_targetILNS1_3genE5ELNS1_11target_archE942ELNS1_3gpuE9ELNS1_3repE0EEENS1_30default_config_static_selectorELNS0_4arch9wavefront6targetE1EEEvT1_
	.p2align	8
	.type	_ZN7rocprim17ROCPRIM_400000_NS6detail17trampoline_kernelINS0_14default_configENS1_35adjacent_difference_config_selectorILb1ElEEZNS1_24adjacent_difference_implIS3_Lb1ELb0EPlS7_ZN2at6native12_GLOBAL__N_124unique_dim_cuda_templateIN3c104HalfEEESt5tupleIJNS8_6TensorESF_SF_EERKSF_lbbbEUlllE1_EE10hipError_tPvRmT2_T3_mT4_P12ihipStream_tbEUlT_E_NS1_11comp_targetILNS1_3genE5ELNS1_11target_archE942ELNS1_3gpuE9ELNS1_3repE0EEENS1_30default_config_static_selectorELNS0_4arch9wavefront6targetE1EEEvT1_,@function
_ZN7rocprim17ROCPRIM_400000_NS6detail17trampoline_kernelINS0_14default_configENS1_35adjacent_difference_config_selectorILb1ElEEZNS1_24adjacent_difference_implIS3_Lb1ELb0EPlS7_ZN2at6native12_GLOBAL__N_124unique_dim_cuda_templateIN3c104HalfEEESt5tupleIJNS8_6TensorESF_SF_EERKSF_lbbbEUlllE1_EE10hipError_tPvRmT2_T3_mT4_P12ihipStream_tbEUlT_E_NS1_11comp_targetILNS1_3genE5ELNS1_11target_archE942ELNS1_3gpuE9ELNS1_3repE0EEENS1_30default_config_static_selectorELNS0_4arch9wavefront6targetE1EEEvT1_: ; @_ZN7rocprim17ROCPRIM_400000_NS6detail17trampoline_kernelINS0_14default_configENS1_35adjacent_difference_config_selectorILb1ElEEZNS1_24adjacent_difference_implIS3_Lb1ELb0EPlS7_ZN2at6native12_GLOBAL__N_124unique_dim_cuda_templateIN3c104HalfEEESt5tupleIJNS8_6TensorESF_SF_EERKSF_lbbbEUlllE1_EE10hipError_tPvRmT2_T3_mT4_P12ihipStream_tbEUlT_E_NS1_11comp_targetILNS1_3genE5ELNS1_11target_archE942ELNS1_3gpuE9ELNS1_3repE0EEENS1_30default_config_static_selectorELNS0_4arch9wavefront6targetE1EEEvT1_
; %bb.0:
	.section	.rodata,"a",@progbits
	.p2align	6, 0x0
	.amdhsa_kernel _ZN7rocprim17ROCPRIM_400000_NS6detail17trampoline_kernelINS0_14default_configENS1_35adjacent_difference_config_selectorILb1ElEEZNS1_24adjacent_difference_implIS3_Lb1ELb0EPlS7_ZN2at6native12_GLOBAL__N_124unique_dim_cuda_templateIN3c104HalfEEESt5tupleIJNS8_6TensorESF_SF_EERKSF_lbbbEUlllE1_EE10hipError_tPvRmT2_T3_mT4_P12ihipStream_tbEUlT_E_NS1_11comp_targetILNS1_3genE5ELNS1_11target_archE942ELNS1_3gpuE9ELNS1_3repE0EEENS1_30default_config_static_selectorELNS0_4arch9wavefront6targetE1EEEvT1_
		.amdhsa_group_segment_fixed_size 0
		.amdhsa_private_segment_fixed_size 0
		.amdhsa_kernarg_size 64
		.amdhsa_user_sgpr_count 2
		.amdhsa_user_sgpr_dispatch_ptr 0
		.amdhsa_user_sgpr_queue_ptr 0
		.amdhsa_user_sgpr_kernarg_segment_ptr 1
		.amdhsa_user_sgpr_dispatch_id 0
		.amdhsa_user_sgpr_kernarg_preload_length 0
		.amdhsa_user_sgpr_kernarg_preload_offset 0
		.amdhsa_user_sgpr_private_segment_size 0
		.amdhsa_uses_dynamic_stack 0
		.amdhsa_enable_private_segment 0
		.amdhsa_system_sgpr_workgroup_id_x 1
		.amdhsa_system_sgpr_workgroup_id_y 0
		.amdhsa_system_sgpr_workgroup_id_z 0
		.amdhsa_system_sgpr_workgroup_info 0
		.amdhsa_system_vgpr_workitem_id 0
		.amdhsa_next_free_vgpr 1
		.amdhsa_next_free_sgpr 0
		.amdhsa_accum_offset 4
		.amdhsa_reserve_vcc 0
		.amdhsa_float_round_mode_32 0
		.amdhsa_float_round_mode_16_64 0
		.amdhsa_float_denorm_mode_32 3
		.amdhsa_float_denorm_mode_16_64 3
		.amdhsa_dx10_clamp 1
		.amdhsa_ieee_mode 1
		.amdhsa_fp16_overflow 0
		.amdhsa_tg_split 0
		.amdhsa_exception_fp_ieee_invalid_op 0
		.amdhsa_exception_fp_denorm_src 0
		.amdhsa_exception_fp_ieee_div_zero 0
		.amdhsa_exception_fp_ieee_overflow 0
		.amdhsa_exception_fp_ieee_underflow 0
		.amdhsa_exception_fp_ieee_inexact 0
		.amdhsa_exception_int_div_zero 0
	.end_amdhsa_kernel
	.section	.text._ZN7rocprim17ROCPRIM_400000_NS6detail17trampoline_kernelINS0_14default_configENS1_35adjacent_difference_config_selectorILb1ElEEZNS1_24adjacent_difference_implIS3_Lb1ELb0EPlS7_ZN2at6native12_GLOBAL__N_124unique_dim_cuda_templateIN3c104HalfEEESt5tupleIJNS8_6TensorESF_SF_EERKSF_lbbbEUlllE1_EE10hipError_tPvRmT2_T3_mT4_P12ihipStream_tbEUlT_E_NS1_11comp_targetILNS1_3genE5ELNS1_11target_archE942ELNS1_3gpuE9ELNS1_3repE0EEENS1_30default_config_static_selectorELNS0_4arch9wavefront6targetE1EEEvT1_,"axG",@progbits,_ZN7rocprim17ROCPRIM_400000_NS6detail17trampoline_kernelINS0_14default_configENS1_35adjacent_difference_config_selectorILb1ElEEZNS1_24adjacent_difference_implIS3_Lb1ELb0EPlS7_ZN2at6native12_GLOBAL__N_124unique_dim_cuda_templateIN3c104HalfEEESt5tupleIJNS8_6TensorESF_SF_EERKSF_lbbbEUlllE1_EE10hipError_tPvRmT2_T3_mT4_P12ihipStream_tbEUlT_E_NS1_11comp_targetILNS1_3genE5ELNS1_11target_archE942ELNS1_3gpuE9ELNS1_3repE0EEENS1_30default_config_static_selectorELNS0_4arch9wavefront6targetE1EEEvT1_,comdat
.Lfunc_end1291:
	.size	_ZN7rocprim17ROCPRIM_400000_NS6detail17trampoline_kernelINS0_14default_configENS1_35adjacent_difference_config_selectorILb1ElEEZNS1_24adjacent_difference_implIS3_Lb1ELb0EPlS7_ZN2at6native12_GLOBAL__N_124unique_dim_cuda_templateIN3c104HalfEEESt5tupleIJNS8_6TensorESF_SF_EERKSF_lbbbEUlllE1_EE10hipError_tPvRmT2_T3_mT4_P12ihipStream_tbEUlT_E_NS1_11comp_targetILNS1_3genE5ELNS1_11target_archE942ELNS1_3gpuE9ELNS1_3repE0EEENS1_30default_config_static_selectorELNS0_4arch9wavefront6targetE1EEEvT1_, .Lfunc_end1291-_ZN7rocprim17ROCPRIM_400000_NS6detail17trampoline_kernelINS0_14default_configENS1_35adjacent_difference_config_selectorILb1ElEEZNS1_24adjacent_difference_implIS3_Lb1ELb0EPlS7_ZN2at6native12_GLOBAL__N_124unique_dim_cuda_templateIN3c104HalfEEESt5tupleIJNS8_6TensorESF_SF_EERKSF_lbbbEUlllE1_EE10hipError_tPvRmT2_T3_mT4_P12ihipStream_tbEUlT_E_NS1_11comp_targetILNS1_3genE5ELNS1_11target_archE942ELNS1_3gpuE9ELNS1_3repE0EEENS1_30default_config_static_selectorELNS0_4arch9wavefront6targetE1EEEvT1_
                                        ; -- End function
	.set _ZN7rocprim17ROCPRIM_400000_NS6detail17trampoline_kernelINS0_14default_configENS1_35adjacent_difference_config_selectorILb1ElEEZNS1_24adjacent_difference_implIS3_Lb1ELb0EPlS7_ZN2at6native12_GLOBAL__N_124unique_dim_cuda_templateIN3c104HalfEEESt5tupleIJNS8_6TensorESF_SF_EERKSF_lbbbEUlllE1_EE10hipError_tPvRmT2_T3_mT4_P12ihipStream_tbEUlT_E_NS1_11comp_targetILNS1_3genE5ELNS1_11target_archE942ELNS1_3gpuE9ELNS1_3repE0EEENS1_30default_config_static_selectorELNS0_4arch9wavefront6targetE1EEEvT1_.num_vgpr, 0
	.set _ZN7rocprim17ROCPRIM_400000_NS6detail17trampoline_kernelINS0_14default_configENS1_35adjacent_difference_config_selectorILb1ElEEZNS1_24adjacent_difference_implIS3_Lb1ELb0EPlS7_ZN2at6native12_GLOBAL__N_124unique_dim_cuda_templateIN3c104HalfEEESt5tupleIJNS8_6TensorESF_SF_EERKSF_lbbbEUlllE1_EE10hipError_tPvRmT2_T3_mT4_P12ihipStream_tbEUlT_E_NS1_11comp_targetILNS1_3genE5ELNS1_11target_archE942ELNS1_3gpuE9ELNS1_3repE0EEENS1_30default_config_static_selectorELNS0_4arch9wavefront6targetE1EEEvT1_.num_agpr, 0
	.set _ZN7rocprim17ROCPRIM_400000_NS6detail17trampoline_kernelINS0_14default_configENS1_35adjacent_difference_config_selectorILb1ElEEZNS1_24adjacent_difference_implIS3_Lb1ELb0EPlS7_ZN2at6native12_GLOBAL__N_124unique_dim_cuda_templateIN3c104HalfEEESt5tupleIJNS8_6TensorESF_SF_EERKSF_lbbbEUlllE1_EE10hipError_tPvRmT2_T3_mT4_P12ihipStream_tbEUlT_E_NS1_11comp_targetILNS1_3genE5ELNS1_11target_archE942ELNS1_3gpuE9ELNS1_3repE0EEENS1_30default_config_static_selectorELNS0_4arch9wavefront6targetE1EEEvT1_.numbered_sgpr, 0
	.set _ZN7rocprim17ROCPRIM_400000_NS6detail17trampoline_kernelINS0_14default_configENS1_35adjacent_difference_config_selectorILb1ElEEZNS1_24adjacent_difference_implIS3_Lb1ELb0EPlS7_ZN2at6native12_GLOBAL__N_124unique_dim_cuda_templateIN3c104HalfEEESt5tupleIJNS8_6TensorESF_SF_EERKSF_lbbbEUlllE1_EE10hipError_tPvRmT2_T3_mT4_P12ihipStream_tbEUlT_E_NS1_11comp_targetILNS1_3genE5ELNS1_11target_archE942ELNS1_3gpuE9ELNS1_3repE0EEENS1_30default_config_static_selectorELNS0_4arch9wavefront6targetE1EEEvT1_.num_named_barrier, 0
	.set _ZN7rocprim17ROCPRIM_400000_NS6detail17trampoline_kernelINS0_14default_configENS1_35adjacent_difference_config_selectorILb1ElEEZNS1_24adjacent_difference_implIS3_Lb1ELb0EPlS7_ZN2at6native12_GLOBAL__N_124unique_dim_cuda_templateIN3c104HalfEEESt5tupleIJNS8_6TensorESF_SF_EERKSF_lbbbEUlllE1_EE10hipError_tPvRmT2_T3_mT4_P12ihipStream_tbEUlT_E_NS1_11comp_targetILNS1_3genE5ELNS1_11target_archE942ELNS1_3gpuE9ELNS1_3repE0EEENS1_30default_config_static_selectorELNS0_4arch9wavefront6targetE1EEEvT1_.private_seg_size, 0
	.set _ZN7rocprim17ROCPRIM_400000_NS6detail17trampoline_kernelINS0_14default_configENS1_35adjacent_difference_config_selectorILb1ElEEZNS1_24adjacent_difference_implIS3_Lb1ELb0EPlS7_ZN2at6native12_GLOBAL__N_124unique_dim_cuda_templateIN3c104HalfEEESt5tupleIJNS8_6TensorESF_SF_EERKSF_lbbbEUlllE1_EE10hipError_tPvRmT2_T3_mT4_P12ihipStream_tbEUlT_E_NS1_11comp_targetILNS1_3genE5ELNS1_11target_archE942ELNS1_3gpuE9ELNS1_3repE0EEENS1_30default_config_static_selectorELNS0_4arch9wavefront6targetE1EEEvT1_.uses_vcc, 0
	.set _ZN7rocprim17ROCPRIM_400000_NS6detail17trampoline_kernelINS0_14default_configENS1_35adjacent_difference_config_selectorILb1ElEEZNS1_24adjacent_difference_implIS3_Lb1ELb0EPlS7_ZN2at6native12_GLOBAL__N_124unique_dim_cuda_templateIN3c104HalfEEESt5tupleIJNS8_6TensorESF_SF_EERKSF_lbbbEUlllE1_EE10hipError_tPvRmT2_T3_mT4_P12ihipStream_tbEUlT_E_NS1_11comp_targetILNS1_3genE5ELNS1_11target_archE942ELNS1_3gpuE9ELNS1_3repE0EEENS1_30default_config_static_selectorELNS0_4arch9wavefront6targetE1EEEvT1_.uses_flat_scratch, 0
	.set _ZN7rocprim17ROCPRIM_400000_NS6detail17trampoline_kernelINS0_14default_configENS1_35adjacent_difference_config_selectorILb1ElEEZNS1_24adjacent_difference_implIS3_Lb1ELb0EPlS7_ZN2at6native12_GLOBAL__N_124unique_dim_cuda_templateIN3c104HalfEEESt5tupleIJNS8_6TensorESF_SF_EERKSF_lbbbEUlllE1_EE10hipError_tPvRmT2_T3_mT4_P12ihipStream_tbEUlT_E_NS1_11comp_targetILNS1_3genE5ELNS1_11target_archE942ELNS1_3gpuE9ELNS1_3repE0EEENS1_30default_config_static_selectorELNS0_4arch9wavefront6targetE1EEEvT1_.has_dyn_sized_stack, 0
	.set _ZN7rocprim17ROCPRIM_400000_NS6detail17trampoline_kernelINS0_14default_configENS1_35adjacent_difference_config_selectorILb1ElEEZNS1_24adjacent_difference_implIS3_Lb1ELb0EPlS7_ZN2at6native12_GLOBAL__N_124unique_dim_cuda_templateIN3c104HalfEEESt5tupleIJNS8_6TensorESF_SF_EERKSF_lbbbEUlllE1_EE10hipError_tPvRmT2_T3_mT4_P12ihipStream_tbEUlT_E_NS1_11comp_targetILNS1_3genE5ELNS1_11target_archE942ELNS1_3gpuE9ELNS1_3repE0EEENS1_30default_config_static_selectorELNS0_4arch9wavefront6targetE1EEEvT1_.has_recursion, 0
	.set _ZN7rocprim17ROCPRIM_400000_NS6detail17trampoline_kernelINS0_14default_configENS1_35adjacent_difference_config_selectorILb1ElEEZNS1_24adjacent_difference_implIS3_Lb1ELb0EPlS7_ZN2at6native12_GLOBAL__N_124unique_dim_cuda_templateIN3c104HalfEEESt5tupleIJNS8_6TensorESF_SF_EERKSF_lbbbEUlllE1_EE10hipError_tPvRmT2_T3_mT4_P12ihipStream_tbEUlT_E_NS1_11comp_targetILNS1_3genE5ELNS1_11target_archE942ELNS1_3gpuE9ELNS1_3repE0EEENS1_30default_config_static_selectorELNS0_4arch9wavefront6targetE1EEEvT1_.has_indirect_call, 0
	.section	.AMDGPU.csdata,"",@progbits
; Kernel info:
; codeLenInByte = 0
; TotalNumSgprs: 6
; NumVgprs: 0
; NumAgprs: 0
; TotalNumVgprs: 0
; ScratchSize: 0
; MemoryBound: 0
; FloatMode: 240
; IeeeMode: 1
; LDSByteSize: 0 bytes/workgroup (compile time only)
; SGPRBlocks: 0
; VGPRBlocks: 0
; NumSGPRsForWavesPerEU: 6
; NumVGPRsForWavesPerEU: 1
; AccumOffset: 4
; Occupancy: 8
; WaveLimiterHint : 0
; COMPUTE_PGM_RSRC2:SCRATCH_EN: 0
; COMPUTE_PGM_RSRC2:USER_SGPR: 2
; COMPUTE_PGM_RSRC2:TRAP_HANDLER: 0
; COMPUTE_PGM_RSRC2:TGID_X_EN: 1
; COMPUTE_PGM_RSRC2:TGID_Y_EN: 0
; COMPUTE_PGM_RSRC2:TGID_Z_EN: 0
; COMPUTE_PGM_RSRC2:TIDIG_COMP_CNT: 0
; COMPUTE_PGM_RSRC3_GFX90A:ACCUM_OFFSET: 0
; COMPUTE_PGM_RSRC3_GFX90A:TG_SPLIT: 0
	.section	.text._ZN7rocprim17ROCPRIM_400000_NS6detail17trampoline_kernelINS0_14default_configENS1_35adjacent_difference_config_selectorILb1ElEEZNS1_24adjacent_difference_implIS3_Lb1ELb0EPlS7_ZN2at6native12_GLOBAL__N_124unique_dim_cuda_templateIN3c104HalfEEESt5tupleIJNS8_6TensorESF_SF_EERKSF_lbbbEUlllE1_EE10hipError_tPvRmT2_T3_mT4_P12ihipStream_tbEUlT_E_NS1_11comp_targetILNS1_3genE4ELNS1_11target_archE910ELNS1_3gpuE8ELNS1_3repE0EEENS1_30default_config_static_selectorELNS0_4arch9wavefront6targetE1EEEvT1_,"axG",@progbits,_ZN7rocprim17ROCPRIM_400000_NS6detail17trampoline_kernelINS0_14default_configENS1_35adjacent_difference_config_selectorILb1ElEEZNS1_24adjacent_difference_implIS3_Lb1ELb0EPlS7_ZN2at6native12_GLOBAL__N_124unique_dim_cuda_templateIN3c104HalfEEESt5tupleIJNS8_6TensorESF_SF_EERKSF_lbbbEUlllE1_EE10hipError_tPvRmT2_T3_mT4_P12ihipStream_tbEUlT_E_NS1_11comp_targetILNS1_3genE4ELNS1_11target_archE910ELNS1_3gpuE8ELNS1_3repE0EEENS1_30default_config_static_selectorELNS0_4arch9wavefront6targetE1EEEvT1_,comdat
	.globl	_ZN7rocprim17ROCPRIM_400000_NS6detail17trampoline_kernelINS0_14default_configENS1_35adjacent_difference_config_selectorILb1ElEEZNS1_24adjacent_difference_implIS3_Lb1ELb0EPlS7_ZN2at6native12_GLOBAL__N_124unique_dim_cuda_templateIN3c104HalfEEESt5tupleIJNS8_6TensorESF_SF_EERKSF_lbbbEUlllE1_EE10hipError_tPvRmT2_T3_mT4_P12ihipStream_tbEUlT_E_NS1_11comp_targetILNS1_3genE4ELNS1_11target_archE910ELNS1_3gpuE8ELNS1_3repE0EEENS1_30default_config_static_selectorELNS0_4arch9wavefront6targetE1EEEvT1_ ; -- Begin function _ZN7rocprim17ROCPRIM_400000_NS6detail17trampoline_kernelINS0_14default_configENS1_35adjacent_difference_config_selectorILb1ElEEZNS1_24adjacent_difference_implIS3_Lb1ELb0EPlS7_ZN2at6native12_GLOBAL__N_124unique_dim_cuda_templateIN3c104HalfEEESt5tupleIJNS8_6TensorESF_SF_EERKSF_lbbbEUlllE1_EE10hipError_tPvRmT2_T3_mT4_P12ihipStream_tbEUlT_E_NS1_11comp_targetILNS1_3genE4ELNS1_11target_archE910ELNS1_3gpuE8ELNS1_3repE0EEENS1_30default_config_static_selectorELNS0_4arch9wavefront6targetE1EEEvT1_
	.p2align	8
	.type	_ZN7rocprim17ROCPRIM_400000_NS6detail17trampoline_kernelINS0_14default_configENS1_35adjacent_difference_config_selectorILb1ElEEZNS1_24adjacent_difference_implIS3_Lb1ELb0EPlS7_ZN2at6native12_GLOBAL__N_124unique_dim_cuda_templateIN3c104HalfEEESt5tupleIJNS8_6TensorESF_SF_EERKSF_lbbbEUlllE1_EE10hipError_tPvRmT2_T3_mT4_P12ihipStream_tbEUlT_E_NS1_11comp_targetILNS1_3genE4ELNS1_11target_archE910ELNS1_3gpuE8ELNS1_3repE0EEENS1_30default_config_static_selectorELNS0_4arch9wavefront6targetE1EEEvT1_,@function
_ZN7rocprim17ROCPRIM_400000_NS6detail17trampoline_kernelINS0_14default_configENS1_35adjacent_difference_config_selectorILb1ElEEZNS1_24adjacent_difference_implIS3_Lb1ELb0EPlS7_ZN2at6native12_GLOBAL__N_124unique_dim_cuda_templateIN3c104HalfEEESt5tupleIJNS8_6TensorESF_SF_EERKSF_lbbbEUlllE1_EE10hipError_tPvRmT2_T3_mT4_P12ihipStream_tbEUlT_E_NS1_11comp_targetILNS1_3genE4ELNS1_11target_archE910ELNS1_3gpuE8ELNS1_3repE0EEENS1_30default_config_static_selectorELNS0_4arch9wavefront6targetE1EEEvT1_: ; @_ZN7rocprim17ROCPRIM_400000_NS6detail17trampoline_kernelINS0_14default_configENS1_35adjacent_difference_config_selectorILb1ElEEZNS1_24adjacent_difference_implIS3_Lb1ELb0EPlS7_ZN2at6native12_GLOBAL__N_124unique_dim_cuda_templateIN3c104HalfEEESt5tupleIJNS8_6TensorESF_SF_EERKSF_lbbbEUlllE1_EE10hipError_tPvRmT2_T3_mT4_P12ihipStream_tbEUlT_E_NS1_11comp_targetILNS1_3genE4ELNS1_11target_archE910ELNS1_3gpuE8ELNS1_3repE0EEENS1_30default_config_static_selectorELNS0_4arch9wavefront6targetE1EEEvT1_
; %bb.0:
	.section	.rodata,"a",@progbits
	.p2align	6, 0x0
	.amdhsa_kernel _ZN7rocprim17ROCPRIM_400000_NS6detail17trampoline_kernelINS0_14default_configENS1_35adjacent_difference_config_selectorILb1ElEEZNS1_24adjacent_difference_implIS3_Lb1ELb0EPlS7_ZN2at6native12_GLOBAL__N_124unique_dim_cuda_templateIN3c104HalfEEESt5tupleIJNS8_6TensorESF_SF_EERKSF_lbbbEUlllE1_EE10hipError_tPvRmT2_T3_mT4_P12ihipStream_tbEUlT_E_NS1_11comp_targetILNS1_3genE4ELNS1_11target_archE910ELNS1_3gpuE8ELNS1_3repE0EEENS1_30default_config_static_selectorELNS0_4arch9wavefront6targetE1EEEvT1_
		.amdhsa_group_segment_fixed_size 0
		.amdhsa_private_segment_fixed_size 0
		.amdhsa_kernarg_size 64
		.amdhsa_user_sgpr_count 2
		.amdhsa_user_sgpr_dispatch_ptr 0
		.amdhsa_user_sgpr_queue_ptr 0
		.amdhsa_user_sgpr_kernarg_segment_ptr 1
		.amdhsa_user_sgpr_dispatch_id 0
		.amdhsa_user_sgpr_kernarg_preload_length 0
		.amdhsa_user_sgpr_kernarg_preload_offset 0
		.amdhsa_user_sgpr_private_segment_size 0
		.amdhsa_uses_dynamic_stack 0
		.amdhsa_enable_private_segment 0
		.amdhsa_system_sgpr_workgroup_id_x 1
		.amdhsa_system_sgpr_workgroup_id_y 0
		.amdhsa_system_sgpr_workgroup_id_z 0
		.amdhsa_system_sgpr_workgroup_info 0
		.amdhsa_system_vgpr_workitem_id 0
		.amdhsa_next_free_vgpr 1
		.amdhsa_next_free_sgpr 0
		.amdhsa_accum_offset 4
		.amdhsa_reserve_vcc 0
		.amdhsa_float_round_mode_32 0
		.amdhsa_float_round_mode_16_64 0
		.amdhsa_float_denorm_mode_32 3
		.amdhsa_float_denorm_mode_16_64 3
		.amdhsa_dx10_clamp 1
		.amdhsa_ieee_mode 1
		.amdhsa_fp16_overflow 0
		.amdhsa_tg_split 0
		.amdhsa_exception_fp_ieee_invalid_op 0
		.amdhsa_exception_fp_denorm_src 0
		.amdhsa_exception_fp_ieee_div_zero 0
		.amdhsa_exception_fp_ieee_overflow 0
		.amdhsa_exception_fp_ieee_underflow 0
		.amdhsa_exception_fp_ieee_inexact 0
		.amdhsa_exception_int_div_zero 0
	.end_amdhsa_kernel
	.section	.text._ZN7rocprim17ROCPRIM_400000_NS6detail17trampoline_kernelINS0_14default_configENS1_35adjacent_difference_config_selectorILb1ElEEZNS1_24adjacent_difference_implIS3_Lb1ELb0EPlS7_ZN2at6native12_GLOBAL__N_124unique_dim_cuda_templateIN3c104HalfEEESt5tupleIJNS8_6TensorESF_SF_EERKSF_lbbbEUlllE1_EE10hipError_tPvRmT2_T3_mT4_P12ihipStream_tbEUlT_E_NS1_11comp_targetILNS1_3genE4ELNS1_11target_archE910ELNS1_3gpuE8ELNS1_3repE0EEENS1_30default_config_static_selectorELNS0_4arch9wavefront6targetE1EEEvT1_,"axG",@progbits,_ZN7rocprim17ROCPRIM_400000_NS6detail17trampoline_kernelINS0_14default_configENS1_35adjacent_difference_config_selectorILb1ElEEZNS1_24adjacent_difference_implIS3_Lb1ELb0EPlS7_ZN2at6native12_GLOBAL__N_124unique_dim_cuda_templateIN3c104HalfEEESt5tupleIJNS8_6TensorESF_SF_EERKSF_lbbbEUlllE1_EE10hipError_tPvRmT2_T3_mT4_P12ihipStream_tbEUlT_E_NS1_11comp_targetILNS1_3genE4ELNS1_11target_archE910ELNS1_3gpuE8ELNS1_3repE0EEENS1_30default_config_static_selectorELNS0_4arch9wavefront6targetE1EEEvT1_,comdat
.Lfunc_end1292:
	.size	_ZN7rocprim17ROCPRIM_400000_NS6detail17trampoline_kernelINS0_14default_configENS1_35adjacent_difference_config_selectorILb1ElEEZNS1_24adjacent_difference_implIS3_Lb1ELb0EPlS7_ZN2at6native12_GLOBAL__N_124unique_dim_cuda_templateIN3c104HalfEEESt5tupleIJNS8_6TensorESF_SF_EERKSF_lbbbEUlllE1_EE10hipError_tPvRmT2_T3_mT4_P12ihipStream_tbEUlT_E_NS1_11comp_targetILNS1_3genE4ELNS1_11target_archE910ELNS1_3gpuE8ELNS1_3repE0EEENS1_30default_config_static_selectorELNS0_4arch9wavefront6targetE1EEEvT1_, .Lfunc_end1292-_ZN7rocprim17ROCPRIM_400000_NS6detail17trampoline_kernelINS0_14default_configENS1_35adjacent_difference_config_selectorILb1ElEEZNS1_24adjacent_difference_implIS3_Lb1ELb0EPlS7_ZN2at6native12_GLOBAL__N_124unique_dim_cuda_templateIN3c104HalfEEESt5tupleIJNS8_6TensorESF_SF_EERKSF_lbbbEUlllE1_EE10hipError_tPvRmT2_T3_mT4_P12ihipStream_tbEUlT_E_NS1_11comp_targetILNS1_3genE4ELNS1_11target_archE910ELNS1_3gpuE8ELNS1_3repE0EEENS1_30default_config_static_selectorELNS0_4arch9wavefront6targetE1EEEvT1_
                                        ; -- End function
	.set _ZN7rocprim17ROCPRIM_400000_NS6detail17trampoline_kernelINS0_14default_configENS1_35adjacent_difference_config_selectorILb1ElEEZNS1_24adjacent_difference_implIS3_Lb1ELb0EPlS7_ZN2at6native12_GLOBAL__N_124unique_dim_cuda_templateIN3c104HalfEEESt5tupleIJNS8_6TensorESF_SF_EERKSF_lbbbEUlllE1_EE10hipError_tPvRmT2_T3_mT4_P12ihipStream_tbEUlT_E_NS1_11comp_targetILNS1_3genE4ELNS1_11target_archE910ELNS1_3gpuE8ELNS1_3repE0EEENS1_30default_config_static_selectorELNS0_4arch9wavefront6targetE1EEEvT1_.num_vgpr, 0
	.set _ZN7rocprim17ROCPRIM_400000_NS6detail17trampoline_kernelINS0_14default_configENS1_35adjacent_difference_config_selectorILb1ElEEZNS1_24adjacent_difference_implIS3_Lb1ELb0EPlS7_ZN2at6native12_GLOBAL__N_124unique_dim_cuda_templateIN3c104HalfEEESt5tupleIJNS8_6TensorESF_SF_EERKSF_lbbbEUlllE1_EE10hipError_tPvRmT2_T3_mT4_P12ihipStream_tbEUlT_E_NS1_11comp_targetILNS1_3genE4ELNS1_11target_archE910ELNS1_3gpuE8ELNS1_3repE0EEENS1_30default_config_static_selectorELNS0_4arch9wavefront6targetE1EEEvT1_.num_agpr, 0
	.set _ZN7rocprim17ROCPRIM_400000_NS6detail17trampoline_kernelINS0_14default_configENS1_35adjacent_difference_config_selectorILb1ElEEZNS1_24adjacent_difference_implIS3_Lb1ELb0EPlS7_ZN2at6native12_GLOBAL__N_124unique_dim_cuda_templateIN3c104HalfEEESt5tupleIJNS8_6TensorESF_SF_EERKSF_lbbbEUlllE1_EE10hipError_tPvRmT2_T3_mT4_P12ihipStream_tbEUlT_E_NS1_11comp_targetILNS1_3genE4ELNS1_11target_archE910ELNS1_3gpuE8ELNS1_3repE0EEENS1_30default_config_static_selectorELNS0_4arch9wavefront6targetE1EEEvT1_.numbered_sgpr, 0
	.set _ZN7rocprim17ROCPRIM_400000_NS6detail17trampoline_kernelINS0_14default_configENS1_35adjacent_difference_config_selectorILb1ElEEZNS1_24adjacent_difference_implIS3_Lb1ELb0EPlS7_ZN2at6native12_GLOBAL__N_124unique_dim_cuda_templateIN3c104HalfEEESt5tupleIJNS8_6TensorESF_SF_EERKSF_lbbbEUlllE1_EE10hipError_tPvRmT2_T3_mT4_P12ihipStream_tbEUlT_E_NS1_11comp_targetILNS1_3genE4ELNS1_11target_archE910ELNS1_3gpuE8ELNS1_3repE0EEENS1_30default_config_static_selectorELNS0_4arch9wavefront6targetE1EEEvT1_.num_named_barrier, 0
	.set _ZN7rocprim17ROCPRIM_400000_NS6detail17trampoline_kernelINS0_14default_configENS1_35adjacent_difference_config_selectorILb1ElEEZNS1_24adjacent_difference_implIS3_Lb1ELb0EPlS7_ZN2at6native12_GLOBAL__N_124unique_dim_cuda_templateIN3c104HalfEEESt5tupleIJNS8_6TensorESF_SF_EERKSF_lbbbEUlllE1_EE10hipError_tPvRmT2_T3_mT4_P12ihipStream_tbEUlT_E_NS1_11comp_targetILNS1_3genE4ELNS1_11target_archE910ELNS1_3gpuE8ELNS1_3repE0EEENS1_30default_config_static_selectorELNS0_4arch9wavefront6targetE1EEEvT1_.private_seg_size, 0
	.set _ZN7rocprim17ROCPRIM_400000_NS6detail17trampoline_kernelINS0_14default_configENS1_35adjacent_difference_config_selectorILb1ElEEZNS1_24adjacent_difference_implIS3_Lb1ELb0EPlS7_ZN2at6native12_GLOBAL__N_124unique_dim_cuda_templateIN3c104HalfEEESt5tupleIJNS8_6TensorESF_SF_EERKSF_lbbbEUlllE1_EE10hipError_tPvRmT2_T3_mT4_P12ihipStream_tbEUlT_E_NS1_11comp_targetILNS1_3genE4ELNS1_11target_archE910ELNS1_3gpuE8ELNS1_3repE0EEENS1_30default_config_static_selectorELNS0_4arch9wavefront6targetE1EEEvT1_.uses_vcc, 0
	.set _ZN7rocprim17ROCPRIM_400000_NS6detail17trampoline_kernelINS0_14default_configENS1_35adjacent_difference_config_selectorILb1ElEEZNS1_24adjacent_difference_implIS3_Lb1ELb0EPlS7_ZN2at6native12_GLOBAL__N_124unique_dim_cuda_templateIN3c104HalfEEESt5tupleIJNS8_6TensorESF_SF_EERKSF_lbbbEUlllE1_EE10hipError_tPvRmT2_T3_mT4_P12ihipStream_tbEUlT_E_NS1_11comp_targetILNS1_3genE4ELNS1_11target_archE910ELNS1_3gpuE8ELNS1_3repE0EEENS1_30default_config_static_selectorELNS0_4arch9wavefront6targetE1EEEvT1_.uses_flat_scratch, 0
	.set _ZN7rocprim17ROCPRIM_400000_NS6detail17trampoline_kernelINS0_14default_configENS1_35adjacent_difference_config_selectorILb1ElEEZNS1_24adjacent_difference_implIS3_Lb1ELb0EPlS7_ZN2at6native12_GLOBAL__N_124unique_dim_cuda_templateIN3c104HalfEEESt5tupleIJNS8_6TensorESF_SF_EERKSF_lbbbEUlllE1_EE10hipError_tPvRmT2_T3_mT4_P12ihipStream_tbEUlT_E_NS1_11comp_targetILNS1_3genE4ELNS1_11target_archE910ELNS1_3gpuE8ELNS1_3repE0EEENS1_30default_config_static_selectorELNS0_4arch9wavefront6targetE1EEEvT1_.has_dyn_sized_stack, 0
	.set _ZN7rocprim17ROCPRIM_400000_NS6detail17trampoline_kernelINS0_14default_configENS1_35adjacent_difference_config_selectorILb1ElEEZNS1_24adjacent_difference_implIS3_Lb1ELb0EPlS7_ZN2at6native12_GLOBAL__N_124unique_dim_cuda_templateIN3c104HalfEEESt5tupleIJNS8_6TensorESF_SF_EERKSF_lbbbEUlllE1_EE10hipError_tPvRmT2_T3_mT4_P12ihipStream_tbEUlT_E_NS1_11comp_targetILNS1_3genE4ELNS1_11target_archE910ELNS1_3gpuE8ELNS1_3repE0EEENS1_30default_config_static_selectorELNS0_4arch9wavefront6targetE1EEEvT1_.has_recursion, 0
	.set _ZN7rocprim17ROCPRIM_400000_NS6detail17trampoline_kernelINS0_14default_configENS1_35adjacent_difference_config_selectorILb1ElEEZNS1_24adjacent_difference_implIS3_Lb1ELb0EPlS7_ZN2at6native12_GLOBAL__N_124unique_dim_cuda_templateIN3c104HalfEEESt5tupleIJNS8_6TensorESF_SF_EERKSF_lbbbEUlllE1_EE10hipError_tPvRmT2_T3_mT4_P12ihipStream_tbEUlT_E_NS1_11comp_targetILNS1_3genE4ELNS1_11target_archE910ELNS1_3gpuE8ELNS1_3repE0EEENS1_30default_config_static_selectorELNS0_4arch9wavefront6targetE1EEEvT1_.has_indirect_call, 0
	.section	.AMDGPU.csdata,"",@progbits
; Kernel info:
; codeLenInByte = 0
; TotalNumSgprs: 6
; NumVgprs: 0
; NumAgprs: 0
; TotalNumVgprs: 0
; ScratchSize: 0
; MemoryBound: 0
; FloatMode: 240
; IeeeMode: 1
; LDSByteSize: 0 bytes/workgroup (compile time only)
; SGPRBlocks: 0
; VGPRBlocks: 0
; NumSGPRsForWavesPerEU: 6
; NumVGPRsForWavesPerEU: 1
; AccumOffset: 4
; Occupancy: 8
; WaveLimiterHint : 0
; COMPUTE_PGM_RSRC2:SCRATCH_EN: 0
; COMPUTE_PGM_RSRC2:USER_SGPR: 2
; COMPUTE_PGM_RSRC2:TRAP_HANDLER: 0
; COMPUTE_PGM_RSRC2:TGID_X_EN: 1
; COMPUTE_PGM_RSRC2:TGID_Y_EN: 0
; COMPUTE_PGM_RSRC2:TGID_Z_EN: 0
; COMPUTE_PGM_RSRC2:TIDIG_COMP_CNT: 0
; COMPUTE_PGM_RSRC3_GFX90A:ACCUM_OFFSET: 0
; COMPUTE_PGM_RSRC3_GFX90A:TG_SPLIT: 0
	.section	.text._ZN7rocprim17ROCPRIM_400000_NS6detail17trampoline_kernelINS0_14default_configENS1_35adjacent_difference_config_selectorILb1ElEEZNS1_24adjacent_difference_implIS3_Lb1ELb0EPlS7_ZN2at6native12_GLOBAL__N_124unique_dim_cuda_templateIN3c104HalfEEESt5tupleIJNS8_6TensorESF_SF_EERKSF_lbbbEUlllE1_EE10hipError_tPvRmT2_T3_mT4_P12ihipStream_tbEUlT_E_NS1_11comp_targetILNS1_3genE3ELNS1_11target_archE908ELNS1_3gpuE7ELNS1_3repE0EEENS1_30default_config_static_selectorELNS0_4arch9wavefront6targetE1EEEvT1_,"axG",@progbits,_ZN7rocprim17ROCPRIM_400000_NS6detail17trampoline_kernelINS0_14default_configENS1_35adjacent_difference_config_selectorILb1ElEEZNS1_24adjacent_difference_implIS3_Lb1ELb0EPlS7_ZN2at6native12_GLOBAL__N_124unique_dim_cuda_templateIN3c104HalfEEESt5tupleIJNS8_6TensorESF_SF_EERKSF_lbbbEUlllE1_EE10hipError_tPvRmT2_T3_mT4_P12ihipStream_tbEUlT_E_NS1_11comp_targetILNS1_3genE3ELNS1_11target_archE908ELNS1_3gpuE7ELNS1_3repE0EEENS1_30default_config_static_selectorELNS0_4arch9wavefront6targetE1EEEvT1_,comdat
	.globl	_ZN7rocprim17ROCPRIM_400000_NS6detail17trampoline_kernelINS0_14default_configENS1_35adjacent_difference_config_selectorILb1ElEEZNS1_24adjacent_difference_implIS3_Lb1ELb0EPlS7_ZN2at6native12_GLOBAL__N_124unique_dim_cuda_templateIN3c104HalfEEESt5tupleIJNS8_6TensorESF_SF_EERKSF_lbbbEUlllE1_EE10hipError_tPvRmT2_T3_mT4_P12ihipStream_tbEUlT_E_NS1_11comp_targetILNS1_3genE3ELNS1_11target_archE908ELNS1_3gpuE7ELNS1_3repE0EEENS1_30default_config_static_selectorELNS0_4arch9wavefront6targetE1EEEvT1_ ; -- Begin function _ZN7rocprim17ROCPRIM_400000_NS6detail17trampoline_kernelINS0_14default_configENS1_35adjacent_difference_config_selectorILb1ElEEZNS1_24adjacent_difference_implIS3_Lb1ELb0EPlS7_ZN2at6native12_GLOBAL__N_124unique_dim_cuda_templateIN3c104HalfEEESt5tupleIJNS8_6TensorESF_SF_EERKSF_lbbbEUlllE1_EE10hipError_tPvRmT2_T3_mT4_P12ihipStream_tbEUlT_E_NS1_11comp_targetILNS1_3genE3ELNS1_11target_archE908ELNS1_3gpuE7ELNS1_3repE0EEENS1_30default_config_static_selectorELNS0_4arch9wavefront6targetE1EEEvT1_
	.p2align	8
	.type	_ZN7rocprim17ROCPRIM_400000_NS6detail17trampoline_kernelINS0_14default_configENS1_35adjacent_difference_config_selectorILb1ElEEZNS1_24adjacent_difference_implIS3_Lb1ELb0EPlS7_ZN2at6native12_GLOBAL__N_124unique_dim_cuda_templateIN3c104HalfEEESt5tupleIJNS8_6TensorESF_SF_EERKSF_lbbbEUlllE1_EE10hipError_tPvRmT2_T3_mT4_P12ihipStream_tbEUlT_E_NS1_11comp_targetILNS1_3genE3ELNS1_11target_archE908ELNS1_3gpuE7ELNS1_3repE0EEENS1_30default_config_static_selectorELNS0_4arch9wavefront6targetE1EEEvT1_,@function
_ZN7rocprim17ROCPRIM_400000_NS6detail17trampoline_kernelINS0_14default_configENS1_35adjacent_difference_config_selectorILb1ElEEZNS1_24adjacent_difference_implIS3_Lb1ELb0EPlS7_ZN2at6native12_GLOBAL__N_124unique_dim_cuda_templateIN3c104HalfEEESt5tupleIJNS8_6TensorESF_SF_EERKSF_lbbbEUlllE1_EE10hipError_tPvRmT2_T3_mT4_P12ihipStream_tbEUlT_E_NS1_11comp_targetILNS1_3genE3ELNS1_11target_archE908ELNS1_3gpuE7ELNS1_3repE0EEENS1_30default_config_static_selectorELNS0_4arch9wavefront6targetE1EEEvT1_: ; @_ZN7rocprim17ROCPRIM_400000_NS6detail17trampoline_kernelINS0_14default_configENS1_35adjacent_difference_config_selectorILb1ElEEZNS1_24adjacent_difference_implIS3_Lb1ELb0EPlS7_ZN2at6native12_GLOBAL__N_124unique_dim_cuda_templateIN3c104HalfEEESt5tupleIJNS8_6TensorESF_SF_EERKSF_lbbbEUlllE1_EE10hipError_tPvRmT2_T3_mT4_P12ihipStream_tbEUlT_E_NS1_11comp_targetILNS1_3genE3ELNS1_11target_archE908ELNS1_3gpuE7ELNS1_3repE0EEENS1_30default_config_static_selectorELNS0_4arch9wavefront6targetE1EEEvT1_
; %bb.0:
	.section	.rodata,"a",@progbits
	.p2align	6, 0x0
	.amdhsa_kernel _ZN7rocprim17ROCPRIM_400000_NS6detail17trampoline_kernelINS0_14default_configENS1_35adjacent_difference_config_selectorILb1ElEEZNS1_24adjacent_difference_implIS3_Lb1ELb0EPlS7_ZN2at6native12_GLOBAL__N_124unique_dim_cuda_templateIN3c104HalfEEESt5tupleIJNS8_6TensorESF_SF_EERKSF_lbbbEUlllE1_EE10hipError_tPvRmT2_T3_mT4_P12ihipStream_tbEUlT_E_NS1_11comp_targetILNS1_3genE3ELNS1_11target_archE908ELNS1_3gpuE7ELNS1_3repE0EEENS1_30default_config_static_selectorELNS0_4arch9wavefront6targetE1EEEvT1_
		.amdhsa_group_segment_fixed_size 0
		.amdhsa_private_segment_fixed_size 0
		.amdhsa_kernarg_size 64
		.amdhsa_user_sgpr_count 2
		.amdhsa_user_sgpr_dispatch_ptr 0
		.amdhsa_user_sgpr_queue_ptr 0
		.amdhsa_user_sgpr_kernarg_segment_ptr 1
		.amdhsa_user_sgpr_dispatch_id 0
		.amdhsa_user_sgpr_kernarg_preload_length 0
		.amdhsa_user_sgpr_kernarg_preload_offset 0
		.amdhsa_user_sgpr_private_segment_size 0
		.amdhsa_uses_dynamic_stack 0
		.amdhsa_enable_private_segment 0
		.amdhsa_system_sgpr_workgroup_id_x 1
		.amdhsa_system_sgpr_workgroup_id_y 0
		.amdhsa_system_sgpr_workgroup_id_z 0
		.amdhsa_system_sgpr_workgroup_info 0
		.amdhsa_system_vgpr_workitem_id 0
		.amdhsa_next_free_vgpr 1
		.amdhsa_next_free_sgpr 0
		.amdhsa_accum_offset 4
		.amdhsa_reserve_vcc 0
		.amdhsa_float_round_mode_32 0
		.amdhsa_float_round_mode_16_64 0
		.amdhsa_float_denorm_mode_32 3
		.amdhsa_float_denorm_mode_16_64 3
		.amdhsa_dx10_clamp 1
		.amdhsa_ieee_mode 1
		.amdhsa_fp16_overflow 0
		.amdhsa_tg_split 0
		.amdhsa_exception_fp_ieee_invalid_op 0
		.amdhsa_exception_fp_denorm_src 0
		.amdhsa_exception_fp_ieee_div_zero 0
		.amdhsa_exception_fp_ieee_overflow 0
		.amdhsa_exception_fp_ieee_underflow 0
		.amdhsa_exception_fp_ieee_inexact 0
		.amdhsa_exception_int_div_zero 0
	.end_amdhsa_kernel
	.section	.text._ZN7rocprim17ROCPRIM_400000_NS6detail17trampoline_kernelINS0_14default_configENS1_35adjacent_difference_config_selectorILb1ElEEZNS1_24adjacent_difference_implIS3_Lb1ELb0EPlS7_ZN2at6native12_GLOBAL__N_124unique_dim_cuda_templateIN3c104HalfEEESt5tupleIJNS8_6TensorESF_SF_EERKSF_lbbbEUlllE1_EE10hipError_tPvRmT2_T3_mT4_P12ihipStream_tbEUlT_E_NS1_11comp_targetILNS1_3genE3ELNS1_11target_archE908ELNS1_3gpuE7ELNS1_3repE0EEENS1_30default_config_static_selectorELNS0_4arch9wavefront6targetE1EEEvT1_,"axG",@progbits,_ZN7rocprim17ROCPRIM_400000_NS6detail17trampoline_kernelINS0_14default_configENS1_35adjacent_difference_config_selectorILb1ElEEZNS1_24adjacent_difference_implIS3_Lb1ELb0EPlS7_ZN2at6native12_GLOBAL__N_124unique_dim_cuda_templateIN3c104HalfEEESt5tupleIJNS8_6TensorESF_SF_EERKSF_lbbbEUlllE1_EE10hipError_tPvRmT2_T3_mT4_P12ihipStream_tbEUlT_E_NS1_11comp_targetILNS1_3genE3ELNS1_11target_archE908ELNS1_3gpuE7ELNS1_3repE0EEENS1_30default_config_static_selectorELNS0_4arch9wavefront6targetE1EEEvT1_,comdat
.Lfunc_end1293:
	.size	_ZN7rocprim17ROCPRIM_400000_NS6detail17trampoline_kernelINS0_14default_configENS1_35adjacent_difference_config_selectorILb1ElEEZNS1_24adjacent_difference_implIS3_Lb1ELb0EPlS7_ZN2at6native12_GLOBAL__N_124unique_dim_cuda_templateIN3c104HalfEEESt5tupleIJNS8_6TensorESF_SF_EERKSF_lbbbEUlllE1_EE10hipError_tPvRmT2_T3_mT4_P12ihipStream_tbEUlT_E_NS1_11comp_targetILNS1_3genE3ELNS1_11target_archE908ELNS1_3gpuE7ELNS1_3repE0EEENS1_30default_config_static_selectorELNS0_4arch9wavefront6targetE1EEEvT1_, .Lfunc_end1293-_ZN7rocprim17ROCPRIM_400000_NS6detail17trampoline_kernelINS0_14default_configENS1_35adjacent_difference_config_selectorILb1ElEEZNS1_24adjacent_difference_implIS3_Lb1ELb0EPlS7_ZN2at6native12_GLOBAL__N_124unique_dim_cuda_templateIN3c104HalfEEESt5tupleIJNS8_6TensorESF_SF_EERKSF_lbbbEUlllE1_EE10hipError_tPvRmT2_T3_mT4_P12ihipStream_tbEUlT_E_NS1_11comp_targetILNS1_3genE3ELNS1_11target_archE908ELNS1_3gpuE7ELNS1_3repE0EEENS1_30default_config_static_selectorELNS0_4arch9wavefront6targetE1EEEvT1_
                                        ; -- End function
	.set _ZN7rocprim17ROCPRIM_400000_NS6detail17trampoline_kernelINS0_14default_configENS1_35adjacent_difference_config_selectorILb1ElEEZNS1_24adjacent_difference_implIS3_Lb1ELb0EPlS7_ZN2at6native12_GLOBAL__N_124unique_dim_cuda_templateIN3c104HalfEEESt5tupleIJNS8_6TensorESF_SF_EERKSF_lbbbEUlllE1_EE10hipError_tPvRmT2_T3_mT4_P12ihipStream_tbEUlT_E_NS1_11comp_targetILNS1_3genE3ELNS1_11target_archE908ELNS1_3gpuE7ELNS1_3repE0EEENS1_30default_config_static_selectorELNS0_4arch9wavefront6targetE1EEEvT1_.num_vgpr, 0
	.set _ZN7rocprim17ROCPRIM_400000_NS6detail17trampoline_kernelINS0_14default_configENS1_35adjacent_difference_config_selectorILb1ElEEZNS1_24adjacent_difference_implIS3_Lb1ELb0EPlS7_ZN2at6native12_GLOBAL__N_124unique_dim_cuda_templateIN3c104HalfEEESt5tupleIJNS8_6TensorESF_SF_EERKSF_lbbbEUlllE1_EE10hipError_tPvRmT2_T3_mT4_P12ihipStream_tbEUlT_E_NS1_11comp_targetILNS1_3genE3ELNS1_11target_archE908ELNS1_3gpuE7ELNS1_3repE0EEENS1_30default_config_static_selectorELNS0_4arch9wavefront6targetE1EEEvT1_.num_agpr, 0
	.set _ZN7rocprim17ROCPRIM_400000_NS6detail17trampoline_kernelINS0_14default_configENS1_35adjacent_difference_config_selectorILb1ElEEZNS1_24adjacent_difference_implIS3_Lb1ELb0EPlS7_ZN2at6native12_GLOBAL__N_124unique_dim_cuda_templateIN3c104HalfEEESt5tupleIJNS8_6TensorESF_SF_EERKSF_lbbbEUlllE1_EE10hipError_tPvRmT2_T3_mT4_P12ihipStream_tbEUlT_E_NS1_11comp_targetILNS1_3genE3ELNS1_11target_archE908ELNS1_3gpuE7ELNS1_3repE0EEENS1_30default_config_static_selectorELNS0_4arch9wavefront6targetE1EEEvT1_.numbered_sgpr, 0
	.set _ZN7rocprim17ROCPRIM_400000_NS6detail17trampoline_kernelINS0_14default_configENS1_35adjacent_difference_config_selectorILb1ElEEZNS1_24adjacent_difference_implIS3_Lb1ELb0EPlS7_ZN2at6native12_GLOBAL__N_124unique_dim_cuda_templateIN3c104HalfEEESt5tupleIJNS8_6TensorESF_SF_EERKSF_lbbbEUlllE1_EE10hipError_tPvRmT2_T3_mT4_P12ihipStream_tbEUlT_E_NS1_11comp_targetILNS1_3genE3ELNS1_11target_archE908ELNS1_3gpuE7ELNS1_3repE0EEENS1_30default_config_static_selectorELNS0_4arch9wavefront6targetE1EEEvT1_.num_named_barrier, 0
	.set _ZN7rocprim17ROCPRIM_400000_NS6detail17trampoline_kernelINS0_14default_configENS1_35adjacent_difference_config_selectorILb1ElEEZNS1_24adjacent_difference_implIS3_Lb1ELb0EPlS7_ZN2at6native12_GLOBAL__N_124unique_dim_cuda_templateIN3c104HalfEEESt5tupleIJNS8_6TensorESF_SF_EERKSF_lbbbEUlllE1_EE10hipError_tPvRmT2_T3_mT4_P12ihipStream_tbEUlT_E_NS1_11comp_targetILNS1_3genE3ELNS1_11target_archE908ELNS1_3gpuE7ELNS1_3repE0EEENS1_30default_config_static_selectorELNS0_4arch9wavefront6targetE1EEEvT1_.private_seg_size, 0
	.set _ZN7rocprim17ROCPRIM_400000_NS6detail17trampoline_kernelINS0_14default_configENS1_35adjacent_difference_config_selectorILb1ElEEZNS1_24adjacent_difference_implIS3_Lb1ELb0EPlS7_ZN2at6native12_GLOBAL__N_124unique_dim_cuda_templateIN3c104HalfEEESt5tupleIJNS8_6TensorESF_SF_EERKSF_lbbbEUlllE1_EE10hipError_tPvRmT2_T3_mT4_P12ihipStream_tbEUlT_E_NS1_11comp_targetILNS1_3genE3ELNS1_11target_archE908ELNS1_3gpuE7ELNS1_3repE0EEENS1_30default_config_static_selectorELNS0_4arch9wavefront6targetE1EEEvT1_.uses_vcc, 0
	.set _ZN7rocprim17ROCPRIM_400000_NS6detail17trampoline_kernelINS0_14default_configENS1_35adjacent_difference_config_selectorILb1ElEEZNS1_24adjacent_difference_implIS3_Lb1ELb0EPlS7_ZN2at6native12_GLOBAL__N_124unique_dim_cuda_templateIN3c104HalfEEESt5tupleIJNS8_6TensorESF_SF_EERKSF_lbbbEUlllE1_EE10hipError_tPvRmT2_T3_mT4_P12ihipStream_tbEUlT_E_NS1_11comp_targetILNS1_3genE3ELNS1_11target_archE908ELNS1_3gpuE7ELNS1_3repE0EEENS1_30default_config_static_selectorELNS0_4arch9wavefront6targetE1EEEvT1_.uses_flat_scratch, 0
	.set _ZN7rocprim17ROCPRIM_400000_NS6detail17trampoline_kernelINS0_14default_configENS1_35adjacent_difference_config_selectorILb1ElEEZNS1_24adjacent_difference_implIS3_Lb1ELb0EPlS7_ZN2at6native12_GLOBAL__N_124unique_dim_cuda_templateIN3c104HalfEEESt5tupleIJNS8_6TensorESF_SF_EERKSF_lbbbEUlllE1_EE10hipError_tPvRmT2_T3_mT4_P12ihipStream_tbEUlT_E_NS1_11comp_targetILNS1_3genE3ELNS1_11target_archE908ELNS1_3gpuE7ELNS1_3repE0EEENS1_30default_config_static_selectorELNS0_4arch9wavefront6targetE1EEEvT1_.has_dyn_sized_stack, 0
	.set _ZN7rocprim17ROCPRIM_400000_NS6detail17trampoline_kernelINS0_14default_configENS1_35adjacent_difference_config_selectorILb1ElEEZNS1_24adjacent_difference_implIS3_Lb1ELb0EPlS7_ZN2at6native12_GLOBAL__N_124unique_dim_cuda_templateIN3c104HalfEEESt5tupleIJNS8_6TensorESF_SF_EERKSF_lbbbEUlllE1_EE10hipError_tPvRmT2_T3_mT4_P12ihipStream_tbEUlT_E_NS1_11comp_targetILNS1_3genE3ELNS1_11target_archE908ELNS1_3gpuE7ELNS1_3repE0EEENS1_30default_config_static_selectorELNS0_4arch9wavefront6targetE1EEEvT1_.has_recursion, 0
	.set _ZN7rocprim17ROCPRIM_400000_NS6detail17trampoline_kernelINS0_14default_configENS1_35adjacent_difference_config_selectorILb1ElEEZNS1_24adjacent_difference_implIS3_Lb1ELb0EPlS7_ZN2at6native12_GLOBAL__N_124unique_dim_cuda_templateIN3c104HalfEEESt5tupleIJNS8_6TensorESF_SF_EERKSF_lbbbEUlllE1_EE10hipError_tPvRmT2_T3_mT4_P12ihipStream_tbEUlT_E_NS1_11comp_targetILNS1_3genE3ELNS1_11target_archE908ELNS1_3gpuE7ELNS1_3repE0EEENS1_30default_config_static_selectorELNS0_4arch9wavefront6targetE1EEEvT1_.has_indirect_call, 0
	.section	.AMDGPU.csdata,"",@progbits
; Kernel info:
; codeLenInByte = 0
; TotalNumSgprs: 6
; NumVgprs: 0
; NumAgprs: 0
; TotalNumVgprs: 0
; ScratchSize: 0
; MemoryBound: 0
; FloatMode: 240
; IeeeMode: 1
; LDSByteSize: 0 bytes/workgroup (compile time only)
; SGPRBlocks: 0
; VGPRBlocks: 0
; NumSGPRsForWavesPerEU: 6
; NumVGPRsForWavesPerEU: 1
; AccumOffset: 4
; Occupancy: 8
; WaveLimiterHint : 0
; COMPUTE_PGM_RSRC2:SCRATCH_EN: 0
; COMPUTE_PGM_RSRC2:USER_SGPR: 2
; COMPUTE_PGM_RSRC2:TRAP_HANDLER: 0
; COMPUTE_PGM_RSRC2:TGID_X_EN: 1
; COMPUTE_PGM_RSRC2:TGID_Y_EN: 0
; COMPUTE_PGM_RSRC2:TGID_Z_EN: 0
; COMPUTE_PGM_RSRC2:TIDIG_COMP_CNT: 0
; COMPUTE_PGM_RSRC3_GFX90A:ACCUM_OFFSET: 0
; COMPUTE_PGM_RSRC3_GFX90A:TG_SPLIT: 0
	.section	.text._ZN7rocprim17ROCPRIM_400000_NS6detail17trampoline_kernelINS0_14default_configENS1_35adjacent_difference_config_selectorILb1ElEEZNS1_24adjacent_difference_implIS3_Lb1ELb0EPlS7_ZN2at6native12_GLOBAL__N_124unique_dim_cuda_templateIN3c104HalfEEESt5tupleIJNS8_6TensorESF_SF_EERKSF_lbbbEUlllE1_EE10hipError_tPvRmT2_T3_mT4_P12ihipStream_tbEUlT_E_NS1_11comp_targetILNS1_3genE2ELNS1_11target_archE906ELNS1_3gpuE6ELNS1_3repE0EEENS1_30default_config_static_selectorELNS0_4arch9wavefront6targetE1EEEvT1_,"axG",@progbits,_ZN7rocprim17ROCPRIM_400000_NS6detail17trampoline_kernelINS0_14default_configENS1_35adjacent_difference_config_selectorILb1ElEEZNS1_24adjacent_difference_implIS3_Lb1ELb0EPlS7_ZN2at6native12_GLOBAL__N_124unique_dim_cuda_templateIN3c104HalfEEESt5tupleIJNS8_6TensorESF_SF_EERKSF_lbbbEUlllE1_EE10hipError_tPvRmT2_T3_mT4_P12ihipStream_tbEUlT_E_NS1_11comp_targetILNS1_3genE2ELNS1_11target_archE906ELNS1_3gpuE6ELNS1_3repE0EEENS1_30default_config_static_selectorELNS0_4arch9wavefront6targetE1EEEvT1_,comdat
	.globl	_ZN7rocprim17ROCPRIM_400000_NS6detail17trampoline_kernelINS0_14default_configENS1_35adjacent_difference_config_selectorILb1ElEEZNS1_24adjacent_difference_implIS3_Lb1ELb0EPlS7_ZN2at6native12_GLOBAL__N_124unique_dim_cuda_templateIN3c104HalfEEESt5tupleIJNS8_6TensorESF_SF_EERKSF_lbbbEUlllE1_EE10hipError_tPvRmT2_T3_mT4_P12ihipStream_tbEUlT_E_NS1_11comp_targetILNS1_3genE2ELNS1_11target_archE906ELNS1_3gpuE6ELNS1_3repE0EEENS1_30default_config_static_selectorELNS0_4arch9wavefront6targetE1EEEvT1_ ; -- Begin function _ZN7rocprim17ROCPRIM_400000_NS6detail17trampoline_kernelINS0_14default_configENS1_35adjacent_difference_config_selectorILb1ElEEZNS1_24adjacent_difference_implIS3_Lb1ELb0EPlS7_ZN2at6native12_GLOBAL__N_124unique_dim_cuda_templateIN3c104HalfEEESt5tupleIJNS8_6TensorESF_SF_EERKSF_lbbbEUlllE1_EE10hipError_tPvRmT2_T3_mT4_P12ihipStream_tbEUlT_E_NS1_11comp_targetILNS1_3genE2ELNS1_11target_archE906ELNS1_3gpuE6ELNS1_3repE0EEENS1_30default_config_static_selectorELNS0_4arch9wavefront6targetE1EEEvT1_
	.p2align	8
	.type	_ZN7rocprim17ROCPRIM_400000_NS6detail17trampoline_kernelINS0_14default_configENS1_35adjacent_difference_config_selectorILb1ElEEZNS1_24adjacent_difference_implIS3_Lb1ELb0EPlS7_ZN2at6native12_GLOBAL__N_124unique_dim_cuda_templateIN3c104HalfEEESt5tupleIJNS8_6TensorESF_SF_EERKSF_lbbbEUlllE1_EE10hipError_tPvRmT2_T3_mT4_P12ihipStream_tbEUlT_E_NS1_11comp_targetILNS1_3genE2ELNS1_11target_archE906ELNS1_3gpuE6ELNS1_3repE0EEENS1_30default_config_static_selectorELNS0_4arch9wavefront6targetE1EEEvT1_,@function
_ZN7rocprim17ROCPRIM_400000_NS6detail17trampoline_kernelINS0_14default_configENS1_35adjacent_difference_config_selectorILb1ElEEZNS1_24adjacent_difference_implIS3_Lb1ELb0EPlS7_ZN2at6native12_GLOBAL__N_124unique_dim_cuda_templateIN3c104HalfEEESt5tupleIJNS8_6TensorESF_SF_EERKSF_lbbbEUlllE1_EE10hipError_tPvRmT2_T3_mT4_P12ihipStream_tbEUlT_E_NS1_11comp_targetILNS1_3genE2ELNS1_11target_archE906ELNS1_3gpuE6ELNS1_3repE0EEENS1_30default_config_static_selectorELNS0_4arch9wavefront6targetE1EEEvT1_: ; @_ZN7rocprim17ROCPRIM_400000_NS6detail17trampoline_kernelINS0_14default_configENS1_35adjacent_difference_config_selectorILb1ElEEZNS1_24adjacent_difference_implIS3_Lb1ELb0EPlS7_ZN2at6native12_GLOBAL__N_124unique_dim_cuda_templateIN3c104HalfEEESt5tupleIJNS8_6TensorESF_SF_EERKSF_lbbbEUlllE1_EE10hipError_tPvRmT2_T3_mT4_P12ihipStream_tbEUlT_E_NS1_11comp_targetILNS1_3genE2ELNS1_11target_archE906ELNS1_3gpuE6ELNS1_3repE0EEENS1_30default_config_static_selectorELNS0_4arch9wavefront6targetE1EEEvT1_
; %bb.0:
	.section	.rodata,"a",@progbits
	.p2align	6, 0x0
	.amdhsa_kernel _ZN7rocprim17ROCPRIM_400000_NS6detail17trampoline_kernelINS0_14default_configENS1_35adjacent_difference_config_selectorILb1ElEEZNS1_24adjacent_difference_implIS3_Lb1ELb0EPlS7_ZN2at6native12_GLOBAL__N_124unique_dim_cuda_templateIN3c104HalfEEESt5tupleIJNS8_6TensorESF_SF_EERKSF_lbbbEUlllE1_EE10hipError_tPvRmT2_T3_mT4_P12ihipStream_tbEUlT_E_NS1_11comp_targetILNS1_3genE2ELNS1_11target_archE906ELNS1_3gpuE6ELNS1_3repE0EEENS1_30default_config_static_selectorELNS0_4arch9wavefront6targetE1EEEvT1_
		.amdhsa_group_segment_fixed_size 0
		.amdhsa_private_segment_fixed_size 0
		.amdhsa_kernarg_size 64
		.amdhsa_user_sgpr_count 2
		.amdhsa_user_sgpr_dispatch_ptr 0
		.amdhsa_user_sgpr_queue_ptr 0
		.amdhsa_user_sgpr_kernarg_segment_ptr 1
		.amdhsa_user_sgpr_dispatch_id 0
		.amdhsa_user_sgpr_kernarg_preload_length 0
		.amdhsa_user_sgpr_kernarg_preload_offset 0
		.amdhsa_user_sgpr_private_segment_size 0
		.amdhsa_uses_dynamic_stack 0
		.amdhsa_enable_private_segment 0
		.amdhsa_system_sgpr_workgroup_id_x 1
		.amdhsa_system_sgpr_workgroup_id_y 0
		.amdhsa_system_sgpr_workgroup_id_z 0
		.amdhsa_system_sgpr_workgroup_info 0
		.amdhsa_system_vgpr_workitem_id 0
		.amdhsa_next_free_vgpr 1
		.amdhsa_next_free_sgpr 0
		.amdhsa_accum_offset 4
		.amdhsa_reserve_vcc 0
		.amdhsa_float_round_mode_32 0
		.amdhsa_float_round_mode_16_64 0
		.amdhsa_float_denorm_mode_32 3
		.amdhsa_float_denorm_mode_16_64 3
		.amdhsa_dx10_clamp 1
		.amdhsa_ieee_mode 1
		.amdhsa_fp16_overflow 0
		.amdhsa_tg_split 0
		.amdhsa_exception_fp_ieee_invalid_op 0
		.amdhsa_exception_fp_denorm_src 0
		.amdhsa_exception_fp_ieee_div_zero 0
		.amdhsa_exception_fp_ieee_overflow 0
		.amdhsa_exception_fp_ieee_underflow 0
		.amdhsa_exception_fp_ieee_inexact 0
		.amdhsa_exception_int_div_zero 0
	.end_amdhsa_kernel
	.section	.text._ZN7rocprim17ROCPRIM_400000_NS6detail17trampoline_kernelINS0_14default_configENS1_35adjacent_difference_config_selectorILb1ElEEZNS1_24adjacent_difference_implIS3_Lb1ELb0EPlS7_ZN2at6native12_GLOBAL__N_124unique_dim_cuda_templateIN3c104HalfEEESt5tupleIJNS8_6TensorESF_SF_EERKSF_lbbbEUlllE1_EE10hipError_tPvRmT2_T3_mT4_P12ihipStream_tbEUlT_E_NS1_11comp_targetILNS1_3genE2ELNS1_11target_archE906ELNS1_3gpuE6ELNS1_3repE0EEENS1_30default_config_static_selectorELNS0_4arch9wavefront6targetE1EEEvT1_,"axG",@progbits,_ZN7rocprim17ROCPRIM_400000_NS6detail17trampoline_kernelINS0_14default_configENS1_35adjacent_difference_config_selectorILb1ElEEZNS1_24adjacent_difference_implIS3_Lb1ELb0EPlS7_ZN2at6native12_GLOBAL__N_124unique_dim_cuda_templateIN3c104HalfEEESt5tupleIJNS8_6TensorESF_SF_EERKSF_lbbbEUlllE1_EE10hipError_tPvRmT2_T3_mT4_P12ihipStream_tbEUlT_E_NS1_11comp_targetILNS1_3genE2ELNS1_11target_archE906ELNS1_3gpuE6ELNS1_3repE0EEENS1_30default_config_static_selectorELNS0_4arch9wavefront6targetE1EEEvT1_,comdat
.Lfunc_end1294:
	.size	_ZN7rocprim17ROCPRIM_400000_NS6detail17trampoline_kernelINS0_14default_configENS1_35adjacent_difference_config_selectorILb1ElEEZNS1_24adjacent_difference_implIS3_Lb1ELb0EPlS7_ZN2at6native12_GLOBAL__N_124unique_dim_cuda_templateIN3c104HalfEEESt5tupleIJNS8_6TensorESF_SF_EERKSF_lbbbEUlllE1_EE10hipError_tPvRmT2_T3_mT4_P12ihipStream_tbEUlT_E_NS1_11comp_targetILNS1_3genE2ELNS1_11target_archE906ELNS1_3gpuE6ELNS1_3repE0EEENS1_30default_config_static_selectorELNS0_4arch9wavefront6targetE1EEEvT1_, .Lfunc_end1294-_ZN7rocprim17ROCPRIM_400000_NS6detail17trampoline_kernelINS0_14default_configENS1_35adjacent_difference_config_selectorILb1ElEEZNS1_24adjacent_difference_implIS3_Lb1ELb0EPlS7_ZN2at6native12_GLOBAL__N_124unique_dim_cuda_templateIN3c104HalfEEESt5tupleIJNS8_6TensorESF_SF_EERKSF_lbbbEUlllE1_EE10hipError_tPvRmT2_T3_mT4_P12ihipStream_tbEUlT_E_NS1_11comp_targetILNS1_3genE2ELNS1_11target_archE906ELNS1_3gpuE6ELNS1_3repE0EEENS1_30default_config_static_selectorELNS0_4arch9wavefront6targetE1EEEvT1_
                                        ; -- End function
	.set _ZN7rocprim17ROCPRIM_400000_NS6detail17trampoline_kernelINS0_14default_configENS1_35adjacent_difference_config_selectorILb1ElEEZNS1_24adjacent_difference_implIS3_Lb1ELb0EPlS7_ZN2at6native12_GLOBAL__N_124unique_dim_cuda_templateIN3c104HalfEEESt5tupleIJNS8_6TensorESF_SF_EERKSF_lbbbEUlllE1_EE10hipError_tPvRmT2_T3_mT4_P12ihipStream_tbEUlT_E_NS1_11comp_targetILNS1_3genE2ELNS1_11target_archE906ELNS1_3gpuE6ELNS1_3repE0EEENS1_30default_config_static_selectorELNS0_4arch9wavefront6targetE1EEEvT1_.num_vgpr, 0
	.set _ZN7rocprim17ROCPRIM_400000_NS6detail17trampoline_kernelINS0_14default_configENS1_35adjacent_difference_config_selectorILb1ElEEZNS1_24adjacent_difference_implIS3_Lb1ELb0EPlS7_ZN2at6native12_GLOBAL__N_124unique_dim_cuda_templateIN3c104HalfEEESt5tupleIJNS8_6TensorESF_SF_EERKSF_lbbbEUlllE1_EE10hipError_tPvRmT2_T3_mT4_P12ihipStream_tbEUlT_E_NS1_11comp_targetILNS1_3genE2ELNS1_11target_archE906ELNS1_3gpuE6ELNS1_3repE0EEENS1_30default_config_static_selectorELNS0_4arch9wavefront6targetE1EEEvT1_.num_agpr, 0
	.set _ZN7rocprim17ROCPRIM_400000_NS6detail17trampoline_kernelINS0_14default_configENS1_35adjacent_difference_config_selectorILb1ElEEZNS1_24adjacent_difference_implIS3_Lb1ELb0EPlS7_ZN2at6native12_GLOBAL__N_124unique_dim_cuda_templateIN3c104HalfEEESt5tupleIJNS8_6TensorESF_SF_EERKSF_lbbbEUlllE1_EE10hipError_tPvRmT2_T3_mT4_P12ihipStream_tbEUlT_E_NS1_11comp_targetILNS1_3genE2ELNS1_11target_archE906ELNS1_3gpuE6ELNS1_3repE0EEENS1_30default_config_static_selectorELNS0_4arch9wavefront6targetE1EEEvT1_.numbered_sgpr, 0
	.set _ZN7rocprim17ROCPRIM_400000_NS6detail17trampoline_kernelINS0_14default_configENS1_35adjacent_difference_config_selectorILb1ElEEZNS1_24adjacent_difference_implIS3_Lb1ELb0EPlS7_ZN2at6native12_GLOBAL__N_124unique_dim_cuda_templateIN3c104HalfEEESt5tupleIJNS8_6TensorESF_SF_EERKSF_lbbbEUlllE1_EE10hipError_tPvRmT2_T3_mT4_P12ihipStream_tbEUlT_E_NS1_11comp_targetILNS1_3genE2ELNS1_11target_archE906ELNS1_3gpuE6ELNS1_3repE0EEENS1_30default_config_static_selectorELNS0_4arch9wavefront6targetE1EEEvT1_.num_named_barrier, 0
	.set _ZN7rocprim17ROCPRIM_400000_NS6detail17trampoline_kernelINS0_14default_configENS1_35adjacent_difference_config_selectorILb1ElEEZNS1_24adjacent_difference_implIS3_Lb1ELb0EPlS7_ZN2at6native12_GLOBAL__N_124unique_dim_cuda_templateIN3c104HalfEEESt5tupleIJNS8_6TensorESF_SF_EERKSF_lbbbEUlllE1_EE10hipError_tPvRmT2_T3_mT4_P12ihipStream_tbEUlT_E_NS1_11comp_targetILNS1_3genE2ELNS1_11target_archE906ELNS1_3gpuE6ELNS1_3repE0EEENS1_30default_config_static_selectorELNS0_4arch9wavefront6targetE1EEEvT1_.private_seg_size, 0
	.set _ZN7rocprim17ROCPRIM_400000_NS6detail17trampoline_kernelINS0_14default_configENS1_35adjacent_difference_config_selectorILb1ElEEZNS1_24adjacent_difference_implIS3_Lb1ELb0EPlS7_ZN2at6native12_GLOBAL__N_124unique_dim_cuda_templateIN3c104HalfEEESt5tupleIJNS8_6TensorESF_SF_EERKSF_lbbbEUlllE1_EE10hipError_tPvRmT2_T3_mT4_P12ihipStream_tbEUlT_E_NS1_11comp_targetILNS1_3genE2ELNS1_11target_archE906ELNS1_3gpuE6ELNS1_3repE0EEENS1_30default_config_static_selectorELNS0_4arch9wavefront6targetE1EEEvT1_.uses_vcc, 0
	.set _ZN7rocprim17ROCPRIM_400000_NS6detail17trampoline_kernelINS0_14default_configENS1_35adjacent_difference_config_selectorILb1ElEEZNS1_24adjacent_difference_implIS3_Lb1ELb0EPlS7_ZN2at6native12_GLOBAL__N_124unique_dim_cuda_templateIN3c104HalfEEESt5tupleIJNS8_6TensorESF_SF_EERKSF_lbbbEUlllE1_EE10hipError_tPvRmT2_T3_mT4_P12ihipStream_tbEUlT_E_NS1_11comp_targetILNS1_3genE2ELNS1_11target_archE906ELNS1_3gpuE6ELNS1_3repE0EEENS1_30default_config_static_selectorELNS0_4arch9wavefront6targetE1EEEvT1_.uses_flat_scratch, 0
	.set _ZN7rocprim17ROCPRIM_400000_NS6detail17trampoline_kernelINS0_14default_configENS1_35adjacent_difference_config_selectorILb1ElEEZNS1_24adjacent_difference_implIS3_Lb1ELb0EPlS7_ZN2at6native12_GLOBAL__N_124unique_dim_cuda_templateIN3c104HalfEEESt5tupleIJNS8_6TensorESF_SF_EERKSF_lbbbEUlllE1_EE10hipError_tPvRmT2_T3_mT4_P12ihipStream_tbEUlT_E_NS1_11comp_targetILNS1_3genE2ELNS1_11target_archE906ELNS1_3gpuE6ELNS1_3repE0EEENS1_30default_config_static_selectorELNS0_4arch9wavefront6targetE1EEEvT1_.has_dyn_sized_stack, 0
	.set _ZN7rocprim17ROCPRIM_400000_NS6detail17trampoline_kernelINS0_14default_configENS1_35adjacent_difference_config_selectorILb1ElEEZNS1_24adjacent_difference_implIS3_Lb1ELb0EPlS7_ZN2at6native12_GLOBAL__N_124unique_dim_cuda_templateIN3c104HalfEEESt5tupleIJNS8_6TensorESF_SF_EERKSF_lbbbEUlllE1_EE10hipError_tPvRmT2_T3_mT4_P12ihipStream_tbEUlT_E_NS1_11comp_targetILNS1_3genE2ELNS1_11target_archE906ELNS1_3gpuE6ELNS1_3repE0EEENS1_30default_config_static_selectorELNS0_4arch9wavefront6targetE1EEEvT1_.has_recursion, 0
	.set _ZN7rocprim17ROCPRIM_400000_NS6detail17trampoline_kernelINS0_14default_configENS1_35adjacent_difference_config_selectorILb1ElEEZNS1_24adjacent_difference_implIS3_Lb1ELb0EPlS7_ZN2at6native12_GLOBAL__N_124unique_dim_cuda_templateIN3c104HalfEEESt5tupleIJNS8_6TensorESF_SF_EERKSF_lbbbEUlllE1_EE10hipError_tPvRmT2_T3_mT4_P12ihipStream_tbEUlT_E_NS1_11comp_targetILNS1_3genE2ELNS1_11target_archE906ELNS1_3gpuE6ELNS1_3repE0EEENS1_30default_config_static_selectorELNS0_4arch9wavefront6targetE1EEEvT1_.has_indirect_call, 0
	.section	.AMDGPU.csdata,"",@progbits
; Kernel info:
; codeLenInByte = 0
; TotalNumSgprs: 6
; NumVgprs: 0
; NumAgprs: 0
; TotalNumVgprs: 0
; ScratchSize: 0
; MemoryBound: 0
; FloatMode: 240
; IeeeMode: 1
; LDSByteSize: 0 bytes/workgroup (compile time only)
; SGPRBlocks: 0
; VGPRBlocks: 0
; NumSGPRsForWavesPerEU: 6
; NumVGPRsForWavesPerEU: 1
; AccumOffset: 4
; Occupancy: 8
; WaveLimiterHint : 0
; COMPUTE_PGM_RSRC2:SCRATCH_EN: 0
; COMPUTE_PGM_RSRC2:USER_SGPR: 2
; COMPUTE_PGM_RSRC2:TRAP_HANDLER: 0
; COMPUTE_PGM_RSRC2:TGID_X_EN: 1
; COMPUTE_PGM_RSRC2:TGID_Y_EN: 0
; COMPUTE_PGM_RSRC2:TGID_Z_EN: 0
; COMPUTE_PGM_RSRC2:TIDIG_COMP_CNT: 0
; COMPUTE_PGM_RSRC3_GFX90A:ACCUM_OFFSET: 0
; COMPUTE_PGM_RSRC3_GFX90A:TG_SPLIT: 0
	.section	.text._ZN7rocprim17ROCPRIM_400000_NS6detail17trampoline_kernelINS0_14default_configENS1_35adjacent_difference_config_selectorILb1ElEEZNS1_24adjacent_difference_implIS3_Lb1ELb0EPlS7_ZN2at6native12_GLOBAL__N_124unique_dim_cuda_templateIN3c104HalfEEESt5tupleIJNS8_6TensorESF_SF_EERKSF_lbbbEUlllE1_EE10hipError_tPvRmT2_T3_mT4_P12ihipStream_tbEUlT_E_NS1_11comp_targetILNS1_3genE9ELNS1_11target_archE1100ELNS1_3gpuE3ELNS1_3repE0EEENS1_30default_config_static_selectorELNS0_4arch9wavefront6targetE1EEEvT1_,"axG",@progbits,_ZN7rocprim17ROCPRIM_400000_NS6detail17trampoline_kernelINS0_14default_configENS1_35adjacent_difference_config_selectorILb1ElEEZNS1_24adjacent_difference_implIS3_Lb1ELb0EPlS7_ZN2at6native12_GLOBAL__N_124unique_dim_cuda_templateIN3c104HalfEEESt5tupleIJNS8_6TensorESF_SF_EERKSF_lbbbEUlllE1_EE10hipError_tPvRmT2_T3_mT4_P12ihipStream_tbEUlT_E_NS1_11comp_targetILNS1_3genE9ELNS1_11target_archE1100ELNS1_3gpuE3ELNS1_3repE0EEENS1_30default_config_static_selectorELNS0_4arch9wavefront6targetE1EEEvT1_,comdat
	.globl	_ZN7rocprim17ROCPRIM_400000_NS6detail17trampoline_kernelINS0_14default_configENS1_35adjacent_difference_config_selectorILb1ElEEZNS1_24adjacent_difference_implIS3_Lb1ELb0EPlS7_ZN2at6native12_GLOBAL__N_124unique_dim_cuda_templateIN3c104HalfEEESt5tupleIJNS8_6TensorESF_SF_EERKSF_lbbbEUlllE1_EE10hipError_tPvRmT2_T3_mT4_P12ihipStream_tbEUlT_E_NS1_11comp_targetILNS1_3genE9ELNS1_11target_archE1100ELNS1_3gpuE3ELNS1_3repE0EEENS1_30default_config_static_selectorELNS0_4arch9wavefront6targetE1EEEvT1_ ; -- Begin function _ZN7rocprim17ROCPRIM_400000_NS6detail17trampoline_kernelINS0_14default_configENS1_35adjacent_difference_config_selectorILb1ElEEZNS1_24adjacent_difference_implIS3_Lb1ELb0EPlS7_ZN2at6native12_GLOBAL__N_124unique_dim_cuda_templateIN3c104HalfEEESt5tupleIJNS8_6TensorESF_SF_EERKSF_lbbbEUlllE1_EE10hipError_tPvRmT2_T3_mT4_P12ihipStream_tbEUlT_E_NS1_11comp_targetILNS1_3genE9ELNS1_11target_archE1100ELNS1_3gpuE3ELNS1_3repE0EEENS1_30default_config_static_selectorELNS0_4arch9wavefront6targetE1EEEvT1_
	.p2align	8
	.type	_ZN7rocprim17ROCPRIM_400000_NS6detail17trampoline_kernelINS0_14default_configENS1_35adjacent_difference_config_selectorILb1ElEEZNS1_24adjacent_difference_implIS3_Lb1ELb0EPlS7_ZN2at6native12_GLOBAL__N_124unique_dim_cuda_templateIN3c104HalfEEESt5tupleIJNS8_6TensorESF_SF_EERKSF_lbbbEUlllE1_EE10hipError_tPvRmT2_T3_mT4_P12ihipStream_tbEUlT_E_NS1_11comp_targetILNS1_3genE9ELNS1_11target_archE1100ELNS1_3gpuE3ELNS1_3repE0EEENS1_30default_config_static_selectorELNS0_4arch9wavefront6targetE1EEEvT1_,@function
_ZN7rocprim17ROCPRIM_400000_NS6detail17trampoline_kernelINS0_14default_configENS1_35adjacent_difference_config_selectorILb1ElEEZNS1_24adjacent_difference_implIS3_Lb1ELb0EPlS7_ZN2at6native12_GLOBAL__N_124unique_dim_cuda_templateIN3c104HalfEEESt5tupleIJNS8_6TensorESF_SF_EERKSF_lbbbEUlllE1_EE10hipError_tPvRmT2_T3_mT4_P12ihipStream_tbEUlT_E_NS1_11comp_targetILNS1_3genE9ELNS1_11target_archE1100ELNS1_3gpuE3ELNS1_3repE0EEENS1_30default_config_static_selectorELNS0_4arch9wavefront6targetE1EEEvT1_: ; @_ZN7rocprim17ROCPRIM_400000_NS6detail17trampoline_kernelINS0_14default_configENS1_35adjacent_difference_config_selectorILb1ElEEZNS1_24adjacent_difference_implIS3_Lb1ELb0EPlS7_ZN2at6native12_GLOBAL__N_124unique_dim_cuda_templateIN3c104HalfEEESt5tupleIJNS8_6TensorESF_SF_EERKSF_lbbbEUlllE1_EE10hipError_tPvRmT2_T3_mT4_P12ihipStream_tbEUlT_E_NS1_11comp_targetILNS1_3genE9ELNS1_11target_archE1100ELNS1_3gpuE3ELNS1_3repE0EEENS1_30default_config_static_selectorELNS0_4arch9wavefront6targetE1EEEvT1_
; %bb.0:
	.section	.rodata,"a",@progbits
	.p2align	6, 0x0
	.amdhsa_kernel _ZN7rocprim17ROCPRIM_400000_NS6detail17trampoline_kernelINS0_14default_configENS1_35adjacent_difference_config_selectorILb1ElEEZNS1_24adjacent_difference_implIS3_Lb1ELb0EPlS7_ZN2at6native12_GLOBAL__N_124unique_dim_cuda_templateIN3c104HalfEEESt5tupleIJNS8_6TensorESF_SF_EERKSF_lbbbEUlllE1_EE10hipError_tPvRmT2_T3_mT4_P12ihipStream_tbEUlT_E_NS1_11comp_targetILNS1_3genE9ELNS1_11target_archE1100ELNS1_3gpuE3ELNS1_3repE0EEENS1_30default_config_static_selectorELNS0_4arch9wavefront6targetE1EEEvT1_
		.amdhsa_group_segment_fixed_size 0
		.amdhsa_private_segment_fixed_size 0
		.amdhsa_kernarg_size 64
		.amdhsa_user_sgpr_count 2
		.amdhsa_user_sgpr_dispatch_ptr 0
		.amdhsa_user_sgpr_queue_ptr 0
		.amdhsa_user_sgpr_kernarg_segment_ptr 1
		.amdhsa_user_sgpr_dispatch_id 0
		.amdhsa_user_sgpr_kernarg_preload_length 0
		.amdhsa_user_sgpr_kernarg_preload_offset 0
		.amdhsa_user_sgpr_private_segment_size 0
		.amdhsa_uses_dynamic_stack 0
		.amdhsa_enable_private_segment 0
		.amdhsa_system_sgpr_workgroup_id_x 1
		.amdhsa_system_sgpr_workgroup_id_y 0
		.amdhsa_system_sgpr_workgroup_id_z 0
		.amdhsa_system_sgpr_workgroup_info 0
		.amdhsa_system_vgpr_workitem_id 0
		.amdhsa_next_free_vgpr 1
		.amdhsa_next_free_sgpr 0
		.amdhsa_accum_offset 4
		.amdhsa_reserve_vcc 0
		.amdhsa_float_round_mode_32 0
		.amdhsa_float_round_mode_16_64 0
		.amdhsa_float_denorm_mode_32 3
		.amdhsa_float_denorm_mode_16_64 3
		.amdhsa_dx10_clamp 1
		.amdhsa_ieee_mode 1
		.amdhsa_fp16_overflow 0
		.amdhsa_tg_split 0
		.amdhsa_exception_fp_ieee_invalid_op 0
		.amdhsa_exception_fp_denorm_src 0
		.amdhsa_exception_fp_ieee_div_zero 0
		.amdhsa_exception_fp_ieee_overflow 0
		.amdhsa_exception_fp_ieee_underflow 0
		.amdhsa_exception_fp_ieee_inexact 0
		.amdhsa_exception_int_div_zero 0
	.end_amdhsa_kernel
	.section	.text._ZN7rocprim17ROCPRIM_400000_NS6detail17trampoline_kernelINS0_14default_configENS1_35adjacent_difference_config_selectorILb1ElEEZNS1_24adjacent_difference_implIS3_Lb1ELb0EPlS7_ZN2at6native12_GLOBAL__N_124unique_dim_cuda_templateIN3c104HalfEEESt5tupleIJNS8_6TensorESF_SF_EERKSF_lbbbEUlllE1_EE10hipError_tPvRmT2_T3_mT4_P12ihipStream_tbEUlT_E_NS1_11comp_targetILNS1_3genE9ELNS1_11target_archE1100ELNS1_3gpuE3ELNS1_3repE0EEENS1_30default_config_static_selectorELNS0_4arch9wavefront6targetE1EEEvT1_,"axG",@progbits,_ZN7rocprim17ROCPRIM_400000_NS6detail17trampoline_kernelINS0_14default_configENS1_35adjacent_difference_config_selectorILb1ElEEZNS1_24adjacent_difference_implIS3_Lb1ELb0EPlS7_ZN2at6native12_GLOBAL__N_124unique_dim_cuda_templateIN3c104HalfEEESt5tupleIJNS8_6TensorESF_SF_EERKSF_lbbbEUlllE1_EE10hipError_tPvRmT2_T3_mT4_P12ihipStream_tbEUlT_E_NS1_11comp_targetILNS1_3genE9ELNS1_11target_archE1100ELNS1_3gpuE3ELNS1_3repE0EEENS1_30default_config_static_selectorELNS0_4arch9wavefront6targetE1EEEvT1_,comdat
.Lfunc_end1295:
	.size	_ZN7rocprim17ROCPRIM_400000_NS6detail17trampoline_kernelINS0_14default_configENS1_35adjacent_difference_config_selectorILb1ElEEZNS1_24adjacent_difference_implIS3_Lb1ELb0EPlS7_ZN2at6native12_GLOBAL__N_124unique_dim_cuda_templateIN3c104HalfEEESt5tupleIJNS8_6TensorESF_SF_EERKSF_lbbbEUlllE1_EE10hipError_tPvRmT2_T3_mT4_P12ihipStream_tbEUlT_E_NS1_11comp_targetILNS1_3genE9ELNS1_11target_archE1100ELNS1_3gpuE3ELNS1_3repE0EEENS1_30default_config_static_selectorELNS0_4arch9wavefront6targetE1EEEvT1_, .Lfunc_end1295-_ZN7rocprim17ROCPRIM_400000_NS6detail17trampoline_kernelINS0_14default_configENS1_35adjacent_difference_config_selectorILb1ElEEZNS1_24adjacent_difference_implIS3_Lb1ELb0EPlS7_ZN2at6native12_GLOBAL__N_124unique_dim_cuda_templateIN3c104HalfEEESt5tupleIJNS8_6TensorESF_SF_EERKSF_lbbbEUlllE1_EE10hipError_tPvRmT2_T3_mT4_P12ihipStream_tbEUlT_E_NS1_11comp_targetILNS1_3genE9ELNS1_11target_archE1100ELNS1_3gpuE3ELNS1_3repE0EEENS1_30default_config_static_selectorELNS0_4arch9wavefront6targetE1EEEvT1_
                                        ; -- End function
	.set _ZN7rocprim17ROCPRIM_400000_NS6detail17trampoline_kernelINS0_14default_configENS1_35adjacent_difference_config_selectorILb1ElEEZNS1_24adjacent_difference_implIS3_Lb1ELb0EPlS7_ZN2at6native12_GLOBAL__N_124unique_dim_cuda_templateIN3c104HalfEEESt5tupleIJNS8_6TensorESF_SF_EERKSF_lbbbEUlllE1_EE10hipError_tPvRmT2_T3_mT4_P12ihipStream_tbEUlT_E_NS1_11comp_targetILNS1_3genE9ELNS1_11target_archE1100ELNS1_3gpuE3ELNS1_3repE0EEENS1_30default_config_static_selectorELNS0_4arch9wavefront6targetE1EEEvT1_.num_vgpr, 0
	.set _ZN7rocprim17ROCPRIM_400000_NS6detail17trampoline_kernelINS0_14default_configENS1_35adjacent_difference_config_selectorILb1ElEEZNS1_24adjacent_difference_implIS3_Lb1ELb0EPlS7_ZN2at6native12_GLOBAL__N_124unique_dim_cuda_templateIN3c104HalfEEESt5tupleIJNS8_6TensorESF_SF_EERKSF_lbbbEUlllE1_EE10hipError_tPvRmT2_T3_mT4_P12ihipStream_tbEUlT_E_NS1_11comp_targetILNS1_3genE9ELNS1_11target_archE1100ELNS1_3gpuE3ELNS1_3repE0EEENS1_30default_config_static_selectorELNS0_4arch9wavefront6targetE1EEEvT1_.num_agpr, 0
	.set _ZN7rocprim17ROCPRIM_400000_NS6detail17trampoline_kernelINS0_14default_configENS1_35adjacent_difference_config_selectorILb1ElEEZNS1_24adjacent_difference_implIS3_Lb1ELb0EPlS7_ZN2at6native12_GLOBAL__N_124unique_dim_cuda_templateIN3c104HalfEEESt5tupleIJNS8_6TensorESF_SF_EERKSF_lbbbEUlllE1_EE10hipError_tPvRmT2_T3_mT4_P12ihipStream_tbEUlT_E_NS1_11comp_targetILNS1_3genE9ELNS1_11target_archE1100ELNS1_3gpuE3ELNS1_3repE0EEENS1_30default_config_static_selectorELNS0_4arch9wavefront6targetE1EEEvT1_.numbered_sgpr, 0
	.set _ZN7rocprim17ROCPRIM_400000_NS6detail17trampoline_kernelINS0_14default_configENS1_35adjacent_difference_config_selectorILb1ElEEZNS1_24adjacent_difference_implIS3_Lb1ELb0EPlS7_ZN2at6native12_GLOBAL__N_124unique_dim_cuda_templateIN3c104HalfEEESt5tupleIJNS8_6TensorESF_SF_EERKSF_lbbbEUlllE1_EE10hipError_tPvRmT2_T3_mT4_P12ihipStream_tbEUlT_E_NS1_11comp_targetILNS1_3genE9ELNS1_11target_archE1100ELNS1_3gpuE3ELNS1_3repE0EEENS1_30default_config_static_selectorELNS0_4arch9wavefront6targetE1EEEvT1_.num_named_barrier, 0
	.set _ZN7rocprim17ROCPRIM_400000_NS6detail17trampoline_kernelINS0_14default_configENS1_35adjacent_difference_config_selectorILb1ElEEZNS1_24adjacent_difference_implIS3_Lb1ELb0EPlS7_ZN2at6native12_GLOBAL__N_124unique_dim_cuda_templateIN3c104HalfEEESt5tupleIJNS8_6TensorESF_SF_EERKSF_lbbbEUlllE1_EE10hipError_tPvRmT2_T3_mT4_P12ihipStream_tbEUlT_E_NS1_11comp_targetILNS1_3genE9ELNS1_11target_archE1100ELNS1_3gpuE3ELNS1_3repE0EEENS1_30default_config_static_selectorELNS0_4arch9wavefront6targetE1EEEvT1_.private_seg_size, 0
	.set _ZN7rocprim17ROCPRIM_400000_NS6detail17trampoline_kernelINS0_14default_configENS1_35adjacent_difference_config_selectorILb1ElEEZNS1_24adjacent_difference_implIS3_Lb1ELb0EPlS7_ZN2at6native12_GLOBAL__N_124unique_dim_cuda_templateIN3c104HalfEEESt5tupleIJNS8_6TensorESF_SF_EERKSF_lbbbEUlllE1_EE10hipError_tPvRmT2_T3_mT4_P12ihipStream_tbEUlT_E_NS1_11comp_targetILNS1_3genE9ELNS1_11target_archE1100ELNS1_3gpuE3ELNS1_3repE0EEENS1_30default_config_static_selectorELNS0_4arch9wavefront6targetE1EEEvT1_.uses_vcc, 0
	.set _ZN7rocprim17ROCPRIM_400000_NS6detail17trampoline_kernelINS0_14default_configENS1_35adjacent_difference_config_selectorILb1ElEEZNS1_24adjacent_difference_implIS3_Lb1ELb0EPlS7_ZN2at6native12_GLOBAL__N_124unique_dim_cuda_templateIN3c104HalfEEESt5tupleIJNS8_6TensorESF_SF_EERKSF_lbbbEUlllE1_EE10hipError_tPvRmT2_T3_mT4_P12ihipStream_tbEUlT_E_NS1_11comp_targetILNS1_3genE9ELNS1_11target_archE1100ELNS1_3gpuE3ELNS1_3repE0EEENS1_30default_config_static_selectorELNS0_4arch9wavefront6targetE1EEEvT1_.uses_flat_scratch, 0
	.set _ZN7rocprim17ROCPRIM_400000_NS6detail17trampoline_kernelINS0_14default_configENS1_35adjacent_difference_config_selectorILb1ElEEZNS1_24adjacent_difference_implIS3_Lb1ELb0EPlS7_ZN2at6native12_GLOBAL__N_124unique_dim_cuda_templateIN3c104HalfEEESt5tupleIJNS8_6TensorESF_SF_EERKSF_lbbbEUlllE1_EE10hipError_tPvRmT2_T3_mT4_P12ihipStream_tbEUlT_E_NS1_11comp_targetILNS1_3genE9ELNS1_11target_archE1100ELNS1_3gpuE3ELNS1_3repE0EEENS1_30default_config_static_selectorELNS0_4arch9wavefront6targetE1EEEvT1_.has_dyn_sized_stack, 0
	.set _ZN7rocprim17ROCPRIM_400000_NS6detail17trampoline_kernelINS0_14default_configENS1_35adjacent_difference_config_selectorILb1ElEEZNS1_24adjacent_difference_implIS3_Lb1ELb0EPlS7_ZN2at6native12_GLOBAL__N_124unique_dim_cuda_templateIN3c104HalfEEESt5tupleIJNS8_6TensorESF_SF_EERKSF_lbbbEUlllE1_EE10hipError_tPvRmT2_T3_mT4_P12ihipStream_tbEUlT_E_NS1_11comp_targetILNS1_3genE9ELNS1_11target_archE1100ELNS1_3gpuE3ELNS1_3repE0EEENS1_30default_config_static_selectorELNS0_4arch9wavefront6targetE1EEEvT1_.has_recursion, 0
	.set _ZN7rocprim17ROCPRIM_400000_NS6detail17trampoline_kernelINS0_14default_configENS1_35adjacent_difference_config_selectorILb1ElEEZNS1_24adjacent_difference_implIS3_Lb1ELb0EPlS7_ZN2at6native12_GLOBAL__N_124unique_dim_cuda_templateIN3c104HalfEEESt5tupleIJNS8_6TensorESF_SF_EERKSF_lbbbEUlllE1_EE10hipError_tPvRmT2_T3_mT4_P12ihipStream_tbEUlT_E_NS1_11comp_targetILNS1_3genE9ELNS1_11target_archE1100ELNS1_3gpuE3ELNS1_3repE0EEENS1_30default_config_static_selectorELNS0_4arch9wavefront6targetE1EEEvT1_.has_indirect_call, 0
	.section	.AMDGPU.csdata,"",@progbits
; Kernel info:
; codeLenInByte = 0
; TotalNumSgprs: 6
; NumVgprs: 0
; NumAgprs: 0
; TotalNumVgprs: 0
; ScratchSize: 0
; MemoryBound: 0
; FloatMode: 240
; IeeeMode: 1
; LDSByteSize: 0 bytes/workgroup (compile time only)
; SGPRBlocks: 0
; VGPRBlocks: 0
; NumSGPRsForWavesPerEU: 6
; NumVGPRsForWavesPerEU: 1
; AccumOffset: 4
; Occupancy: 8
; WaveLimiterHint : 0
; COMPUTE_PGM_RSRC2:SCRATCH_EN: 0
; COMPUTE_PGM_RSRC2:USER_SGPR: 2
; COMPUTE_PGM_RSRC2:TRAP_HANDLER: 0
; COMPUTE_PGM_RSRC2:TGID_X_EN: 1
; COMPUTE_PGM_RSRC2:TGID_Y_EN: 0
; COMPUTE_PGM_RSRC2:TGID_Z_EN: 0
; COMPUTE_PGM_RSRC2:TIDIG_COMP_CNT: 0
; COMPUTE_PGM_RSRC3_GFX90A:ACCUM_OFFSET: 0
; COMPUTE_PGM_RSRC3_GFX90A:TG_SPLIT: 0
	.section	.text._ZN7rocprim17ROCPRIM_400000_NS6detail17trampoline_kernelINS0_14default_configENS1_35adjacent_difference_config_selectorILb1ElEEZNS1_24adjacent_difference_implIS3_Lb1ELb0EPlS7_ZN2at6native12_GLOBAL__N_124unique_dim_cuda_templateIN3c104HalfEEESt5tupleIJNS8_6TensorESF_SF_EERKSF_lbbbEUlllE1_EE10hipError_tPvRmT2_T3_mT4_P12ihipStream_tbEUlT_E_NS1_11comp_targetILNS1_3genE8ELNS1_11target_archE1030ELNS1_3gpuE2ELNS1_3repE0EEENS1_30default_config_static_selectorELNS0_4arch9wavefront6targetE1EEEvT1_,"axG",@progbits,_ZN7rocprim17ROCPRIM_400000_NS6detail17trampoline_kernelINS0_14default_configENS1_35adjacent_difference_config_selectorILb1ElEEZNS1_24adjacent_difference_implIS3_Lb1ELb0EPlS7_ZN2at6native12_GLOBAL__N_124unique_dim_cuda_templateIN3c104HalfEEESt5tupleIJNS8_6TensorESF_SF_EERKSF_lbbbEUlllE1_EE10hipError_tPvRmT2_T3_mT4_P12ihipStream_tbEUlT_E_NS1_11comp_targetILNS1_3genE8ELNS1_11target_archE1030ELNS1_3gpuE2ELNS1_3repE0EEENS1_30default_config_static_selectorELNS0_4arch9wavefront6targetE1EEEvT1_,comdat
	.globl	_ZN7rocprim17ROCPRIM_400000_NS6detail17trampoline_kernelINS0_14default_configENS1_35adjacent_difference_config_selectorILb1ElEEZNS1_24adjacent_difference_implIS3_Lb1ELb0EPlS7_ZN2at6native12_GLOBAL__N_124unique_dim_cuda_templateIN3c104HalfEEESt5tupleIJNS8_6TensorESF_SF_EERKSF_lbbbEUlllE1_EE10hipError_tPvRmT2_T3_mT4_P12ihipStream_tbEUlT_E_NS1_11comp_targetILNS1_3genE8ELNS1_11target_archE1030ELNS1_3gpuE2ELNS1_3repE0EEENS1_30default_config_static_selectorELNS0_4arch9wavefront6targetE1EEEvT1_ ; -- Begin function _ZN7rocprim17ROCPRIM_400000_NS6detail17trampoline_kernelINS0_14default_configENS1_35adjacent_difference_config_selectorILb1ElEEZNS1_24adjacent_difference_implIS3_Lb1ELb0EPlS7_ZN2at6native12_GLOBAL__N_124unique_dim_cuda_templateIN3c104HalfEEESt5tupleIJNS8_6TensorESF_SF_EERKSF_lbbbEUlllE1_EE10hipError_tPvRmT2_T3_mT4_P12ihipStream_tbEUlT_E_NS1_11comp_targetILNS1_3genE8ELNS1_11target_archE1030ELNS1_3gpuE2ELNS1_3repE0EEENS1_30default_config_static_selectorELNS0_4arch9wavefront6targetE1EEEvT1_
	.p2align	8
	.type	_ZN7rocprim17ROCPRIM_400000_NS6detail17trampoline_kernelINS0_14default_configENS1_35adjacent_difference_config_selectorILb1ElEEZNS1_24adjacent_difference_implIS3_Lb1ELb0EPlS7_ZN2at6native12_GLOBAL__N_124unique_dim_cuda_templateIN3c104HalfEEESt5tupleIJNS8_6TensorESF_SF_EERKSF_lbbbEUlllE1_EE10hipError_tPvRmT2_T3_mT4_P12ihipStream_tbEUlT_E_NS1_11comp_targetILNS1_3genE8ELNS1_11target_archE1030ELNS1_3gpuE2ELNS1_3repE0EEENS1_30default_config_static_selectorELNS0_4arch9wavefront6targetE1EEEvT1_,@function
_ZN7rocprim17ROCPRIM_400000_NS6detail17trampoline_kernelINS0_14default_configENS1_35adjacent_difference_config_selectorILb1ElEEZNS1_24adjacent_difference_implIS3_Lb1ELb0EPlS7_ZN2at6native12_GLOBAL__N_124unique_dim_cuda_templateIN3c104HalfEEESt5tupleIJNS8_6TensorESF_SF_EERKSF_lbbbEUlllE1_EE10hipError_tPvRmT2_T3_mT4_P12ihipStream_tbEUlT_E_NS1_11comp_targetILNS1_3genE8ELNS1_11target_archE1030ELNS1_3gpuE2ELNS1_3repE0EEENS1_30default_config_static_selectorELNS0_4arch9wavefront6targetE1EEEvT1_: ; @_ZN7rocprim17ROCPRIM_400000_NS6detail17trampoline_kernelINS0_14default_configENS1_35adjacent_difference_config_selectorILb1ElEEZNS1_24adjacent_difference_implIS3_Lb1ELb0EPlS7_ZN2at6native12_GLOBAL__N_124unique_dim_cuda_templateIN3c104HalfEEESt5tupleIJNS8_6TensorESF_SF_EERKSF_lbbbEUlllE1_EE10hipError_tPvRmT2_T3_mT4_P12ihipStream_tbEUlT_E_NS1_11comp_targetILNS1_3genE8ELNS1_11target_archE1030ELNS1_3gpuE2ELNS1_3repE0EEENS1_30default_config_static_selectorELNS0_4arch9wavefront6targetE1EEEvT1_
; %bb.0:
	.section	.rodata,"a",@progbits
	.p2align	6, 0x0
	.amdhsa_kernel _ZN7rocprim17ROCPRIM_400000_NS6detail17trampoline_kernelINS0_14default_configENS1_35adjacent_difference_config_selectorILb1ElEEZNS1_24adjacent_difference_implIS3_Lb1ELb0EPlS7_ZN2at6native12_GLOBAL__N_124unique_dim_cuda_templateIN3c104HalfEEESt5tupleIJNS8_6TensorESF_SF_EERKSF_lbbbEUlllE1_EE10hipError_tPvRmT2_T3_mT4_P12ihipStream_tbEUlT_E_NS1_11comp_targetILNS1_3genE8ELNS1_11target_archE1030ELNS1_3gpuE2ELNS1_3repE0EEENS1_30default_config_static_selectorELNS0_4arch9wavefront6targetE1EEEvT1_
		.amdhsa_group_segment_fixed_size 0
		.amdhsa_private_segment_fixed_size 0
		.amdhsa_kernarg_size 64
		.amdhsa_user_sgpr_count 2
		.amdhsa_user_sgpr_dispatch_ptr 0
		.amdhsa_user_sgpr_queue_ptr 0
		.amdhsa_user_sgpr_kernarg_segment_ptr 1
		.amdhsa_user_sgpr_dispatch_id 0
		.amdhsa_user_sgpr_kernarg_preload_length 0
		.amdhsa_user_sgpr_kernarg_preload_offset 0
		.amdhsa_user_sgpr_private_segment_size 0
		.amdhsa_uses_dynamic_stack 0
		.amdhsa_enable_private_segment 0
		.amdhsa_system_sgpr_workgroup_id_x 1
		.amdhsa_system_sgpr_workgroup_id_y 0
		.amdhsa_system_sgpr_workgroup_id_z 0
		.amdhsa_system_sgpr_workgroup_info 0
		.amdhsa_system_vgpr_workitem_id 0
		.amdhsa_next_free_vgpr 1
		.amdhsa_next_free_sgpr 0
		.amdhsa_accum_offset 4
		.amdhsa_reserve_vcc 0
		.amdhsa_float_round_mode_32 0
		.amdhsa_float_round_mode_16_64 0
		.amdhsa_float_denorm_mode_32 3
		.amdhsa_float_denorm_mode_16_64 3
		.amdhsa_dx10_clamp 1
		.amdhsa_ieee_mode 1
		.amdhsa_fp16_overflow 0
		.amdhsa_tg_split 0
		.amdhsa_exception_fp_ieee_invalid_op 0
		.amdhsa_exception_fp_denorm_src 0
		.amdhsa_exception_fp_ieee_div_zero 0
		.amdhsa_exception_fp_ieee_overflow 0
		.amdhsa_exception_fp_ieee_underflow 0
		.amdhsa_exception_fp_ieee_inexact 0
		.amdhsa_exception_int_div_zero 0
	.end_amdhsa_kernel
	.section	.text._ZN7rocprim17ROCPRIM_400000_NS6detail17trampoline_kernelINS0_14default_configENS1_35adjacent_difference_config_selectorILb1ElEEZNS1_24adjacent_difference_implIS3_Lb1ELb0EPlS7_ZN2at6native12_GLOBAL__N_124unique_dim_cuda_templateIN3c104HalfEEESt5tupleIJNS8_6TensorESF_SF_EERKSF_lbbbEUlllE1_EE10hipError_tPvRmT2_T3_mT4_P12ihipStream_tbEUlT_E_NS1_11comp_targetILNS1_3genE8ELNS1_11target_archE1030ELNS1_3gpuE2ELNS1_3repE0EEENS1_30default_config_static_selectorELNS0_4arch9wavefront6targetE1EEEvT1_,"axG",@progbits,_ZN7rocprim17ROCPRIM_400000_NS6detail17trampoline_kernelINS0_14default_configENS1_35adjacent_difference_config_selectorILb1ElEEZNS1_24adjacent_difference_implIS3_Lb1ELb0EPlS7_ZN2at6native12_GLOBAL__N_124unique_dim_cuda_templateIN3c104HalfEEESt5tupleIJNS8_6TensorESF_SF_EERKSF_lbbbEUlllE1_EE10hipError_tPvRmT2_T3_mT4_P12ihipStream_tbEUlT_E_NS1_11comp_targetILNS1_3genE8ELNS1_11target_archE1030ELNS1_3gpuE2ELNS1_3repE0EEENS1_30default_config_static_selectorELNS0_4arch9wavefront6targetE1EEEvT1_,comdat
.Lfunc_end1296:
	.size	_ZN7rocprim17ROCPRIM_400000_NS6detail17trampoline_kernelINS0_14default_configENS1_35adjacent_difference_config_selectorILb1ElEEZNS1_24adjacent_difference_implIS3_Lb1ELb0EPlS7_ZN2at6native12_GLOBAL__N_124unique_dim_cuda_templateIN3c104HalfEEESt5tupleIJNS8_6TensorESF_SF_EERKSF_lbbbEUlllE1_EE10hipError_tPvRmT2_T3_mT4_P12ihipStream_tbEUlT_E_NS1_11comp_targetILNS1_3genE8ELNS1_11target_archE1030ELNS1_3gpuE2ELNS1_3repE0EEENS1_30default_config_static_selectorELNS0_4arch9wavefront6targetE1EEEvT1_, .Lfunc_end1296-_ZN7rocprim17ROCPRIM_400000_NS6detail17trampoline_kernelINS0_14default_configENS1_35adjacent_difference_config_selectorILb1ElEEZNS1_24adjacent_difference_implIS3_Lb1ELb0EPlS7_ZN2at6native12_GLOBAL__N_124unique_dim_cuda_templateIN3c104HalfEEESt5tupleIJNS8_6TensorESF_SF_EERKSF_lbbbEUlllE1_EE10hipError_tPvRmT2_T3_mT4_P12ihipStream_tbEUlT_E_NS1_11comp_targetILNS1_3genE8ELNS1_11target_archE1030ELNS1_3gpuE2ELNS1_3repE0EEENS1_30default_config_static_selectorELNS0_4arch9wavefront6targetE1EEEvT1_
                                        ; -- End function
	.set _ZN7rocprim17ROCPRIM_400000_NS6detail17trampoline_kernelINS0_14default_configENS1_35adjacent_difference_config_selectorILb1ElEEZNS1_24adjacent_difference_implIS3_Lb1ELb0EPlS7_ZN2at6native12_GLOBAL__N_124unique_dim_cuda_templateIN3c104HalfEEESt5tupleIJNS8_6TensorESF_SF_EERKSF_lbbbEUlllE1_EE10hipError_tPvRmT2_T3_mT4_P12ihipStream_tbEUlT_E_NS1_11comp_targetILNS1_3genE8ELNS1_11target_archE1030ELNS1_3gpuE2ELNS1_3repE0EEENS1_30default_config_static_selectorELNS0_4arch9wavefront6targetE1EEEvT1_.num_vgpr, 0
	.set _ZN7rocprim17ROCPRIM_400000_NS6detail17trampoline_kernelINS0_14default_configENS1_35adjacent_difference_config_selectorILb1ElEEZNS1_24adjacent_difference_implIS3_Lb1ELb0EPlS7_ZN2at6native12_GLOBAL__N_124unique_dim_cuda_templateIN3c104HalfEEESt5tupleIJNS8_6TensorESF_SF_EERKSF_lbbbEUlllE1_EE10hipError_tPvRmT2_T3_mT4_P12ihipStream_tbEUlT_E_NS1_11comp_targetILNS1_3genE8ELNS1_11target_archE1030ELNS1_3gpuE2ELNS1_3repE0EEENS1_30default_config_static_selectorELNS0_4arch9wavefront6targetE1EEEvT1_.num_agpr, 0
	.set _ZN7rocprim17ROCPRIM_400000_NS6detail17trampoline_kernelINS0_14default_configENS1_35adjacent_difference_config_selectorILb1ElEEZNS1_24adjacent_difference_implIS3_Lb1ELb0EPlS7_ZN2at6native12_GLOBAL__N_124unique_dim_cuda_templateIN3c104HalfEEESt5tupleIJNS8_6TensorESF_SF_EERKSF_lbbbEUlllE1_EE10hipError_tPvRmT2_T3_mT4_P12ihipStream_tbEUlT_E_NS1_11comp_targetILNS1_3genE8ELNS1_11target_archE1030ELNS1_3gpuE2ELNS1_3repE0EEENS1_30default_config_static_selectorELNS0_4arch9wavefront6targetE1EEEvT1_.numbered_sgpr, 0
	.set _ZN7rocprim17ROCPRIM_400000_NS6detail17trampoline_kernelINS0_14default_configENS1_35adjacent_difference_config_selectorILb1ElEEZNS1_24adjacent_difference_implIS3_Lb1ELb0EPlS7_ZN2at6native12_GLOBAL__N_124unique_dim_cuda_templateIN3c104HalfEEESt5tupleIJNS8_6TensorESF_SF_EERKSF_lbbbEUlllE1_EE10hipError_tPvRmT2_T3_mT4_P12ihipStream_tbEUlT_E_NS1_11comp_targetILNS1_3genE8ELNS1_11target_archE1030ELNS1_3gpuE2ELNS1_3repE0EEENS1_30default_config_static_selectorELNS0_4arch9wavefront6targetE1EEEvT1_.num_named_barrier, 0
	.set _ZN7rocprim17ROCPRIM_400000_NS6detail17trampoline_kernelINS0_14default_configENS1_35adjacent_difference_config_selectorILb1ElEEZNS1_24adjacent_difference_implIS3_Lb1ELb0EPlS7_ZN2at6native12_GLOBAL__N_124unique_dim_cuda_templateIN3c104HalfEEESt5tupleIJNS8_6TensorESF_SF_EERKSF_lbbbEUlllE1_EE10hipError_tPvRmT2_T3_mT4_P12ihipStream_tbEUlT_E_NS1_11comp_targetILNS1_3genE8ELNS1_11target_archE1030ELNS1_3gpuE2ELNS1_3repE0EEENS1_30default_config_static_selectorELNS0_4arch9wavefront6targetE1EEEvT1_.private_seg_size, 0
	.set _ZN7rocprim17ROCPRIM_400000_NS6detail17trampoline_kernelINS0_14default_configENS1_35adjacent_difference_config_selectorILb1ElEEZNS1_24adjacent_difference_implIS3_Lb1ELb0EPlS7_ZN2at6native12_GLOBAL__N_124unique_dim_cuda_templateIN3c104HalfEEESt5tupleIJNS8_6TensorESF_SF_EERKSF_lbbbEUlllE1_EE10hipError_tPvRmT2_T3_mT4_P12ihipStream_tbEUlT_E_NS1_11comp_targetILNS1_3genE8ELNS1_11target_archE1030ELNS1_3gpuE2ELNS1_3repE0EEENS1_30default_config_static_selectorELNS0_4arch9wavefront6targetE1EEEvT1_.uses_vcc, 0
	.set _ZN7rocprim17ROCPRIM_400000_NS6detail17trampoline_kernelINS0_14default_configENS1_35adjacent_difference_config_selectorILb1ElEEZNS1_24adjacent_difference_implIS3_Lb1ELb0EPlS7_ZN2at6native12_GLOBAL__N_124unique_dim_cuda_templateIN3c104HalfEEESt5tupleIJNS8_6TensorESF_SF_EERKSF_lbbbEUlllE1_EE10hipError_tPvRmT2_T3_mT4_P12ihipStream_tbEUlT_E_NS1_11comp_targetILNS1_3genE8ELNS1_11target_archE1030ELNS1_3gpuE2ELNS1_3repE0EEENS1_30default_config_static_selectorELNS0_4arch9wavefront6targetE1EEEvT1_.uses_flat_scratch, 0
	.set _ZN7rocprim17ROCPRIM_400000_NS6detail17trampoline_kernelINS0_14default_configENS1_35adjacent_difference_config_selectorILb1ElEEZNS1_24adjacent_difference_implIS3_Lb1ELb0EPlS7_ZN2at6native12_GLOBAL__N_124unique_dim_cuda_templateIN3c104HalfEEESt5tupleIJNS8_6TensorESF_SF_EERKSF_lbbbEUlllE1_EE10hipError_tPvRmT2_T3_mT4_P12ihipStream_tbEUlT_E_NS1_11comp_targetILNS1_3genE8ELNS1_11target_archE1030ELNS1_3gpuE2ELNS1_3repE0EEENS1_30default_config_static_selectorELNS0_4arch9wavefront6targetE1EEEvT1_.has_dyn_sized_stack, 0
	.set _ZN7rocprim17ROCPRIM_400000_NS6detail17trampoline_kernelINS0_14default_configENS1_35adjacent_difference_config_selectorILb1ElEEZNS1_24adjacent_difference_implIS3_Lb1ELb0EPlS7_ZN2at6native12_GLOBAL__N_124unique_dim_cuda_templateIN3c104HalfEEESt5tupleIJNS8_6TensorESF_SF_EERKSF_lbbbEUlllE1_EE10hipError_tPvRmT2_T3_mT4_P12ihipStream_tbEUlT_E_NS1_11comp_targetILNS1_3genE8ELNS1_11target_archE1030ELNS1_3gpuE2ELNS1_3repE0EEENS1_30default_config_static_selectorELNS0_4arch9wavefront6targetE1EEEvT1_.has_recursion, 0
	.set _ZN7rocprim17ROCPRIM_400000_NS6detail17trampoline_kernelINS0_14default_configENS1_35adjacent_difference_config_selectorILb1ElEEZNS1_24adjacent_difference_implIS3_Lb1ELb0EPlS7_ZN2at6native12_GLOBAL__N_124unique_dim_cuda_templateIN3c104HalfEEESt5tupleIJNS8_6TensorESF_SF_EERKSF_lbbbEUlllE1_EE10hipError_tPvRmT2_T3_mT4_P12ihipStream_tbEUlT_E_NS1_11comp_targetILNS1_3genE8ELNS1_11target_archE1030ELNS1_3gpuE2ELNS1_3repE0EEENS1_30default_config_static_selectorELNS0_4arch9wavefront6targetE1EEEvT1_.has_indirect_call, 0
	.section	.AMDGPU.csdata,"",@progbits
; Kernel info:
; codeLenInByte = 0
; TotalNumSgprs: 6
; NumVgprs: 0
; NumAgprs: 0
; TotalNumVgprs: 0
; ScratchSize: 0
; MemoryBound: 0
; FloatMode: 240
; IeeeMode: 1
; LDSByteSize: 0 bytes/workgroup (compile time only)
; SGPRBlocks: 0
; VGPRBlocks: 0
; NumSGPRsForWavesPerEU: 6
; NumVGPRsForWavesPerEU: 1
; AccumOffset: 4
; Occupancy: 8
; WaveLimiterHint : 0
; COMPUTE_PGM_RSRC2:SCRATCH_EN: 0
; COMPUTE_PGM_RSRC2:USER_SGPR: 2
; COMPUTE_PGM_RSRC2:TRAP_HANDLER: 0
; COMPUTE_PGM_RSRC2:TGID_X_EN: 1
; COMPUTE_PGM_RSRC2:TGID_Y_EN: 0
; COMPUTE_PGM_RSRC2:TGID_Z_EN: 0
; COMPUTE_PGM_RSRC2:TIDIG_COMP_CNT: 0
; COMPUTE_PGM_RSRC3_GFX90A:ACCUM_OFFSET: 0
; COMPUTE_PGM_RSRC3_GFX90A:TG_SPLIT: 0
	.section	.text._ZN7rocprim17ROCPRIM_400000_NS6detail17trampoline_kernelINS0_14default_configENS1_25partition_config_selectorILNS1_17partition_subalgoE8ElNS0_10empty_typeEbEEZZNS1_14partition_implILS5_8ELb0ES3_jPlPS6_PKS6_NS0_5tupleIJS9_S6_EEENSD_IJSA_SA_EEENS0_18inequality_wrapperIZN2at6native12_GLOBAL__N_124unique_dim_cuda_templateIN3c104HalfEEESt5tupleIJNSH_6TensorESO_SO_EERKSO_lbbbEUlllE0_EEPmJS6_EEE10hipError_tPvRmT3_T4_T5_T6_T7_T9_mT8_P12ihipStream_tbDpT10_ENKUlT_T0_E_clISt17integral_constantIbLb0EES1E_EEDaS19_S1A_EUlS19_E_NS1_11comp_targetILNS1_3genE0ELNS1_11target_archE4294967295ELNS1_3gpuE0ELNS1_3repE0EEENS1_30default_config_static_selectorELNS0_4arch9wavefront6targetE1EEEvT1_,"axG",@progbits,_ZN7rocprim17ROCPRIM_400000_NS6detail17trampoline_kernelINS0_14default_configENS1_25partition_config_selectorILNS1_17partition_subalgoE8ElNS0_10empty_typeEbEEZZNS1_14partition_implILS5_8ELb0ES3_jPlPS6_PKS6_NS0_5tupleIJS9_S6_EEENSD_IJSA_SA_EEENS0_18inequality_wrapperIZN2at6native12_GLOBAL__N_124unique_dim_cuda_templateIN3c104HalfEEESt5tupleIJNSH_6TensorESO_SO_EERKSO_lbbbEUlllE0_EEPmJS6_EEE10hipError_tPvRmT3_T4_T5_T6_T7_T9_mT8_P12ihipStream_tbDpT10_ENKUlT_T0_E_clISt17integral_constantIbLb0EES1E_EEDaS19_S1A_EUlS19_E_NS1_11comp_targetILNS1_3genE0ELNS1_11target_archE4294967295ELNS1_3gpuE0ELNS1_3repE0EEENS1_30default_config_static_selectorELNS0_4arch9wavefront6targetE1EEEvT1_,comdat
	.globl	_ZN7rocprim17ROCPRIM_400000_NS6detail17trampoline_kernelINS0_14default_configENS1_25partition_config_selectorILNS1_17partition_subalgoE8ElNS0_10empty_typeEbEEZZNS1_14partition_implILS5_8ELb0ES3_jPlPS6_PKS6_NS0_5tupleIJS9_S6_EEENSD_IJSA_SA_EEENS0_18inequality_wrapperIZN2at6native12_GLOBAL__N_124unique_dim_cuda_templateIN3c104HalfEEESt5tupleIJNSH_6TensorESO_SO_EERKSO_lbbbEUlllE0_EEPmJS6_EEE10hipError_tPvRmT3_T4_T5_T6_T7_T9_mT8_P12ihipStream_tbDpT10_ENKUlT_T0_E_clISt17integral_constantIbLb0EES1E_EEDaS19_S1A_EUlS19_E_NS1_11comp_targetILNS1_3genE0ELNS1_11target_archE4294967295ELNS1_3gpuE0ELNS1_3repE0EEENS1_30default_config_static_selectorELNS0_4arch9wavefront6targetE1EEEvT1_ ; -- Begin function _ZN7rocprim17ROCPRIM_400000_NS6detail17trampoline_kernelINS0_14default_configENS1_25partition_config_selectorILNS1_17partition_subalgoE8ElNS0_10empty_typeEbEEZZNS1_14partition_implILS5_8ELb0ES3_jPlPS6_PKS6_NS0_5tupleIJS9_S6_EEENSD_IJSA_SA_EEENS0_18inequality_wrapperIZN2at6native12_GLOBAL__N_124unique_dim_cuda_templateIN3c104HalfEEESt5tupleIJNSH_6TensorESO_SO_EERKSO_lbbbEUlllE0_EEPmJS6_EEE10hipError_tPvRmT3_T4_T5_T6_T7_T9_mT8_P12ihipStream_tbDpT10_ENKUlT_T0_E_clISt17integral_constantIbLb0EES1E_EEDaS19_S1A_EUlS19_E_NS1_11comp_targetILNS1_3genE0ELNS1_11target_archE4294967295ELNS1_3gpuE0ELNS1_3repE0EEENS1_30default_config_static_selectorELNS0_4arch9wavefront6targetE1EEEvT1_
	.p2align	8
	.type	_ZN7rocprim17ROCPRIM_400000_NS6detail17trampoline_kernelINS0_14default_configENS1_25partition_config_selectorILNS1_17partition_subalgoE8ElNS0_10empty_typeEbEEZZNS1_14partition_implILS5_8ELb0ES3_jPlPS6_PKS6_NS0_5tupleIJS9_S6_EEENSD_IJSA_SA_EEENS0_18inequality_wrapperIZN2at6native12_GLOBAL__N_124unique_dim_cuda_templateIN3c104HalfEEESt5tupleIJNSH_6TensorESO_SO_EERKSO_lbbbEUlllE0_EEPmJS6_EEE10hipError_tPvRmT3_T4_T5_T6_T7_T9_mT8_P12ihipStream_tbDpT10_ENKUlT_T0_E_clISt17integral_constantIbLb0EES1E_EEDaS19_S1A_EUlS19_E_NS1_11comp_targetILNS1_3genE0ELNS1_11target_archE4294967295ELNS1_3gpuE0ELNS1_3repE0EEENS1_30default_config_static_selectorELNS0_4arch9wavefront6targetE1EEEvT1_,@function
_ZN7rocprim17ROCPRIM_400000_NS6detail17trampoline_kernelINS0_14default_configENS1_25partition_config_selectorILNS1_17partition_subalgoE8ElNS0_10empty_typeEbEEZZNS1_14partition_implILS5_8ELb0ES3_jPlPS6_PKS6_NS0_5tupleIJS9_S6_EEENSD_IJSA_SA_EEENS0_18inequality_wrapperIZN2at6native12_GLOBAL__N_124unique_dim_cuda_templateIN3c104HalfEEESt5tupleIJNSH_6TensorESO_SO_EERKSO_lbbbEUlllE0_EEPmJS6_EEE10hipError_tPvRmT3_T4_T5_T6_T7_T9_mT8_P12ihipStream_tbDpT10_ENKUlT_T0_E_clISt17integral_constantIbLb0EES1E_EEDaS19_S1A_EUlS19_E_NS1_11comp_targetILNS1_3genE0ELNS1_11target_archE4294967295ELNS1_3gpuE0ELNS1_3repE0EEENS1_30default_config_static_selectorELNS0_4arch9wavefront6targetE1EEEvT1_: ; @_ZN7rocprim17ROCPRIM_400000_NS6detail17trampoline_kernelINS0_14default_configENS1_25partition_config_selectorILNS1_17partition_subalgoE8ElNS0_10empty_typeEbEEZZNS1_14partition_implILS5_8ELb0ES3_jPlPS6_PKS6_NS0_5tupleIJS9_S6_EEENSD_IJSA_SA_EEENS0_18inequality_wrapperIZN2at6native12_GLOBAL__N_124unique_dim_cuda_templateIN3c104HalfEEESt5tupleIJNSH_6TensorESO_SO_EERKSO_lbbbEUlllE0_EEPmJS6_EEE10hipError_tPvRmT3_T4_T5_T6_T7_T9_mT8_P12ihipStream_tbDpT10_ENKUlT_T0_E_clISt17integral_constantIbLb0EES1E_EEDaS19_S1A_EUlS19_E_NS1_11comp_targetILNS1_3genE0ELNS1_11target_archE4294967295ELNS1_3gpuE0ELNS1_3repE0EEENS1_30default_config_static_selectorELNS0_4arch9wavefront6targetE1EEEvT1_
; %bb.0:
	s_load_dwordx4 s[4:7], s[0:1], 0x8
	s_load_dwordx8 s[24:31], s[0:1], 0x40
	s_load_dwordx4 s[20:23], s[0:1], 0x60
	s_load_dword s3, s[0:1], 0x70
	v_lshlrev_b32_e32 v18, 3, v0
	s_waitcnt lgkmcnt(0)
	s_lshl_b64 s[8:9], s[6:7], 3
	s_add_u32 s12, s4, s8
	s_addc_u32 s13, s5, s9
	s_mul_i32 s8, s3, 0xe00
	s_add_i32 s10, s3, -1
	s_add_i32 s3, s8, s6
	s_sub_i32 s3, s28, s3
	s_add_u32 s8, s6, s8
	s_addc_u32 s9, s7, 0
	v_mov_b64_e32 v[2:3], s[8:9]
	s_cmp_eq_u32 s2, s10
	s_load_dwordx2 s[26:27], s[26:27], 0x0
	v_cmp_le_u64_e32 vcc, s[28:29], v[2:3]
	s_cselect_b64 s[28:29], -1, 0
	s_mul_i32 s4, s2, 0xe00
	s_mov_b32 s5, 0
	s_and_b64 s[8:9], s[28:29], vcc
	s_xor_b64 s[34:35], s[8:9], -1
	s_lshl_b64 s[4:5], s[4:5], 3
	s_add_u32 s4, s12, s4
	s_mov_b64 s[10:11], -1
	s_addc_u32 s5, s13, s5
	s_and_b64 vcc, exec, s[34:35]
	s_cbranch_vccz .LBB1297_2
; %bb.1:
	v_lshlrev_b32_e32 v2, 3, v0
	v_mov_b32_e32 v3, 0
	v_lshl_add_u64 v[4:5], s[4:5], 0, v[2:3]
	v_add_co_u32_e32 v8, vcc, 0x1000, v4
	global_load_dwordx2 v[6:7], v2, s[4:5]
	s_nop 0
	v_addc_co_u32_e32 v9, vcc, 0, v5, vcc
	v_add_co_u32_e32 v10, vcc, 0x2000, v4
	s_mov_b64 s[10:11], 0
	s_nop 0
	v_addc_co_u32_e32 v11, vcc, 0, v5, vcc
	v_add_co_u32_e32 v12, vcc, 0x3000, v4
	s_nop 1
	v_addc_co_u32_e32 v13, vcc, 0, v5, vcc
	v_add_co_u32_e32 v14, vcc, 0x4000, v4
	s_nop 1
	v_addc_co_u32_e32 v15, vcc, 0, v5, vcc
	global_load_dwordx2 v[16:17], v[8:9], off
	global_load_dwordx2 v[20:21], v[10:11], off
	;; [unrolled: 1-line block ×4, first 2 shown]
	v_add_co_u32_e32 v8, vcc, 0x5000, v4
	s_nop 1
	v_addc_co_u32_e32 v9, vcc, 0, v5, vcc
	v_add_co_u32_e32 v4, vcc, 0x6000, v4
	s_nop 1
	v_addc_co_u32_e32 v5, vcc, 0, v5, vcc
	global_load_dwordx2 v[10:11], v[8:9], off
	global_load_dwordx2 v[12:13], v[4:5], off
	s_waitcnt vmcnt(5)
	ds_write2st64_b64 v2, v[6:7], v[16:17] offset1:8
	s_waitcnt vmcnt(3)
	ds_write2st64_b64 v2, v[20:21], v[22:23] offset0:16 offset1:24
	s_waitcnt vmcnt(1)
	ds_write2st64_b64 v2, v[24:25], v[10:11] offset0:32 offset1:40
	s_waitcnt vmcnt(0)
	ds_write_b64 v2, v[12:13] offset:24576
	s_waitcnt lgkmcnt(0)
	s_barrier
.LBB1297_2:
	s_andn2_b64 vcc, exec, s[10:11]
	s_addk_i32 s3, 0xe00
	s_cbranch_vccnz .LBB1297_18
; %bb.3:
	v_mov_b32_e32 v2, 0
	v_cmp_gt_u32_e32 vcc, s3, v0
	v_mov_b32_e32 v3, v2
	v_mov_b32_e32 v4, v2
	;; [unrolled: 1-line block ×13, first 2 shown]
	s_and_saveexec_b64 s[10:11], vcc
	s_cbranch_execz .LBB1297_5
; %bb.4:
	v_lshlrev_b32_e32 v1, 3, v0
	global_load_dwordx2 v[4:5], v1, s[4:5]
	v_mov_b32_e32 v6, v2
	v_mov_b32_e32 v7, v2
	;; [unrolled: 1-line block ×12, first 2 shown]
	s_waitcnt vmcnt(0)
	v_mov_b64_e32 v[2:3], v[4:5]
	v_mov_b64_e32 v[4:5], v[6:7]
	;; [unrolled: 1-line block ×8, first 2 shown]
.LBB1297_5:
	s_or_b64 exec, exec, s[10:11]
	v_or_b32_e32 v1, 0x200, v0
	v_cmp_gt_u32_e32 vcc, s3, v1
	s_and_saveexec_b64 s[10:11], vcc
	s_cbranch_execz .LBB1297_7
; %bb.6:
	v_lshlrev_b32_e32 v1, 3, v1
	global_load_dwordx2 v[4:5], v1, s[4:5]
.LBB1297_7:
	s_or_b64 exec, exec, s[10:11]
	v_or_b32_e32 v1, 0x400, v0
	v_cmp_gt_u32_e32 vcc, s3, v1
	s_and_saveexec_b64 s[10:11], vcc
	s_cbranch_execz .LBB1297_9
; %bb.8:
	v_lshlrev_b32_e32 v1, 3, v1
	global_load_dwordx2 v[6:7], v1, s[4:5]
.LBB1297_9:
	;; [unrolled: 9-line block ×6, first 2 shown]
	s_or_b64 exec, exec, s[10:11]
	v_lshlrev_b32_e32 v1, 3, v0
	s_waitcnt vmcnt(0)
	ds_write2st64_b64 v1, v[2:3], v[4:5] offset1:8
	ds_write2st64_b64 v1, v[6:7], v[8:9] offset0:16 offset1:24
	ds_write2st64_b64 v1, v[10:11], v[12:13] offset0:32 offset1:40
	ds_write_b64 v1, v[14:15] offset:24576
	s_waitcnt lgkmcnt(0)
	s_barrier
.LBB1297_18:
	v_mul_u32_u24_e32 v1, 7, v0
	v_lshlrev_b32_e32 v24, 3, v1
	s_waitcnt lgkmcnt(0)
	ds_read2_b64 v[10:13], v24 offset1:1
	ds_read2_b64 v[6:9], v24 offset0:2 offset1:3
	ds_read2_b64 v[2:5], v24 offset0:4 offset1:5
	ds_read_b64 v[14:15], v24 offset:48
	s_cmp_lg_u32 s2, 0
	s_cselect_b64 s[16:17], -1, 0
	s_cmp_lg_u64 s[6:7], 0
	s_cselect_b64 s[6:7], -1, 0
	s_or_b64 s[6:7], s[16:17], s[6:7]
	s_mov_b64 s[10:11], 0
	s_and_b64 vcc, exec, s[6:7]
	v_cmp_gt_i64_e64 s[12:13], s[30:31], 0
	s_waitcnt lgkmcnt(0)
	s_barrier
	s_cbranch_vccz .LBB1297_34
; %bb.19:
	s_add_u32 s4, s4, -8
	s_addc_u32 s5, s5, -1
	s_load_dwordx2 s[10:11], s[4:5], 0x0
	v_cndmask_b32_e64 v16, 0, 1, s[12:13]
	v_lshlrev_b32_e32 v25, 3, v0
	s_mov_b64 s[6:7], 0
	s_and_b64 vcc, exec, s[34:35]
	v_cmp_ne_u32_e64 s[4:5], 1, v16
	ds_write_b64 v25, v[14:15]
	s_cbranch_vccz .LBB1297_36
; %bb.20:
	s_and_b64 vcc, exec, s[4:5]
	s_cbranch_vccnz .LBB1297_37
; %bb.21:
	v_mul_lo_u32 v19, v5, s30
	v_mul_lo_u32 v20, v4, s31
	v_mad_u64_u32 v[16:17], s[6:7], v4, s30, 0
	v_add3_u32 v17, v17, v20, v19
	v_mul_lo_u32 v19, v15, s30
	v_mul_lo_u32 v22, v14, s31
	v_mad_u64_u32 v[20:21], s[6:7], v14, s30, 0
	s_add_u32 s14, s30, -1
	v_lshl_add_u64 v[16:17], v[16:17], 1, s[20:21]
	v_add3_u32 v21, v21, v22, v19
	s_addc_u32 s15, s31, -1
	v_lshl_add_u64 v[20:21], v[20:21], 1, s[20:21]
	s_mov_b64 s[18:19], 0
	s_mov_b64 s[36:37], s[14:15]
	v_mov_b64_e32 v[22:23], v[16:17]
                                        ; implicit-def: $sgpr12_sgpr13
.LBB1297_22:                            ; =>This Inner Loop Header: Depth=1
	global_load_ushort v19, v[22:23], off
	global_load_ushort v26, v[20:21], off
	s_add_u32 s6, s36, -1
	s_addc_u32 s7, s37, -1
	s_cmp_eq_u64 s[36:37], 0
	s_mov_b64 s[36:37], s[6:7]
	s_cselect_b64 s[38:39], -1, 0
	v_lshl_add_u64 v[22:23], v[22:23], 0, 2
	v_lshl_add_u64 v[20:21], v[20:21], 0, 2
	s_waitcnt vmcnt(0)
	v_cmp_neq_f16_e64 s[6:7], v19, v26
	s_or_b64 s[6:7], s[6:7], s[38:39]
	s_and_b64 s[6:7], exec, s[6:7]
	v_cmp_eq_f16_e32 vcc, v19, v26
	s_or_b64 s[18:19], s[6:7], s[18:19]
	s_andn2_b64 s[6:7], s[12:13], exec
	s_and_b64 s[12:13], vcc, exec
	s_or_b64 s[12:13], s[6:7], s[12:13]
	s_andn2_b64 exec, exec, s[18:19]
	s_cbranch_execnz .LBB1297_22
; %bb.23:
	s_or_b64 exec, exec, s[18:19]
	v_mul_lo_u32 v19, v3, s30
	v_mul_lo_u32 v22, v2, s31
	v_mad_u64_u32 v[20:21], s[6:7], v2, s30, 0
	v_add3_u32 v21, v21, v22, v19
	v_lshl_add_u64 v[20:21], v[20:21], 1, s[20:21]
	s_mov_b64 s[36:37], 0
	s_mov_b64 s[38:39], s[14:15]
	v_mov_b64_e32 v[22:23], v[20:21]
                                        ; implicit-def: $sgpr18_sgpr19
.LBB1297_24:                            ; =>This Inner Loop Header: Depth=1
	global_load_ushort v19, v[22:23], off
	global_load_ushort v26, v[16:17], off
	s_add_u32 s6, s38, -1
	s_addc_u32 s7, s39, -1
	s_cmp_eq_u64 s[38:39], 0
	s_mov_b64 s[38:39], s[6:7]
	s_cselect_b64 s[40:41], -1, 0
	v_lshl_add_u64 v[22:23], v[22:23], 0, 2
	v_lshl_add_u64 v[16:17], v[16:17], 0, 2
	s_waitcnt vmcnt(0)
	v_cmp_neq_f16_e64 s[6:7], v19, v26
	s_or_b64 s[6:7], s[6:7], s[40:41]
	s_and_b64 s[6:7], exec, s[6:7]
	v_cmp_eq_f16_e32 vcc, v19, v26
	s_or_b64 s[36:37], s[6:7], s[36:37]
	s_andn2_b64 s[6:7], s[18:19], exec
	s_and_b64 s[18:19], vcc, exec
	s_or_b64 s[18:19], s[6:7], s[18:19]
	s_andn2_b64 exec, exec, s[36:37]
	s_cbranch_execnz .LBB1297_24
; %bb.25:
	s_or_b64 exec, exec, s[36:37]
	v_mul_lo_u32 v19, v9, s30
	v_mul_lo_u32 v22, v8, s31
	v_mad_u64_u32 v[16:17], s[6:7], v8, s30, 0
	v_add3_u32 v17, v17, v22, v19
	v_lshl_add_u64 v[16:17], v[16:17], 1, s[20:21]
	s_mov_b64 s[38:39], 0
	s_mov_b64 s[40:41], s[14:15]
	v_mov_b64_e32 v[22:23], v[16:17]
                                        ; implicit-def: $sgpr36_sgpr37
.LBB1297_26:                            ; =>This Inner Loop Header: Depth=1
	global_load_ushort v19, v[22:23], off
	global_load_ushort v26, v[20:21], off
	s_add_u32 s6, s40, -1
	s_addc_u32 s7, s41, -1
	s_cmp_eq_u64 s[40:41], 0
	s_mov_b64 s[40:41], s[6:7]
	s_cselect_b64 s[42:43], -1, 0
	v_lshl_add_u64 v[22:23], v[22:23], 0, 2
	v_lshl_add_u64 v[20:21], v[20:21], 0, 2
	s_waitcnt vmcnt(0)
	v_cmp_neq_f16_e64 s[6:7], v19, v26
	s_or_b64 s[6:7], s[6:7], s[42:43]
	s_and_b64 s[6:7], exec, s[6:7]
	v_cmp_eq_f16_e32 vcc, v19, v26
	s_or_b64 s[38:39], s[6:7], s[38:39]
	s_andn2_b64 s[6:7], s[36:37], exec
	s_and_b64 s[36:37], vcc, exec
	s_or_b64 s[36:37], s[6:7], s[36:37]
	s_andn2_b64 exec, exec, s[38:39]
	s_cbranch_execnz .LBB1297_26
; %bb.27:
	s_or_b64 exec, exec, s[38:39]
	v_mul_lo_u32 v19, v7, s30
	v_mul_lo_u32 v22, v6, s31
	v_mad_u64_u32 v[20:21], s[6:7], v6, s30, 0
	v_add3_u32 v21, v21, v22, v19
	v_lshl_add_u64 v[20:21], v[20:21], 1, s[20:21]
	s_mov_b64 s[40:41], 0
	s_mov_b64 s[42:43], s[14:15]
	v_mov_b64_e32 v[22:23], v[20:21]
                                        ; implicit-def: $sgpr38_sgpr39
.LBB1297_28:                            ; =>This Inner Loop Header: Depth=1
	global_load_ushort v19, v[22:23], off
	global_load_ushort v26, v[16:17], off
	s_add_u32 s6, s42, -1
	s_addc_u32 s7, s43, -1
	s_cmp_eq_u64 s[42:43], 0
	s_mov_b64 s[42:43], s[6:7]
	s_cselect_b64 s[44:45], -1, 0
	v_lshl_add_u64 v[22:23], v[22:23], 0, 2
	v_lshl_add_u64 v[16:17], v[16:17], 0, 2
	s_waitcnt vmcnt(0)
	v_cmp_neq_f16_e64 s[6:7], v19, v26
	s_or_b64 s[6:7], s[6:7], s[44:45]
	s_and_b64 s[6:7], exec, s[6:7]
	v_cmp_eq_f16_e32 vcc, v19, v26
	s_or_b64 s[40:41], s[6:7], s[40:41]
	s_andn2_b64 s[6:7], s[38:39], exec
	s_and_b64 s[38:39], vcc, exec
	s_or_b64 s[38:39], s[6:7], s[38:39]
	s_andn2_b64 exec, exec, s[40:41]
	s_cbranch_execnz .LBB1297_28
; %bb.29:
	s_or_b64 exec, exec, s[40:41]
	v_mul_lo_u32 v19, v13, s30
	v_mul_lo_u32 v22, v12, s31
	v_mad_u64_u32 v[16:17], s[6:7], v12, s30, 0
	v_add3_u32 v17, v17, v22, v19
	v_lshl_add_u64 v[16:17], v[16:17], 1, s[20:21]
	s_mov_b64 s[42:43], 0
	s_mov_b64 s[44:45], s[14:15]
	v_mov_b64_e32 v[22:23], v[16:17]
                                        ; implicit-def: $sgpr40_sgpr41
.LBB1297_30:                            ; =>This Inner Loop Header: Depth=1
	global_load_ushort v19, v[22:23], off
	global_load_ushort v26, v[20:21], off
	s_add_u32 s6, s44, -1
	s_addc_u32 s7, s45, -1
	s_cmp_eq_u64 s[44:45], 0
	s_mov_b64 s[44:45], s[6:7]
	s_cselect_b64 s[46:47], -1, 0
	v_lshl_add_u64 v[22:23], v[22:23], 0, 2
	v_lshl_add_u64 v[20:21], v[20:21], 0, 2
	s_waitcnt vmcnt(0)
	v_cmp_neq_f16_e64 s[6:7], v19, v26
	s_or_b64 s[6:7], s[6:7], s[46:47]
	s_and_b64 s[6:7], exec, s[6:7]
	v_cmp_eq_f16_e32 vcc, v19, v26
	s_or_b64 s[42:43], s[6:7], s[42:43]
	s_andn2_b64 s[6:7], s[40:41], exec
	s_and_b64 s[40:41], vcc, exec
	s_or_b64 s[40:41], s[6:7], s[40:41]
	s_andn2_b64 exec, exec, s[42:43]
	s_cbranch_execnz .LBB1297_30
; %bb.31:
	s_or_b64 exec, exec, s[42:43]
	v_mul_lo_u32 v19, v11, s30
	v_mul_lo_u32 v22, v10, s31
	v_mad_u64_u32 v[20:21], s[6:7], v10, s30, 0
	v_add3_u32 v21, v21, v22, v19
	v_lshl_add_u64 v[20:21], v[20:21], 1, s[20:21]
	s_mov_b64 s[44:45], 0
                                        ; implicit-def: $sgpr42_sgpr43
.LBB1297_32:                            ; =>This Inner Loop Header: Depth=1
	global_load_ushort v19, v[20:21], off
	global_load_ushort v22, v[16:17], off
	s_add_u32 s6, s14, -1
	s_addc_u32 s7, s15, -1
	s_cmp_eq_u64 s[14:15], 0
	s_mov_b64 s[14:15], s[6:7]
	s_cselect_b64 s[46:47], -1, 0
	v_lshl_add_u64 v[20:21], v[20:21], 0, 2
	v_lshl_add_u64 v[16:17], v[16:17], 0, 2
	s_waitcnt vmcnt(0)
	v_cmp_neq_f16_e64 s[6:7], v19, v22
	s_or_b64 s[6:7], s[6:7], s[46:47]
	s_and_b64 s[6:7], exec, s[6:7]
	v_cmp_eq_f16_e32 vcc, v19, v22
	s_or_b64 s[44:45], s[6:7], s[44:45]
	s_andn2_b64 s[6:7], s[42:43], exec
	s_and_b64 s[42:43], vcc, exec
	s_or_b64 s[42:43], s[6:7], s[42:43]
	s_andn2_b64 exec, exec, s[44:45]
	s_cbranch_execnz .LBB1297_32
; %bb.33:
	s_or_b64 exec, exec, s[44:45]
	s_xor_b64 s[6:7], s[18:19], -1
	v_cndmask_b32_e64 v40, 0, 1, s[6:7]
	s_xor_b64 s[6:7], s[38:39], -1
	v_cndmask_b32_e64 v16, 0, 1, s[6:7]
	v_lshlrev_b16_e32 v16, 8, v16
	s_xor_b64 s[6:7], s[12:13], -1
	v_lshrrev_b32_e32 v16, 8, v16
	v_mov_b32_e32 v20, 1
	s_xor_b64 s[12:13], s[40:41], -1
	v_cndmask_b32_e64 v19, 0, 1, s[6:7]
	s_xor_b64 s[6:7], s[36:37], -1
	v_and_b32_sdwa v16, v16, v20 dst_sel:BYTE_1 dst_unused:UNUSED_PAD src0_sel:DWORD src1_sel:DWORD
	v_cndmask_b32_e64 v20, 0, 1, s[12:13]
	v_cndmask_b32_e64 v17, 0, 1, s[6:7]
	s_xor_b64 s[6:7], s[42:43], -1
	v_or_b32_sdwa v22, v20, v16 dst_sel:WORD_1 dst_unused:UNUSED_PAD src0_sel:DWORD src1_sel:DWORD
	s_branch .LBB1297_38
.LBB1297_34:
                                        ; implicit-def: $sgpr6_sgpr7
                                        ; implicit-def: $vgpr19
                                        ; implicit-def: $vgpr40
                                        ; implicit-def: $vgpr17
                                        ; implicit-def: $vgpr21
	s_branch .LBB1297_91
.LBB1297_35:
                                        ; implicit-def: $vgpr42
                                        ; implicit-def: $vgpr41
                                        ; implicit-def: $vgpr20
	s_branch .LBB1297_160
.LBB1297_36:
                                        ; implicit-def: $sgpr6_sgpr7
                                        ; implicit-def: $vgpr19
                                        ; implicit-def: $vgpr40
                                        ; implicit-def: $vgpr17
                                        ; implicit-def: $vgpr21
	s_cbranch_execnz .LBB1297_45
	s_branch .LBB1297_90
.LBB1297_37:
	v_mov_b32_e32 v22, 0
	v_mov_b32_e32 v19, 0
	;; [unrolled: 1-line block ×4, first 2 shown]
.LBB1297_38:
	v_cmp_ne_u32_e32 vcc, 0, v0
	s_waitcnt lgkmcnt(0)
	v_mov_b64_e32 v[20:21], s[10:11]
	s_barrier
	s_and_saveexec_b64 s[12:13], vcc
; %bb.39:
	v_add_u32_e32 v16, -8, v25
	ds_read_b64 v[20:21], v16
; %bb.40:
	s_or_b64 exec, exec, s[12:13]
	v_cndmask_b32_e64 v23, 0, 1, s[6:7]
	v_lshrrev_b32_e32 v16, 16, v22
	s_mov_b32 s6, 0xc0c0304
	v_perm_b32 v16, v16, v22, s6
	v_lshlrev_b16_e32 v23, 8, v23
	s_movk_i32 s6, 0xff
	v_bitop3_b16 v22, v22, v23, s6 bitop3:0xec
	v_and_b32_e32 v26, 0xffff, v22
	s_mov_b64 s[12:13], 0
	s_and_b64 vcc, exec, s[4:5]
	s_mov_b64 s[6:7], 0
	s_cbranch_vccnz .LBB1297_44
; %bb.41:
	s_waitcnt lgkmcnt(0)
	v_mul_lo_u32 v22, v21, s30
	v_mul_lo_u32 v23, v20, s31
	v_mad_u64_u32 v[20:21], s[6:7], v20, s30, 0
	v_add3_u32 v21, v21, v23, v22
	v_mul_lo_u32 v27, v11, s30
	v_mul_lo_u32 v28, v10, s31
	v_mad_u64_u32 v[22:23], s[6:7], v10, s30, 0
	v_add3_u32 v23, v23, v28, v27
	s_add_u32 s36, s30, -1
	v_lshl_add_u64 v[20:21], v[20:21], 1, s[20:21]
	v_lshl_add_u64 v[22:23], v[22:23], 1, s[20:21]
	s_addc_u32 s37, s31, -1
	s_mov_b64 s[14:15], 0
                                        ; implicit-def: $sgpr18_sgpr19
.LBB1297_42:                            ; =>This Inner Loop Header: Depth=1
	global_load_ushort v27, v[20:21], off
	global_load_ushort v28, v[22:23], off
	s_add_u32 s6, s36, -1
	s_addc_u32 s7, s37, -1
	s_cmp_eq_u64 s[36:37], 0
	s_mov_b64 s[36:37], s[6:7]
	s_cselect_b64 s[38:39], -1, 0
	v_lshl_add_u64 v[20:21], v[20:21], 0, 2
	v_lshl_add_u64 v[22:23], v[22:23], 0, 2
	s_waitcnt vmcnt(0)
	v_cmp_neq_f16_e64 s[6:7], v27, v28
	s_or_b64 s[6:7], s[6:7], s[38:39]
	s_and_b64 s[6:7], exec, s[6:7]
	v_cmp_eq_f16_e32 vcc, v27, v28
	s_or_b64 s[14:15], s[6:7], s[14:15]
	s_andn2_b64 s[6:7], s[18:19], exec
	s_and_b64 s[18:19], vcc, exec
	s_or_b64 s[18:19], s[6:7], s[18:19]
	s_andn2_b64 exec, exec, s[14:15]
	s_cbranch_execnz .LBB1297_42
; %bb.43:
	s_or_b64 exec, exec, s[14:15]
	s_xor_b64 s[6:7], s[18:19], -1
.LBB1297_44:
	s_waitcnt lgkmcnt(0)
	v_lshl_or_b32 v21, v16, 16, v26
	s_and_b64 vcc, exec, s[12:13]
	s_cbranch_vccz .LBB1297_90
.LBB1297_45:
	v_add_u32_e32 v16, 6, v1
	v_cmp_gt_u32_e32 vcc, s3, v16
	s_mov_b64 s[14:15], 0
	s_mov_b64 s[12:13], 0
	s_and_saveexec_b64 s[18:19], vcc
	s_cbranch_execz .LBB1297_51
; %bb.46:
	s_and_b64 vcc, exec, s[4:5]
	s_mov_b64 s[6:7], 0
	s_cbranch_vccnz .LBB1297_50
; %bb.47:
	v_mul_lo_u32 v19, v5, s30
	v_mul_lo_u32 v20, v4, s31
	v_mad_u64_u32 v[16:17], s[6:7], v4, s30, 0
	v_add3_u32 v17, v17, v20, v19
	v_mul_lo_u32 v19, v15, s30
	v_mul_lo_u32 v22, v14, s31
	v_mad_u64_u32 v[20:21], s[6:7], v14, s30, 0
	v_add3_u32 v21, v21, v22, v19
	s_add_u32 s38, s30, -1
	v_lshl_add_u64 v[16:17], v[16:17], 1, s[20:21]
	v_lshl_add_u64 v[20:21], v[20:21], 1, s[20:21]
	s_addc_u32 s39, s31, -1
                                        ; implicit-def: $sgpr36_sgpr37
.LBB1297_48:                            ; =>This Inner Loop Header: Depth=1
	global_load_ushort v19, v[16:17], off
	global_load_ushort v22, v[20:21], off
	s_add_u32 s6, s38, -1
	s_addc_u32 s7, s39, -1
	s_cmp_eq_u64 s[38:39], 0
	s_mov_b64 s[38:39], s[6:7]
	s_cselect_b64 s[40:41], -1, 0
	v_lshl_add_u64 v[16:17], v[16:17], 0, 2
	v_lshl_add_u64 v[20:21], v[20:21], 0, 2
	s_waitcnt vmcnt(0)
	v_cmp_neq_f16_e64 s[6:7], v19, v22
	s_or_b64 s[6:7], s[6:7], s[40:41]
	s_and_b64 s[6:7], exec, s[6:7]
	v_cmp_eq_f16_e32 vcc, v19, v22
	s_or_b64 s[12:13], s[6:7], s[12:13]
	s_andn2_b64 s[6:7], s[36:37], exec
	s_and_b64 s[36:37], vcc, exec
	s_or_b64 s[36:37], s[6:7], s[36:37]
	s_andn2_b64 exec, exec, s[12:13]
	s_cbranch_execnz .LBB1297_48
; %bb.49:
	s_or_b64 exec, exec, s[12:13]
	s_xor_b64 s[6:7], s[36:37], -1
.LBB1297_50:
	s_and_b64 s[12:13], s[6:7], exec
.LBB1297_51:
	s_or_b64 exec, exec, s[18:19]
	v_add_u32_e32 v16, 5, v1
	v_cmp_gt_u32_e32 vcc, s3, v16
	s_and_saveexec_b64 s[18:19], vcc
	s_cbranch_execz .LBB1297_57
; %bb.52:
	s_and_b64 vcc, exec, s[4:5]
	s_mov_b64 s[6:7], 0
	s_cbranch_vccnz .LBB1297_56
; %bb.53:
	v_mul_lo_u32 v19, v3, s30
	v_mul_lo_u32 v20, v2, s31
	v_mad_u64_u32 v[16:17], s[6:7], v2, s30, 0
	v_add3_u32 v17, v17, v20, v19
	v_mul_lo_u32 v19, v5, s30
	v_mul_lo_u32 v22, v4, s31
	v_mad_u64_u32 v[20:21], s[6:7], v4, s30, 0
	v_add3_u32 v21, v21, v22, v19
	s_add_u32 s38, s30, -1
	v_lshl_add_u64 v[16:17], v[16:17], 1, s[20:21]
	v_lshl_add_u64 v[20:21], v[20:21], 1, s[20:21]
	s_addc_u32 s39, s31, -1
	s_mov_b64 s[14:15], 0
                                        ; implicit-def: $sgpr36_sgpr37
.LBB1297_54:                            ; =>This Inner Loop Header: Depth=1
	global_load_ushort v19, v[16:17], off
	global_load_ushort v22, v[20:21], off
	s_add_u32 s6, s38, -1
	s_addc_u32 s7, s39, -1
	s_cmp_eq_u64 s[38:39], 0
	s_mov_b64 s[38:39], s[6:7]
	s_cselect_b64 s[40:41], -1, 0
	v_lshl_add_u64 v[16:17], v[16:17], 0, 2
	v_lshl_add_u64 v[20:21], v[20:21], 0, 2
	s_waitcnt vmcnt(0)
	v_cmp_neq_f16_e64 s[6:7], v19, v22
	s_or_b64 s[6:7], s[6:7], s[40:41]
	s_and_b64 s[6:7], exec, s[6:7]
	v_cmp_eq_f16_e32 vcc, v19, v22
	s_or_b64 s[14:15], s[6:7], s[14:15]
	s_andn2_b64 s[6:7], s[36:37], exec
	s_and_b64 s[36:37], vcc, exec
	s_or_b64 s[36:37], s[6:7], s[36:37]
	s_andn2_b64 exec, exec, s[14:15]
	s_cbranch_execnz .LBB1297_54
; %bb.55:
	s_or_b64 exec, exec, s[14:15]
	s_xor_b64 s[6:7], s[36:37], -1
.LBB1297_56:
	s_and_b64 s[14:15], s[6:7], exec
.LBB1297_57:
	s_or_b64 exec, exec, s[18:19]
	v_add_u32_e32 v16, 4, v1
	v_cmp_gt_u32_e32 vcc, s3, v16
	s_mov_b64 s[36:37], 0
	s_mov_b64 s[18:19], 0
	s_and_saveexec_b64 s[38:39], vcc
	s_cbranch_execz .LBB1297_63
; %bb.58:
	s_and_b64 vcc, exec, s[4:5]
	s_mov_b64 s[6:7], 0
	s_cbranch_vccnz .LBB1297_62
; %bb.59:
	v_mul_lo_u32 v19, v9, s30
	v_mul_lo_u32 v20, v8, s31
	v_mad_u64_u32 v[16:17], s[6:7], v8, s30, 0
	v_add3_u32 v17, v17, v20, v19
	v_mul_lo_u32 v19, v3, s30
	v_mul_lo_u32 v22, v2, s31
	v_mad_u64_u32 v[20:21], s[6:7], v2, s30, 0
	v_add3_u32 v21, v21, v22, v19
	s_add_u32 s42, s30, -1
	v_lshl_add_u64 v[16:17], v[16:17], 1, s[20:21]
	v_lshl_add_u64 v[20:21], v[20:21], 1, s[20:21]
	s_addc_u32 s43, s31, -1
                                        ; implicit-def: $sgpr40_sgpr41
.LBB1297_60:                            ; =>This Inner Loop Header: Depth=1
	global_load_ushort v19, v[16:17], off
	global_load_ushort v22, v[20:21], off
	s_add_u32 s6, s42, -1
	s_addc_u32 s7, s43, -1
	s_cmp_eq_u64 s[42:43], 0
	s_mov_b64 s[42:43], s[6:7]
	s_cselect_b64 s[44:45], -1, 0
	v_lshl_add_u64 v[16:17], v[16:17], 0, 2
	v_lshl_add_u64 v[20:21], v[20:21], 0, 2
	s_waitcnt vmcnt(0)
	v_cmp_neq_f16_e64 s[6:7], v19, v22
	s_or_b64 s[6:7], s[6:7], s[44:45]
	s_and_b64 s[6:7], exec, s[6:7]
	v_cmp_eq_f16_e32 vcc, v19, v22
	s_or_b64 s[18:19], s[6:7], s[18:19]
	s_andn2_b64 s[6:7], s[40:41], exec
	s_and_b64 s[40:41], vcc, exec
	s_or_b64 s[40:41], s[6:7], s[40:41]
	s_andn2_b64 exec, exec, s[18:19]
	s_cbranch_execnz .LBB1297_60
; %bb.61:
	s_or_b64 exec, exec, s[18:19]
	s_xor_b64 s[6:7], s[40:41], -1
.LBB1297_62:
	s_and_b64 s[18:19], s[6:7], exec
.LBB1297_63:
	s_or_b64 exec, exec, s[38:39]
	v_add_u32_e32 v16, 3, v1
	v_cmp_gt_u32_e32 vcc, s3, v16
	s_and_saveexec_b64 s[38:39], vcc
	s_cbranch_execz .LBB1297_69
; %bb.64:
	s_and_b64 vcc, exec, s[4:5]
	s_mov_b64 s[6:7], 0
	s_cbranch_vccnz .LBB1297_68
; %bb.65:
	v_mul_lo_u32 v19, v7, s30
	v_mul_lo_u32 v20, v6, s31
	v_mad_u64_u32 v[16:17], s[6:7], v6, s30, 0
	v_add3_u32 v17, v17, v20, v19
	v_mul_lo_u32 v19, v9, s30
	v_mul_lo_u32 v22, v8, s31
	v_mad_u64_u32 v[20:21], s[6:7], v8, s30, 0
	v_add3_u32 v21, v21, v22, v19
	s_add_u32 s42, s30, -1
	v_lshl_add_u64 v[16:17], v[16:17], 1, s[20:21]
	v_lshl_add_u64 v[20:21], v[20:21], 1, s[20:21]
	s_addc_u32 s43, s31, -1
	s_mov_b64 s[36:37], 0
                                        ; implicit-def: $sgpr40_sgpr41
.LBB1297_66:                            ; =>This Inner Loop Header: Depth=1
	global_load_ushort v19, v[16:17], off
	global_load_ushort v22, v[20:21], off
	s_add_u32 s6, s42, -1
	s_addc_u32 s7, s43, -1
	s_cmp_eq_u64 s[42:43], 0
	s_mov_b64 s[42:43], s[6:7]
	s_cselect_b64 s[44:45], -1, 0
	v_lshl_add_u64 v[16:17], v[16:17], 0, 2
	v_lshl_add_u64 v[20:21], v[20:21], 0, 2
	s_waitcnt vmcnt(0)
	v_cmp_neq_f16_e64 s[6:7], v19, v22
	s_or_b64 s[6:7], s[6:7], s[44:45]
	s_and_b64 s[6:7], exec, s[6:7]
	v_cmp_eq_f16_e32 vcc, v19, v22
	s_or_b64 s[36:37], s[6:7], s[36:37]
	s_andn2_b64 s[6:7], s[40:41], exec
	s_and_b64 s[40:41], vcc, exec
	s_or_b64 s[40:41], s[6:7], s[40:41]
	s_andn2_b64 exec, exec, s[36:37]
	s_cbranch_execnz .LBB1297_66
; %bb.67:
	s_or_b64 exec, exec, s[36:37]
	s_xor_b64 s[6:7], s[40:41], -1
.LBB1297_68:
	s_and_b64 s[36:37], s[6:7], exec
.LBB1297_69:
	s_or_b64 exec, exec, s[38:39]
	v_add_u32_e32 v16, 2, v1
	v_cmp_gt_u32_e32 vcc, s3, v16
	s_mov_b64 s[38:39], 0
	s_mov_b64 s[40:41], 0
	s_and_saveexec_b64 s[42:43], vcc
	s_cbranch_execz .LBB1297_75
; %bb.70:
	s_and_b64 vcc, exec, s[4:5]
	s_mov_b64 s[6:7], 0
	s_cbranch_vccnz .LBB1297_74
; %bb.71:
	v_mul_lo_u32 v19, v13, s30
	v_mul_lo_u32 v20, v12, s31
	v_mad_u64_u32 v[16:17], s[6:7], v12, s30, 0
	v_add3_u32 v17, v17, v20, v19
	v_mul_lo_u32 v19, v7, s30
	v_mul_lo_u32 v22, v6, s31
	v_mad_u64_u32 v[20:21], s[6:7], v6, s30, 0
	v_add3_u32 v21, v21, v22, v19
	s_add_u32 s46, s30, -1
	v_lshl_add_u64 v[16:17], v[16:17], 1, s[20:21]
	v_lshl_add_u64 v[20:21], v[20:21], 1, s[20:21]
	s_addc_u32 s47, s31, -1
                                        ; implicit-def: $sgpr44_sgpr45
.LBB1297_72:                            ; =>This Inner Loop Header: Depth=1
	global_load_ushort v19, v[16:17], off
	global_load_ushort v22, v[20:21], off
	s_add_u32 s6, s46, -1
	s_addc_u32 s7, s47, -1
	s_cmp_eq_u64 s[46:47], 0
	s_mov_b64 s[46:47], s[6:7]
	s_cselect_b64 s[48:49], -1, 0
	v_lshl_add_u64 v[16:17], v[16:17], 0, 2
	v_lshl_add_u64 v[20:21], v[20:21], 0, 2
	s_waitcnt vmcnt(0)
	v_cmp_neq_f16_e64 s[6:7], v19, v22
	s_or_b64 s[6:7], s[6:7], s[48:49]
	s_and_b64 s[6:7], exec, s[6:7]
	v_cmp_eq_f16_e32 vcc, v19, v22
	s_or_b64 s[40:41], s[6:7], s[40:41]
	s_andn2_b64 s[6:7], s[44:45], exec
	s_and_b64 s[44:45], vcc, exec
	s_or_b64 s[44:45], s[6:7], s[44:45]
	s_andn2_b64 exec, exec, s[40:41]
	s_cbranch_execnz .LBB1297_72
; %bb.73:
	s_or_b64 exec, exec, s[40:41]
	s_xor_b64 s[6:7], s[44:45], -1
.LBB1297_74:
	s_and_b64 s[40:41], s[6:7], exec
.LBB1297_75:
	s_or_b64 exec, exec, s[42:43]
	v_add_u32_e32 v16, 1, v1
	v_cmp_gt_u32_e32 vcc, s3, v16
	s_and_saveexec_b64 s[42:43], vcc
	s_cbranch_execz .LBB1297_81
; %bb.76:
	s_and_b64 vcc, exec, s[4:5]
	s_mov_b64 s[6:7], 0
	s_cbranch_vccnz .LBB1297_80
; %bb.77:
	v_mul_lo_u32 v19, v11, s30
	v_mul_lo_u32 v20, v10, s31
	v_mad_u64_u32 v[16:17], s[6:7], v10, s30, 0
	v_add3_u32 v17, v17, v20, v19
	v_mul_lo_u32 v19, v13, s30
	v_mul_lo_u32 v22, v12, s31
	v_mad_u64_u32 v[20:21], s[6:7], v12, s30, 0
	v_add3_u32 v21, v21, v22, v19
	s_add_u32 s46, s30, -1
	v_lshl_add_u64 v[16:17], v[16:17], 1, s[20:21]
	v_lshl_add_u64 v[20:21], v[20:21], 1, s[20:21]
	s_addc_u32 s47, s31, -1
	s_mov_b64 s[38:39], 0
                                        ; implicit-def: $sgpr44_sgpr45
.LBB1297_78:                            ; =>This Inner Loop Header: Depth=1
	global_load_ushort v19, v[16:17], off
	global_load_ushort v22, v[20:21], off
	s_add_u32 s6, s46, -1
	s_addc_u32 s7, s47, -1
	s_cmp_eq_u64 s[46:47], 0
	s_mov_b64 s[46:47], s[6:7]
	s_cselect_b64 s[48:49], -1, 0
	v_lshl_add_u64 v[16:17], v[16:17], 0, 2
	v_lshl_add_u64 v[20:21], v[20:21], 0, 2
	s_waitcnt vmcnt(0)
	v_cmp_neq_f16_e64 s[6:7], v19, v22
	s_or_b64 s[6:7], s[6:7], s[48:49]
	s_and_b64 s[6:7], exec, s[6:7]
	v_cmp_eq_f16_e32 vcc, v19, v22
	s_or_b64 s[38:39], s[6:7], s[38:39]
	s_andn2_b64 s[6:7], s[44:45], exec
	s_and_b64 s[44:45], vcc, exec
	s_or_b64 s[44:45], s[6:7], s[44:45]
	s_andn2_b64 exec, exec, s[38:39]
	s_cbranch_execnz .LBB1297_78
; %bb.79:
	s_or_b64 exec, exec, s[38:39]
	s_xor_b64 s[6:7], s[44:45], -1
.LBB1297_80:
	s_and_b64 s[38:39], s[6:7], exec
.LBB1297_81:
	s_or_b64 exec, exec, s[42:43]
	v_cmp_ne_u32_e32 vcc, 0, v0
	s_waitcnt lgkmcnt(0)
	v_mov_b64_e32 v[16:17], s[10:11]
	s_barrier
	s_and_saveexec_b64 s[6:7], vcc
; %bb.82:
	v_add_u32_e32 v16, -8, v25
	ds_read_b64 v[16:17], v16
; %bb.83:
	s_or_b64 exec, exec, s[6:7]
	v_cndmask_b32_e64 v20, 0, 1, s[36:37]
	v_cndmask_b32_e64 v19, 0, 1, s[40:41]
	;; [unrolled: 1-line block ×3, first 2 shown]
	v_lshlrev_b16_e32 v20, 8, v20
	v_cmp_gt_u32_e32 vcc, s3, v1
	v_lshlrev_b16_e32 v22, 8, v21
	v_or_b32_sdwa v23, v19, v20 dst_sel:WORD_1 dst_unused:UNUSED_PAD src0_sel:DWORD src1_sel:DWORD
	s_mov_b64 s[6:7], 0
	s_and_saveexec_b64 s[10:11], vcc
	s_cbranch_execz .LBB1297_89
; %bb.84:
	s_and_b64 vcc, exec, s[4:5]
	s_mov_b64 s[4:5], 0
	s_cbranch_vccnz .LBB1297_88
; %bb.85:
	s_waitcnt lgkmcnt(0)
	v_mul_lo_u32 v19, v17, s30
	v_mul_lo_u32 v20, v16, s31
	v_mad_u64_u32 v[16:17], s[4:5], v16, s30, 0
	v_add3_u32 v17, v17, v20, v19
	v_mul_lo_u32 v19, v11, s30
	v_mul_lo_u32 v25, v10, s31
	v_mad_u64_u32 v[20:21], s[4:5], v10, s30, 0
	v_add3_u32 v21, v21, v25, v19
	s_add_u32 s38, s30, -1
	v_lshl_add_u64 v[16:17], v[16:17], 1, s[20:21]
	v_lshl_add_u64 v[20:21], v[20:21], 1, s[20:21]
	s_addc_u32 s39, s31, -1
                                        ; implicit-def: $sgpr36_sgpr37
.LBB1297_86:                            ; =>This Inner Loop Header: Depth=1
	global_load_ushort v19, v[16:17], off
	global_load_ushort v25, v[20:21], off
	s_add_u32 s4, s38, -1
	s_addc_u32 s5, s39, -1
	s_cmp_eq_u64 s[38:39], 0
	s_mov_b64 s[38:39], s[4:5]
	s_cselect_b64 s[40:41], -1, 0
	v_lshl_add_u64 v[16:17], v[16:17], 0, 2
	v_lshl_add_u64 v[20:21], v[20:21], 0, 2
	s_waitcnt vmcnt(0)
	v_cmp_neq_f16_e64 s[4:5], v19, v25
	s_or_b64 s[4:5], s[4:5], s[40:41]
	s_and_b64 s[4:5], exec, s[4:5]
	v_cmp_eq_f16_e32 vcc, v19, v25
	s_or_b64 s[6:7], s[4:5], s[6:7]
	s_andn2_b64 s[4:5], s[36:37], exec
	s_and_b64 s[36:37], vcc, exec
	s_or_b64 s[36:37], s[4:5], s[36:37]
	s_andn2_b64 exec, exec, s[6:7]
	s_cbranch_execnz .LBB1297_86
; %bb.87:
	s_or_b64 exec, exec, s[6:7]
	s_xor_b64 s[4:5], s[36:37], -1
.LBB1297_88:
	s_and_b64 s[6:7], s[4:5], exec
.LBB1297_89:
	s_or_b64 exec, exec, s[10:11]
	s_waitcnt lgkmcnt(0)
	v_cndmask_b32_e64 v17, 0, 1, s[18:19]
	v_cndmask_b32_e64 v40, 0, 1, s[14:15]
	;; [unrolled: 1-line block ×3, first 2 shown]
	v_or_b32_e32 v21, v22, v23
.LBB1297_90:
	s_waitcnt lgkmcnt(0)
	s_mov_b64 s[10:11], -1
	s_cbranch_execnz .LBB1297_35
.LBB1297_91:
	s_movk_i32 s4, 0xffd0
	v_mad_i32_i24 v26, v0, s4, v24
	s_mov_b64 s[6:7], 0
	v_cmp_gt_i64_e64 s[12:13], s[30:31], 0
	s_and_b64 vcc, exec, s[34:35]
	ds_write_b64 v26, v[14:15]
	s_cbranch_vccz .LBB1297_106
; %bb.92:
	v_cndmask_b32_e64 v16, 0, 1, s[12:13]
	v_cmp_ne_u32_e64 s[4:5], 1, v16
	s_andn2_b64 vcc, exec, s[12:13]
	s_cbranch_vccnz .LBB1297_107
; %bb.93:
	v_mul_lo_u32 v19, v5, s30
	v_mul_lo_u32 v20, v4, s31
	v_mad_u64_u32 v[16:17], s[6:7], v4, s30, 0
	v_add3_u32 v17, v17, v20, v19
	v_mul_lo_u32 v19, v15, s30
	v_mul_lo_u32 v22, v14, s31
	v_mad_u64_u32 v[20:21], s[6:7], v14, s30, 0
	s_add_u32 s18, s30, -1
	v_lshl_add_u64 v[16:17], v[16:17], 1, s[20:21]
	v_add3_u32 v21, v21, v22, v19
	s_addc_u32 s19, s31, -1
	v_lshl_add_u64 v[20:21], v[20:21], 1, s[20:21]
	s_mov_b64 s[36:37], 0
	s_mov_b64 s[38:39], s[18:19]
	v_mov_b64_e32 v[22:23], v[16:17]
                                        ; implicit-def: $sgpr14_sgpr15
.LBB1297_94:                            ; =>This Inner Loop Header: Depth=1
	global_load_ushort v19, v[22:23], off
	global_load_ushort v24, v[20:21], off
	s_add_u32 s6, s38, -1
	s_addc_u32 s7, s39, -1
	s_cmp_eq_u64 s[38:39], 0
	s_mov_b64 s[38:39], s[6:7]
	s_cselect_b64 s[40:41], -1, 0
	v_lshl_add_u64 v[22:23], v[22:23], 0, 2
	v_lshl_add_u64 v[20:21], v[20:21], 0, 2
	s_waitcnt vmcnt(0)
	v_cmp_neq_f16_e64 s[6:7], v19, v24
	s_or_b64 s[6:7], s[6:7], s[40:41]
	s_and_b64 s[6:7], exec, s[6:7]
	v_cmp_eq_f16_e32 vcc, v19, v24
	s_or_b64 s[36:37], s[6:7], s[36:37]
	s_andn2_b64 s[6:7], s[14:15], exec
	s_and_b64 s[14:15], vcc, exec
	s_or_b64 s[14:15], s[6:7], s[14:15]
	s_andn2_b64 exec, exec, s[36:37]
	s_cbranch_execnz .LBB1297_94
; %bb.95:
	s_or_b64 exec, exec, s[36:37]
	v_mul_lo_u32 v19, v3, s30
	v_mul_lo_u32 v22, v2, s31
	v_mad_u64_u32 v[20:21], s[6:7], v2, s30, 0
	v_add3_u32 v21, v21, v22, v19
	v_lshl_add_u64 v[20:21], v[20:21], 1, s[20:21]
	s_mov_b64 s[38:39], 0
	s_mov_b64 s[40:41], s[18:19]
	v_mov_b64_e32 v[22:23], v[20:21]
                                        ; implicit-def: $sgpr36_sgpr37
.LBB1297_96:                            ; =>This Inner Loop Header: Depth=1
	global_load_ushort v19, v[22:23], off
	global_load_ushort v24, v[16:17], off
	s_add_u32 s6, s40, -1
	s_addc_u32 s7, s41, -1
	s_cmp_eq_u64 s[40:41], 0
	s_mov_b64 s[40:41], s[6:7]
	s_cselect_b64 s[42:43], -1, 0
	v_lshl_add_u64 v[22:23], v[22:23], 0, 2
	v_lshl_add_u64 v[16:17], v[16:17], 0, 2
	s_waitcnt vmcnt(0)
	v_cmp_neq_f16_e64 s[6:7], v19, v24
	s_or_b64 s[6:7], s[6:7], s[42:43]
	s_and_b64 s[6:7], exec, s[6:7]
	v_cmp_eq_f16_e32 vcc, v19, v24
	s_or_b64 s[38:39], s[6:7], s[38:39]
	s_andn2_b64 s[6:7], s[36:37], exec
	s_and_b64 s[36:37], vcc, exec
	s_or_b64 s[36:37], s[6:7], s[36:37]
	s_andn2_b64 exec, exec, s[38:39]
	s_cbranch_execnz .LBB1297_96
; %bb.97:
	s_or_b64 exec, exec, s[38:39]
	v_mul_lo_u32 v19, v9, s30
	v_mul_lo_u32 v22, v8, s31
	v_mad_u64_u32 v[16:17], s[6:7], v8, s30, 0
	v_add3_u32 v17, v17, v22, v19
	v_lshl_add_u64 v[16:17], v[16:17], 1, s[20:21]
	s_mov_b64 s[40:41], 0
	s_mov_b64 s[42:43], s[18:19]
	v_mov_b64_e32 v[22:23], v[16:17]
                                        ; implicit-def: $sgpr38_sgpr39
.LBB1297_98:                            ; =>This Inner Loop Header: Depth=1
	global_load_ushort v19, v[22:23], off
	global_load_ushort v24, v[20:21], off
	s_add_u32 s6, s42, -1
	s_addc_u32 s7, s43, -1
	s_cmp_eq_u64 s[42:43], 0
	s_mov_b64 s[42:43], s[6:7]
	s_cselect_b64 s[44:45], -1, 0
	v_lshl_add_u64 v[22:23], v[22:23], 0, 2
	v_lshl_add_u64 v[20:21], v[20:21], 0, 2
	s_waitcnt vmcnt(0)
	v_cmp_neq_f16_e64 s[6:7], v19, v24
	s_or_b64 s[6:7], s[6:7], s[44:45]
	s_and_b64 s[6:7], exec, s[6:7]
	v_cmp_eq_f16_e32 vcc, v19, v24
	s_or_b64 s[40:41], s[6:7], s[40:41]
	s_andn2_b64 s[6:7], s[38:39], exec
	s_and_b64 s[38:39], vcc, exec
	s_or_b64 s[38:39], s[6:7], s[38:39]
	s_andn2_b64 exec, exec, s[40:41]
	s_cbranch_execnz .LBB1297_98
; %bb.99:
	s_or_b64 exec, exec, s[40:41]
	v_mul_lo_u32 v19, v7, s30
	v_mul_lo_u32 v22, v6, s31
	v_mad_u64_u32 v[20:21], s[6:7], v6, s30, 0
	v_add3_u32 v21, v21, v22, v19
	v_lshl_add_u64 v[20:21], v[20:21], 1, s[20:21]
	s_mov_b64 s[42:43], 0
	s_mov_b64 s[44:45], s[18:19]
	v_mov_b64_e32 v[22:23], v[20:21]
                                        ; implicit-def: $sgpr40_sgpr41
.LBB1297_100:                           ; =>This Inner Loop Header: Depth=1
	global_load_ushort v19, v[22:23], off
	global_load_ushort v24, v[16:17], off
	s_add_u32 s6, s44, -1
	s_addc_u32 s7, s45, -1
	s_cmp_eq_u64 s[44:45], 0
	s_mov_b64 s[44:45], s[6:7]
	s_cselect_b64 s[46:47], -1, 0
	v_lshl_add_u64 v[22:23], v[22:23], 0, 2
	v_lshl_add_u64 v[16:17], v[16:17], 0, 2
	s_waitcnt vmcnt(0)
	v_cmp_neq_f16_e64 s[6:7], v19, v24
	s_or_b64 s[6:7], s[6:7], s[46:47]
	s_and_b64 s[6:7], exec, s[6:7]
	v_cmp_eq_f16_e32 vcc, v19, v24
	s_or_b64 s[42:43], s[6:7], s[42:43]
	s_andn2_b64 s[6:7], s[40:41], exec
	s_and_b64 s[40:41], vcc, exec
	s_or_b64 s[40:41], s[6:7], s[40:41]
	s_andn2_b64 exec, exec, s[42:43]
	s_cbranch_execnz .LBB1297_100
; %bb.101:
	s_or_b64 exec, exec, s[42:43]
	v_mul_lo_u32 v19, v13, s30
	v_mul_lo_u32 v22, v12, s31
	v_mad_u64_u32 v[16:17], s[6:7], v12, s30, 0
	v_add3_u32 v17, v17, v22, v19
	v_lshl_add_u64 v[16:17], v[16:17], 1, s[20:21]
	s_mov_b64 s[44:45], 0
	s_mov_b64 s[46:47], s[18:19]
	v_mov_b64_e32 v[22:23], v[16:17]
                                        ; implicit-def: $sgpr42_sgpr43
.LBB1297_102:                           ; =>This Inner Loop Header: Depth=1
	global_load_ushort v19, v[22:23], off
	global_load_ushort v24, v[20:21], off
	s_add_u32 s6, s46, -1
	s_addc_u32 s7, s47, -1
	s_cmp_eq_u64 s[46:47], 0
	s_mov_b64 s[46:47], s[6:7]
	s_cselect_b64 s[48:49], -1, 0
	v_lshl_add_u64 v[22:23], v[22:23], 0, 2
	v_lshl_add_u64 v[20:21], v[20:21], 0, 2
	s_waitcnt vmcnt(0)
	v_cmp_neq_f16_e64 s[6:7], v19, v24
	s_or_b64 s[6:7], s[6:7], s[48:49]
	s_and_b64 s[6:7], exec, s[6:7]
	v_cmp_eq_f16_e32 vcc, v19, v24
	s_or_b64 s[44:45], s[6:7], s[44:45]
	s_andn2_b64 s[6:7], s[42:43], exec
	s_and_b64 s[42:43], vcc, exec
	s_or_b64 s[42:43], s[6:7], s[42:43]
	s_andn2_b64 exec, exec, s[44:45]
	s_cbranch_execnz .LBB1297_102
; %bb.103:
	s_or_b64 exec, exec, s[44:45]
	v_mul_lo_u32 v19, v11, s30
	v_mul_lo_u32 v22, v10, s31
	v_mad_u64_u32 v[20:21], s[6:7], v10, s30, 0
	v_add3_u32 v21, v21, v22, v19
	v_lshl_add_u64 v[20:21], v[20:21], 1, s[20:21]
	s_mov_b64 s[46:47], 0
                                        ; implicit-def: $sgpr44_sgpr45
.LBB1297_104:                           ; =>This Inner Loop Header: Depth=1
	global_load_ushort v19, v[20:21], off
	global_load_ushort v22, v[16:17], off
	s_add_u32 s6, s18, -1
	s_addc_u32 s7, s19, -1
	s_cmp_eq_u64 s[18:19], 0
	s_mov_b64 s[18:19], s[6:7]
	s_cselect_b64 s[48:49], -1, 0
	v_lshl_add_u64 v[20:21], v[20:21], 0, 2
	v_lshl_add_u64 v[16:17], v[16:17], 0, 2
	s_waitcnt vmcnt(0)
	v_cmp_neq_f16_e64 s[6:7], v19, v22
	s_or_b64 s[6:7], s[6:7], s[48:49]
	s_and_b64 s[6:7], exec, s[6:7]
	v_cmp_eq_f16_e32 vcc, v19, v22
	s_or_b64 s[46:47], s[6:7], s[46:47]
	s_andn2_b64 s[6:7], s[44:45], exec
	s_and_b64 s[44:45], vcc, exec
	s_or_b64 s[44:45], s[6:7], s[44:45]
	s_andn2_b64 exec, exec, s[46:47]
	s_cbranch_execnz .LBB1297_104
; %bb.105:
	s_or_b64 exec, exec, s[46:47]
	s_xor_b64 s[6:7], s[36:37], -1
	v_cndmask_b32_e64 v40, 0, 1, s[6:7]
	s_xor_b64 s[6:7], s[40:41], -1
	v_cndmask_b32_e64 v16, 0, 1, s[6:7]
	v_lshlrev_b16_e32 v16, 8, v16
	s_xor_b64 s[6:7], s[14:15], -1
	v_lshrrev_b32_e32 v16, 8, v16
	v_mov_b32_e32 v20, 1
	s_xor_b64 s[14:15], s[42:43], -1
	v_cndmask_b32_e64 v19, 0, 1, s[6:7]
	s_xor_b64 s[6:7], s[38:39], -1
	v_and_b32_sdwa v16, v16, v20 dst_sel:BYTE_1 dst_unused:UNUSED_PAD src0_sel:DWORD src1_sel:DWORD
	v_cndmask_b32_e64 v20, 0, 1, s[14:15]
	v_cndmask_b32_e64 v17, 0, 1, s[6:7]
	s_xor_b64 s[6:7], s[44:45], -1
	v_or_b32_sdwa v16, v20, v16 dst_sel:WORD_1 dst_unused:UNUSED_PAD src0_sel:DWORD src1_sel:DWORD
	s_branch .LBB1297_108
.LBB1297_106:
                                        ; implicit-def: $sgpr6_sgpr7
                                        ; implicit-def: $vgpr19
                                        ; implicit-def: $vgpr40
                                        ; implicit-def: $vgpr17
                                        ; implicit-def: $vgpr21
                                        ; implicit-def: $vgpr42
                                        ; implicit-def: $vgpr41
                                        ; implicit-def: $vgpr20
	s_cbranch_execnz .LBB1297_115
	s_branch .LBB1297_160
.LBB1297_107:
	v_mov_b32_e32 v16, 0
	v_mov_b32_e32 v19, 0
	;; [unrolled: 1-line block ×4, first 2 shown]
.LBB1297_108:
	v_lshrrev_b32_e32 v41, 16, v16
	v_lshrrev_b32_e32 v20, 24, v16
	v_cndmask_b32_e64 v42, 0, 1, s[6:7]
	v_mov_b32_e32 v16, 1
	v_cmp_ne_u32_e32 vcc, 0, v0
	s_waitcnt lgkmcnt(0)
	s_barrier
                                        ; implicit-def: $sgpr6_sgpr7
                                        ; implicit-def: $vgpr21
	s_and_saveexec_b64 s[14:15], vcc
	s_xor_b64 s[14:15], exec, s[14:15]
	s_cbranch_execz .LBB1297_114
; %bb.109:
	v_lshlrev_b16_e32 v21, 8, v20
	s_movk_i32 s6, 0xff
	v_bitop3_b16 v21, v41, v21, s6 bitop3:0xec
	v_lshlrev_b16_e32 v22, 8, v42
	v_lshlrev_b32_e32 v21, 16, v21
	v_or_b32_e32 v22, 1, v22
	v_or_b32_sdwa v21, v22, v21 dst_sel:DWORD dst_unused:UNUSED_PAD src0_sel:WORD_0 src1_sel:DWORD
	s_mov_b32 s33, 0x3020104
	s_and_b64 vcc, exec, s[4:5]
	s_mov_b64 s[6:7], 0
	s_cbranch_vccnz .LBB1297_113
; %bb.110:
	v_add_u32_e32 v22, -8, v26
	ds_read_b64 v[22:23], v22
	v_mul_lo_u32 v27, v11, s30
	v_mul_lo_u32 v28, v10, s31
	s_add_u32 s36, s30, -1
	s_addc_u32 s37, s31, -1
	s_waitcnt lgkmcnt(0)
	v_mul_lo_u32 v24, v23, s30
	v_mul_lo_u32 v25, v22, s31
	v_mad_u64_u32 v[22:23], s[4:5], v22, s30, 0
	v_add3_u32 v23, v23, v25, v24
	v_mad_u64_u32 v[24:25], s[4:5], v10, s30, 0
	v_add3_u32 v25, v25, v28, v27
	v_lshl_add_u64 v[22:23], v[22:23], 1, s[20:21]
	v_lshl_add_u64 v[24:25], v[24:25], 1, s[20:21]
                                        ; implicit-def: $sgpr18_sgpr19
.LBB1297_111:                           ; =>This Inner Loop Header: Depth=1
	global_load_ushort v27, v[22:23], off
	global_load_ushort v28, v[24:25], off
	s_add_u32 s4, s36, -1
	s_addc_u32 s5, s37, -1
	s_cmp_eq_u64 s[36:37], 0
	s_mov_b64 s[36:37], s[4:5]
	s_cselect_b64 s[38:39], -1, 0
	v_lshl_add_u64 v[22:23], v[22:23], 0, 2
	v_lshl_add_u64 v[24:25], v[24:25], 0, 2
	s_waitcnt vmcnt(0)
	v_cmp_neq_f16_e64 s[4:5], v27, v28
	s_or_b64 s[4:5], s[4:5], s[38:39]
	s_and_b64 s[4:5], exec, s[4:5]
	v_cmp_eq_f16_e32 vcc, v27, v28
	s_or_b64 s[6:7], s[4:5], s[6:7]
	s_andn2_b64 s[4:5], s[18:19], exec
	s_and_b64 s[18:19], vcc, exec
	s_or_b64 s[18:19], s[4:5], s[18:19]
	s_andn2_b64 exec, exec, s[6:7]
	s_cbranch_execnz .LBB1297_111
; %bb.112:
	s_or_b64 exec, exec, s[6:7]
	s_xor_b64 s[6:7], s[18:19], -1
.LBB1297_113:
	v_perm_b32 v21, v21, v21, s33
	s_or_b64 s[10:11], s[10:11], exec
.LBB1297_114:
	s_or_b64 exec, exec, s[14:15]
	s_branch .LBB1297_160
.LBB1297_115:
	v_add_u32_e32 v16, 6, v1
	v_cmp_gt_u32_e32 vcc, s3, v16
	s_mov_b64 s[14:15], 0
	s_mov_b64 s[6:7], 0
	s_and_saveexec_b64 s[18:19], vcc
	s_cbranch_execz .LBB1297_121
; %bb.116:
	s_andn2_b64 vcc, exec, s[12:13]
	s_mov_b64 s[4:5], 0
	s_cbranch_vccnz .LBB1297_120
; %bb.117:
	v_mul_lo_u32 v19, v5, s30
	v_mul_lo_u32 v20, v4, s31
	v_mad_u64_u32 v[16:17], s[4:5], v4, s30, 0
	v_add3_u32 v17, v17, v20, v19
	v_mul_lo_u32 v19, v15, s30
	v_mul_lo_u32 v22, v14, s31
	v_mad_u64_u32 v[20:21], s[4:5], v14, s30, 0
	v_add3_u32 v21, v21, v22, v19
	s_add_u32 s38, s30, -1
	v_lshl_add_u64 v[16:17], v[16:17], 1, s[20:21]
	v_lshl_add_u64 v[20:21], v[20:21], 1, s[20:21]
	s_addc_u32 s39, s31, -1
                                        ; implicit-def: $sgpr36_sgpr37
.LBB1297_118:                           ; =>This Inner Loop Header: Depth=1
	global_load_ushort v19, v[16:17], off
	global_load_ushort v22, v[20:21], off
	s_add_u32 s4, s38, -1
	s_addc_u32 s5, s39, -1
	s_cmp_eq_u64 s[38:39], 0
	s_mov_b64 s[38:39], s[4:5]
	s_cselect_b64 s[40:41], -1, 0
	v_lshl_add_u64 v[16:17], v[16:17], 0, 2
	v_lshl_add_u64 v[20:21], v[20:21], 0, 2
	s_waitcnt vmcnt(0)
	v_cmp_neq_f16_e64 s[4:5], v19, v22
	s_or_b64 s[4:5], s[4:5], s[40:41]
	s_and_b64 s[4:5], exec, s[4:5]
	v_cmp_eq_f16_e32 vcc, v19, v22
	s_or_b64 s[6:7], s[4:5], s[6:7]
	s_andn2_b64 s[4:5], s[36:37], exec
	s_and_b64 s[36:37], vcc, exec
	s_or_b64 s[36:37], s[4:5], s[36:37]
	s_andn2_b64 exec, exec, s[6:7]
	s_cbranch_execnz .LBB1297_118
; %bb.119:
	s_or_b64 exec, exec, s[6:7]
	s_xor_b64 s[4:5], s[36:37], -1
.LBB1297_120:
	s_and_b64 s[6:7], s[4:5], exec
.LBB1297_121:
	s_or_b64 exec, exec, s[18:19]
	v_add_u32_e32 v16, 5, v1
	v_cmp_gt_u32_e32 vcc, s3, v16
	s_and_saveexec_b64 s[18:19], vcc
	s_cbranch_execz .LBB1297_127
; %bb.122:
	s_andn2_b64 vcc, exec, s[12:13]
	s_mov_b64 s[4:5], 0
	s_cbranch_vccnz .LBB1297_126
; %bb.123:
	v_mul_lo_u32 v19, v3, s30
	v_mul_lo_u32 v20, v2, s31
	v_mad_u64_u32 v[16:17], s[4:5], v2, s30, 0
	v_add3_u32 v17, v17, v20, v19
	v_mul_lo_u32 v19, v5, s30
	v_mul_lo_u32 v22, v4, s31
	v_mad_u64_u32 v[20:21], s[4:5], v4, s30, 0
	v_add3_u32 v21, v21, v22, v19
	s_add_u32 s38, s30, -1
	v_lshl_add_u64 v[16:17], v[16:17], 1, s[20:21]
	v_lshl_add_u64 v[20:21], v[20:21], 1, s[20:21]
	s_addc_u32 s39, s31, -1
	s_mov_b64 s[14:15], 0
                                        ; implicit-def: $sgpr36_sgpr37
.LBB1297_124:                           ; =>This Inner Loop Header: Depth=1
	global_load_ushort v19, v[16:17], off
	global_load_ushort v22, v[20:21], off
	s_add_u32 s4, s38, -1
	s_addc_u32 s5, s39, -1
	s_cmp_eq_u64 s[38:39], 0
	s_mov_b64 s[38:39], s[4:5]
	s_cselect_b64 s[40:41], -1, 0
	v_lshl_add_u64 v[16:17], v[16:17], 0, 2
	v_lshl_add_u64 v[20:21], v[20:21], 0, 2
	s_waitcnt vmcnt(0)
	v_cmp_neq_f16_e64 s[4:5], v19, v22
	s_or_b64 s[4:5], s[4:5], s[40:41]
	s_and_b64 s[4:5], exec, s[4:5]
	v_cmp_eq_f16_e32 vcc, v19, v22
	s_or_b64 s[14:15], s[4:5], s[14:15]
	s_andn2_b64 s[4:5], s[36:37], exec
	s_and_b64 s[36:37], vcc, exec
	s_or_b64 s[36:37], s[4:5], s[36:37]
	s_andn2_b64 exec, exec, s[14:15]
	s_cbranch_execnz .LBB1297_124
; %bb.125:
	s_or_b64 exec, exec, s[14:15]
	s_xor_b64 s[4:5], s[36:37], -1
.LBB1297_126:
	s_and_b64 s[14:15], s[4:5], exec
.LBB1297_127:
	s_or_b64 exec, exec, s[18:19]
	v_add_u32_e32 v16, 4, v1
	v_cmp_gt_u32_e32 vcc, s3, v16
	s_mov_b64 s[18:19], 0
	s_mov_b64 s[36:37], 0
	s_and_saveexec_b64 s[38:39], vcc
	s_cbranch_execz .LBB1297_133
; %bb.128:
	s_andn2_b64 vcc, exec, s[12:13]
	s_mov_b64 s[4:5], 0
	s_cbranch_vccnz .LBB1297_132
; %bb.129:
	v_mul_lo_u32 v19, v9, s30
	v_mul_lo_u32 v20, v8, s31
	v_mad_u64_u32 v[16:17], s[4:5], v8, s30, 0
	v_add3_u32 v17, v17, v20, v19
	v_mul_lo_u32 v19, v3, s30
	v_mul_lo_u32 v22, v2, s31
	v_mad_u64_u32 v[20:21], s[4:5], v2, s30, 0
	v_add3_u32 v21, v21, v22, v19
	s_add_u32 s42, s30, -1
	v_lshl_add_u64 v[16:17], v[16:17], 1, s[20:21]
	v_lshl_add_u64 v[20:21], v[20:21], 1, s[20:21]
	s_addc_u32 s43, s31, -1
                                        ; implicit-def: $sgpr40_sgpr41
.LBB1297_130:                           ; =>This Inner Loop Header: Depth=1
	global_load_ushort v19, v[16:17], off
	global_load_ushort v22, v[20:21], off
	s_add_u32 s4, s42, -1
	s_addc_u32 s5, s43, -1
	s_cmp_eq_u64 s[42:43], 0
	s_mov_b64 s[42:43], s[4:5]
	s_cselect_b64 s[44:45], -1, 0
	v_lshl_add_u64 v[16:17], v[16:17], 0, 2
	v_lshl_add_u64 v[20:21], v[20:21], 0, 2
	s_waitcnt vmcnt(0)
	v_cmp_neq_f16_e64 s[4:5], v19, v22
	s_or_b64 s[4:5], s[4:5], s[44:45]
	s_and_b64 s[4:5], exec, s[4:5]
	v_cmp_eq_f16_e32 vcc, v19, v22
	s_or_b64 s[36:37], s[4:5], s[36:37]
	s_andn2_b64 s[4:5], s[40:41], exec
	s_and_b64 s[40:41], vcc, exec
	s_or_b64 s[40:41], s[4:5], s[40:41]
	s_andn2_b64 exec, exec, s[36:37]
	s_cbranch_execnz .LBB1297_130
; %bb.131:
	s_or_b64 exec, exec, s[36:37]
	s_xor_b64 s[4:5], s[40:41], -1
.LBB1297_132:
	s_and_b64 s[36:37], s[4:5], exec
.LBB1297_133:
	s_or_b64 exec, exec, s[38:39]
	v_add_u32_e32 v16, 3, v1
	v_cmp_gt_u32_e32 vcc, s3, v16
	s_and_saveexec_b64 s[38:39], vcc
	s_cbranch_execz .LBB1297_139
; %bb.134:
	s_andn2_b64 vcc, exec, s[12:13]
	s_mov_b64 s[4:5], 0
	s_cbranch_vccnz .LBB1297_138
; %bb.135:
	v_mul_lo_u32 v19, v7, s30
	v_mul_lo_u32 v20, v6, s31
	v_mad_u64_u32 v[16:17], s[4:5], v6, s30, 0
	v_add3_u32 v17, v17, v20, v19
	v_mul_lo_u32 v19, v9, s30
	v_mul_lo_u32 v22, v8, s31
	v_mad_u64_u32 v[20:21], s[4:5], v8, s30, 0
	v_add3_u32 v21, v21, v22, v19
	s_add_u32 s42, s30, -1
	v_lshl_add_u64 v[16:17], v[16:17], 1, s[20:21]
	v_lshl_add_u64 v[20:21], v[20:21], 1, s[20:21]
	s_addc_u32 s43, s31, -1
	s_mov_b64 s[18:19], 0
                                        ; implicit-def: $sgpr40_sgpr41
.LBB1297_136:                           ; =>This Inner Loop Header: Depth=1
	global_load_ushort v19, v[16:17], off
	global_load_ushort v22, v[20:21], off
	s_add_u32 s4, s42, -1
	s_addc_u32 s5, s43, -1
	s_cmp_eq_u64 s[42:43], 0
	s_mov_b64 s[42:43], s[4:5]
	s_cselect_b64 s[44:45], -1, 0
	v_lshl_add_u64 v[16:17], v[16:17], 0, 2
	v_lshl_add_u64 v[20:21], v[20:21], 0, 2
	s_waitcnt vmcnt(0)
	v_cmp_neq_f16_e64 s[4:5], v19, v22
	s_or_b64 s[4:5], s[4:5], s[44:45]
	s_and_b64 s[4:5], exec, s[4:5]
	v_cmp_eq_f16_e32 vcc, v19, v22
	s_or_b64 s[18:19], s[4:5], s[18:19]
	s_andn2_b64 s[4:5], s[40:41], exec
	s_and_b64 s[40:41], vcc, exec
	s_or_b64 s[40:41], s[4:5], s[40:41]
	s_andn2_b64 exec, exec, s[18:19]
	s_cbranch_execnz .LBB1297_136
; %bb.137:
	s_or_b64 exec, exec, s[18:19]
	s_xor_b64 s[4:5], s[40:41], -1
.LBB1297_138:
	s_and_b64 s[18:19], s[4:5], exec
.LBB1297_139:
	s_or_b64 exec, exec, s[38:39]
	v_add_u32_e32 v16, 2, v1
	v_cmp_gt_u32_e32 vcc, s3, v16
	s_mov_b64 s[38:39], 0
	s_mov_b64 s[40:41], 0
	s_and_saveexec_b64 s[42:43], vcc
	s_cbranch_execz .LBB1297_145
; %bb.140:
	s_andn2_b64 vcc, exec, s[12:13]
	s_mov_b64 s[4:5], 0
	s_cbranch_vccnz .LBB1297_144
; %bb.141:
	v_mul_lo_u32 v19, v13, s30
	v_mul_lo_u32 v20, v12, s31
	v_mad_u64_u32 v[16:17], s[4:5], v12, s30, 0
	v_add3_u32 v17, v17, v20, v19
	v_mul_lo_u32 v19, v7, s30
	v_mul_lo_u32 v22, v6, s31
	v_mad_u64_u32 v[20:21], s[4:5], v6, s30, 0
	v_add3_u32 v21, v21, v22, v19
	s_add_u32 s46, s30, -1
	v_lshl_add_u64 v[16:17], v[16:17], 1, s[20:21]
	v_lshl_add_u64 v[20:21], v[20:21], 1, s[20:21]
	s_addc_u32 s47, s31, -1
                                        ; implicit-def: $sgpr44_sgpr45
.LBB1297_142:                           ; =>This Inner Loop Header: Depth=1
	global_load_ushort v19, v[16:17], off
	global_load_ushort v22, v[20:21], off
	s_add_u32 s4, s46, -1
	s_addc_u32 s5, s47, -1
	s_cmp_eq_u64 s[46:47], 0
	s_mov_b64 s[46:47], s[4:5]
	s_cselect_b64 s[48:49], -1, 0
	v_lshl_add_u64 v[16:17], v[16:17], 0, 2
	v_lshl_add_u64 v[20:21], v[20:21], 0, 2
	s_waitcnt vmcnt(0)
	v_cmp_neq_f16_e64 s[4:5], v19, v22
	s_or_b64 s[4:5], s[4:5], s[48:49]
	s_and_b64 s[4:5], exec, s[4:5]
	v_cmp_eq_f16_e32 vcc, v19, v22
	s_or_b64 s[40:41], s[4:5], s[40:41]
	s_andn2_b64 s[4:5], s[44:45], exec
	s_and_b64 s[44:45], vcc, exec
	s_or_b64 s[44:45], s[4:5], s[44:45]
	s_andn2_b64 exec, exec, s[40:41]
	s_cbranch_execnz .LBB1297_142
; %bb.143:
	s_or_b64 exec, exec, s[40:41]
	s_xor_b64 s[4:5], s[44:45], -1
.LBB1297_144:
	s_and_b64 s[40:41], s[4:5], exec
.LBB1297_145:
	s_or_b64 exec, exec, s[42:43]
	v_add_u32_e32 v16, 1, v1
	v_cmp_gt_u32_e32 vcc, s3, v16
	s_and_saveexec_b64 s[42:43], vcc
	s_cbranch_execz .LBB1297_151
; %bb.146:
	s_andn2_b64 vcc, exec, s[12:13]
	s_mov_b64 s[4:5], 0
	s_cbranch_vccnz .LBB1297_150
; %bb.147:
	v_mul_lo_u32 v19, v11, s30
	v_mul_lo_u32 v20, v10, s31
	v_mad_u64_u32 v[16:17], s[4:5], v10, s30, 0
	v_add3_u32 v17, v17, v20, v19
	v_mul_lo_u32 v19, v13, s30
	v_mul_lo_u32 v22, v12, s31
	v_mad_u64_u32 v[20:21], s[4:5], v12, s30, 0
	v_add3_u32 v21, v21, v22, v19
	s_add_u32 s46, s30, -1
	v_lshl_add_u64 v[16:17], v[16:17], 1, s[20:21]
	v_lshl_add_u64 v[20:21], v[20:21], 1, s[20:21]
	s_addc_u32 s47, s31, -1
	s_mov_b64 s[38:39], 0
                                        ; implicit-def: $sgpr44_sgpr45
.LBB1297_148:                           ; =>This Inner Loop Header: Depth=1
	global_load_ushort v19, v[16:17], off
	global_load_ushort v22, v[20:21], off
	s_add_u32 s4, s46, -1
	s_addc_u32 s5, s47, -1
	s_cmp_eq_u64 s[46:47], 0
	s_mov_b64 s[46:47], s[4:5]
	s_cselect_b64 s[48:49], -1, 0
	v_lshl_add_u64 v[16:17], v[16:17], 0, 2
	v_lshl_add_u64 v[20:21], v[20:21], 0, 2
	s_waitcnt vmcnt(0)
	v_cmp_neq_f16_e64 s[4:5], v19, v22
	s_or_b64 s[4:5], s[4:5], s[48:49]
	s_and_b64 s[4:5], exec, s[4:5]
	v_cmp_eq_f16_e32 vcc, v19, v22
	s_or_b64 s[38:39], s[4:5], s[38:39]
	s_andn2_b64 s[4:5], s[44:45], exec
	s_and_b64 s[44:45], vcc, exec
	s_or_b64 s[44:45], s[4:5], s[44:45]
	s_andn2_b64 exec, exec, s[38:39]
	s_cbranch_execnz .LBB1297_148
; %bb.149:
	s_or_b64 exec, exec, s[38:39]
	s_xor_b64 s[4:5], s[44:45], -1
.LBB1297_150:
	s_and_b64 s[38:39], s[4:5], exec
.LBB1297_151:
	s_or_b64 exec, exec, s[42:43]
	v_cndmask_b32_e64 v17, 0, 1, s[36:37]
	v_cndmask_b32_e64 v40, 0, 1, s[14:15]
	;; [unrolled: 1-line block ×6, first 2 shown]
	v_mov_b32_e32 v16, 1
	v_cmp_ne_u32_e32 vcc, 0, v0
	s_waitcnt lgkmcnt(0)
	s_barrier
                                        ; implicit-def: $sgpr6_sgpr7
                                        ; implicit-def: $vgpr21
	s_and_saveexec_b64 s[14:15], vcc
	s_cbranch_execz .LBB1297_159
; %bb.152:
	v_lshlrev_b16_e32 v21, 8, v42
	v_lshlrev_b16_e32 v22, 8, v20
	v_or_b32_e32 v21, 1, v21
	v_or_b32_sdwa v22, v41, v22 dst_sel:WORD_1 dst_unused:UNUSED_PAD src0_sel:DWORD src1_sel:DWORD
	v_cmp_gt_u32_e32 vcc, s3, v1
	v_or_b32_sdwa v21, v21, v22 dst_sel:DWORD dst_unused:UNUSED_PAD src0_sel:WORD_0 src1_sel:DWORD
	s_mov_b32 s33, 0x3020104
	s_mov_b64 s[6:7], 0
	s_and_saveexec_b64 s[18:19], vcc
	s_cbranch_execz .LBB1297_158
; %bb.153:
	s_andn2_b64 vcc, exec, s[12:13]
	s_mov_b64 s[4:5], 0
	s_cbranch_vccnz .LBB1297_157
; %bb.154:
	v_add_u32_e32 v22, -8, v26
	ds_read_b64 v[22:23], v22
	v_mul_lo_u32 v26, v11, s30
	v_mul_lo_u32 v27, v10, s31
                                        ; implicit-def: $sgpr12_sgpr13
	s_waitcnt lgkmcnt(0)
	v_mul_lo_u32 v24, v23, s30
	v_mul_lo_u32 v25, v22, s31
	v_mad_u64_u32 v[22:23], s[4:5], v22, s30, 0
	v_add3_u32 v23, v23, v25, v24
	v_mad_u64_u32 v[24:25], s[4:5], v10, s30, 0
	v_add3_u32 v25, v25, v27, v26
	v_lshl_add_u64 v[22:23], v[22:23], 1, s[20:21]
	v_lshl_add_u64 v[24:25], v[24:25], 1, s[20:21]
	s_add_u32 s20, s30, -1
	s_addc_u32 s21, s31, -1
.LBB1297_155:                           ; =>This Inner Loop Header: Depth=1
	global_load_ushort v26, v[22:23], off
	global_load_ushort v27, v[24:25], off
	s_add_u32 s4, s20, -1
	s_addc_u32 s5, s21, -1
	s_cmp_eq_u64 s[20:21], 0
	s_mov_b64 s[20:21], s[4:5]
	s_cselect_b64 s[30:31], -1, 0
	v_lshl_add_u64 v[22:23], v[22:23], 0, 2
	v_lshl_add_u64 v[24:25], v[24:25], 0, 2
	s_waitcnt vmcnt(0)
	v_cmp_neq_f16_e64 s[4:5], v26, v27
	s_or_b64 s[4:5], s[4:5], s[30:31]
	s_and_b64 s[4:5], exec, s[4:5]
	v_cmp_eq_f16_e32 vcc, v26, v27
	s_or_b64 s[6:7], s[4:5], s[6:7]
	s_andn2_b64 s[4:5], s[12:13], exec
	s_and_b64 s[12:13], vcc, exec
	s_or_b64 s[12:13], s[4:5], s[12:13]
	s_andn2_b64 exec, exec, s[6:7]
	s_cbranch_execnz .LBB1297_155
; %bb.156:
	s_or_b64 exec, exec, s[6:7]
	s_xor_b64 s[4:5], s[12:13], -1
.LBB1297_157:
	s_and_b64 s[6:7], s[4:5], exec
.LBB1297_158:
	s_or_b64 exec, exec, s[18:19]
	v_perm_b32 v21, v21, v21, s33
	s_or_b64 s[10:11], s[10:11], exec
.LBB1297_159:
	s_or_b64 exec, exec, s[14:15]
.LBB1297_160:
	s_and_saveexec_b64 s[4:5], s[10:11]
; %bb.161:
	v_lshrrev_b32_e32 v20, 24, v21
	v_lshrrev_b32_e32 v41, 16, v21
	;; [unrolled: 1-line block ×3, first 2 shown]
	v_cndmask_b32_e64 v16, 0, 1, s[6:7]
; %bb.162:
	s_or_b64 exec, exec, s[4:5]
	s_andn2_b64 vcc, exec, s[8:9]
	s_cbranch_vccnz .LBB1297_166
; %bb.163:
	s_mov_b32 s4, 0xc0c0004
	v_perm_b32 v20, v41, v20, s4
	v_perm_b32 v16, v16, v42, s4
	v_lshlrev_b32_e32 v20, 16, v20
	v_or_b32_e32 v16, v16, v20
	v_cmp_gt_u32_e32 vcc, s3, v1
	v_add_u32_e32 v22, 1, v1
	v_perm_b32 v17, v17, v40, s4
	v_cndmask_b32_e32 v20, v20, v16, vcc
	v_and_b32_e32 v20, 0xffff00ff, v20
	v_cmp_gt_u32_e32 vcc, s3, v22
	v_add_u32_e32 v22, 2, v1
	s_mov_b32 s4, 0x40c0100
	v_cndmask_b32_e32 v20, v20, v16, vcc
	v_lshrrev_b32_e32 v23, 24, v20
	v_and_b32_e32 v19, 0xff, v19
	v_perm_b32 v20, v23, v20, s4
	v_cmp_gt_u32_e32 vcc, s3, v22
	v_lshlrev_b32_e32 v19, 16, v19
	v_add_u32_e32 v22, 3, v1
	v_cndmask_b32_e32 v20, v20, v16, vcc
	s_mov_b32 s4, 0xffff00
	v_or_b32_e32 v21, v17, v19
	v_and_b32_e32 v20, 0xffffff, v20
	v_cmp_gt_u32_e32 vcc, s3, v22
	v_bitop3_b32 v17, v17, s4, v19 bitop3:0xc8
	v_add_u32_e32 v19, 4, v1
	v_cndmask_b32_e32 v20, v20, v16, vcc
	v_cmp_gt_u32_e32 vcc, s3, v19
	v_add_u32_e32 v19, 5, v1
	v_cmp_gt_u32_e64 s[4:5], s3, v19
	v_cndmask_b32_e32 v17, v17, v21, vcc
	v_and_b32_e32 v17, 0xffff00ff, v17
	s_or_b64 vcc, s[4:5], vcc
	v_cndmask_b32_e64 v17, v17, v21, s[4:5]
	v_cndmask_b32_e32 v16, v20, v16, vcc
	v_add_u32_e32 v1, 6, v1
	v_lshrrev_b32_e32 v41, 16, v16
	v_lshrrev_b32_e32 v42, 8, v16
	v_lshrrev_b64 v[20:21], 24, v[16:17]
	v_lshrrev_b32_e32 v19, 16, v17
	v_lshrrev_b32_e32 v40, 8, v17
	v_cmp_le_u32_e32 vcc, s3, v1
	s_and_saveexec_b64 s[4:5], vcc
; %bb.164:
	v_mov_b32_e32 v19, 0
; %bb.165:
	s_or_b64 exec, exec, s[4:5]
.LBB1297_166:
	v_and_b32_e32 v1, 0xff, v16
	v_and_b32_e32 v21, 0xff, v42
	;; [unrolled: 1-line block ×5, first 2 shown]
	v_add3_u32 v23, v21, v1, v33
	v_and_b32_e32 v39, 0xff, v40
	v_and_b32_e32 v22, 0xff, v19
	v_add3_u32 v23, v23, v35, v37
	v_add3_u32 v45, v23, v39, v22
	v_mbcnt_lo_u32_b32 v22, -1, 0
	v_mbcnt_hi_u32_b32 v43, -1, v22
	v_and_b32_e32 v22, 15, v43
	v_cmp_eq_u32_e64 s[14:15], 0, v22
	v_cmp_lt_u32_e64 s[12:13], 1, v22
	v_cmp_lt_u32_e64 s[10:11], 3, v22
	;; [unrolled: 1-line block ×3, first 2 shown]
	v_and_b32_e32 v22, 16, v43
	v_cmp_eq_u32_e64 s[6:7], 0, v22
	v_or_b32_e32 v22, 63, v0
	v_cmp_lt_u32_e64 s[18:19], 31, v43
	v_lshrrev_b32_e32 v44, 6, v0
	v_cmp_eq_u32_e64 s[4:5], v0, v22
	s_and_b64 vcc, exec, s[16:17]
	s_waitcnt lgkmcnt(0)
	s_barrier
	s_cbranch_vccz .LBB1297_188
; %bb.167:
	v_mov_b32_dpp v22, v45 row_shr:1 row_mask:0xf bank_mask:0xf
	v_cndmask_b32_e64 v22, v22, 0, s[14:15]
	v_add_u32_e32 v22, v22, v45
	s_nop 1
	v_mov_b32_dpp v23, v22 row_shr:2 row_mask:0xf bank_mask:0xf
	v_cndmask_b32_e64 v23, 0, v23, s[12:13]
	v_add_u32_e32 v22, v22, v23
	s_nop 1
	;; [unrolled: 4-line block ×4, first 2 shown]
	v_mov_b32_dpp v23, v22 row_bcast:15 row_mask:0xf bank_mask:0xf
	v_cndmask_b32_e64 v23, v23, 0, s[6:7]
	v_add_u32_e32 v22, v22, v23
	s_nop 1
	v_mov_b32_dpp v23, v22 row_bcast:31 row_mask:0xf bank_mask:0xf
	v_cndmask_b32_e64 v23, 0, v23, s[18:19]
	v_add_u32_e32 v22, v22, v23
	s_and_saveexec_b64 s[16:17], s[4:5]
; %bb.168:
	v_lshlrev_b32_e32 v23, 2, v44
	ds_write_b32 v23, v22
; %bb.169:
	s_or_b64 exec, exec, s[16:17]
	v_cmp_gt_u32_e32 vcc, 8, v0
	s_waitcnt lgkmcnt(0)
	s_barrier
	s_and_saveexec_b64 s[16:17], vcc
	s_cbranch_execz .LBB1297_171
; %bb.170:
	v_lshlrev_b32_e32 v23, 2, v0
	ds_read_b32 v24, v23
	v_and_b32_e32 v25, 7, v43
	v_cmp_ne_u32_e32 vcc, 0, v25
	s_waitcnt lgkmcnt(0)
	v_mov_b32_dpp v26, v24 row_shr:1 row_mask:0xf bank_mask:0xf
	v_cndmask_b32_e32 v26, 0, v26, vcc
	v_add_u32_e32 v24, v26, v24
	v_cmp_lt_u32_e32 vcc, 1, v25
	s_nop 0
	v_mov_b32_dpp v26, v24 row_shr:2 row_mask:0xf bank_mask:0xf
	v_cndmask_b32_e32 v26, 0, v26, vcc
	v_add_u32_e32 v24, v24, v26
	v_cmp_lt_u32_e32 vcc, 3, v25
	s_nop 0
	v_mov_b32_dpp v26, v24 row_shr:4 row_mask:0xf bank_mask:0xf
	v_cndmask_b32_e32 v25, 0, v26, vcc
	v_add_u32_e32 v24, v24, v25
	ds_write_b32 v23, v24
.LBB1297_171:
	s_or_b64 exec, exec, s[16:17]
	v_cmp_gt_u32_e32 vcc, 64, v0
	v_cmp_lt_u32_e64 s[16:17], 63, v0
	s_waitcnt lgkmcnt(0)
	s_barrier
                                        ; implicit-def: $vgpr32
	s_and_saveexec_b64 s[20:21], s[16:17]
	s_cbranch_execz .LBB1297_173
; %bb.172:
	v_lshl_add_u32 v23, v44, 2, -4
	ds_read_b32 v32, v23
	s_waitcnt lgkmcnt(0)
	v_add_u32_e32 v22, v32, v22
.LBB1297_173:
	s_or_b64 exec, exec, s[20:21]
	v_subrev_co_u32_e64 v23, s[16:17], 1, v43
	v_and_b32_e32 v24, 64, v43
	v_cmp_lt_i32_e64 s[20:21], v23, v24
	s_nop 1
	v_cndmask_b32_e64 v23, v23, v43, s[20:21]
	v_lshlrev_b32_e32 v23, 2, v23
	ds_bpermute_b32 v34, v23, v22
	s_and_saveexec_b64 s[20:21], vcc
	s_cbranch_execz .LBB1297_193
; %bb.174:
	v_mov_b32_e32 v29, 0
	ds_read_b32 v22, v29 offset:28
	s_and_saveexec_b64 s[30:31], s[16:17]
	s_cbranch_execz .LBB1297_176
; %bb.175:
	s_add_i32 s36, s2, 64
	s_mov_b32 s37, 0
	s_lshl_b64 s[36:37], s[36:37], 3
	s_add_u32 s36, s22, s36
	v_mov_b32_e32 v23, 1
	s_addc_u32 s37, s23, s37
	s_waitcnt lgkmcnt(0)
	global_store_dwordx2 v29, v[22:23], s[36:37] sc1
.LBB1297_176:
	s_or_b64 exec, exec, s[30:31]
	v_xad_u32 v24, v43, -1, s2
	v_add_u32_e32 v28, 64, v24
	v_lshl_add_u64 v[30:31], v[28:29], 3, s[22:23]
	global_load_dwordx2 v[26:27], v[30:31], off sc1
	s_waitcnt vmcnt(0)
	v_cmp_eq_u16_sdwa s[36:37], v27, v29 src0_sel:BYTE_0 src1_sel:DWORD
	s_and_saveexec_b64 s[30:31], s[36:37]
	s_cbranch_execz .LBB1297_180
; %bb.177:
	s_mov_b64 s[36:37], 0
	v_mov_b32_e32 v23, 0
.LBB1297_178:                           ; =>This Inner Loop Header: Depth=1
	global_load_dwordx2 v[26:27], v[30:31], off sc1
	s_waitcnt vmcnt(0)
	v_cmp_ne_u16_sdwa s[38:39], v27, v23 src0_sel:BYTE_0 src1_sel:DWORD
	s_or_b64 s[36:37], s[38:39], s[36:37]
	s_andn2_b64 exec, exec, s[36:37]
	s_cbranch_execnz .LBB1297_178
; %bb.179:
	s_or_b64 exec, exec, s[36:37]
.LBB1297_180:
	s_or_b64 exec, exec, s[30:31]
	v_and_b32_e32 v38, 63, v43
	v_mov_b32_e32 v36, 2
	v_cmp_ne_u32_e32 vcc, 63, v38
	v_cmp_eq_u16_sdwa s[30:31], v27, v36 src0_sel:BYTE_0 src1_sel:DWORD
	v_lshlrev_b64 v[28:29], v43, -1
	v_addc_co_u32_e32 v30, vcc, 0, v43, vcc
	v_and_b32_e32 v23, s31, v29
	v_lshlrev_b32_e32 v46, 2, v30
	v_or_b32_e32 v23, 0x80000000, v23
	ds_bpermute_b32 v30, v46, v26
	v_and_b32_e32 v25, s30, v28
	v_ffbl_b32_e32 v23, v23
	v_add_u32_e32 v23, 32, v23
	v_ffbl_b32_e32 v25, v25
	v_min_u32_e32 v23, v25, v23
	v_cmp_lt_u32_e32 vcc, v38, v23
	v_add_u32_e32 v48, 2, v38
	v_add_u32_e32 v50, 4, v38
	s_waitcnt lgkmcnt(0)
	v_cndmask_b32_e32 v25, 0, v30, vcc
	v_cmp_gt_u32_e32 vcc, 62, v38
	v_add_u32_e32 v25, v25, v26
	v_add_u32_e32 v52, 8, v38
	v_cndmask_b32_e64 v26, 0, 2, vcc
	v_add_lshl_u32 v47, v26, v43, 2
	ds_bpermute_b32 v26, v47, v25
	v_cmp_le_u32_e32 vcc, v48, v23
	v_add_u32_e32 v54, 16, v38
	v_add_u32_e32 v56, 32, v38
	s_waitcnt lgkmcnt(0)
	v_cndmask_b32_e32 v26, 0, v26, vcc
	v_cmp_gt_u32_e32 vcc, 60, v38
	v_add_u32_e32 v25, v25, v26
	s_nop 0
	v_cndmask_b32_e64 v26, 0, 4, vcc
	v_add_lshl_u32 v49, v26, v43, 2
	ds_bpermute_b32 v26, v49, v25
	v_cmp_le_u32_e32 vcc, v50, v23
	s_waitcnt lgkmcnt(0)
	s_nop 0
	v_cndmask_b32_e32 v26, 0, v26, vcc
	v_cmp_gt_u32_e32 vcc, 56, v38
	v_add_u32_e32 v25, v25, v26
	s_nop 0
	v_cndmask_b32_e64 v26, 0, 8, vcc
	v_add_lshl_u32 v51, v26, v43, 2
	ds_bpermute_b32 v26, v51, v25
	v_cmp_le_u32_e32 vcc, v52, v23
	s_waitcnt lgkmcnt(0)
	s_nop 0
	;; [unrolled: 10-line block ×3, first 2 shown]
	v_cndmask_b32_e32 v26, 0, v26, vcc
	v_add_u32_e32 v25, v25, v26
	v_mov_b32_e32 v26, 0x80
	v_lshl_or_b32 v55, v43, 2, v26
	ds_bpermute_b32 v26, v55, v25
	v_cmp_le_u32_e32 vcc, v56, v23
	s_waitcnt lgkmcnt(0)
	s_nop 0
	v_cndmask_b32_e32 v23, 0, v26, vcc
	v_add_u32_e32 v26, v25, v23
	v_mov_b32_e32 v25, 0
	s_branch .LBB1297_183
.LBB1297_181:                           ;   in Loop: Header=BB1297_183 Depth=1
	s_or_b64 exec, exec, s[30:31]
	v_cmp_eq_u16_sdwa s[30:31], v27, v36 src0_sel:BYTE_0 src1_sel:DWORD
	ds_bpermute_b32 v57, v46, v26
	v_subrev_u32_e32 v24, 64, v24
	v_and_b32_e32 v30, s31, v29
	v_or_b32_e32 v30, 0x80000000, v30
	v_and_b32_e32 v31, s30, v28
	v_ffbl_b32_e32 v30, v30
	v_add_u32_e32 v30, 32, v30
	v_ffbl_b32_e32 v31, v31
	v_min_u32_e32 v30, v31, v30
	v_cmp_lt_u32_e32 vcc, v38, v30
	s_mov_b64 s[30:31], 0
	s_waitcnt lgkmcnt(0)
	v_cndmask_b32_e32 v31, 0, v57, vcc
	v_add_u32_e32 v26, v31, v26
	ds_bpermute_b32 v31, v47, v26
	v_cmp_le_u32_e32 vcc, v48, v30
	s_waitcnt lgkmcnt(0)
	s_nop 0
	v_cndmask_b32_e32 v31, 0, v31, vcc
	v_add_u32_e32 v26, v26, v31
	ds_bpermute_b32 v31, v49, v26
	v_cmp_le_u32_e32 vcc, v50, v30
	s_waitcnt lgkmcnt(0)
	s_nop 0
	;; [unrolled: 6-line block ×5, first 2 shown]
	v_cndmask_b32_e32 v30, 0, v31, vcc
	v_add3_u32 v26, v30, v23, v26
.LBB1297_182:                           ;   in Loop: Header=BB1297_183 Depth=1
	s_and_b64 vcc, exec, s[30:31]
	s_cbranch_vccnz .LBB1297_189
.LBB1297_183:                           ; =>This Loop Header: Depth=1
                                        ;     Child Loop BB1297_186 Depth 2
	v_cmp_ne_u16_sdwa s[30:31], v27, v36 src0_sel:BYTE_0 src1_sel:DWORD
	v_mov_b32_e32 v23, v26
	s_cmp_lg_u64 s[30:31], exec
	s_mov_b64 s[30:31], -1
                                        ; implicit-def: $vgpr26
                                        ; implicit-def: $vgpr27
	s_cbranch_scc1 .LBB1297_182
; %bb.184:                              ;   in Loop: Header=BB1297_183 Depth=1
	v_lshl_add_u64 v[30:31], v[24:25], 3, s[22:23]
	global_load_dwordx2 v[26:27], v[30:31], off sc1
	s_waitcnt vmcnt(0)
	v_cmp_eq_u16_sdwa s[36:37], v27, v25 src0_sel:BYTE_0 src1_sel:DWORD
	s_and_saveexec_b64 s[30:31], s[36:37]
	s_cbranch_execz .LBB1297_181
; %bb.185:                              ;   in Loop: Header=BB1297_183 Depth=1
	s_mov_b64 s[36:37], 0
.LBB1297_186:                           ;   Parent Loop BB1297_183 Depth=1
                                        ; =>  This Inner Loop Header: Depth=2
	global_load_dwordx2 v[26:27], v[30:31], off sc1
	s_waitcnt vmcnt(0)
	v_cmp_ne_u16_sdwa s[38:39], v27, v25 src0_sel:BYTE_0 src1_sel:DWORD
	s_or_b64 s[36:37], s[38:39], s[36:37]
	s_andn2_b64 exec, exec, s[36:37]
	s_cbranch_execnz .LBB1297_186
; %bb.187:                              ;   in Loop: Header=BB1297_183 Depth=1
	s_or_b64 exec, exec, s[36:37]
	s_branch .LBB1297_181
.LBB1297_188:
                                        ; implicit-def: $vgpr26
                                        ; implicit-def: $vgpr28
                                        ; implicit-def: $vgpr30
                                        ; implicit-def: $vgpr32
                                        ; implicit-def: $vgpr34
                                        ; implicit-def: $vgpr36
                                        ; implicit-def: $vgpr38
                                        ; implicit-def: $vgpr24
                                        ; implicit-def: $vgpr22
	s_load_dwordx2 s[2:3], s[0:1], 0x28
	s_cbranch_execnz .LBB1297_194
	s_branch .LBB1297_203
.LBB1297_189:
	s_and_saveexec_b64 s[30:31], s[16:17]
	s_cbranch_execz .LBB1297_191
; %bb.190:
	s_add_i32 s2, s2, 64
	s_mov_b32 s3, 0
	s_lshl_b64 s[2:3], s[2:3], 3
	s_add_u32 s2, s22, s2
	v_add_u32_e32 v24, v23, v22
	v_mov_b32_e32 v25, 2
	s_addc_u32 s3, s23, s3
	v_mov_b32_e32 v26, 0
	global_store_dwordx2 v26, v[24:25], s[2:3] sc1
	ds_write_b64 v26, v[22:23] offset:28672
.LBB1297_191:
	s_or_b64 exec, exec, s[30:31]
	v_cmp_eq_u32_e32 vcc, 0, v0
	s_and_b64 exec, exec, vcc
; %bb.192:
	v_mov_b32_e32 v22, 0
	ds_write_b32 v22, v23 offset:28
.LBB1297_193:
	s_or_b64 exec, exec, s[20:21]
	v_mov_b32_e32 v22, 0
	s_waitcnt lgkmcnt(0)
	s_barrier
	ds_read_b32 v23, v22 offset:28
	v_cndmask_b32_e64 v24, v34, v32, s[16:17]
	v_cmp_ne_u32_e32 vcc, 0, v0
	s_waitcnt lgkmcnt(0)
	s_barrier
	v_cndmask_b32_e32 v24, 0, v24, vcc
	v_add_u32_e32 v38, v23, v24
	v_add_u32_e32 v36, v38, v1
	ds_read_b64 v[22:23], v22 offset:28672
	v_add_u32_e32 v34, v36, v21
	v_add_u32_e32 v32, v34, v33
	v_add_u32_e32 v30, v32, v35
	v_add_u32_e32 v28, v30, v37
	v_add_u32_e32 v26, v28, v39
	s_waitcnt lgkmcnt(0)
	v_mov_b32_e32 v24, v23
	s_load_dwordx2 s[2:3], s[0:1], 0x28
	s_branch .LBB1297_203
.LBB1297_194:
	v_mov_b32_dpp v22, v45 row_shr:1 row_mask:0xf bank_mask:0xf
	v_cndmask_b32_e64 v22, v22, 0, s[14:15]
	v_add_u32_e32 v22, v22, v45
	s_nop 1
	v_mov_b32_dpp v23, v22 row_shr:2 row_mask:0xf bank_mask:0xf
	v_cndmask_b32_e64 v23, 0, v23, s[12:13]
	v_add_u32_e32 v22, v22, v23
	s_nop 1
	;; [unrolled: 4-line block ×4, first 2 shown]
	v_mov_b32_dpp v23, v22 row_bcast:15 row_mask:0xf bank_mask:0xf
	v_cndmask_b32_e64 v23, v23, 0, s[6:7]
	v_add_u32_e32 v22, v22, v23
	s_nop 1
	v_mov_b32_dpp v23, v22 row_bcast:31 row_mask:0xf bank_mask:0xf
	v_cndmask_b32_e64 v23, 0, v23, s[18:19]
	v_add_u32_e32 v22, v22, v23
	s_and_saveexec_b64 s[0:1], s[4:5]
; %bb.195:
	v_lshlrev_b32_e32 v23, 2, v44
	ds_write_b32 v23, v22
; %bb.196:
	s_or_b64 exec, exec, s[0:1]
	v_cmp_gt_u32_e32 vcc, 8, v0
	s_waitcnt lgkmcnt(0)
	s_barrier
	s_and_saveexec_b64 s[0:1], vcc
	s_cbranch_execz .LBB1297_198
; %bb.197:
	v_lshlrev_b32_e32 v23, 2, v0
	ds_read_b32 v24, v23
	v_and_b32_e32 v25, 7, v43
	v_cmp_ne_u32_e32 vcc, 0, v25
	s_waitcnt lgkmcnt(0)
	v_mov_b32_dpp v26, v24 row_shr:1 row_mask:0xf bank_mask:0xf
	v_cndmask_b32_e32 v26, 0, v26, vcc
	v_add_u32_e32 v24, v26, v24
	v_cmp_lt_u32_e32 vcc, 1, v25
	s_nop 0
	v_mov_b32_dpp v26, v24 row_shr:2 row_mask:0xf bank_mask:0xf
	v_cndmask_b32_e32 v26, 0, v26, vcc
	v_add_u32_e32 v24, v24, v26
	v_cmp_lt_u32_e32 vcc, 3, v25
	s_nop 0
	v_mov_b32_dpp v26, v24 row_shr:4 row_mask:0xf bank_mask:0xf
	v_cndmask_b32_e32 v25, 0, v26, vcc
	v_add_u32_e32 v24, v24, v25
	ds_write_b32 v23, v24
.LBB1297_198:
	s_or_b64 exec, exec, s[0:1]
	v_cmp_lt_u32_e32 vcc, 63, v0
	v_mov_b32_e32 v23, 0
	v_mov_b32_e32 v24, 0
	s_waitcnt lgkmcnt(0)
	s_barrier
	s_and_saveexec_b64 s[0:1], vcc
; %bb.199:
	v_lshl_add_u32 v24, v44, 2, -4
	ds_read_b32 v24, v24
; %bb.200:
	s_or_b64 exec, exec, s[0:1]
	v_subrev_co_u32_e32 v25, vcc, 1, v43
	v_and_b32_e32 v26, 64, v43
	v_cmp_lt_i32_e64 s[0:1], v25, v26
	s_waitcnt lgkmcnt(0)
	v_add_u32_e32 v22, v24, v22
	v_cndmask_b32_e64 v25, v25, v43, s[0:1]
	v_lshlrev_b32_e32 v25, 2, v25
	ds_bpermute_b32 v25, v25, v22
	ds_read_b32 v22, v23 offset:28
	v_cmp_eq_u32_e64 s[0:1], 0, v0
	s_and_saveexec_b64 s[4:5], s[0:1]
	s_cbranch_execz .LBB1297_202
; %bb.201:
	v_mov_b32_e32 v26, 0
	v_mov_b32_e32 v23, 2
	s_waitcnt lgkmcnt(0)
	global_store_dwordx2 v26, v[22:23], s[22:23] offset:512 sc1
.LBB1297_202:
	s_or_b64 exec, exec, s[4:5]
	s_waitcnt lgkmcnt(1)
	v_cndmask_b32_e32 v23, v25, v24, vcc
	v_cndmask_b32_e64 v38, v23, 0, s[0:1]
	v_add_u32_e32 v36, v38, v1
	v_add_u32_e32 v34, v36, v21
	;; [unrolled: 1-line block ×6, first 2 shown]
	s_waitcnt lgkmcnt(0)
	s_barrier
	v_mov_b32_e32 v24, 0
.LBB1297_203:
	s_movk_i32 s0, 0x201
	v_cmp_gt_u32_e32 vcc, s0, v22
	v_and_b32_e32 v1, 1, v16
	s_mov_b64 s[4:5], -1
	v_cmp_eq_u32_e64 s[0:1], 1, v1
	s_cbranch_vccnz .LBB1297_207
; %bb.204:
	s_and_b64 vcc, exec, s[4:5]
	s_cbranch_vccnz .LBB1297_222
.LBB1297_205:
	v_cmp_eq_u32_e32 vcc, 0, v0
	s_and_b64 s[0:1], vcc, s[28:29]
	s_waitcnt lgkmcnt(0)
	s_and_saveexec_b64 s[2:3], s[0:1]
	s_cbranch_execnz .LBB1297_239
.LBB1297_206:
	s_endpgm
.LBB1297_207:
	v_add_u32_e32 v16, v24, v22
	v_cmp_lt_u32_e32 vcc, v38, v16
	s_or_b64 s[4:5], s[34:35], vcc
	s_and_b64 s[4:5], s[4:5], s[0:1]
	s_and_saveexec_b64 s[0:1], s[4:5]
	s_cbranch_execz .LBB1297_209
; %bb.208:
	s_lshl_b64 s[4:5], s[26:27], 3
	s_waitcnt lgkmcnt(0)
	s_add_u32 s4, s2, s4
	s_addc_u32 s5, s3, s5
	v_mov_b32_e32 v39, 0
	v_lshl_add_u64 v[44:45], v[38:39], 3, s[4:5]
	global_store_dwordx2 v[44:45], v[10:11], off
.LBB1297_209:
	s_or_b64 exec, exec, s[0:1]
	v_cmp_lt_u32_e32 vcc, v36, v16
	v_and_b32_e32 v21, 1, v42
	s_or_b64 s[0:1], s[34:35], vcc
	v_cmp_eq_u32_e32 vcc, 1, v21
	s_and_b64 s[4:5], s[0:1], vcc
	s_and_saveexec_b64 s[0:1], s[4:5]
	s_cbranch_execz .LBB1297_211
; %bb.210:
	s_lshl_b64 s[4:5], s[26:27], 3
	s_waitcnt lgkmcnt(0)
	s_add_u32 s4, s2, s4
	s_addc_u32 s5, s3, s5
	v_mov_b32_e32 v37, 0
	v_lshl_add_u64 v[44:45], v[36:37], 3, s[4:5]
	global_store_dwordx2 v[44:45], v[12:13], off
.LBB1297_211:
	s_or_b64 exec, exec, s[0:1]
	v_cmp_lt_u32_e32 vcc, v34, v16
	v_and_b32_e32 v21, 1, v41
	s_or_b64 s[0:1], s[34:35], vcc
	v_cmp_eq_u32_e32 vcc, 1, v21
	s_and_b64 s[4:5], s[0:1], vcc
	;; [unrolled: 17-line block ×6, first 2 shown]
	s_and_saveexec_b64 s[0:1], s[4:5]
	s_cbranch_execz .LBB1297_221
; %bb.220:
	s_lshl_b64 s[4:5], s[26:27], 3
	s_waitcnt lgkmcnt(0)
	s_add_u32 s4, s2, s4
	s_addc_u32 s5, s3, s5
	v_mov_b32_e32 v27, 0
	v_lshl_add_u64 v[44:45], v[26:27], 3, s[4:5]
	global_store_dwordx2 v[44:45], v[14:15], off
.LBB1297_221:
	s_or_b64 exec, exec, s[0:1]
	s_branch .LBB1297_205
.LBB1297_222:
	v_cmp_eq_u32_e32 vcc, 1, v1
	s_and_saveexec_b64 s[0:1], vcc
; %bb.223:
	v_sub_u32_e32 v1, v38, v24
	v_lshlrev_b32_e32 v1, 3, v1
	ds_write_b64 v1, v[10:11]
; %bb.224:
	s_or_b64 exec, exec, s[0:1]
	v_and_b32_e32 v1, 1, v42
	v_cmp_eq_u32_e32 vcc, 1, v1
	s_and_saveexec_b64 s[0:1], vcc
; %bb.225:
	v_sub_u32_e32 v1, v36, v24
	v_lshlrev_b32_e32 v1, 3, v1
	ds_write_b64 v1, v[12:13]
; %bb.226:
	s_or_b64 exec, exec, s[0:1]
	v_and_b32_e32 v1, 1, v41
	;; [unrolled: 9-line block ×6, first 2 shown]
	v_cmp_eq_u32_e32 vcc, 1, v1
	s_and_saveexec_b64 s[0:1], vcc
; %bb.235:
	v_sub_u32_e32 v1, v26, v24
	v_lshlrev_b32_e32 v1, 3, v1
	ds_write_b64 v1, v[14:15]
; %bb.236:
	s_or_b64 exec, exec, s[0:1]
	v_mov_b32_e32 v25, 0
	s_lshl_b64 s[0:1], s[26:27], 3
	v_lshlrev_b64 v[2:3], 3, v[24:25]
	v_lshl_add_u64 v[2:3], s[0:1], 0, v[2:3]
	v_mov_b32_e32 v19, v25
	s_waitcnt lgkmcnt(0)
	v_lshl_add_u64 v[2:3], s[2:3], 0, v[2:3]
	v_lshl_add_u64 v[2:3], v[2:3], 0, v[18:19]
	s_mov_b64 s[0:1], 0
	s_mov_b64 s[2:3], 0x1000
	v_mov_b32_e32 v1, v0
	s_barrier
.LBB1297_237:                           ; =>This Inner Loop Header: Depth=1
	ds_read_b64 v[4:5], v18
	v_add_u32_e32 v1, 0x200, v1
	v_cmp_ge_u32_e32 vcc, v1, v22
	v_add_u32_e32 v18, 0x1000, v18
	s_or_b64 s[0:1], vcc, s[0:1]
	s_waitcnt lgkmcnt(0)
	global_store_dwordx2 v[2:3], v[4:5], off
	v_lshl_add_u64 v[2:3], v[2:3], 0, s[2:3]
	s_andn2_b64 exec, exec, s[0:1]
	s_cbranch_execnz .LBB1297_237
; %bb.238:
	s_or_b64 exec, exec, s[0:1]
	v_cmp_eq_u32_e32 vcc, 0, v0
	s_and_b64 s[0:1], vcc, s[28:29]
	s_and_saveexec_b64 s[2:3], s[0:1]
	s_cbranch_execz .LBB1297_206
.LBB1297_239:
	v_mov_b32_e32 v23, 0
	v_lshl_add_u64 v[0:1], s[26:27], 0, v[22:23]
	v_mov_b32_e32 v25, v23
	v_lshl_add_u64 v[0:1], v[0:1], 0, v[24:25]
	global_store_dwordx2 v23, v[0:1], s[24:25]
	s_endpgm
	.section	.rodata,"a",@progbits
	.p2align	6, 0x0
	.amdhsa_kernel _ZN7rocprim17ROCPRIM_400000_NS6detail17trampoline_kernelINS0_14default_configENS1_25partition_config_selectorILNS1_17partition_subalgoE8ElNS0_10empty_typeEbEEZZNS1_14partition_implILS5_8ELb0ES3_jPlPS6_PKS6_NS0_5tupleIJS9_S6_EEENSD_IJSA_SA_EEENS0_18inequality_wrapperIZN2at6native12_GLOBAL__N_124unique_dim_cuda_templateIN3c104HalfEEESt5tupleIJNSH_6TensorESO_SO_EERKSO_lbbbEUlllE0_EEPmJS6_EEE10hipError_tPvRmT3_T4_T5_T6_T7_T9_mT8_P12ihipStream_tbDpT10_ENKUlT_T0_E_clISt17integral_constantIbLb0EES1E_EEDaS19_S1A_EUlS19_E_NS1_11comp_targetILNS1_3genE0ELNS1_11target_archE4294967295ELNS1_3gpuE0ELNS1_3repE0EEENS1_30default_config_static_selectorELNS0_4arch9wavefront6targetE1EEEvT1_
		.amdhsa_group_segment_fixed_size 28680
		.amdhsa_private_segment_fixed_size 0
		.amdhsa_kernarg_size 120
		.amdhsa_user_sgpr_count 2
		.amdhsa_user_sgpr_dispatch_ptr 0
		.amdhsa_user_sgpr_queue_ptr 0
		.amdhsa_user_sgpr_kernarg_segment_ptr 1
		.amdhsa_user_sgpr_dispatch_id 0
		.amdhsa_user_sgpr_kernarg_preload_length 0
		.amdhsa_user_sgpr_kernarg_preload_offset 0
		.amdhsa_user_sgpr_private_segment_size 0
		.amdhsa_uses_dynamic_stack 0
		.amdhsa_enable_private_segment 0
		.amdhsa_system_sgpr_workgroup_id_x 1
		.amdhsa_system_sgpr_workgroup_id_y 0
		.amdhsa_system_sgpr_workgroup_id_z 0
		.amdhsa_system_sgpr_workgroup_info 0
		.amdhsa_system_vgpr_workitem_id 0
		.amdhsa_next_free_vgpr 58
		.amdhsa_next_free_sgpr 50
		.amdhsa_accum_offset 60
		.amdhsa_reserve_vcc 1
		.amdhsa_float_round_mode_32 0
		.amdhsa_float_round_mode_16_64 0
		.amdhsa_float_denorm_mode_32 3
		.amdhsa_float_denorm_mode_16_64 3
		.amdhsa_dx10_clamp 1
		.amdhsa_ieee_mode 1
		.amdhsa_fp16_overflow 0
		.amdhsa_tg_split 0
		.amdhsa_exception_fp_ieee_invalid_op 0
		.amdhsa_exception_fp_denorm_src 0
		.amdhsa_exception_fp_ieee_div_zero 0
		.amdhsa_exception_fp_ieee_overflow 0
		.amdhsa_exception_fp_ieee_underflow 0
		.amdhsa_exception_fp_ieee_inexact 0
		.amdhsa_exception_int_div_zero 0
	.end_amdhsa_kernel
	.section	.text._ZN7rocprim17ROCPRIM_400000_NS6detail17trampoline_kernelINS0_14default_configENS1_25partition_config_selectorILNS1_17partition_subalgoE8ElNS0_10empty_typeEbEEZZNS1_14partition_implILS5_8ELb0ES3_jPlPS6_PKS6_NS0_5tupleIJS9_S6_EEENSD_IJSA_SA_EEENS0_18inequality_wrapperIZN2at6native12_GLOBAL__N_124unique_dim_cuda_templateIN3c104HalfEEESt5tupleIJNSH_6TensorESO_SO_EERKSO_lbbbEUlllE0_EEPmJS6_EEE10hipError_tPvRmT3_T4_T5_T6_T7_T9_mT8_P12ihipStream_tbDpT10_ENKUlT_T0_E_clISt17integral_constantIbLb0EES1E_EEDaS19_S1A_EUlS19_E_NS1_11comp_targetILNS1_3genE0ELNS1_11target_archE4294967295ELNS1_3gpuE0ELNS1_3repE0EEENS1_30default_config_static_selectorELNS0_4arch9wavefront6targetE1EEEvT1_,"axG",@progbits,_ZN7rocprim17ROCPRIM_400000_NS6detail17trampoline_kernelINS0_14default_configENS1_25partition_config_selectorILNS1_17partition_subalgoE8ElNS0_10empty_typeEbEEZZNS1_14partition_implILS5_8ELb0ES3_jPlPS6_PKS6_NS0_5tupleIJS9_S6_EEENSD_IJSA_SA_EEENS0_18inequality_wrapperIZN2at6native12_GLOBAL__N_124unique_dim_cuda_templateIN3c104HalfEEESt5tupleIJNSH_6TensorESO_SO_EERKSO_lbbbEUlllE0_EEPmJS6_EEE10hipError_tPvRmT3_T4_T5_T6_T7_T9_mT8_P12ihipStream_tbDpT10_ENKUlT_T0_E_clISt17integral_constantIbLb0EES1E_EEDaS19_S1A_EUlS19_E_NS1_11comp_targetILNS1_3genE0ELNS1_11target_archE4294967295ELNS1_3gpuE0ELNS1_3repE0EEENS1_30default_config_static_selectorELNS0_4arch9wavefront6targetE1EEEvT1_,comdat
.Lfunc_end1297:
	.size	_ZN7rocprim17ROCPRIM_400000_NS6detail17trampoline_kernelINS0_14default_configENS1_25partition_config_selectorILNS1_17partition_subalgoE8ElNS0_10empty_typeEbEEZZNS1_14partition_implILS5_8ELb0ES3_jPlPS6_PKS6_NS0_5tupleIJS9_S6_EEENSD_IJSA_SA_EEENS0_18inequality_wrapperIZN2at6native12_GLOBAL__N_124unique_dim_cuda_templateIN3c104HalfEEESt5tupleIJNSH_6TensorESO_SO_EERKSO_lbbbEUlllE0_EEPmJS6_EEE10hipError_tPvRmT3_T4_T5_T6_T7_T9_mT8_P12ihipStream_tbDpT10_ENKUlT_T0_E_clISt17integral_constantIbLb0EES1E_EEDaS19_S1A_EUlS19_E_NS1_11comp_targetILNS1_3genE0ELNS1_11target_archE4294967295ELNS1_3gpuE0ELNS1_3repE0EEENS1_30default_config_static_selectorELNS0_4arch9wavefront6targetE1EEEvT1_, .Lfunc_end1297-_ZN7rocprim17ROCPRIM_400000_NS6detail17trampoline_kernelINS0_14default_configENS1_25partition_config_selectorILNS1_17partition_subalgoE8ElNS0_10empty_typeEbEEZZNS1_14partition_implILS5_8ELb0ES3_jPlPS6_PKS6_NS0_5tupleIJS9_S6_EEENSD_IJSA_SA_EEENS0_18inequality_wrapperIZN2at6native12_GLOBAL__N_124unique_dim_cuda_templateIN3c104HalfEEESt5tupleIJNSH_6TensorESO_SO_EERKSO_lbbbEUlllE0_EEPmJS6_EEE10hipError_tPvRmT3_T4_T5_T6_T7_T9_mT8_P12ihipStream_tbDpT10_ENKUlT_T0_E_clISt17integral_constantIbLb0EES1E_EEDaS19_S1A_EUlS19_E_NS1_11comp_targetILNS1_3genE0ELNS1_11target_archE4294967295ELNS1_3gpuE0ELNS1_3repE0EEENS1_30default_config_static_selectorELNS0_4arch9wavefront6targetE1EEEvT1_
                                        ; -- End function
	.set _ZN7rocprim17ROCPRIM_400000_NS6detail17trampoline_kernelINS0_14default_configENS1_25partition_config_selectorILNS1_17partition_subalgoE8ElNS0_10empty_typeEbEEZZNS1_14partition_implILS5_8ELb0ES3_jPlPS6_PKS6_NS0_5tupleIJS9_S6_EEENSD_IJSA_SA_EEENS0_18inequality_wrapperIZN2at6native12_GLOBAL__N_124unique_dim_cuda_templateIN3c104HalfEEESt5tupleIJNSH_6TensorESO_SO_EERKSO_lbbbEUlllE0_EEPmJS6_EEE10hipError_tPvRmT3_T4_T5_T6_T7_T9_mT8_P12ihipStream_tbDpT10_ENKUlT_T0_E_clISt17integral_constantIbLb0EES1E_EEDaS19_S1A_EUlS19_E_NS1_11comp_targetILNS1_3genE0ELNS1_11target_archE4294967295ELNS1_3gpuE0ELNS1_3repE0EEENS1_30default_config_static_selectorELNS0_4arch9wavefront6targetE1EEEvT1_.num_vgpr, 58
	.set _ZN7rocprim17ROCPRIM_400000_NS6detail17trampoline_kernelINS0_14default_configENS1_25partition_config_selectorILNS1_17partition_subalgoE8ElNS0_10empty_typeEbEEZZNS1_14partition_implILS5_8ELb0ES3_jPlPS6_PKS6_NS0_5tupleIJS9_S6_EEENSD_IJSA_SA_EEENS0_18inequality_wrapperIZN2at6native12_GLOBAL__N_124unique_dim_cuda_templateIN3c104HalfEEESt5tupleIJNSH_6TensorESO_SO_EERKSO_lbbbEUlllE0_EEPmJS6_EEE10hipError_tPvRmT3_T4_T5_T6_T7_T9_mT8_P12ihipStream_tbDpT10_ENKUlT_T0_E_clISt17integral_constantIbLb0EES1E_EEDaS19_S1A_EUlS19_E_NS1_11comp_targetILNS1_3genE0ELNS1_11target_archE4294967295ELNS1_3gpuE0ELNS1_3repE0EEENS1_30default_config_static_selectorELNS0_4arch9wavefront6targetE1EEEvT1_.num_agpr, 0
	.set _ZN7rocprim17ROCPRIM_400000_NS6detail17trampoline_kernelINS0_14default_configENS1_25partition_config_selectorILNS1_17partition_subalgoE8ElNS0_10empty_typeEbEEZZNS1_14partition_implILS5_8ELb0ES3_jPlPS6_PKS6_NS0_5tupleIJS9_S6_EEENSD_IJSA_SA_EEENS0_18inequality_wrapperIZN2at6native12_GLOBAL__N_124unique_dim_cuda_templateIN3c104HalfEEESt5tupleIJNSH_6TensorESO_SO_EERKSO_lbbbEUlllE0_EEPmJS6_EEE10hipError_tPvRmT3_T4_T5_T6_T7_T9_mT8_P12ihipStream_tbDpT10_ENKUlT_T0_E_clISt17integral_constantIbLb0EES1E_EEDaS19_S1A_EUlS19_E_NS1_11comp_targetILNS1_3genE0ELNS1_11target_archE4294967295ELNS1_3gpuE0ELNS1_3repE0EEENS1_30default_config_static_selectorELNS0_4arch9wavefront6targetE1EEEvT1_.numbered_sgpr, 50
	.set _ZN7rocprim17ROCPRIM_400000_NS6detail17trampoline_kernelINS0_14default_configENS1_25partition_config_selectorILNS1_17partition_subalgoE8ElNS0_10empty_typeEbEEZZNS1_14partition_implILS5_8ELb0ES3_jPlPS6_PKS6_NS0_5tupleIJS9_S6_EEENSD_IJSA_SA_EEENS0_18inequality_wrapperIZN2at6native12_GLOBAL__N_124unique_dim_cuda_templateIN3c104HalfEEESt5tupleIJNSH_6TensorESO_SO_EERKSO_lbbbEUlllE0_EEPmJS6_EEE10hipError_tPvRmT3_T4_T5_T6_T7_T9_mT8_P12ihipStream_tbDpT10_ENKUlT_T0_E_clISt17integral_constantIbLb0EES1E_EEDaS19_S1A_EUlS19_E_NS1_11comp_targetILNS1_3genE0ELNS1_11target_archE4294967295ELNS1_3gpuE0ELNS1_3repE0EEENS1_30default_config_static_selectorELNS0_4arch9wavefront6targetE1EEEvT1_.num_named_barrier, 0
	.set _ZN7rocprim17ROCPRIM_400000_NS6detail17trampoline_kernelINS0_14default_configENS1_25partition_config_selectorILNS1_17partition_subalgoE8ElNS0_10empty_typeEbEEZZNS1_14partition_implILS5_8ELb0ES3_jPlPS6_PKS6_NS0_5tupleIJS9_S6_EEENSD_IJSA_SA_EEENS0_18inequality_wrapperIZN2at6native12_GLOBAL__N_124unique_dim_cuda_templateIN3c104HalfEEESt5tupleIJNSH_6TensorESO_SO_EERKSO_lbbbEUlllE0_EEPmJS6_EEE10hipError_tPvRmT3_T4_T5_T6_T7_T9_mT8_P12ihipStream_tbDpT10_ENKUlT_T0_E_clISt17integral_constantIbLb0EES1E_EEDaS19_S1A_EUlS19_E_NS1_11comp_targetILNS1_3genE0ELNS1_11target_archE4294967295ELNS1_3gpuE0ELNS1_3repE0EEENS1_30default_config_static_selectorELNS0_4arch9wavefront6targetE1EEEvT1_.private_seg_size, 0
	.set _ZN7rocprim17ROCPRIM_400000_NS6detail17trampoline_kernelINS0_14default_configENS1_25partition_config_selectorILNS1_17partition_subalgoE8ElNS0_10empty_typeEbEEZZNS1_14partition_implILS5_8ELb0ES3_jPlPS6_PKS6_NS0_5tupleIJS9_S6_EEENSD_IJSA_SA_EEENS0_18inequality_wrapperIZN2at6native12_GLOBAL__N_124unique_dim_cuda_templateIN3c104HalfEEESt5tupleIJNSH_6TensorESO_SO_EERKSO_lbbbEUlllE0_EEPmJS6_EEE10hipError_tPvRmT3_T4_T5_T6_T7_T9_mT8_P12ihipStream_tbDpT10_ENKUlT_T0_E_clISt17integral_constantIbLb0EES1E_EEDaS19_S1A_EUlS19_E_NS1_11comp_targetILNS1_3genE0ELNS1_11target_archE4294967295ELNS1_3gpuE0ELNS1_3repE0EEENS1_30default_config_static_selectorELNS0_4arch9wavefront6targetE1EEEvT1_.uses_vcc, 1
	.set _ZN7rocprim17ROCPRIM_400000_NS6detail17trampoline_kernelINS0_14default_configENS1_25partition_config_selectorILNS1_17partition_subalgoE8ElNS0_10empty_typeEbEEZZNS1_14partition_implILS5_8ELb0ES3_jPlPS6_PKS6_NS0_5tupleIJS9_S6_EEENSD_IJSA_SA_EEENS0_18inequality_wrapperIZN2at6native12_GLOBAL__N_124unique_dim_cuda_templateIN3c104HalfEEESt5tupleIJNSH_6TensorESO_SO_EERKSO_lbbbEUlllE0_EEPmJS6_EEE10hipError_tPvRmT3_T4_T5_T6_T7_T9_mT8_P12ihipStream_tbDpT10_ENKUlT_T0_E_clISt17integral_constantIbLb0EES1E_EEDaS19_S1A_EUlS19_E_NS1_11comp_targetILNS1_3genE0ELNS1_11target_archE4294967295ELNS1_3gpuE0ELNS1_3repE0EEENS1_30default_config_static_selectorELNS0_4arch9wavefront6targetE1EEEvT1_.uses_flat_scratch, 0
	.set _ZN7rocprim17ROCPRIM_400000_NS6detail17trampoline_kernelINS0_14default_configENS1_25partition_config_selectorILNS1_17partition_subalgoE8ElNS0_10empty_typeEbEEZZNS1_14partition_implILS5_8ELb0ES3_jPlPS6_PKS6_NS0_5tupleIJS9_S6_EEENSD_IJSA_SA_EEENS0_18inequality_wrapperIZN2at6native12_GLOBAL__N_124unique_dim_cuda_templateIN3c104HalfEEESt5tupleIJNSH_6TensorESO_SO_EERKSO_lbbbEUlllE0_EEPmJS6_EEE10hipError_tPvRmT3_T4_T5_T6_T7_T9_mT8_P12ihipStream_tbDpT10_ENKUlT_T0_E_clISt17integral_constantIbLb0EES1E_EEDaS19_S1A_EUlS19_E_NS1_11comp_targetILNS1_3genE0ELNS1_11target_archE4294967295ELNS1_3gpuE0ELNS1_3repE0EEENS1_30default_config_static_selectorELNS0_4arch9wavefront6targetE1EEEvT1_.has_dyn_sized_stack, 0
	.set _ZN7rocprim17ROCPRIM_400000_NS6detail17trampoline_kernelINS0_14default_configENS1_25partition_config_selectorILNS1_17partition_subalgoE8ElNS0_10empty_typeEbEEZZNS1_14partition_implILS5_8ELb0ES3_jPlPS6_PKS6_NS0_5tupleIJS9_S6_EEENSD_IJSA_SA_EEENS0_18inequality_wrapperIZN2at6native12_GLOBAL__N_124unique_dim_cuda_templateIN3c104HalfEEESt5tupleIJNSH_6TensorESO_SO_EERKSO_lbbbEUlllE0_EEPmJS6_EEE10hipError_tPvRmT3_T4_T5_T6_T7_T9_mT8_P12ihipStream_tbDpT10_ENKUlT_T0_E_clISt17integral_constantIbLb0EES1E_EEDaS19_S1A_EUlS19_E_NS1_11comp_targetILNS1_3genE0ELNS1_11target_archE4294967295ELNS1_3gpuE0ELNS1_3repE0EEENS1_30default_config_static_selectorELNS0_4arch9wavefront6targetE1EEEvT1_.has_recursion, 0
	.set _ZN7rocprim17ROCPRIM_400000_NS6detail17trampoline_kernelINS0_14default_configENS1_25partition_config_selectorILNS1_17partition_subalgoE8ElNS0_10empty_typeEbEEZZNS1_14partition_implILS5_8ELb0ES3_jPlPS6_PKS6_NS0_5tupleIJS9_S6_EEENSD_IJSA_SA_EEENS0_18inequality_wrapperIZN2at6native12_GLOBAL__N_124unique_dim_cuda_templateIN3c104HalfEEESt5tupleIJNSH_6TensorESO_SO_EERKSO_lbbbEUlllE0_EEPmJS6_EEE10hipError_tPvRmT3_T4_T5_T6_T7_T9_mT8_P12ihipStream_tbDpT10_ENKUlT_T0_E_clISt17integral_constantIbLb0EES1E_EEDaS19_S1A_EUlS19_E_NS1_11comp_targetILNS1_3genE0ELNS1_11target_archE4294967295ELNS1_3gpuE0ELNS1_3repE0EEENS1_30default_config_static_selectorELNS0_4arch9wavefront6targetE1EEEvT1_.has_indirect_call, 0
	.section	.AMDGPU.csdata,"",@progbits
; Kernel info:
; codeLenInByte = 10796
; TotalNumSgprs: 56
; NumVgprs: 58
; NumAgprs: 0
; TotalNumVgprs: 58
; ScratchSize: 0
; MemoryBound: 0
; FloatMode: 240
; IeeeMode: 1
; LDSByteSize: 28680 bytes/workgroup (compile time only)
; SGPRBlocks: 6
; VGPRBlocks: 7
; NumSGPRsForWavesPerEU: 56
; NumVGPRsForWavesPerEU: 58
; AccumOffset: 60
; Occupancy: 8
; WaveLimiterHint : 1
; COMPUTE_PGM_RSRC2:SCRATCH_EN: 0
; COMPUTE_PGM_RSRC2:USER_SGPR: 2
; COMPUTE_PGM_RSRC2:TRAP_HANDLER: 0
; COMPUTE_PGM_RSRC2:TGID_X_EN: 1
; COMPUTE_PGM_RSRC2:TGID_Y_EN: 0
; COMPUTE_PGM_RSRC2:TGID_Z_EN: 0
; COMPUTE_PGM_RSRC2:TIDIG_COMP_CNT: 0
; COMPUTE_PGM_RSRC3_GFX90A:ACCUM_OFFSET: 14
; COMPUTE_PGM_RSRC3_GFX90A:TG_SPLIT: 0
	.section	.text._ZN7rocprim17ROCPRIM_400000_NS6detail17trampoline_kernelINS0_14default_configENS1_25partition_config_selectorILNS1_17partition_subalgoE8ElNS0_10empty_typeEbEEZZNS1_14partition_implILS5_8ELb0ES3_jPlPS6_PKS6_NS0_5tupleIJS9_S6_EEENSD_IJSA_SA_EEENS0_18inequality_wrapperIZN2at6native12_GLOBAL__N_124unique_dim_cuda_templateIN3c104HalfEEESt5tupleIJNSH_6TensorESO_SO_EERKSO_lbbbEUlllE0_EEPmJS6_EEE10hipError_tPvRmT3_T4_T5_T6_T7_T9_mT8_P12ihipStream_tbDpT10_ENKUlT_T0_E_clISt17integral_constantIbLb0EES1E_EEDaS19_S1A_EUlS19_E_NS1_11comp_targetILNS1_3genE5ELNS1_11target_archE942ELNS1_3gpuE9ELNS1_3repE0EEENS1_30default_config_static_selectorELNS0_4arch9wavefront6targetE1EEEvT1_,"axG",@progbits,_ZN7rocprim17ROCPRIM_400000_NS6detail17trampoline_kernelINS0_14default_configENS1_25partition_config_selectorILNS1_17partition_subalgoE8ElNS0_10empty_typeEbEEZZNS1_14partition_implILS5_8ELb0ES3_jPlPS6_PKS6_NS0_5tupleIJS9_S6_EEENSD_IJSA_SA_EEENS0_18inequality_wrapperIZN2at6native12_GLOBAL__N_124unique_dim_cuda_templateIN3c104HalfEEESt5tupleIJNSH_6TensorESO_SO_EERKSO_lbbbEUlllE0_EEPmJS6_EEE10hipError_tPvRmT3_T4_T5_T6_T7_T9_mT8_P12ihipStream_tbDpT10_ENKUlT_T0_E_clISt17integral_constantIbLb0EES1E_EEDaS19_S1A_EUlS19_E_NS1_11comp_targetILNS1_3genE5ELNS1_11target_archE942ELNS1_3gpuE9ELNS1_3repE0EEENS1_30default_config_static_selectorELNS0_4arch9wavefront6targetE1EEEvT1_,comdat
	.globl	_ZN7rocprim17ROCPRIM_400000_NS6detail17trampoline_kernelINS0_14default_configENS1_25partition_config_selectorILNS1_17partition_subalgoE8ElNS0_10empty_typeEbEEZZNS1_14partition_implILS5_8ELb0ES3_jPlPS6_PKS6_NS0_5tupleIJS9_S6_EEENSD_IJSA_SA_EEENS0_18inequality_wrapperIZN2at6native12_GLOBAL__N_124unique_dim_cuda_templateIN3c104HalfEEESt5tupleIJNSH_6TensorESO_SO_EERKSO_lbbbEUlllE0_EEPmJS6_EEE10hipError_tPvRmT3_T4_T5_T6_T7_T9_mT8_P12ihipStream_tbDpT10_ENKUlT_T0_E_clISt17integral_constantIbLb0EES1E_EEDaS19_S1A_EUlS19_E_NS1_11comp_targetILNS1_3genE5ELNS1_11target_archE942ELNS1_3gpuE9ELNS1_3repE0EEENS1_30default_config_static_selectorELNS0_4arch9wavefront6targetE1EEEvT1_ ; -- Begin function _ZN7rocprim17ROCPRIM_400000_NS6detail17trampoline_kernelINS0_14default_configENS1_25partition_config_selectorILNS1_17partition_subalgoE8ElNS0_10empty_typeEbEEZZNS1_14partition_implILS5_8ELb0ES3_jPlPS6_PKS6_NS0_5tupleIJS9_S6_EEENSD_IJSA_SA_EEENS0_18inequality_wrapperIZN2at6native12_GLOBAL__N_124unique_dim_cuda_templateIN3c104HalfEEESt5tupleIJNSH_6TensorESO_SO_EERKSO_lbbbEUlllE0_EEPmJS6_EEE10hipError_tPvRmT3_T4_T5_T6_T7_T9_mT8_P12ihipStream_tbDpT10_ENKUlT_T0_E_clISt17integral_constantIbLb0EES1E_EEDaS19_S1A_EUlS19_E_NS1_11comp_targetILNS1_3genE5ELNS1_11target_archE942ELNS1_3gpuE9ELNS1_3repE0EEENS1_30default_config_static_selectorELNS0_4arch9wavefront6targetE1EEEvT1_
	.p2align	8
	.type	_ZN7rocprim17ROCPRIM_400000_NS6detail17trampoline_kernelINS0_14default_configENS1_25partition_config_selectorILNS1_17partition_subalgoE8ElNS0_10empty_typeEbEEZZNS1_14partition_implILS5_8ELb0ES3_jPlPS6_PKS6_NS0_5tupleIJS9_S6_EEENSD_IJSA_SA_EEENS0_18inequality_wrapperIZN2at6native12_GLOBAL__N_124unique_dim_cuda_templateIN3c104HalfEEESt5tupleIJNSH_6TensorESO_SO_EERKSO_lbbbEUlllE0_EEPmJS6_EEE10hipError_tPvRmT3_T4_T5_T6_T7_T9_mT8_P12ihipStream_tbDpT10_ENKUlT_T0_E_clISt17integral_constantIbLb0EES1E_EEDaS19_S1A_EUlS19_E_NS1_11comp_targetILNS1_3genE5ELNS1_11target_archE942ELNS1_3gpuE9ELNS1_3repE0EEENS1_30default_config_static_selectorELNS0_4arch9wavefront6targetE1EEEvT1_,@function
_ZN7rocprim17ROCPRIM_400000_NS6detail17trampoline_kernelINS0_14default_configENS1_25partition_config_selectorILNS1_17partition_subalgoE8ElNS0_10empty_typeEbEEZZNS1_14partition_implILS5_8ELb0ES3_jPlPS6_PKS6_NS0_5tupleIJS9_S6_EEENSD_IJSA_SA_EEENS0_18inequality_wrapperIZN2at6native12_GLOBAL__N_124unique_dim_cuda_templateIN3c104HalfEEESt5tupleIJNSH_6TensorESO_SO_EERKSO_lbbbEUlllE0_EEPmJS6_EEE10hipError_tPvRmT3_T4_T5_T6_T7_T9_mT8_P12ihipStream_tbDpT10_ENKUlT_T0_E_clISt17integral_constantIbLb0EES1E_EEDaS19_S1A_EUlS19_E_NS1_11comp_targetILNS1_3genE5ELNS1_11target_archE942ELNS1_3gpuE9ELNS1_3repE0EEENS1_30default_config_static_selectorELNS0_4arch9wavefront6targetE1EEEvT1_: ; @_ZN7rocprim17ROCPRIM_400000_NS6detail17trampoline_kernelINS0_14default_configENS1_25partition_config_selectorILNS1_17partition_subalgoE8ElNS0_10empty_typeEbEEZZNS1_14partition_implILS5_8ELb0ES3_jPlPS6_PKS6_NS0_5tupleIJS9_S6_EEENSD_IJSA_SA_EEENS0_18inequality_wrapperIZN2at6native12_GLOBAL__N_124unique_dim_cuda_templateIN3c104HalfEEESt5tupleIJNSH_6TensorESO_SO_EERKSO_lbbbEUlllE0_EEPmJS6_EEE10hipError_tPvRmT3_T4_T5_T6_T7_T9_mT8_P12ihipStream_tbDpT10_ENKUlT_T0_E_clISt17integral_constantIbLb0EES1E_EEDaS19_S1A_EUlS19_E_NS1_11comp_targetILNS1_3genE5ELNS1_11target_archE942ELNS1_3gpuE9ELNS1_3repE0EEENS1_30default_config_static_selectorELNS0_4arch9wavefront6targetE1EEEvT1_
; %bb.0:
	.section	.rodata,"a",@progbits
	.p2align	6, 0x0
	.amdhsa_kernel _ZN7rocprim17ROCPRIM_400000_NS6detail17trampoline_kernelINS0_14default_configENS1_25partition_config_selectorILNS1_17partition_subalgoE8ElNS0_10empty_typeEbEEZZNS1_14partition_implILS5_8ELb0ES3_jPlPS6_PKS6_NS0_5tupleIJS9_S6_EEENSD_IJSA_SA_EEENS0_18inequality_wrapperIZN2at6native12_GLOBAL__N_124unique_dim_cuda_templateIN3c104HalfEEESt5tupleIJNSH_6TensorESO_SO_EERKSO_lbbbEUlllE0_EEPmJS6_EEE10hipError_tPvRmT3_T4_T5_T6_T7_T9_mT8_P12ihipStream_tbDpT10_ENKUlT_T0_E_clISt17integral_constantIbLb0EES1E_EEDaS19_S1A_EUlS19_E_NS1_11comp_targetILNS1_3genE5ELNS1_11target_archE942ELNS1_3gpuE9ELNS1_3repE0EEENS1_30default_config_static_selectorELNS0_4arch9wavefront6targetE1EEEvT1_
		.amdhsa_group_segment_fixed_size 0
		.amdhsa_private_segment_fixed_size 0
		.amdhsa_kernarg_size 120
		.amdhsa_user_sgpr_count 2
		.amdhsa_user_sgpr_dispatch_ptr 0
		.amdhsa_user_sgpr_queue_ptr 0
		.amdhsa_user_sgpr_kernarg_segment_ptr 1
		.amdhsa_user_sgpr_dispatch_id 0
		.amdhsa_user_sgpr_kernarg_preload_length 0
		.amdhsa_user_sgpr_kernarg_preload_offset 0
		.amdhsa_user_sgpr_private_segment_size 0
		.amdhsa_uses_dynamic_stack 0
		.amdhsa_enable_private_segment 0
		.amdhsa_system_sgpr_workgroup_id_x 1
		.amdhsa_system_sgpr_workgroup_id_y 0
		.amdhsa_system_sgpr_workgroup_id_z 0
		.amdhsa_system_sgpr_workgroup_info 0
		.amdhsa_system_vgpr_workitem_id 0
		.amdhsa_next_free_vgpr 1
		.amdhsa_next_free_sgpr 0
		.amdhsa_accum_offset 4
		.amdhsa_reserve_vcc 0
		.amdhsa_float_round_mode_32 0
		.amdhsa_float_round_mode_16_64 0
		.amdhsa_float_denorm_mode_32 3
		.amdhsa_float_denorm_mode_16_64 3
		.amdhsa_dx10_clamp 1
		.amdhsa_ieee_mode 1
		.amdhsa_fp16_overflow 0
		.amdhsa_tg_split 0
		.amdhsa_exception_fp_ieee_invalid_op 0
		.amdhsa_exception_fp_denorm_src 0
		.amdhsa_exception_fp_ieee_div_zero 0
		.amdhsa_exception_fp_ieee_overflow 0
		.amdhsa_exception_fp_ieee_underflow 0
		.amdhsa_exception_fp_ieee_inexact 0
		.amdhsa_exception_int_div_zero 0
	.end_amdhsa_kernel
	.section	.text._ZN7rocprim17ROCPRIM_400000_NS6detail17trampoline_kernelINS0_14default_configENS1_25partition_config_selectorILNS1_17partition_subalgoE8ElNS0_10empty_typeEbEEZZNS1_14partition_implILS5_8ELb0ES3_jPlPS6_PKS6_NS0_5tupleIJS9_S6_EEENSD_IJSA_SA_EEENS0_18inequality_wrapperIZN2at6native12_GLOBAL__N_124unique_dim_cuda_templateIN3c104HalfEEESt5tupleIJNSH_6TensorESO_SO_EERKSO_lbbbEUlllE0_EEPmJS6_EEE10hipError_tPvRmT3_T4_T5_T6_T7_T9_mT8_P12ihipStream_tbDpT10_ENKUlT_T0_E_clISt17integral_constantIbLb0EES1E_EEDaS19_S1A_EUlS19_E_NS1_11comp_targetILNS1_3genE5ELNS1_11target_archE942ELNS1_3gpuE9ELNS1_3repE0EEENS1_30default_config_static_selectorELNS0_4arch9wavefront6targetE1EEEvT1_,"axG",@progbits,_ZN7rocprim17ROCPRIM_400000_NS6detail17trampoline_kernelINS0_14default_configENS1_25partition_config_selectorILNS1_17partition_subalgoE8ElNS0_10empty_typeEbEEZZNS1_14partition_implILS5_8ELb0ES3_jPlPS6_PKS6_NS0_5tupleIJS9_S6_EEENSD_IJSA_SA_EEENS0_18inequality_wrapperIZN2at6native12_GLOBAL__N_124unique_dim_cuda_templateIN3c104HalfEEESt5tupleIJNSH_6TensorESO_SO_EERKSO_lbbbEUlllE0_EEPmJS6_EEE10hipError_tPvRmT3_T4_T5_T6_T7_T9_mT8_P12ihipStream_tbDpT10_ENKUlT_T0_E_clISt17integral_constantIbLb0EES1E_EEDaS19_S1A_EUlS19_E_NS1_11comp_targetILNS1_3genE5ELNS1_11target_archE942ELNS1_3gpuE9ELNS1_3repE0EEENS1_30default_config_static_selectorELNS0_4arch9wavefront6targetE1EEEvT1_,comdat
.Lfunc_end1298:
	.size	_ZN7rocprim17ROCPRIM_400000_NS6detail17trampoline_kernelINS0_14default_configENS1_25partition_config_selectorILNS1_17partition_subalgoE8ElNS0_10empty_typeEbEEZZNS1_14partition_implILS5_8ELb0ES3_jPlPS6_PKS6_NS0_5tupleIJS9_S6_EEENSD_IJSA_SA_EEENS0_18inequality_wrapperIZN2at6native12_GLOBAL__N_124unique_dim_cuda_templateIN3c104HalfEEESt5tupleIJNSH_6TensorESO_SO_EERKSO_lbbbEUlllE0_EEPmJS6_EEE10hipError_tPvRmT3_T4_T5_T6_T7_T9_mT8_P12ihipStream_tbDpT10_ENKUlT_T0_E_clISt17integral_constantIbLb0EES1E_EEDaS19_S1A_EUlS19_E_NS1_11comp_targetILNS1_3genE5ELNS1_11target_archE942ELNS1_3gpuE9ELNS1_3repE0EEENS1_30default_config_static_selectorELNS0_4arch9wavefront6targetE1EEEvT1_, .Lfunc_end1298-_ZN7rocprim17ROCPRIM_400000_NS6detail17trampoline_kernelINS0_14default_configENS1_25partition_config_selectorILNS1_17partition_subalgoE8ElNS0_10empty_typeEbEEZZNS1_14partition_implILS5_8ELb0ES3_jPlPS6_PKS6_NS0_5tupleIJS9_S6_EEENSD_IJSA_SA_EEENS0_18inequality_wrapperIZN2at6native12_GLOBAL__N_124unique_dim_cuda_templateIN3c104HalfEEESt5tupleIJNSH_6TensorESO_SO_EERKSO_lbbbEUlllE0_EEPmJS6_EEE10hipError_tPvRmT3_T4_T5_T6_T7_T9_mT8_P12ihipStream_tbDpT10_ENKUlT_T0_E_clISt17integral_constantIbLb0EES1E_EEDaS19_S1A_EUlS19_E_NS1_11comp_targetILNS1_3genE5ELNS1_11target_archE942ELNS1_3gpuE9ELNS1_3repE0EEENS1_30default_config_static_selectorELNS0_4arch9wavefront6targetE1EEEvT1_
                                        ; -- End function
	.set _ZN7rocprim17ROCPRIM_400000_NS6detail17trampoline_kernelINS0_14default_configENS1_25partition_config_selectorILNS1_17partition_subalgoE8ElNS0_10empty_typeEbEEZZNS1_14partition_implILS5_8ELb0ES3_jPlPS6_PKS6_NS0_5tupleIJS9_S6_EEENSD_IJSA_SA_EEENS0_18inequality_wrapperIZN2at6native12_GLOBAL__N_124unique_dim_cuda_templateIN3c104HalfEEESt5tupleIJNSH_6TensorESO_SO_EERKSO_lbbbEUlllE0_EEPmJS6_EEE10hipError_tPvRmT3_T4_T5_T6_T7_T9_mT8_P12ihipStream_tbDpT10_ENKUlT_T0_E_clISt17integral_constantIbLb0EES1E_EEDaS19_S1A_EUlS19_E_NS1_11comp_targetILNS1_3genE5ELNS1_11target_archE942ELNS1_3gpuE9ELNS1_3repE0EEENS1_30default_config_static_selectorELNS0_4arch9wavefront6targetE1EEEvT1_.num_vgpr, 0
	.set _ZN7rocprim17ROCPRIM_400000_NS6detail17trampoline_kernelINS0_14default_configENS1_25partition_config_selectorILNS1_17partition_subalgoE8ElNS0_10empty_typeEbEEZZNS1_14partition_implILS5_8ELb0ES3_jPlPS6_PKS6_NS0_5tupleIJS9_S6_EEENSD_IJSA_SA_EEENS0_18inequality_wrapperIZN2at6native12_GLOBAL__N_124unique_dim_cuda_templateIN3c104HalfEEESt5tupleIJNSH_6TensorESO_SO_EERKSO_lbbbEUlllE0_EEPmJS6_EEE10hipError_tPvRmT3_T4_T5_T6_T7_T9_mT8_P12ihipStream_tbDpT10_ENKUlT_T0_E_clISt17integral_constantIbLb0EES1E_EEDaS19_S1A_EUlS19_E_NS1_11comp_targetILNS1_3genE5ELNS1_11target_archE942ELNS1_3gpuE9ELNS1_3repE0EEENS1_30default_config_static_selectorELNS0_4arch9wavefront6targetE1EEEvT1_.num_agpr, 0
	.set _ZN7rocprim17ROCPRIM_400000_NS6detail17trampoline_kernelINS0_14default_configENS1_25partition_config_selectorILNS1_17partition_subalgoE8ElNS0_10empty_typeEbEEZZNS1_14partition_implILS5_8ELb0ES3_jPlPS6_PKS6_NS0_5tupleIJS9_S6_EEENSD_IJSA_SA_EEENS0_18inequality_wrapperIZN2at6native12_GLOBAL__N_124unique_dim_cuda_templateIN3c104HalfEEESt5tupleIJNSH_6TensorESO_SO_EERKSO_lbbbEUlllE0_EEPmJS6_EEE10hipError_tPvRmT3_T4_T5_T6_T7_T9_mT8_P12ihipStream_tbDpT10_ENKUlT_T0_E_clISt17integral_constantIbLb0EES1E_EEDaS19_S1A_EUlS19_E_NS1_11comp_targetILNS1_3genE5ELNS1_11target_archE942ELNS1_3gpuE9ELNS1_3repE0EEENS1_30default_config_static_selectorELNS0_4arch9wavefront6targetE1EEEvT1_.numbered_sgpr, 0
	.set _ZN7rocprim17ROCPRIM_400000_NS6detail17trampoline_kernelINS0_14default_configENS1_25partition_config_selectorILNS1_17partition_subalgoE8ElNS0_10empty_typeEbEEZZNS1_14partition_implILS5_8ELb0ES3_jPlPS6_PKS6_NS0_5tupleIJS9_S6_EEENSD_IJSA_SA_EEENS0_18inequality_wrapperIZN2at6native12_GLOBAL__N_124unique_dim_cuda_templateIN3c104HalfEEESt5tupleIJNSH_6TensorESO_SO_EERKSO_lbbbEUlllE0_EEPmJS6_EEE10hipError_tPvRmT3_T4_T5_T6_T7_T9_mT8_P12ihipStream_tbDpT10_ENKUlT_T0_E_clISt17integral_constantIbLb0EES1E_EEDaS19_S1A_EUlS19_E_NS1_11comp_targetILNS1_3genE5ELNS1_11target_archE942ELNS1_3gpuE9ELNS1_3repE0EEENS1_30default_config_static_selectorELNS0_4arch9wavefront6targetE1EEEvT1_.num_named_barrier, 0
	.set _ZN7rocprim17ROCPRIM_400000_NS6detail17trampoline_kernelINS0_14default_configENS1_25partition_config_selectorILNS1_17partition_subalgoE8ElNS0_10empty_typeEbEEZZNS1_14partition_implILS5_8ELb0ES3_jPlPS6_PKS6_NS0_5tupleIJS9_S6_EEENSD_IJSA_SA_EEENS0_18inequality_wrapperIZN2at6native12_GLOBAL__N_124unique_dim_cuda_templateIN3c104HalfEEESt5tupleIJNSH_6TensorESO_SO_EERKSO_lbbbEUlllE0_EEPmJS6_EEE10hipError_tPvRmT3_T4_T5_T6_T7_T9_mT8_P12ihipStream_tbDpT10_ENKUlT_T0_E_clISt17integral_constantIbLb0EES1E_EEDaS19_S1A_EUlS19_E_NS1_11comp_targetILNS1_3genE5ELNS1_11target_archE942ELNS1_3gpuE9ELNS1_3repE0EEENS1_30default_config_static_selectorELNS0_4arch9wavefront6targetE1EEEvT1_.private_seg_size, 0
	.set _ZN7rocprim17ROCPRIM_400000_NS6detail17trampoline_kernelINS0_14default_configENS1_25partition_config_selectorILNS1_17partition_subalgoE8ElNS0_10empty_typeEbEEZZNS1_14partition_implILS5_8ELb0ES3_jPlPS6_PKS6_NS0_5tupleIJS9_S6_EEENSD_IJSA_SA_EEENS0_18inequality_wrapperIZN2at6native12_GLOBAL__N_124unique_dim_cuda_templateIN3c104HalfEEESt5tupleIJNSH_6TensorESO_SO_EERKSO_lbbbEUlllE0_EEPmJS6_EEE10hipError_tPvRmT3_T4_T5_T6_T7_T9_mT8_P12ihipStream_tbDpT10_ENKUlT_T0_E_clISt17integral_constantIbLb0EES1E_EEDaS19_S1A_EUlS19_E_NS1_11comp_targetILNS1_3genE5ELNS1_11target_archE942ELNS1_3gpuE9ELNS1_3repE0EEENS1_30default_config_static_selectorELNS0_4arch9wavefront6targetE1EEEvT1_.uses_vcc, 0
	.set _ZN7rocprim17ROCPRIM_400000_NS6detail17trampoline_kernelINS0_14default_configENS1_25partition_config_selectorILNS1_17partition_subalgoE8ElNS0_10empty_typeEbEEZZNS1_14partition_implILS5_8ELb0ES3_jPlPS6_PKS6_NS0_5tupleIJS9_S6_EEENSD_IJSA_SA_EEENS0_18inequality_wrapperIZN2at6native12_GLOBAL__N_124unique_dim_cuda_templateIN3c104HalfEEESt5tupleIJNSH_6TensorESO_SO_EERKSO_lbbbEUlllE0_EEPmJS6_EEE10hipError_tPvRmT3_T4_T5_T6_T7_T9_mT8_P12ihipStream_tbDpT10_ENKUlT_T0_E_clISt17integral_constantIbLb0EES1E_EEDaS19_S1A_EUlS19_E_NS1_11comp_targetILNS1_3genE5ELNS1_11target_archE942ELNS1_3gpuE9ELNS1_3repE0EEENS1_30default_config_static_selectorELNS0_4arch9wavefront6targetE1EEEvT1_.uses_flat_scratch, 0
	.set _ZN7rocprim17ROCPRIM_400000_NS6detail17trampoline_kernelINS0_14default_configENS1_25partition_config_selectorILNS1_17partition_subalgoE8ElNS0_10empty_typeEbEEZZNS1_14partition_implILS5_8ELb0ES3_jPlPS6_PKS6_NS0_5tupleIJS9_S6_EEENSD_IJSA_SA_EEENS0_18inequality_wrapperIZN2at6native12_GLOBAL__N_124unique_dim_cuda_templateIN3c104HalfEEESt5tupleIJNSH_6TensorESO_SO_EERKSO_lbbbEUlllE0_EEPmJS6_EEE10hipError_tPvRmT3_T4_T5_T6_T7_T9_mT8_P12ihipStream_tbDpT10_ENKUlT_T0_E_clISt17integral_constantIbLb0EES1E_EEDaS19_S1A_EUlS19_E_NS1_11comp_targetILNS1_3genE5ELNS1_11target_archE942ELNS1_3gpuE9ELNS1_3repE0EEENS1_30default_config_static_selectorELNS0_4arch9wavefront6targetE1EEEvT1_.has_dyn_sized_stack, 0
	.set _ZN7rocprim17ROCPRIM_400000_NS6detail17trampoline_kernelINS0_14default_configENS1_25partition_config_selectorILNS1_17partition_subalgoE8ElNS0_10empty_typeEbEEZZNS1_14partition_implILS5_8ELb0ES3_jPlPS6_PKS6_NS0_5tupleIJS9_S6_EEENSD_IJSA_SA_EEENS0_18inequality_wrapperIZN2at6native12_GLOBAL__N_124unique_dim_cuda_templateIN3c104HalfEEESt5tupleIJNSH_6TensorESO_SO_EERKSO_lbbbEUlllE0_EEPmJS6_EEE10hipError_tPvRmT3_T4_T5_T6_T7_T9_mT8_P12ihipStream_tbDpT10_ENKUlT_T0_E_clISt17integral_constantIbLb0EES1E_EEDaS19_S1A_EUlS19_E_NS1_11comp_targetILNS1_3genE5ELNS1_11target_archE942ELNS1_3gpuE9ELNS1_3repE0EEENS1_30default_config_static_selectorELNS0_4arch9wavefront6targetE1EEEvT1_.has_recursion, 0
	.set _ZN7rocprim17ROCPRIM_400000_NS6detail17trampoline_kernelINS0_14default_configENS1_25partition_config_selectorILNS1_17partition_subalgoE8ElNS0_10empty_typeEbEEZZNS1_14partition_implILS5_8ELb0ES3_jPlPS6_PKS6_NS0_5tupleIJS9_S6_EEENSD_IJSA_SA_EEENS0_18inequality_wrapperIZN2at6native12_GLOBAL__N_124unique_dim_cuda_templateIN3c104HalfEEESt5tupleIJNSH_6TensorESO_SO_EERKSO_lbbbEUlllE0_EEPmJS6_EEE10hipError_tPvRmT3_T4_T5_T6_T7_T9_mT8_P12ihipStream_tbDpT10_ENKUlT_T0_E_clISt17integral_constantIbLb0EES1E_EEDaS19_S1A_EUlS19_E_NS1_11comp_targetILNS1_3genE5ELNS1_11target_archE942ELNS1_3gpuE9ELNS1_3repE0EEENS1_30default_config_static_selectorELNS0_4arch9wavefront6targetE1EEEvT1_.has_indirect_call, 0
	.section	.AMDGPU.csdata,"",@progbits
; Kernel info:
; codeLenInByte = 0
; TotalNumSgprs: 6
; NumVgprs: 0
; NumAgprs: 0
; TotalNumVgprs: 0
; ScratchSize: 0
; MemoryBound: 0
; FloatMode: 240
; IeeeMode: 1
; LDSByteSize: 0 bytes/workgroup (compile time only)
; SGPRBlocks: 0
; VGPRBlocks: 0
; NumSGPRsForWavesPerEU: 6
; NumVGPRsForWavesPerEU: 1
; AccumOffset: 4
; Occupancy: 8
; WaveLimiterHint : 0
; COMPUTE_PGM_RSRC2:SCRATCH_EN: 0
; COMPUTE_PGM_RSRC2:USER_SGPR: 2
; COMPUTE_PGM_RSRC2:TRAP_HANDLER: 0
; COMPUTE_PGM_RSRC2:TGID_X_EN: 1
; COMPUTE_PGM_RSRC2:TGID_Y_EN: 0
; COMPUTE_PGM_RSRC2:TGID_Z_EN: 0
; COMPUTE_PGM_RSRC2:TIDIG_COMP_CNT: 0
; COMPUTE_PGM_RSRC3_GFX90A:ACCUM_OFFSET: 0
; COMPUTE_PGM_RSRC3_GFX90A:TG_SPLIT: 0
	.section	.text._ZN7rocprim17ROCPRIM_400000_NS6detail17trampoline_kernelINS0_14default_configENS1_25partition_config_selectorILNS1_17partition_subalgoE8ElNS0_10empty_typeEbEEZZNS1_14partition_implILS5_8ELb0ES3_jPlPS6_PKS6_NS0_5tupleIJS9_S6_EEENSD_IJSA_SA_EEENS0_18inequality_wrapperIZN2at6native12_GLOBAL__N_124unique_dim_cuda_templateIN3c104HalfEEESt5tupleIJNSH_6TensorESO_SO_EERKSO_lbbbEUlllE0_EEPmJS6_EEE10hipError_tPvRmT3_T4_T5_T6_T7_T9_mT8_P12ihipStream_tbDpT10_ENKUlT_T0_E_clISt17integral_constantIbLb0EES1E_EEDaS19_S1A_EUlS19_E_NS1_11comp_targetILNS1_3genE4ELNS1_11target_archE910ELNS1_3gpuE8ELNS1_3repE0EEENS1_30default_config_static_selectorELNS0_4arch9wavefront6targetE1EEEvT1_,"axG",@progbits,_ZN7rocprim17ROCPRIM_400000_NS6detail17trampoline_kernelINS0_14default_configENS1_25partition_config_selectorILNS1_17partition_subalgoE8ElNS0_10empty_typeEbEEZZNS1_14partition_implILS5_8ELb0ES3_jPlPS6_PKS6_NS0_5tupleIJS9_S6_EEENSD_IJSA_SA_EEENS0_18inequality_wrapperIZN2at6native12_GLOBAL__N_124unique_dim_cuda_templateIN3c104HalfEEESt5tupleIJNSH_6TensorESO_SO_EERKSO_lbbbEUlllE0_EEPmJS6_EEE10hipError_tPvRmT3_T4_T5_T6_T7_T9_mT8_P12ihipStream_tbDpT10_ENKUlT_T0_E_clISt17integral_constantIbLb0EES1E_EEDaS19_S1A_EUlS19_E_NS1_11comp_targetILNS1_3genE4ELNS1_11target_archE910ELNS1_3gpuE8ELNS1_3repE0EEENS1_30default_config_static_selectorELNS0_4arch9wavefront6targetE1EEEvT1_,comdat
	.globl	_ZN7rocprim17ROCPRIM_400000_NS6detail17trampoline_kernelINS0_14default_configENS1_25partition_config_selectorILNS1_17partition_subalgoE8ElNS0_10empty_typeEbEEZZNS1_14partition_implILS5_8ELb0ES3_jPlPS6_PKS6_NS0_5tupleIJS9_S6_EEENSD_IJSA_SA_EEENS0_18inequality_wrapperIZN2at6native12_GLOBAL__N_124unique_dim_cuda_templateIN3c104HalfEEESt5tupleIJNSH_6TensorESO_SO_EERKSO_lbbbEUlllE0_EEPmJS6_EEE10hipError_tPvRmT3_T4_T5_T6_T7_T9_mT8_P12ihipStream_tbDpT10_ENKUlT_T0_E_clISt17integral_constantIbLb0EES1E_EEDaS19_S1A_EUlS19_E_NS1_11comp_targetILNS1_3genE4ELNS1_11target_archE910ELNS1_3gpuE8ELNS1_3repE0EEENS1_30default_config_static_selectorELNS0_4arch9wavefront6targetE1EEEvT1_ ; -- Begin function _ZN7rocprim17ROCPRIM_400000_NS6detail17trampoline_kernelINS0_14default_configENS1_25partition_config_selectorILNS1_17partition_subalgoE8ElNS0_10empty_typeEbEEZZNS1_14partition_implILS5_8ELb0ES3_jPlPS6_PKS6_NS0_5tupleIJS9_S6_EEENSD_IJSA_SA_EEENS0_18inequality_wrapperIZN2at6native12_GLOBAL__N_124unique_dim_cuda_templateIN3c104HalfEEESt5tupleIJNSH_6TensorESO_SO_EERKSO_lbbbEUlllE0_EEPmJS6_EEE10hipError_tPvRmT3_T4_T5_T6_T7_T9_mT8_P12ihipStream_tbDpT10_ENKUlT_T0_E_clISt17integral_constantIbLb0EES1E_EEDaS19_S1A_EUlS19_E_NS1_11comp_targetILNS1_3genE4ELNS1_11target_archE910ELNS1_3gpuE8ELNS1_3repE0EEENS1_30default_config_static_selectorELNS0_4arch9wavefront6targetE1EEEvT1_
	.p2align	8
	.type	_ZN7rocprim17ROCPRIM_400000_NS6detail17trampoline_kernelINS0_14default_configENS1_25partition_config_selectorILNS1_17partition_subalgoE8ElNS0_10empty_typeEbEEZZNS1_14partition_implILS5_8ELb0ES3_jPlPS6_PKS6_NS0_5tupleIJS9_S6_EEENSD_IJSA_SA_EEENS0_18inequality_wrapperIZN2at6native12_GLOBAL__N_124unique_dim_cuda_templateIN3c104HalfEEESt5tupleIJNSH_6TensorESO_SO_EERKSO_lbbbEUlllE0_EEPmJS6_EEE10hipError_tPvRmT3_T4_T5_T6_T7_T9_mT8_P12ihipStream_tbDpT10_ENKUlT_T0_E_clISt17integral_constantIbLb0EES1E_EEDaS19_S1A_EUlS19_E_NS1_11comp_targetILNS1_3genE4ELNS1_11target_archE910ELNS1_3gpuE8ELNS1_3repE0EEENS1_30default_config_static_selectorELNS0_4arch9wavefront6targetE1EEEvT1_,@function
_ZN7rocprim17ROCPRIM_400000_NS6detail17trampoline_kernelINS0_14default_configENS1_25partition_config_selectorILNS1_17partition_subalgoE8ElNS0_10empty_typeEbEEZZNS1_14partition_implILS5_8ELb0ES3_jPlPS6_PKS6_NS0_5tupleIJS9_S6_EEENSD_IJSA_SA_EEENS0_18inequality_wrapperIZN2at6native12_GLOBAL__N_124unique_dim_cuda_templateIN3c104HalfEEESt5tupleIJNSH_6TensorESO_SO_EERKSO_lbbbEUlllE0_EEPmJS6_EEE10hipError_tPvRmT3_T4_T5_T6_T7_T9_mT8_P12ihipStream_tbDpT10_ENKUlT_T0_E_clISt17integral_constantIbLb0EES1E_EEDaS19_S1A_EUlS19_E_NS1_11comp_targetILNS1_3genE4ELNS1_11target_archE910ELNS1_3gpuE8ELNS1_3repE0EEENS1_30default_config_static_selectorELNS0_4arch9wavefront6targetE1EEEvT1_: ; @_ZN7rocprim17ROCPRIM_400000_NS6detail17trampoline_kernelINS0_14default_configENS1_25partition_config_selectorILNS1_17partition_subalgoE8ElNS0_10empty_typeEbEEZZNS1_14partition_implILS5_8ELb0ES3_jPlPS6_PKS6_NS0_5tupleIJS9_S6_EEENSD_IJSA_SA_EEENS0_18inequality_wrapperIZN2at6native12_GLOBAL__N_124unique_dim_cuda_templateIN3c104HalfEEESt5tupleIJNSH_6TensorESO_SO_EERKSO_lbbbEUlllE0_EEPmJS6_EEE10hipError_tPvRmT3_T4_T5_T6_T7_T9_mT8_P12ihipStream_tbDpT10_ENKUlT_T0_E_clISt17integral_constantIbLb0EES1E_EEDaS19_S1A_EUlS19_E_NS1_11comp_targetILNS1_3genE4ELNS1_11target_archE910ELNS1_3gpuE8ELNS1_3repE0EEENS1_30default_config_static_selectorELNS0_4arch9wavefront6targetE1EEEvT1_
; %bb.0:
	.section	.rodata,"a",@progbits
	.p2align	6, 0x0
	.amdhsa_kernel _ZN7rocprim17ROCPRIM_400000_NS6detail17trampoline_kernelINS0_14default_configENS1_25partition_config_selectorILNS1_17partition_subalgoE8ElNS0_10empty_typeEbEEZZNS1_14partition_implILS5_8ELb0ES3_jPlPS6_PKS6_NS0_5tupleIJS9_S6_EEENSD_IJSA_SA_EEENS0_18inequality_wrapperIZN2at6native12_GLOBAL__N_124unique_dim_cuda_templateIN3c104HalfEEESt5tupleIJNSH_6TensorESO_SO_EERKSO_lbbbEUlllE0_EEPmJS6_EEE10hipError_tPvRmT3_T4_T5_T6_T7_T9_mT8_P12ihipStream_tbDpT10_ENKUlT_T0_E_clISt17integral_constantIbLb0EES1E_EEDaS19_S1A_EUlS19_E_NS1_11comp_targetILNS1_3genE4ELNS1_11target_archE910ELNS1_3gpuE8ELNS1_3repE0EEENS1_30default_config_static_selectorELNS0_4arch9wavefront6targetE1EEEvT1_
		.amdhsa_group_segment_fixed_size 0
		.amdhsa_private_segment_fixed_size 0
		.amdhsa_kernarg_size 120
		.amdhsa_user_sgpr_count 2
		.amdhsa_user_sgpr_dispatch_ptr 0
		.amdhsa_user_sgpr_queue_ptr 0
		.amdhsa_user_sgpr_kernarg_segment_ptr 1
		.amdhsa_user_sgpr_dispatch_id 0
		.amdhsa_user_sgpr_kernarg_preload_length 0
		.amdhsa_user_sgpr_kernarg_preload_offset 0
		.amdhsa_user_sgpr_private_segment_size 0
		.amdhsa_uses_dynamic_stack 0
		.amdhsa_enable_private_segment 0
		.amdhsa_system_sgpr_workgroup_id_x 1
		.amdhsa_system_sgpr_workgroup_id_y 0
		.amdhsa_system_sgpr_workgroup_id_z 0
		.amdhsa_system_sgpr_workgroup_info 0
		.amdhsa_system_vgpr_workitem_id 0
		.amdhsa_next_free_vgpr 1
		.amdhsa_next_free_sgpr 0
		.amdhsa_accum_offset 4
		.amdhsa_reserve_vcc 0
		.amdhsa_float_round_mode_32 0
		.amdhsa_float_round_mode_16_64 0
		.amdhsa_float_denorm_mode_32 3
		.amdhsa_float_denorm_mode_16_64 3
		.amdhsa_dx10_clamp 1
		.amdhsa_ieee_mode 1
		.amdhsa_fp16_overflow 0
		.amdhsa_tg_split 0
		.amdhsa_exception_fp_ieee_invalid_op 0
		.amdhsa_exception_fp_denorm_src 0
		.amdhsa_exception_fp_ieee_div_zero 0
		.amdhsa_exception_fp_ieee_overflow 0
		.amdhsa_exception_fp_ieee_underflow 0
		.amdhsa_exception_fp_ieee_inexact 0
		.amdhsa_exception_int_div_zero 0
	.end_amdhsa_kernel
	.section	.text._ZN7rocprim17ROCPRIM_400000_NS6detail17trampoline_kernelINS0_14default_configENS1_25partition_config_selectorILNS1_17partition_subalgoE8ElNS0_10empty_typeEbEEZZNS1_14partition_implILS5_8ELb0ES3_jPlPS6_PKS6_NS0_5tupleIJS9_S6_EEENSD_IJSA_SA_EEENS0_18inequality_wrapperIZN2at6native12_GLOBAL__N_124unique_dim_cuda_templateIN3c104HalfEEESt5tupleIJNSH_6TensorESO_SO_EERKSO_lbbbEUlllE0_EEPmJS6_EEE10hipError_tPvRmT3_T4_T5_T6_T7_T9_mT8_P12ihipStream_tbDpT10_ENKUlT_T0_E_clISt17integral_constantIbLb0EES1E_EEDaS19_S1A_EUlS19_E_NS1_11comp_targetILNS1_3genE4ELNS1_11target_archE910ELNS1_3gpuE8ELNS1_3repE0EEENS1_30default_config_static_selectorELNS0_4arch9wavefront6targetE1EEEvT1_,"axG",@progbits,_ZN7rocprim17ROCPRIM_400000_NS6detail17trampoline_kernelINS0_14default_configENS1_25partition_config_selectorILNS1_17partition_subalgoE8ElNS0_10empty_typeEbEEZZNS1_14partition_implILS5_8ELb0ES3_jPlPS6_PKS6_NS0_5tupleIJS9_S6_EEENSD_IJSA_SA_EEENS0_18inequality_wrapperIZN2at6native12_GLOBAL__N_124unique_dim_cuda_templateIN3c104HalfEEESt5tupleIJNSH_6TensorESO_SO_EERKSO_lbbbEUlllE0_EEPmJS6_EEE10hipError_tPvRmT3_T4_T5_T6_T7_T9_mT8_P12ihipStream_tbDpT10_ENKUlT_T0_E_clISt17integral_constantIbLb0EES1E_EEDaS19_S1A_EUlS19_E_NS1_11comp_targetILNS1_3genE4ELNS1_11target_archE910ELNS1_3gpuE8ELNS1_3repE0EEENS1_30default_config_static_selectorELNS0_4arch9wavefront6targetE1EEEvT1_,comdat
.Lfunc_end1299:
	.size	_ZN7rocprim17ROCPRIM_400000_NS6detail17trampoline_kernelINS0_14default_configENS1_25partition_config_selectorILNS1_17partition_subalgoE8ElNS0_10empty_typeEbEEZZNS1_14partition_implILS5_8ELb0ES3_jPlPS6_PKS6_NS0_5tupleIJS9_S6_EEENSD_IJSA_SA_EEENS0_18inequality_wrapperIZN2at6native12_GLOBAL__N_124unique_dim_cuda_templateIN3c104HalfEEESt5tupleIJNSH_6TensorESO_SO_EERKSO_lbbbEUlllE0_EEPmJS6_EEE10hipError_tPvRmT3_T4_T5_T6_T7_T9_mT8_P12ihipStream_tbDpT10_ENKUlT_T0_E_clISt17integral_constantIbLb0EES1E_EEDaS19_S1A_EUlS19_E_NS1_11comp_targetILNS1_3genE4ELNS1_11target_archE910ELNS1_3gpuE8ELNS1_3repE0EEENS1_30default_config_static_selectorELNS0_4arch9wavefront6targetE1EEEvT1_, .Lfunc_end1299-_ZN7rocprim17ROCPRIM_400000_NS6detail17trampoline_kernelINS0_14default_configENS1_25partition_config_selectorILNS1_17partition_subalgoE8ElNS0_10empty_typeEbEEZZNS1_14partition_implILS5_8ELb0ES3_jPlPS6_PKS6_NS0_5tupleIJS9_S6_EEENSD_IJSA_SA_EEENS0_18inequality_wrapperIZN2at6native12_GLOBAL__N_124unique_dim_cuda_templateIN3c104HalfEEESt5tupleIJNSH_6TensorESO_SO_EERKSO_lbbbEUlllE0_EEPmJS6_EEE10hipError_tPvRmT3_T4_T5_T6_T7_T9_mT8_P12ihipStream_tbDpT10_ENKUlT_T0_E_clISt17integral_constantIbLb0EES1E_EEDaS19_S1A_EUlS19_E_NS1_11comp_targetILNS1_3genE4ELNS1_11target_archE910ELNS1_3gpuE8ELNS1_3repE0EEENS1_30default_config_static_selectorELNS0_4arch9wavefront6targetE1EEEvT1_
                                        ; -- End function
	.set _ZN7rocprim17ROCPRIM_400000_NS6detail17trampoline_kernelINS0_14default_configENS1_25partition_config_selectorILNS1_17partition_subalgoE8ElNS0_10empty_typeEbEEZZNS1_14partition_implILS5_8ELb0ES3_jPlPS6_PKS6_NS0_5tupleIJS9_S6_EEENSD_IJSA_SA_EEENS0_18inequality_wrapperIZN2at6native12_GLOBAL__N_124unique_dim_cuda_templateIN3c104HalfEEESt5tupleIJNSH_6TensorESO_SO_EERKSO_lbbbEUlllE0_EEPmJS6_EEE10hipError_tPvRmT3_T4_T5_T6_T7_T9_mT8_P12ihipStream_tbDpT10_ENKUlT_T0_E_clISt17integral_constantIbLb0EES1E_EEDaS19_S1A_EUlS19_E_NS1_11comp_targetILNS1_3genE4ELNS1_11target_archE910ELNS1_3gpuE8ELNS1_3repE0EEENS1_30default_config_static_selectorELNS0_4arch9wavefront6targetE1EEEvT1_.num_vgpr, 0
	.set _ZN7rocprim17ROCPRIM_400000_NS6detail17trampoline_kernelINS0_14default_configENS1_25partition_config_selectorILNS1_17partition_subalgoE8ElNS0_10empty_typeEbEEZZNS1_14partition_implILS5_8ELb0ES3_jPlPS6_PKS6_NS0_5tupleIJS9_S6_EEENSD_IJSA_SA_EEENS0_18inequality_wrapperIZN2at6native12_GLOBAL__N_124unique_dim_cuda_templateIN3c104HalfEEESt5tupleIJNSH_6TensorESO_SO_EERKSO_lbbbEUlllE0_EEPmJS6_EEE10hipError_tPvRmT3_T4_T5_T6_T7_T9_mT8_P12ihipStream_tbDpT10_ENKUlT_T0_E_clISt17integral_constantIbLb0EES1E_EEDaS19_S1A_EUlS19_E_NS1_11comp_targetILNS1_3genE4ELNS1_11target_archE910ELNS1_3gpuE8ELNS1_3repE0EEENS1_30default_config_static_selectorELNS0_4arch9wavefront6targetE1EEEvT1_.num_agpr, 0
	.set _ZN7rocprim17ROCPRIM_400000_NS6detail17trampoline_kernelINS0_14default_configENS1_25partition_config_selectorILNS1_17partition_subalgoE8ElNS0_10empty_typeEbEEZZNS1_14partition_implILS5_8ELb0ES3_jPlPS6_PKS6_NS0_5tupleIJS9_S6_EEENSD_IJSA_SA_EEENS0_18inequality_wrapperIZN2at6native12_GLOBAL__N_124unique_dim_cuda_templateIN3c104HalfEEESt5tupleIJNSH_6TensorESO_SO_EERKSO_lbbbEUlllE0_EEPmJS6_EEE10hipError_tPvRmT3_T4_T5_T6_T7_T9_mT8_P12ihipStream_tbDpT10_ENKUlT_T0_E_clISt17integral_constantIbLb0EES1E_EEDaS19_S1A_EUlS19_E_NS1_11comp_targetILNS1_3genE4ELNS1_11target_archE910ELNS1_3gpuE8ELNS1_3repE0EEENS1_30default_config_static_selectorELNS0_4arch9wavefront6targetE1EEEvT1_.numbered_sgpr, 0
	.set _ZN7rocprim17ROCPRIM_400000_NS6detail17trampoline_kernelINS0_14default_configENS1_25partition_config_selectorILNS1_17partition_subalgoE8ElNS0_10empty_typeEbEEZZNS1_14partition_implILS5_8ELb0ES3_jPlPS6_PKS6_NS0_5tupleIJS9_S6_EEENSD_IJSA_SA_EEENS0_18inequality_wrapperIZN2at6native12_GLOBAL__N_124unique_dim_cuda_templateIN3c104HalfEEESt5tupleIJNSH_6TensorESO_SO_EERKSO_lbbbEUlllE0_EEPmJS6_EEE10hipError_tPvRmT3_T4_T5_T6_T7_T9_mT8_P12ihipStream_tbDpT10_ENKUlT_T0_E_clISt17integral_constantIbLb0EES1E_EEDaS19_S1A_EUlS19_E_NS1_11comp_targetILNS1_3genE4ELNS1_11target_archE910ELNS1_3gpuE8ELNS1_3repE0EEENS1_30default_config_static_selectorELNS0_4arch9wavefront6targetE1EEEvT1_.num_named_barrier, 0
	.set _ZN7rocprim17ROCPRIM_400000_NS6detail17trampoline_kernelINS0_14default_configENS1_25partition_config_selectorILNS1_17partition_subalgoE8ElNS0_10empty_typeEbEEZZNS1_14partition_implILS5_8ELb0ES3_jPlPS6_PKS6_NS0_5tupleIJS9_S6_EEENSD_IJSA_SA_EEENS0_18inequality_wrapperIZN2at6native12_GLOBAL__N_124unique_dim_cuda_templateIN3c104HalfEEESt5tupleIJNSH_6TensorESO_SO_EERKSO_lbbbEUlllE0_EEPmJS6_EEE10hipError_tPvRmT3_T4_T5_T6_T7_T9_mT8_P12ihipStream_tbDpT10_ENKUlT_T0_E_clISt17integral_constantIbLb0EES1E_EEDaS19_S1A_EUlS19_E_NS1_11comp_targetILNS1_3genE4ELNS1_11target_archE910ELNS1_3gpuE8ELNS1_3repE0EEENS1_30default_config_static_selectorELNS0_4arch9wavefront6targetE1EEEvT1_.private_seg_size, 0
	.set _ZN7rocprim17ROCPRIM_400000_NS6detail17trampoline_kernelINS0_14default_configENS1_25partition_config_selectorILNS1_17partition_subalgoE8ElNS0_10empty_typeEbEEZZNS1_14partition_implILS5_8ELb0ES3_jPlPS6_PKS6_NS0_5tupleIJS9_S6_EEENSD_IJSA_SA_EEENS0_18inequality_wrapperIZN2at6native12_GLOBAL__N_124unique_dim_cuda_templateIN3c104HalfEEESt5tupleIJNSH_6TensorESO_SO_EERKSO_lbbbEUlllE0_EEPmJS6_EEE10hipError_tPvRmT3_T4_T5_T6_T7_T9_mT8_P12ihipStream_tbDpT10_ENKUlT_T0_E_clISt17integral_constantIbLb0EES1E_EEDaS19_S1A_EUlS19_E_NS1_11comp_targetILNS1_3genE4ELNS1_11target_archE910ELNS1_3gpuE8ELNS1_3repE0EEENS1_30default_config_static_selectorELNS0_4arch9wavefront6targetE1EEEvT1_.uses_vcc, 0
	.set _ZN7rocprim17ROCPRIM_400000_NS6detail17trampoline_kernelINS0_14default_configENS1_25partition_config_selectorILNS1_17partition_subalgoE8ElNS0_10empty_typeEbEEZZNS1_14partition_implILS5_8ELb0ES3_jPlPS6_PKS6_NS0_5tupleIJS9_S6_EEENSD_IJSA_SA_EEENS0_18inequality_wrapperIZN2at6native12_GLOBAL__N_124unique_dim_cuda_templateIN3c104HalfEEESt5tupleIJNSH_6TensorESO_SO_EERKSO_lbbbEUlllE0_EEPmJS6_EEE10hipError_tPvRmT3_T4_T5_T6_T7_T9_mT8_P12ihipStream_tbDpT10_ENKUlT_T0_E_clISt17integral_constantIbLb0EES1E_EEDaS19_S1A_EUlS19_E_NS1_11comp_targetILNS1_3genE4ELNS1_11target_archE910ELNS1_3gpuE8ELNS1_3repE0EEENS1_30default_config_static_selectorELNS0_4arch9wavefront6targetE1EEEvT1_.uses_flat_scratch, 0
	.set _ZN7rocprim17ROCPRIM_400000_NS6detail17trampoline_kernelINS0_14default_configENS1_25partition_config_selectorILNS1_17partition_subalgoE8ElNS0_10empty_typeEbEEZZNS1_14partition_implILS5_8ELb0ES3_jPlPS6_PKS6_NS0_5tupleIJS9_S6_EEENSD_IJSA_SA_EEENS0_18inequality_wrapperIZN2at6native12_GLOBAL__N_124unique_dim_cuda_templateIN3c104HalfEEESt5tupleIJNSH_6TensorESO_SO_EERKSO_lbbbEUlllE0_EEPmJS6_EEE10hipError_tPvRmT3_T4_T5_T6_T7_T9_mT8_P12ihipStream_tbDpT10_ENKUlT_T0_E_clISt17integral_constantIbLb0EES1E_EEDaS19_S1A_EUlS19_E_NS1_11comp_targetILNS1_3genE4ELNS1_11target_archE910ELNS1_3gpuE8ELNS1_3repE0EEENS1_30default_config_static_selectorELNS0_4arch9wavefront6targetE1EEEvT1_.has_dyn_sized_stack, 0
	.set _ZN7rocprim17ROCPRIM_400000_NS6detail17trampoline_kernelINS0_14default_configENS1_25partition_config_selectorILNS1_17partition_subalgoE8ElNS0_10empty_typeEbEEZZNS1_14partition_implILS5_8ELb0ES3_jPlPS6_PKS6_NS0_5tupleIJS9_S6_EEENSD_IJSA_SA_EEENS0_18inequality_wrapperIZN2at6native12_GLOBAL__N_124unique_dim_cuda_templateIN3c104HalfEEESt5tupleIJNSH_6TensorESO_SO_EERKSO_lbbbEUlllE0_EEPmJS6_EEE10hipError_tPvRmT3_T4_T5_T6_T7_T9_mT8_P12ihipStream_tbDpT10_ENKUlT_T0_E_clISt17integral_constantIbLb0EES1E_EEDaS19_S1A_EUlS19_E_NS1_11comp_targetILNS1_3genE4ELNS1_11target_archE910ELNS1_3gpuE8ELNS1_3repE0EEENS1_30default_config_static_selectorELNS0_4arch9wavefront6targetE1EEEvT1_.has_recursion, 0
	.set _ZN7rocprim17ROCPRIM_400000_NS6detail17trampoline_kernelINS0_14default_configENS1_25partition_config_selectorILNS1_17partition_subalgoE8ElNS0_10empty_typeEbEEZZNS1_14partition_implILS5_8ELb0ES3_jPlPS6_PKS6_NS0_5tupleIJS9_S6_EEENSD_IJSA_SA_EEENS0_18inequality_wrapperIZN2at6native12_GLOBAL__N_124unique_dim_cuda_templateIN3c104HalfEEESt5tupleIJNSH_6TensorESO_SO_EERKSO_lbbbEUlllE0_EEPmJS6_EEE10hipError_tPvRmT3_T4_T5_T6_T7_T9_mT8_P12ihipStream_tbDpT10_ENKUlT_T0_E_clISt17integral_constantIbLb0EES1E_EEDaS19_S1A_EUlS19_E_NS1_11comp_targetILNS1_3genE4ELNS1_11target_archE910ELNS1_3gpuE8ELNS1_3repE0EEENS1_30default_config_static_selectorELNS0_4arch9wavefront6targetE1EEEvT1_.has_indirect_call, 0
	.section	.AMDGPU.csdata,"",@progbits
; Kernel info:
; codeLenInByte = 0
; TotalNumSgprs: 6
; NumVgprs: 0
; NumAgprs: 0
; TotalNumVgprs: 0
; ScratchSize: 0
; MemoryBound: 0
; FloatMode: 240
; IeeeMode: 1
; LDSByteSize: 0 bytes/workgroup (compile time only)
; SGPRBlocks: 0
; VGPRBlocks: 0
; NumSGPRsForWavesPerEU: 6
; NumVGPRsForWavesPerEU: 1
; AccumOffset: 4
; Occupancy: 8
; WaveLimiterHint : 0
; COMPUTE_PGM_RSRC2:SCRATCH_EN: 0
; COMPUTE_PGM_RSRC2:USER_SGPR: 2
; COMPUTE_PGM_RSRC2:TRAP_HANDLER: 0
; COMPUTE_PGM_RSRC2:TGID_X_EN: 1
; COMPUTE_PGM_RSRC2:TGID_Y_EN: 0
; COMPUTE_PGM_RSRC2:TGID_Z_EN: 0
; COMPUTE_PGM_RSRC2:TIDIG_COMP_CNT: 0
; COMPUTE_PGM_RSRC3_GFX90A:ACCUM_OFFSET: 0
; COMPUTE_PGM_RSRC3_GFX90A:TG_SPLIT: 0
	.section	.text._ZN7rocprim17ROCPRIM_400000_NS6detail17trampoline_kernelINS0_14default_configENS1_25partition_config_selectorILNS1_17partition_subalgoE8ElNS0_10empty_typeEbEEZZNS1_14partition_implILS5_8ELb0ES3_jPlPS6_PKS6_NS0_5tupleIJS9_S6_EEENSD_IJSA_SA_EEENS0_18inequality_wrapperIZN2at6native12_GLOBAL__N_124unique_dim_cuda_templateIN3c104HalfEEESt5tupleIJNSH_6TensorESO_SO_EERKSO_lbbbEUlllE0_EEPmJS6_EEE10hipError_tPvRmT3_T4_T5_T6_T7_T9_mT8_P12ihipStream_tbDpT10_ENKUlT_T0_E_clISt17integral_constantIbLb0EES1E_EEDaS19_S1A_EUlS19_E_NS1_11comp_targetILNS1_3genE3ELNS1_11target_archE908ELNS1_3gpuE7ELNS1_3repE0EEENS1_30default_config_static_selectorELNS0_4arch9wavefront6targetE1EEEvT1_,"axG",@progbits,_ZN7rocprim17ROCPRIM_400000_NS6detail17trampoline_kernelINS0_14default_configENS1_25partition_config_selectorILNS1_17partition_subalgoE8ElNS0_10empty_typeEbEEZZNS1_14partition_implILS5_8ELb0ES3_jPlPS6_PKS6_NS0_5tupleIJS9_S6_EEENSD_IJSA_SA_EEENS0_18inequality_wrapperIZN2at6native12_GLOBAL__N_124unique_dim_cuda_templateIN3c104HalfEEESt5tupleIJNSH_6TensorESO_SO_EERKSO_lbbbEUlllE0_EEPmJS6_EEE10hipError_tPvRmT3_T4_T5_T6_T7_T9_mT8_P12ihipStream_tbDpT10_ENKUlT_T0_E_clISt17integral_constantIbLb0EES1E_EEDaS19_S1A_EUlS19_E_NS1_11comp_targetILNS1_3genE3ELNS1_11target_archE908ELNS1_3gpuE7ELNS1_3repE0EEENS1_30default_config_static_selectorELNS0_4arch9wavefront6targetE1EEEvT1_,comdat
	.globl	_ZN7rocprim17ROCPRIM_400000_NS6detail17trampoline_kernelINS0_14default_configENS1_25partition_config_selectorILNS1_17partition_subalgoE8ElNS0_10empty_typeEbEEZZNS1_14partition_implILS5_8ELb0ES3_jPlPS6_PKS6_NS0_5tupleIJS9_S6_EEENSD_IJSA_SA_EEENS0_18inequality_wrapperIZN2at6native12_GLOBAL__N_124unique_dim_cuda_templateIN3c104HalfEEESt5tupleIJNSH_6TensorESO_SO_EERKSO_lbbbEUlllE0_EEPmJS6_EEE10hipError_tPvRmT3_T4_T5_T6_T7_T9_mT8_P12ihipStream_tbDpT10_ENKUlT_T0_E_clISt17integral_constantIbLb0EES1E_EEDaS19_S1A_EUlS19_E_NS1_11comp_targetILNS1_3genE3ELNS1_11target_archE908ELNS1_3gpuE7ELNS1_3repE0EEENS1_30default_config_static_selectorELNS0_4arch9wavefront6targetE1EEEvT1_ ; -- Begin function _ZN7rocprim17ROCPRIM_400000_NS6detail17trampoline_kernelINS0_14default_configENS1_25partition_config_selectorILNS1_17partition_subalgoE8ElNS0_10empty_typeEbEEZZNS1_14partition_implILS5_8ELb0ES3_jPlPS6_PKS6_NS0_5tupleIJS9_S6_EEENSD_IJSA_SA_EEENS0_18inequality_wrapperIZN2at6native12_GLOBAL__N_124unique_dim_cuda_templateIN3c104HalfEEESt5tupleIJNSH_6TensorESO_SO_EERKSO_lbbbEUlllE0_EEPmJS6_EEE10hipError_tPvRmT3_T4_T5_T6_T7_T9_mT8_P12ihipStream_tbDpT10_ENKUlT_T0_E_clISt17integral_constantIbLb0EES1E_EEDaS19_S1A_EUlS19_E_NS1_11comp_targetILNS1_3genE3ELNS1_11target_archE908ELNS1_3gpuE7ELNS1_3repE0EEENS1_30default_config_static_selectorELNS0_4arch9wavefront6targetE1EEEvT1_
	.p2align	8
	.type	_ZN7rocprim17ROCPRIM_400000_NS6detail17trampoline_kernelINS0_14default_configENS1_25partition_config_selectorILNS1_17partition_subalgoE8ElNS0_10empty_typeEbEEZZNS1_14partition_implILS5_8ELb0ES3_jPlPS6_PKS6_NS0_5tupleIJS9_S6_EEENSD_IJSA_SA_EEENS0_18inequality_wrapperIZN2at6native12_GLOBAL__N_124unique_dim_cuda_templateIN3c104HalfEEESt5tupleIJNSH_6TensorESO_SO_EERKSO_lbbbEUlllE0_EEPmJS6_EEE10hipError_tPvRmT3_T4_T5_T6_T7_T9_mT8_P12ihipStream_tbDpT10_ENKUlT_T0_E_clISt17integral_constantIbLb0EES1E_EEDaS19_S1A_EUlS19_E_NS1_11comp_targetILNS1_3genE3ELNS1_11target_archE908ELNS1_3gpuE7ELNS1_3repE0EEENS1_30default_config_static_selectorELNS0_4arch9wavefront6targetE1EEEvT1_,@function
_ZN7rocprim17ROCPRIM_400000_NS6detail17trampoline_kernelINS0_14default_configENS1_25partition_config_selectorILNS1_17partition_subalgoE8ElNS0_10empty_typeEbEEZZNS1_14partition_implILS5_8ELb0ES3_jPlPS6_PKS6_NS0_5tupleIJS9_S6_EEENSD_IJSA_SA_EEENS0_18inequality_wrapperIZN2at6native12_GLOBAL__N_124unique_dim_cuda_templateIN3c104HalfEEESt5tupleIJNSH_6TensorESO_SO_EERKSO_lbbbEUlllE0_EEPmJS6_EEE10hipError_tPvRmT3_T4_T5_T6_T7_T9_mT8_P12ihipStream_tbDpT10_ENKUlT_T0_E_clISt17integral_constantIbLb0EES1E_EEDaS19_S1A_EUlS19_E_NS1_11comp_targetILNS1_3genE3ELNS1_11target_archE908ELNS1_3gpuE7ELNS1_3repE0EEENS1_30default_config_static_selectorELNS0_4arch9wavefront6targetE1EEEvT1_: ; @_ZN7rocprim17ROCPRIM_400000_NS6detail17trampoline_kernelINS0_14default_configENS1_25partition_config_selectorILNS1_17partition_subalgoE8ElNS0_10empty_typeEbEEZZNS1_14partition_implILS5_8ELb0ES3_jPlPS6_PKS6_NS0_5tupleIJS9_S6_EEENSD_IJSA_SA_EEENS0_18inequality_wrapperIZN2at6native12_GLOBAL__N_124unique_dim_cuda_templateIN3c104HalfEEESt5tupleIJNSH_6TensorESO_SO_EERKSO_lbbbEUlllE0_EEPmJS6_EEE10hipError_tPvRmT3_T4_T5_T6_T7_T9_mT8_P12ihipStream_tbDpT10_ENKUlT_T0_E_clISt17integral_constantIbLb0EES1E_EEDaS19_S1A_EUlS19_E_NS1_11comp_targetILNS1_3genE3ELNS1_11target_archE908ELNS1_3gpuE7ELNS1_3repE0EEENS1_30default_config_static_selectorELNS0_4arch9wavefront6targetE1EEEvT1_
; %bb.0:
	.section	.rodata,"a",@progbits
	.p2align	6, 0x0
	.amdhsa_kernel _ZN7rocprim17ROCPRIM_400000_NS6detail17trampoline_kernelINS0_14default_configENS1_25partition_config_selectorILNS1_17partition_subalgoE8ElNS0_10empty_typeEbEEZZNS1_14partition_implILS5_8ELb0ES3_jPlPS6_PKS6_NS0_5tupleIJS9_S6_EEENSD_IJSA_SA_EEENS0_18inequality_wrapperIZN2at6native12_GLOBAL__N_124unique_dim_cuda_templateIN3c104HalfEEESt5tupleIJNSH_6TensorESO_SO_EERKSO_lbbbEUlllE0_EEPmJS6_EEE10hipError_tPvRmT3_T4_T5_T6_T7_T9_mT8_P12ihipStream_tbDpT10_ENKUlT_T0_E_clISt17integral_constantIbLb0EES1E_EEDaS19_S1A_EUlS19_E_NS1_11comp_targetILNS1_3genE3ELNS1_11target_archE908ELNS1_3gpuE7ELNS1_3repE0EEENS1_30default_config_static_selectorELNS0_4arch9wavefront6targetE1EEEvT1_
		.amdhsa_group_segment_fixed_size 0
		.amdhsa_private_segment_fixed_size 0
		.amdhsa_kernarg_size 120
		.amdhsa_user_sgpr_count 2
		.amdhsa_user_sgpr_dispatch_ptr 0
		.amdhsa_user_sgpr_queue_ptr 0
		.amdhsa_user_sgpr_kernarg_segment_ptr 1
		.amdhsa_user_sgpr_dispatch_id 0
		.amdhsa_user_sgpr_kernarg_preload_length 0
		.amdhsa_user_sgpr_kernarg_preload_offset 0
		.amdhsa_user_sgpr_private_segment_size 0
		.amdhsa_uses_dynamic_stack 0
		.amdhsa_enable_private_segment 0
		.amdhsa_system_sgpr_workgroup_id_x 1
		.amdhsa_system_sgpr_workgroup_id_y 0
		.amdhsa_system_sgpr_workgroup_id_z 0
		.amdhsa_system_sgpr_workgroup_info 0
		.amdhsa_system_vgpr_workitem_id 0
		.amdhsa_next_free_vgpr 1
		.amdhsa_next_free_sgpr 0
		.amdhsa_accum_offset 4
		.amdhsa_reserve_vcc 0
		.amdhsa_float_round_mode_32 0
		.amdhsa_float_round_mode_16_64 0
		.amdhsa_float_denorm_mode_32 3
		.amdhsa_float_denorm_mode_16_64 3
		.amdhsa_dx10_clamp 1
		.amdhsa_ieee_mode 1
		.amdhsa_fp16_overflow 0
		.amdhsa_tg_split 0
		.amdhsa_exception_fp_ieee_invalid_op 0
		.amdhsa_exception_fp_denorm_src 0
		.amdhsa_exception_fp_ieee_div_zero 0
		.amdhsa_exception_fp_ieee_overflow 0
		.amdhsa_exception_fp_ieee_underflow 0
		.amdhsa_exception_fp_ieee_inexact 0
		.amdhsa_exception_int_div_zero 0
	.end_amdhsa_kernel
	.section	.text._ZN7rocprim17ROCPRIM_400000_NS6detail17trampoline_kernelINS0_14default_configENS1_25partition_config_selectorILNS1_17partition_subalgoE8ElNS0_10empty_typeEbEEZZNS1_14partition_implILS5_8ELb0ES3_jPlPS6_PKS6_NS0_5tupleIJS9_S6_EEENSD_IJSA_SA_EEENS0_18inequality_wrapperIZN2at6native12_GLOBAL__N_124unique_dim_cuda_templateIN3c104HalfEEESt5tupleIJNSH_6TensorESO_SO_EERKSO_lbbbEUlllE0_EEPmJS6_EEE10hipError_tPvRmT3_T4_T5_T6_T7_T9_mT8_P12ihipStream_tbDpT10_ENKUlT_T0_E_clISt17integral_constantIbLb0EES1E_EEDaS19_S1A_EUlS19_E_NS1_11comp_targetILNS1_3genE3ELNS1_11target_archE908ELNS1_3gpuE7ELNS1_3repE0EEENS1_30default_config_static_selectorELNS0_4arch9wavefront6targetE1EEEvT1_,"axG",@progbits,_ZN7rocprim17ROCPRIM_400000_NS6detail17trampoline_kernelINS0_14default_configENS1_25partition_config_selectorILNS1_17partition_subalgoE8ElNS0_10empty_typeEbEEZZNS1_14partition_implILS5_8ELb0ES3_jPlPS6_PKS6_NS0_5tupleIJS9_S6_EEENSD_IJSA_SA_EEENS0_18inequality_wrapperIZN2at6native12_GLOBAL__N_124unique_dim_cuda_templateIN3c104HalfEEESt5tupleIJNSH_6TensorESO_SO_EERKSO_lbbbEUlllE0_EEPmJS6_EEE10hipError_tPvRmT3_T4_T5_T6_T7_T9_mT8_P12ihipStream_tbDpT10_ENKUlT_T0_E_clISt17integral_constantIbLb0EES1E_EEDaS19_S1A_EUlS19_E_NS1_11comp_targetILNS1_3genE3ELNS1_11target_archE908ELNS1_3gpuE7ELNS1_3repE0EEENS1_30default_config_static_selectorELNS0_4arch9wavefront6targetE1EEEvT1_,comdat
.Lfunc_end1300:
	.size	_ZN7rocprim17ROCPRIM_400000_NS6detail17trampoline_kernelINS0_14default_configENS1_25partition_config_selectorILNS1_17partition_subalgoE8ElNS0_10empty_typeEbEEZZNS1_14partition_implILS5_8ELb0ES3_jPlPS6_PKS6_NS0_5tupleIJS9_S6_EEENSD_IJSA_SA_EEENS0_18inequality_wrapperIZN2at6native12_GLOBAL__N_124unique_dim_cuda_templateIN3c104HalfEEESt5tupleIJNSH_6TensorESO_SO_EERKSO_lbbbEUlllE0_EEPmJS6_EEE10hipError_tPvRmT3_T4_T5_T6_T7_T9_mT8_P12ihipStream_tbDpT10_ENKUlT_T0_E_clISt17integral_constantIbLb0EES1E_EEDaS19_S1A_EUlS19_E_NS1_11comp_targetILNS1_3genE3ELNS1_11target_archE908ELNS1_3gpuE7ELNS1_3repE0EEENS1_30default_config_static_selectorELNS0_4arch9wavefront6targetE1EEEvT1_, .Lfunc_end1300-_ZN7rocprim17ROCPRIM_400000_NS6detail17trampoline_kernelINS0_14default_configENS1_25partition_config_selectorILNS1_17partition_subalgoE8ElNS0_10empty_typeEbEEZZNS1_14partition_implILS5_8ELb0ES3_jPlPS6_PKS6_NS0_5tupleIJS9_S6_EEENSD_IJSA_SA_EEENS0_18inequality_wrapperIZN2at6native12_GLOBAL__N_124unique_dim_cuda_templateIN3c104HalfEEESt5tupleIJNSH_6TensorESO_SO_EERKSO_lbbbEUlllE0_EEPmJS6_EEE10hipError_tPvRmT3_T4_T5_T6_T7_T9_mT8_P12ihipStream_tbDpT10_ENKUlT_T0_E_clISt17integral_constantIbLb0EES1E_EEDaS19_S1A_EUlS19_E_NS1_11comp_targetILNS1_3genE3ELNS1_11target_archE908ELNS1_3gpuE7ELNS1_3repE0EEENS1_30default_config_static_selectorELNS0_4arch9wavefront6targetE1EEEvT1_
                                        ; -- End function
	.set _ZN7rocprim17ROCPRIM_400000_NS6detail17trampoline_kernelINS0_14default_configENS1_25partition_config_selectorILNS1_17partition_subalgoE8ElNS0_10empty_typeEbEEZZNS1_14partition_implILS5_8ELb0ES3_jPlPS6_PKS6_NS0_5tupleIJS9_S6_EEENSD_IJSA_SA_EEENS0_18inequality_wrapperIZN2at6native12_GLOBAL__N_124unique_dim_cuda_templateIN3c104HalfEEESt5tupleIJNSH_6TensorESO_SO_EERKSO_lbbbEUlllE0_EEPmJS6_EEE10hipError_tPvRmT3_T4_T5_T6_T7_T9_mT8_P12ihipStream_tbDpT10_ENKUlT_T0_E_clISt17integral_constantIbLb0EES1E_EEDaS19_S1A_EUlS19_E_NS1_11comp_targetILNS1_3genE3ELNS1_11target_archE908ELNS1_3gpuE7ELNS1_3repE0EEENS1_30default_config_static_selectorELNS0_4arch9wavefront6targetE1EEEvT1_.num_vgpr, 0
	.set _ZN7rocprim17ROCPRIM_400000_NS6detail17trampoline_kernelINS0_14default_configENS1_25partition_config_selectorILNS1_17partition_subalgoE8ElNS0_10empty_typeEbEEZZNS1_14partition_implILS5_8ELb0ES3_jPlPS6_PKS6_NS0_5tupleIJS9_S6_EEENSD_IJSA_SA_EEENS0_18inequality_wrapperIZN2at6native12_GLOBAL__N_124unique_dim_cuda_templateIN3c104HalfEEESt5tupleIJNSH_6TensorESO_SO_EERKSO_lbbbEUlllE0_EEPmJS6_EEE10hipError_tPvRmT3_T4_T5_T6_T7_T9_mT8_P12ihipStream_tbDpT10_ENKUlT_T0_E_clISt17integral_constantIbLb0EES1E_EEDaS19_S1A_EUlS19_E_NS1_11comp_targetILNS1_3genE3ELNS1_11target_archE908ELNS1_3gpuE7ELNS1_3repE0EEENS1_30default_config_static_selectorELNS0_4arch9wavefront6targetE1EEEvT1_.num_agpr, 0
	.set _ZN7rocprim17ROCPRIM_400000_NS6detail17trampoline_kernelINS0_14default_configENS1_25partition_config_selectorILNS1_17partition_subalgoE8ElNS0_10empty_typeEbEEZZNS1_14partition_implILS5_8ELb0ES3_jPlPS6_PKS6_NS0_5tupleIJS9_S6_EEENSD_IJSA_SA_EEENS0_18inequality_wrapperIZN2at6native12_GLOBAL__N_124unique_dim_cuda_templateIN3c104HalfEEESt5tupleIJNSH_6TensorESO_SO_EERKSO_lbbbEUlllE0_EEPmJS6_EEE10hipError_tPvRmT3_T4_T5_T6_T7_T9_mT8_P12ihipStream_tbDpT10_ENKUlT_T0_E_clISt17integral_constantIbLb0EES1E_EEDaS19_S1A_EUlS19_E_NS1_11comp_targetILNS1_3genE3ELNS1_11target_archE908ELNS1_3gpuE7ELNS1_3repE0EEENS1_30default_config_static_selectorELNS0_4arch9wavefront6targetE1EEEvT1_.numbered_sgpr, 0
	.set _ZN7rocprim17ROCPRIM_400000_NS6detail17trampoline_kernelINS0_14default_configENS1_25partition_config_selectorILNS1_17partition_subalgoE8ElNS0_10empty_typeEbEEZZNS1_14partition_implILS5_8ELb0ES3_jPlPS6_PKS6_NS0_5tupleIJS9_S6_EEENSD_IJSA_SA_EEENS0_18inequality_wrapperIZN2at6native12_GLOBAL__N_124unique_dim_cuda_templateIN3c104HalfEEESt5tupleIJNSH_6TensorESO_SO_EERKSO_lbbbEUlllE0_EEPmJS6_EEE10hipError_tPvRmT3_T4_T5_T6_T7_T9_mT8_P12ihipStream_tbDpT10_ENKUlT_T0_E_clISt17integral_constantIbLb0EES1E_EEDaS19_S1A_EUlS19_E_NS1_11comp_targetILNS1_3genE3ELNS1_11target_archE908ELNS1_3gpuE7ELNS1_3repE0EEENS1_30default_config_static_selectorELNS0_4arch9wavefront6targetE1EEEvT1_.num_named_barrier, 0
	.set _ZN7rocprim17ROCPRIM_400000_NS6detail17trampoline_kernelINS0_14default_configENS1_25partition_config_selectorILNS1_17partition_subalgoE8ElNS0_10empty_typeEbEEZZNS1_14partition_implILS5_8ELb0ES3_jPlPS6_PKS6_NS0_5tupleIJS9_S6_EEENSD_IJSA_SA_EEENS0_18inequality_wrapperIZN2at6native12_GLOBAL__N_124unique_dim_cuda_templateIN3c104HalfEEESt5tupleIJNSH_6TensorESO_SO_EERKSO_lbbbEUlllE0_EEPmJS6_EEE10hipError_tPvRmT3_T4_T5_T6_T7_T9_mT8_P12ihipStream_tbDpT10_ENKUlT_T0_E_clISt17integral_constantIbLb0EES1E_EEDaS19_S1A_EUlS19_E_NS1_11comp_targetILNS1_3genE3ELNS1_11target_archE908ELNS1_3gpuE7ELNS1_3repE0EEENS1_30default_config_static_selectorELNS0_4arch9wavefront6targetE1EEEvT1_.private_seg_size, 0
	.set _ZN7rocprim17ROCPRIM_400000_NS6detail17trampoline_kernelINS0_14default_configENS1_25partition_config_selectorILNS1_17partition_subalgoE8ElNS0_10empty_typeEbEEZZNS1_14partition_implILS5_8ELb0ES3_jPlPS6_PKS6_NS0_5tupleIJS9_S6_EEENSD_IJSA_SA_EEENS0_18inequality_wrapperIZN2at6native12_GLOBAL__N_124unique_dim_cuda_templateIN3c104HalfEEESt5tupleIJNSH_6TensorESO_SO_EERKSO_lbbbEUlllE0_EEPmJS6_EEE10hipError_tPvRmT3_T4_T5_T6_T7_T9_mT8_P12ihipStream_tbDpT10_ENKUlT_T0_E_clISt17integral_constantIbLb0EES1E_EEDaS19_S1A_EUlS19_E_NS1_11comp_targetILNS1_3genE3ELNS1_11target_archE908ELNS1_3gpuE7ELNS1_3repE0EEENS1_30default_config_static_selectorELNS0_4arch9wavefront6targetE1EEEvT1_.uses_vcc, 0
	.set _ZN7rocprim17ROCPRIM_400000_NS6detail17trampoline_kernelINS0_14default_configENS1_25partition_config_selectorILNS1_17partition_subalgoE8ElNS0_10empty_typeEbEEZZNS1_14partition_implILS5_8ELb0ES3_jPlPS6_PKS6_NS0_5tupleIJS9_S6_EEENSD_IJSA_SA_EEENS0_18inequality_wrapperIZN2at6native12_GLOBAL__N_124unique_dim_cuda_templateIN3c104HalfEEESt5tupleIJNSH_6TensorESO_SO_EERKSO_lbbbEUlllE0_EEPmJS6_EEE10hipError_tPvRmT3_T4_T5_T6_T7_T9_mT8_P12ihipStream_tbDpT10_ENKUlT_T0_E_clISt17integral_constantIbLb0EES1E_EEDaS19_S1A_EUlS19_E_NS1_11comp_targetILNS1_3genE3ELNS1_11target_archE908ELNS1_3gpuE7ELNS1_3repE0EEENS1_30default_config_static_selectorELNS0_4arch9wavefront6targetE1EEEvT1_.uses_flat_scratch, 0
	.set _ZN7rocprim17ROCPRIM_400000_NS6detail17trampoline_kernelINS0_14default_configENS1_25partition_config_selectorILNS1_17partition_subalgoE8ElNS0_10empty_typeEbEEZZNS1_14partition_implILS5_8ELb0ES3_jPlPS6_PKS6_NS0_5tupleIJS9_S6_EEENSD_IJSA_SA_EEENS0_18inequality_wrapperIZN2at6native12_GLOBAL__N_124unique_dim_cuda_templateIN3c104HalfEEESt5tupleIJNSH_6TensorESO_SO_EERKSO_lbbbEUlllE0_EEPmJS6_EEE10hipError_tPvRmT3_T4_T5_T6_T7_T9_mT8_P12ihipStream_tbDpT10_ENKUlT_T0_E_clISt17integral_constantIbLb0EES1E_EEDaS19_S1A_EUlS19_E_NS1_11comp_targetILNS1_3genE3ELNS1_11target_archE908ELNS1_3gpuE7ELNS1_3repE0EEENS1_30default_config_static_selectorELNS0_4arch9wavefront6targetE1EEEvT1_.has_dyn_sized_stack, 0
	.set _ZN7rocprim17ROCPRIM_400000_NS6detail17trampoline_kernelINS0_14default_configENS1_25partition_config_selectorILNS1_17partition_subalgoE8ElNS0_10empty_typeEbEEZZNS1_14partition_implILS5_8ELb0ES3_jPlPS6_PKS6_NS0_5tupleIJS9_S6_EEENSD_IJSA_SA_EEENS0_18inequality_wrapperIZN2at6native12_GLOBAL__N_124unique_dim_cuda_templateIN3c104HalfEEESt5tupleIJNSH_6TensorESO_SO_EERKSO_lbbbEUlllE0_EEPmJS6_EEE10hipError_tPvRmT3_T4_T5_T6_T7_T9_mT8_P12ihipStream_tbDpT10_ENKUlT_T0_E_clISt17integral_constantIbLb0EES1E_EEDaS19_S1A_EUlS19_E_NS1_11comp_targetILNS1_3genE3ELNS1_11target_archE908ELNS1_3gpuE7ELNS1_3repE0EEENS1_30default_config_static_selectorELNS0_4arch9wavefront6targetE1EEEvT1_.has_recursion, 0
	.set _ZN7rocprim17ROCPRIM_400000_NS6detail17trampoline_kernelINS0_14default_configENS1_25partition_config_selectorILNS1_17partition_subalgoE8ElNS0_10empty_typeEbEEZZNS1_14partition_implILS5_8ELb0ES3_jPlPS6_PKS6_NS0_5tupleIJS9_S6_EEENSD_IJSA_SA_EEENS0_18inequality_wrapperIZN2at6native12_GLOBAL__N_124unique_dim_cuda_templateIN3c104HalfEEESt5tupleIJNSH_6TensorESO_SO_EERKSO_lbbbEUlllE0_EEPmJS6_EEE10hipError_tPvRmT3_T4_T5_T6_T7_T9_mT8_P12ihipStream_tbDpT10_ENKUlT_T0_E_clISt17integral_constantIbLb0EES1E_EEDaS19_S1A_EUlS19_E_NS1_11comp_targetILNS1_3genE3ELNS1_11target_archE908ELNS1_3gpuE7ELNS1_3repE0EEENS1_30default_config_static_selectorELNS0_4arch9wavefront6targetE1EEEvT1_.has_indirect_call, 0
	.section	.AMDGPU.csdata,"",@progbits
; Kernel info:
; codeLenInByte = 0
; TotalNumSgprs: 6
; NumVgprs: 0
; NumAgprs: 0
; TotalNumVgprs: 0
; ScratchSize: 0
; MemoryBound: 0
; FloatMode: 240
; IeeeMode: 1
; LDSByteSize: 0 bytes/workgroup (compile time only)
; SGPRBlocks: 0
; VGPRBlocks: 0
; NumSGPRsForWavesPerEU: 6
; NumVGPRsForWavesPerEU: 1
; AccumOffset: 4
; Occupancy: 8
; WaveLimiterHint : 0
; COMPUTE_PGM_RSRC2:SCRATCH_EN: 0
; COMPUTE_PGM_RSRC2:USER_SGPR: 2
; COMPUTE_PGM_RSRC2:TRAP_HANDLER: 0
; COMPUTE_PGM_RSRC2:TGID_X_EN: 1
; COMPUTE_PGM_RSRC2:TGID_Y_EN: 0
; COMPUTE_PGM_RSRC2:TGID_Z_EN: 0
; COMPUTE_PGM_RSRC2:TIDIG_COMP_CNT: 0
; COMPUTE_PGM_RSRC3_GFX90A:ACCUM_OFFSET: 0
; COMPUTE_PGM_RSRC3_GFX90A:TG_SPLIT: 0
	.section	.text._ZN7rocprim17ROCPRIM_400000_NS6detail17trampoline_kernelINS0_14default_configENS1_25partition_config_selectorILNS1_17partition_subalgoE8ElNS0_10empty_typeEbEEZZNS1_14partition_implILS5_8ELb0ES3_jPlPS6_PKS6_NS0_5tupleIJS9_S6_EEENSD_IJSA_SA_EEENS0_18inequality_wrapperIZN2at6native12_GLOBAL__N_124unique_dim_cuda_templateIN3c104HalfEEESt5tupleIJNSH_6TensorESO_SO_EERKSO_lbbbEUlllE0_EEPmJS6_EEE10hipError_tPvRmT3_T4_T5_T6_T7_T9_mT8_P12ihipStream_tbDpT10_ENKUlT_T0_E_clISt17integral_constantIbLb0EES1E_EEDaS19_S1A_EUlS19_E_NS1_11comp_targetILNS1_3genE2ELNS1_11target_archE906ELNS1_3gpuE6ELNS1_3repE0EEENS1_30default_config_static_selectorELNS0_4arch9wavefront6targetE1EEEvT1_,"axG",@progbits,_ZN7rocprim17ROCPRIM_400000_NS6detail17trampoline_kernelINS0_14default_configENS1_25partition_config_selectorILNS1_17partition_subalgoE8ElNS0_10empty_typeEbEEZZNS1_14partition_implILS5_8ELb0ES3_jPlPS6_PKS6_NS0_5tupleIJS9_S6_EEENSD_IJSA_SA_EEENS0_18inequality_wrapperIZN2at6native12_GLOBAL__N_124unique_dim_cuda_templateIN3c104HalfEEESt5tupleIJNSH_6TensorESO_SO_EERKSO_lbbbEUlllE0_EEPmJS6_EEE10hipError_tPvRmT3_T4_T5_T6_T7_T9_mT8_P12ihipStream_tbDpT10_ENKUlT_T0_E_clISt17integral_constantIbLb0EES1E_EEDaS19_S1A_EUlS19_E_NS1_11comp_targetILNS1_3genE2ELNS1_11target_archE906ELNS1_3gpuE6ELNS1_3repE0EEENS1_30default_config_static_selectorELNS0_4arch9wavefront6targetE1EEEvT1_,comdat
	.globl	_ZN7rocprim17ROCPRIM_400000_NS6detail17trampoline_kernelINS0_14default_configENS1_25partition_config_selectorILNS1_17partition_subalgoE8ElNS0_10empty_typeEbEEZZNS1_14partition_implILS5_8ELb0ES3_jPlPS6_PKS6_NS0_5tupleIJS9_S6_EEENSD_IJSA_SA_EEENS0_18inequality_wrapperIZN2at6native12_GLOBAL__N_124unique_dim_cuda_templateIN3c104HalfEEESt5tupleIJNSH_6TensorESO_SO_EERKSO_lbbbEUlllE0_EEPmJS6_EEE10hipError_tPvRmT3_T4_T5_T6_T7_T9_mT8_P12ihipStream_tbDpT10_ENKUlT_T0_E_clISt17integral_constantIbLb0EES1E_EEDaS19_S1A_EUlS19_E_NS1_11comp_targetILNS1_3genE2ELNS1_11target_archE906ELNS1_3gpuE6ELNS1_3repE0EEENS1_30default_config_static_selectorELNS0_4arch9wavefront6targetE1EEEvT1_ ; -- Begin function _ZN7rocprim17ROCPRIM_400000_NS6detail17trampoline_kernelINS0_14default_configENS1_25partition_config_selectorILNS1_17partition_subalgoE8ElNS0_10empty_typeEbEEZZNS1_14partition_implILS5_8ELb0ES3_jPlPS6_PKS6_NS0_5tupleIJS9_S6_EEENSD_IJSA_SA_EEENS0_18inequality_wrapperIZN2at6native12_GLOBAL__N_124unique_dim_cuda_templateIN3c104HalfEEESt5tupleIJNSH_6TensorESO_SO_EERKSO_lbbbEUlllE0_EEPmJS6_EEE10hipError_tPvRmT3_T4_T5_T6_T7_T9_mT8_P12ihipStream_tbDpT10_ENKUlT_T0_E_clISt17integral_constantIbLb0EES1E_EEDaS19_S1A_EUlS19_E_NS1_11comp_targetILNS1_3genE2ELNS1_11target_archE906ELNS1_3gpuE6ELNS1_3repE0EEENS1_30default_config_static_selectorELNS0_4arch9wavefront6targetE1EEEvT1_
	.p2align	8
	.type	_ZN7rocprim17ROCPRIM_400000_NS6detail17trampoline_kernelINS0_14default_configENS1_25partition_config_selectorILNS1_17partition_subalgoE8ElNS0_10empty_typeEbEEZZNS1_14partition_implILS5_8ELb0ES3_jPlPS6_PKS6_NS0_5tupleIJS9_S6_EEENSD_IJSA_SA_EEENS0_18inequality_wrapperIZN2at6native12_GLOBAL__N_124unique_dim_cuda_templateIN3c104HalfEEESt5tupleIJNSH_6TensorESO_SO_EERKSO_lbbbEUlllE0_EEPmJS6_EEE10hipError_tPvRmT3_T4_T5_T6_T7_T9_mT8_P12ihipStream_tbDpT10_ENKUlT_T0_E_clISt17integral_constantIbLb0EES1E_EEDaS19_S1A_EUlS19_E_NS1_11comp_targetILNS1_3genE2ELNS1_11target_archE906ELNS1_3gpuE6ELNS1_3repE0EEENS1_30default_config_static_selectorELNS0_4arch9wavefront6targetE1EEEvT1_,@function
_ZN7rocprim17ROCPRIM_400000_NS6detail17trampoline_kernelINS0_14default_configENS1_25partition_config_selectorILNS1_17partition_subalgoE8ElNS0_10empty_typeEbEEZZNS1_14partition_implILS5_8ELb0ES3_jPlPS6_PKS6_NS0_5tupleIJS9_S6_EEENSD_IJSA_SA_EEENS0_18inequality_wrapperIZN2at6native12_GLOBAL__N_124unique_dim_cuda_templateIN3c104HalfEEESt5tupleIJNSH_6TensorESO_SO_EERKSO_lbbbEUlllE0_EEPmJS6_EEE10hipError_tPvRmT3_T4_T5_T6_T7_T9_mT8_P12ihipStream_tbDpT10_ENKUlT_T0_E_clISt17integral_constantIbLb0EES1E_EEDaS19_S1A_EUlS19_E_NS1_11comp_targetILNS1_3genE2ELNS1_11target_archE906ELNS1_3gpuE6ELNS1_3repE0EEENS1_30default_config_static_selectorELNS0_4arch9wavefront6targetE1EEEvT1_: ; @_ZN7rocprim17ROCPRIM_400000_NS6detail17trampoline_kernelINS0_14default_configENS1_25partition_config_selectorILNS1_17partition_subalgoE8ElNS0_10empty_typeEbEEZZNS1_14partition_implILS5_8ELb0ES3_jPlPS6_PKS6_NS0_5tupleIJS9_S6_EEENSD_IJSA_SA_EEENS0_18inequality_wrapperIZN2at6native12_GLOBAL__N_124unique_dim_cuda_templateIN3c104HalfEEESt5tupleIJNSH_6TensorESO_SO_EERKSO_lbbbEUlllE0_EEPmJS6_EEE10hipError_tPvRmT3_T4_T5_T6_T7_T9_mT8_P12ihipStream_tbDpT10_ENKUlT_T0_E_clISt17integral_constantIbLb0EES1E_EEDaS19_S1A_EUlS19_E_NS1_11comp_targetILNS1_3genE2ELNS1_11target_archE906ELNS1_3gpuE6ELNS1_3repE0EEENS1_30default_config_static_selectorELNS0_4arch9wavefront6targetE1EEEvT1_
; %bb.0:
	.section	.rodata,"a",@progbits
	.p2align	6, 0x0
	.amdhsa_kernel _ZN7rocprim17ROCPRIM_400000_NS6detail17trampoline_kernelINS0_14default_configENS1_25partition_config_selectorILNS1_17partition_subalgoE8ElNS0_10empty_typeEbEEZZNS1_14partition_implILS5_8ELb0ES3_jPlPS6_PKS6_NS0_5tupleIJS9_S6_EEENSD_IJSA_SA_EEENS0_18inequality_wrapperIZN2at6native12_GLOBAL__N_124unique_dim_cuda_templateIN3c104HalfEEESt5tupleIJNSH_6TensorESO_SO_EERKSO_lbbbEUlllE0_EEPmJS6_EEE10hipError_tPvRmT3_T4_T5_T6_T7_T9_mT8_P12ihipStream_tbDpT10_ENKUlT_T0_E_clISt17integral_constantIbLb0EES1E_EEDaS19_S1A_EUlS19_E_NS1_11comp_targetILNS1_3genE2ELNS1_11target_archE906ELNS1_3gpuE6ELNS1_3repE0EEENS1_30default_config_static_selectorELNS0_4arch9wavefront6targetE1EEEvT1_
		.amdhsa_group_segment_fixed_size 0
		.amdhsa_private_segment_fixed_size 0
		.amdhsa_kernarg_size 120
		.amdhsa_user_sgpr_count 2
		.amdhsa_user_sgpr_dispatch_ptr 0
		.amdhsa_user_sgpr_queue_ptr 0
		.amdhsa_user_sgpr_kernarg_segment_ptr 1
		.amdhsa_user_sgpr_dispatch_id 0
		.amdhsa_user_sgpr_kernarg_preload_length 0
		.amdhsa_user_sgpr_kernarg_preload_offset 0
		.amdhsa_user_sgpr_private_segment_size 0
		.amdhsa_uses_dynamic_stack 0
		.amdhsa_enable_private_segment 0
		.amdhsa_system_sgpr_workgroup_id_x 1
		.amdhsa_system_sgpr_workgroup_id_y 0
		.amdhsa_system_sgpr_workgroup_id_z 0
		.amdhsa_system_sgpr_workgroup_info 0
		.amdhsa_system_vgpr_workitem_id 0
		.amdhsa_next_free_vgpr 1
		.amdhsa_next_free_sgpr 0
		.amdhsa_accum_offset 4
		.amdhsa_reserve_vcc 0
		.amdhsa_float_round_mode_32 0
		.amdhsa_float_round_mode_16_64 0
		.amdhsa_float_denorm_mode_32 3
		.amdhsa_float_denorm_mode_16_64 3
		.amdhsa_dx10_clamp 1
		.amdhsa_ieee_mode 1
		.amdhsa_fp16_overflow 0
		.amdhsa_tg_split 0
		.amdhsa_exception_fp_ieee_invalid_op 0
		.amdhsa_exception_fp_denorm_src 0
		.amdhsa_exception_fp_ieee_div_zero 0
		.amdhsa_exception_fp_ieee_overflow 0
		.amdhsa_exception_fp_ieee_underflow 0
		.amdhsa_exception_fp_ieee_inexact 0
		.amdhsa_exception_int_div_zero 0
	.end_amdhsa_kernel
	.section	.text._ZN7rocprim17ROCPRIM_400000_NS6detail17trampoline_kernelINS0_14default_configENS1_25partition_config_selectorILNS1_17partition_subalgoE8ElNS0_10empty_typeEbEEZZNS1_14partition_implILS5_8ELb0ES3_jPlPS6_PKS6_NS0_5tupleIJS9_S6_EEENSD_IJSA_SA_EEENS0_18inequality_wrapperIZN2at6native12_GLOBAL__N_124unique_dim_cuda_templateIN3c104HalfEEESt5tupleIJNSH_6TensorESO_SO_EERKSO_lbbbEUlllE0_EEPmJS6_EEE10hipError_tPvRmT3_T4_T5_T6_T7_T9_mT8_P12ihipStream_tbDpT10_ENKUlT_T0_E_clISt17integral_constantIbLb0EES1E_EEDaS19_S1A_EUlS19_E_NS1_11comp_targetILNS1_3genE2ELNS1_11target_archE906ELNS1_3gpuE6ELNS1_3repE0EEENS1_30default_config_static_selectorELNS0_4arch9wavefront6targetE1EEEvT1_,"axG",@progbits,_ZN7rocprim17ROCPRIM_400000_NS6detail17trampoline_kernelINS0_14default_configENS1_25partition_config_selectorILNS1_17partition_subalgoE8ElNS0_10empty_typeEbEEZZNS1_14partition_implILS5_8ELb0ES3_jPlPS6_PKS6_NS0_5tupleIJS9_S6_EEENSD_IJSA_SA_EEENS0_18inequality_wrapperIZN2at6native12_GLOBAL__N_124unique_dim_cuda_templateIN3c104HalfEEESt5tupleIJNSH_6TensorESO_SO_EERKSO_lbbbEUlllE0_EEPmJS6_EEE10hipError_tPvRmT3_T4_T5_T6_T7_T9_mT8_P12ihipStream_tbDpT10_ENKUlT_T0_E_clISt17integral_constantIbLb0EES1E_EEDaS19_S1A_EUlS19_E_NS1_11comp_targetILNS1_3genE2ELNS1_11target_archE906ELNS1_3gpuE6ELNS1_3repE0EEENS1_30default_config_static_selectorELNS0_4arch9wavefront6targetE1EEEvT1_,comdat
.Lfunc_end1301:
	.size	_ZN7rocprim17ROCPRIM_400000_NS6detail17trampoline_kernelINS0_14default_configENS1_25partition_config_selectorILNS1_17partition_subalgoE8ElNS0_10empty_typeEbEEZZNS1_14partition_implILS5_8ELb0ES3_jPlPS6_PKS6_NS0_5tupleIJS9_S6_EEENSD_IJSA_SA_EEENS0_18inequality_wrapperIZN2at6native12_GLOBAL__N_124unique_dim_cuda_templateIN3c104HalfEEESt5tupleIJNSH_6TensorESO_SO_EERKSO_lbbbEUlllE0_EEPmJS6_EEE10hipError_tPvRmT3_T4_T5_T6_T7_T9_mT8_P12ihipStream_tbDpT10_ENKUlT_T0_E_clISt17integral_constantIbLb0EES1E_EEDaS19_S1A_EUlS19_E_NS1_11comp_targetILNS1_3genE2ELNS1_11target_archE906ELNS1_3gpuE6ELNS1_3repE0EEENS1_30default_config_static_selectorELNS0_4arch9wavefront6targetE1EEEvT1_, .Lfunc_end1301-_ZN7rocprim17ROCPRIM_400000_NS6detail17trampoline_kernelINS0_14default_configENS1_25partition_config_selectorILNS1_17partition_subalgoE8ElNS0_10empty_typeEbEEZZNS1_14partition_implILS5_8ELb0ES3_jPlPS6_PKS6_NS0_5tupleIJS9_S6_EEENSD_IJSA_SA_EEENS0_18inequality_wrapperIZN2at6native12_GLOBAL__N_124unique_dim_cuda_templateIN3c104HalfEEESt5tupleIJNSH_6TensorESO_SO_EERKSO_lbbbEUlllE0_EEPmJS6_EEE10hipError_tPvRmT3_T4_T5_T6_T7_T9_mT8_P12ihipStream_tbDpT10_ENKUlT_T0_E_clISt17integral_constantIbLb0EES1E_EEDaS19_S1A_EUlS19_E_NS1_11comp_targetILNS1_3genE2ELNS1_11target_archE906ELNS1_3gpuE6ELNS1_3repE0EEENS1_30default_config_static_selectorELNS0_4arch9wavefront6targetE1EEEvT1_
                                        ; -- End function
	.set _ZN7rocprim17ROCPRIM_400000_NS6detail17trampoline_kernelINS0_14default_configENS1_25partition_config_selectorILNS1_17partition_subalgoE8ElNS0_10empty_typeEbEEZZNS1_14partition_implILS5_8ELb0ES3_jPlPS6_PKS6_NS0_5tupleIJS9_S6_EEENSD_IJSA_SA_EEENS0_18inequality_wrapperIZN2at6native12_GLOBAL__N_124unique_dim_cuda_templateIN3c104HalfEEESt5tupleIJNSH_6TensorESO_SO_EERKSO_lbbbEUlllE0_EEPmJS6_EEE10hipError_tPvRmT3_T4_T5_T6_T7_T9_mT8_P12ihipStream_tbDpT10_ENKUlT_T0_E_clISt17integral_constantIbLb0EES1E_EEDaS19_S1A_EUlS19_E_NS1_11comp_targetILNS1_3genE2ELNS1_11target_archE906ELNS1_3gpuE6ELNS1_3repE0EEENS1_30default_config_static_selectorELNS0_4arch9wavefront6targetE1EEEvT1_.num_vgpr, 0
	.set _ZN7rocprim17ROCPRIM_400000_NS6detail17trampoline_kernelINS0_14default_configENS1_25partition_config_selectorILNS1_17partition_subalgoE8ElNS0_10empty_typeEbEEZZNS1_14partition_implILS5_8ELb0ES3_jPlPS6_PKS6_NS0_5tupleIJS9_S6_EEENSD_IJSA_SA_EEENS0_18inequality_wrapperIZN2at6native12_GLOBAL__N_124unique_dim_cuda_templateIN3c104HalfEEESt5tupleIJNSH_6TensorESO_SO_EERKSO_lbbbEUlllE0_EEPmJS6_EEE10hipError_tPvRmT3_T4_T5_T6_T7_T9_mT8_P12ihipStream_tbDpT10_ENKUlT_T0_E_clISt17integral_constantIbLb0EES1E_EEDaS19_S1A_EUlS19_E_NS1_11comp_targetILNS1_3genE2ELNS1_11target_archE906ELNS1_3gpuE6ELNS1_3repE0EEENS1_30default_config_static_selectorELNS0_4arch9wavefront6targetE1EEEvT1_.num_agpr, 0
	.set _ZN7rocprim17ROCPRIM_400000_NS6detail17trampoline_kernelINS0_14default_configENS1_25partition_config_selectorILNS1_17partition_subalgoE8ElNS0_10empty_typeEbEEZZNS1_14partition_implILS5_8ELb0ES3_jPlPS6_PKS6_NS0_5tupleIJS9_S6_EEENSD_IJSA_SA_EEENS0_18inequality_wrapperIZN2at6native12_GLOBAL__N_124unique_dim_cuda_templateIN3c104HalfEEESt5tupleIJNSH_6TensorESO_SO_EERKSO_lbbbEUlllE0_EEPmJS6_EEE10hipError_tPvRmT3_T4_T5_T6_T7_T9_mT8_P12ihipStream_tbDpT10_ENKUlT_T0_E_clISt17integral_constantIbLb0EES1E_EEDaS19_S1A_EUlS19_E_NS1_11comp_targetILNS1_3genE2ELNS1_11target_archE906ELNS1_3gpuE6ELNS1_3repE0EEENS1_30default_config_static_selectorELNS0_4arch9wavefront6targetE1EEEvT1_.numbered_sgpr, 0
	.set _ZN7rocprim17ROCPRIM_400000_NS6detail17trampoline_kernelINS0_14default_configENS1_25partition_config_selectorILNS1_17partition_subalgoE8ElNS0_10empty_typeEbEEZZNS1_14partition_implILS5_8ELb0ES3_jPlPS6_PKS6_NS0_5tupleIJS9_S6_EEENSD_IJSA_SA_EEENS0_18inequality_wrapperIZN2at6native12_GLOBAL__N_124unique_dim_cuda_templateIN3c104HalfEEESt5tupleIJNSH_6TensorESO_SO_EERKSO_lbbbEUlllE0_EEPmJS6_EEE10hipError_tPvRmT3_T4_T5_T6_T7_T9_mT8_P12ihipStream_tbDpT10_ENKUlT_T0_E_clISt17integral_constantIbLb0EES1E_EEDaS19_S1A_EUlS19_E_NS1_11comp_targetILNS1_3genE2ELNS1_11target_archE906ELNS1_3gpuE6ELNS1_3repE0EEENS1_30default_config_static_selectorELNS0_4arch9wavefront6targetE1EEEvT1_.num_named_barrier, 0
	.set _ZN7rocprim17ROCPRIM_400000_NS6detail17trampoline_kernelINS0_14default_configENS1_25partition_config_selectorILNS1_17partition_subalgoE8ElNS0_10empty_typeEbEEZZNS1_14partition_implILS5_8ELb0ES3_jPlPS6_PKS6_NS0_5tupleIJS9_S6_EEENSD_IJSA_SA_EEENS0_18inequality_wrapperIZN2at6native12_GLOBAL__N_124unique_dim_cuda_templateIN3c104HalfEEESt5tupleIJNSH_6TensorESO_SO_EERKSO_lbbbEUlllE0_EEPmJS6_EEE10hipError_tPvRmT3_T4_T5_T6_T7_T9_mT8_P12ihipStream_tbDpT10_ENKUlT_T0_E_clISt17integral_constantIbLb0EES1E_EEDaS19_S1A_EUlS19_E_NS1_11comp_targetILNS1_3genE2ELNS1_11target_archE906ELNS1_3gpuE6ELNS1_3repE0EEENS1_30default_config_static_selectorELNS0_4arch9wavefront6targetE1EEEvT1_.private_seg_size, 0
	.set _ZN7rocprim17ROCPRIM_400000_NS6detail17trampoline_kernelINS0_14default_configENS1_25partition_config_selectorILNS1_17partition_subalgoE8ElNS0_10empty_typeEbEEZZNS1_14partition_implILS5_8ELb0ES3_jPlPS6_PKS6_NS0_5tupleIJS9_S6_EEENSD_IJSA_SA_EEENS0_18inequality_wrapperIZN2at6native12_GLOBAL__N_124unique_dim_cuda_templateIN3c104HalfEEESt5tupleIJNSH_6TensorESO_SO_EERKSO_lbbbEUlllE0_EEPmJS6_EEE10hipError_tPvRmT3_T4_T5_T6_T7_T9_mT8_P12ihipStream_tbDpT10_ENKUlT_T0_E_clISt17integral_constantIbLb0EES1E_EEDaS19_S1A_EUlS19_E_NS1_11comp_targetILNS1_3genE2ELNS1_11target_archE906ELNS1_3gpuE6ELNS1_3repE0EEENS1_30default_config_static_selectorELNS0_4arch9wavefront6targetE1EEEvT1_.uses_vcc, 0
	.set _ZN7rocprim17ROCPRIM_400000_NS6detail17trampoline_kernelINS0_14default_configENS1_25partition_config_selectorILNS1_17partition_subalgoE8ElNS0_10empty_typeEbEEZZNS1_14partition_implILS5_8ELb0ES3_jPlPS6_PKS6_NS0_5tupleIJS9_S6_EEENSD_IJSA_SA_EEENS0_18inequality_wrapperIZN2at6native12_GLOBAL__N_124unique_dim_cuda_templateIN3c104HalfEEESt5tupleIJNSH_6TensorESO_SO_EERKSO_lbbbEUlllE0_EEPmJS6_EEE10hipError_tPvRmT3_T4_T5_T6_T7_T9_mT8_P12ihipStream_tbDpT10_ENKUlT_T0_E_clISt17integral_constantIbLb0EES1E_EEDaS19_S1A_EUlS19_E_NS1_11comp_targetILNS1_3genE2ELNS1_11target_archE906ELNS1_3gpuE6ELNS1_3repE0EEENS1_30default_config_static_selectorELNS0_4arch9wavefront6targetE1EEEvT1_.uses_flat_scratch, 0
	.set _ZN7rocprim17ROCPRIM_400000_NS6detail17trampoline_kernelINS0_14default_configENS1_25partition_config_selectorILNS1_17partition_subalgoE8ElNS0_10empty_typeEbEEZZNS1_14partition_implILS5_8ELb0ES3_jPlPS6_PKS6_NS0_5tupleIJS9_S6_EEENSD_IJSA_SA_EEENS0_18inequality_wrapperIZN2at6native12_GLOBAL__N_124unique_dim_cuda_templateIN3c104HalfEEESt5tupleIJNSH_6TensorESO_SO_EERKSO_lbbbEUlllE0_EEPmJS6_EEE10hipError_tPvRmT3_T4_T5_T6_T7_T9_mT8_P12ihipStream_tbDpT10_ENKUlT_T0_E_clISt17integral_constantIbLb0EES1E_EEDaS19_S1A_EUlS19_E_NS1_11comp_targetILNS1_3genE2ELNS1_11target_archE906ELNS1_3gpuE6ELNS1_3repE0EEENS1_30default_config_static_selectorELNS0_4arch9wavefront6targetE1EEEvT1_.has_dyn_sized_stack, 0
	.set _ZN7rocprim17ROCPRIM_400000_NS6detail17trampoline_kernelINS0_14default_configENS1_25partition_config_selectorILNS1_17partition_subalgoE8ElNS0_10empty_typeEbEEZZNS1_14partition_implILS5_8ELb0ES3_jPlPS6_PKS6_NS0_5tupleIJS9_S6_EEENSD_IJSA_SA_EEENS0_18inequality_wrapperIZN2at6native12_GLOBAL__N_124unique_dim_cuda_templateIN3c104HalfEEESt5tupleIJNSH_6TensorESO_SO_EERKSO_lbbbEUlllE0_EEPmJS6_EEE10hipError_tPvRmT3_T4_T5_T6_T7_T9_mT8_P12ihipStream_tbDpT10_ENKUlT_T0_E_clISt17integral_constantIbLb0EES1E_EEDaS19_S1A_EUlS19_E_NS1_11comp_targetILNS1_3genE2ELNS1_11target_archE906ELNS1_3gpuE6ELNS1_3repE0EEENS1_30default_config_static_selectorELNS0_4arch9wavefront6targetE1EEEvT1_.has_recursion, 0
	.set _ZN7rocprim17ROCPRIM_400000_NS6detail17trampoline_kernelINS0_14default_configENS1_25partition_config_selectorILNS1_17partition_subalgoE8ElNS0_10empty_typeEbEEZZNS1_14partition_implILS5_8ELb0ES3_jPlPS6_PKS6_NS0_5tupleIJS9_S6_EEENSD_IJSA_SA_EEENS0_18inequality_wrapperIZN2at6native12_GLOBAL__N_124unique_dim_cuda_templateIN3c104HalfEEESt5tupleIJNSH_6TensorESO_SO_EERKSO_lbbbEUlllE0_EEPmJS6_EEE10hipError_tPvRmT3_T4_T5_T6_T7_T9_mT8_P12ihipStream_tbDpT10_ENKUlT_T0_E_clISt17integral_constantIbLb0EES1E_EEDaS19_S1A_EUlS19_E_NS1_11comp_targetILNS1_3genE2ELNS1_11target_archE906ELNS1_3gpuE6ELNS1_3repE0EEENS1_30default_config_static_selectorELNS0_4arch9wavefront6targetE1EEEvT1_.has_indirect_call, 0
	.section	.AMDGPU.csdata,"",@progbits
; Kernel info:
; codeLenInByte = 0
; TotalNumSgprs: 6
; NumVgprs: 0
; NumAgprs: 0
; TotalNumVgprs: 0
; ScratchSize: 0
; MemoryBound: 0
; FloatMode: 240
; IeeeMode: 1
; LDSByteSize: 0 bytes/workgroup (compile time only)
; SGPRBlocks: 0
; VGPRBlocks: 0
; NumSGPRsForWavesPerEU: 6
; NumVGPRsForWavesPerEU: 1
; AccumOffset: 4
; Occupancy: 8
; WaveLimiterHint : 0
; COMPUTE_PGM_RSRC2:SCRATCH_EN: 0
; COMPUTE_PGM_RSRC2:USER_SGPR: 2
; COMPUTE_PGM_RSRC2:TRAP_HANDLER: 0
; COMPUTE_PGM_RSRC2:TGID_X_EN: 1
; COMPUTE_PGM_RSRC2:TGID_Y_EN: 0
; COMPUTE_PGM_RSRC2:TGID_Z_EN: 0
; COMPUTE_PGM_RSRC2:TIDIG_COMP_CNT: 0
; COMPUTE_PGM_RSRC3_GFX90A:ACCUM_OFFSET: 0
; COMPUTE_PGM_RSRC3_GFX90A:TG_SPLIT: 0
	.section	.text._ZN7rocprim17ROCPRIM_400000_NS6detail17trampoline_kernelINS0_14default_configENS1_25partition_config_selectorILNS1_17partition_subalgoE8ElNS0_10empty_typeEbEEZZNS1_14partition_implILS5_8ELb0ES3_jPlPS6_PKS6_NS0_5tupleIJS9_S6_EEENSD_IJSA_SA_EEENS0_18inequality_wrapperIZN2at6native12_GLOBAL__N_124unique_dim_cuda_templateIN3c104HalfEEESt5tupleIJNSH_6TensorESO_SO_EERKSO_lbbbEUlllE0_EEPmJS6_EEE10hipError_tPvRmT3_T4_T5_T6_T7_T9_mT8_P12ihipStream_tbDpT10_ENKUlT_T0_E_clISt17integral_constantIbLb0EES1E_EEDaS19_S1A_EUlS19_E_NS1_11comp_targetILNS1_3genE10ELNS1_11target_archE1200ELNS1_3gpuE4ELNS1_3repE0EEENS1_30default_config_static_selectorELNS0_4arch9wavefront6targetE1EEEvT1_,"axG",@progbits,_ZN7rocprim17ROCPRIM_400000_NS6detail17trampoline_kernelINS0_14default_configENS1_25partition_config_selectorILNS1_17partition_subalgoE8ElNS0_10empty_typeEbEEZZNS1_14partition_implILS5_8ELb0ES3_jPlPS6_PKS6_NS0_5tupleIJS9_S6_EEENSD_IJSA_SA_EEENS0_18inequality_wrapperIZN2at6native12_GLOBAL__N_124unique_dim_cuda_templateIN3c104HalfEEESt5tupleIJNSH_6TensorESO_SO_EERKSO_lbbbEUlllE0_EEPmJS6_EEE10hipError_tPvRmT3_T4_T5_T6_T7_T9_mT8_P12ihipStream_tbDpT10_ENKUlT_T0_E_clISt17integral_constantIbLb0EES1E_EEDaS19_S1A_EUlS19_E_NS1_11comp_targetILNS1_3genE10ELNS1_11target_archE1200ELNS1_3gpuE4ELNS1_3repE0EEENS1_30default_config_static_selectorELNS0_4arch9wavefront6targetE1EEEvT1_,comdat
	.globl	_ZN7rocprim17ROCPRIM_400000_NS6detail17trampoline_kernelINS0_14default_configENS1_25partition_config_selectorILNS1_17partition_subalgoE8ElNS0_10empty_typeEbEEZZNS1_14partition_implILS5_8ELb0ES3_jPlPS6_PKS6_NS0_5tupleIJS9_S6_EEENSD_IJSA_SA_EEENS0_18inequality_wrapperIZN2at6native12_GLOBAL__N_124unique_dim_cuda_templateIN3c104HalfEEESt5tupleIJNSH_6TensorESO_SO_EERKSO_lbbbEUlllE0_EEPmJS6_EEE10hipError_tPvRmT3_T4_T5_T6_T7_T9_mT8_P12ihipStream_tbDpT10_ENKUlT_T0_E_clISt17integral_constantIbLb0EES1E_EEDaS19_S1A_EUlS19_E_NS1_11comp_targetILNS1_3genE10ELNS1_11target_archE1200ELNS1_3gpuE4ELNS1_3repE0EEENS1_30default_config_static_selectorELNS0_4arch9wavefront6targetE1EEEvT1_ ; -- Begin function _ZN7rocprim17ROCPRIM_400000_NS6detail17trampoline_kernelINS0_14default_configENS1_25partition_config_selectorILNS1_17partition_subalgoE8ElNS0_10empty_typeEbEEZZNS1_14partition_implILS5_8ELb0ES3_jPlPS6_PKS6_NS0_5tupleIJS9_S6_EEENSD_IJSA_SA_EEENS0_18inequality_wrapperIZN2at6native12_GLOBAL__N_124unique_dim_cuda_templateIN3c104HalfEEESt5tupleIJNSH_6TensorESO_SO_EERKSO_lbbbEUlllE0_EEPmJS6_EEE10hipError_tPvRmT3_T4_T5_T6_T7_T9_mT8_P12ihipStream_tbDpT10_ENKUlT_T0_E_clISt17integral_constantIbLb0EES1E_EEDaS19_S1A_EUlS19_E_NS1_11comp_targetILNS1_3genE10ELNS1_11target_archE1200ELNS1_3gpuE4ELNS1_3repE0EEENS1_30default_config_static_selectorELNS0_4arch9wavefront6targetE1EEEvT1_
	.p2align	8
	.type	_ZN7rocprim17ROCPRIM_400000_NS6detail17trampoline_kernelINS0_14default_configENS1_25partition_config_selectorILNS1_17partition_subalgoE8ElNS0_10empty_typeEbEEZZNS1_14partition_implILS5_8ELb0ES3_jPlPS6_PKS6_NS0_5tupleIJS9_S6_EEENSD_IJSA_SA_EEENS0_18inequality_wrapperIZN2at6native12_GLOBAL__N_124unique_dim_cuda_templateIN3c104HalfEEESt5tupleIJNSH_6TensorESO_SO_EERKSO_lbbbEUlllE0_EEPmJS6_EEE10hipError_tPvRmT3_T4_T5_T6_T7_T9_mT8_P12ihipStream_tbDpT10_ENKUlT_T0_E_clISt17integral_constantIbLb0EES1E_EEDaS19_S1A_EUlS19_E_NS1_11comp_targetILNS1_3genE10ELNS1_11target_archE1200ELNS1_3gpuE4ELNS1_3repE0EEENS1_30default_config_static_selectorELNS0_4arch9wavefront6targetE1EEEvT1_,@function
_ZN7rocprim17ROCPRIM_400000_NS6detail17trampoline_kernelINS0_14default_configENS1_25partition_config_selectorILNS1_17partition_subalgoE8ElNS0_10empty_typeEbEEZZNS1_14partition_implILS5_8ELb0ES3_jPlPS6_PKS6_NS0_5tupleIJS9_S6_EEENSD_IJSA_SA_EEENS0_18inequality_wrapperIZN2at6native12_GLOBAL__N_124unique_dim_cuda_templateIN3c104HalfEEESt5tupleIJNSH_6TensorESO_SO_EERKSO_lbbbEUlllE0_EEPmJS6_EEE10hipError_tPvRmT3_T4_T5_T6_T7_T9_mT8_P12ihipStream_tbDpT10_ENKUlT_T0_E_clISt17integral_constantIbLb0EES1E_EEDaS19_S1A_EUlS19_E_NS1_11comp_targetILNS1_3genE10ELNS1_11target_archE1200ELNS1_3gpuE4ELNS1_3repE0EEENS1_30default_config_static_selectorELNS0_4arch9wavefront6targetE1EEEvT1_: ; @_ZN7rocprim17ROCPRIM_400000_NS6detail17trampoline_kernelINS0_14default_configENS1_25partition_config_selectorILNS1_17partition_subalgoE8ElNS0_10empty_typeEbEEZZNS1_14partition_implILS5_8ELb0ES3_jPlPS6_PKS6_NS0_5tupleIJS9_S6_EEENSD_IJSA_SA_EEENS0_18inequality_wrapperIZN2at6native12_GLOBAL__N_124unique_dim_cuda_templateIN3c104HalfEEESt5tupleIJNSH_6TensorESO_SO_EERKSO_lbbbEUlllE0_EEPmJS6_EEE10hipError_tPvRmT3_T4_T5_T6_T7_T9_mT8_P12ihipStream_tbDpT10_ENKUlT_T0_E_clISt17integral_constantIbLb0EES1E_EEDaS19_S1A_EUlS19_E_NS1_11comp_targetILNS1_3genE10ELNS1_11target_archE1200ELNS1_3gpuE4ELNS1_3repE0EEENS1_30default_config_static_selectorELNS0_4arch9wavefront6targetE1EEEvT1_
; %bb.0:
	.section	.rodata,"a",@progbits
	.p2align	6, 0x0
	.amdhsa_kernel _ZN7rocprim17ROCPRIM_400000_NS6detail17trampoline_kernelINS0_14default_configENS1_25partition_config_selectorILNS1_17partition_subalgoE8ElNS0_10empty_typeEbEEZZNS1_14partition_implILS5_8ELb0ES3_jPlPS6_PKS6_NS0_5tupleIJS9_S6_EEENSD_IJSA_SA_EEENS0_18inequality_wrapperIZN2at6native12_GLOBAL__N_124unique_dim_cuda_templateIN3c104HalfEEESt5tupleIJNSH_6TensorESO_SO_EERKSO_lbbbEUlllE0_EEPmJS6_EEE10hipError_tPvRmT3_T4_T5_T6_T7_T9_mT8_P12ihipStream_tbDpT10_ENKUlT_T0_E_clISt17integral_constantIbLb0EES1E_EEDaS19_S1A_EUlS19_E_NS1_11comp_targetILNS1_3genE10ELNS1_11target_archE1200ELNS1_3gpuE4ELNS1_3repE0EEENS1_30default_config_static_selectorELNS0_4arch9wavefront6targetE1EEEvT1_
		.amdhsa_group_segment_fixed_size 0
		.amdhsa_private_segment_fixed_size 0
		.amdhsa_kernarg_size 120
		.amdhsa_user_sgpr_count 2
		.amdhsa_user_sgpr_dispatch_ptr 0
		.amdhsa_user_sgpr_queue_ptr 0
		.amdhsa_user_sgpr_kernarg_segment_ptr 1
		.amdhsa_user_sgpr_dispatch_id 0
		.amdhsa_user_sgpr_kernarg_preload_length 0
		.amdhsa_user_sgpr_kernarg_preload_offset 0
		.amdhsa_user_sgpr_private_segment_size 0
		.amdhsa_uses_dynamic_stack 0
		.amdhsa_enable_private_segment 0
		.amdhsa_system_sgpr_workgroup_id_x 1
		.amdhsa_system_sgpr_workgroup_id_y 0
		.amdhsa_system_sgpr_workgroup_id_z 0
		.amdhsa_system_sgpr_workgroup_info 0
		.amdhsa_system_vgpr_workitem_id 0
		.amdhsa_next_free_vgpr 1
		.amdhsa_next_free_sgpr 0
		.amdhsa_accum_offset 4
		.amdhsa_reserve_vcc 0
		.amdhsa_float_round_mode_32 0
		.amdhsa_float_round_mode_16_64 0
		.amdhsa_float_denorm_mode_32 3
		.amdhsa_float_denorm_mode_16_64 3
		.amdhsa_dx10_clamp 1
		.amdhsa_ieee_mode 1
		.amdhsa_fp16_overflow 0
		.amdhsa_tg_split 0
		.amdhsa_exception_fp_ieee_invalid_op 0
		.amdhsa_exception_fp_denorm_src 0
		.amdhsa_exception_fp_ieee_div_zero 0
		.amdhsa_exception_fp_ieee_overflow 0
		.amdhsa_exception_fp_ieee_underflow 0
		.amdhsa_exception_fp_ieee_inexact 0
		.amdhsa_exception_int_div_zero 0
	.end_amdhsa_kernel
	.section	.text._ZN7rocprim17ROCPRIM_400000_NS6detail17trampoline_kernelINS0_14default_configENS1_25partition_config_selectorILNS1_17partition_subalgoE8ElNS0_10empty_typeEbEEZZNS1_14partition_implILS5_8ELb0ES3_jPlPS6_PKS6_NS0_5tupleIJS9_S6_EEENSD_IJSA_SA_EEENS0_18inequality_wrapperIZN2at6native12_GLOBAL__N_124unique_dim_cuda_templateIN3c104HalfEEESt5tupleIJNSH_6TensorESO_SO_EERKSO_lbbbEUlllE0_EEPmJS6_EEE10hipError_tPvRmT3_T4_T5_T6_T7_T9_mT8_P12ihipStream_tbDpT10_ENKUlT_T0_E_clISt17integral_constantIbLb0EES1E_EEDaS19_S1A_EUlS19_E_NS1_11comp_targetILNS1_3genE10ELNS1_11target_archE1200ELNS1_3gpuE4ELNS1_3repE0EEENS1_30default_config_static_selectorELNS0_4arch9wavefront6targetE1EEEvT1_,"axG",@progbits,_ZN7rocprim17ROCPRIM_400000_NS6detail17trampoline_kernelINS0_14default_configENS1_25partition_config_selectorILNS1_17partition_subalgoE8ElNS0_10empty_typeEbEEZZNS1_14partition_implILS5_8ELb0ES3_jPlPS6_PKS6_NS0_5tupleIJS9_S6_EEENSD_IJSA_SA_EEENS0_18inequality_wrapperIZN2at6native12_GLOBAL__N_124unique_dim_cuda_templateIN3c104HalfEEESt5tupleIJNSH_6TensorESO_SO_EERKSO_lbbbEUlllE0_EEPmJS6_EEE10hipError_tPvRmT3_T4_T5_T6_T7_T9_mT8_P12ihipStream_tbDpT10_ENKUlT_T0_E_clISt17integral_constantIbLb0EES1E_EEDaS19_S1A_EUlS19_E_NS1_11comp_targetILNS1_3genE10ELNS1_11target_archE1200ELNS1_3gpuE4ELNS1_3repE0EEENS1_30default_config_static_selectorELNS0_4arch9wavefront6targetE1EEEvT1_,comdat
.Lfunc_end1302:
	.size	_ZN7rocprim17ROCPRIM_400000_NS6detail17trampoline_kernelINS0_14default_configENS1_25partition_config_selectorILNS1_17partition_subalgoE8ElNS0_10empty_typeEbEEZZNS1_14partition_implILS5_8ELb0ES3_jPlPS6_PKS6_NS0_5tupleIJS9_S6_EEENSD_IJSA_SA_EEENS0_18inequality_wrapperIZN2at6native12_GLOBAL__N_124unique_dim_cuda_templateIN3c104HalfEEESt5tupleIJNSH_6TensorESO_SO_EERKSO_lbbbEUlllE0_EEPmJS6_EEE10hipError_tPvRmT3_T4_T5_T6_T7_T9_mT8_P12ihipStream_tbDpT10_ENKUlT_T0_E_clISt17integral_constantIbLb0EES1E_EEDaS19_S1A_EUlS19_E_NS1_11comp_targetILNS1_3genE10ELNS1_11target_archE1200ELNS1_3gpuE4ELNS1_3repE0EEENS1_30default_config_static_selectorELNS0_4arch9wavefront6targetE1EEEvT1_, .Lfunc_end1302-_ZN7rocprim17ROCPRIM_400000_NS6detail17trampoline_kernelINS0_14default_configENS1_25partition_config_selectorILNS1_17partition_subalgoE8ElNS0_10empty_typeEbEEZZNS1_14partition_implILS5_8ELb0ES3_jPlPS6_PKS6_NS0_5tupleIJS9_S6_EEENSD_IJSA_SA_EEENS0_18inequality_wrapperIZN2at6native12_GLOBAL__N_124unique_dim_cuda_templateIN3c104HalfEEESt5tupleIJNSH_6TensorESO_SO_EERKSO_lbbbEUlllE0_EEPmJS6_EEE10hipError_tPvRmT3_T4_T5_T6_T7_T9_mT8_P12ihipStream_tbDpT10_ENKUlT_T0_E_clISt17integral_constantIbLb0EES1E_EEDaS19_S1A_EUlS19_E_NS1_11comp_targetILNS1_3genE10ELNS1_11target_archE1200ELNS1_3gpuE4ELNS1_3repE0EEENS1_30default_config_static_selectorELNS0_4arch9wavefront6targetE1EEEvT1_
                                        ; -- End function
	.set _ZN7rocprim17ROCPRIM_400000_NS6detail17trampoline_kernelINS0_14default_configENS1_25partition_config_selectorILNS1_17partition_subalgoE8ElNS0_10empty_typeEbEEZZNS1_14partition_implILS5_8ELb0ES3_jPlPS6_PKS6_NS0_5tupleIJS9_S6_EEENSD_IJSA_SA_EEENS0_18inequality_wrapperIZN2at6native12_GLOBAL__N_124unique_dim_cuda_templateIN3c104HalfEEESt5tupleIJNSH_6TensorESO_SO_EERKSO_lbbbEUlllE0_EEPmJS6_EEE10hipError_tPvRmT3_T4_T5_T6_T7_T9_mT8_P12ihipStream_tbDpT10_ENKUlT_T0_E_clISt17integral_constantIbLb0EES1E_EEDaS19_S1A_EUlS19_E_NS1_11comp_targetILNS1_3genE10ELNS1_11target_archE1200ELNS1_3gpuE4ELNS1_3repE0EEENS1_30default_config_static_selectorELNS0_4arch9wavefront6targetE1EEEvT1_.num_vgpr, 0
	.set _ZN7rocprim17ROCPRIM_400000_NS6detail17trampoline_kernelINS0_14default_configENS1_25partition_config_selectorILNS1_17partition_subalgoE8ElNS0_10empty_typeEbEEZZNS1_14partition_implILS5_8ELb0ES3_jPlPS6_PKS6_NS0_5tupleIJS9_S6_EEENSD_IJSA_SA_EEENS0_18inequality_wrapperIZN2at6native12_GLOBAL__N_124unique_dim_cuda_templateIN3c104HalfEEESt5tupleIJNSH_6TensorESO_SO_EERKSO_lbbbEUlllE0_EEPmJS6_EEE10hipError_tPvRmT3_T4_T5_T6_T7_T9_mT8_P12ihipStream_tbDpT10_ENKUlT_T0_E_clISt17integral_constantIbLb0EES1E_EEDaS19_S1A_EUlS19_E_NS1_11comp_targetILNS1_3genE10ELNS1_11target_archE1200ELNS1_3gpuE4ELNS1_3repE0EEENS1_30default_config_static_selectorELNS0_4arch9wavefront6targetE1EEEvT1_.num_agpr, 0
	.set _ZN7rocprim17ROCPRIM_400000_NS6detail17trampoline_kernelINS0_14default_configENS1_25partition_config_selectorILNS1_17partition_subalgoE8ElNS0_10empty_typeEbEEZZNS1_14partition_implILS5_8ELb0ES3_jPlPS6_PKS6_NS0_5tupleIJS9_S6_EEENSD_IJSA_SA_EEENS0_18inequality_wrapperIZN2at6native12_GLOBAL__N_124unique_dim_cuda_templateIN3c104HalfEEESt5tupleIJNSH_6TensorESO_SO_EERKSO_lbbbEUlllE0_EEPmJS6_EEE10hipError_tPvRmT3_T4_T5_T6_T7_T9_mT8_P12ihipStream_tbDpT10_ENKUlT_T0_E_clISt17integral_constantIbLb0EES1E_EEDaS19_S1A_EUlS19_E_NS1_11comp_targetILNS1_3genE10ELNS1_11target_archE1200ELNS1_3gpuE4ELNS1_3repE0EEENS1_30default_config_static_selectorELNS0_4arch9wavefront6targetE1EEEvT1_.numbered_sgpr, 0
	.set _ZN7rocprim17ROCPRIM_400000_NS6detail17trampoline_kernelINS0_14default_configENS1_25partition_config_selectorILNS1_17partition_subalgoE8ElNS0_10empty_typeEbEEZZNS1_14partition_implILS5_8ELb0ES3_jPlPS6_PKS6_NS0_5tupleIJS9_S6_EEENSD_IJSA_SA_EEENS0_18inequality_wrapperIZN2at6native12_GLOBAL__N_124unique_dim_cuda_templateIN3c104HalfEEESt5tupleIJNSH_6TensorESO_SO_EERKSO_lbbbEUlllE0_EEPmJS6_EEE10hipError_tPvRmT3_T4_T5_T6_T7_T9_mT8_P12ihipStream_tbDpT10_ENKUlT_T0_E_clISt17integral_constantIbLb0EES1E_EEDaS19_S1A_EUlS19_E_NS1_11comp_targetILNS1_3genE10ELNS1_11target_archE1200ELNS1_3gpuE4ELNS1_3repE0EEENS1_30default_config_static_selectorELNS0_4arch9wavefront6targetE1EEEvT1_.num_named_barrier, 0
	.set _ZN7rocprim17ROCPRIM_400000_NS6detail17trampoline_kernelINS0_14default_configENS1_25partition_config_selectorILNS1_17partition_subalgoE8ElNS0_10empty_typeEbEEZZNS1_14partition_implILS5_8ELb0ES3_jPlPS6_PKS6_NS0_5tupleIJS9_S6_EEENSD_IJSA_SA_EEENS0_18inequality_wrapperIZN2at6native12_GLOBAL__N_124unique_dim_cuda_templateIN3c104HalfEEESt5tupleIJNSH_6TensorESO_SO_EERKSO_lbbbEUlllE0_EEPmJS6_EEE10hipError_tPvRmT3_T4_T5_T6_T7_T9_mT8_P12ihipStream_tbDpT10_ENKUlT_T0_E_clISt17integral_constantIbLb0EES1E_EEDaS19_S1A_EUlS19_E_NS1_11comp_targetILNS1_3genE10ELNS1_11target_archE1200ELNS1_3gpuE4ELNS1_3repE0EEENS1_30default_config_static_selectorELNS0_4arch9wavefront6targetE1EEEvT1_.private_seg_size, 0
	.set _ZN7rocprim17ROCPRIM_400000_NS6detail17trampoline_kernelINS0_14default_configENS1_25partition_config_selectorILNS1_17partition_subalgoE8ElNS0_10empty_typeEbEEZZNS1_14partition_implILS5_8ELb0ES3_jPlPS6_PKS6_NS0_5tupleIJS9_S6_EEENSD_IJSA_SA_EEENS0_18inequality_wrapperIZN2at6native12_GLOBAL__N_124unique_dim_cuda_templateIN3c104HalfEEESt5tupleIJNSH_6TensorESO_SO_EERKSO_lbbbEUlllE0_EEPmJS6_EEE10hipError_tPvRmT3_T4_T5_T6_T7_T9_mT8_P12ihipStream_tbDpT10_ENKUlT_T0_E_clISt17integral_constantIbLb0EES1E_EEDaS19_S1A_EUlS19_E_NS1_11comp_targetILNS1_3genE10ELNS1_11target_archE1200ELNS1_3gpuE4ELNS1_3repE0EEENS1_30default_config_static_selectorELNS0_4arch9wavefront6targetE1EEEvT1_.uses_vcc, 0
	.set _ZN7rocprim17ROCPRIM_400000_NS6detail17trampoline_kernelINS0_14default_configENS1_25partition_config_selectorILNS1_17partition_subalgoE8ElNS0_10empty_typeEbEEZZNS1_14partition_implILS5_8ELb0ES3_jPlPS6_PKS6_NS0_5tupleIJS9_S6_EEENSD_IJSA_SA_EEENS0_18inequality_wrapperIZN2at6native12_GLOBAL__N_124unique_dim_cuda_templateIN3c104HalfEEESt5tupleIJNSH_6TensorESO_SO_EERKSO_lbbbEUlllE0_EEPmJS6_EEE10hipError_tPvRmT3_T4_T5_T6_T7_T9_mT8_P12ihipStream_tbDpT10_ENKUlT_T0_E_clISt17integral_constantIbLb0EES1E_EEDaS19_S1A_EUlS19_E_NS1_11comp_targetILNS1_3genE10ELNS1_11target_archE1200ELNS1_3gpuE4ELNS1_3repE0EEENS1_30default_config_static_selectorELNS0_4arch9wavefront6targetE1EEEvT1_.uses_flat_scratch, 0
	.set _ZN7rocprim17ROCPRIM_400000_NS6detail17trampoline_kernelINS0_14default_configENS1_25partition_config_selectorILNS1_17partition_subalgoE8ElNS0_10empty_typeEbEEZZNS1_14partition_implILS5_8ELb0ES3_jPlPS6_PKS6_NS0_5tupleIJS9_S6_EEENSD_IJSA_SA_EEENS0_18inequality_wrapperIZN2at6native12_GLOBAL__N_124unique_dim_cuda_templateIN3c104HalfEEESt5tupleIJNSH_6TensorESO_SO_EERKSO_lbbbEUlllE0_EEPmJS6_EEE10hipError_tPvRmT3_T4_T5_T6_T7_T9_mT8_P12ihipStream_tbDpT10_ENKUlT_T0_E_clISt17integral_constantIbLb0EES1E_EEDaS19_S1A_EUlS19_E_NS1_11comp_targetILNS1_3genE10ELNS1_11target_archE1200ELNS1_3gpuE4ELNS1_3repE0EEENS1_30default_config_static_selectorELNS0_4arch9wavefront6targetE1EEEvT1_.has_dyn_sized_stack, 0
	.set _ZN7rocprim17ROCPRIM_400000_NS6detail17trampoline_kernelINS0_14default_configENS1_25partition_config_selectorILNS1_17partition_subalgoE8ElNS0_10empty_typeEbEEZZNS1_14partition_implILS5_8ELb0ES3_jPlPS6_PKS6_NS0_5tupleIJS9_S6_EEENSD_IJSA_SA_EEENS0_18inequality_wrapperIZN2at6native12_GLOBAL__N_124unique_dim_cuda_templateIN3c104HalfEEESt5tupleIJNSH_6TensorESO_SO_EERKSO_lbbbEUlllE0_EEPmJS6_EEE10hipError_tPvRmT3_T4_T5_T6_T7_T9_mT8_P12ihipStream_tbDpT10_ENKUlT_T0_E_clISt17integral_constantIbLb0EES1E_EEDaS19_S1A_EUlS19_E_NS1_11comp_targetILNS1_3genE10ELNS1_11target_archE1200ELNS1_3gpuE4ELNS1_3repE0EEENS1_30default_config_static_selectorELNS0_4arch9wavefront6targetE1EEEvT1_.has_recursion, 0
	.set _ZN7rocprim17ROCPRIM_400000_NS6detail17trampoline_kernelINS0_14default_configENS1_25partition_config_selectorILNS1_17partition_subalgoE8ElNS0_10empty_typeEbEEZZNS1_14partition_implILS5_8ELb0ES3_jPlPS6_PKS6_NS0_5tupleIJS9_S6_EEENSD_IJSA_SA_EEENS0_18inequality_wrapperIZN2at6native12_GLOBAL__N_124unique_dim_cuda_templateIN3c104HalfEEESt5tupleIJNSH_6TensorESO_SO_EERKSO_lbbbEUlllE0_EEPmJS6_EEE10hipError_tPvRmT3_T4_T5_T6_T7_T9_mT8_P12ihipStream_tbDpT10_ENKUlT_T0_E_clISt17integral_constantIbLb0EES1E_EEDaS19_S1A_EUlS19_E_NS1_11comp_targetILNS1_3genE10ELNS1_11target_archE1200ELNS1_3gpuE4ELNS1_3repE0EEENS1_30default_config_static_selectorELNS0_4arch9wavefront6targetE1EEEvT1_.has_indirect_call, 0
	.section	.AMDGPU.csdata,"",@progbits
; Kernel info:
; codeLenInByte = 0
; TotalNumSgprs: 6
; NumVgprs: 0
; NumAgprs: 0
; TotalNumVgprs: 0
; ScratchSize: 0
; MemoryBound: 0
; FloatMode: 240
; IeeeMode: 1
; LDSByteSize: 0 bytes/workgroup (compile time only)
; SGPRBlocks: 0
; VGPRBlocks: 0
; NumSGPRsForWavesPerEU: 6
; NumVGPRsForWavesPerEU: 1
; AccumOffset: 4
; Occupancy: 8
; WaveLimiterHint : 0
; COMPUTE_PGM_RSRC2:SCRATCH_EN: 0
; COMPUTE_PGM_RSRC2:USER_SGPR: 2
; COMPUTE_PGM_RSRC2:TRAP_HANDLER: 0
; COMPUTE_PGM_RSRC2:TGID_X_EN: 1
; COMPUTE_PGM_RSRC2:TGID_Y_EN: 0
; COMPUTE_PGM_RSRC2:TGID_Z_EN: 0
; COMPUTE_PGM_RSRC2:TIDIG_COMP_CNT: 0
; COMPUTE_PGM_RSRC3_GFX90A:ACCUM_OFFSET: 0
; COMPUTE_PGM_RSRC3_GFX90A:TG_SPLIT: 0
	.section	.text._ZN7rocprim17ROCPRIM_400000_NS6detail17trampoline_kernelINS0_14default_configENS1_25partition_config_selectorILNS1_17partition_subalgoE8ElNS0_10empty_typeEbEEZZNS1_14partition_implILS5_8ELb0ES3_jPlPS6_PKS6_NS0_5tupleIJS9_S6_EEENSD_IJSA_SA_EEENS0_18inequality_wrapperIZN2at6native12_GLOBAL__N_124unique_dim_cuda_templateIN3c104HalfEEESt5tupleIJNSH_6TensorESO_SO_EERKSO_lbbbEUlllE0_EEPmJS6_EEE10hipError_tPvRmT3_T4_T5_T6_T7_T9_mT8_P12ihipStream_tbDpT10_ENKUlT_T0_E_clISt17integral_constantIbLb0EES1E_EEDaS19_S1A_EUlS19_E_NS1_11comp_targetILNS1_3genE9ELNS1_11target_archE1100ELNS1_3gpuE3ELNS1_3repE0EEENS1_30default_config_static_selectorELNS0_4arch9wavefront6targetE1EEEvT1_,"axG",@progbits,_ZN7rocprim17ROCPRIM_400000_NS6detail17trampoline_kernelINS0_14default_configENS1_25partition_config_selectorILNS1_17partition_subalgoE8ElNS0_10empty_typeEbEEZZNS1_14partition_implILS5_8ELb0ES3_jPlPS6_PKS6_NS0_5tupleIJS9_S6_EEENSD_IJSA_SA_EEENS0_18inequality_wrapperIZN2at6native12_GLOBAL__N_124unique_dim_cuda_templateIN3c104HalfEEESt5tupleIJNSH_6TensorESO_SO_EERKSO_lbbbEUlllE0_EEPmJS6_EEE10hipError_tPvRmT3_T4_T5_T6_T7_T9_mT8_P12ihipStream_tbDpT10_ENKUlT_T0_E_clISt17integral_constantIbLb0EES1E_EEDaS19_S1A_EUlS19_E_NS1_11comp_targetILNS1_3genE9ELNS1_11target_archE1100ELNS1_3gpuE3ELNS1_3repE0EEENS1_30default_config_static_selectorELNS0_4arch9wavefront6targetE1EEEvT1_,comdat
	.globl	_ZN7rocprim17ROCPRIM_400000_NS6detail17trampoline_kernelINS0_14default_configENS1_25partition_config_selectorILNS1_17partition_subalgoE8ElNS0_10empty_typeEbEEZZNS1_14partition_implILS5_8ELb0ES3_jPlPS6_PKS6_NS0_5tupleIJS9_S6_EEENSD_IJSA_SA_EEENS0_18inequality_wrapperIZN2at6native12_GLOBAL__N_124unique_dim_cuda_templateIN3c104HalfEEESt5tupleIJNSH_6TensorESO_SO_EERKSO_lbbbEUlllE0_EEPmJS6_EEE10hipError_tPvRmT3_T4_T5_T6_T7_T9_mT8_P12ihipStream_tbDpT10_ENKUlT_T0_E_clISt17integral_constantIbLb0EES1E_EEDaS19_S1A_EUlS19_E_NS1_11comp_targetILNS1_3genE9ELNS1_11target_archE1100ELNS1_3gpuE3ELNS1_3repE0EEENS1_30default_config_static_selectorELNS0_4arch9wavefront6targetE1EEEvT1_ ; -- Begin function _ZN7rocprim17ROCPRIM_400000_NS6detail17trampoline_kernelINS0_14default_configENS1_25partition_config_selectorILNS1_17partition_subalgoE8ElNS0_10empty_typeEbEEZZNS1_14partition_implILS5_8ELb0ES3_jPlPS6_PKS6_NS0_5tupleIJS9_S6_EEENSD_IJSA_SA_EEENS0_18inequality_wrapperIZN2at6native12_GLOBAL__N_124unique_dim_cuda_templateIN3c104HalfEEESt5tupleIJNSH_6TensorESO_SO_EERKSO_lbbbEUlllE0_EEPmJS6_EEE10hipError_tPvRmT3_T4_T5_T6_T7_T9_mT8_P12ihipStream_tbDpT10_ENKUlT_T0_E_clISt17integral_constantIbLb0EES1E_EEDaS19_S1A_EUlS19_E_NS1_11comp_targetILNS1_3genE9ELNS1_11target_archE1100ELNS1_3gpuE3ELNS1_3repE0EEENS1_30default_config_static_selectorELNS0_4arch9wavefront6targetE1EEEvT1_
	.p2align	8
	.type	_ZN7rocprim17ROCPRIM_400000_NS6detail17trampoline_kernelINS0_14default_configENS1_25partition_config_selectorILNS1_17partition_subalgoE8ElNS0_10empty_typeEbEEZZNS1_14partition_implILS5_8ELb0ES3_jPlPS6_PKS6_NS0_5tupleIJS9_S6_EEENSD_IJSA_SA_EEENS0_18inequality_wrapperIZN2at6native12_GLOBAL__N_124unique_dim_cuda_templateIN3c104HalfEEESt5tupleIJNSH_6TensorESO_SO_EERKSO_lbbbEUlllE0_EEPmJS6_EEE10hipError_tPvRmT3_T4_T5_T6_T7_T9_mT8_P12ihipStream_tbDpT10_ENKUlT_T0_E_clISt17integral_constantIbLb0EES1E_EEDaS19_S1A_EUlS19_E_NS1_11comp_targetILNS1_3genE9ELNS1_11target_archE1100ELNS1_3gpuE3ELNS1_3repE0EEENS1_30default_config_static_selectorELNS0_4arch9wavefront6targetE1EEEvT1_,@function
_ZN7rocprim17ROCPRIM_400000_NS6detail17trampoline_kernelINS0_14default_configENS1_25partition_config_selectorILNS1_17partition_subalgoE8ElNS0_10empty_typeEbEEZZNS1_14partition_implILS5_8ELb0ES3_jPlPS6_PKS6_NS0_5tupleIJS9_S6_EEENSD_IJSA_SA_EEENS0_18inequality_wrapperIZN2at6native12_GLOBAL__N_124unique_dim_cuda_templateIN3c104HalfEEESt5tupleIJNSH_6TensorESO_SO_EERKSO_lbbbEUlllE0_EEPmJS6_EEE10hipError_tPvRmT3_T4_T5_T6_T7_T9_mT8_P12ihipStream_tbDpT10_ENKUlT_T0_E_clISt17integral_constantIbLb0EES1E_EEDaS19_S1A_EUlS19_E_NS1_11comp_targetILNS1_3genE9ELNS1_11target_archE1100ELNS1_3gpuE3ELNS1_3repE0EEENS1_30default_config_static_selectorELNS0_4arch9wavefront6targetE1EEEvT1_: ; @_ZN7rocprim17ROCPRIM_400000_NS6detail17trampoline_kernelINS0_14default_configENS1_25partition_config_selectorILNS1_17partition_subalgoE8ElNS0_10empty_typeEbEEZZNS1_14partition_implILS5_8ELb0ES3_jPlPS6_PKS6_NS0_5tupleIJS9_S6_EEENSD_IJSA_SA_EEENS0_18inequality_wrapperIZN2at6native12_GLOBAL__N_124unique_dim_cuda_templateIN3c104HalfEEESt5tupleIJNSH_6TensorESO_SO_EERKSO_lbbbEUlllE0_EEPmJS6_EEE10hipError_tPvRmT3_T4_T5_T6_T7_T9_mT8_P12ihipStream_tbDpT10_ENKUlT_T0_E_clISt17integral_constantIbLb0EES1E_EEDaS19_S1A_EUlS19_E_NS1_11comp_targetILNS1_3genE9ELNS1_11target_archE1100ELNS1_3gpuE3ELNS1_3repE0EEENS1_30default_config_static_selectorELNS0_4arch9wavefront6targetE1EEEvT1_
; %bb.0:
	.section	.rodata,"a",@progbits
	.p2align	6, 0x0
	.amdhsa_kernel _ZN7rocprim17ROCPRIM_400000_NS6detail17trampoline_kernelINS0_14default_configENS1_25partition_config_selectorILNS1_17partition_subalgoE8ElNS0_10empty_typeEbEEZZNS1_14partition_implILS5_8ELb0ES3_jPlPS6_PKS6_NS0_5tupleIJS9_S6_EEENSD_IJSA_SA_EEENS0_18inequality_wrapperIZN2at6native12_GLOBAL__N_124unique_dim_cuda_templateIN3c104HalfEEESt5tupleIJNSH_6TensorESO_SO_EERKSO_lbbbEUlllE0_EEPmJS6_EEE10hipError_tPvRmT3_T4_T5_T6_T7_T9_mT8_P12ihipStream_tbDpT10_ENKUlT_T0_E_clISt17integral_constantIbLb0EES1E_EEDaS19_S1A_EUlS19_E_NS1_11comp_targetILNS1_3genE9ELNS1_11target_archE1100ELNS1_3gpuE3ELNS1_3repE0EEENS1_30default_config_static_selectorELNS0_4arch9wavefront6targetE1EEEvT1_
		.amdhsa_group_segment_fixed_size 0
		.amdhsa_private_segment_fixed_size 0
		.amdhsa_kernarg_size 120
		.amdhsa_user_sgpr_count 2
		.amdhsa_user_sgpr_dispatch_ptr 0
		.amdhsa_user_sgpr_queue_ptr 0
		.amdhsa_user_sgpr_kernarg_segment_ptr 1
		.amdhsa_user_sgpr_dispatch_id 0
		.amdhsa_user_sgpr_kernarg_preload_length 0
		.amdhsa_user_sgpr_kernarg_preload_offset 0
		.amdhsa_user_sgpr_private_segment_size 0
		.amdhsa_uses_dynamic_stack 0
		.amdhsa_enable_private_segment 0
		.amdhsa_system_sgpr_workgroup_id_x 1
		.amdhsa_system_sgpr_workgroup_id_y 0
		.amdhsa_system_sgpr_workgroup_id_z 0
		.amdhsa_system_sgpr_workgroup_info 0
		.amdhsa_system_vgpr_workitem_id 0
		.amdhsa_next_free_vgpr 1
		.amdhsa_next_free_sgpr 0
		.amdhsa_accum_offset 4
		.amdhsa_reserve_vcc 0
		.amdhsa_float_round_mode_32 0
		.amdhsa_float_round_mode_16_64 0
		.amdhsa_float_denorm_mode_32 3
		.amdhsa_float_denorm_mode_16_64 3
		.amdhsa_dx10_clamp 1
		.amdhsa_ieee_mode 1
		.amdhsa_fp16_overflow 0
		.amdhsa_tg_split 0
		.amdhsa_exception_fp_ieee_invalid_op 0
		.amdhsa_exception_fp_denorm_src 0
		.amdhsa_exception_fp_ieee_div_zero 0
		.amdhsa_exception_fp_ieee_overflow 0
		.amdhsa_exception_fp_ieee_underflow 0
		.amdhsa_exception_fp_ieee_inexact 0
		.amdhsa_exception_int_div_zero 0
	.end_amdhsa_kernel
	.section	.text._ZN7rocprim17ROCPRIM_400000_NS6detail17trampoline_kernelINS0_14default_configENS1_25partition_config_selectorILNS1_17partition_subalgoE8ElNS0_10empty_typeEbEEZZNS1_14partition_implILS5_8ELb0ES3_jPlPS6_PKS6_NS0_5tupleIJS9_S6_EEENSD_IJSA_SA_EEENS0_18inequality_wrapperIZN2at6native12_GLOBAL__N_124unique_dim_cuda_templateIN3c104HalfEEESt5tupleIJNSH_6TensorESO_SO_EERKSO_lbbbEUlllE0_EEPmJS6_EEE10hipError_tPvRmT3_T4_T5_T6_T7_T9_mT8_P12ihipStream_tbDpT10_ENKUlT_T0_E_clISt17integral_constantIbLb0EES1E_EEDaS19_S1A_EUlS19_E_NS1_11comp_targetILNS1_3genE9ELNS1_11target_archE1100ELNS1_3gpuE3ELNS1_3repE0EEENS1_30default_config_static_selectorELNS0_4arch9wavefront6targetE1EEEvT1_,"axG",@progbits,_ZN7rocprim17ROCPRIM_400000_NS6detail17trampoline_kernelINS0_14default_configENS1_25partition_config_selectorILNS1_17partition_subalgoE8ElNS0_10empty_typeEbEEZZNS1_14partition_implILS5_8ELb0ES3_jPlPS6_PKS6_NS0_5tupleIJS9_S6_EEENSD_IJSA_SA_EEENS0_18inequality_wrapperIZN2at6native12_GLOBAL__N_124unique_dim_cuda_templateIN3c104HalfEEESt5tupleIJNSH_6TensorESO_SO_EERKSO_lbbbEUlllE0_EEPmJS6_EEE10hipError_tPvRmT3_T4_T5_T6_T7_T9_mT8_P12ihipStream_tbDpT10_ENKUlT_T0_E_clISt17integral_constantIbLb0EES1E_EEDaS19_S1A_EUlS19_E_NS1_11comp_targetILNS1_3genE9ELNS1_11target_archE1100ELNS1_3gpuE3ELNS1_3repE0EEENS1_30default_config_static_selectorELNS0_4arch9wavefront6targetE1EEEvT1_,comdat
.Lfunc_end1303:
	.size	_ZN7rocprim17ROCPRIM_400000_NS6detail17trampoline_kernelINS0_14default_configENS1_25partition_config_selectorILNS1_17partition_subalgoE8ElNS0_10empty_typeEbEEZZNS1_14partition_implILS5_8ELb0ES3_jPlPS6_PKS6_NS0_5tupleIJS9_S6_EEENSD_IJSA_SA_EEENS0_18inequality_wrapperIZN2at6native12_GLOBAL__N_124unique_dim_cuda_templateIN3c104HalfEEESt5tupleIJNSH_6TensorESO_SO_EERKSO_lbbbEUlllE0_EEPmJS6_EEE10hipError_tPvRmT3_T4_T5_T6_T7_T9_mT8_P12ihipStream_tbDpT10_ENKUlT_T0_E_clISt17integral_constantIbLb0EES1E_EEDaS19_S1A_EUlS19_E_NS1_11comp_targetILNS1_3genE9ELNS1_11target_archE1100ELNS1_3gpuE3ELNS1_3repE0EEENS1_30default_config_static_selectorELNS0_4arch9wavefront6targetE1EEEvT1_, .Lfunc_end1303-_ZN7rocprim17ROCPRIM_400000_NS6detail17trampoline_kernelINS0_14default_configENS1_25partition_config_selectorILNS1_17partition_subalgoE8ElNS0_10empty_typeEbEEZZNS1_14partition_implILS5_8ELb0ES3_jPlPS6_PKS6_NS0_5tupleIJS9_S6_EEENSD_IJSA_SA_EEENS0_18inequality_wrapperIZN2at6native12_GLOBAL__N_124unique_dim_cuda_templateIN3c104HalfEEESt5tupleIJNSH_6TensorESO_SO_EERKSO_lbbbEUlllE0_EEPmJS6_EEE10hipError_tPvRmT3_T4_T5_T6_T7_T9_mT8_P12ihipStream_tbDpT10_ENKUlT_T0_E_clISt17integral_constantIbLb0EES1E_EEDaS19_S1A_EUlS19_E_NS1_11comp_targetILNS1_3genE9ELNS1_11target_archE1100ELNS1_3gpuE3ELNS1_3repE0EEENS1_30default_config_static_selectorELNS0_4arch9wavefront6targetE1EEEvT1_
                                        ; -- End function
	.set _ZN7rocprim17ROCPRIM_400000_NS6detail17trampoline_kernelINS0_14default_configENS1_25partition_config_selectorILNS1_17partition_subalgoE8ElNS0_10empty_typeEbEEZZNS1_14partition_implILS5_8ELb0ES3_jPlPS6_PKS6_NS0_5tupleIJS9_S6_EEENSD_IJSA_SA_EEENS0_18inequality_wrapperIZN2at6native12_GLOBAL__N_124unique_dim_cuda_templateIN3c104HalfEEESt5tupleIJNSH_6TensorESO_SO_EERKSO_lbbbEUlllE0_EEPmJS6_EEE10hipError_tPvRmT3_T4_T5_T6_T7_T9_mT8_P12ihipStream_tbDpT10_ENKUlT_T0_E_clISt17integral_constantIbLb0EES1E_EEDaS19_S1A_EUlS19_E_NS1_11comp_targetILNS1_3genE9ELNS1_11target_archE1100ELNS1_3gpuE3ELNS1_3repE0EEENS1_30default_config_static_selectorELNS0_4arch9wavefront6targetE1EEEvT1_.num_vgpr, 0
	.set _ZN7rocprim17ROCPRIM_400000_NS6detail17trampoline_kernelINS0_14default_configENS1_25partition_config_selectorILNS1_17partition_subalgoE8ElNS0_10empty_typeEbEEZZNS1_14partition_implILS5_8ELb0ES3_jPlPS6_PKS6_NS0_5tupleIJS9_S6_EEENSD_IJSA_SA_EEENS0_18inequality_wrapperIZN2at6native12_GLOBAL__N_124unique_dim_cuda_templateIN3c104HalfEEESt5tupleIJNSH_6TensorESO_SO_EERKSO_lbbbEUlllE0_EEPmJS6_EEE10hipError_tPvRmT3_T4_T5_T6_T7_T9_mT8_P12ihipStream_tbDpT10_ENKUlT_T0_E_clISt17integral_constantIbLb0EES1E_EEDaS19_S1A_EUlS19_E_NS1_11comp_targetILNS1_3genE9ELNS1_11target_archE1100ELNS1_3gpuE3ELNS1_3repE0EEENS1_30default_config_static_selectorELNS0_4arch9wavefront6targetE1EEEvT1_.num_agpr, 0
	.set _ZN7rocprim17ROCPRIM_400000_NS6detail17trampoline_kernelINS0_14default_configENS1_25partition_config_selectorILNS1_17partition_subalgoE8ElNS0_10empty_typeEbEEZZNS1_14partition_implILS5_8ELb0ES3_jPlPS6_PKS6_NS0_5tupleIJS9_S6_EEENSD_IJSA_SA_EEENS0_18inequality_wrapperIZN2at6native12_GLOBAL__N_124unique_dim_cuda_templateIN3c104HalfEEESt5tupleIJNSH_6TensorESO_SO_EERKSO_lbbbEUlllE0_EEPmJS6_EEE10hipError_tPvRmT3_T4_T5_T6_T7_T9_mT8_P12ihipStream_tbDpT10_ENKUlT_T0_E_clISt17integral_constantIbLb0EES1E_EEDaS19_S1A_EUlS19_E_NS1_11comp_targetILNS1_3genE9ELNS1_11target_archE1100ELNS1_3gpuE3ELNS1_3repE0EEENS1_30default_config_static_selectorELNS0_4arch9wavefront6targetE1EEEvT1_.numbered_sgpr, 0
	.set _ZN7rocprim17ROCPRIM_400000_NS6detail17trampoline_kernelINS0_14default_configENS1_25partition_config_selectorILNS1_17partition_subalgoE8ElNS0_10empty_typeEbEEZZNS1_14partition_implILS5_8ELb0ES3_jPlPS6_PKS6_NS0_5tupleIJS9_S6_EEENSD_IJSA_SA_EEENS0_18inequality_wrapperIZN2at6native12_GLOBAL__N_124unique_dim_cuda_templateIN3c104HalfEEESt5tupleIJNSH_6TensorESO_SO_EERKSO_lbbbEUlllE0_EEPmJS6_EEE10hipError_tPvRmT3_T4_T5_T6_T7_T9_mT8_P12ihipStream_tbDpT10_ENKUlT_T0_E_clISt17integral_constantIbLb0EES1E_EEDaS19_S1A_EUlS19_E_NS1_11comp_targetILNS1_3genE9ELNS1_11target_archE1100ELNS1_3gpuE3ELNS1_3repE0EEENS1_30default_config_static_selectorELNS0_4arch9wavefront6targetE1EEEvT1_.num_named_barrier, 0
	.set _ZN7rocprim17ROCPRIM_400000_NS6detail17trampoline_kernelINS0_14default_configENS1_25partition_config_selectorILNS1_17partition_subalgoE8ElNS0_10empty_typeEbEEZZNS1_14partition_implILS5_8ELb0ES3_jPlPS6_PKS6_NS0_5tupleIJS9_S6_EEENSD_IJSA_SA_EEENS0_18inequality_wrapperIZN2at6native12_GLOBAL__N_124unique_dim_cuda_templateIN3c104HalfEEESt5tupleIJNSH_6TensorESO_SO_EERKSO_lbbbEUlllE0_EEPmJS6_EEE10hipError_tPvRmT3_T4_T5_T6_T7_T9_mT8_P12ihipStream_tbDpT10_ENKUlT_T0_E_clISt17integral_constantIbLb0EES1E_EEDaS19_S1A_EUlS19_E_NS1_11comp_targetILNS1_3genE9ELNS1_11target_archE1100ELNS1_3gpuE3ELNS1_3repE0EEENS1_30default_config_static_selectorELNS0_4arch9wavefront6targetE1EEEvT1_.private_seg_size, 0
	.set _ZN7rocprim17ROCPRIM_400000_NS6detail17trampoline_kernelINS0_14default_configENS1_25partition_config_selectorILNS1_17partition_subalgoE8ElNS0_10empty_typeEbEEZZNS1_14partition_implILS5_8ELb0ES3_jPlPS6_PKS6_NS0_5tupleIJS9_S6_EEENSD_IJSA_SA_EEENS0_18inequality_wrapperIZN2at6native12_GLOBAL__N_124unique_dim_cuda_templateIN3c104HalfEEESt5tupleIJNSH_6TensorESO_SO_EERKSO_lbbbEUlllE0_EEPmJS6_EEE10hipError_tPvRmT3_T4_T5_T6_T7_T9_mT8_P12ihipStream_tbDpT10_ENKUlT_T0_E_clISt17integral_constantIbLb0EES1E_EEDaS19_S1A_EUlS19_E_NS1_11comp_targetILNS1_3genE9ELNS1_11target_archE1100ELNS1_3gpuE3ELNS1_3repE0EEENS1_30default_config_static_selectorELNS0_4arch9wavefront6targetE1EEEvT1_.uses_vcc, 0
	.set _ZN7rocprim17ROCPRIM_400000_NS6detail17trampoline_kernelINS0_14default_configENS1_25partition_config_selectorILNS1_17partition_subalgoE8ElNS0_10empty_typeEbEEZZNS1_14partition_implILS5_8ELb0ES3_jPlPS6_PKS6_NS0_5tupleIJS9_S6_EEENSD_IJSA_SA_EEENS0_18inequality_wrapperIZN2at6native12_GLOBAL__N_124unique_dim_cuda_templateIN3c104HalfEEESt5tupleIJNSH_6TensorESO_SO_EERKSO_lbbbEUlllE0_EEPmJS6_EEE10hipError_tPvRmT3_T4_T5_T6_T7_T9_mT8_P12ihipStream_tbDpT10_ENKUlT_T0_E_clISt17integral_constantIbLb0EES1E_EEDaS19_S1A_EUlS19_E_NS1_11comp_targetILNS1_3genE9ELNS1_11target_archE1100ELNS1_3gpuE3ELNS1_3repE0EEENS1_30default_config_static_selectorELNS0_4arch9wavefront6targetE1EEEvT1_.uses_flat_scratch, 0
	.set _ZN7rocprim17ROCPRIM_400000_NS6detail17trampoline_kernelINS0_14default_configENS1_25partition_config_selectorILNS1_17partition_subalgoE8ElNS0_10empty_typeEbEEZZNS1_14partition_implILS5_8ELb0ES3_jPlPS6_PKS6_NS0_5tupleIJS9_S6_EEENSD_IJSA_SA_EEENS0_18inequality_wrapperIZN2at6native12_GLOBAL__N_124unique_dim_cuda_templateIN3c104HalfEEESt5tupleIJNSH_6TensorESO_SO_EERKSO_lbbbEUlllE0_EEPmJS6_EEE10hipError_tPvRmT3_T4_T5_T6_T7_T9_mT8_P12ihipStream_tbDpT10_ENKUlT_T0_E_clISt17integral_constantIbLb0EES1E_EEDaS19_S1A_EUlS19_E_NS1_11comp_targetILNS1_3genE9ELNS1_11target_archE1100ELNS1_3gpuE3ELNS1_3repE0EEENS1_30default_config_static_selectorELNS0_4arch9wavefront6targetE1EEEvT1_.has_dyn_sized_stack, 0
	.set _ZN7rocprim17ROCPRIM_400000_NS6detail17trampoline_kernelINS0_14default_configENS1_25partition_config_selectorILNS1_17partition_subalgoE8ElNS0_10empty_typeEbEEZZNS1_14partition_implILS5_8ELb0ES3_jPlPS6_PKS6_NS0_5tupleIJS9_S6_EEENSD_IJSA_SA_EEENS0_18inequality_wrapperIZN2at6native12_GLOBAL__N_124unique_dim_cuda_templateIN3c104HalfEEESt5tupleIJNSH_6TensorESO_SO_EERKSO_lbbbEUlllE0_EEPmJS6_EEE10hipError_tPvRmT3_T4_T5_T6_T7_T9_mT8_P12ihipStream_tbDpT10_ENKUlT_T0_E_clISt17integral_constantIbLb0EES1E_EEDaS19_S1A_EUlS19_E_NS1_11comp_targetILNS1_3genE9ELNS1_11target_archE1100ELNS1_3gpuE3ELNS1_3repE0EEENS1_30default_config_static_selectorELNS0_4arch9wavefront6targetE1EEEvT1_.has_recursion, 0
	.set _ZN7rocprim17ROCPRIM_400000_NS6detail17trampoline_kernelINS0_14default_configENS1_25partition_config_selectorILNS1_17partition_subalgoE8ElNS0_10empty_typeEbEEZZNS1_14partition_implILS5_8ELb0ES3_jPlPS6_PKS6_NS0_5tupleIJS9_S6_EEENSD_IJSA_SA_EEENS0_18inequality_wrapperIZN2at6native12_GLOBAL__N_124unique_dim_cuda_templateIN3c104HalfEEESt5tupleIJNSH_6TensorESO_SO_EERKSO_lbbbEUlllE0_EEPmJS6_EEE10hipError_tPvRmT3_T4_T5_T6_T7_T9_mT8_P12ihipStream_tbDpT10_ENKUlT_T0_E_clISt17integral_constantIbLb0EES1E_EEDaS19_S1A_EUlS19_E_NS1_11comp_targetILNS1_3genE9ELNS1_11target_archE1100ELNS1_3gpuE3ELNS1_3repE0EEENS1_30default_config_static_selectorELNS0_4arch9wavefront6targetE1EEEvT1_.has_indirect_call, 0
	.section	.AMDGPU.csdata,"",@progbits
; Kernel info:
; codeLenInByte = 0
; TotalNumSgprs: 6
; NumVgprs: 0
; NumAgprs: 0
; TotalNumVgprs: 0
; ScratchSize: 0
; MemoryBound: 0
; FloatMode: 240
; IeeeMode: 1
; LDSByteSize: 0 bytes/workgroup (compile time only)
; SGPRBlocks: 0
; VGPRBlocks: 0
; NumSGPRsForWavesPerEU: 6
; NumVGPRsForWavesPerEU: 1
; AccumOffset: 4
; Occupancy: 8
; WaveLimiterHint : 0
; COMPUTE_PGM_RSRC2:SCRATCH_EN: 0
; COMPUTE_PGM_RSRC2:USER_SGPR: 2
; COMPUTE_PGM_RSRC2:TRAP_HANDLER: 0
; COMPUTE_PGM_RSRC2:TGID_X_EN: 1
; COMPUTE_PGM_RSRC2:TGID_Y_EN: 0
; COMPUTE_PGM_RSRC2:TGID_Z_EN: 0
; COMPUTE_PGM_RSRC2:TIDIG_COMP_CNT: 0
; COMPUTE_PGM_RSRC3_GFX90A:ACCUM_OFFSET: 0
; COMPUTE_PGM_RSRC3_GFX90A:TG_SPLIT: 0
	.section	.text._ZN7rocprim17ROCPRIM_400000_NS6detail17trampoline_kernelINS0_14default_configENS1_25partition_config_selectorILNS1_17partition_subalgoE8ElNS0_10empty_typeEbEEZZNS1_14partition_implILS5_8ELb0ES3_jPlPS6_PKS6_NS0_5tupleIJS9_S6_EEENSD_IJSA_SA_EEENS0_18inequality_wrapperIZN2at6native12_GLOBAL__N_124unique_dim_cuda_templateIN3c104HalfEEESt5tupleIJNSH_6TensorESO_SO_EERKSO_lbbbEUlllE0_EEPmJS6_EEE10hipError_tPvRmT3_T4_T5_T6_T7_T9_mT8_P12ihipStream_tbDpT10_ENKUlT_T0_E_clISt17integral_constantIbLb0EES1E_EEDaS19_S1A_EUlS19_E_NS1_11comp_targetILNS1_3genE8ELNS1_11target_archE1030ELNS1_3gpuE2ELNS1_3repE0EEENS1_30default_config_static_selectorELNS0_4arch9wavefront6targetE1EEEvT1_,"axG",@progbits,_ZN7rocprim17ROCPRIM_400000_NS6detail17trampoline_kernelINS0_14default_configENS1_25partition_config_selectorILNS1_17partition_subalgoE8ElNS0_10empty_typeEbEEZZNS1_14partition_implILS5_8ELb0ES3_jPlPS6_PKS6_NS0_5tupleIJS9_S6_EEENSD_IJSA_SA_EEENS0_18inequality_wrapperIZN2at6native12_GLOBAL__N_124unique_dim_cuda_templateIN3c104HalfEEESt5tupleIJNSH_6TensorESO_SO_EERKSO_lbbbEUlllE0_EEPmJS6_EEE10hipError_tPvRmT3_T4_T5_T6_T7_T9_mT8_P12ihipStream_tbDpT10_ENKUlT_T0_E_clISt17integral_constantIbLb0EES1E_EEDaS19_S1A_EUlS19_E_NS1_11comp_targetILNS1_3genE8ELNS1_11target_archE1030ELNS1_3gpuE2ELNS1_3repE0EEENS1_30default_config_static_selectorELNS0_4arch9wavefront6targetE1EEEvT1_,comdat
	.globl	_ZN7rocprim17ROCPRIM_400000_NS6detail17trampoline_kernelINS0_14default_configENS1_25partition_config_selectorILNS1_17partition_subalgoE8ElNS0_10empty_typeEbEEZZNS1_14partition_implILS5_8ELb0ES3_jPlPS6_PKS6_NS0_5tupleIJS9_S6_EEENSD_IJSA_SA_EEENS0_18inequality_wrapperIZN2at6native12_GLOBAL__N_124unique_dim_cuda_templateIN3c104HalfEEESt5tupleIJNSH_6TensorESO_SO_EERKSO_lbbbEUlllE0_EEPmJS6_EEE10hipError_tPvRmT3_T4_T5_T6_T7_T9_mT8_P12ihipStream_tbDpT10_ENKUlT_T0_E_clISt17integral_constantIbLb0EES1E_EEDaS19_S1A_EUlS19_E_NS1_11comp_targetILNS1_3genE8ELNS1_11target_archE1030ELNS1_3gpuE2ELNS1_3repE0EEENS1_30default_config_static_selectorELNS0_4arch9wavefront6targetE1EEEvT1_ ; -- Begin function _ZN7rocprim17ROCPRIM_400000_NS6detail17trampoline_kernelINS0_14default_configENS1_25partition_config_selectorILNS1_17partition_subalgoE8ElNS0_10empty_typeEbEEZZNS1_14partition_implILS5_8ELb0ES3_jPlPS6_PKS6_NS0_5tupleIJS9_S6_EEENSD_IJSA_SA_EEENS0_18inequality_wrapperIZN2at6native12_GLOBAL__N_124unique_dim_cuda_templateIN3c104HalfEEESt5tupleIJNSH_6TensorESO_SO_EERKSO_lbbbEUlllE0_EEPmJS6_EEE10hipError_tPvRmT3_T4_T5_T6_T7_T9_mT8_P12ihipStream_tbDpT10_ENKUlT_T0_E_clISt17integral_constantIbLb0EES1E_EEDaS19_S1A_EUlS19_E_NS1_11comp_targetILNS1_3genE8ELNS1_11target_archE1030ELNS1_3gpuE2ELNS1_3repE0EEENS1_30default_config_static_selectorELNS0_4arch9wavefront6targetE1EEEvT1_
	.p2align	8
	.type	_ZN7rocprim17ROCPRIM_400000_NS6detail17trampoline_kernelINS0_14default_configENS1_25partition_config_selectorILNS1_17partition_subalgoE8ElNS0_10empty_typeEbEEZZNS1_14partition_implILS5_8ELb0ES3_jPlPS6_PKS6_NS0_5tupleIJS9_S6_EEENSD_IJSA_SA_EEENS0_18inequality_wrapperIZN2at6native12_GLOBAL__N_124unique_dim_cuda_templateIN3c104HalfEEESt5tupleIJNSH_6TensorESO_SO_EERKSO_lbbbEUlllE0_EEPmJS6_EEE10hipError_tPvRmT3_T4_T5_T6_T7_T9_mT8_P12ihipStream_tbDpT10_ENKUlT_T0_E_clISt17integral_constantIbLb0EES1E_EEDaS19_S1A_EUlS19_E_NS1_11comp_targetILNS1_3genE8ELNS1_11target_archE1030ELNS1_3gpuE2ELNS1_3repE0EEENS1_30default_config_static_selectorELNS0_4arch9wavefront6targetE1EEEvT1_,@function
_ZN7rocprim17ROCPRIM_400000_NS6detail17trampoline_kernelINS0_14default_configENS1_25partition_config_selectorILNS1_17partition_subalgoE8ElNS0_10empty_typeEbEEZZNS1_14partition_implILS5_8ELb0ES3_jPlPS6_PKS6_NS0_5tupleIJS9_S6_EEENSD_IJSA_SA_EEENS0_18inequality_wrapperIZN2at6native12_GLOBAL__N_124unique_dim_cuda_templateIN3c104HalfEEESt5tupleIJNSH_6TensorESO_SO_EERKSO_lbbbEUlllE0_EEPmJS6_EEE10hipError_tPvRmT3_T4_T5_T6_T7_T9_mT8_P12ihipStream_tbDpT10_ENKUlT_T0_E_clISt17integral_constantIbLb0EES1E_EEDaS19_S1A_EUlS19_E_NS1_11comp_targetILNS1_3genE8ELNS1_11target_archE1030ELNS1_3gpuE2ELNS1_3repE0EEENS1_30default_config_static_selectorELNS0_4arch9wavefront6targetE1EEEvT1_: ; @_ZN7rocprim17ROCPRIM_400000_NS6detail17trampoline_kernelINS0_14default_configENS1_25partition_config_selectorILNS1_17partition_subalgoE8ElNS0_10empty_typeEbEEZZNS1_14partition_implILS5_8ELb0ES3_jPlPS6_PKS6_NS0_5tupleIJS9_S6_EEENSD_IJSA_SA_EEENS0_18inequality_wrapperIZN2at6native12_GLOBAL__N_124unique_dim_cuda_templateIN3c104HalfEEESt5tupleIJNSH_6TensorESO_SO_EERKSO_lbbbEUlllE0_EEPmJS6_EEE10hipError_tPvRmT3_T4_T5_T6_T7_T9_mT8_P12ihipStream_tbDpT10_ENKUlT_T0_E_clISt17integral_constantIbLb0EES1E_EEDaS19_S1A_EUlS19_E_NS1_11comp_targetILNS1_3genE8ELNS1_11target_archE1030ELNS1_3gpuE2ELNS1_3repE0EEENS1_30default_config_static_selectorELNS0_4arch9wavefront6targetE1EEEvT1_
; %bb.0:
	.section	.rodata,"a",@progbits
	.p2align	6, 0x0
	.amdhsa_kernel _ZN7rocprim17ROCPRIM_400000_NS6detail17trampoline_kernelINS0_14default_configENS1_25partition_config_selectorILNS1_17partition_subalgoE8ElNS0_10empty_typeEbEEZZNS1_14partition_implILS5_8ELb0ES3_jPlPS6_PKS6_NS0_5tupleIJS9_S6_EEENSD_IJSA_SA_EEENS0_18inequality_wrapperIZN2at6native12_GLOBAL__N_124unique_dim_cuda_templateIN3c104HalfEEESt5tupleIJNSH_6TensorESO_SO_EERKSO_lbbbEUlllE0_EEPmJS6_EEE10hipError_tPvRmT3_T4_T5_T6_T7_T9_mT8_P12ihipStream_tbDpT10_ENKUlT_T0_E_clISt17integral_constantIbLb0EES1E_EEDaS19_S1A_EUlS19_E_NS1_11comp_targetILNS1_3genE8ELNS1_11target_archE1030ELNS1_3gpuE2ELNS1_3repE0EEENS1_30default_config_static_selectorELNS0_4arch9wavefront6targetE1EEEvT1_
		.amdhsa_group_segment_fixed_size 0
		.amdhsa_private_segment_fixed_size 0
		.amdhsa_kernarg_size 120
		.amdhsa_user_sgpr_count 2
		.amdhsa_user_sgpr_dispatch_ptr 0
		.amdhsa_user_sgpr_queue_ptr 0
		.amdhsa_user_sgpr_kernarg_segment_ptr 1
		.amdhsa_user_sgpr_dispatch_id 0
		.amdhsa_user_sgpr_kernarg_preload_length 0
		.amdhsa_user_sgpr_kernarg_preload_offset 0
		.amdhsa_user_sgpr_private_segment_size 0
		.amdhsa_uses_dynamic_stack 0
		.amdhsa_enable_private_segment 0
		.amdhsa_system_sgpr_workgroup_id_x 1
		.amdhsa_system_sgpr_workgroup_id_y 0
		.amdhsa_system_sgpr_workgroup_id_z 0
		.amdhsa_system_sgpr_workgroup_info 0
		.amdhsa_system_vgpr_workitem_id 0
		.amdhsa_next_free_vgpr 1
		.amdhsa_next_free_sgpr 0
		.amdhsa_accum_offset 4
		.amdhsa_reserve_vcc 0
		.amdhsa_float_round_mode_32 0
		.amdhsa_float_round_mode_16_64 0
		.amdhsa_float_denorm_mode_32 3
		.amdhsa_float_denorm_mode_16_64 3
		.amdhsa_dx10_clamp 1
		.amdhsa_ieee_mode 1
		.amdhsa_fp16_overflow 0
		.amdhsa_tg_split 0
		.amdhsa_exception_fp_ieee_invalid_op 0
		.amdhsa_exception_fp_denorm_src 0
		.amdhsa_exception_fp_ieee_div_zero 0
		.amdhsa_exception_fp_ieee_overflow 0
		.amdhsa_exception_fp_ieee_underflow 0
		.amdhsa_exception_fp_ieee_inexact 0
		.amdhsa_exception_int_div_zero 0
	.end_amdhsa_kernel
	.section	.text._ZN7rocprim17ROCPRIM_400000_NS6detail17trampoline_kernelINS0_14default_configENS1_25partition_config_selectorILNS1_17partition_subalgoE8ElNS0_10empty_typeEbEEZZNS1_14partition_implILS5_8ELb0ES3_jPlPS6_PKS6_NS0_5tupleIJS9_S6_EEENSD_IJSA_SA_EEENS0_18inequality_wrapperIZN2at6native12_GLOBAL__N_124unique_dim_cuda_templateIN3c104HalfEEESt5tupleIJNSH_6TensorESO_SO_EERKSO_lbbbEUlllE0_EEPmJS6_EEE10hipError_tPvRmT3_T4_T5_T6_T7_T9_mT8_P12ihipStream_tbDpT10_ENKUlT_T0_E_clISt17integral_constantIbLb0EES1E_EEDaS19_S1A_EUlS19_E_NS1_11comp_targetILNS1_3genE8ELNS1_11target_archE1030ELNS1_3gpuE2ELNS1_3repE0EEENS1_30default_config_static_selectorELNS0_4arch9wavefront6targetE1EEEvT1_,"axG",@progbits,_ZN7rocprim17ROCPRIM_400000_NS6detail17trampoline_kernelINS0_14default_configENS1_25partition_config_selectorILNS1_17partition_subalgoE8ElNS0_10empty_typeEbEEZZNS1_14partition_implILS5_8ELb0ES3_jPlPS6_PKS6_NS0_5tupleIJS9_S6_EEENSD_IJSA_SA_EEENS0_18inequality_wrapperIZN2at6native12_GLOBAL__N_124unique_dim_cuda_templateIN3c104HalfEEESt5tupleIJNSH_6TensorESO_SO_EERKSO_lbbbEUlllE0_EEPmJS6_EEE10hipError_tPvRmT3_T4_T5_T6_T7_T9_mT8_P12ihipStream_tbDpT10_ENKUlT_T0_E_clISt17integral_constantIbLb0EES1E_EEDaS19_S1A_EUlS19_E_NS1_11comp_targetILNS1_3genE8ELNS1_11target_archE1030ELNS1_3gpuE2ELNS1_3repE0EEENS1_30default_config_static_selectorELNS0_4arch9wavefront6targetE1EEEvT1_,comdat
.Lfunc_end1304:
	.size	_ZN7rocprim17ROCPRIM_400000_NS6detail17trampoline_kernelINS0_14default_configENS1_25partition_config_selectorILNS1_17partition_subalgoE8ElNS0_10empty_typeEbEEZZNS1_14partition_implILS5_8ELb0ES3_jPlPS6_PKS6_NS0_5tupleIJS9_S6_EEENSD_IJSA_SA_EEENS0_18inequality_wrapperIZN2at6native12_GLOBAL__N_124unique_dim_cuda_templateIN3c104HalfEEESt5tupleIJNSH_6TensorESO_SO_EERKSO_lbbbEUlllE0_EEPmJS6_EEE10hipError_tPvRmT3_T4_T5_T6_T7_T9_mT8_P12ihipStream_tbDpT10_ENKUlT_T0_E_clISt17integral_constantIbLb0EES1E_EEDaS19_S1A_EUlS19_E_NS1_11comp_targetILNS1_3genE8ELNS1_11target_archE1030ELNS1_3gpuE2ELNS1_3repE0EEENS1_30default_config_static_selectorELNS0_4arch9wavefront6targetE1EEEvT1_, .Lfunc_end1304-_ZN7rocprim17ROCPRIM_400000_NS6detail17trampoline_kernelINS0_14default_configENS1_25partition_config_selectorILNS1_17partition_subalgoE8ElNS0_10empty_typeEbEEZZNS1_14partition_implILS5_8ELb0ES3_jPlPS6_PKS6_NS0_5tupleIJS9_S6_EEENSD_IJSA_SA_EEENS0_18inequality_wrapperIZN2at6native12_GLOBAL__N_124unique_dim_cuda_templateIN3c104HalfEEESt5tupleIJNSH_6TensorESO_SO_EERKSO_lbbbEUlllE0_EEPmJS6_EEE10hipError_tPvRmT3_T4_T5_T6_T7_T9_mT8_P12ihipStream_tbDpT10_ENKUlT_T0_E_clISt17integral_constantIbLb0EES1E_EEDaS19_S1A_EUlS19_E_NS1_11comp_targetILNS1_3genE8ELNS1_11target_archE1030ELNS1_3gpuE2ELNS1_3repE0EEENS1_30default_config_static_selectorELNS0_4arch9wavefront6targetE1EEEvT1_
                                        ; -- End function
	.set _ZN7rocprim17ROCPRIM_400000_NS6detail17trampoline_kernelINS0_14default_configENS1_25partition_config_selectorILNS1_17partition_subalgoE8ElNS0_10empty_typeEbEEZZNS1_14partition_implILS5_8ELb0ES3_jPlPS6_PKS6_NS0_5tupleIJS9_S6_EEENSD_IJSA_SA_EEENS0_18inequality_wrapperIZN2at6native12_GLOBAL__N_124unique_dim_cuda_templateIN3c104HalfEEESt5tupleIJNSH_6TensorESO_SO_EERKSO_lbbbEUlllE0_EEPmJS6_EEE10hipError_tPvRmT3_T4_T5_T6_T7_T9_mT8_P12ihipStream_tbDpT10_ENKUlT_T0_E_clISt17integral_constantIbLb0EES1E_EEDaS19_S1A_EUlS19_E_NS1_11comp_targetILNS1_3genE8ELNS1_11target_archE1030ELNS1_3gpuE2ELNS1_3repE0EEENS1_30default_config_static_selectorELNS0_4arch9wavefront6targetE1EEEvT1_.num_vgpr, 0
	.set _ZN7rocprim17ROCPRIM_400000_NS6detail17trampoline_kernelINS0_14default_configENS1_25partition_config_selectorILNS1_17partition_subalgoE8ElNS0_10empty_typeEbEEZZNS1_14partition_implILS5_8ELb0ES3_jPlPS6_PKS6_NS0_5tupleIJS9_S6_EEENSD_IJSA_SA_EEENS0_18inequality_wrapperIZN2at6native12_GLOBAL__N_124unique_dim_cuda_templateIN3c104HalfEEESt5tupleIJNSH_6TensorESO_SO_EERKSO_lbbbEUlllE0_EEPmJS6_EEE10hipError_tPvRmT3_T4_T5_T6_T7_T9_mT8_P12ihipStream_tbDpT10_ENKUlT_T0_E_clISt17integral_constantIbLb0EES1E_EEDaS19_S1A_EUlS19_E_NS1_11comp_targetILNS1_3genE8ELNS1_11target_archE1030ELNS1_3gpuE2ELNS1_3repE0EEENS1_30default_config_static_selectorELNS0_4arch9wavefront6targetE1EEEvT1_.num_agpr, 0
	.set _ZN7rocprim17ROCPRIM_400000_NS6detail17trampoline_kernelINS0_14default_configENS1_25partition_config_selectorILNS1_17partition_subalgoE8ElNS0_10empty_typeEbEEZZNS1_14partition_implILS5_8ELb0ES3_jPlPS6_PKS6_NS0_5tupleIJS9_S6_EEENSD_IJSA_SA_EEENS0_18inequality_wrapperIZN2at6native12_GLOBAL__N_124unique_dim_cuda_templateIN3c104HalfEEESt5tupleIJNSH_6TensorESO_SO_EERKSO_lbbbEUlllE0_EEPmJS6_EEE10hipError_tPvRmT3_T4_T5_T6_T7_T9_mT8_P12ihipStream_tbDpT10_ENKUlT_T0_E_clISt17integral_constantIbLb0EES1E_EEDaS19_S1A_EUlS19_E_NS1_11comp_targetILNS1_3genE8ELNS1_11target_archE1030ELNS1_3gpuE2ELNS1_3repE0EEENS1_30default_config_static_selectorELNS0_4arch9wavefront6targetE1EEEvT1_.numbered_sgpr, 0
	.set _ZN7rocprim17ROCPRIM_400000_NS6detail17trampoline_kernelINS0_14default_configENS1_25partition_config_selectorILNS1_17partition_subalgoE8ElNS0_10empty_typeEbEEZZNS1_14partition_implILS5_8ELb0ES3_jPlPS6_PKS6_NS0_5tupleIJS9_S6_EEENSD_IJSA_SA_EEENS0_18inequality_wrapperIZN2at6native12_GLOBAL__N_124unique_dim_cuda_templateIN3c104HalfEEESt5tupleIJNSH_6TensorESO_SO_EERKSO_lbbbEUlllE0_EEPmJS6_EEE10hipError_tPvRmT3_T4_T5_T6_T7_T9_mT8_P12ihipStream_tbDpT10_ENKUlT_T0_E_clISt17integral_constantIbLb0EES1E_EEDaS19_S1A_EUlS19_E_NS1_11comp_targetILNS1_3genE8ELNS1_11target_archE1030ELNS1_3gpuE2ELNS1_3repE0EEENS1_30default_config_static_selectorELNS0_4arch9wavefront6targetE1EEEvT1_.num_named_barrier, 0
	.set _ZN7rocprim17ROCPRIM_400000_NS6detail17trampoline_kernelINS0_14default_configENS1_25partition_config_selectorILNS1_17partition_subalgoE8ElNS0_10empty_typeEbEEZZNS1_14partition_implILS5_8ELb0ES3_jPlPS6_PKS6_NS0_5tupleIJS9_S6_EEENSD_IJSA_SA_EEENS0_18inequality_wrapperIZN2at6native12_GLOBAL__N_124unique_dim_cuda_templateIN3c104HalfEEESt5tupleIJNSH_6TensorESO_SO_EERKSO_lbbbEUlllE0_EEPmJS6_EEE10hipError_tPvRmT3_T4_T5_T6_T7_T9_mT8_P12ihipStream_tbDpT10_ENKUlT_T0_E_clISt17integral_constantIbLb0EES1E_EEDaS19_S1A_EUlS19_E_NS1_11comp_targetILNS1_3genE8ELNS1_11target_archE1030ELNS1_3gpuE2ELNS1_3repE0EEENS1_30default_config_static_selectorELNS0_4arch9wavefront6targetE1EEEvT1_.private_seg_size, 0
	.set _ZN7rocprim17ROCPRIM_400000_NS6detail17trampoline_kernelINS0_14default_configENS1_25partition_config_selectorILNS1_17partition_subalgoE8ElNS0_10empty_typeEbEEZZNS1_14partition_implILS5_8ELb0ES3_jPlPS6_PKS6_NS0_5tupleIJS9_S6_EEENSD_IJSA_SA_EEENS0_18inequality_wrapperIZN2at6native12_GLOBAL__N_124unique_dim_cuda_templateIN3c104HalfEEESt5tupleIJNSH_6TensorESO_SO_EERKSO_lbbbEUlllE0_EEPmJS6_EEE10hipError_tPvRmT3_T4_T5_T6_T7_T9_mT8_P12ihipStream_tbDpT10_ENKUlT_T0_E_clISt17integral_constantIbLb0EES1E_EEDaS19_S1A_EUlS19_E_NS1_11comp_targetILNS1_3genE8ELNS1_11target_archE1030ELNS1_3gpuE2ELNS1_3repE0EEENS1_30default_config_static_selectorELNS0_4arch9wavefront6targetE1EEEvT1_.uses_vcc, 0
	.set _ZN7rocprim17ROCPRIM_400000_NS6detail17trampoline_kernelINS0_14default_configENS1_25partition_config_selectorILNS1_17partition_subalgoE8ElNS0_10empty_typeEbEEZZNS1_14partition_implILS5_8ELb0ES3_jPlPS6_PKS6_NS0_5tupleIJS9_S6_EEENSD_IJSA_SA_EEENS0_18inequality_wrapperIZN2at6native12_GLOBAL__N_124unique_dim_cuda_templateIN3c104HalfEEESt5tupleIJNSH_6TensorESO_SO_EERKSO_lbbbEUlllE0_EEPmJS6_EEE10hipError_tPvRmT3_T4_T5_T6_T7_T9_mT8_P12ihipStream_tbDpT10_ENKUlT_T0_E_clISt17integral_constantIbLb0EES1E_EEDaS19_S1A_EUlS19_E_NS1_11comp_targetILNS1_3genE8ELNS1_11target_archE1030ELNS1_3gpuE2ELNS1_3repE0EEENS1_30default_config_static_selectorELNS0_4arch9wavefront6targetE1EEEvT1_.uses_flat_scratch, 0
	.set _ZN7rocprim17ROCPRIM_400000_NS6detail17trampoline_kernelINS0_14default_configENS1_25partition_config_selectorILNS1_17partition_subalgoE8ElNS0_10empty_typeEbEEZZNS1_14partition_implILS5_8ELb0ES3_jPlPS6_PKS6_NS0_5tupleIJS9_S6_EEENSD_IJSA_SA_EEENS0_18inequality_wrapperIZN2at6native12_GLOBAL__N_124unique_dim_cuda_templateIN3c104HalfEEESt5tupleIJNSH_6TensorESO_SO_EERKSO_lbbbEUlllE0_EEPmJS6_EEE10hipError_tPvRmT3_T4_T5_T6_T7_T9_mT8_P12ihipStream_tbDpT10_ENKUlT_T0_E_clISt17integral_constantIbLb0EES1E_EEDaS19_S1A_EUlS19_E_NS1_11comp_targetILNS1_3genE8ELNS1_11target_archE1030ELNS1_3gpuE2ELNS1_3repE0EEENS1_30default_config_static_selectorELNS0_4arch9wavefront6targetE1EEEvT1_.has_dyn_sized_stack, 0
	.set _ZN7rocprim17ROCPRIM_400000_NS6detail17trampoline_kernelINS0_14default_configENS1_25partition_config_selectorILNS1_17partition_subalgoE8ElNS0_10empty_typeEbEEZZNS1_14partition_implILS5_8ELb0ES3_jPlPS6_PKS6_NS0_5tupleIJS9_S6_EEENSD_IJSA_SA_EEENS0_18inequality_wrapperIZN2at6native12_GLOBAL__N_124unique_dim_cuda_templateIN3c104HalfEEESt5tupleIJNSH_6TensorESO_SO_EERKSO_lbbbEUlllE0_EEPmJS6_EEE10hipError_tPvRmT3_T4_T5_T6_T7_T9_mT8_P12ihipStream_tbDpT10_ENKUlT_T0_E_clISt17integral_constantIbLb0EES1E_EEDaS19_S1A_EUlS19_E_NS1_11comp_targetILNS1_3genE8ELNS1_11target_archE1030ELNS1_3gpuE2ELNS1_3repE0EEENS1_30default_config_static_selectorELNS0_4arch9wavefront6targetE1EEEvT1_.has_recursion, 0
	.set _ZN7rocprim17ROCPRIM_400000_NS6detail17trampoline_kernelINS0_14default_configENS1_25partition_config_selectorILNS1_17partition_subalgoE8ElNS0_10empty_typeEbEEZZNS1_14partition_implILS5_8ELb0ES3_jPlPS6_PKS6_NS0_5tupleIJS9_S6_EEENSD_IJSA_SA_EEENS0_18inequality_wrapperIZN2at6native12_GLOBAL__N_124unique_dim_cuda_templateIN3c104HalfEEESt5tupleIJNSH_6TensorESO_SO_EERKSO_lbbbEUlllE0_EEPmJS6_EEE10hipError_tPvRmT3_T4_T5_T6_T7_T9_mT8_P12ihipStream_tbDpT10_ENKUlT_T0_E_clISt17integral_constantIbLb0EES1E_EEDaS19_S1A_EUlS19_E_NS1_11comp_targetILNS1_3genE8ELNS1_11target_archE1030ELNS1_3gpuE2ELNS1_3repE0EEENS1_30default_config_static_selectorELNS0_4arch9wavefront6targetE1EEEvT1_.has_indirect_call, 0
	.section	.AMDGPU.csdata,"",@progbits
; Kernel info:
; codeLenInByte = 0
; TotalNumSgprs: 6
; NumVgprs: 0
; NumAgprs: 0
; TotalNumVgprs: 0
; ScratchSize: 0
; MemoryBound: 0
; FloatMode: 240
; IeeeMode: 1
; LDSByteSize: 0 bytes/workgroup (compile time only)
; SGPRBlocks: 0
; VGPRBlocks: 0
; NumSGPRsForWavesPerEU: 6
; NumVGPRsForWavesPerEU: 1
; AccumOffset: 4
; Occupancy: 8
; WaveLimiterHint : 0
; COMPUTE_PGM_RSRC2:SCRATCH_EN: 0
; COMPUTE_PGM_RSRC2:USER_SGPR: 2
; COMPUTE_PGM_RSRC2:TRAP_HANDLER: 0
; COMPUTE_PGM_RSRC2:TGID_X_EN: 1
; COMPUTE_PGM_RSRC2:TGID_Y_EN: 0
; COMPUTE_PGM_RSRC2:TGID_Z_EN: 0
; COMPUTE_PGM_RSRC2:TIDIG_COMP_CNT: 0
; COMPUTE_PGM_RSRC3_GFX90A:ACCUM_OFFSET: 0
; COMPUTE_PGM_RSRC3_GFX90A:TG_SPLIT: 0
	.section	.text._ZN7rocprim17ROCPRIM_400000_NS6detail17trampoline_kernelINS0_14default_configENS1_25partition_config_selectorILNS1_17partition_subalgoE8ElNS0_10empty_typeEbEEZZNS1_14partition_implILS5_8ELb0ES3_jPlPS6_PKS6_NS0_5tupleIJS9_S6_EEENSD_IJSA_SA_EEENS0_18inequality_wrapperIZN2at6native12_GLOBAL__N_124unique_dim_cuda_templateIN3c104HalfEEESt5tupleIJNSH_6TensorESO_SO_EERKSO_lbbbEUlllE0_EEPmJS6_EEE10hipError_tPvRmT3_T4_T5_T6_T7_T9_mT8_P12ihipStream_tbDpT10_ENKUlT_T0_E_clISt17integral_constantIbLb1EES1E_EEDaS19_S1A_EUlS19_E_NS1_11comp_targetILNS1_3genE0ELNS1_11target_archE4294967295ELNS1_3gpuE0ELNS1_3repE0EEENS1_30default_config_static_selectorELNS0_4arch9wavefront6targetE1EEEvT1_,"axG",@progbits,_ZN7rocprim17ROCPRIM_400000_NS6detail17trampoline_kernelINS0_14default_configENS1_25partition_config_selectorILNS1_17partition_subalgoE8ElNS0_10empty_typeEbEEZZNS1_14partition_implILS5_8ELb0ES3_jPlPS6_PKS6_NS0_5tupleIJS9_S6_EEENSD_IJSA_SA_EEENS0_18inequality_wrapperIZN2at6native12_GLOBAL__N_124unique_dim_cuda_templateIN3c104HalfEEESt5tupleIJNSH_6TensorESO_SO_EERKSO_lbbbEUlllE0_EEPmJS6_EEE10hipError_tPvRmT3_T4_T5_T6_T7_T9_mT8_P12ihipStream_tbDpT10_ENKUlT_T0_E_clISt17integral_constantIbLb1EES1E_EEDaS19_S1A_EUlS19_E_NS1_11comp_targetILNS1_3genE0ELNS1_11target_archE4294967295ELNS1_3gpuE0ELNS1_3repE0EEENS1_30default_config_static_selectorELNS0_4arch9wavefront6targetE1EEEvT1_,comdat
	.globl	_ZN7rocprim17ROCPRIM_400000_NS6detail17trampoline_kernelINS0_14default_configENS1_25partition_config_selectorILNS1_17partition_subalgoE8ElNS0_10empty_typeEbEEZZNS1_14partition_implILS5_8ELb0ES3_jPlPS6_PKS6_NS0_5tupleIJS9_S6_EEENSD_IJSA_SA_EEENS0_18inequality_wrapperIZN2at6native12_GLOBAL__N_124unique_dim_cuda_templateIN3c104HalfEEESt5tupleIJNSH_6TensorESO_SO_EERKSO_lbbbEUlllE0_EEPmJS6_EEE10hipError_tPvRmT3_T4_T5_T6_T7_T9_mT8_P12ihipStream_tbDpT10_ENKUlT_T0_E_clISt17integral_constantIbLb1EES1E_EEDaS19_S1A_EUlS19_E_NS1_11comp_targetILNS1_3genE0ELNS1_11target_archE4294967295ELNS1_3gpuE0ELNS1_3repE0EEENS1_30default_config_static_selectorELNS0_4arch9wavefront6targetE1EEEvT1_ ; -- Begin function _ZN7rocprim17ROCPRIM_400000_NS6detail17trampoline_kernelINS0_14default_configENS1_25partition_config_selectorILNS1_17partition_subalgoE8ElNS0_10empty_typeEbEEZZNS1_14partition_implILS5_8ELb0ES3_jPlPS6_PKS6_NS0_5tupleIJS9_S6_EEENSD_IJSA_SA_EEENS0_18inequality_wrapperIZN2at6native12_GLOBAL__N_124unique_dim_cuda_templateIN3c104HalfEEESt5tupleIJNSH_6TensorESO_SO_EERKSO_lbbbEUlllE0_EEPmJS6_EEE10hipError_tPvRmT3_T4_T5_T6_T7_T9_mT8_P12ihipStream_tbDpT10_ENKUlT_T0_E_clISt17integral_constantIbLb1EES1E_EEDaS19_S1A_EUlS19_E_NS1_11comp_targetILNS1_3genE0ELNS1_11target_archE4294967295ELNS1_3gpuE0ELNS1_3repE0EEENS1_30default_config_static_selectorELNS0_4arch9wavefront6targetE1EEEvT1_
	.p2align	8
	.type	_ZN7rocprim17ROCPRIM_400000_NS6detail17trampoline_kernelINS0_14default_configENS1_25partition_config_selectorILNS1_17partition_subalgoE8ElNS0_10empty_typeEbEEZZNS1_14partition_implILS5_8ELb0ES3_jPlPS6_PKS6_NS0_5tupleIJS9_S6_EEENSD_IJSA_SA_EEENS0_18inequality_wrapperIZN2at6native12_GLOBAL__N_124unique_dim_cuda_templateIN3c104HalfEEESt5tupleIJNSH_6TensorESO_SO_EERKSO_lbbbEUlllE0_EEPmJS6_EEE10hipError_tPvRmT3_T4_T5_T6_T7_T9_mT8_P12ihipStream_tbDpT10_ENKUlT_T0_E_clISt17integral_constantIbLb1EES1E_EEDaS19_S1A_EUlS19_E_NS1_11comp_targetILNS1_3genE0ELNS1_11target_archE4294967295ELNS1_3gpuE0ELNS1_3repE0EEENS1_30default_config_static_selectorELNS0_4arch9wavefront6targetE1EEEvT1_,@function
_ZN7rocprim17ROCPRIM_400000_NS6detail17trampoline_kernelINS0_14default_configENS1_25partition_config_selectorILNS1_17partition_subalgoE8ElNS0_10empty_typeEbEEZZNS1_14partition_implILS5_8ELb0ES3_jPlPS6_PKS6_NS0_5tupleIJS9_S6_EEENSD_IJSA_SA_EEENS0_18inequality_wrapperIZN2at6native12_GLOBAL__N_124unique_dim_cuda_templateIN3c104HalfEEESt5tupleIJNSH_6TensorESO_SO_EERKSO_lbbbEUlllE0_EEPmJS6_EEE10hipError_tPvRmT3_T4_T5_T6_T7_T9_mT8_P12ihipStream_tbDpT10_ENKUlT_T0_E_clISt17integral_constantIbLb1EES1E_EEDaS19_S1A_EUlS19_E_NS1_11comp_targetILNS1_3genE0ELNS1_11target_archE4294967295ELNS1_3gpuE0ELNS1_3repE0EEENS1_30default_config_static_selectorELNS0_4arch9wavefront6targetE1EEEvT1_: ; @_ZN7rocprim17ROCPRIM_400000_NS6detail17trampoline_kernelINS0_14default_configENS1_25partition_config_selectorILNS1_17partition_subalgoE8ElNS0_10empty_typeEbEEZZNS1_14partition_implILS5_8ELb0ES3_jPlPS6_PKS6_NS0_5tupleIJS9_S6_EEENSD_IJSA_SA_EEENS0_18inequality_wrapperIZN2at6native12_GLOBAL__N_124unique_dim_cuda_templateIN3c104HalfEEESt5tupleIJNSH_6TensorESO_SO_EERKSO_lbbbEUlllE0_EEPmJS6_EEE10hipError_tPvRmT3_T4_T5_T6_T7_T9_mT8_P12ihipStream_tbDpT10_ENKUlT_T0_E_clISt17integral_constantIbLb1EES1E_EEDaS19_S1A_EUlS19_E_NS1_11comp_targetILNS1_3genE0ELNS1_11target_archE4294967295ELNS1_3gpuE0ELNS1_3repE0EEENS1_30default_config_static_selectorELNS0_4arch9wavefront6targetE1EEEvT1_
; %bb.0:
	s_endpgm
	.section	.rodata,"a",@progbits
	.p2align	6, 0x0
	.amdhsa_kernel _ZN7rocprim17ROCPRIM_400000_NS6detail17trampoline_kernelINS0_14default_configENS1_25partition_config_selectorILNS1_17partition_subalgoE8ElNS0_10empty_typeEbEEZZNS1_14partition_implILS5_8ELb0ES3_jPlPS6_PKS6_NS0_5tupleIJS9_S6_EEENSD_IJSA_SA_EEENS0_18inequality_wrapperIZN2at6native12_GLOBAL__N_124unique_dim_cuda_templateIN3c104HalfEEESt5tupleIJNSH_6TensorESO_SO_EERKSO_lbbbEUlllE0_EEPmJS6_EEE10hipError_tPvRmT3_T4_T5_T6_T7_T9_mT8_P12ihipStream_tbDpT10_ENKUlT_T0_E_clISt17integral_constantIbLb1EES1E_EEDaS19_S1A_EUlS19_E_NS1_11comp_targetILNS1_3genE0ELNS1_11target_archE4294967295ELNS1_3gpuE0ELNS1_3repE0EEENS1_30default_config_static_selectorELNS0_4arch9wavefront6targetE1EEEvT1_
		.amdhsa_group_segment_fixed_size 0
		.amdhsa_private_segment_fixed_size 0
		.amdhsa_kernarg_size 136
		.amdhsa_user_sgpr_count 2
		.amdhsa_user_sgpr_dispatch_ptr 0
		.amdhsa_user_sgpr_queue_ptr 0
		.amdhsa_user_sgpr_kernarg_segment_ptr 1
		.amdhsa_user_sgpr_dispatch_id 0
		.amdhsa_user_sgpr_kernarg_preload_length 0
		.amdhsa_user_sgpr_kernarg_preload_offset 0
		.amdhsa_user_sgpr_private_segment_size 0
		.amdhsa_uses_dynamic_stack 0
		.amdhsa_enable_private_segment 0
		.amdhsa_system_sgpr_workgroup_id_x 1
		.amdhsa_system_sgpr_workgroup_id_y 0
		.amdhsa_system_sgpr_workgroup_id_z 0
		.amdhsa_system_sgpr_workgroup_info 0
		.amdhsa_system_vgpr_workitem_id 0
		.amdhsa_next_free_vgpr 1
		.amdhsa_next_free_sgpr 0
		.amdhsa_accum_offset 4
		.amdhsa_reserve_vcc 0
		.amdhsa_float_round_mode_32 0
		.amdhsa_float_round_mode_16_64 0
		.amdhsa_float_denorm_mode_32 3
		.amdhsa_float_denorm_mode_16_64 3
		.amdhsa_dx10_clamp 1
		.amdhsa_ieee_mode 1
		.amdhsa_fp16_overflow 0
		.amdhsa_tg_split 0
		.amdhsa_exception_fp_ieee_invalid_op 0
		.amdhsa_exception_fp_denorm_src 0
		.amdhsa_exception_fp_ieee_div_zero 0
		.amdhsa_exception_fp_ieee_overflow 0
		.amdhsa_exception_fp_ieee_underflow 0
		.amdhsa_exception_fp_ieee_inexact 0
		.amdhsa_exception_int_div_zero 0
	.end_amdhsa_kernel
	.section	.text._ZN7rocprim17ROCPRIM_400000_NS6detail17trampoline_kernelINS0_14default_configENS1_25partition_config_selectorILNS1_17partition_subalgoE8ElNS0_10empty_typeEbEEZZNS1_14partition_implILS5_8ELb0ES3_jPlPS6_PKS6_NS0_5tupleIJS9_S6_EEENSD_IJSA_SA_EEENS0_18inequality_wrapperIZN2at6native12_GLOBAL__N_124unique_dim_cuda_templateIN3c104HalfEEESt5tupleIJNSH_6TensorESO_SO_EERKSO_lbbbEUlllE0_EEPmJS6_EEE10hipError_tPvRmT3_T4_T5_T6_T7_T9_mT8_P12ihipStream_tbDpT10_ENKUlT_T0_E_clISt17integral_constantIbLb1EES1E_EEDaS19_S1A_EUlS19_E_NS1_11comp_targetILNS1_3genE0ELNS1_11target_archE4294967295ELNS1_3gpuE0ELNS1_3repE0EEENS1_30default_config_static_selectorELNS0_4arch9wavefront6targetE1EEEvT1_,"axG",@progbits,_ZN7rocprim17ROCPRIM_400000_NS6detail17trampoline_kernelINS0_14default_configENS1_25partition_config_selectorILNS1_17partition_subalgoE8ElNS0_10empty_typeEbEEZZNS1_14partition_implILS5_8ELb0ES3_jPlPS6_PKS6_NS0_5tupleIJS9_S6_EEENSD_IJSA_SA_EEENS0_18inequality_wrapperIZN2at6native12_GLOBAL__N_124unique_dim_cuda_templateIN3c104HalfEEESt5tupleIJNSH_6TensorESO_SO_EERKSO_lbbbEUlllE0_EEPmJS6_EEE10hipError_tPvRmT3_T4_T5_T6_T7_T9_mT8_P12ihipStream_tbDpT10_ENKUlT_T0_E_clISt17integral_constantIbLb1EES1E_EEDaS19_S1A_EUlS19_E_NS1_11comp_targetILNS1_3genE0ELNS1_11target_archE4294967295ELNS1_3gpuE0ELNS1_3repE0EEENS1_30default_config_static_selectorELNS0_4arch9wavefront6targetE1EEEvT1_,comdat
.Lfunc_end1305:
	.size	_ZN7rocprim17ROCPRIM_400000_NS6detail17trampoline_kernelINS0_14default_configENS1_25partition_config_selectorILNS1_17partition_subalgoE8ElNS0_10empty_typeEbEEZZNS1_14partition_implILS5_8ELb0ES3_jPlPS6_PKS6_NS0_5tupleIJS9_S6_EEENSD_IJSA_SA_EEENS0_18inequality_wrapperIZN2at6native12_GLOBAL__N_124unique_dim_cuda_templateIN3c104HalfEEESt5tupleIJNSH_6TensorESO_SO_EERKSO_lbbbEUlllE0_EEPmJS6_EEE10hipError_tPvRmT3_T4_T5_T6_T7_T9_mT8_P12ihipStream_tbDpT10_ENKUlT_T0_E_clISt17integral_constantIbLb1EES1E_EEDaS19_S1A_EUlS19_E_NS1_11comp_targetILNS1_3genE0ELNS1_11target_archE4294967295ELNS1_3gpuE0ELNS1_3repE0EEENS1_30default_config_static_selectorELNS0_4arch9wavefront6targetE1EEEvT1_, .Lfunc_end1305-_ZN7rocprim17ROCPRIM_400000_NS6detail17trampoline_kernelINS0_14default_configENS1_25partition_config_selectorILNS1_17partition_subalgoE8ElNS0_10empty_typeEbEEZZNS1_14partition_implILS5_8ELb0ES3_jPlPS6_PKS6_NS0_5tupleIJS9_S6_EEENSD_IJSA_SA_EEENS0_18inequality_wrapperIZN2at6native12_GLOBAL__N_124unique_dim_cuda_templateIN3c104HalfEEESt5tupleIJNSH_6TensorESO_SO_EERKSO_lbbbEUlllE0_EEPmJS6_EEE10hipError_tPvRmT3_T4_T5_T6_T7_T9_mT8_P12ihipStream_tbDpT10_ENKUlT_T0_E_clISt17integral_constantIbLb1EES1E_EEDaS19_S1A_EUlS19_E_NS1_11comp_targetILNS1_3genE0ELNS1_11target_archE4294967295ELNS1_3gpuE0ELNS1_3repE0EEENS1_30default_config_static_selectorELNS0_4arch9wavefront6targetE1EEEvT1_
                                        ; -- End function
	.set _ZN7rocprim17ROCPRIM_400000_NS6detail17trampoline_kernelINS0_14default_configENS1_25partition_config_selectorILNS1_17partition_subalgoE8ElNS0_10empty_typeEbEEZZNS1_14partition_implILS5_8ELb0ES3_jPlPS6_PKS6_NS0_5tupleIJS9_S6_EEENSD_IJSA_SA_EEENS0_18inequality_wrapperIZN2at6native12_GLOBAL__N_124unique_dim_cuda_templateIN3c104HalfEEESt5tupleIJNSH_6TensorESO_SO_EERKSO_lbbbEUlllE0_EEPmJS6_EEE10hipError_tPvRmT3_T4_T5_T6_T7_T9_mT8_P12ihipStream_tbDpT10_ENKUlT_T0_E_clISt17integral_constantIbLb1EES1E_EEDaS19_S1A_EUlS19_E_NS1_11comp_targetILNS1_3genE0ELNS1_11target_archE4294967295ELNS1_3gpuE0ELNS1_3repE0EEENS1_30default_config_static_selectorELNS0_4arch9wavefront6targetE1EEEvT1_.num_vgpr, 0
	.set _ZN7rocprim17ROCPRIM_400000_NS6detail17trampoline_kernelINS0_14default_configENS1_25partition_config_selectorILNS1_17partition_subalgoE8ElNS0_10empty_typeEbEEZZNS1_14partition_implILS5_8ELb0ES3_jPlPS6_PKS6_NS0_5tupleIJS9_S6_EEENSD_IJSA_SA_EEENS0_18inequality_wrapperIZN2at6native12_GLOBAL__N_124unique_dim_cuda_templateIN3c104HalfEEESt5tupleIJNSH_6TensorESO_SO_EERKSO_lbbbEUlllE0_EEPmJS6_EEE10hipError_tPvRmT3_T4_T5_T6_T7_T9_mT8_P12ihipStream_tbDpT10_ENKUlT_T0_E_clISt17integral_constantIbLb1EES1E_EEDaS19_S1A_EUlS19_E_NS1_11comp_targetILNS1_3genE0ELNS1_11target_archE4294967295ELNS1_3gpuE0ELNS1_3repE0EEENS1_30default_config_static_selectorELNS0_4arch9wavefront6targetE1EEEvT1_.num_agpr, 0
	.set _ZN7rocprim17ROCPRIM_400000_NS6detail17trampoline_kernelINS0_14default_configENS1_25partition_config_selectorILNS1_17partition_subalgoE8ElNS0_10empty_typeEbEEZZNS1_14partition_implILS5_8ELb0ES3_jPlPS6_PKS6_NS0_5tupleIJS9_S6_EEENSD_IJSA_SA_EEENS0_18inequality_wrapperIZN2at6native12_GLOBAL__N_124unique_dim_cuda_templateIN3c104HalfEEESt5tupleIJNSH_6TensorESO_SO_EERKSO_lbbbEUlllE0_EEPmJS6_EEE10hipError_tPvRmT3_T4_T5_T6_T7_T9_mT8_P12ihipStream_tbDpT10_ENKUlT_T0_E_clISt17integral_constantIbLb1EES1E_EEDaS19_S1A_EUlS19_E_NS1_11comp_targetILNS1_3genE0ELNS1_11target_archE4294967295ELNS1_3gpuE0ELNS1_3repE0EEENS1_30default_config_static_selectorELNS0_4arch9wavefront6targetE1EEEvT1_.numbered_sgpr, 0
	.set _ZN7rocprim17ROCPRIM_400000_NS6detail17trampoline_kernelINS0_14default_configENS1_25partition_config_selectorILNS1_17partition_subalgoE8ElNS0_10empty_typeEbEEZZNS1_14partition_implILS5_8ELb0ES3_jPlPS6_PKS6_NS0_5tupleIJS9_S6_EEENSD_IJSA_SA_EEENS0_18inequality_wrapperIZN2at6native12_GLOBAL__N_124unique_dim_cuda_templateIN3c104HalfEEESt5tupleIJNSH_6TensorESO_SO_EERKSO_lbbbEUlllE0_EEPmJS6_EEE10hipError_tPvRmT3_T4_T5_T6_T7_T9_mT8_P12ihipStream_tbDpT10_ENKUlT_T0_E_clISt17integral_constantIbLb1EES1E_EEDaS19_S1A_EUlS19_E_NS1_11comp_targetILNS1_3genE0ELNS1_11target_archE4294967295ELNS1_3gpuE0ELNS1_3repE0EEENS1_30default_config_static_selectorELNS0_4arch9wavefront6targetE1EEEvT1_.num_named_barrier, 0
	.set _ZN7rocprim17ROCPRIM_400000_NS6detail17trampoline_kernelINS0_14default_configENS1_25partition_config_selectorILNS1_17partition_subalgoE8ElNS0_10empty_typeEbEEZZNS1_14partition_implILS5_8ELb0ES3_jPlPS6_PKS6_NS0_5tupleIJS9_S6_EEENSD_IJSA_SA_EEENS0_18inequality_wrapperIZN2at6native12_GLOBAL__N_124unique_dim_cuda_templateIN3c104HalfEEESt5tupleIJNSH_6TensorESO_SO_EERKSO_lbbbEUlllE0_EEPmJS6_EEE10hipError_tPvRmT3_T4_T5_T6_T7_T9_mT8_P12ihipStream_tbDpT10_ENKUlT_T0_E_clISt17integral_constantIbLb1EES1E_EEDaS19_S1A_EUlS19_E_NS1_11comp_targetILNS1_3genE0ELNS1_11target_archE4294967295ELNS1_3gpuE0ELNS1_3repE0EEENS1_30default_config_static_selectorELNS0_4arch9wavefront6targetE1EEEvT1_.private_seg_size, 0
	.set _ZN7rocprim17ROCPRIM_400000_NS6detail17trampoline_kernelINS0_14default_configENS1_25partition_config_selectorILNS1_17partition_subalgoE8ElNS0_10empty_typeEbEEZZNS1_14partition_implILS5_8ELb0ES3_jPlPS6_PKS6_NS0_5tupleIJS9_S6_EEENSD_IJSA_SA_EEENS0_18inequality_wrapperIZN2at6native12_GLOBAL__N_124unique_dim_cuda_templateIN3c104HalfEEESt5tupleIJNSH_6TensorESO_SO_EERKSO_lbbbEUlllE0_EEPmJS6_EEE10hipError_tPvRmT3_T4_T5_T6_T7_T9_mT8_P12ihipStream_tbDpT10_ENKUlT_T0_E_clISt17integral_constantIbLb1EES1E_EEDaS19_S1A_EUlS19_E_NS1_11comp_targetILNS1_3genE0ELNS1_11target_archE4294967295ELNS1_3gpuE0ELNS1_3repE0EEENS1_30default_config_static_selectorELNS0_4arch9wavefront6targetE1EEEvT1_.uses_vcc, 0
	.set _ZN7rocprim17ROCPRIM_400000_NS6detail17trampoline_kernelINS0_14default_configENS1_25partition_config_selectorILNS1_17partition_subalgoE8ElNS0_10empty_typeEbEEZZNS1_14partition_implILS5_8ELb0ES3_jPlPS6_PKS6_NS0_5tupleIJS9_S6_EEENSD_IJSA_SA_EEENS0_18inequality_wrapperIZN2at6native12_GLOBAL__N_124unique_dim_cuda_templateIN3c104HalfEEESt5tupleIJNSH_6TensorESO_SO_EERKSO_lbbbEUlllE0_EEPmJS6_EEE10hipError_tPvRmT3_T4_T5_T6_T7_T9_mT8_P12ihipStream_tbDpT10_ENKUlT_T0_E_clISt17integral_constantIbLb1EES1E_EEDaS19_S1A_EUlS19_E_NS1_11comp_targetILNS1_3genE0ELNS1_11target_archE4294967295ELNS1_3gpuE0ELNS1_3repE0EEENS1_30default_config_static_selectorELNS0_4arch9wavefront6targetE1EEEvT1_.uses_flat_scratch, 0
	.set _ZN7rocprim17ROCPRIM_400000_NS6detail17trampoline_kernelINS0_14default_configENS1_25partition_config_selectorILNS1_17partition_subalgoE8ElNS0_10empty_typeEbEEZZNS1_14partition_implILS5_8ELb0ES3_jPlPS6_PKS6_NS0_5tupleIJS9_S6_EEENSD_IJSA_SA_EEENS0_18inequality_wrapperIZN2at6native12_GLOBAL__N_124unique_dim_cuda_templateIN3c104HalfEEESt5tupleIJNSH_6TensorESO_SO_EERKSO_lbbbEUlllE0_EEPmJS6_EEE10hipError_tPvRmT3_T4_T5_T6_T7_T9_mT8_P12ihipStream_tbDpT10_ENKUlT_T0_E_clISt17integral_constantIbLb1EES1E_EEDaS19_S1A_EUlS19_E_NS1_11comp_targetILNS1_3genE0ELNS1_11target_archE4294967295ELNS1_3gpuE0ELNS1_3repE0EEENS1_30default_config_static_selectorELNS0_4arch9wavefront6targetE1EEEvT1_.has_dyn_sized_stack, 0
	.set _ZN7rocprim17ROCPRIM_400000_NS6detail17trampoline_kernelINS0_14default_configENS1_25partition_config_selectorILNS1_17partition_subalgoE8ElNS0_10empty_typeEbEEZZNS1_14partition_implILS5_8ELb0ES3_jPlPS6_PKS6_NS0_5tupleIJS9_S6_EEENSD_IJSA_SA_EEENS0_18inequality_wrapperIZN2at6native12_GLOBAL__N_124unique_dim_cuda_templateIN3c104HalfEEESt5tupleIJNSH_6TensorESO_SO_EERKSO_lbbbEUlllE0_EEPmJS6_EEE10hipError_tPvRmT3_T4_T5_T6_T7_T9_mT8_P12ihipStream_tbDpT10_ENKUlT_T0_E_clISt17integral_constantIbLb1EES1E_EEDaS19_S1A_EUlS19_E_NS1_11comp_targetILNS1_3genE0ELNS1_11target_archE4294967295ELNS1_3gpuE0ELNS1_3repE0EEENS1_30default_config_static_selectorELNS0_4arch9wavefront6targetE1EEEvT1_.has_recursion, 0
	.set _ZN7rocprim17ROCPRIM_400000_NS6detail17trampoline_kernelINS0_14default_configENS1_25partition_config_selectorILNS1_17partition_subalgoE8ElNS0_10empty_typeEbEEZZNS1_14partition_implILS5_8ELb0ES3_jPlPS6_PKS6_NS0_5tupleIJS9_S6_EEENSD_IJSA_SA_EEENS0_18inequality_wrapperIZN2at6native12_GLOBAL__N_124unique_dim_cuda_templateIN3c104HalfEEESt5tupleIJNSH_6TensorESO_SO_EERKSO_lbbbEUlllE0_EEPmJS6_EEE10hipError_tPvRmT3_T4_T5_T6_T7_T9_mT8_P12ihipStream_tbDpT10_ENKUlT_T0_E_clISt17integral_constantIbLb1EES1E_EEDaS19_S1A_EUlS19_E_NS1_11comp_targetILNS1_3genE0ELNS1_11target_archE4294967295ELNS1_3gpuE0ELNS1_3repE0EEENS1_30default_config_static_selectorELNS0_4arch9wavefront6targetE1EEEvT1_.has_indirect_call, 0
	.section	.AMDGPU.csdata,"",@progbits
; Kernel info:
; codeLenInByte = 4
; TotalNumSgprs: 6
; NumVgprs: 0
; NumAgprs: 0
; TotalNumVgprs: 0
; ScratchSize: 0
; MemoryBound: 0
; FloatMode: 240
; IeeeMode: 1
; LDSByteSize: 0 bytes/workgroup (compile time only)
; SGPRBlocks: 0
; VGPRBlocks: 0
; NumSGPRsForWavesPerEU: 6
; NumVGPRsForWavesPerEU: 1
; AccumOffset: 4
; Occupancy: 8
; WaveLimiterHint : 0
; COMPUTE_PGM_RSRC2:SCRATCH_EN: 0
; COMPUTE_PGM_RSRC2:USER_SGPR: 2
; COMPUTE_PGM_RSRC2:TRAP_HANDLER: 0
; COMPUTE_PGM_RSRC2:TGID_X_EN: 1
; COMPUTE_PGM_RSRC2:TGID_Y_EN: 0
; COMPUTE_PGM_RSRC2:TGID_Z_EN: 0
; COMPUTE_PGM_RSRC2:TIDIG_COMP_CNT: 0
; COMPUTE_PGM_RSRC3_GFX90A:ACCUM_OFFSET: 0
; COMPUTE_PGM_RSRC3_GFX90A:TG_SPLIT: 0
	.section	.text._ZN7rocprim17ROCPRIM_400000_NS6detail17trampoline_kernelINS0_14default_configENS1_25partition_config_selectorILNS1_17partition_subalgoE8ElNS0_10empty_typeEbEEZZNS1_14partition_implILS5_8ELb0ES3_jPlPS6_PKS6_NS0_5tupleIJS9_S6_EEENSD_IJSA_SA_EEENS0_18inequality_wrapperIZN2at6native12_GLOBAL__N_124unique_dim_cuda_templateIN3c104HalfEEESt5tupleIJNSH_6TensorESO_SO_EERKSO_lbbbEUlllE0_EEPmJS6_EEE10hipError_tPvRmT3_T4_T5_T6_T7_T9_mT8_P12ihipStream_tbDpT10_ENKUlT_T0_E_clISt17integral_constantIbLb1EES1E_EEDaS19_S1A_EUlS19_E_NS1_11comp_targetILNS1_3genE5ELNS1_11target_archE942ELNS1_3gpuE9ELNS1_3repE0EEENS1_30default_config_static_selectorELNS0_4arch9wavefront6targetE1EEEvT1_,"axG",@progbits,_ZN7rocprim17ROCPRIM_400000_NS6detail17trampoline_kernelINS0_14default_configENS1_25partition_config_selectorILNS1_17partition_subalgoE8ElNS0_10empty_typeEbEEZZNS1_14partition_implILS5_8ELb0ES3_jPlPS6_PKS6_NS0_5tupleIJS9_S6_EEENSD_IJSA_SA_EEENS0_18inequality_wrapperIZN2at6native12_GLOBAL__N_124unique_dim_cuda_templateIN3c104HalfEEESt5tupleIJNSH_6TensorESO_SO_EERKSO_lbbbEUlllE0_EEPmJS6_EEE10hipError_tPvRmT3_T4_T5_T6_T7_T9_mT8_P12ihipStream_tbDpT10_ENKUlT_T0_E_clISt17integral_constantIbLb1EES1E_EEDaS19_S1A_EUlS19_E_NS1_11comp_targetILNS1_3genE5ELNS1_11target_archE942ELNS1_3gpuE9ELNS1_3repE0EEENS1_30default_config_static_selectorELNS0_4arch9wavefront6targetE1EEEvT1_,comdat
	.globl	_ZN7rocprim17ROCPRIM_400000_NS6detail17trampoline_kernelINS0_14default_configENS1_25partition_config_selectorILNS1_17partition_subalgoE8ElNS0_10empty_typeEbEEZZNS1_14partition_implILS5_8ELb0ES3_jPlPS6_PKS6_NS0_5tupleIJS9_S6_EEENSD_IJSA_SA_EEENS0_18inequality_wrapperIZN2at6native12_GLOBAL__N_124unique_dim_cuda_templateIN3c104HalfEEESt5tupleIJNSH_6TensorESO_SO_EERKSO_lbbbEUlllE0_EEPmJS6_EEE10hipError_tPvRmT3_T4_T5_T6_T7_T9_mT8_P12ihipStream_tbDpT10_ENKUlT_T0_E_clISt17integral_constantIbLb1EES1E_EEDaS19_S1A_EUlS19_E_NS1_11comp_targetILNS1_3genE5ELNS1_11target_archE942ELNS1_3gpuE9ELNS1_3repE0EEENS1_30default_config_static_selectorELNS0_4arch9wavefront6targetE1EEEvT1_ ; -- Begin function _ZN7rocprim17ROCPRIM_400000_NS6detail17trampoline_kernelINS0_14default_configENS1_25partition_config_selectorILNS1_17partition_subalgoE8ElNS0_10empty_typeEbEEZZNS1_14partition_implILS5_8ELb0ES3_jPlPS6_PKS6_NS0_5tupleIJS9_S6_EEENSD_IJSA_SA_EEENS0_18inequality_wrapperIZN2at6native12_GLOBAL__N_124unique_dim_cuda_templateIN3c104HalfEEESt5tupleIJNSH_6TensorESO_SO_EERKSO_lbbbEUlllE0_EEPmJS6_EEE10hipError_tPvRmT3_T4_T5_T6_T7_T9_mT8_P12ihipStream_tbDpT10_ENKUlT_T0_E_clISt17integral_constantIbLb1EES1E_EEDaS19_S1A_EUlS19_E_NS1_11comp_targetILNS1_3genE5ELNS1_11target_archE942ELNS1_3gpuE9ELNS1_3repE0EEENS1_30default_config_static_selectorELNS0_4arch9wavefront6targetE1EEEvT1_
	.p2align	8
	.type	_ZN7rocprim17ROCPRIM_400000_NS6detail17trampoline_kernelINS0_14default_configENS1_25partition_config_selectorILNS1_17partition_subalgoE8ElNS0_10empty_typeEbEEZZNS1_14partition_implILS5_8ELb0ES3_jPlPS6_PKS6_NS0_5tupleIJS9_S6_EEENSD_IJSA_SA_EEENS0_18inequality_wrapperIZN2at6native12_GLOBAL__N_124unique_dim_cuda_templateIN3c104HalfEEESt5tupleIJNSH_6TensorESO_SO_EERKSO_lbbbEUlllE0_EEPmJS6_EEE10hipError_tPvRmT3_T4_T5_T6_T7_T9_mT8_P12ihipStream_tbDpT10_ENKUlT_T0_E_clISt17integral_constantIbLb1EES1E_EEDaS19_S1A_EUlS19_E_NS1_11comp_targetILNS1_3genE5ELNS1_11target_archE942ELNS1_3gpuE9ELNS1_3repE0EEENS1_30default_config_static_selectorELNS0_4arch9wavefront6targetE1EEEvT1_,@function
_ZN7rocprim17ROCPRIM_400000_NS6detail17trampoline_kernelINS0_14default_configENS1_25partition_config_selectorILNS1_17partition_subalgoE8ElNS0_10empty_typeEbEEZZNS1_14partition_implILS5_8ELb0ES3_jPlPS6_PKS6_NS0_5tupleIJS9_S6_EEENSD_IJSA_SA_EEENS0_18inequality_wrapperIZN2at6native12_GLOBAL__N_124unique_dim_cuda_templateIN3c104HalfEEESt5tupleIJNSH_6TensorESO_SO_EERKSO_lbbbEUlllE0_EEPmJS6_EEE10hipError_tPvRmT3_T4_T5_T6_T7_T9_mT8_P12ihipStream_tbDpT10_ENKUlT_T0_E_clISt17integral_constantIbLb1EES1E_EEDaS19_S1A_EUlS19_E_NS1_11comp_targetILNS1_3genE5ELNS1_11target_archE942ELNS1_3gpuE9ELNS1_3repE0EEENS1_30default_config_static_selectorELNS0_4arch9wavefront6targetE1EEEvT1_: ; @_ZN7rocprim17ROCPRIM_400000_NS6detail17trampoline_kernelINS0_14default_configENS1_25partition_config_selectorILNS1_17partition_subalgoE8ElNS0_10empty_typeEbEEZZNS1_14partition_implILS5_8ELb0ES3_jPlPS6_PKS6_NS0_5tupleIJS9_S6_EEENSD_IJSA_SA_EEENS0_18inequality_wrapperIZN2at6native12_GLOBAL__N_124unique_dim_cuda_templateIN3c104HalfEEESt5tupleIJNSH_6TensorESO_SO_EERKSO_lbbbEUlllE0_EEPmJS6_EEE10hipError_tPvRmT3_T4_T5_T6_T7_T9_mT8_P12ihipStream_tbDpT10_ENKUlT_T0_E_clISt17integral_constantIbLb1EES1E_EEDaS19_S1A_EUlS19_E_NS1_11comp_targetILNS1_3genE5ELNS1_11target_archE942ELNS1_3gpuE9ELNS1_3repE0EEENS1_30default_config_static_selectorELNS0_4arch9wavefront6targetE1EEEvT1_
; %bb.0:
	.section	.rodata,"a",@progbits
	.p2align	6, 0x0
	.amdhsa_kernel _ZN7rocprim17ROCPRIM_400000_NS6detail17trampoline_kernelINS0_14default_configENS1_25partition_config_selectorILNS1_17partition_subalgoE8ElNS0_10empty_typeEbEEZZNS1_14partition_implILS5_8ELb0ES3_jPlPS6_PKS6_NS0_5tupleIJS9_S6_EEENSD_IJSA_SA_EEENS0_18inequality_wrapperIZN2at6native12_GLOBAL__N_124unique_dim_cuda_templateIN3c104HalfEEESt5tupleIJNSH_6TensorESO_SO_EERKSO_lbbbEUlllE0_EEPmJS6_EEE10hipError_tPvRmT3_T4_T5_T6_T7_T9_mT8_P12ihipStream_tbDpT10_ENKUlT_T0_E_clISt17integral_constantIbLb1EES1E_EEDaS19_S1A_EUlS19_E_NS1_11comp_targetILNS1_3genE5ELNS1_11target_archE942ELNS1_3gpuE9ELNS1_3repE0EEENS1_30default_config_static_selectorELNS0_4arch9wavefront6targetE1EEEvT1_
		.amdhsa_group_segment_fixed_size 0
		.amdhsa_private_segment_fixed_size 0
		.amdhsa_kernarg_size 136
		.amdhsa_user_sgpr_count 2
		.amdhsa_user_sgpr_dispatch_ptr 0
		.amdhsa_user_sgpr_queue_ptr 0
		.amdhsa_user_sgpr_kernarg_segment_ptr 1
		.amdhsa_user_sgpr_dispatch_id 0
		.amdhsa_user_sgpr_kernarg_preload_length 0
		.amdhsa_user_sgpr_kernarg_preload_offset 0
		.amdhsa_user_sgpr_private_segment_size 0
		.amdhsa_uses_dynamic_stack 0
		.amdhsa_enable_private_segment 0
		.amdhsa_system_sgpr_workgroup_id_x 1
		.amdhsa_system_sgpr_workgroup_id_y 0
		.amdhsa_system_sgpr_workgroup_id_z 0
		.amdhsa_system_sgpr_workgroup_info 0
		.amdhsa_system_vgpr_workitem_id 0
		.amdhsa_next_free_vgpr 1
		.amdhsa_next_free_sgpr 0
		.amdhsa_accum_offset 4
		.amdhsa_reserve_vcc 0
		.amdhsa_float_round_mode_32 0
		.amdhsa_float_round_mode_16_64 0
		.amdhsa_float_denorm_mode_32 3
		.amdhsa_float_denorm_mode_16_64 3
		.amdhsa_dx10_clamp 1
		.amdhsa_ieee_mode 1
		.amdhsa_fp16_overflow 0
		.amdhsa_tg_split 0
		.amdhsa_exception_fp_ieee_invalid_op 0
		.amdhsa_exception_fp_denorm_src 0
		.amdhsa_exception_fp_ieee_div_zero 0
		.amdhsa_exception_fp_ieee_overflow 0
		.amdhsa_exception_fp_ieee_underflow 0
		.amdhsa_exception_fp_ieee_inexact 0
		.amdhsa_exception_int_div_zero 0
	.end_amdhsa_kernel
	.section	.text._ZN7rocprim17ROCPRIM_400000_NS6detail17trampoline_kernelINS0_14default_configENS1_25partition_config_selectorILNS1_17partition_subalgoE8ElNS0_10empty_typeEbEEZZNS1_14partition_implILS5_8ELb0ES3_jPlPS6_PKS6_NS0_5tupleIJS9_S6_EEENSD_IJSA_SA_EEENS0_18inequality_wrapperIZN2at6native12_GLOBAL__N_124unique_dim_cuda_templateIN3c104HalfEEESt5tupleIJNSH_6TensorESO_SO_EERKSO_lbbbEUlllE0_EEPmJS6_EEE10hipError_tPvRmT3_T4_T5_T6_T7_T9_mT8_P12ihipStream_tbDpT10_ENKUlT_T0_E_clISt17integral_constantIbLb1EES1E_EEDaS19_S1A_EUlS19_E_NS1_11comp_targetILNS1_3genE5ELNS1_11target_archE942ELNS1_3gpuE9ELNS1_3repE0EEENS1_30default_config_static_selectorELNS0_4arch9wavefront6targetE1EEEvT1_,"axG",@progbits,_ZN7rocprim17ROCPRIM_400000_NS6detail17trampoline_kernelINS0_14default_configENS1_25partition_config_selectorILNS1_17partition_subalgoE8ElNS0_10empty_typeEbEEZZNS1_14partition_implILS5_8ELb0ES3_jPlPS6_PKS6_NS0_5tupleIJS9_S6_EEENSD_IJSA_SA_EEENS0_18inequality_wrapperIZN2at6native12_GLOBAL__N_124unique_dim_cuda_templateIN3c104HalfEEESt5tupleIJNSH_6TensorESO_SO_EERKSO_lbbbEUlllE0_EEPmJS6_EEE10hipError_tPvRmT3_T4_T5_T6_T7_T9_mT8_P12ihipStream_tbDpT10_ENKUlT_T0_E_clISt17integral_constantIbLb1EES1E_EEDaS19_S1A_EUlS19_E_NS1_11comp_targetILNS1_3genE5ELNS1_11target_archE942ELNS1_3gpuE9ELNS1_3repE0EEENS1_30default_config_static_selectorELNS0_4arch9wavefront6targetE1EEEvT1_,comdat
.Lfunc_end1306:
	.size	_ZN7rocprim17ROCPRIM_400000_NS6detail17trampoline_kernelINS0_14default_configENS1_25partition_config_selectorILNS1_17partition_subalgoE8ElNS0_10empty_typeEbEEZZNS1_14partition_implILS5_8ELb0ES3_jPlPS6_PKS6_NS0_5tupleIJS9_S6_EEENSD_IJSA_SA_EEENS0_18inequality_wrapperIZN2at6native12_GLOBAL__N_124unique_dim_cuda_templateIN3c104HalfEEESt5tupleIJNSH_6TensorESO_SO_EERKSO_lbbbEUlllE0_EEPmJS6_EEE10hipError_tPvRmT3_T4_T5_T6_T7_T9_mT8_P12ihipStream_tbDpT10_ENKUlT_T0_E_clISt17integral_constantIbLb1EES1E_EEDaS19_S1A_EUlS19_E_NS1_11comp_targetILNS1_3genE5ELNS1_11target_archE942ELNS1_3gpuE9ELNS1_3repE0EEENS1_30default_config_static_selectorELNS0_4arch9wavefront6targetE1EEEvT1_, .Lfunc_end1306-_ZN7rocprim17ROCPRIM_400000_NS6detail17trampoline_kernelINS0_14default_configENS1_25partition_config_selectorILNS1_17partition_subalgoE8ElNS0_10empty_typeEbEEZZNS1_14partition_implILS5_8ELb0ES3_jPlPS6_PKS6_NS0_5tupleIJS9_S6_EEENSD_IJSA_SA_EEENS0_18inequality_wrapperIZN2at6native12_GLOBAL__N_124unique_dim_cuda_templateIN3c104HalfEEESt5tupleIJNSH_6TensorESO_SO_EERKSO_lbbbEUlllE0_EEPmJS6_EEE10hipError_tPvRmT3_T4_T5_T6_T7_T9_mT8_P12ihipStream_tbDpT10_ENKUlT_T0_E_clISt17integral_constantIbLb1EES1E_EEDaS19_S1A_EUlS19_E_NS1_11comp_targetILNS1_3genE5ELNS1_11target_archE942ELNS1_3gpuE9ELNS1_3repE0EEENS1_30default_config_static_selectorELNS0_4arch9wavefront6targetE1EEEvT1_
                                        ; -- End function
	.set _ZN7rocprim17ROCPRIM_400000_NS6detail17trampoline_kernelINS0_14default_configENS1_25partition_config_selectorILNS1_17partition_subalgoE8ElNS0_10empty_typeEbEEZZNS1_14partition_implILS5_8ELb0ES3_jPlPS6_PKS6_NS0_5tupleIJS9_S6_EEENSD_IJSA_SA_EEENS0_18inequality_wrapperIZN2at6native12_GLOBAL__N_124unique_dim_cuda_templateIN3c104HalfEEESt5tupleIJNSH_6TensorESO_SO_EERKSO_lbbbEUlllE0_EEPmJS6_EEE10hipError_tPvRmT3_T4_T5_T6_T7_T9_mT8_P12ihipStream_tbDpT10_ENKUlT_T0_E_clISt17integral_constantIbLb1EES1E_EEDaS19_S1A_EUlS19_E_NS1_11comp_targetILNS1_3genE5ELNS1_11target_archE942ELNS1_3gpuE9ELNS1_3repE0EEENS1_30default_config_static_selectorELNS0_4arch9wavefront6targetE1EEEvT1_.num_vgpr, 0
	.set _ZN7rocprim17ROCPRIM_400000_NS6detail17trampoline_kernelINS0_14default_configENS1_25partition_config_selectorILNS1_17partition_subalgoE8ElNS0_10empty_typeEbEEZZNS1_14partition_implILS5_8ELb0ES3_jPlPS6_PKS6_NS0_5tupleIJS9_S6_EEENSD_IJSA_SA_EEENS0_18inequality_wrapperIZN2at6native12_GLOBAL__N_124unique_dim_cuda_templateIN3c104HalfEEESt5tupleIJNSH_6TensorESO_SO_EERKSO_lbbbEUlllE0_EEPmJS6_EEE10hipError_tPvRmT3_T4_T5_T6_T7_T9_mT8_P12ihipStream_tbDpT10_ENKUlT_T0_E_clISt17integral_constantIbLb1EES1E_EEDaS19_S1A_EUlS19_E_NS1_11comp_targetILNS1_3genE5ELNS1_11target_archE942ELNS1_3gpuE9ELNS1_3repE0EEENS1_30default_config_static_selectorELNS0_4arch9wavefront6targetE1EEEvT1_.num_agpr, 0
	.set _ZN7rocprim17ROCPRIM_400000_NS6detail17trampoline_kernelINS0_14default_configENS1_25partition_config_selectorILNS1_17partition_subalgoE8ElNS0_10empty_typeEbEEZZNS1_14partition_implILS5_8ELb0ES3_jPlPS6_PKS6_NS0_5tupleIJS9_S6_EEENSD_IJSA_SA_EEENS0_18inequality_wrapperIZN2at6native12_GLOBAL__N_124unique_dim_cuda_templateIN3c104HalfEEESt5tupleIJNSH_6TensorESO_SO_EERKSO_lbbbEUlllE0_EEPmJS6_EEE10hipError_tPvRmT3_T4_T5_T6_T7_T9_mT8_P12ihipStream_tbDpT10_ENKUlT_T0_E_clISt17integral_constantIbLb1EES1E_EEDaS19_S1A_EUlS19_E_NS1_11comp_targetILNS1_3genE5ELNS1_11target_archE942ELNS1_3gpuE9ELNS1_3repE0EEENS1_30default_config_static_selectorELNS0_4arch9wavefront6targetE1EEEvT1_.numbered_sgpr, 0
	.set _ZN7rocprim17ROCPRIM_400000_NS6detail17trampoline_kernelINS0_14default_configENS1_25partition_config_selectorILNS1_17partition_subalgoE8ElNS0_10empty_typeEbEEZZNS1_14partition_implILS5_8ELb0ES3_jPlPS6_PKS6_NS0_5tupleIJS9_S6_EEENSD_IJSA_SA_EEENS0_18inequality_wrapperIZN2at6native12_GLOBAL__N_124unique_dim_cuda_templateIN3c104HalfEEESt5tupleIJNSH_6TensorESO_SO_EERKSO_lbbbEUlllE0_EEPmJS6_EEE10hipError_tPvRmT3_T4_T5_T6_T7_T9_mT8_P12ihipStream_tbDpT10_ENKUlT_T0_E_clISt17integral_constantIbLb1EES1E_EEDaS19_S1A_EUlS19_E_NS1_11comp_targetILNS1_3genE5ELNS1_11target_archE942ELNS1_3gpuE9ELNS1_3repE0EEENS1_30default_config_static_selectorELNS0_4arch9wavefront6targetE1EEEvT1_.num_named_barrier, 0
	.set _ZN7rocprim17ROCPRIM_400000_NS6detail17trampoline_kernelINS0_14default_configENS1_25partition_config_selectorILNS1_17partition_subalgoE8ElNS0_10empty_typeEbEEZZNS1_14partition_implILS5_8ELb0ES3_jPlPS6_PKS6_NS0_5tupleIJS9_S6_EEENSD_IJSA_SA_EEENS0_18inequality_wrapperIZN2at6native12_GLOBAL__N_124unique_dim_cuda_templateIN3c104HalfEEESt5tupleIJNSH_6TensorESO_SO_EERKSO_lbbbEUlllE0_EEPmJS6_EEE10hipError_tPvRmT3_T4_T5_T6_T7_T9_mT8_P12ihipStream_tbDpT10_ENKUlT_T0_E_clISt17integral_constantIbLb1EES1E_EEDaS19_S1A_EUlS19_E_NS1_11comp_targetILNS1_3genE5ELNS1_11target_archE942ELNS1_3gpuE9ELNS1_3repE0EEENS1_30default_config_static_selectorELNS0_4arch9wavefront6targetE1EEEvT1_.private_seg_size, 0
	.set _ZN7rocprim17ROCPRIM_400000_NS6detail17trampoline_kernelINS0_14default_configENS1_25partition_config_selectorILNS1_17partition_subalgoE8ElNS0_10empty_typeEbEEZZNS1_14partition_implILS5_8ELb0ES3_jPlPS6_PKS6_NS0_5tupleIJS9_S6_EEENSD_IJSA_SA_EEENS0_18inequality_wrapperIZN2at6native12_GLOBAL__N_124unique_dim_cuda_templateIN3c104HalfEEESt5tupleIJNSH_6TensorESO_SO_EERKSO_lbbbEUlllE0_EEPmJS6_EEE10hipError_tPvRmT3_T4_T5_T6_T7_T9_mT8_P12ihipStream_tbDpT10_ENKUlT_T0_E_clISt17integral_constantIbLb1EES1E_EEDaS19_S1A_EUlS19_E_NS1_11comp_targetILNS1_3genE5ELNS1_11target_archE942ELNS1_3gpuE9ELNS1_3repE0EEENS1_30default_config_static_selectorELNS0_4arch9wavefront6targetE1EEEvT1_.uses_vcc, 0
	.set _ZN7rocprim17ROCPRIM_400000_NS6detail17trampoline_kernelINS0_14default_configENS1_25partition_config_selectorILNS1_17partition_subalgoE8ElNS0_10empty_typeEbEEZZNS1_14partition_implILS5_8ELb0ES3_jPlPS6_PKS6_NS0_5tupleIJS9_S6_EEENSD_IJSA_SA_EEENS0_18inequality_wrapperIZN2at6native12_GLOBAL__N_124unique_dim_cuda_templateIN3c104HalfEEESt5tupleIJNSH_6TensorESO_SO_EERKSO_lbbbEUlllE0_EEPmJS6_EEE10hipError_tPvRmT3_T4_T5_T6_T7_T9_mT8_P12ihipStream_tbDpT10_ENKUlT_T0_E_clISt17integral_constantIbLb1EES1E_EEDaS19_S1A_EUlS19_E_NS1_11comp_targetILNS1_3genE5ELNS1_11target_archE942ELNS1_3gpuE9ELNS1_3repE0EEENS1_30default_config_static_selectorELNS0_4arch9wavefront6targetE1EEEvT1_.uses_flat_scratch, 0
	.set _ZN7rocprim17ROCPRIM_400000_NS6detail17trampoline_kernelINS0_14default_configENS1_25partition_config_selectorILNS1_17partition_subalgoE8ElNS0_10empty_typeEbEEZZNS1_14partition_implILS5_8ELb0ES3_jPlPS6_PKS6_NS0_5tupleIJS9_S6_EEENSD_IJSA_SA_EEENS0_18inequality_wrapperIZN2at6native12_GLOBAL__N_124unique_dim_cuda_templateIN3c104HalfEEESt5tupleIJNSH_6TensorESO_SO_EERKSO_lbbbEUlllE0_EEPmJS6_EEE10hipError_tPvRmT3_T4_T5_T6_T7_T9_mT8_P12ihipStream_tbDpT10_ENKUlT_T0_E_clISt17integral_constantIbLb1EES1E_EEDaS19_S1A_EUlS19_E_NS1_11comp_targetILNS1_3genE5ELNS1_11target_archE942ELNS1_3gpuE9ELNS1_3repE0EEENS1_30default_config_static_selectorELNS0_4arch9wavefront6targetE1EEEvT1_.has_dyn_sized_stack, 0
	.set _ZN7rocprim17ROCPRIM_400000_NS6detail17trampoline_kernelINS0_14default_configENS1_25partition_config_selectorILNS1_17partition_subalgoE8ElNS0_10empty_typeEbEEZZNS1_14partition_implILS5_8ELb0ES3_jPlPS6_PKS6_NS0_5tupleIJS9_S6_EEENSD_IJSA_SA_EEENS0_18inequality_wrapperIZN2at6native12_GLOBAL__N_124unique_dim_cuda_templateIN3c104HalfEEESt5tupleIJNSH_6TensorESO_SO_EERKSO_lbbbEUlllE0_EEPmJS6_EEE10hipError_tPvRmT3_T4_T5_T6_T7_T9_mT8_P12ihipStream_tbDpT10_ENKUlT_T0_E_clISt17integral_constantIbLb1EES1E_EEDaS19_S1A_EUlS19_E_NS1_11comp_targetILNS1_3genE5ELNS1_11target_archE942ELNS1_3gpuE9ELNS1_3repE0EEENS1_30default_config_static_selectorELNS0_4arch9wavefront6targetE1EEEvT1_.has_recursion, 0
	.set _ZN7rocprim17ROCPRIM_400000_NS6detail17trampoline_kernelINS0_14default_configENS1_25partition_config_selectorILNS1_17partition_subalgoE8ElNS0_10empty_typeEbEEZZNS1_14partition_implILS5_8ELb0ES3_jPlPS6_PKS6_NS0_5tupleIJS9_S6_EEENSD_IJSA_SA_EEENS0_18inequality_wrapperIZN2at6native12_GLOBAL__N_124unique_dim_cuda_templateIN3c104HalfEEESt5tupleIJNSH_6TensorESO_SO_EERKSO_lbbbEUlllE0_EEPmJS6_EEE10hipError_tPvRmT3_T4_T5_T6_T7_T9_mT8_P12ihipStream_tbDpT10_ENKUlT_T0_E_clISt17integral_constantIbLb1EES1E_EEDaS19_S1A_EUlS19_E_NS1_11comp_targetILNS1_3genE5ELNS1_11target_archE942ELNS1_3gpuE9ELNS1_3repE0EEENS1_30default_config_static_selectorELNS0_4arch9wavefront6targetE1EEEvT1_.has_indirect_call, 0
	.section	.AMDGPU.csdata,"",@progbits
; Kernel info:
; codeLenInByte = 0
; TotalNumSgprs: 6
; NumVgprs: 0
; NumAgprs: 0
; TotalNumVgprs: 0
; ScratchSize: 0
; MemoryBound: 0
; FloatMode: 240
; IeeeMode: 1
; LDSByteSize: 0 bytes/workgroup (compile time only)
; SGPRBlocks: 0
; VGPRBlocks: 0
; NumSGPRsForWavesPerEU: 6
; NumVGPRsForWavesPerEU: 1
; AccumOffset: 4
; Occupancy: 8
; WaveLimiterHint : 0
; COMPUTE_PGM_RSRC2:SCRATCH_EN: 0
; COMPUTE_PGM_RSRC2:USER_SGPR: 2
; COMPUTE_PGM_RSRC2:TRAP_HANDLER: 0
; COMPUTE_PGM_RSRC2:TGID_X_EN: 1
; COMPUTE_PGM_RSRC2:TGID_Y_EN: 0
; COMPUTE_PGM_RSRC2:TGID_Z_EN: 0
; COMPUTE_PGM_RSRC2:TIDIG_COMP_CNT: 0
; COMPUTE_PGM_RSRC3_GFX90A:ACCUM_OFFSET: 0
; COMPUTE_PGM_RSRC3_GFX90A:TG_SPLIT: 0
	.section	.text._ZN7rocprim17ROCPRIM_400000_NS6detail17trampoline_kernelINS0_14default_configENS1_25partition_config_selectorILNS1_17partition_subalgoE8ElNS0_10empty_typeEbEEZZNS1_14partition_implILS5_8ELb0ES3_jPlPS6_PKS6_NS0_5tupleIJS9_S6_EEENSD_IJSA_SA_EEENS0_18inequality_wrapperIZN2at6native12_GLOBAL__N_124unique_dim_cuda_templateIN3c104HalfEEESt5tupleIJNSH_6TensorESO_SO_EERKSO_lbbbEUlllE0_EEPmJS6_EEE10hipError_tPvRmT3_T4_T5_T6_T7_T9_mT8_P12ihipStream_tbDpT10_ENKUlT_T0_E_clISt17integral_constantIbLb1EES1E_EEDaS19_S1A_EUlS19_E_NS1_11comp_targetILNS1_3genE4ELNS1_11target_archE910ELNS1_3gpuE8ELNS1_3repE0EEENS1_30default_config_static_selectorELNS0_4arch9wavefront6targetE1EEEvT1_,"axG",@progbits,_ZN7rocprim17ROCPRIM_400000_NS6detail17trampoline_kernelINS0_14default_configENS1_25partition_config_selectorILNS1_17partition_subalgoE8ElNS0_10empty_typeEbEEZZNS1_14partition_implILS5_8ELb0ES3_jPlPS6_PKS6_NS0_5tupleIJS9_S6_EEENSD_IJSA_SA_EEENS0_18inequality_wrapperIZN2at6native12_GLOBAL__N_124unique_dim_cuda_templateIN3c104HalfEEESt5tupleIJNSH_6TensorESO_SO_EERKSO_lbbbEUlllE0_EEPmJS6_EEE10hipError_tPvRmT3_T4_T5_T6_T7_T9_mT8_P12ihipStream_tbDpT10_ENKUlT_T0_E_clISt17integral_constantIbLb1EES1E_EEDaS19_S1A_EUlS19_E_NS1_11comp_targetILNS1_3genE4ELNS1_11target_archE910ELNS1_3gpuE8ELNS1_3repE0EEENS1_30default_config_static_selectorELNS0_4arch9wavefront6targetE1EEEvT1_,comdat
	.globl	_ZN7rocprim17ROCPRIM_400000_NS6detail17trampoline_kernelINS0_14default_configENS1_25partition_config_selectorILNS1_17partition_subalgoE8ElNS0_10empty_typeEbEEZZNS1_14partition_implILS5_8ELb0ES3_jPlPS6_PKS6_NS0_5tupleIJS9_S6_EEENSD_IJSA_SA_EEENS0_18inequality_wrapperIZN2at6native12_GLOBAL__N_124unique_dim_cuda_templateIN3c104HalfEEESt5tupleIJNSH_6TensorESO_SO_EERKSO_lbbbEUlllE0_EEPmJS6_EEE10hipError_tPvRmT3_T4_T5_T6_T7_T9_mT8_P12ihipStream_tbDpT10_ENKUlT_T0_E_clISt17integral_constantIbLb1EES1E_EEDaS19_S1A_EUlS19_E_NS1_11comp_targetILNS1_3genE4ELNS1_11target_archE910ELNS1_3gpuE8ELNS1_3repE0EEENS1_30default_config_static_selectorELNS0_4arch9wavefront6targetE1EEEvT1_ ; -- Begin function _ZN7rocprim17ROCPRIM_400000_NS6detail17trampoline_kernelINS0_14default_configENS1_25partition_config_selectorILNS1_17partition_subalgoE8ElNS0_10empty_typeEbEEZZNS1_14partition_implILS5_8ELb0ES3_jPlPS6_PKS6_NS0_5tupleIJS9_S6_EEENSD_IJSA_SA_EEENS0_18inequality_wrapperIZN2at6native12_GLOBAL__N_124unique_dim_cuda_templateIN3c104HalfEEESt5tupleIJNSH_6TensorESO_SO_EERKSO_lbbbEUlllE0_EEPmJS6_EEE10hipError_tPvRmT3_T4_T5_T6_T7_T9_mT8_P12ihipStream_tbDpT10_ENKUlT_T0_E_clISt17integral_constantIbLb1EES1E_EEDaS19_S1A_EUlS19_E_NS1_11comp_targetILNS1_3genE4ELNS1_11target_archE910ELNS1_3gpuE8ELNS1_3repE0EEENS1_30default_config_static_selectorELNS0_4arch9wavefront6targetE1EEEvT1_
	.p2align	8
	.type	_ZN7rocprim17ROCPRIM_400000_NS6detail17trampoline_kernelINS0_14default_configENS1_25partition_config_selectorILNS1_17partition_subalgoE8ElNS0_10empty_typeEbEEZZNS1_14partition_implILS5_8ELb0ES3_jPlPS6_PKS6_NS0_5tupleIJS9_S6_EEENSD_IJSA_SA_EEENS0_18inequality_wrapperIZN2at6native12_GLOBAL__N_124unique_dim_cuda_templateIN3c104HalfEEESt5tupleIJNSH_6TensorESO_SO_EERKSO_lbbbEUlllE0_EEPmJS6_EEE10hipError_tPvRmT3_T4_T5_T6_T7_T9_mT8_P12ihipStream_tbDpT10_ENKUlT_T0_E_clISt17integral_constantIbLb1EES1E_EEDaS19_S1A_EUlS19_E_NS1_11comp_targetILNS1_3genE4ELNS1_11target_archE910ELNS1_3gpuE8ELNS1_3repE0EEENS1_30default_config_static_selectorELNS0_4arch9wavefront6targetE1EEEvT1_,@function
_ZN7rocprim17ROCPRIM_400000_NS6detail17trampoline_kernelINS0_14default_configENS1_25partition_config_selectorILNS1_17partition_subalgoE8ElNS0_10empty_typeEbEEZZNS1_14partition_implILS5_8ELb0ES3_jPlPS6_PKS6_NS0_5tupleIJS9_S6_EEENSD_IJSA_SA_EEENS0_18inequality_wrapperIZN2at6native12_GLOBAL__N_124unique_dim_cuda_templateIN3c104HalfEEESt5tupleIJNSH_6TensorESO_SO_EERKSO_lbbbEUlllE0_EEPmJS6_EEE10hipError_tPvRmT3_T4_T5_T6_T7_T9_mT8_P12ihipStream_tbDpT10_ENKUlT_T0_E_clISt17integral_constantIbLb1EES1E_EEDaS19_S1A_EUlS19_E_NS1_11comp_targetILNS1_3genE4ELNS1_11target_archE910ELNS1_3gpuE8ELNS1_3repE0EEENS1_30default_config_static_selectorELNS0_4arch9wavefront6targetE1EEEvT1_: ; @_ZN7rocprim17ROCPRIM_400000_NS6detail17trampoline_kernelINS0_14default_configENS1_25partition_config_selectorILNS1_17partition_subalgoE8ElNS0_10empty_typeEbEEZZNS1_14partition_implILS5_8ELb0ES3_jPlPS6_PKS6_NS0_5tupleIJS9_S6_EEENSD_IJSA_SA_EEENS0_18inequality_wrapperIZN2at6native12_GLOBAL__N_124unique_dim_cuda_templateIN3c104HalfEEESt5tupleIJNSH_6TensorESO_SO_EERKSO_lbbbEUlllE0_EEPmJS6_EEE10hipError_tPvRmT3_T4_T5_T6_T7_T9_mT8_P12ihipStream_tbDpT10_ENKUlT_T0_E_clISt17integral_constantIbLb1EES1E_EEDaS19_S1A_EUlS19_E_NS1_11comp_targetILNS1_3genE4ELNS1_11target_archE910ELNS1_3gpuE8ELNS1_3repE0EEENS1_30default_config_static_selectorELNS0_4arch9wavefront6targetE1EEEvT1_
; %bb.0:
	.section	.rodata,"a",@progbits
	.p2align	6, 0x0
	.amdhsa_kernel _ZN7rocprim17ROCPRIM_400000_NS6detail17trampoline_kernelINS0_14default_configENS1_25partition_config_selectorILNS1_17partition_subalgoE8ElNS0_10empty_typeEbEEZZNS1_14partition_implILS5_8ELb0ES3_jPlPS6_PKS6_NS0_5tupleIJS9_S6_EEENSD_IJSA_SA_EEENS0_18inequality_wrapperIZN2at6native12_GLOBAL__N_124unique_dim_cuda_templateIN3c104HalfEEESt5tupleIJNSH_6TensorESO_SO_EERKSO_lbbbEUlllE0_EEPmJS6_EEE10hipError_tPvRmT3_T4_T5_T6_T7_T9_mT8_P12ihipStream_tbDpT10_ENKUlT_T0_E_clISt17integral_constantIbLb1EES1E_EEDaS19_S1A_EUlS19_E_NS1_11comp_targetILNS1_3genE4ELNS1_11target_archE910ELNS1_3gpuE8ELNS1_3repE0EEENS1_30default_config_static_selectorELNS0_4arch9wavefront6targetE1EEEvT1_
		.amdhsa_group_segment_fixed_size 0
		.amdhsa_private_segment_fixed_size 0
		.amdhsa_kernarg_size 136
		.amdhsa_user_sgpr_count 2
		.amdhsa_user_sgpr_dispatch_ptr 0
		.amdhsa_user_sgpr_queue_ptr 0
		.amdhsa_user_sgpr_kernarg_segment_ptr 1
		.amdhsa_user_sgpr_dispatch_id 0
		.amdhsa_user_sgpr_kernarg_preload_length 0
		.amdhsa_user_sgpr_kernarg_preload_offset 0
		.amdhsa_user_sgpr_private_segment_size 0
		.amdhsa_uses_dynamic_stack 0
		.amdhsa_enable_private_segment 0
		.amdhsa_system_sgpr_workgroup_id_x 1
		.amdhsa_system_sgpr_workgroup_id_y 0
		.amdhsa_system_sgpr_workgroup_id_z 0
		.amdhsa_system_sgpr_workgroup_info 0
		.amdhsa_system_vgpr_workitem_id 0
		.amdhsa_next_free_vgpr 1
		.amdhsa_next_free_sgpr 0
		.amdhsa_accum_offset 4
		.amdhsa_reserve_vcc 0
		.amdhsa_float_round_mode_32 0
		.amdhsa_float_round_mode_16_64 0
		.amdhsa_float_denorm_mode_32 3
		.amdhsa_float_denorm_mode_16_64 3
		.amdhsa_dx10_clamp 1
		.amdhsa_ieee_mode 1
		.amdhsa_fp16_overflow 0
		.amdhsa_tg_split 0
		.amdhsa_exception_fp_ieee_invalid_op 0
		.amdhsa_exception_fp_denorm_src 0
		.amdhsa_exception_fp_ieee_div_zero 0
		.amdhsa_exception_fp_ieee_overflow 0
		.amdhsa_exception_fp_ieee_underflow 0
		.amdhsa_exception_fp_ieee_inexact 0
		.amdhsa_exception_int_div_zero 0
	.end_amdhsa_kernel
	.section	.text._ZN7rocprim17ROCPRIM_400000_NS6detail17trampoline_kernelINS0_14default_configENS1_25partition_config_selectorILNS1_17partition_subalgoE8ElNS0_10empty_typeEbEEZZNS1_14partition_implILS5_8ELb0ES3_jPlPS6_PKS6_NS0_5tupleIJS9_S6_EEENSD_IJSA_SA_EEENS0_18inequality_wrapperIZN2at6native12_GLOBAL__N_124unique_dim_cuda_templateIN3c104HalfEEESt5tupleIJNSH_6TensorESO_SO_EERKSO_lbbbEUlllE0_EEPmJS6_EEE10hipError_tPvRmT3_T4_T5_T6_T7_T9_mT8_P12ihipStream_tbDpT10_ENKUlT_T0_E_clISt17integral_constantIbLb1EES1E_EEDaS19_S1A_EUlS19_E_NS1_11comp_targetILNS1_3genE4ELNS1_11target_archE910ELNS1_3gpuE8ELNS1_3repE0EEENS1_30default_config_static_selectorELNS0_4arch9wavefront6targetE1EEEvT1_,"axG",@progbits,_ZN7rocprim17ROCPRIM_400000_NS6detail17trampoline_kernelINS0_14default_configENS1_25partition_config_selectorILNS1_17partition_subalgoE8ElNS0_10empty_typeEbEEZZNS1_14partition_implILS5_8ELb0ES3_jPlPS6_PKS6_NS0_5tupleIJS9_S6_EEENSD_IJSA_SA_EEENS0_18inequality_wrapperIZN2at6native12_GLOBAL__N_124unique_dim_cuda_templateIN3c104HalfEEESt5tupleIJNSH_6TensorESO_SO_EERKSO_lbbbEUlllE0_EEPmJS6_EEE10hipError_tPvRmT3_T4_T5_T6_T7_T9_mT8_P12ihipStream_tbDpT10_ENKUlT_T0_E_clISt17integral_constantIbLb1EES1E_EEDaS19_S1A_EUlS19_E_NS1_11comp_targetILNS1_3genE4ELNS1_11target_archE910ELNS1_3gpuE8ELNS1_3repE0EEENS1_30default_config_static_selectorELNS0_4arch9wavefront6targetE1EEEvT1_,comdat
.Lfunc_end1307:
	.size	_ZN7rocprim17ROCPRIM_400000_NS6detail17trampoline_kernelINS0_14default_configENS1_25partition_config_selectorILNS1_17partition_subalgoE8ElNS0_10empty_typeEbEEZZNS1_14partition_implILS5_8ELb0ES3_jPlPS6_PKS6_NS0_5tupleIJS9_S6_EEENSD_IJSA_SA_EEENS0_18inequality_wrapperIZN2at6native12_GLOBAL__N_124unique_dim_cuda_templateIN3c104HalfEEESt5tupleIJNSH_6TensorESO_SO_EERKSO_lbbbEUlllE0_EEPmJS6_EEE10hipError_tPvRmT3_T4_T5_T6_T7_T9_mT8_P12ihipStream_tbDpT10_ENKUlT_T0_E_clISt17integral_constantIbLb1EES1E_EEDaS19_S1A_EUlS19_E_NS1_11comp_targetILNS1_3genE4ELNS1_11target_archE910ELNS1_3gpuE8ELNS1_3repE0EEENS1_30default_config_static_selectorELNS0_4arch9wavefront6targetE1EEEvT1_, .Lfunc_end1307-_ZN7rocprim17ROCPRIM_400000_NS6detail17trampoline_kernelINS0_14default_configENS1_25partition_config_selectorILNS1_17partition_subalgoE8ElNS0_10empty_typeEbEEZZNS1_14partition_implILS5_8ELb0ES3_jPlPS6_PKS6_NS0_5tupleIJS9_S6_EEENSD_IJSA_SA_EEENS0_18inequality_wrapperIZN2at6native12_GLOBAL__N_124unique_dim_cuda_templateIN3c104HalfEEESt5tupleIJNSH_6TensorESO_SO_EERKSO_lbbbEUlllE0_EEPmJS6_EEE10hipError_tPvRmT3_T4_T5_T6_T7_T9_mT8_P12ihipStream_tbDpT10_ENKUlT_T0_E_clISt17integral_constantIbLb1EES1E_EEDaS19_S1A_EUlS19_E_NS1_11comp_targetILNS1_3genE4ELNS1_11target_archE910ELNS1_3gpuE8ELNS1_3repE0EEENS1_30default_config_static_selectorELNS0_4arch9wavefront6targetE1EEEvT1_
                                        ; -- End function
	.set _ZN7rocprim17ROCPRIM_400000_NS6detail17trampoline_kernelINS0_14default_configENS1_25partition_config_selectorILNS1_17partition_subalgoE8ElNS0_10empty_typeEbEEZZNS1_14partition_implILS5_8ELb0ES3_jPlPS6_PKS6_NS0_5tupleIJS9_S6_EEENSD_IJSA_SA_EEENS0_18inequality_wrapperIZN2at6native12_GLOBAL__N_124unique_dim_cuda_templateIN3c104HalfEEESt5tupleIJNSH_6TensorESO_SO_EERKSO_lbbbEUlllE0_EEPmJS6_EEE10hipError_tPvRmT3_T4_T5_T6_T7_T9_mT8_P12ihipStream_tbDpT10_ENKUlT_T0_E_clISt17integral_constantIbLb1EES1E_EEDaS19_S1A_EUlS19_E_NS1_11comp_targetILNS1_3genE4ELNS1_11target_archE910ELNS1_3gpuE8ELNS1_3repE0EEENS1_30default_config_static_selectorELNS0_4arch9wavefront6targetE1EEEvT1_.num_vgpr, 0
	.set _ZN7rocprim17ROCPRIM_400000_NS6detail17trampoline_kernelINS0_14default_configENS1_25partition_config_selectorILNS1_17partition_subalgoE8ElNS0_10empty_typeEbEEZZNS1_14partition_implILS5_8ELb0ES3_jPlPS6_PKS6_NS0_5tupleIJS9_S6_EEENSD_IJSA_SA_EEENS0_18inequality_wrapperIZN2at6native12_GLOBAL__N_124unique_dim_cuda_templateIN3c104HalfEEESt5tupleIJNSH_6TensorESO_SO_EERKSO_lbbbEUlllE0_EEPmJS6_EEE10hipError_tPvRmT3_T4_T5_T6_T7_T9_mT8_P12ihipStream_tbDpT10_ENKUlT_T0_E_clISt17integral_constantIbLb1EES1E_EEDaS19_S1A_EUlS19_E_NS1_11comp_targetILNS1_3genE4ELNS1_11target_archE910ELNS1_3gpuE8ELNS1_3repE0EEENS1_30default_config_static_selectorELNS0_4arch9wavefront6targetE1EEEvT1_.num_agpr, 0
	.set _ZN7rocprim17ROCPRIM_400000_NS6detail17trampoline_kernelINS0_14default_configENS1_25partition_config_selectorILNS1_17partition_subalgoE8ElNS0_10empty_typeEbEEZZNS1_14partition_implILS5_8ELb0ES3_jPlPS6_PKS6_NS0_5tupleIJS9_S6_EEENSD_IJSA_SA_EEENS0_18inequality_wrapperIZN2at6native12_GLOBAL__N_124unique_dim_cuda_templateIN3c104HalfEEESt5tupleIJNSH_6TensorESO_SO_EERKSO_lbbbEUlllE0_EEPmJS6_EEE10hipError_tPvRmT3_T4_T5_T6_T7_T9_mT8_P12ihipStream_tbDpT10_ENKUlT_T0_E_clISt17integral_constantIbLb1EES1E_EEDaS19_S1A_EUlS19_E_NS1_11comp_targetILNS1_3genE4ELNS1_11target_archE910ELNS1_3gpuE8ELNS1_3repE0EEENS1_30default_config_static_selectorELNS0_4arch9wavefront6targetE1EEEvT1_.numbered_sgpr, 0
	.set _ZN7rocprim17ROCPRIM_400000_NS6detail17trampoline_kernelINS0_14default_configENS1_25partition_config_selectorILNS1_17partition_subalgoE8ElNS0_10empty_typeEbEEZZNS1_14partition_implILS5_8ELb0ES3_jPlPS6_PKS6_NS0_5tupleIJS9_S6_EEENSD_IJSA_SA_EEENS0_18inequality_wrapperIZN2at6native12_GLOBAL__N_124unique_dim_cuda_templateIN3c104HalfEEESt5tupleIJNSH_6TensorESO_SO_EERKSO_lbbbEUlllE0_EEPmJS6_EEE10hipError_tPvRmT3_T4_T5_T6_T7_T9_mT8_P12ihipStream_tbDpT10_ENKUlT_T0_E_clISt17integral_constantIbLb1EES1E_EEDaS19_S1A_EUlS19_E_NS1_11comp_targetILNS1_3genE4ELNS1_11target_archE910ELNS1_3gpuE8ELNS1_3repE0EEENS1_30default_config_static_selectorELNS0_4arch9wavefront6targetE1EEEvT1_.num_named_barrier, 0
	.set _ZN7rocprim17ROCPRIM_400000_NS6detail17trampoline_kernelINS0_14default_configENS1_25partition_config_selectorILNS1_17partition_subalgoE8ElNS0_10empty_typeEbEEZZNS1_14partition_implILS5_8ELb0ES3_jPlPS6_PKS6_NS0_5tupleIJS9_S6_EEENSD_IJSA_SA_EEENS0_18inequality_wrapperIZN2at6native12_GLOBAL__N_124unique_dim_cuda_templateIN3c104HalfEEESt5tupleIJNSH_6TensorESO_SO_EERKSO_lbbbEUlllE0_EEPmJS6_EEE10hipError_tPvRmT3_T4_T5_T6_T7_T9_mT8_P12ihipStream_tbDpT10_ENKUlT_T0_E_clISt17integral_constantIbLb1EES1E_EEDaS19_S1A_EUlS19_E_NS1_11comp_targetILNS1_3genE4ELNS1_11target_archE910ELNS1_3gpuE8ELNS1_3repE0EEENS1_30default_config_static_selectorELNS0_4arch9wavefront6targetE1EEEvT1_.private_seg_size, 0
	.set _ZN7rocprim17ROCPRIM_400000_NS6detail17trampoline_kernelINS0_14default_configENS1_25partition_config_selectorILNS1_17partition_subalgoE8ElNS0_10empty_typeEbEEZZNS1_14partition_implILS5_8ELb0ES3_jPlPS6_PKS6_NS0_5tupleIJS9_S6_EEENSD_IJSA_SA_EEENS0_18inequality_wrapperIZN2at6native12_GLOBAL__N_124unique_dim_cuda_templateIN3c104HalfEEESt5tupleIJNSH_6TensorESO_SO_EERKSO_lbbbEUlllE0_EEPmJS6_EEE10hipError_tPvRmT3_T4_T5_T6_T7_T9_mT8_P12ihipStream_tbDpT10_ENKUlT_T0_E_clISt17integral_constantIbLb1EES1E_EEDaS19_S1A_EUlS19_E_NS1_11comp_targetILNS1_3genE4ELNS1_11target_archE910ELNS1_3gpuE8ELNS1_3repE0EEENS1_30default_config_static_selectorELNS0_4arch9wavefront6targetE1EEEvT1_.uses_vcc, 0
	.set _ZN7rocprim17ROCPRIM_400000_NS6detail17trampoline_kernelINS0_14default_configENS1_25partition_config_selectorILNS1_17partition_subalgoE8ElNS0_10empty_typeEbEEZZNS1_14partition_implILS5_8ELb0ES3_jPlPS6_PKS6_NS0_5tupleIJS9_S6_EEENSD_IJSA_SA_EEENS0_18inequality_wrapperIZN2at6native12_GLOBAL__N_124unique_dim_cuda_templateIN3c104HalfEEESt5tupleIJNSH_6TensorESO_SO_EERKSO_lbbbEUlllE0_EEPmJS6_EEE10hipError_tPvRmT3_T4_T5_T6_T7_T9_mT8_P12ihipStream_tbDpT10_ENKUlT_T0_E_clISt17integral_constantIbLb1EES1E_EEDaS19_S1A_EUlS19_E_NS1_11comp_targetILNS1_3genE4ELNS1_11target_archE910ELNS1_3gpuE8ELNS1_3repE0EEENS1_30default_config_static_selectorELNS0_4arch9wavefront6targetE1EEEvT1_.uses_flat_scratch, 0
	.set _ZN7rocprim17ROCPRIM_400000_NS6detail17trampoline_kernelINS0_14default_configENS1_25partition_config_selectorILNS1_17partition_subalgoE8ElNS0_10empty_typeEbEEZZNS1_14partition_implILS5_8ELb0ES3_jPlPS6_PKS6_NS0_5tupleIJS9_S6_EEENSD_IJSA_SA_EEENS0_18inequality_wrapperIZN2at6native12_GLOBAL__N_124unique_dim_cuda_templateIN3c104HalfEEESt5tupleIJNSH_6TensorESO_SO_EERKSO_lbbbEUlllE0_EEPmJS6_EEE10hipError_tPvRmT3_T4_T5_T6_T7_T9_mT8_P12ihipStream_tbDpT10_ENKUlT_T0_E_clISt17integral_constantIbLb1EES1E_EEDaS19_S1A_EUlS19_E_NS1_11comp_targetILNS1_3genE4ELNS1_11target_archE910ELNS1_3gpuE8ELNS1_3repE0EEENS1_30default_config_static_selectorELNS0_4arch9wavefront6targetE1EEEvT1_.has_dyn_sized_stack, 0
	.set _ZN7rocprim17ROCPRIM_400000_NS6detail17trampoline_kernelINS0_14default_configENS1_25partition_config_selectorILNS1_17partition_subalgoE8ElNS0_10empty_typeEbEEZZNS1_14partition_implILS5_8ELb0ES3_jPlPS6_PKS6_NS0_5tupleIJS9_S6_EEENSD_IJSA_SA_EEENS0_18inequality_wrapperIZN2at6native12_GLOBAL__N_124unique_dim_cuda_templateIN3c104HalfEEESt5tupleIJNSH_6TensorESO_SO_EERKSO_lbbbEUlllE0_EEPmJS6_EEE10hipError_tPvRmT3_T4_T5_T6_T7_T9_mT8_P12ihipStream_tbDpT10_ENKUlT_T0_E_clISt17integral_constantIbLb1EES1E_EEDaS19_S1A_EUlS19_E_NS1_11comp_targetILNS1_3genE4ELNS1_11target_archE910ELNS1_3gpuE8ELNS1_3repE0EEENS1_30default_config_static_selectorELNS0_4arch9wavefront6targetE1EEEvT1_.has_recursion, 0
	.set _ZN7rocprim17ROCPRIM_400000_NS6detail17trampoline_kernelINS0_14default_configENS1_25partition_config_selectorILNS1_17partition_subalgoE8ElNS0_10empty_typeEbEEZZNS1_14partition_implILS5_8ELb0ES3_jPlPS6_PKS6_NS0_5tupleIJS9_S6_EEENSD_IJSA_SA_EEENS0_18inequality_wrapperIZN2at6native12_GLOBAL__N_124unique_dim_cuda_templateIN3c104HalfEEESt5tupleIJNSH_6TensorESO_SO_EERKSO_lbbbEUlllE0_EEPmJS6_EEE10hipError_tPvRmT3_T4_T5_T6_T7_T9_mT8_P12ihipStream_tbDpT10_ENKUlT_T0_E_clISt17integral_constantIbLb1EES1E_EEDaS19_S1A_EUlS19_E_NS1_11comp_targetILNS1_3genE4ELNS1_11target_archE910ELNS1_3gpuE8ELNS1_3repE0EEENS1_30default_config_static_selectorELNS0_4arch9wavefront6targetE1EEEvT1_.has_indirect_call, 0
	.section	.AMDGPU.csdata,"",@progbits
; Kernel info:
; codeLenInByte = 0
; TotalNumSgprs: 6
; NumVgprs: 0
; NumAgprs: 0
; TotalNumVgprs: 0
; ScratchSize: 0
; MemoryBound: 0
; FloatMode: 240
; IeeeMode: 1
; LDSByteSize: 0 bytes/workgroup (compile time only)
; SGPRBlocks: 0
; VGPRBlocks: 0
; NumSGPRsForWavesPerEU: 6
; NumVGPRsForWavesPerEU: 1
; AccumOffset: 4
; Occupancy: 8
; WaveLimiterHint : 0
; COMPUTE_PGM_RSRC2:SCRATCH_EN: 0
; COMPUTE_PGM_RSRC2:USER_SGPR: 2
; COMPUTE_PGM_RSRC2:TRAP_HANDLER: 0
; COMPUTE_PGM_RSRC2:TGID_X_EN: 1
; COMPUTE_PGM_RSRC2:TGID_Y_EN: 0
; COMPUTE_PGM_RSRC2:TGID_Z_EN: 0
; COMPUTE_PGM_RSRC2:TIDIG_COMP_CNT: 0
; COMPUTE_PGM_RSRC3_GFX90A:ACCUM_OFFSET: 0
; COMPUTE_PGM_RSRC3_GFX90A:TG_SPLIT: 0
	.section	.text._ZN7rocprim17ROCPRIM_400000_NS6detail17trampoline_kernelINS0_14default_configENS1_25partition_config_selectorILNS1_17partition_subalgoE8ElNS0_10empty_typeEbEEZZNS1_14partition_implILS5_8ELb0ES3_jPlPS6_PKS6_NS0_5tupleIJS9_S6_EEENSD_IJSA_SA_EEENS0_18inequality_wrapperIZN2at6native12_GLOBAL__N_124unique_dim_cuda_templateIN3c104HalfEEESt5tupleIJNSH_6TensorESO_SO_EERKSO_lbbbEUlllE0_EEPmJS6_EEE10hipError_tPvRmT3_T4_T5_T6_T7_T9_mT8_P12ihipStream_tbDpT10_ENKUlT_T0_E_clISt17integral_constantIbLb1EES1E_EEDaS19_S1A_EUlS19_E_NS1_11comp_targetILNS1_3genE3ELNS1_11target_archE908ELNS1_3gpuE7ELNS1_3repE0EEENS1_30default_config_static_selectorELNS0_4arch9wavefront6targetE1EEEvT1_,"axG",@progbits,_ZN7rocprim17ROCPRIM_400000_NS6detail17trampoline_kernelINS0_14default_configENS1_25partition_config_selectorILNS1_17partition_subalgoE8ElNS0_10empty_typeEbEEZZNS1_14partition_implILS5_8ELb0ES3_jPlPS6_PKS6_NS0_5tupleIJS9_S6_EEENSD_IJSA_SA_EEENS0_18inequality_wrapperIZN2at6native12_GLOBAL__N_124unique_dim_cuda_templateIN3c104HalfEEESt5tupleIJNSH_6TensorESO_SO_EERKSO_lbbbEUlllE0_EEPmJS6_EEE10hipError_tPvRmT3_T4_T5_T6_T7_T9_mT8_P12ihipStream_tbDpT10_ENKUlT_T0_E_clISt17integral_constantIbLb1EES1E_EEDaS19_S1A_EUlS19_E_NS1_11comp_targetILNS1_3genE3ELNS1_11target_archE908ELNS1_3gpuE7ELNS1_3repE0EEENS1_30default_config_static_selectorELNS0_4arch9wavefront6targetE1EEEvT1_,comdat
	.globl	_ZN7rocprim17ROCPRIM_400000_NS6detail17trampoline_kernelINS0_14default_configENS1_25partition_config_selectorILNS1_17partition_subalgoE8ElNS0_10empty_typeEbEEZZNS1_14partition_implILS5_8ELb0ES3_jPlPS6_PKS6_NS0_5tupleIJS9_S6_EEENSD_IJSA_SA_EEENS0_18inequality_wrapperIZN2at6native12_GLOBAL__N_124unique_dim_cuda_templateIN3c104HalfEEESt5tupleIJNSH_6TensorESO_SO_EERKSO_lbbbEUlllE0_EEPmJS6_EEE10hipError_tPvRmT3_T4_T5_T6_T7_T9_mT8_P12ihipStream_tbDpT10_ENKUlT_T0_E_clISt17integral_constantIbLb1EES1E_EEDaS19_S1A_EUlS19_E_NS1_11comp_targetILNS1_3genE3ELNS1_11target_archE908ELNS1_3gpuE7ELNS1_3repE0EEENS1_30default_config_static_selectorELNS0_4arch9wavefront6targetE1EEEvT1_ ; -- Begin function _ZN7rocprim17ROCPRIM_400000_NS6detail17trampoline_kernelINS0_14default_configENS1_25partition_config_selectorILNS1_17partition_subalgoE8ElNS0_10empty_typeEbEEZZNS1_14partition_implILS5_8ELb0ES3_jPlPS6_PKS6_NS0_5tupleIJS9_S6_EEENSD_IJSA_SA_EEENS0_18inequality_wrapperIZN2at6native12_GLOBAL__N_124unique_dim_cuda_templateIN3c104HalfEEESt5tupleIJNSH_6TensorESO_SO_EERKSO_lbbbEUlllE0_EEPmJS6_EEE10hipError_tPvRmT3_T4_T5_T6_T7_T9_mT8_P12ihipStream_tbDpT10_ENKUlT_T0_E_clISt17integral_constantIbLb1EES1E_EEDaS19_S1A_EUlS19_E_NS1_11comp_targetILNS1_3genE3ELNS1_11target_archE908ELNS1_3gpuE7ELNS1_3repE0EEENS1_30default_config_static_selectorELNS0_4arch9wavefront6targetE1EEEvT1_
	.p2align	8
	.type	_ZN7rocprim17ROCPRIM_400000_NS6detail17trampoline_kernelINS0_14default_configENS1_25partition_config_selectorILNS1_17partition_subalgoE8ElNS0_10empty_typeEbEEZZNS1_14partition_implILS5_8ELb0ES3_jPlPS6_PKS6_NS0_5tupleIJS9_S6_EEENSD_IJSA_SA_EEENS0_18inequality_wrapperIZN2at6native12_GLOBAL__N_124unique_dim_cuda_templateIN3c104HalfEEESt5tupleIJNSH_6TensorESO_SO_EERKSO_lbbbEUlllE0_EEPmJS6_EEE10hipError_tPvRmT3_T4_T5_T6_T7_T9_mT8_P12ihipStream_tbDpT10_ENKUlT_T0_E_clISt17integral_constantIbLb1EES1E_EEDaS19_S1A_EUlS19_E_NS1_11comp_targetILNS1_3genE3ELNS1_11target_archE908ELNS1_3gpuE7ELNS1_3repE0EEENS1_30default_config_static_selectorELNS0_4arch9wavefront6targetE1EEEvT1_,@function
_ZN7rocprim17ROCPRIM_400000_NS6detail17trampoline_kernelINS0_14default_configENS1_25partition_config_selectorILNS1_17partition_subalgoE8ElNS0_10empty_typeEbEEZZNS1_14partition_implILS5_8ELb0ES3_jPlPS6_PKS6_NS0_5tupleIJS9_S6_EEENSD_IJSA_SA_EEENS0_18inequality_wrapperIZN2at6native12_GLOBAL__N_124unique_dim_cuda_templateIN3c104HalfEEESt5tupleIJNSH_6TensorESO_SO_EERKSO_lbbbEUlllE0_EEPmJS6_EEE10hipError_tPvRmT3_T4_T5_T6_T7_T9_mT8_P12ihipStream_tbDpT10_ENKUlT_T0_E_clISt17integral_constantIbLb1EES1E_EEDaS19_S1A_EUlS19_E_NS1_11comp_targetILNS1_3genE3ELNS1_11target_archE908ELNS1_3gpuE7ELNS1_3repE0EEENS1_30default_config_static_selectorELNS0_4arch9wavefront6targetE1EEEvT1_: ; @_ZN7rocprim17ROCPRIM_400000_NS6detail17trampoline_kernelINS0_14default_configENS1_25partition_config_selectorILNS1_17partition_subalgoE8ElNS0_10empty_typeEbEEZZNS1_14partition_implILS5_8ELb0ES3_jPlPS6_PKS6_NS0_5tupleIJS9_S6_EEENSD_IJSA_SA_EEENS0_18inequality_wrapperIZN2at6native12_GLOBAL__N_124unique_dim_cuda_templateIN3c104HalfEEESt5tupleIJNSH_6TensorESO_SO_EERKSO_lbbbEUlllE0_EEPmJS6_EEE10hipError_tPvRmT3_T4_T5_T6_T7_T9_mT8_P12ihipStream_tbDpT10_ENKUlT_T0_E_clISt17integral_constantIbLb1EES1E_EEDaS19_S1A_EUlS19_E_NS1_11comp_targetILNS1_3genE3ELNS1_11target_archE908ELNS1_3gpuE7ELNS1_3repE0EEENS1_30default_config_static_selectorELNS0_4arch9wavefront6targetE1EEEvT1_
; %bb.0:
	.section	.rodata,"a",@progbits
	.p2align	6, 0x0
	.amdhsa_kernel _ZN7rocprim17ROCPRIM_400000_NS6detail17trampoline_kernelINS0_14default_configENS1_25partition_config_selectorILNS1_17partition_subalgoE8ElNS0_10empty_typeEbEEZZNS1_14partition_implILS5_8ELb0ES3_jPlPS6_PKS6_NS0_5tupleIJS9_S6_EEENSD_IJSA_SA_EEENS0_18inequality_wrapperIZN2at6native12_GLOBAL__N_124unique_dim_cuda_templateIN3c104HalfEEESt5tupleIJNSH_6TensorESO_SO_EERKSO_lbbbEUlllE0_EEPmJS6_EEE10hipError_tPvRmT3_T4_T5_T6_T7_T9_mT8_P12ihipStream_tbDpT10_ENKUlT_T0_E_clISt17integral_constantIbLb1EES1E_EEDaS19_S1A_EUlS19_E_NS1_11comp_targetILNS1_3genE3ELNS1_11target_archE908ELNS1_3gpuE7ELNS1_3repE0EEENS1_30default_config_static_selectorELNS0_4arch9wavefront6targetE1EEEvT1_
		.amdhsa_group_segment_fixed_size 0
		.amdhsa_private_segment_fixed_size 0
		.amdhsa_kernarg_size 136
		.amdhsa_user_sgpr_count 2
		.amdhsa_user_sgpr_dispatch_ptr 0
		.amdhsa_user_sgpr_queue_ptr 0
		.amdhsa_user_sgpr_kernarg_segment_ptr 1
		.amdhsa_user_sgpr_dispatch_id 0
		.amdhsa_user_sgpr_kernarg_preload_length 0
		.amdhsa_user_sgpr_kernarg_preload_offset 0
		.amdhsa_user_sgpr_private_segment_size 0
		.amdhsa_uses_dynamic_stack 0
		.amdhsa_enable_private_segment 0
		.amdhsa_system_sgpr_workgroup_id_x 1
		.amdhsa_system_sgpr_workgroup_id_y 0
		.amdhsa_system_sgpr_workgroup_id_z 0
		.amdhsa_system_sgpr_workgroup_info 0
		.amdhsa_system_vgpr_workitem_id 0
		.amdhsa_next_free_vgpr 1
		.amdhsa_next_free_sgpr 0
		.amdhsa_accum_offset 4
		.amdhsa_reserve_vcc 0
		.amdhsa_float_round_mode_32 0
		.amdhsa_float_round_mode_16_64 0
		.amdhsa_float_denorm_mode_32 3
		.amdhsa_float_denorm_mode_16_64 3
		.amdhsa_dx10_clamp 1
		.amdhsa_ieee_mode 1
		.amdhsa_fp16_overflow 0
		.amdhsa_tg_split 0
		.amdhsa_exception_fp_ieee_invalid_op 0
		.amdhsa_exception_fp_denorm_src 0
		.amdhsa_exception_fp_ieee_div_zero 0
		.amdhsa_exception_fp_ieee_overflow 0
		.amdhsa_exception_fp_ieee_underflow 0
		.amdhsa_exception_fp_ieee_inexact 0
		.amdhsa_exception_int_div_zero 0
	.end_amdhsa_kernel
	.section	.text._ZN7rocprim17ROCPRIM_400000_NS6detail17trampoline_kernelINS0_14default_configENS1_25partition_config_selectorILNS1_17partition_subalgoE8ElNS0_10empty_typeEbEEZZNS1_14partition_implILS5_8ELb0ES3_jPlPS6_PKS6_NS0_5tupleIJS9_S6_EEENSD_IJSA_SA_EEENS0_18inequality_wrapperIZN2at6native12_GLOBAL__N_124unique_dim_cuda_templateIN3c104HalfEEESt5tupleIJNSH_6TensorESO_SO_EERKSO_lbbbEUlllE0_EEPmJS6_EEE10hipError_tPvRmT3_T4_T5_T6_T7_T9_mT8_P12ihipStream_tbDpT10_ENKUlT_T0_E_clISt17integral_constantIbLb1EES1E_EEDaS19_S1A_EUlS19_E_NS1_11comp_targetILNS1_3genE3ELNS1_11target_archE908ELNS1_3gpuE7ELNS1_3repE0EEENS1_30default_config_static_selectorELNS0_4arch9wavefront6targetE1EEEvT1_,"axG",@progbits,_ZN7rocprim17ROCPRIM_400000_NS6detail17trampoline_kernelINS0_14default_configENS1_25partition_config_selectorILNS1_17partition_subalgoE8ElNS0_10empty_typeEbEEZZNS1_14partition_implILS5_8ELb0ES3_jPlPS6_PKS6_NS0_5tupleIJS9_S6_EEENSD_IJSA_SA_EEENS0_18inequality_wrapperIZN2at6native12_GLOBAL__N_124unique_dim_cuda_templateIN3c104HalfEEESt5tupleIJNSH_6TensorESO_SO_EERKSO_lbbbEUlllE0_EEPmJS6_EEE10hipError_tPvRmT3_T4_T5_T6_T7_T9_mT8_P12ihipStream_tbDpT10_ENKUlT_T0_E_clISt17integral_constantIbLb1EES1E_EEDaS19_S1A_EUlS19_E_NS1_11comp_targetILNS1_3genE3ELNS1_11target_archE908ELNS1_3gpuE7ELNS1_3repE0EEENS1_30default_config_static_selectorELNS0_4arch9wavefront6targetE1EEEvT1_,comdat
.Lfunc_end1308:
	.size	_ZN7rocprim17ROCPRIM_400000_NS6detail17trampoline_kernelINS0_14default_configENS1_25partition_config_selectorILNS1_17partition_subalgoE8ElNS0_10empty_typeEbEEZZNS1_14partition_implILS5_8ELb0ES3_jPlPS6_PKS6_NS0_5tupleIJS9_S6_EEENSD_IJSA_SA_EEENS0_18inequality_wrapperIZN2at6native12_GLOBAL__N_124unique_dim_cuda_templateIN3c104HalfEEESt5tupleIJNSH_6TensorESO_SO_EERKSO_lbbbEUlllE0_EEPmJS6_EEE10hipError_tPvRmT3_T4_T5_T6_T7_T9_mT8_P12ihipStream_tbDpT10_ENKUlT_T0_E_clISt17integral_constantIbLb1EES1E_EEDaS19_S1A_EUlS19_E_NS1_11comp_targetILNS1_3genE3ELNS1_11target_archE908ELNS1_3gpuE7ELNS1_3repE0EEENS1_30default_config_static_selectorELNS0_4arch9wavefront6targetE1EEEvT1_, .Lfunc_end1308-_ZN7rocprim17ROCPRIM_400000_NS6detail17trampoline_kernelINS0_14default_configENS1_25partition_config_selectorILNS1_17partition_subalgoE8ElNS0_10empty_typeEbEEZZNS1_14partition_implILS5_8ELb0ES3_jPlPS6_PKS6_NS0_5tupleIJS9_S6_EEENSD_IJSA_SA_EEENS0_18inequality_wrapperIZN2at6native12_GLOBAL__N_124unique_dim_cuda_templateIN3c104HalfEEESt5tupleIJNSH_6TensorESO_SO_EERKSO_lbbbEUlllE0_EEPmJS6_EEE10hipError_tPvRmT3_T4_T5_T6_T7_T9_mT8_P12ihipStream_tbDpT10_ENKUlT_T0_E_clISt17integral_constantIbLb1EES1E_EEDaS19_S1A_EUlS19_E_NS1_11comp_targetILNS1_3genE3ELNS1_11target_archE908ELNS1_3gpuE7ELNS1_3repE0EEENS1_30default_config_static_selectorELNS0_4arch9wavefront6targetE1EEEvT1_
                                        ; -- End function
	.set _ZN7rocprim17ROCPRIM_400000_NS6detail17trampoline_kernelINS0_14default_configENS1_25partition_config_selectorILNS1_17partition_subalgoE8ElNS0_10empty_typeEbEEZZNS1_14partition_implILS5_8ELb0ES3_jPlPS6_PKS6_NS0_5tupleIJS9_S6_EEENSD_IJSA_SA_EEENS0_18inequality_wrapperIZN2at6native12_GLOBAL__N_124unique_dim_cuda_templateIN3c104HalfEEESt5tupleIJNSH_6TensorESO_SO_EERKSO_lbbbEUlllE0_EEPmJS6_EEE10hipError_tPvRmT3_T4_T5_T6_T7_T9_mT8_P12ihipStream_tbDpT10_ENKUlT_T0_E_clISt17integral_constantIbLb1EES1E_EEDaS19_S1A_EUlS19_E_NS1_11comp_targetILNS1_3genE3ELNS1_11target_archE908ELNS1_3gpuE7ELNS1_3repE0EEENS1_30default_config_static_selectorELNS0_4arch9wavefront6targetE1EEEvT1_.num_vgpr, 0
	.set _ZN7rocprim17ROCPRIM_400000_NS6detail17trampoline_kernelINS0_14default_configENS1_25partition_config_selectorILNS1_17partition_subalgoE8ElNS0_10empty_typeEbEEZZNS1_14partition_implILS5_8ELb0ES3_jPlPS6_PKS6_NS0_5tupleIJS9_S6_EEENSD_IJSA_SA_EEENS0_18inequality_wrapperIZN2at6native12_GLOBAL__N_124unique_dim_cuda_templateIN3c104HalfEEESt5tupleIJNSH_6TensorESO_SO_EERKSO_lbbbEUlllE0_EEPmJS6_EEE10hipError_tPvRmT3_T4_T5_T6_T7_T9_mT8_P12ihipStream_tbDpT10_ENKUlT_T0_E_clISt17integral_constantIbLb1EES1E_EEDaS19_S1A_EUlS19_E_NS1_11comp_targetILNS1_3genE3ELNS1_11target_archE908ELNS1_3gpuE7ELNS1_3repE0EEENS1_30default_config_static_selectorELNS0_4arch9wavefront6targetE1EEEvT1_.num_agpr, 0
	.set _ZN7rocprim17ROCPRIM_400000_NS6detail17trampoline_kernelINS0_14default_configENS1_25partition_config_selectorILNS1_17partition_subalgoE8ElNS0_10empty_typeEbEEZZNS1_14partition_implILS5_8ELb0ES3_jPlPS6_PKS6_NS0_5tupleIJS9_S6_EEENSD_IJSA_SA_EEENS0_18inequality_wrapperIZN2at6native12_GLOBAL__N_124unique_dim_cuda_templateIN3c104HalfEEESt5tupleIJNSH_6TensorESO_SO_EERKSO_lbbbEUlllE0_EEPmJS6_EEE10hipError_tPvRmT3_T4_T5_T6_T7_T9_mT8_P12ihipStream_tbDpT10_ENKUlT_T0_E_clISt17integral_constantIbLb1EES1E_EEDaS19_S1A_EUlS19_E_NS1_11comp_targetILNS1_3genE3ELNS1_11target_archE908ELNS1_3gpuE7ELNS1_3repE0EEENS1_30default_config_static_selectorELNS0_4arch9wavefront6targetE1EEEvT1_.numbered_sgpr, 0
	.set _ZN7rocprim17ROCPRIM_400000_NS6detail17trampoline_kernelINS0_14default_configENS1_25partition_config_selectorILNS1_17partition_subalgoE8ElNS0_10empty_typeEbEEZZNS1_14partition_implILS5_8ELb0ES3_jPlPS6_PKS6_NS0_5tupleIJS9_S6_EEENSD_IJSA_SA_EEENS0_18inequality_wrapperIZN2at6native12_GLOBAL__N_124unique_dim_cuda_templateIN3c104HalfEEESt5tupleIJNSH_6TensorESO_SO_EERKSO_lbbbEUlllE0_EEPmJS6_EEE10hipError_tPvRmT3_T4_T5_T6_T7_T9_mT8_P12ihipStream_tbDpT10_ENKUlT_T0_E_clISt17integral_constantIbLb1EES1E_EEDaS19_S1A_EUlS19_E_NS1_11comp_targetILNS1_3genE3ELNS1_11target_archE908ELNS1_3gpuE7ELNS1_3repE0EEENS1_30default_config_static_selectorELNS0_4arch9wavefront6targetE1EEEvT1_.num_named_barrier, 0
	.set _ZN7rocprim17ROCPRIM_400000_NS6detail17trampoline_kernelINS0_14default_configENS1_25partition_config_selectorILNS1_17partition_subalgoE8ElNS0_10empty_typeEbEEZZNS1_14partition_implILS5_8ELb0ES3_jPlPS6_PKS6_NS0_5tupleIJS9_S6_EEENSD_IJSA_SA_EEENS0_18inequality_wrapperIZN2at6native12_GLOBAL__N_124unique_dim_cuda_templateIN3c104HalfEEESt5tupleIJNSH_6TensorESO_SO_EERKSO_lbbbEUlllE0_EEPmJS6_EEE10hipError_tPvRmT3_T4_T5_T6_T7_T9_mT8_P12ihipStream_tbDpT10_ENKUlT_T0_E_clISt17integral_constantIbLb1EES1E_EEDaS19_S1A_EUlS19_E_NS1_11comp_targetILNS1_3genE3ELNS1_11target_archE908ELNS1_3gpuE7ELNS1_3repE0EEENS1_30default_config_static_selectorELNS0_4arch9wavefront6targetE1EEEvT1_.private_seg_size, 0
	.set _ZN7rocprim17ROCPRIM_400000_NS6detail17trampoline_kernelINS0_14default_configENS1_25partition_config_selectorILNS1_17partition_subalgoE8ElNS0_10empty_typeEbEEZZNS1_14partition_implILS5_8ELb0ES3_jPlPS6_PKS6_NS0_5tupleIJS9_S6_EEENSD_IJSA_SA_EEENS0_18inequality_wrapperIZN2at6native12_GLOBAL__N_124unique_dim_cuda_templateIN3c104HalfEEESt5tupleIJNSH_6TensorESO_SO_EERKSO_lbbbEUlllE0_EEPmJS6_EEE10hipError_tPvRmT3_T4_T5_T6_T7_T9_mT8_P12ihipStream_tbDpT10_ENKUlT_T0_E_clISt17integral_constantIbLb1EES1E_EEDaS19_S1A_EUlS19_E_NS1_11comp_targetILNS1_3genE3ELNS1_11target_archE908ELNS1_3gpuE7ELNS1_3repE0EEENS1_30default_config_static_selectorELNS0_4arch9wavefront6targetE1EEEvT1_.uses_vcc, 0
	.set _ZN7rocprim17ROCPRIM_400000_NS6detail17trampoline_kernelINS0_14default_configENS1_25partition_config_selectorILNS1_17partition_subalgoE8ElNS0_10empty_typeEbEEZZNS1_14partition_implILS5_8ELb0ES3_jPlPS6_PKS6_NS0_5tupleIJS9_S6_EEENSD_IJSA_SA_EEENS0_18inequality_wrapperIZN2at6native12_GLOBAL__N_124unique_dim_cuda_templateIN3c104HalfEEESt5tupleIJNSH_6TensorESO_SO_EERKSO_lbbbEUlllE0_EEPmJS6_EEE10hipError_tPvRmT3_T4_T5_T6_T7_T9_mT8_P12ihipStream_tbDpT10_ENKUlT_T0_E_clISt17integral_constantIbLb1EES1E_EEDaS19_S1A_EUlS19_E_NS1_11comp_targetILNS1_3genE3ELNS1_11target_archE908ELNS1_3gpuE7ELNS1_3repE0EEENS1_30default_config_static_selectorELNS0_4arch9wavefront6targetE1EEEvT1_.uses_flat_scratch, 0
	.set _ZN7rocprim17ROCPRIM_400000_NS6detail17trampoline_kernelINS0_14default_configENS1_25partition_config_selectorILNS1_17partition_subalgoE8ElNS0_10empty_typeEbEEZZNS1_14partition_implILS5_8ELb0ES3_jPlPS6_PKS6_NS0_5tupleIJS9_S6_EEENSD_IJSA_SA_EEENS0_18inequality_wrapperIZN2at6native12_GLOBAL__N_124unique_dim_cuda_templateIN3c104HalfEEESt5tupleIJNSH_6TensorESO_SO_EERKSO_lbbbEUlllE0_EEPmJS6_EEE10hipError_tPvRmT3_T4_T5_T6_T7_T9_mT8_P12ihipStream_tbDpT10_ENKUlT_T0_E_clISt17integral_constantIbLb1EES1E_EEDaS19_S1A_EUlS19_E_NS1_11comp_targetILNS1_3genE3ELNS1_11target_archE908ELNS1_3gpuE7ELNS1_3repE0EEENS1_30default_config_static_selectorELNS0_4arch9wavefront6targetE1EEEvT1_.has_dyn_sized_stack, 0
	.set _ZN7rocprim17ROCPRIM_400000_NS6detail17trampoline_kernelINS0_14default_configENS1_25partition_config_selectorILNS1_17partition_subalgoE8ElNS0_10empty_typeEbEEZZNS1_14partition_implILS5_8ELb0ES3_jPlPS6_PKS6_NS0_5tupleIJS9_S6_EEENSD_IJSA_SA_EEENS0_18inequality_wrapperIZN2at6native12_GLOBAL__N_124unique_dim_cuda_templateIN3c104HalfEEESt5tupleIJNSH_6TensorESO_SO_EERKSO_lbbbEUlllE0_EEPmJS6_EEE10hipError_tPvRmT3_T4_T5_T6_T7_T9_mT8_P12ihipStream_tbDpT10_ENKUlT_T0_E_clISt17integral_constantIbLb1EES1E_EEDaS19_S1A_EUlS19_E_NS1_11comp_targetILNS1_3genE3ELNS1_11target_archE908ELNS1_3gpuE7ELNS1_3repE0EEENS1_30default_config_static_selectorELNS0_4arch9wavefront6targetE1EEEvT1_.has_recursion, 0
	.set _ZN7rocprim17ROCPRIM_400000_NS6detail17trampoline_kernelINS0_14default_configENS1_25partition_config_selectorILNS1_17partition_subalgoE8ElNS0_10empty_typeEbEEZZNS1_14partition_implILS5_8ELb0ES3_jPlPS6_PKS6_NS0_5tupleIJS9_S6_EEENSD_IJSA_SA_EEENS0_18inequality_wrapperIZN2at6native12_GLOBAL__N_124unique_dim_cuda_templateIN3c104HalfEEESt5tupleIJNSH_6TensorESO_SO_EERKSO_lbbbEUlllE0_EEPmJS6_EEE10hipError_tPvRmT3_T4_T5_T6_T7_T9_mT8_P12ihipStream_tbDpT10_ENKUlT_T0_E_clISt17integral_constantIbLb1EES1E_EEDaS19_S1A_EUlS19_E_NS1_11comp_targetILNS1_3genE3ELNS1_11target_archE908ELNS1_3gpuE7ELNS1_3repE0EEENS1_30default_config_static_selectorELNS0_4arch9wavefront6targetE1EEEvT1_.has_indirect_call, 0
	.section	.AMDGPU.csdata,"",@progbits
; Kernel info:
; codeLenInByte = 0
; TotalNumSgprs: 6
; NumVgprs: 0
; NumAgprs: 0
; TotalNumVgprs: 0
; ScratchSize: 0
; MemoryBound: 0
; FloatMode: 240
; IeeeMode: 1
; LDSByteSize: 0 bytes/workgroup (compile time only)
; SGPRBlocks: 0
; VGPRBlocks: 0
; NumSGPRsForWavesPerEU: 6
; NumVGPRsForWavesPerEU: 1
; AccumOffset: 4
; Occupancy: 8
; WaveLimiterHint : 0
; COMPUTE_PGM_RSRC2:SCRATCH_EN: 0
; COMPUTE_PGM_RSRC2:USER_SGPR: 2
; COMPUTE_PGM_RSRC2:TRAP_HANDLER: 0
; COMPUTE_PGM_RSRC2:TGID_X_EN: 1
; COMPUTE_PGM_RSRC2:TGID_Y_EN: 0
; COMPUTE_PGM_RSRC2:TGID_Z_EN: 0
; COMPUTE_PGM_RSRC2:TIDIG_COMP_CNT: 0
; COMPUTE_PGM_RSRC3_GFX90A:ACCUM_OFFSET: 0
; COMPUTE_PGM_RSRC3_GFX90A:TG_SPLIT: 0
	.section	.text._ZN7rocprim17ROCPRIM_400000_NS6detail17trampoline_kernelINS0_14default_configENS1_25partition_config_selectorILNS1_17partition_subalgoE8ElNS0_10empty_typeEbEEZZNS1_14partition_implILS5_8ELb0ES3_jPlPS6_PKS6_NS0_5tupleIJS9_S6_EEENSD_IJSA_SA_EEENS0_18inequality_wrapperIZN2at6native12_GLOBAL__N_124unique_dim_cuda_templateIN3c104HalfEEESt5tupleIJNSH_6TensorESO_SO_EERKSO_lbbbEUlllE0_EEPmJS6_EEE10hipError_tPvRmT3_T4_T5_T6_T7_T9_mT8_P12ihipStream_tbDpT10_ENKUlT_T0_E_clISt17integral_constantIbLb1EES1E_EEDaS19_S1A_EUlS19_E_NS1_11comp_targetILNS1_3genE2ELNS1_11target_archE906ELNS1_3gpuE6ELNS1_3repE0EEENS1_30default_config_static_selectorELNS0_4arch9wavefront6targetE1EEEvT1_,"axG",@progbits,_ZN7rocprim17ROCPRIM_400000_NS6detail17trampoline_kernelINS0_14default_configENS1_25partition_config_selectorILNS1_17partition_subalgoE8ElNS0_10empty_typeEbEEZZNS1_14partition_implILS5_8ELb0ES3_jPlPS6_PKS6_NS0_5tupleIJS9_S6_EEENSD_IJSA_SA_EEENS0_18inequality_wrapperIZN2at6native12_GLOBAL__N_124unique_dim_cuda_templateIN3c104HalfEEESt5tupleIJNSH_6TensorESO_SO_EERKSO_lbbbEUlllE0_EEPmJS6_EEE10hipError_tPvRmT3_T4_T5_T6_T7_T9_mT8_P12ihipStream_tbDpT10_ENKUlT_T0_E_clISt17integral_constantIbLb1EES1E_EEDaS19_S1A_EUlS19_E_NS1_11comp_targetILNS1_3genE2ELNS1_11target_archE906ELNS1_3gpuE6ELNS1_3repE0EEENS1_30default_config_static_selectorELNS0_4arch9wavefront6targetE1EEEvT1_,comdat
	.globl	_ZN7rocprim17ROCPRIM_400000_NS6detail17trampoline_kernelINS0_14default_configENS1_25partition_config_selectorILNS1_17partition_subalgoE8ElNS0_10empty_typeEbEEZZNS1_14partition_implILS5_8ELb0ES3_jPlPS6_PKS6_NS0_5tupleIJS9_S6_EEENSD_IJSA_SA_EEENS0_18inequality_wrapperIZN2at6native12_GLOBAL__N_124unique_dim_cuda_templateIN3c104HalfEEESt5tupleIJNSH_6TensorESO_SO_EERKSO_lbbbEUlllE0_EEPmJS6_EEE10hipError_tPvRmT3_T4_T5_T6_T7_T9_mT8_P12ihipStream_tbDpT10_ENKUlT_T0_E_clISt17integral_constantIbLb1EES1E_EEDaS19_S1A_EUlS19_E_NS1_11comp_targetILNS1_3genE2ELNS1_11target_archE906ELNS1_3gpuE6ELNS1_3repE0EEENS1_30default_config_static_selectorELNS0_4arch9wavefront6targetE1EEEvT1_ ; -- Begin function _ZN7rocprim17ROCPRIM_400000_NS6detail17trampoline_kernelINS0_14default_configENS1_25partition_config_selectorILNS1_17partition_subalgoE8ElNS0_10empty_typeEbEEZZNS1_14partition_implILS5_8ELb0ES3_jPlPS6_PKS6_NS0_5tupleIJS9_S6_EEENSD_IJSA_SA_EEENS0_18inequality_wrapperIZN2at6native12_GLOBAL__N_124unique_dim_cuda_templateIN3c104HalfEEESt5tupleIJNSH_6TensorESO_SO_EERKSO_lbbbEUlllE0_EEPmJS6_EEE10hipError_tPvRmT3_T4_T5_T6_T7_T9_mT8_P12ihipStream_tbDpT10_ENKUlT_T0_E_clISt17integral_constantIbLb1EES1E_EEDaS19_S1A_EUlS19_E_NS1_11comp_targetILNS1_3genE2ELNS1_11target_archE906ELNS1_3gpuE6ELNS1_3repE0EEENS1_30default_config_static_selectorELNS0_4arch9wavefront6targetE1EEEvT1_
	.p2align	8
	.type	_ZN7rocprim17ROCPRIM_400000_NS6detail17trampoline_kernelINS0_14default_configENS1_25partition_config_selectorILNS1_17partition_subalgoE8ElNS0_10empty_typeEbEEZZNS1_14partition_implILS5_8ELb0ES3_jPlPS6_PKS6_NS0_5tupleIJS9_S6_EEENSD_IJSA_SA_EEENS0_18inequality_wrapperIZN2at6native12_GLOBAL__N_124unique_dim_cuda_templateIN3c104HalfEEESt5tupleIJNSH_6TensorESO_SO_EERKSO_lbbbEUlllE0_EEPmJS6_EEE10hipError_tPvRmT3_T4_T5_T6_T7_T9_mT8_P12ihipStream_tbDpT10_ENKUlT_T0_E_clISt17integral_constantIbLb1EES1E_EEDaS19_S1A_EUlS19_E_NS1_11comp_targetILNS1_3genE2ELNS1_11target_archE906ELNS1_3gpuE6ELNS1_3repE0EEENS1_30default_config_static_selectorELNS0_4arch9wavefront6targetE1EEEvT1_,@function
_ZN7rocprim17ROCPRIM_400000_NS6detail17trampoline_kernelINS0_14default_configENS1_25partition_config_selectorILNS1_17partition_subalgoE8ElNS0_10empty_typeEbEEZZNS1_14partition_implILS5_8ELb0ES3_jPlPS6_PKS6_NS0_5tupleIJS9_S6_EEENSD_IJSA_SA_EEENS0_18inequality_wrapperIZN2at6native12_GLOBAL__N_124unique_dim_cuda_templateIN3c104HalfEEESt5tupleIJNSH_6TensorESO_SO_EERKSO_lbbbEUlllE0_EEPmJS6_EEE10hipError_tPvRmT3_T4_T5_T6_T7_T9_mT8_P12ihipStream_tbDpT10_ENKUlT_T0_E_clISt17integral_constantIbLb1EES1E_EEDaS19_S1A_EUlS19_E_NS1_11comp_targetILNS1_3genE2ELNS1_11target_archE906ELNS1_3gpuE6ELNS1_3repE0EEENS1_30default_config_static_selectorELNS0_4arch9wavefront6targetE1EEEvT1_: ; @_ZN7rocprim17ROCPRIM_400000_NS6detail17trampoline_kernelINS0_14default_configENS1_25partition_config_selectorILNS1_17partition_subalgoE8ElNS0_10empty_typeEbEEZZNS1_14partition_implILS5_8ELb0ES3_jPlPS6_PKS6_NS0_5tupleIJS9_S6_EEENSD_IJSA_SA_EEENS0_18inequality_wrapperIZN2at6native12_GLOBAL__N_124unique_dim_cuda_templateIN3c104HalfEEESt5tupleIJNSH_6TensorESO_SO_EERKSO_lbbbEUlllE0_EEPmJS6_EEE10hipError_tPvRmT3_T4_T5_T6_T7_T9_mT8_P12ihipStream_tbDpT10_ENKUlT_T0_E_clISt17integral_constantIbLb1EES1E_EEDaS19_S1A_EUlS19_E_NS1_11comp_targetILNS1_3genE2ELNS1_11target_archE906ELNS1_3gpuE6ELNS1_3repE0EEENS1_30default_config_static_selectorELNS0_4arch9wavefront6targetE1EEEvT1_
; %bb.0:
	.section	.rodata,"a",@progbits
	.p2align	6, 0x0
	.amdhsa_kernel _ZN7rocprim17ROCPRIM_400000_NS6detail17trampoline_kernelINS0_14default_configENS1_25partition_config_selectorILNS1_17partition_subalgoE8ElNS0_10empty_typeEbEEZZNS1_14partition_implILS5_8ELb0ES3_jPlPS6_PKS6_NS0_5tupleIJS9_S6_EEENSD_IJSA_SA_EEENS0_18inequality_wrapperIZN2at6native12_GLOBAL__N_124unique_dim_cuda_templateIN3c104HalfEEESt5tupleIJNSH_6TensorESO_SO_EERKSO_lbbbEUlllE0_EEPmJS6_EEE10hipError_tPvRmT3_T4_T5_T6_T7_T9_mT8_P12ihipStream_tbDpT10_ENKUlT_T0_E_clISt17integral_constantIbLb1EES1E_EEDaS19_S1A_EUlS19_E_NS1_11comp_targetILNS1_3genE2ELNS1_11target_archE906ELNS1_3gpuE6ELNS1_3repE0EEENS1_30default_config_static_selectorELNS0_4arch9wavefront6targetE1EEEvT1_
		.amdhsa_group_segment_fixed_size 0
		.amdhsa_private_segment_fixed_size 0
		.amdhsa_kernarg_size 136
		.amdhsa_user_sgpr_count 2
		.amdhsa_user_sgpr_dispatch_ptr 0
		.amdhsa_user_sgpr_queue_ptr 0
		.amdhsa_user_sgpr_kernarg_segment_ptr 1
		.amdhsa_user_sgpr_dispatch_id 0
		.amdhsa_user_sgpr_kernarg_preload_length 0
		.amdhsa_user_sgpr_kernarg_preload_offset 0
		.amdhsa_user_sgpr_private_segment_size 0
		.amdhsa_uses_dynamic_stack 0
		.amdhsa_enable_private_segment 0
		.amdhsa_system_sgpr_workgroup_id_x 1
		.amdhsa_system_sgpr_workgroup_id_y 0
		.amdhsa_system_sgpr_workgroup_id_z 0
		.amdhsa_system_sgpr_workgroup_info 0
		.amdhsa_system_vgpr_workitem_id 0
		.amdhsa_next_free_vgpr 1
		.amdhsa_next_free_sgpr 0
		.amdhsa_accum_offset 4
		.amdhsa_reserve_vcc 0
		.amdhsa_float_round_mode_32 0
		.amdhsa_float_round_mode_16_64 0
		.amdhsa_float_denorm_mode_32 3
		.amdhsa_float_denorm_mode_16_64 3
		.amdhsa_dx10_clamp 1
		.amdhsa_ieee_mode 1
		.amdhsa_fp16_overflow 0
		.amdhsa_tg_split 0
		.amdhsa_exception_fp_ieee_invalid_op 0
		.amdhsa_exception_fp_denorm_src 0
		.amdhsa_exception_fp_ieee_div_zero 0
		.amdhsa_exception_fp_ieee_overflow 0
		.amdhsa_exception_fp_ieee_underflow 0
		.amdhsa_exception_fp_ieee_inexact 0
		.amdhsa_exception_int_div_zero 0
	.end_amdhsa_kernel
	.section	.text._ZN7rocprim17ROCPRIM_400000_NS6detail17trampoline_kernelINS0_14default_configENS1_25partition_config_selectorILNS1_17partition_subalgoE8ElNS0_10empty_typeEbEEZZNS1_14partition_implILS5_8ELb0ES3_jPlPS6_PKS6_NS0_5tupleIJS9_S6_EEENSD_IJSA_SA_EEENS0_18inequality_wrapperIZN2at6native12_GLOBAL__N_124unique_dim_cuda_templateIN3c104HalfEEESt5tupleIJNSH_6TensorESO_SO_EERKSO_lbbbEUlllE0_EEPmJS6_EEE10hipError_tPvRmT3_T4_T5_T6_T7_T9_mT8_P12ihipStream_tbDpT10_ENKUlT_T0_E_clISt17integral_constantIbLb1EES1E_EEDaS19_S1A_EUlS19_E_NS1_11comp_targetILNS1_3genE2ELNS1_11target_archE906ELNS1_3gpuE6ELNS1_3repE0EEENS1_30default_config_static_selectorELNS0_4arch9wavefront6targetE1EEEvT1_,"axG",@progbits,_ZN7rocprim17ROCPRIM_400000_NS6detail17trampoline_kernelINS0_14default_configENS1_25partition_config_selectorILNS1_17partition_subalgoE8ElNS0_10empty_typeEbEEZZNS1_14partition_implILS5_8ELb0ES3_jPlPS6_PKS6_NS0_5tupleIJS9_S6_EEENSD_IJSA_SA_EEENS0_18inequality_wrapperIZN2at6native12_GLOBAL__N_124unique_dim_cuda_templateIN3c104HalfEEESt5tupleIJNSH_6TensorESO_SO_EERKSO_lbbbEUlllE0_EEPmJS6_EEE10hipError_tPvRmT3_T4_T5_T6_T7_T9_mT8_P12ihipStream_tbDpT10_ENKUlT_T0_E_clISt17integral_constantIbLb1EES1E_EEDaS19_S1A_EUlS19_E_NS1_11comp_targetILNS1_3genE2ELNS1_11target_archE906ELNS1_3gpuE6ELNS1_3repE0EEENS1_30default_config_static_selectorELNS0_4arch9wavefront6targetE1EEEvT1_,comdat
.Lfunc_end1309:
	.size	_ZN7rocprim17ROCPRIM_400000_NS6detail17trampoline_kernelINS0_14default_configENS1_25partition_config_selectorILNS1_17partition_subalgoE8ElNS0_10empty_typeEbEEZZNS1_14partition_implILS5_8ELb0ES3_jPlPS6_PKS6_NS0_5tupleIJS9_S6_EEENSD_IJSA_SA_EEENS0_18inequality_wrapperIZN2at6native12_GLOBAL__N_124unique_dim_cuda_templateIN3c104HalfEEESt5tupleIJNSH_6TensorESO_SO_EERKSO_lbbbEUlllE0_EEPmJS6_EEE10hipError_tPvRmT3_T4_T5_T6_T7_T9_mT8_P12ihipStream_tbDpT10_ENKUlT_T0_E_clISt17integral_constantIbLb1EES1E_EEDaS19_S1A_EUlS19_E_NS1_11comp_targetILNS1_3genE2ELNS1_11target_archE906ELNS1_3gpuE6ELNS1_3repE0EEENS1_30default_config_static_selectorELNS0_4arch9wavefront6targetE1EEEvT1_, .Lfunc_end1309-_ZN7rocprim17ROCPRIM_400000_NS6detail17trampoline_kernelINS0_14default_configENS1_25partition_config_selectorILNS1_17partition_subalgoE8ElNS0_10empty_typeEbEEZZNS1_14partition_implILS5_8ELb0ES3_jPlPS6_PKS6_NS0_5tupleIJS9_S6_EEENSD_IJSA_SA_EEENS0_18inequality_wrapperIZN2at6native12_GLOBAL__N_124unique_dim_cuda_templateIN3c104HalfEEESt5tupleIJNSH_6TensorESO_SO_EERKSO_lbbbEUlllE0_EEPmJS6_EEE10hipError_tPvRmT3_T4_T5_T6_T7_T9_mT8_P12ihipStream_tbDpT10_ENKUlT_T0_E_clISt17integral_constantIbLb1EES1E_EEDaS19_S1A_EUlS19_E_NS1_11comp_targetILNS1_3genE2ELNS1_11target_archE906ELNS1_3gpuE6ELNS1_3repE0EEENS1_30default_config_static_selectorELNS0_4arch9wavefront6targetE1EEEvT1_
                                        ; -- End function
	.set _ZN7rocprim17ROCPRIM_400000_NS6detail17trampoline_kernelINS0_14default_configENS1_25partition_config_selectorILNS1_17partition_subalgoE8ElNS0_10empty_typeEbEEZZNS1_14partition_implILS5_8ELb0ES3_jPlPS6_PKS6_NS0_5tupleIJS9_S6_EEENSD_IJSA_SA_EEENS0_18inequality_wrapperIZN2at6native12_GLOBAL__N_124unique_dim_cuda_templateIN3c104HalfEEESt5tupleIJNSH_6TensorESO_SO_EERKSO_lbbbEUlllE0_EEPmJS6_EEE10hipError_tPvRmT3_T4_T5_T6_T7_T9_mT8_P12ihipStream_tbDpT10_ENKUlT_T0_E_clISt17integral_constantIbLb1EES1E_EEDaS19_S1A_EUlS19_E_NS1_11comp_targetILNS1_3genE2ELNS1_11target_archE906ELNS1_3gpuE6ELNS1_3repE0EEENS1_30default_config_static_selectorELNS0_4arch9wavefront6targetE1EEEvT1_.num_vgpr, 0
	.set _ZN7rocprim17ROCPRIM_400000_NS6detail17trampoline_kernelINS0_14default_configENS1_25partition_config_selectorILNS1_17partition_subalgoE8ElNS0_10empty_typeEbEEZZNS1_14partition_implILS5_8ELb0ES3_jPlPS6_PKS6_NS0_5tupleIJS9_S6_EEENSD_IJSA_SA_EEENS0_18inequality_wrapperIZN2at6native12_GLOBAL__N_124unique_dim_cuda_templateIN3c104HalfEEESt5tupleIJNSH_6TensorESO_SO_EERKSO_lbbbEUlllE0_EEPmJS6_EEE10hipError_tPvRmT3_T4_T5_T6_T7_T9_mT8_P12ihipStream_tbDpT10_ENKUlT_T0_E_clISt17integral_constantIbLb1EES1E_EEDaS19_S1A_EUlS19_E_NS1_11comp_targetILNS1_3genE2ELNS1_11target_archE906ELNS1_3gpuE6ELNS1_3repE0EEENS1_30default_config_static_selectorELNS0_4arch9wavefront6targetE1EEEvT1_.num_agpr, 0
	.set _ZN7rocprim17ROCPRIM_400000_NS6detail17trampoline_kernelINS0_14default_configENS1_25partition_config_selectorILNS1_17partition_subalgoE8ElNS0_10empty_typeEbEEZZNS1_14partition_implILS5_8ELb0ES3_jPlPS6_PKS6_NS0_5tupleIJS9_S6_EEENSD_IJSA_SA_EEENS0_18inequality_wrapperIZN2at6native12_GLOBAL__N_124unique_dim_cuda_templateIN3c104HalfEEESt5tupleIJNSH_6TensorESO_SO_EERKSO_lbbbEUlllE0_EEPmJS6_EEE10hipError_tPvRmT3_T4_T5_T6_T7_T9_mT8_P12ihipStream_tbDpT10_ENKUlT_T0_E_clISt17integral_constantIbLb1EES1E_EEDaS19_S1A_EUlS19_E_NS1_11comp_targetILNS1_3genE2ELNS1_11target_archE906ELNS1_3gpuE6ELNS1_3repE0EEENS1_30default_config_static_selectorELNS0_4arch9wavefront6targetE1EEEvT1_.numbered_sgpr, 0
	.set _ZN7rocprim17ROCPRIM_400000_NS6detail17trampoline_kernelINS0_14default_configENS1_25partition_config_selectorILNS1_17partition_subalgoE8ElNS0_10empty_typeEbEEZZNS1_14partition_implILS5_8ELb0ES3_jPlPS6_PKS6_NS0_5tupleIJS9_S6_EEENSD_IJSA_SA_EEENS0_18inequality_wrapperIZN2at6native12_GLOBAL__N_124unique_dim_cuda_templateIN3c104HalfEEESt5tupleIJNSH_6TensorESO_SO_EERKSO_lbbbEUlllE0_EEPmJS6_EEE10hipError_tPvRmT3_T4_T5_T6_T7_T9_mT8_P12ihipStream_tbDpT10_ENKUlT_T0_E_clISt17integral_constantIbLb1EES1E_EEDaS19_S1A_EUlS19_E_NS1_11comp_targetILNS1_3genE2ELNS1_11target_archE906ELNS1_3gpuE6ELNS1_3repE0EEENS1_30default_config_static_selectorELNS0_4arch9wavefront6targetE1EEEvT1_.num_named_barrier, 0
	.set _ZN7rocprim17ROCPRIM_400000_NS6detail17trampoline_kernelINS0_14default_configENS1_25partition_config_selectorILNS1_17partition_subalgoE8ElNS0_10empty_typeEbEEZZNS1_14partition_implILS5_8ELb0ES3_jPlPS6_PKS6_NS0_5tupleIJS9_S6_EEENSD_IJSA_SA_EEENS0_18inequality_wrapperIZN2at6native12_GLOBAL__N_124unique_dim_cuda_templateIN3c104HalfEEESt5tupleIJNSH_6TensorESO_SO_EERKSO_lbbbEUlllE0_EEPmJS6_EEE10hipError_tPvRmT3_T4_T5_T6_T7_T9_mT8_P12ihipStream_tbDpT10_ENKUlT_T0_E_clISt17integral_constantIbLb1EES1E_EEDaS19_S1A_EUlS19_E_NS1_11comp_targetILNS1_3genE2ELNS1_11target_archE906ELNS1_3gpuE6ELNS1_3repE0EEENS1_30default_config_static_selectorELNS0_4arch9wavefront6targetE1EEEvT1_.private_seg_size, 0
	.set _ZN7rocprim17ROCPRIM_400000_NS6detail17trampoline_kernelINS0_14default_configENS1_25partition_config_selectorILNS1_17partition_subalgoE8ElNS0_10empty_typeEbEEZZNS1_14partition_implILS5_8ELb0ES3_jPlPS6_PKS6_NS0_5tupleIJS9_S6_EEENSD_IJSA_SA_EEENS0_18inequality_wrapperIZN2at6native12_GLOBAL__N_124unique_dim_cuda_templateIN3c104HalfEEESt5tupleIJNSH_6TensorESO_SO_EERKSO_lbbbEUlllE0_EEPmJS6_EEE10hipError_tPvRmT3_T4_T5_T6_T7_T9_mT8_P12ihipStream_tbDpT10_ENKUlT_T0_E_clISt17integral_constantIbLb1EES1E_EEDaS19_S1A_EUlS19_E_NS1_11comp_targetILNS1_3genE2ELNS1_11target_archE906ELNS1_3gpuE6ELNS1_3repE0EEENS1_30default_config_static_selectorELNS0_4arch9wavefront6targetE1EEEvT1_.uses_vcc, 0
	.set _ZN7rocprim17ROCPRIM_400000_NS6detail17trampoline_kernelINS0_14default_configENS1_25partition_config_selectorILNS1_17partition_subalgoE8ElNS0_10empty_typeEbEEZZNS1_14partition_implILS5_8ELb0ES3_jPlPS6_PKS6_NS0_5tupleIJS9_S6_EEENSD_IJSA_SA_EEENS0_18inequality_wrapperIZN2at6native12_GLOBAL__N_124unique_dim_cuda_templateIN3c104HalfEEESt5tupleIJNSH_6TensorESO_SO_EERKSO_lbbbEUlllE0_EEPmJS6_EEE10hipError_tPvRmT3_T4_T5_T6_T7_T9_mT8_P12ihipStream_tbDpT10_ENKUlT_T0_E_clISt17integral_constantIbLb1EES1E_EEDaS19_S1A_EUlS19_E_NS1_11comp_targetILNS1_3genE2ELNS1_11target_archE906ELNS1_3gpuE6ELNS1_3repE0EEENS1_30default_config_static_selectorELNS0_4arch9wavefront6targetE1EEEvT1_.uses_flat_scratch, 0
	.set _ZN7rocprim17ROCPRIM_400000_NS6detail17trampoline_kernelINS0_14default_configENS1_25partition_config_selectorILNS1_17partition_subalgoE8ElNS0_10empty_typeEbEEZZNS1_14partition_implILS5_8ELb0ES3_jPlPS6_PKS6_NS0_5tupleIJS9_S6_EEENSD_IJSA_SA_EEENS0_18inequality_wrapperIZN2at6native12_GLOBAL__N_124unique_dim_cuda_templateIN3c104HalfEEESt5tupleIJNSH_6TensorESO_SO_EERKSO_lbbbEUlllE0_EEPmJS6_EEE10hipError_tPvRmT3_T4_T5_T6_T7_T9_mT8_P12ihipStream_tbDpT10_ENKUlT_T0_E_clISt17integral_constantIbLb1EES1E_EEDaS19_S1A_EUlS19_E_NS1_11comp_targetILNS1_3genE2ELNS1_11target_archE906ELNS1_3gpuE6ELNS1_3repE0EEENS1_30default_config_static_selectorELNS0_4arch9wavefront6targetE1EEEvT1_.has_dyn_sized_stack, 0
	.set _ZN7rocprim17ROCPRIM_400000_NS6detail17trampoline_kernelINS0_14default_configENS1_25partition_config_selectorILNS1_17partition_subalgoE8ElNS0_10empty_typeEbEEZZNS1_14partition_implILS5_8ELb0ES3_jPlPS6_PKS6_NS0_5tupleIJS9_S6_EEENSD_IJSA_SA_EEENS0_18inequality_wrapperIZN2at6native12_GLOBAL__N_124unique_dim_cuda_templateIN3c104HalfEEESt5tupleIJNSH_6TensorESO_SO_EERKSO_lbbbEUlllE0_EEPmJS6_EEE10hipError_tPvRmT3_T4_T5_T6_T7_T9_mT8_P12ihipStream_tbDpT10_ENKUlT_T0_E_clISt17integral_constantIbLb1EES1E_EEDaS19_S1A_EUlS19_E_NS1_11comp_targetILNS1_3genE2ELNS1_11target_archE906ELNS1_3gpuE6ELNS1_3repE0EEENS1_30default_config_static_selectorELNS0_4arch9wavefront6targetE1EEEvT1_.has_recursion, 0
	.set _ZN7rocprim17ROCPRIM_400000_NS6detail17trampoline_kernelINS0_14default_configENS1_25partition_config_selectorILNS1_17partition_subalgoE8ElNS0_10empty_typeEbEEZZNS1_14partition_implILS5_8ELb0ES3_jPlPS6_PKS6_NS0_5tupleIJS9_S6_EEENSD_IJSA_SA_EEENS0_18inequality_wrapperIZN2at6native12_GLOBAL__N_124unique_dim_cuda_templateIN3c104HalfEEESt5tupleIJNSH_6TensorESO_SO_EERKSO_lbbbEUlllE0_EEPmJS6_EEE10hipError_tPvRmT3_T4_T5_T6_T7_T9_mT8_P12ihipStream_tbDpT10_ENKUlT_T0_E_clISt17integral_constantIbLb1EES1E_EEDaS19_S1A_EUlS19_E_NS1_11comp_targetILNS1_3genE2ELNS1_11target_archE906ELNS1_3gpuE6ELNS1_3repE0EEENS1_30default_config_static_selectorELNS0_4arch9wavefront6targetE1EEEvT1_.has_indirect_call, 0
	.section	.AMDGPU.csdata,"",@progbits
; Kernel info:
; codeLenInByte = 0
; TotalNumSgprs: 6
; NumVgprs: 0
; NumAgprs: 0
; TotalNumVgprs: 0
; ScratchSize: 0
; MemoryBound: 0
; FloatMode: 240
; IeeeMode: 1
; LDSByteSize: 0 bytes/workgroup (compile time only)
; SGPRBlocks: 0
; VGPRBlocks: 0
; NumSGPRsForWavesPerEU: 6
; NumVGPRsForWavesPerEU: 1
; AccumOffset: 4
; Occupancy: 8
; WaveLimiterHint : 0
; COMPUTE_PGM_RSRC2:SCRATCH_EN: 0
; COMPUTE_PGM_RSRC2:USER_SGPR: 2
; COMPUTE_PGM_RSRC2:TRAP_HANDLER: 0
; COMPUTE_PGM_RSRC2:TGID_X_EN: 1
; COMPUTE_PGM_RSRC2:TGID_Y_EN: 0
; COMPUTE_PGM_RSRC2:TGID_Z_EN: 0
; COMPUTE_PGM_RSRC2:TIDIG_COMP_CNT: 0
; COMPUTE_PGM_RSRC3_GFX90A:ACCUM_OFFSET: 0
; COMPUTE_PGM_RSRC3_GFX90A:TG_SPLIT: 0
	.section	.text._ZN7rocprim17ROCPRIM_400000_NS6detail17trampoline_kernelINS0_14default_configENS1_25partition_config_selectorILNS1_17partition_subalgoE8ElNS0_10empty_typeEbEEZZNS1_14partition_implILS5_8ELb0ES3_jPlPS6_PKS6_NS0_5tupleIJS9_S6_EEENSD_IJSA_SA_EEENS0_18inequality_wrapperIZN2at6native12_GLOBAL__N_124unique_dim_cuda_templateIN3c104HalfEEESt5tupleIJNSH_6TensorESO_SO_EERKSO_lbbbEUlllE0_EEPmJS6_EEE10hipError_tPvRmT3_T4_T5_T6_T7_T9_mT8_P12ihipStream_tbDpT10_ENKUlT_T0_E_clISt17integral_constantIbLb1EES1E_EEDaS19_S1A_EUlS19_E_NS1_11comp_targetILNS1_3genE10ELNS1_11target_archE1200ELNS1_3gpuE4ELNS1_3repE0EEENS1_30default_config_static_selectorELNS0_4arch9wavefront6targetE1EEEvT1_,"axG",@progbits,_ZN7rocprim17ROCPRIM_400000_NS6detail17trampoline_kernelINS0_14default_configENS1_25partition_config_selectorILNS1_17partition_subalgoE8ElNS0_10empty_typeEbEEZZNS1_14partition_implILS5_8ELb0ES3_jPlPS6_PKS6_NS0_5tupleIJS9_S6_EEENSD_IJSA_SA_EEENS0_18inequality_wrapperIZN2at6native12_GLOBAL__N_124unique_dim_cuda_templateIN3c104HalfEEESt5tupleIJNSH_6TensorESO_SO_EERKSO_lbbbEUlllE0_EEPmJS6_EEE10hipError_tPvRmT3_T4_T5_T6_T7_T9_mT8_P12ihipStream_tbDpT10_ENKUlT_T0_E_clISt17integral_constantIbLb1EES1E_EEDaS19_S1A_EUlS19_E_NS1_11comp_targetILNS1_3genE10ELNS1_11target_archE1200ELNS1_3gpuE4ELNS1_3repE0EEENS1_30default_config_static_selectorELNS0_4arch9wavefront6targetE1EEEvT1_,comdat
	.globl	_ZN7rocprim17ROCPRIM_400000_NS6detail17trampoline_kernelINS0_14default_configENS1_25partition_config_selectorILNS1_17partition_subalgoE8ElNS0_10empty_typeEbEEZZNS1_14partition_implILS5_8ELb0ES3_jPlPS6_PKS6_NS0_5tupleIJS9_S6_EEENSD_IJSA_SA_EEENS0_18inequality_wrapperIZN2at6native12_GLOBAL__N_124unique_dim_cuda_templateIN3c104HalfEEESt5tupleIJNSH_6TensorESO_SO_EERKSO_lbbbEUlllE0_EEPmJS6_EEE10hipError_tPvRmT3_T4_T5_T6_T7_T9_mT8_P12ihipStream_tbDpT10_ENKUlT_T0_E_clISt17integral_constantIbLb1EES1E_EEDaS19_S1A_EUlS19_E_NS1_11comp_targetILNS1_3genE10ELNS1_11target_archE1200ELNS1_3gpuE4ELNS1_3repE0EEENS1_30default_config_static_selectorELNS0_4arch9wavefront6targetE1EEEvT1_ ; -- Begin function _ZN7rocprim17ROCPRIM_400000_NS6detail17trampoline_kernelINS0_14default_configENS1_25partition_config_selectorILNS1_17partition_subalgoE8ElNS0_10empty_typeEbEEZZNS1_14partition_implILS5_8ELb0ES3_jPlPS6_PKS6_NS0_5tupleIJS9_S6_EEENSD_IJSA_SA_EEENS0_18inequality_wrapperIZN2at6native12_GLOBAL__N_124unique_dim_cuda_templateIN3c104HalfEEESt5tupleIJNSH_6TensorESO_SO_EERKSO_lbbbEUlllE0_EEPmJS6_EEE10hipError_tPvRmT3_T4_T5_T6_T7_T9_mT8_P12ihipStream_tbDpT10_ENKUlT_T0_E_clISt17integral_constantIbLb1EES1E_EEDaS19_S1A_EUlS19_E_NS1_11comp_targetILNS1_3genE10ELNS1_11target_archE1200ELNS1_3gpuE4ELNS1_3repE0EEENS1_30default_config_static_selectorELNS0_4arch9wavefront6targetE1EEEvT1_
	.p2align	8
	.type	_ZN7rocprim17ROCPRIM_400000_NS6detail17trampoline_kernelINS0_14default_configENS1_25partition_config_selectorILNS1_17partition_subalgoE8ElNS0_10empty_typeEbEEZZNS1_14partition_implILS5_8ELb0ES3_jPlPS6_PKS6_NS0_5tupleIJS9_S6_EEENSD_IJSA_SA_EEENS0_18inequality_wrapperIZN2at6native12_GLOBAL__N_124unique_dim_cuda_templateIN3c104HalfEEESt5tupleIJNSH_6TensorESO_SO_EERKSO_lbbbEUlllE0_EEPmJS6_EEE10hipError_tPvRmT3_T4_T5_T6_T7_T9_mT8_P12ihipStream_tbDpT10_ENKUlT_T0_E_clISt17integral_constantIbLb1EES1E_EEDaS19_S1A_EUlS19_E_NS1_11comp_targetILNS1_3genE10ELNS1_11target_archE1200ELNS1_3gpuE4ELNS1_3repE0EEENS1_30default_config_static_selectorELNS0_4arch9wavefront6targetE1EEEvT1_,@function
_ZN7rocprim17ROCPRIM_400000_NS6detail17trampoline_kernelINS0_14default_configENS1_25partition_config_selectorILNS1_17partition_subalgoE8ElNS0_10empty_typeEbEEZZNS1_14partition_implILS5_8ELb0ES3_jPlPS6_PKS6_NS0_5tupleIJS9_S6_EEENSD_IJSA_SA_EEENS0_18inequality_wrapperIZN2at6native12_GLOBAL__N_124unique_dim_cuda_templateIN3c104HalfEEESt5tupleIJNSH_6TensorESO_SO_EERKSO_lbbbEUlllE0_EEPmJS6_EEE10hipError_tPvRmT3_T4_T5_T6_T7_T9_mT8_P12ihipStream_tbDpT10_ENKUlT_T0_E_clISt17integral_constantIbLb1EES1E_EEDaS19_S1A_EUlS19_E_NS1_11comp_targetILNS1_3genE10ELNS1_11target_archE1200ELNS1_3gpuE4ELNS1_3repE0EEENS1_30default_config_static_selectorELNS0_4arch9wavefront6targetE1EEEvT1_: ; @_ZN7rocprim17ROCPRIM_400000_NS6detail17trampoline_kernelINS0_14default_configENS1_25partition_config_selectorILNS1_17partition_subalgoE8ElNS0_10empty_typeEbEEZZNS1_14partition_implILS5_8ELb0ES3_jPlPS6_PKS6_NS0_5tupleIJS9_S6_EEENSD_IJSA_SA_EEENS0_18inequality_wrapperIZN2at6native12_GLOBAL__N_124unique_dim_cuda_templateIN3c104HalfEEESt5tupleIJNSH_6TensorESO_SO_EERKSO_lbbbEUlllE0_EEPmJS6_EEE10hipError_tPvRmT3_T4_T5_T6_T7_T9_mT8_P12ihipStream_tbDpT10_ENKUlT_T0_E_clISt17integral_constantIbLb1EES1E_EEDaS19_S1A_EUlS19_E_NS1_11comp_targetILNS1_3genE10ELNS1_11target_archE1200ELNS1_3gpuE4ELNS1_3repE0EEENS1_30default_config_static_selectorELNS0_4arch9wavefront6targetE1EEEvT1_
; %bb.0:
	.section	.rodata,"a",@progbits
	.p2align	6, 0x0
	.amdhsa_kernel _ZN7rocprim17ROCPRIM_400000_NS6detail17trampoline_kernelINS0_14default_configENS1_25partition_config_selectorILNS1_17partition_subalgoE8ElNS0_10empty_typeEbEEZZNS1_14partition_implILS5_8ELb0ES3_jPlPS6_PKS6_NS0_5tupleIJS9_S6_EEENSD_IJSA_SA_EEENS0_18inequality_wrapperIZN2at6native12_GLOBAL__N_124unique_dim_cuda_templateIN3c104HalfEEESt5tupleIJNSH_6TensorESO_SO_EERKSO_lbbbEUlllE0_EEPmJS6_EEE10hipError_tPvRmT3_T4_T5_T6_T7_T9_mT8_P12ihipStream_tbDpT10_ENKUlT_T0_E_clISt17integral_constantIbLb1EES1E_EEDaS19_S1A_EUlS19_E_NS1_11comp_targetILNS1_3genE10ELNS1_11target_archE1200ELNS1_3gpuE4ELNS1_3repE0EEENS1_30default_config_static_selectorELNS0_4arch9wavefront6targetE1EEEvT1_
		.amdhsa_group_segment_fixed_size 0
		.amdhsa_private_segment_fixed_size 0
		.amdhsa_kernarg_size 136
		.amdhsa_user_sgpr_count 2
		.amdhsa_user_sgpr_dispatch_ptr 0
		.amdhsa_user_sgpr_queue_ptr 0
		.amdhsa_user_sgpr_kernarg_segment_ptr 1
		.amdhsa_user_sgpr_dispatch_id 0
		.amdhsa_user_sgpr_kernarg_preload_length 0
		.amdhsa_user_sgpr_kernarg_preload_offset 0
		.amdhsa_user_sgpr_private_segment_size 0
		.amdhsa_uses_dynamic_stack 0
		.amdhsa_enable_private_segment 0
		.amdhsa_system_sgpr_workgroup_id_x 1
		.amdhsa_system_sgpr_workgroup_id_y 0
		.amdhsa_system_sgpr_workgroup_id_z 0
		.amdhsa_system_sgpr_workgroup_info 0
		.amdhsa_system_vgpr_workitem_id 0
		.amdhsa_next_free_vgpr 1
		.amdhsa_next_free_sgpr 0
		.amdhsa_accum_offset 4
		.amdhsa_reserve_vcc 0
		.amdhsa_float_round_mode_32 0
		.amdhsa_float_round_mode_16_64 0
		.amdhsa_float_denorm_mode_32 3
		.amdhsa_float_denorm_mode_16_64 3
		.amdhsa_dx10_clamp 1
		.amdhsa_ieee_mode 1
		.amdhsa_fp16_overflow 0
		.amdhsa_tg_split 0
		.amdhsa_exception_fp_ieee_invalid_op 0
		.amdhsa_exception_fp_denorm_src 0
		.amdhsa_exception_fp_ieee_div_zero 0
		.amdhsa_exception_fp_ieee_overflow 0
		.amdhsa_exception_fp_ieee_underflow 0
		.amdhsa_exception_fp_ieee_inexact 0
		.amdhsa_exception_int_div_zero 0
	.end_amdhsa_kernel
	.section	.text._ZN7rocprim17ROCPRIM_400000_NS6detail17trampoline_kernelINS0_14default_configENS1_25partition_config_selectorILNS1_17partition_subalgoE8ElNS0_10empty_typeEbEEZZNS1_14partition_implILS5_8ELb0ES3_jPlPS6_PKS6_NS0_5tupleIJS9_S6_EEENSD_IJSA_SA_EEENS0_18inequality_wrapperIZN2at6native12_GLOBAL__N_124unique_dim_cuda_templateIN3c104HalfEEESt5tupleIJNSH_6TensorESO_SO_EERKSO_lbbbEUlllE0_EEPmJS6_EEE10hipError_tPvRmT3_T4_T5_T6_T7_T9_mT8_P12ihipStream_tbDpT10_ENKUlT_T0_E_clISt17integral_constantIbLb1EES1E_EEDaS19_S1A_EUlS19_E_NS1_11comp_targetILNS1_3genE10ELNS1_11target_archE1200ELNS1_3gpuE4ELNS1_3repE0EEENS1_30default_config_static_selectorELNS0_4arch9wavefront6targetE1EEEvT1_,"axG",@progbits,_ZN7rocprim17ROCPRIM_400000_NS6detail17trampoline_kernelINS0_14default_configENS1_25partition_config_selectorILNS1_17partition_subalgoE8ElNS0_10empty_typeEbEEZZNS1_14partition_implILS5_8ELb0ES3_jPlPS6_PKS6_NS0_5tupleIJS9_S6_EEENSD_IJSA_SA_EEENS0_18inequality_wrapperIZN2at6native12_GLOBAL__N_124unique_dim_cuda_templateIN3c104HalfEEESt5tupleIJNSH_6TensorESO_SO_EERKSO_lbbbEUlllE0_EEPmJS6_EEE10hipError_tPvRmT3_T4_T5_T6_T7_T9_mT8_P12ihipStream_tbDpT10_ENKUlT_T0_E_clISt17integral_constantIbLb1EES1E_EEDaS19_S1A_EUlS19_E_NS1_11comp_targetILNS1_3genE10ELNS1_11target_archE1200ELNS1_3gpuE4ELNS1_3repE0EEENS1_30default_config_static_selectorELNS0_4arch9wavefront6targetE1EEEvT1_,comdat
.Lfunc_end1310:
	.size	_ZN7rocprim17ROCPRIM_400000_NS6detail17trampoline_kernelINS0_14default_configENS1_25partition_config_selectorILNS1_17partition_subalgoE8ElNS0_10empty_typeEbEEZZNS1_14partition_implILS5_8ELb0ES3_jPlPS6_PKS6_NS0_5tupleIJS9_S6_EEENSD_IJSA_SA_EEENS0_18inequality_wrapperIZN2at6native12_GLOBAL__N_124unique_dim_cuda_templateIN3c104HalfEEESt5tupleIJNSH_6TensorESO_SO_EERKSO_lbbbEUlllE0_EEPmJS6_EEE10hipError_tPvRmT3_T4_T5_T6_T7_T9_mT8_P12ihipStream_tbDpT10_ENKUlT_T0_E_clISt17integral_constantIbLb1EES1E_EEDaS19_S1A_EUlS19_E_NS1_11comp_targetILNS1_3genE10ELNS1_11target_archE1200ELNS1_3gpuE4ELNS1_3repE0EEENS1_30default_config_static_selectorELNS0_4arch9wavefront6targetE1EEEvT1_, .Lfunc_end1310-_ZN7rocprim17ROCPRIM_400000_NS6detail17trampoline_kernelINS0_14default_configENS1_25partition_config_selectorILNS1_17partition_subalgoE8ElNS0_10empty_typeEbEEZZNS1_14partition_implILS5_8ELb0ES3_jPlPS6_PKS6_NS0_5tupleIJS9_S6_EEENSD_IJSA_SA_EEENS0_18inequality_wrapperIZN2at6native12_GLOBAL__N_124unique_dim_cuda_templateIN3c104HalfEEESt5tupleIJNSH_6TensorESO_SO_EERKSO_lbbbEUlllE0_EEPmJS6_EEE10hipError_tPvRmT3_T4_T5_T6_T7_T9_mT8_P12ihipStream_tbDpT10_ENKUlT_T0_E_clISt17integral_constantIbLb1EES1E_EEDaS19_S1A_EUlS19_E_NS1_11comp_targetILNS1_3genE10ELNS1_11target_archE1200ELNS1_3gpuE4ELNS1_3repE0EEENS1_30default_config_static_selectorELNS0_4arch9wavefront6targetE1EEEvT1_
                                        ; -- End function
	.set _ZN7rocprim17ROCPRIM_400000_NS6detail17trampoline_kernelINS0_14default_configENS1_25partition_config_selectorILNS1_17partition_subalgoE8ElNS0_10empty_typeEbEEZZNS1_14partition_implILS5_8ELb0ES3_jPlPS6_PKS6_NS0_5tupleIJS9_S6_EEENSD_IJSA_SA_EEENS0_18inequality_wrapperIZN2at6native12_GLOBAL__N_124unique_dim_cuda_templateIN3c104HalfEEESt5tupleIJNSH_6TensorESO_SO_EERKSO_lbbbEUlllE0_EEPmJS6_EEE10hipError_tPvRmT3_T4_T5_T6_T7_T9_mT8_P12ihipStream_tbDpT10_ENKUlT_T0_E_clISt17integral_constantIbLb1EES1E_EEDaS19_S1A_EUlS19_E_NS1_11comp_targetILNS1_3genE10ELNS1_11target_archE1200ELNS1_3gpuE4ELNS1_3repE0EEENS1_30default_config_static_selectorELNS0_4arch9wavefront6targetE1EEEvT1_.num_vgpr, 0
	.set _ZN7rocprim17ROCPRIM_400000_NS6detail17trampoline_kernelINS0_14default_configENS1_25partition_config_selectorILNS1_17partition_subalgoE8ElNS0_10empty_typeEbEEZZNS1_14partition_implILS5_8ELb0ES3_jPlPS6_PKS6_NS0_5tupleIJS9_S6_EEENSD_IJSA_SA_EEENS0_18inequality_wrapperIZN2at6native12_GLOBAL__N_124unique_dim_cuda_templateIN3c104HalfEEESt5tupleIJNSH_6TensorESO_SO_EERKSO_lbbbEUlllE0_EEPmJS6_EEE10hipError_tPvRmT3_T4_T5_T6_T7_T9_mT8_P12ihipStream_tbDpT10_ENKUlT_T0_E_clISt17integral_constantIbLb1EES1E_EEDaS19_S1A_EUlS19_E_NS1_11comp_targetILNS1_3genE10ELNS1_11target_archE1200ELNS1_3gpuE4ELNS1_3repE0EEENS1_30default_config_static_selectorELNS0_4arch9wavefront6targetE1EEEvT1_.num_agpr, 0
	.set _ZN7rocprim17ROCPRIM_400000_NS6detail17trampoline_kernelINS0_14default_configENS1_25partition_config_selectorILNS1_17partition_subalgoE8ElNS0_10empty_typeEbEEZZNS1_14partition_implILS5_8ELb0ES3_jPlPS6_PKS6_NS0_5tupleIJS9_S6_EEENSD_IJSA_SA_EEENS0_18inequality_wrapperIZN2at6native12_GLOBAL__N_124unique_dim_cuda_templateIN3c104HalfEEESt5tupleIJNSH_6TensorESO_SO_EERKSO_lbbbEUlllE0_EEPmJS6_EEE10hipError_tPvRmT3_T4_T5_T6_T7_T9_mT8_P12ihipStream_tbDpT10_ENKUlT_T0_E_clISt17integral_constantIbLb1EES1E_EEDaS19_S1A_EUlS19_E_NS1_11comp_targetILNS1_3genE10ELNS1_11target_archE1200ELNS1_3gpuE4ELNS1_3repE0EEENS1_30default_config_static_selectorELNS0_4arch9wavefront6targetE1EEEvT1_.numbered_sgpr, 0
	.set _ZN7rocprim17ROCPRIM_400000_NS6detail17trampoline_kernelINS0_14default_configENS1_25partition_config_selectorILNS1_17partition_subalgoE8ElNS0_10empty_typeEbEEZZNS1_14partition_implILS5_8ELb0ES3_jPlPS6_PKS6_NS0_5tupleIJS9_S6_EEENSD_IJSA_SA_EEENS0_18inequality_wrapperIZN2at6native12_GLOBAL__N_124unique_dim_cuda_templateIN3c104HalfEEESt5tupleIJNSH_6TensorESO_SO_EERKSO_lbbbEUlllE0_EEPmJS6_EEE10hipError_tPvRmT3_T4_T5_T6_T7_T9_mT8_P12ihipStream_tbDpT10_ENKUlT_T0_E_clISt17integral_constantIbLb1EES1E_EEDaS19_S1A_EUlS19_E_NS1_11comp_targetILNS1_3genE10ELNS1_11target_archE1200ELNS1_3gpuE4ELNS1_3repE0EEENS1_30default_config_static_selectorELNS0_4arch9wavefront6targetE1EEEvT1_.num_named_barrier, 0
	.set _ZN7rocprim17ROCPRIM_400000_NS6detail17trampoline_kernelINS0_14default_configENS1_25partition_config_selectorILNS1_17partition_subalgoE8ElNS0_10empty_typeEbEEZZNS1_14partition_implILS5_8ELb0ES3_jPlPS6_PKS6_NS0_5tupleIJS9_S6_EEENSD_IJSA_SA_EEENS0_18inequality_wrapperIZN2at6native12_GLOBAL__N_124unique_dim_cuda_templateIN3c104HalfEEESt5tupleIJNSH_6TensorESO_SO_EERKSO_lbbbEUlllE0_EEPmJS6_EEE10hipError_tPvRmT3_T4_T5_T6_T7_T9_mT8_P12ihipStream_tbDpT10_ENKUlT_T0_E_clISt17integral_constantIbLb1EES1E_EEDaS19_S1A_EUlS19_E_NS1_11comp_targetILNS1_3genE10ELNS1_11target_archE1200ELNS1_3gpuE4ELNS1_3repE0EEENS1_30default_config_static_selectorELNS0_4arch9wavefront6targetE1EEEvT1_.private_seg_size, 0
	.set _ZN7rocprim17ROCPRIM_400000_NS6detail17trampoline_kernelINS0_14default_configENS1_25partition_config_selectorILNS1_17partition_subalgoE8ElNS0_10empty_typeEbEEZZNS1_14partition_implILS5_8ELb0ES3_jPlPS6_PKS6_NS0_5tupleIJS9_S6_EEENSD_IJSA_SA_EEENS0_18inequality_wrapperIZN2at6native12_GLOBAL__N_124unique_dim_cuda_templateIN3c104HalfEEESt5tupleIJNSH_6TensorESO_SO_EERKSO_lbbbEUlllE0_EEPmJS6_EEE10hipError_tPvRmT3_T4_T5_T6_T7_T9_mT8_P12ihipStream_tbDpT10_ENKUlT_T0_E_clISt17integral_constantIbLb1EES1E_EEDaS19_S1A_EUlS19_E_NS1_11comp_targetILNS1_3genE10ELNS1_11target_archE1200ELNS1_3gpuE4ELNS1_3repE0EEENS1_30default_config_static_selectorELNS0_4arch9wavefront6targetE1EEEvT1_.uses_vcc, 0
	.set _ZN7rocprim17ROCPRIM_400000_NS6detail17trampoline_kernelINS0_14default_configENS1_25partition_config_selectorILNS1_17partition_subalgoE8ElNS0_10empty_typeEbEEZZNS1_14partition_implILS5_8ELb0ES3_jPlPS6_PKS6_NS0_5tupleIJS9_S6_EEENSD_IJSA_SA_EEENS0_18inequality_wrapperIZN2at6native12_GLOBAL__N_124unique_dim_cuda_templateIN3c104HalfEEESt5tupleIJNSH_6TensorESO_SO_EERKSO_lbbbEUlllE0_EEPmJS6_EEE10hipError_tPvRmT3_T4_T5_T6_T7_T9_mT8_P12ihipStream_tbDpT10_ENKUlT_T0_E_clISt17integral_constantIbLb1EES1E_EEDaS19_S1A_EUlS19_E_NS1_11comp_targetILNS1_3genE10ELNS1_11target_archE1200ELNS1_3gpuE4ELNS1_3repE0EEENS1_30default_config_static_selectorELNS0_4arch9wavefront6targetE1EEEvT1_.uses_flat_scratch, 0
	.set _ZN7rocprim17ROCPRIM_400000_NS6detail17trampoline_kernelINS0_14default_configENS1_25partition_config_selectorILNS1_17partition_subalgoE8ElNS0_10empty_typeEbEEZZNS1_14partition_implILS5_8ELb0ES3_jPlPS6_PKS6_NS0_5tupleIJS9_S6_EEENSD_IJSA_SA_EEENS0_18inequality_wrapperIZN2at6native12_GLOBAL__N_124unique_dim_cuda_templateIN3c104HalfEEESt5tupleIJNSH_6TensorESO_SO_EERKSO_lbbbEUlllE0_EEPmJS6_EEE10hipError_tPvRmT3_T4_T5_T6_T7_T9_mT8_P12ihipStream_tbDpT10_ENKUlT_T0_E_clISt17integral_constantIbLb1EES1E_EEDaS19_S1A_EUlS19_E_NS1_11comp_targetILNS1_3genE10ELNS1_11target_archE1200ELNS1_3gpuE4ELNS1_3repE0EEENS1_30default_config_static_selectorELNS0_4arch9wavefront6targetE1EEEvT1_.has_dyn_sized_stack, 0
	.set _ZN7rocprim17ROCPRIM_400000_NS6detail17trampoline_kernelINS0_14default_configENS1_25partition_config_selectorILNS1_17partition_subalgoE8ElNS0_10empty_typeEbEEZZNS1_14partition_implILS5_8ELb0ES3_jPlPS6_PKS6_NS0_5tupleIJS9_S6_EEENSD_IJSA_SA_EEENS0_18inequality_wrapperIZN2at6native12_GLOBAL__N_124unique_dim_cuda_templateIN3c104HalfEEESt5tupleIJNSH_6TensorESO_SO_EERKSO_lbbbEUlllE0_EEPmJS6_EEE10hipError_tPvRmT3_T4_T5_T6_T7_T9_mT8_P12ihipStream_tbDpT10_ENKUlT_T0_E_clISt17integral_constantIbLb1EES1E_EEDaS19_S1A_EUlS19_E_NS1_11comp_targetILNS1_3genE10ELNS1_11target_archE1200ELNS1_3gpuE4ELNS1_3repE0EEENS1_30default_config_static_selectorELNS0_4arch9wavefront6targetE1EEEvT1_.has_recursion, 0
	.set _ZN7rocprim17ROCPRIM_400000_NS6detail17trampoline_kernelINS0_14default_configENS1_25partition_config_selectorILNS1_17partition_subalgoE8ElNS0_10empty_typeEbEEZZNS1_14partition_implILS5_8ELb0ES3_jPlPS6_PKS6_NS0_5tupleIJS9_S6_EEENSD_IJSA_SA_EEENS0_18inequality_wrapperIZN2at6native12_GLOBAL__N_124unique_dim_cuda_templateIN3c104HalfEEESt5tupleIJNSH_6TensorESO_SO_EERKSO_lbbbEUlllE0_EEPmJS6_EEE10hipError_tPvRmT3_T4_T5_T6_T7_T9_mT8_P12ihipStream_tbDpT10_ENKUlT_T0_E_clISt17integral_constantIbLb1EES1E_EEDaS19_S1A_EUlS19_E_NS1_11comp_targetILNS1_3genE10ELNS1_11target_archE1200ELNS1_3gpuE4ELNS1_3repE0EEENS1_30default_config_static_selectorELNS0_4arch9wavefront6targetE1EEEvT1_.has_indirect_call, 0
	.section	.AMDGPU.csdata,"",@progbits
; Kernel info:
; codeLenInByte = 0
; TotalNumSgprs: 6
; NumVgprs: 0
; NumAgprs: 0
; TotalNumVgprs: 0
; ScratchSize: 0
; MemoryBound: 0
; FloatMode: 240
; IeeeMode: 1
; LDSByteSize: 0 bytes/workgroup (compile time only)
; SGPRBlocks: 0
; VGPRBlocks: 0
; NumSGPRsForWavesPerEU: 6
; NumVGPRsForWavesPerEU: 1
; AccumOffset: 4
; Occupancy: 8
; WaveLimiterHint : 0
; COMPUTE_PGM_RSRC2:SCRATCH_EN: 0
; COMPUTE_PGM_RSRC2:USER_SGPR: 2
; COMPUTE_PGM_RSRC2:TRAP_HANDLER: 0
; COMPUTE_PGM_RSRC2:TGID_X_EN: 1
; COMPUTE_PGM_RSRC2:TGID_Y_EN: 0
; COMPUTE_PGM_RSRC2:TGID_Z_EN: 0
; COMPUTE_PGM_RSRC2:TIDIG_COMP_CNT: 0
; COMPUTE_PGM_RSRC3_GFX90A:ACCUM_OFFSET: 0
; COMPUTE_PGM_RSRC3_GFX90A:TG_SPLIT: 0
	.section	.text._ZN7rocprim17ROCPRIM_400000_NS6detail17trampoline_kernelINS0_14default_configENS1_25partition_config_selectorILNS1_17partition_subalgoE8ElNS0_10empty_typeEbEEZZNS1_14partition_implILS5_8ELb0ES3_jPlPS6_PKS6_NS0_5tupleIJS9_S6_EEENSD_IJSA_SA_EEENS0_18inequality_wrapperIZN2at6native12_GLOBAL__N_124unique_dim_cuda_templateIN3c104HalfEEESt5tupleIJNSH_6TensorESO_SO_EERKSO_lbbbEUlllE0_EEPmJS6_EEE10hipError_tPvRmT3_T4_T5_T6_T7_T9_mT8_P12ihipStream_tbDpT10_ENKUlT_T0_E_clISt17integral_constantIbLb1EES1E_EEDaS19_S1A_EUlS19_E_NS1_11comp_targetILNS1_3genE9ELNS1_11target_archE1100ELNS1_3gpuE3ELNS1_3repE0EEENS1_30default_config_static_selectorELNS0_4arch9wavefront6targetE1EEEvT1_,"axG",@progbits,_ZN7rocprim17ROCPRIM_400000_NS6detail17trampoline_kernelINS0_14default_configENS1_25partition_config_selectorILNS1_17partition_subalgoE8ElNS0_10empty_typeEbEEZZNS1_14partition_implILS5_8ELb0ES3_jPlPS6_PKS6_NS0_5tupleIJS9_S6_EEENSD_IJSA_SA_EEENS0_18inequality_wrapperIZN2at6native12_GLOBAL__N_124unique_dim_cuda_templateIN3c104HalfEEESt5tupleIJNSH_6TensorESO_SO_EERKSO_lbbbEUlllE0_EEPmJS6_EEE10hipError_tPvRmT3_T4_T5_T6_T7_T9_mT8_P12ihipStream_tbDpT10_ENKUlT_T0_E_clISt17integral_constantIbLb1EES1E_EEDaS19_S1A_EUlS19_E_NS1_11comp_targetILNS1_3genE9ELNS1_11target_archE1100ELNS1_3gpuE3ELNS1_3repE0EEENS1_30default_config_static_selectorELNS0_4arch9wavefront6targetE1EEEvT1_,comdat
	.globl	_ZN7rocprim17ROCPRIM_400000_NS6detail17trampoline_kernelINS0_14default_configENS1_25partition_config_selectorILNS1_17partition_subalgoE8ElNS0_10empty_typeEbEEZZNS1_14partition_implILS5_8ELb0ES3_jPlPS6_PKS6_NS0_5tupleIJS9_S6_EEENSD_IJSA_SA_EEENS0_18inequality_wrapperIZN2at6native12_GLOBAL__N_124unique_dim_cuda_templateIN3c104HalfEEESt5tupleIJNSH_6TensorESO_SO_EERKSO_lbbbEUlllE0_EEPmJS6_EEE10hipError_tPvRmT3_T4_T5_T6_T7_T9_mT8_P12ihipStream_tbDpT10_ENKUlT_T0_E_clISt17integral_constantIbLb1EES1E_EEDaS19_S1A_EUlS19_E_NS1_11comp_targetILNS1_3genE9ELNS1_11target_archE1100ELNS1_3gpuE3ELNS1_3repE0EEENS1_30default_config_static_selectorELNS0_4arch9wavefront6targetE1EEEvT1_ ; -- Begin function _ZN7rocprim17ROCPRIM_400000_NS6detail17trampoline_kernelINS0_14default_configENS1_25partition_config_selectorILNS1_17partition_subalgoE8ElNS0_10empty_typeEbEEZZNS1_14partition_implILS5_8ELb0ES3_jPlPS6_PKS6_NS0_5tupleIJS9_S6_EEENSD_IJSA_SA_EEENS0_18inequality_wrapperIZN2at6native12_GLOBAL__N_124unique_dim_cuda_templateIN3c104HalfEEESt5tupleIJNSH_6TensorESO_SO_EERKSO_lbbbEUlllE0_EEPmJS6_EEE10hipError_tPvRmT3_T4_T5_T6_T7_T9_mT8_P12ihipStream_tbDpT10_ENKUlT_T0_E_clISt17integral_constantIbLb1EES1E_EEDaS19_S1A_EUlS19_E_NS1_11comp_targetILNS1_3genE9ELNS1_11target_archE1100ELNS1_3gpuE3ELNS1_3repE0EEENS1_30default_config_static_selectorELNS0_4arch9wavefront6targetE1EEEvT1_
	.p2align	8
	.type	_ZN7rocprim17ROCPRIM_400000_NS6detail17trampoline_kernelINS0_14default_configENS1_25partition_config_selectorILNS1_17partition_subalgoE8ElNS0_10empty_typeEbEEZZNS1_14partition_implILS5_8ELb0ES3_jPlPS6_PKS6_NS0_5tupleIJS9_S6_EEENSD_IJSA_SA_EEENS0_18inequality_wrapperIZN2at6native12_GLOBAL__N_124unique_dim_cuda_templateIN3c104HalfEEESt5tupleIJNSH_6TensorESO_SO_EERKSO_lbbbEUlllE0_EEPmJS6_EEE10hipError_tPvRmT3_T4_T5_T6_T7_T9_mT8_P12ihipStream_tbDpT10_ENKUlT_T0_E_clISt17integral_constantIbLb1EES1E_EEDaS19_S1A_EUlS19_E_NS1_11comp_targetILNS1_3genE9ELNS1_11target_archE1100ELNS1_3gpuE3ELNS1_3repE0EEENS1_30default_config_static_selectorELNS0_4arch9wavefront6targetE1EEEvT1_,@function
_ZN7rocprim17ROCPRIM_400000_NS6detail17trampoline_kernelINS0_14default_configENS1_25partition_config_selectorILNS1_17partition_subalgoE8ElNS0_10empty_typeEbEEZZNS1_14partition_implILS5_8ELb0ES3_jPlPS6_PKS6_NS0_5tupleIJS9_S6_EEENSD_IJSA_SA_EEENS0_18inequality_wrapperIZN2at6native12_GLOBAL__N_124unique_dim_cuda_templateIN3c104HalfEEESt5tupleIJNSH_6TensorESO_SO_EERKSO_lbbbEUlllE0_EEPmJS6_EEE10hipError_tPvRmT3_T4_T5_T6_T7_T9_mT8_P12ihipStream_tbDpT10_ENKUlT_T0_E_clISt17integral_constantIbLb1EES1E_EEDaS19_S1A_EUlS19_E_NS1_11comp_targetILNS1_3genE9ELNS1_11target_archE1100ELNS1_3gpuE3ELNS1_3repE0EEENS1_30default_config_static_selectorELNS0_4arch9wavefront6targetE1EEEvT1_: ; @_ZN7rocprim17ROCPRIM_400000_NS6detail17trampoline_kernelINS0_14default_configENS1_25partition_config_selectorILNS1_17partition_subalgoE8ElNS0_10empty_typeEbEEZZNS1_14partition_implILS5_8ELb0ES3_jPlPS6_PKS6_NS0_5tupleIJS9_S6_EEENSD_IJSA_SA_EEENS0_18inequality_wrapperIZN2at6native12_GLOBAL__N_124unique_dim_cuda_templateIN3c104HalfEEESt5tupleIJNSH_6TensorESO_SO_EERKSO_lbbbEUlllE0_EEPmJS6_EEE10hipError_tPvRmT3_T4_T5_T6_T7_T9_mT8_P12ihipStream_tbDpT10_ENKUlT_T0_E_clISt17integral_constantIbLb1EES1E_EEDaS19_S1A_EUlS19_E_NS1_11comp_targetILNS1_3genE9ELNS1_11target_archE1100ELNS1_3gpuE3ELNS1_3repE0EEENS1_30default_config_static_selectorELNS0_4arch9wavefront6targetE1EEEvT1_
; %bb.0:
	.section	.rodata,"a",@progbits
	.p2align	6, 0x0
	.amdhsa_kernel _ZN7rocprim17ROCPRIM_400000_NS6detail17trampoline_kernelINS0_14default_configENS1_25partition_config_selectorILNS1_17partition_subalgoE8ElNS0_10empty_typeEbEEZZNS1_14partition_implILS5_8ELb0ES3_jPlPS6_PKS6_NS0_5tupleIJS9_S6_EEENSD_IJSA_SA_EEENS0_18inequality_wrapperIZN2at6native12_GLOBAL__N_124unique_dim_cuda_templateIN3c104HalfEEESt5tupleIJNSH_6TensorESO_SO_EERKSO_lbbbEUlllE0_EEPmJS6_EEE10hipError_tPvRmT3_T4_T5_T6_T7_T9_mT8_P12ihipStream_tbDpT10_ENKUlT_T0_E_clISt17integral_constantIbLb1EES1E_EEDaS19_S1A_EUlS19_E_NS1_11comp_targetILNS1_3genE9ELNS1_11target_archE1100ELNS1_3gpuE3ELNS1_3repE0EEENS1_30default_config_static_selectorELNS0_4arch9wavefront6targetE1EEEvT1_
		.amdhsa_group_segment_fixed_size 0
		.amdhsa_private_segment_fixed_size 0
		.amdhsa_kernarg_size 136
		.amdhsa_user_sgpr_count 2
		.amdhsa_user_sgpr_dispatch_ptr 0
		.amdhsa_user_sgpr_queue_ptr 0
		.amdhsa_user_sgpr_kernarg_segment_ptr 1
		.amdhsa_user_sgpr_dispatch_id 0
		.amdhsa_user_sgpr_kernarg_preload_length 0
		.amdhsa_user_sgpr_kernarg_preload_offset 0
		.amdhsa_user_sgpr_private_segment_size 0
		.amdhsa_uses_dynamic_stack 0
		.amdhsa_enable_private_segment 0
		.amdhsa_system_sgpr_workgroup_id_x 1
		.amdhsa_system_sgpr_workgroup_id_y 0
		.amdhsa_system_sgpr_workgroup_id_z 0
		.amdhsa_system_sgpr_workgroup_info 0
		.amdhsa_system_vgpr_workitem_id 0
		.amdhsa_next_free_vgpr 1
		.amdhsa_next_free_sgpr 0
		.amdhsa_accum_offset 4
		.amdhsa_reserve_vcc 0
		.amdhsa_float_round_mode_32 0
		.amdhsa_float_round_mode_16_64 0
		.amdhsa_float_denorm_mode_32 3
		.amdhsa_float_denorm_mode_16_64 3
		.amdhsa_dx10_clamp 1
		.amdhsa_ieee_mode 1
		.amdhsa_fp16_overflow 0
		.amdhsa_tg_split 0
		.amdhsa_exception_fp_ieee_invalid_op 0
		.amdhsa_exception_fp_denorm_src 0
		.amdhsa_exception_fp_ieee_div_zero 0
		.amdhsa_exception_fp_ieee_overflow 0
		.amdhsa_exception_fp_ieee_underflow 0
		.amdhsa_exception_fp_ieee_inexact 0
		.amdhsa_exception_int_div_zero 0
	.end_amdhsa_kernel
	.section	.text._ZN7rocprim17ROCPRIM_400000_NS6detail17trampoline_kernelINS0_14default_configENS1_25partition_config_selectorILNS1_17partition_subalgoE8ElNS0_10empty_typeEbEEZZNS1_14partition_implILS5_8ELb0ES3_jPlPS6_PKS6_NS0_5tupleIJS9_S6_EEENSD_IJSA_SA_EEENS0_18inequality_wrapperIZN2at6native12_GLOBAL__N_124unique_dim_cuda_templateIN3c104HalfEEESt5tupleIJNSH_6TensorESO_SO_EERKSO_lbbbEUlllE0_EEPmJS6_EEE10hipError_tPvRmT3_T4_T5_T6_T7_T9_mT8_P12ihipStream_tbDpT10_ENKUlT_T0_E_clISt17integral_constantIbLb1EES1E_EEDaS19_S1A_EUlS19_E_NS1_11comp_targetILNS1_3genE9ELNS1_11target_archE1100ELNS1_3gpuE3ELNS1_3repE0EEENS1_30default_config_static_selectorELNS0_4arch9wavefront6targetE1EEEvT1_,"axG",@progbits,_ZN7rocprim17ROCPRIM_400000_NS6detail17trampoline_kernelINS0_14default_configENS1_25partition_config_selectorILNS1_17partition_subalgoE8ElNS0_10empty_typeEbEEZZNS1_14partition_implILS5_8ELb0ES3_jPlPS6_PKS6_NS0_5tupleIJS9_S6_EEENSD_IJSA_SA_EEENS0_18inequality_wrapperIZN2at6native12_GLOBAL__N_124unique_dim_cuda_templateIN3c104HalfEEESt5tupleIJNSH_6TensorESO_SO_EERKSO_lbbbEUlllE0_EEPmJS6_EEE10hipError_tPvRmT3_T4_T5_T6_T7_T9_mT8_P12ihipStream_tbDpT10_ENKUlT_T0_E_clISt17integral_constantIbLb1EES1E_EEDaS19_S1A_EUlS19_E_NS1_11comp_targetILNS1_3genE9ELNS1_11target_archE1100ELNS1_3gpuE3ELNS1_3repE0EEENS1_30default_config_static_selectorELNS0_4arch9wavefront6targetE1EEEvT1_,comdat
.Lfunc_end1311:
	.size	_ZN7rocprim17ROCPRIM_400000_NS6detail17trampoline_kernelINS0_14default_configENS1_25partition_config_selectorILNS1_17partition_subalgoE8ElNS0_10empty_typeEbEEZZNS1_14partition_implILS5_8ELb0ES3_jPlPS6_PKS6_NS0_5tupleIJS9_S6_EEENSD_IJSA_SA_EEENS0_18inequality_wrapperIZN2at6native12_GLOBAL__N_124unique_dim_cuda_templateIN3c104HalfEEESt5tupleIJNSH_6TensorESO_SO_EERKSO_lbbbEUlllE0_EEPmJS6_EEE10hipError_tPvRmT3_T4_T5_T6_T7_T9_mT8_P12ihipStream_tbDpT10_ENKUlT_T0_E_clISt17integral_constantIbLb1EES1E_EEDaS19_S1A_EUlS19_E_NS1_11comp_targetILNS1_3genE9ELNS1_11target_archE1100ELNS1_3gpuE3ELNS1_3repE0EEENS1_30default_config_static_selectorELNS0_4arch9wavefront6targetE1EEEvT1_, .Lfunc_end1311-_ZN7rocprim17ROCPRIM_400000_NS6detail17trampoline_kernelINS0_14default_configENS1_25partition_config_selectorILNS1_17partition_subalgoE8ElNS0_10empty_typeEbEEZZNS1_14partition_implILS5_8ELb0ES3_jPlPS6_PKS6_NS0_5tupleIJS9_S6_EEENSD_IJSA_SA_EEENS0_18inequality_wrapperIZN2at6native12_GLOBAL__N_124unique_dim_cuda_templateIN3c104HalfEEESt5tupleIJNSH_6TensorESO_SO_EERKSO_lbbbEUlllE0_EEPmJS6_EEE10hipError_tPvRmT3_T4_T5_T6_T7_T9_mT8_P12ihipStream_tbDpT10_ENKUlT_T0_E_clISt17integral_constantIbLb1EES1E_EEDaS19_S1A_EUlS19_E_NS1_11comp_targetILNS1_3genE9ELNS1_11target_archE1100ELNS1_3gpuE3ELNS1_3repE0EEENS1_30default_config_static_selectorELNS0_4arch9wavefront6targetE1EEEvT1_
                                        ; -- End function
	.set _ZN7rocprim17ROCPRIM_400000_NS6detail17trampoline_kernelINS0_14default_configENS1_25partition_config_selectorILNS1_17partition_subalgoE8ElNS0_10empty_typeEbEEZZNS1_14partition_implILS5_8ELb0ES3_jPlPS6_PKS6_NS0_5tupleIJS9_S6_EEENSD_IJSA_SA_EEENS0_18inequality_wrapperIZN2at6native12_GLOBAL__N_124unique_dim_cuda_templateIN3c104HalfEEESt5tupleIJNSH_6TensorESO_SO_EERKSO_lbbbEUlllE0_EEPmJS6_EEE10hipError_tPvRmT3_T4_T5_T6_T7_T9_mT8_P12ihipStream_tbDpT10_ENKUlT_T0_E_clISt17integral_constantIbLb1EES1E_EEDaS19_S1A_EUlS19_E_NS1_11comp_targetILNS1_3genE9ELNS1_11target_archE1100ELNS1_3gpuE3ELNS1_3repE0EEENS1_30default_config_static_selectorELNS0_4arch9wavefront6targetE1EEEvT1_.num_vgpr, 0
	.set _ZN7rocprim17ROCPRIM_400000_NS6detail17trampoline_kernelINS0_14default_configENS1_25partition_config_selectorILNS1_17partition_subalgoE8ElNS0_10empty_typeEbEEZZNS1_14partition_implILS5_8ELb0ES3_jPlPS6_PKS6_NS0_5tupleIJS9_S6_EEENSD_IJSA_SA_EEENS0_18inequality_wrapperIZN2at6native12_GLOBAL__N_124unique_dim_cuda_templateIN3c104HalfEEESt5tupleIJNSH_6TensorESO_SO_EERKSO_lbbbEUlllE0_EEPmJS6_EEE10hipError_tPvRmT3_T4_T5_T6_T7_T9_mT8_P12ihipStream_tbDpT10_ENKUlT_T0_E_clISt17integral_constantIbLb1EES1E_EEDaS19_S1A_EUlS19_E_NS1_11comp_targetILNS1_3genE9ELNS1_11target_archE1100ELNS1_3gpuE3ELNS1_3repE0EEENS1_30default_config_static_selectorELNS0_4arch9wavefront6targetE1EEEvT1_.num_agpr, 0
	.set _ZN7rocprim17ROCPRIM_400000_NS6detail17trampoline_kernelINS0_14default_configENS1_25partition_config_selectorILNS1_17partition_subalgoE8ElNS0_10empty_typeEbEEZZNS1_14partition_implILS5_8ELb0ES3_jPlPS6_PKS6_NS0_5tupleIJS9_S6_EEENSD_IJSA_SA_EEENS0_18inequality_wrapperIZN2at6native12_GLOBAL__N_124unique_dim_cuda_templateIN3c104HalfEEESt5tupleIJNSH_6TensorESO_SO_EERKSO_lbbbEUlllE0_EEPmJS6_EEE10hipError_tPvRmT3_T4_T5_T6_T7_T9_mT8_P12ihipStream_tbDpT10_ENKUlT_T0_E_clISt17integral_constantIbLb1EES1E_EEDaS19_S1A_EUlS19_E_NS1_11comp_targetILNS1_3genE9ELNS1_11target_archE1100ELNS1_3gpuE3ELNS1_3repE0EEENS1_30default_config_static_selectorELNS0_4arch9wavefront6targetE1EEEvT1_.numbered_sgpr, 0
	.set _ZN7rocprim17ROCPRIM_400000_NS6detail17trampoline_kernelINS0_14default_configENS1_25partition_config_selectorILNS1_17partition_subalgoE8ElNS0_10empty_typeEbEEZZNS1_14partition_implILS5_8ELb0ES3_jPlPS6_PKS6_NS0_5tupleIJS9_S6_EEENSD_IJSA_SA_EEENS0_18inequality_wrapperIZN2at6native12_GLOBAL__N_124unique_dim_cuda_templateIN3c104HalfEEESt5tupleIJNSH_6TensorESO_SO_EERKSO_lbbbEUlllE0_EEPmJS6_EEE10hipError_tPvRmT3_T4_T5_T6_T7_T9_mT8_P12ihipStream_tbDpT10_ENKUlT_T0_E_clISt17integral_constantIbLb1EES1E_EEDaS19_S1A_EUlS19_E_NS1_11comp_targetILNS1_3genE9ELNS1_11target_archE1100ELNS1_3gpuE3ELNS1_3repE0EEENS1_30default_config_static_selectorELNS0_4arch9wavefront6targetE1EEEvT1_.num_named_barrier, 0
	.set _ZN7rocprim17ROCPRIM_400000_NS6detail17trampoline_kernelINS0_14default_configENS1_25partition_config_selectorILNS1_17partition_subalgoE8ElNS0_10empty_typeEbEEZZNS1_14partition_implILS5_8ELb0ES3_jPlPS6_PKS6_NS0_5tupleIJS9_S6_EEENSD_IJSA_SA_EEENS0_18inequality_wrapperIZN2at6native12_GLOBAL__N_124unique_dim_cuda_templateIN3c104HalfEEESt5tupleIJNSH_6TensorESO_SO_EERKSO_lbbbEUlllE0_EEPmJS6_EEE10hipError_tPvRmT3_T4_T5_T6_T7_T9_mT8_P12ihipStream_tbDpT10_ENKUlT_T0_E_clISt17integral_constantIbLb1EES1E_EEDaS19_S1A_EUlS19_E_NS1_11comp_targetILNS1_3genE9ELNS1_11target_archE1100ELNS1_3gpuE3ELNS1_3repE0EEENS1_30default_config_static_selectorELNS0_4arch9wavefront6targetE1EEEvT1_.private_seg_size, 0
	.set _ZN7rocprim17ROCPRIM_400000_NS6detail17trampoline_kernelINS0_14default_configENS1_25partition_config_selectorILNS1_17partition_subalgoE8ElNS0_10empty_typeEbEEZZNS1_14partition_implILS5_8ELb0ES3_jPlPS6_PKS6_NS0_5tupleIJS9_S6_EEENSD_IJSA_SA_EEENS0_18inequality_wrapperIZN2at6native12_GLOBAL__N_124unique_dim_cuda_templateIN3c104HalfEEESt5tupleIJNSH_6TensorESO_SO_EERKSO_lbbbEUlllE0_EEPmJS6_EEE10hipError_tPvRmT3_T4_T5_T6_T7_T9_mT8_P12ihipStream_tbDpT10_ENKUlT_T0_E_clISt17integral_constantIbLb1EES1E_EEDaS19_S1A_EUlS19_E_NS1_11comp_targetILNS1_3genE9ELNS1_11target_archE1100ELNS1_3gpuE3ELNS1_3repE0EEENS1_30default_config_static_selectorELNS0_4arch9wavefront6targetE1EEEvT1_.uses_vcc, 0
	.set _ZN7rocprim17ROCPRIM_400000_NS6detail17trampoline_kernelINS0_14default_configENS1_25partition_config_selectorILNS1_17partition_subalgoE8ElNS0_10empty_typeEbEEZZNS1_14partition_implILS5_8ELb0ES3_jPlPS6_PKS6_NS0_5tupleIJS9_S6_EEENSD_IJSA_SA_EEENS0_18inequality_wrapperIZN2at6native12_GLOBAL__N_124unique_dim_cuda_templateIN3c104HalfEEESt5tupleIJNSH_6TensorESO_SO_EERKSO_lbbbEUlllE0_EEPmJS6_EEE10hipError_tPvRmT3_T4_T5_T6_T7_T9_mT8_P12ihipStream_tbDpT10_ENKUlT_T0_E_clISt17integral_constantIbLb1EES1E_EEDaS19_S1A_EUlS19_E_NS1_11comp_targetILNS1_3genE9ELNS1_11target_archE1100ELNS1_3gpuE3ELNS1_3repE0EEENS1_30default_config_static_selectorELNS0_4arch9wavefront6targetE1EEEvT1_.uses_flat_scratch, 0
	.set _ZN7rocprim17ROCPRIM_400000_NS6detail17trampoline_kernelINS0_14default_configENS1_25partition_config_selectorILNS1_17partition_subalgoE8ElNS0_10empty_typeEbEEZZNS1_14partition_implILS5_8ELb0ES3_jPlPS6_PKS6_NS0_5tupleIJS9_S6_EEENSD_IJSA_SA_EEENS0_18inequality_wrapperIZN2at6native12_GLOBAL__N_124unique_dim_cuda_templateIN3c104HalfEEESt5tupleIJNSH_6TensorESO_SO_EERKSO_lbbbEUlllE0_EEPmJS6_EEE10hipError_tPvRmT3_T4_T5_T6_T7_T9_mT8_P12ihipStream_tbDpT10_ENKUlT_T0_E_clISt17integral_constantIbLb1EES1E_EEDaS19_S1A_EUlS19_E_NS1_11comp_targetILNS1_3genE9ELNS1_11target_archE1100ELNS1_3gpuE3ELNS1_3repE0EEENS1_30default_config_static_selectorELNS0_4arch9wavefront6targetE1EEEvT1_.has_dyn_sized_stack, 0
	.set _ZN7rocprim17ROCPRIM_400000_NS6detail17trampoline_kernelINS0_14default_configENS1_25partition_config_selectorILNS1_17partition_subalgoE8ElNS0_10empty_typeEbEEZZNS1_14partition_implILS5_8ELb0ES3_jPlPS6_PKS6_NS0_5tupleIJS9_S6_EEENSD_IJSA_SA_EEENS0_18inequality_wrapperIZN2at6native12_GLOBAL__N_124unique_dim_cuda_templateIN3c104HalfEEESt5tupleIJNSH_6TensorESO_SO_EERKSO_lbbbEUlllE0_EEPmJS6_EEE10hipError_tPvRmT3_T4_T5_T6_T7_T9_mT8_P12ihipStream_tbDpT10_ENKUlT_T0_E_clISt17integral_constantIbLb1EES1E_EEDaS19_S1A_EUlS19_E_NS1_11comp_targetILNS1_3genE9ELNS1_11target_archE1100ELNS1_3gpuE3ELNS1_3repE0EEENS1_30default_config_static_selectorELNS0_4arch9wavefront6targetE1EEEvT1_.has_recursion, 0
	.set _ZN7rocprim17ROCPRIM_400000_NS6detail17trampoline_kernelINS0_14default_configENS1_25partition_config_selectorILNS1_17partition_subalgoE8ElNS0_10empty_typeEbEEZZNS1_14partition_implILS5_8ELb0ES3_jPlPS6_PKS6_NS0_5tupleIJS9_S6_EEENSD_IJSA_SA_EEENS0_18inequality_wrapperIZN2at6native12_GLOBAL__N_124unique_dim_cuda_templateIN3c104HalfEEESt5tupleIJNSH_6TensorESO_SO_EERKSO_lbbbEUlllE0_EEPmJS6_EEE10hipError_tPvRmT3_T4_T5_T6_T7_T9_mT8_P12ihipStream_tbDpT10_ENKUlT_T0_E_clISt17integral_constantIbLb1EES1E_EEDaS19_S1A_EUlS19_E_NS1_11comp_targetILNS1_3genE9ELNS1_11target_archE1100ELNS1_3gpuE3ELNS1_3repE0EEENS1_30default_config_static_selectorELNS0_4arch9wavefront6targetE1EEEvT1_.has_indirect_call, 0
	.section	.AMDGPU.csdata,"",@progbits
; Kernel info:
; codeLenInByte = 0
; TotalNumSgprs: 6
; NumVgprs: 0
; NumAgprs: 0
; TotalNumVgprs: 0
; ScratchSize: 0
; MemoryBound: 0
; FloatMode: 240
; IeeeMode: 1
; LDSByteSize: 0 bytes/workgroup (compile time only)
; SGPRBlocks: 0
; VGPRBlocks: 0
; NumSGPRsForWavesPerEU: 6
; NumVGPRsForWavesPerEU: 1
; AccumOffset: 4
; Occupancy: 8
; WaveLimiterHint : 0
; COMPUTE_PGM_RSRC2:SCRATCH_EN: 0
; COMPUTE_PGM_RSRC2:USER_SGPR: 2
; COMPUTE_PGM_RSRC2:TRAP_HANDLER: 0
; COMPUTE_PGM_RSRC2:TGID_X_EN: 1
; COMPUTE_PGM_RSRC2:TGID_Y_EN: 0
; COMPUTE_PGM_RSRC2:TGID_Z_EN: 0
; COMPUTE_PGM_RSRC2:TIDIG_COMP_CNT: 0
; COMPUTE_PGM_RSRC3_GFX90A:ACCUM_OFFSET: 0
; COMPUTE_PGM_RSRC3_GFX90A:TG_SPLIT: 0
	.section	.text._ZN7rocprim17ROCPRIM_400000_NS6detail17trampoline_kernelINS0_14default_configENS1_25partition_config_selectorILNS1_17partition_subalgoE8ElNS0_10empty_typeEbEEZZNS1_14partition_implILS5_8ELb0ES3_jPlPS6_PKS6_NS0_5tupleIJS9_S6_EEENSD_IJSA_SA_EEENS0_18inequality_wrapperIZN2at6native12_GLOBAL__N_124unique_dim_cuda_templateIN3c104HalfEEESt5tupleIJNSH_6TensorESO_SO_EERKSO_lbbbEUlllE0_EEPmJS6_EEE10hipError_tPvRmT3_T4_T5_T6_T7_T9_mT8_P12ihipStream_tbDpT10_ENKUlT_T0_E_clISt17integral_constantIbLb1EES1E_EEDaS19_S1A_EUlS19_E_NS1_11comp_targetILNS1_3genE8ELNS1_11target_archE1030ELNS1_3gpuE2ELNS1_3repE0EEENS1_30default_config_static_selectorELNS0_4arch9wavefront6targetE1EEEvT1_,"axG",@progbits,_ZN7rocprim17ROCPRIM_400000_NS6detail17trampoline_kernelINS0_14default_configENS1_25partition_config_selectorILNS1_17partition_subalgoE8ElNS0_10empty_typeEbEEZZNS1_14partition_implILS5_8ELb0ES3_jPlPS6_PKS6_NS0_5tupleIJS9_S6_EEENSD_IJSA_SA_EEENS0_18inequality_wrapperIZN2at6native12_GLOBAL__N_124unique_dim_cuda_templateIN3c104HalfEEESt5tupleIJNSH_6TensorESO_SO_EERKSO_lbbbEUlllE0_EEPmJS6_EEE10hipError_tPvRmT3_T4_T5_T6_T7_T9_mT8_P12ihipStream_tbDpT10_ENKUlT_T0_E_clISt17integral_constantIbLb1EES1E_EEDaS19_S1A_EUlS19_E_NS1_11comp_targetILNS1_3genE8ELNS1_11target_archE1030ELNS1_3gpuE2ELNS1_3repE0EEENS1_30default_config_static_selectorELNS0_4arch9wavefront6targetE1EEEvT1_,comdat
	.globl	_ZN7rocprim17ROCPRIM_400000_NS6detail17trampoline_kernelINS0_14default_configENS1_25partition_config_selectorILNS1_17partition_subalgoE8ElNS0_10empty_typeEbEEZZNS1_14partition_implILS5_8ELb0ES3_jPlPS6_PKS6_NS0_5tupleIJS9_S6_EEENSD_IJSA_SA_EEENS0_18inequality_wrapperIZN2at6native12_GLOBAL__N_124unique_dim_cuda_templateIN3c104HalfEEESt5tupleIJNSH_6TensorESO_SO_EERKSO_lbbbEUlllE0_EEPmJS6_EEE10hipError_tPvRmT3_T4_T5_T6_T7_T9_mT8_P12ihipStream_tbDpT10_ENKUlT_T0_E_clISt17integral_constantIbLb1EES1E_EEDaS19_S1A_EUlS19_E_NS1_11comp_targetILNS1_3genE8ELNS1_11target_archE1030ELNS1_3gpuE2ELNS1_3repE0EEENS1_30default_config_static_selectorELNS0_4arch9wavefront6targetE1EEEvT1_ ; -- Begin function _ZN7rocprim17ROCPRIM_400000_NS6detail17trampoline_kernelINS0_14default_configENS1_25partition_config_selectorILNS1_17partition_subalgoE8ElNS0_10empty_typeEbEEZZNS1_14partition_implILS5_8ELb0ES3_jPlPS6_PKS6_NS0_5tupleIJS9_S6_EEENSD_IJSA_SA_EEENS0_18inequality_wrapperIZN2at6native12_GLOBAL__N_124unique_dim_cuda_templateIN3c104HalfEEESt5tupleIJNSH_6TensorESO_SO_EERKSO_lbbbEUlllE0_EEPmJS6_EEE10hipError_tPvRmT3_T4_T5_T6_T7_T9_mT8_P12ihipStream_tbDpT10_ENKUlT_T0_E_clISt17integral_constantIbLb1EES1E_EEDaS19_S1A_EUlS19_E_NS1_11comp_targetILNS1_3genE8ELNS1_11target_archE1030ELNS1_3gpuE2ELNS1_3repE0EEENS1_30default_config_static_selectorELNS0_4arch9wavefront6targetE1EEEvT1_
	.p2align	8
	.type	_ZN7rocprim17ROCPRIM_400000_NS6detail17trampoline_kernelINS0_14default_configENS1_25partition_config_selectorILNS1_17partition_subalgoE8ElNS0_10empty_typeEbEEZZNS1_14partition_implILS5_8ELb0ES3_jPlPS6_PKS6_NS0_5tupleIJS9_S6_EEENSD_IJSA_SA_EEENS0_18inequality_wrapperIZN2at6native12_GLOBAL__N_124unique_dim_cuda_templateIN3c104HalfEEESt5tupleIJNSH_6TensorESO_SO_EERKSO_lbbbEUlllE0_EEPmJS6_EEE10hipError_tPvRmT3_T4_T5_T6_T7_T9_mT8_P12ihipStream_tbDpT10_ENKUlT_T0_E_clISt17integral_constantIbLb1EES1E_EEDaS19_S1A_EUlS19_E_NS1_11comp_targetILNS1_3genE8ELNS1_11target_archE1030ELNS1_3gpuE2ELNS1_3repE0EEENS1_30default_config_static_selectorELNS0_4arch9wavefront6targetE1EEEvT1_,@function
_ZN7rocprim17ROCPRIM_400000_NS6detail17trampoline_kernelINS0_14default_configENS1_25partition_config_selectorILNS1_17partition_subalgoE8ElNS0_10empty_typeEbEEZZNS1_14partition_implILS5_8ELb0ES3_jPlPS6_PKS6_NS0_5tupleIJS9_S6_EEENSD_IJSA_SA_EEENS0_18inequality_wrapperIZN2at6native12_GLOBAL__N_124unique_dim_cuda_templateIN3c104HalfEEESt5tupleIJNSH_6TensorESO_SO_EERKSO_lbbbEUlllE0_EEPmJS6_EEE10hipError_tPvRmT3_T4_T5_T6_T7_T9_mT8_P12ihipStream_tbDpT10_ENKUlT_T0_E_clISt17integral_constantIbLb1EES1E_EEDaS19_S1A_EUlS19_E_NS1_11comp_targetILNS1_3genE8ELNS1_11target_archE1030ELNS1_3gpuE2ELNS1_3repE0EEENS1_30default_config_static_selectorELNS0_4arch9wavefront6targetE1EEEvT1_: ; @_ZN7rocprim17ROCPRIM_400000_NS6detail17trampoline_kernelINS0_14default_configENS1_25partition_config_selectorILNS1_17partition_subalgoE8ElNS0_10empty_typeEbEEZZNS1_14partition_implILS5_8ELb0ES3_jPlPS6_PKS6_NS0_5tupleIJS9_S6_EEENSD_IJSA_SA_EEENS0_18inequality_wrapperIZN2at6native12_GLOBAL__N_124unique_dim_cuda_templateIN3c104HalfEEESt5tupleIJNSH_6TensorESO_SO_EERKSO_lbbbEUlllE0_EEPmJS6_EEE10hipError_tPvRmT3_T4_T5_T6_T7_T9_mT8_P12ihipStream_tbDpT10_ENKUlT_T0_E_clISt17integral_constantIbLb1EES1E_EEDaS19_S1A_EUlS19_E_NS1_11comp_targetILNS1_3genE8ELNS1_11target_archE1030ELNS1_3gpuE2ELNS1_3repE0EEENS1_30default_config_static_selectorELNS0_4arch9wavefront6targetE1EEEvT1_
; %bb.0:
	.section	.rodata,"a",@progbits
	.p2align	6, 0x0
	.amdhsa_kernel _ZN7rocprim17ROCPRIM_400000_NS6detail17trampoline_kernelINS0_14default_configENS1_25partition_config_selectorILNS1_17partition_subalgoE8ElNS0_10empty_typeEbEEZZNS1_14partition_implILS5_8ELb0ES3_jPlPS6_PKS6_NS0_5tupleIJS9_S6_EEENSD_IJSA_SA_EEENS0_18inequality_wrapperIZN2at6native12_GLOBAL__N_124unique_dim_cuda_templateIN3c104HalfEEESt5tupleIJNSH_6TensorESO_SO_EERKSO_lbbbEUlllE0_EEPmJS6_EEE10hipError_tPvRmT3_T4_T5_T6_T7_T9_mT8_P12ihipStream_tbDpT10_ENKUlT_T0_E_clISt17integral_constantIbLb1EES1E_EEDaS19_S1A_EUlS19_E_NS1_11comp_targetILNS1_3genE8ELNS1_11target_archE1030ELNS1_3gpuE2ELNS1_3repE0EEENS1_30default_config_static_selectorELNS0_4arch9wavefront6targetE1EEEvT1_
		.amdhsa_group_segment_fixed_size 0
		.amdhsa_private_segment_fixed_size 0
		.amdhsa_kernarg_size 136
		.amdhsa_user_sgpr_count 2
		.amdhsa_user_sgpr_dispatch_ptr 0
		.amdhsa_user_sgpr_queue_ptr 0
		.amdhsa_user_sgpr_kernarg_segment_ptr 1
		.amdhsa_user_sgpr_dispatch_id 0
		.amdhsa_user_sgpr_kernarg_preload_length 0
		.amdhsa_user_sgpr_kernarg_preload_offset 0
		.amdhsa_user_sgpr_private_segment_size 0
		.amdhsa_uses_dynamic_stack 0
		.amdhsa_enable_private_segment 0
		.amdhsa_system_sgpr_workgroup_id_x 1
		.amdhsa_system_sgpr_workgroup_id_y 0
		.amdhsa_system_sgpr_workgroup_id_z 0
		.amdhsa_system_sgpr_workgroup_info 0
		.amdhsa_system_vgpr_workitem_id 0
		.amdhsa_next_free_vgpr 1
		.amdhsa_next_free_sgpr 0
		.amdhsa_accum_offset 4
		.amdhsa_reserve_vcc 0
		.amdhsa_float_round_mode_32 0
		.amdhsa_float_round_mode_16_64 0
		.amdhsa_float_denorm_mode_32 3
		.amdhsa_float_denorm_mode_16_64 3
		.amdhsa_dx10_clamp 1
		.amdhsa_ieee_mode 1
		.amdhsa_fp16_overflow 0
		.amdhsa_tg_split 0
		.amdhsa_exception_fp_ieee_invalid_op 0
		.amdhsa_exception_fp_denorm_src 0
		.amdhsa_exception_fp_ieee_div_zero 0
		.amdhsa_exception_fp_ieee_overflow 0
		.amdhsa_exception_fp_ieee_underflow 0
		.amdhsa_exception_fp_ieee_inexact 0
		.amdhsa_exception_int_div_zero 0
	.end_amdhsa_kernel
	.section	.text._ZN7rocprim17ROCPRIM_400000_NS6detail17trampoline_kernelINS0_14default_configENS1_25partition_config_selectorILNS1_17partition_subalgoE8ElNS0_10empty_typeEbEEZZNS1_14partition_implILS5_8ELb0ES3_jPlPS6_PKS6_NS0_5tupleIJS9_S6_EEENSD_IJSA_SA_EEENS0_18inequality_wrapperIZN2at6native12_GLOBAL__N_124unique_dim_cuda_templateIN3c104HalfEEESt5tupleIJNSH_6TensorESO_SO_EERKSO_lbbbEUlllE0_EEPmJS6_EEE10hipError_tPvRmT3_T4_T5_T6_T7_T9_mT8_P12ihipStream_tbDpT10_ENKUlT_T0_E_clISt17integral_constantIbLb1EES1E_EEDaS19_S1A_EUlS19_E_NS1_11comp_targetILNS1_3genE8ELNS1_11target_archE1030ELNS1_3gpuE2ELNS1_3repE0EEENS1_30default_config_static_selectorELNS0_4arch9wavefront6targetE1EEEvT1_,"axG",@progbits,_ZN7rocprim17ROCPRIM_400000_NS6detail17trampoline_kernelINS0_14default_configENS1_25partition_config_selectorILNS1_17partition_subalgoE8ElNS0_10empty_typeEbEEZZNS1_14partition_implILS5_8ELb0ES3_jPlPS6_PKS6_NS0_5tupleIJS9_S6_EEENSD_IJSA_SA_EEENS0_18inequality_wrapperIZN2at6native12_GLOBAL__N_124unique_dim_cuda_templateIN3c104HalfEEESt5tupleIJNSH_6TensorESO_SO_EERKSO_lbbbEUlllE0_EEPmJS6_EEE10hipError_tPvRmT3_T4_T5_T6_T7_T9_mT8_P12ihipStream_tbDpT10_ENKUlT_T0_E_clISt17integral_constantIbLb1EES1E_EEDaS19_S1A_EUlS19_E_NS1_11comp_targetILNS1_3genE8ELNS1_11target_archE1030ELNS1_3gpuE2ELNS1_3repE0EEENS1_30default_config_static_selectorELNS0_4arch9wavefront6targetE1EEEvT1_,comdat
.Lfunc_end1312:
	.size	_ZN7rocprim17ROCPRIM_400000_NS6detail17trampoline_kernelINS0_14default_configENS1_25partition_config_selectorILNS1_17partition_subalgoE8ElNS0_10empty_typeEbEEZZNS1_14partition_implILS5_8ELb0ES3_jPlPS6_PKS6_NS0_5tupleIJS9_S6_EEENSD_IJSA_SA_EEENS0_18inequality_wrapperIZN2at6native12_GLOBAL__N_124unique_dim_cuda_templateIN3c104HalfEEESt5tupleIJNSH_6TensorESO_SO_EERKSO_lbbbEUlllE0_EEPmJS6_EEE10hipError_tPvRmT3_T4_T5_T6_T7_T9_mT8_P12ihipStream_tbDpT10_ENKUlT_T0_E_clISt17integral_constantIbLb1EES1E_EEDaS19_S1A_EUlS19_E_NS1_11comp_targetILNS1_3genE8ELNS1_11target_archE1030ELNS1_3gpuE2ELNS1_3repE0EEENS1_30default_config_static_selectorELNS0_4arch9wavefront6targetE1EEEvT1_, .Lfunc_end1312-_ZN7rocprim17ROCPRIM_400000_NS6detail17trampoline_kernelINS0_14default_configENS1_25partition_config_selectorILNS1_17partition_subalgoE8ElNS0_10empty_typeEbEEZZNS1_14partition_implILS5_8ELb0ES3_jPlPS6_PKS6_NS0_5tupleIJS9_S6_EEENSD_IJSA_SA_EEENS0_18inequality_wrapperIZN2at6native12_GLOBAL__N_124unique_dim_cuda_templateIN3c104HalfEEESt5tupleIJNSH_6TensorESO_SO_EERKSO_lbbbEUlllE0_EEPmJS6_EEE10hipError_tPvRmT3_T4_T5_T6_T7_T9_mT8_P12ihipStream_tbDpT10_ENKUlT_T0_E_clISt17integral_constantIbLb1EES1E_EEDaS19_S1A_EUlS19_E_NS1_11comp_targetILNS1_3genE8ELNS1_11target_archE1030ELNS1_3gpuE2ELNS1_3repE0EEENS1_30default_config_static_selectorELNS0_4arch9wavefront6targetE1EEEvT1_
                                        ; -- End function
	.set _ZN7rocprim17ROCPRIM_400000_NS6detail17trampoline_kernelINS0_14default_configENS1_25partition_config_selectorILNS1_17partition_subalgoE8ElNS0_10empty_typeEbEEZZNS1_14partition_implILS5_8ELb0ES3_jPlPS6_PKS6_NS0_5tupleIJS9_S6_EEENSD_IJSA_SA_EEENS0_18inequality_wrapperIZN2at6native12_GLOBAL__N_124unique_dim_cuda_templateIN3c104HalfEEESt5tupleIJNSH_6TensorESO_SO_EERKSO_lbbbEUlllE0_EEPmJS6_EEE10hipError_tPvRmT3_T4_T5_T6_T7_T9_mT8_P12ihipStream_tbDpT10_ENKUlT_T0_E_clISt17integral_constantIbLb1EES1E_EEDaS19_S1A_EUlS19_E_NS1_11comp_targetILNS1_3genE8ELNS1_11target_archE1030ELNS1_3gpuE2ELNS1_3repE0EEENS1_30default_config_static_selectorELNS0_4arch9wavefront6targetE1EEEvT1_.num_vgpr, 0
	.set _ZN7rocprim17ROCPRIM_400000_NS6detail17trampoline_kernelINS0_14default_configENS1_25partition_config_selectorILNS1_17partition_subalgoE8ElNS0_10empty_typeEbEEZZNS1_14partition_implILS5_8ELb0ES3_jPlPS6_PKS6_NS0_5tupleIJS9_S6_EEENSD_IJSA_SA_EEENS0_18inequality_wrapperIZN2at6native12_GLOBAL__N_124unique_dim_cuda_templateIN3c104HalfEEESt5tupleIJNSH_6TensorESO_SO_EERKSO_lbbbEUlllE0_EEPmJS6_EEE10hipError_tPvRmT3_T4_T5_T6_T7_T9_mT8_P12ihipStream_tbDpT10_ENKUlT_T0_E_clISt17integral_constantIbLb1EES1E_EEDaS19_S1A_EUlS19_E_NS1_11comp_targetILNS1_3genE8ELNS1_11target_archE1030ELNS1_3gpuE2ELNS1_3repE0EEENS1_30default_config_static_selectorELNS0_4arch9wavefront6targetE1EEEvT1_.num_agpr, 0
	.set _ZN7rocprim17ROCPRIM_400000_NS6detail17trampoline_kernelINS0_14default_configENS1_25partition_config_selectorILNS1_17partition_subalgoE8ElNS0_10empty_typeEbEEZZNS1_14partition_implILS5_8ELb0ES3_jPlPS6_PKS6_NS0_5tupleIJS9_S6_EEENSD_IJSA_SA_EEENS0_18inequality_wrapperIZN2at6native12_GLOBAL__N_124unique_dim_cuda_templateIN3c104HalfEEESt5tupleIJNSH_6TensorESO_SO_EERKSO_lbbbEUlllE0_EEPmJS6_EEE10hipError_tPvRmT3_T4_T5_T6_T7_T9_mT8_P12ihipStream_tbDpT10_ENKUlT_T0_E_clISt17integral_constantIbLb1EES1E_EEDaS19_S1A_EUlS19_E_NS1_11comp_targetILNS1_3genE8ELNS1_11target_archE1030ELNS1_3gpuE2ELNS1_3repE0EEENS1_30default_config_static_selectorELNS0_4arch9wavefront6targetE1EEEvT1_.numbered_sgpr, 0
	.set _ZN7rocprim17ROCPRIM_400000_NS6detail17trampoline_kernelINS0_14default_configENS1_25partition_config_selectorILNS1_17partition_subalgoE8ElNS0_10empty_typeEbEEZZNS1_14partition_implILS5_8ELb0ES3_jPlPS6_PKS6_NS0_5tupleIJS9_S6_EEENSD_IJSA_SA_EEENS0_18inequality_wrapperIZN2at6native12_GLOBAL__N_124unique_dim_cuda_templateIN3c104HalfEEESt5tupleIJNSH_6TensorESO_SO_EERKSO_lbbbEUlllE0_EEPmJS6_EEE10hipError_tPvRmT3_T4_T5_T6_T7_T9_mT8_P12ihipStream_tbDpT10_ENKUlT_T0_E_clISt17integral_constantIbLb1EES1E_EEDaS19_S1A_EUlS19_E_NS1_11comp_targetILNS1_3genE8ELNS1_11target_archE1030ELNS1_3gpuE2ELNS1_3repE0EEENS1_30default_config_static_selectorELNS0_4arch9wavefront6targetE1EEEvT1_.num_named_barrier, 0
	.set _ZN7rocprim17ROCPRIM_400000_NS6detail17trampoline_kernelINS0_14default_configENS1_25partition_config_selectorILNS1_17partition_subalgoE8ElNS0_10empty_typeEbEEZZNS1_14partition_implILS5_8ELb0ES3_jPlPS6_PKS6_NS0_5tupleIJS9_S6_EEENSD_IJSA_SA_EEENS0_18inequality_wrapperIZN2at6native12_GLOBAL__N_124unique_dim_cuda_templateIN3c104HalfEEESt5tupleIJNSH_6TensorESO_SO_EERKSO_lbbbEUlllE0_EEPmJS6_EEE10hipError_tPvRmT3_T4_T5_T6_T7_T9_mT8_P12ihipStream_tbDpT10_ENKUlT_T0_E_clISt17integral_constantIbLb1EES1E_EEDaS19_S1A_EUlS19_E_NS1_11comp_targetILNS1_3genE8ELNS1_11target_archE1030ELNS1_3gpuE2ELNS1_3repE0EEENS1_30default_config_static_selectorELNS0_4arch9wavefront6targetE1EEEvT1_.private_seg_size, 0
	.set _ZN7rocprim17ROCPRIM_400000_NS6detail17trampoline_kernelINS0_14default_configENS1_25partition_config_selectorILNS1_17partition_subalgoE8ElNS0_10empty_typeEbEEZZNS1_14partition_implILS5_8ELb0ES3_jPlPS6_PKS6_NS0_5tupleIJS9_S6_EEENSD_IJSA_SA_EEENS0_18inequality_wrapperIZN2at6native12_GLOBAL__N_124unique_dim_cuda_templateIN3c104HalfEEESt5tupleIJNSH_6TensorESO_SO_EERKSO_lbbbEUlllE0_EEPmJS6_EEE10hipError_tPvRmT3_T4_T5_T6_T7_T9_mT8_P12ihipStream_tbDpT10_ENKUlT_T0_E_clISt17integral_constantIbLb1EES1E_EEDaS19_S1A_EUlS19_E_NS1_11comp_targetILNS1_3genE8ELNS1_11target_archE1030ELNS1_3gpuE2ELNS1_3repE0EEENS1_30default_config_static_selectorELNS0_4arch9wavefront6targetE1EEEvT1_.uses_vcc, 0
	.set _ZN7rocprim17ROCPRIM_400000_NS6detail17trampoline_kernelINS0_14default_configENS1_25partition_config_selectorILNS1_17partition_subalgoE8ElNS0_10empty_typeEbEEZZNS1_14partition_implILS5_8ELb0ES3_jPlPS6_PKS6_NS0_5tupleIJS9_S6_EEENSD_IJSA_SA_EEENS0_18inequality_wrapperIZN2at6native12_GLOBAL__N_124unique_dim_cuda_templateIN3c104HalfEEESt5tupleIJNSH_6TensorESO_SO_EERKSO_lbbbEUlllE0_EEPmJS6_EEE10hipError_tPvRmT3_T4_T5_T6_T7_T9_mT8_P12ihipStream_tbDpT10_ENKUlT_T0_E_clISt17integral_constantIbLb1EES1E_EEDaS19_S1A_EUlS19_E_NS1_11comp_targetILNS1_3genE8ELNS1_11target_archE1030ELNS1_3gpuE2ELNS1_3repE0EEENS1_30default_config_static_selectorELNS0_4arch9wavefront6targetE1EEEvT1_.uses_flat_scratch, 0
	.set _ZN7rocprim17ROCPRIM_400000_NS6detail17trampoline_kernelINS0_14default_configENS1_25partition_config_selectorILNS1_17partition_subalgoE8ElNS0_10empty_typeEbEEZZNS1_14partition_implILS5_8ELb0ES3_jPlPS6_PKS6_NS0_5tupleIJS9_S6_EEENSD_IJSA_SA_EEENS0_18inequality_wrapperIZN2at6native12_GLOBAL__N_124unique_dim_cuda_templateIN3c104HalfEEESt5tupleIJNSH_6TensorESO_SO_EERKSO_lbbbEUlllE0_EEPmJS6_EEE10hipError_tPvRmT3_T4_T5_T6_T7_T9_mT8_P12ihipStream_tbDpT10_ENKUlT_T0_E_clISt17integral_constantIbLb1EES1E_EEDaS19_S1A_EUlS19_E_NS1_11comp_targetILNS1_3genE8ELNS1_11target_archE1030ELNS1_3gpuE2ELNS1_3repE0EEENS1_30default_config_static_selectorELNS0_4arch9wavefront6targetE1EEEvT1_.has_dyn_sized_stack, 0
	.set _ZN7rocprim17ROCPRIM_400000_NS6detail17trampoline_kernelINS0_14default_configENS1_25partition_config_selectorILNS1_17partition_subalgoE8ElNS0_10empty_typeEbEEZZNS1_14partition_implILS5_8ELb0ES3_jPlPS6_PKS6_NS0_5tupleIJS9_S6_EEENSD_IJSA_SA_EEENS0_18inequality_wrapperIZN2at6native12_GLOBAL__N_124unique_dim_cuda_templateIN3c104HalfEEESt5tupleIJNSH_6TensorESO_SO_EERKSO_lbbbEUlllE0_EEPmJS6_EEE10hipError_tPvRmT3_T4_T5_T6_T7_T9_mT8_P12ihipStream_tbDpT10_ENKUlT_T0_E_clISt17integral_constantIbLb1EES1E_EEDaS19_S1A_EUlS19_E_NS1_11comp_targetILNS1_3genE8ELNS1_11target_archE1030ELNS1_3gpuE2ELNS1_3repE0EEENS1_30default_config_static_selectorELNS0_4arch9wavefront6targetE1EEEvT1_.has_recursion, 0
	.set _ZN7rocprim17ROCPRIM_400000_NS6detail17trampoline_kernelINS0_14default_configENS1_25partition_config_selectorILNS1_17partition_subalgoE8ElNS0_10empty_typeEbEEZZNS1_14partition_implILS5_8ELb0ES3_jPlPS6_PKS6_NS0_5tupleIJS9_S6_EEENSD_IJSA_SA_EEENS0_18inequality_wrapperIZN2at6native12_GLOBAL__N_124unique_dim_cuda_templateIN3c104HalfEEESt5tupleIJNSH_6TensorESO_SO_EERKSO_lbbbEUlllE0_EEPmJS6_EEE10hipError_tPvRmT3_T4_T5_T6_T7_T9_mT8_P12ihipStream_tbDpT10_ENKUlT_T0_E_clISt17integral_constantIbLb1EES1E_EEDaS19_S1A_EUlS19_E_NS1_11comp_targetILNS1_3genE8ELNS1_11target_archE1030ELNS1_3gpuE2ELNS1_3repE0EEENS1_30default_config_static_selectorELNS0_4arch9wavefront6targetE1EEEvT1_.has_indirect_call, 0
	.section	.AMDGPU.csdata,"",@progbits
; Kernel info:
; codeLenInByte = 0
; TotalNumSgprs: 6
; NumVgprs: 0
; NumAgprs: 0
; TotalNumVgprs: 0
; ScratchSize: 0
; MemoryBound: 0
; FloatMode: 240
; IeeeMode: 1
; LDSByteSize: 0 bytes/workgroup (compile time only)
; SGPRBlocks: 0
; VGPRBlocks: 0
; NumSGPRsForWavesPerEU: 6
; NumVGPRsForWavesPerEU: 1
; AccumOffset: 4
; Occupancy: 8
; WaveLimiterHint : 0
; COMPUTE_PGM_RSRC2:SCRATCH_EN: 0
; COMPUTE_PGM_RSRC2:USER_SGPR: 2
; COMPUTE_PGM_RSRC2:TRAP_HANDLER: 0
; COMPUTE_PGM_RSRC2:TGID_X_EN: 1
; COMPUTE_PGM_RSRC2:TGID_Y_EN: 0
; COMPUTE_PGM_RSRC2:TGID_Z_EN: 0
; COMPUTE_PGM_RSRC2:TIDIG_COMP_CNT: 0
; COMPUTE_PGM_RSRC3_GFX90A:ACCUM_OFFSET: 0
; COMPUTE_PGM_RSRC3_GFX90A:TG_SPLIT: 0
	.section	.text._ZN7rocprim17ROCPRIM_400000_NS6detail17trampoline_kernelINS0_14default_configENS1_25partition_config_selectorILNS1_17partition_subalgoE8ElNS0_10empty_typeEbEEZZNS1_14partition_implILS5_8ELb0ES3_jPlPS6_PKS6_NS0_5tupleIJS9_S6_EEENSD_IJSA_SA_EEENS0_18inequality_wrapperIZN2at6native12_GLOBAL__N_124unique_dim_cuda_templateIN3c104HalfEEESt5tupleIJNSH_6TensorESO_SO_EERKSO_lbbbEUlllE0_EEPmJS6_EEE10hipError_tPvRmT3_T4_T5_T6_T7_T9_mT8_P12ihipStream_tbDpT10_ENKUlT_T0_E_clISt17integral_constantIbLb1EES1D_IbLb0EEEEDaS19_S1A_EUlS19_E_NS1_11comp_targetILNS1_3genE0ELNS1_11target_archE4294967295ELNS1_3gpuE0ELNS1_3repE0EEENS1_30default_config_static_selectorELNS0_4arch9wavefront6targetE1EEEvT1_,"axG",@progbits,_ZN7rocprim17ROCPRIM_400000_NS6detail17trampoline_kernelINS0_14default_configENS1_25partition_config_selectorILNS1_17partition_subalgoE8ElNS0_10empty_typeEbEEZZNS1_14partition_implILS5_8ELb0ES3_jPlPS6_PKS6_NS0_5tupleIJS9_S6_EEENSD_IJSA_SA_EEENS0_18inequality_wrapperIZN2at6native12_GLOBAL__N_124unique_dim_cuda_templateIN3c104HalfEEESt5tupleIJNSH_6TensorESO_SO_EERKSO_lbbbEUlllE0_EEPmJS6_EEE10hipError_tPvRmT3_T4_T5_T6_T7_T9_mT8_P12ihipStream_tbDpT10_ENKUlT_T0_E_clISt17integral_constantIbLb1EES1D_IbLb0EEEEDaS19_S1A_EUlS19_E_NS1_11comp_targetILNS1_3genE0ELNS1_11target_archE4294967295ELNS1_3gpuE0ELNS1_3repE0EEENS1_30default_config_static_selectorELNS0_4arch9wavefront6targetE1EEEvT1_,comdat
	.globl	_ZN7rocprim17ROCPRIM_400000_NS6detail17trampoline_kernelINS0_14default_configENS1_25partition_config_selectorILNS1_17partition_subalgoE8ElNS0_10empty_typeEbEEZZNS1_14partition_implILS5_8ELb0ES3_jPlPS6_PKS6_NS0_5tupleIJS9_S6_EEENSD_IJSA_SA_EEENS0_18inequality_wrapperIZN2at6native12_GLOBAL__N_124unique_dim_cuda_templateIN3c104HalfEEESt5tupleIJNSH_6TensorESO_SO_EERKSO_lbbbEUlllE0_EEPmJS6_EEE10hipError_tPvRmT3_T4_T5_T6_T7_T9_mT8_P12ihipStream_tbDpT10_ENKUlT_T0_E_clISt17integral_constantIbLb1EES1D_IbLb0EEEEDaS19_S1A_EUlS19_E_NS1_11comp_targetILNS1_3genE0ELNS1_11target_archE4294967295ELNS1_3gpuE0ELNS1_3repE0EEENS1_30default_config_static_selectorELNS0_4arch9wavefront6targetE1EEEvT1_ ; -- Begin function _ZN7rocprim17ROCPRIM_400000_NS6detail17trampoline_kernelINS0_14default_configENS1_25partition_config_selectorILNS1_17partition_subalgoE8ElNS0_10empty_typeEbEEZZNS1_14partition_implILS5_8ELb0ES3_jPlPS6_PKS6_NS0_5tupleIJS9_S6_EEENSD_IJSA_SA_EEENS0_18inequality_wrapperIZN2at6native12_GLOBAL__N_124unique_dim_cuda_templateIN3c104HalfEEESt5tupleIJNSH_6TensorESO_SO_EERKSO_lbbbEUlllE0_EEPmJS6_EEE10hipError_tPvRmT3_T4_T5_T6_T7_T9_mT8_P12ihipStream_tbDpT10_ENKUlT_T0_E_clISt17integral_constantIbLb1EES1D_IbLb0EEEEDaS19_S1A_EUlS19_E_NS1_11comp_targetILNS1_3genE0ELNS1_11target_archE4294967295ELNS1_3gpuE0ELNS1_3repE0EEENS1_30default_config_static_selectorELNS0_4arch9wavefront6targetE1EEEvT1_
	.p2align	8
	.type	_ZN7rocprim17ROCPRIM_400000_NS6detail17trampoline_kernelINS0_14default_configENS1_25partition_config_selectorILNS1_17partition_subalgoE8ElNS0_10empty_typeEbEEZZNS1_14partition_implILS5_8ELb0ES3_jPlPS6_PKS6_NS0_5tupleIJS9_S6_EEENSD_IJSA_SA_EEENS0_18inequality_wrapperIZN2at6native12_GLOBAL__N_124unique_dim_cuda_templateIN3c104HalfEEESt5tupleIJNSH_6TensorESO_SO_EERKSO_lbbbEUlllE0_EEPmJS6_EEE10hipError_tPvRmT3_T4_T5_T6_T7_T9_mT8_P12ihipStream_tbDpT10_ENKUlT_T0_E_clISt17integral_constantIbLb1EES1D_IbLb0EEEEDaS19_S1A_EUlS19_E_NS1_11comp_targetILNS1_3genE0ELNS1_11target_archE4294967295ELNS1_3gpuE0ELNS1_3repE0EEENS1_30default_config_static_selectorELNS0_4arch9wavefront6targetE1EEEvT1_,@function
_ZN7rocprim17ROCPRIM_400000_NS6detail17trampoline_kernelINS0_14default_configENS1_25partition_config_selectorILNS1_17partition_subalgoE8ElNS0_10empty_typeEbEEZZNS1_14partition_implILS5_8ELb0ES3_jPlPS6_PKS6_NS0_5tupleIJS9_S6_EEENSD_IJSA_SA_EEENS0_18inequality_wrapperIZN2at6native12_GLOBAL__N_124unique_dim_cuda_templateIN3c104HalfEEESt5tupleIJNSH_6TensorESO_SO_EERKSO_lbbbEUlllE0_EEPmJS6_EEE10hipError_tPvRmT3_T4_T5_T6_T7_T9_mT8_P12ihipStream_tbDpT10_ENKUlT_T0_E_clISt17integral_constantIbLb1EES1D_IbLb0EEEEDaS19_S1A_EUlS19_E_NS1_11comp_targetILNS1_3genE0ELNS1_11target_archE4294967295ELNS1_3gpuE0ELNS1_3repE0EEENS1_30default_config_static_selectorELNS0_4arch9wavefront6targetE1EEEvT1_: ; @_ZN7rocprim17ROCPRIM_400000_NS6detail17trampoline_kernelINS0_14default_configENS1_25partition_config_selectorILNS1_17partition_subalgoE8ElNS0_10empty_typeEbEEZZNS1_14partition_implILS5_8ELb0ES3_jPlPS6_PKS6_NS0_5tupleIJS9_S6_EEENSD_IJSA_SA_EEENS0_18inequality_wrapperIZN2at6native12_GLOBAL__N_124unique_dim_cuda_templateIN3c104HalfEEESt5tupleIJNSH_6TensorESO_SO_EERKSO_lbbbEUlllE0_EEPmJS6_EEE10hipError_tPvRmT3_T4_T5_T6_T7_T9_mT8_P12ihipStream_tbDpT10_ENKUlT_T0_E_clISt17integral_constantIbLb1EES1D_IbLb0EEEEDaS19_S1A_EUlS19_E_NS1_11comp_targetILNS1_3genE0ELNS1_11target_archE4294967295ELNS1_3gpuE0ELNS1_3repE0EEENS1_30default_config_static_selectorELNS0_4arch9wavefront6targetE1EEEvT1_
; %bb.0:
	s_endpgm
	.section	.rodata,"a",@progbits
	.p2align	6, 0x0
	.amdhsa_kernel _ZN7rocprim17ROCPRIM_400000_NS6detail17trampoline_kernelINS0_14default_configENS1_25partition_config_selectorILNS1_17partition_subalgoE8ElNS0_10empty_typeEbEEZZNS1_14partition_implILS5_8ELb0ES3_jPlPS6_PKS6_NS0_5tupleIJS9_S6_EEENSD_IJSA_SA_EEENS0_18inequality_wrapperIZN2at6native12_GLOBAL__N_124unique_dim_cuda_templateIN3c104HalfEEESt5tupleIJNSH_6TensorESO_SO_EERKSO_lbbbEUlllE0_EEPmJS6_EEE10hipError_tPvRmT3_T4_T5_T6_T7_T9_mT8_P12ihipStream_tbDpT10_ENKUlT_T0_E_clISt17integral_constantIbLb1EES1D_IbLb0EEEEDaS19_S1A_EUlS19_E_NS1_11comp_targetILNS1_3genE0ELNS1_11target_archE4294967295ELNS1_3gpuE0ELNS1_3repE0EEENS1_30default_config_static_selectorELNS0_4arch9wavefront6targetE1EEEvT1_
		.amdhsa_group_segment_fixed_size 0
		.amdhsa_private_segment_fixed_size 0
		.amdhsa_kernarg_size 120
		.amdhsa_user_sgpr_count 2
		.amdhsa_user_sgpr_dispatch_ptr 0
		.amdhsa_user_sgpr_queue_ptr 0
		.amdhsa_user_sgpr_kernarg_segment_ptr 1
		.amdhsa_user_sgpr_dispatch_id 0
		.amdhsa_user_sgpr_kernarg_preload_length 0
		.amdhsa_user_sgpr_kernarg_preload_offset 0
		.amdhsa_user_sgpr_private_segment_size 0
		.amdhsa_uses_dynamic_stack 0
		.amdhsa_enable_private_segment 0
		.amdhsa_system_sgpr_workgroup_id_x 1
		.amdhsa_system_sgpr_workgroup_id_y 0
		.amdhsa_system_sgpr_workgroup_id_z 0
		.amdhsa_system_sgpr_workgroup_info 0
		.amdhsa_system_vgpr_workitem_id 0
		.amdhsa_next_free_vgpr 1
		.amdhsa_next_free_sgpr 0
		.amdhsa_accum_offset 4
		.amdhsa_reserve_vcc 0
		.amdhsa_float_round_mode_32 0
		.amdhsa_float_round_mode_16_64 0
		.amdhsa_float_denorm_mode_32 3
		.amdhsa_float_denorm_mode_16_64 3
		.amdhsa_dx10_clamp 1
		.amdhsa_ieee_mode 1
		.amdhsa_fp16_overflow 0
		.amdhsa_tg_split 0
		.amdhsa_exception_fp_ieee_invalid_op 0
		.amdhsa_exception_fp_denorm_src 0
		.amdhsa_exception_fp_ieee_div_zero 0
		.amdhsa_exception_fp_ieee_overflow 0
		.amdhsa_exception_fp_ieee_underflow 0
		.amdhsa_exception_fp_ieee_inexact 0
		.amdhsa_exception_int_div_zero 0
	.end_amdhsa_kernel
	.section	.text._ZN7rocprim17ROCPRIM_400000_NS6detail17trampoline_kernelINS0_14default_configENS1_25partition_config_selectorILNS1_17partition_subalgoE8ElNS0_10empty_typeEbEEZZNS1_14partition_implILS5_8ELb0ES3_jPlPS6_PKS6_NS0_5tupleIJS9_S6_EEENSD_IJSA_SA_EEENS0_18inequality_wrapperIZN2at6native12_GLOBAL__N_124unique_dim_cuda_templateIN3c104HalfEEESt5tupleIJNSH_6TensorESO_SO_EERKSO_lbbbEUlllE0_EEPmJS6_EEE10hipError_tPvRmT3_T4_T5_T6_T7_T9_mT8_P12ihipStream_tbDpT10_ENKUlT_T0_E_clISt17integral_constantIbLb1EES1D_IbLb0EEEEDaS19_S1A_EUlS19_E_NS1_11comp_targetILNS1_3genE0ELNS1_11target_archE4294967295ELNS1_3gpuE0ELNS1_3repE0EEENS1_30default_config_static_selectorELNS0_4arch9wavefront6targetE1EEEvT1_,"axG",@progbits,_ZN7rocprim17ROCPRIM_400000_NS6detail17trampoline_kernelINS0_14default_configENS1_25partition_config_selectorILNS1_17partition_subalgoE8ElNS0_10empty_typeEbEEZZNS1_14partition_implILS5_8ELb0ES3_jPlPS6_PKS6_NS0_5tupleIJS9_S6_EEENSD_IJSA_SA_EEENS0_18inequality_wrapperIZN2at6native12_GLOBAL__N_124unique_dim_cuda_templateIN3c104HalfEEESt5tupleIJNSH_6TensorESO_SO_EERKSO_lbbbEUlllE0_EEPmJS6_EEE10hipError_tPvRmT3_T4_T5_T6_T7_T9_mT8_P12ihipStream_tbDpT10_ENKUlT_T0_E_clISt17integral_constantIbLb1EES1D_IbLb0EEEEDaS19_S1A_EUlS19_E_NS1_11comp_targetILNS1_3genE0ELNS1_11target_archE4294967295ELNS1_3gpuE0ELNS1_3repE0EEENS1_30default_config_static_selectorELNS0_4arch9wavefront6targetE1EEEvT1_,comdat
.Lfunc_end1313:
	.size	_ZN7rocprim17ROCPRIM_400000_NS6detail17trampoline_kernelINS0_14default_configENS1_25partition_config_selectorILNS1_17partition_subalgoE8ElNS0_10empty_typeEbEEZZNS1_14partition_implILS5_8ELb0ES3_jPlPS6_PKS6_NS0_5tupleIJS9_S6_EEENSD_IJSA_SA_EEENS0_18inequality_wrapperIZN2at6native12_GLOBAL__N_124unique_dim_cuda_templateIN3c104HalfEEESt5tupleIJNSH_6TensorESO_SO_EERKSO_lbbbEUlllE0_EEPmJS6_EEE10hipError_tPvRmT3_T4_T5_T6_T7_T9_mT8_P12ihipStream_tbDpT10_ENKUlT_T0_E_clISt17integral_constantIbLb1EES1D_IbLb0EEEEDaS19_S1A_EUlS19_E_NS1_11comp_targetILNS1_3genE0ELNS1_11target_archE4294967295ELNS1_3gpuE0ELNS1_3repE0EEENS1_30default_config_static_selectorELNS0_4arch9wavefront6targetE1EEEvT1_, .Lfunc_end1313-_ZN7rocprim17ROCPRIM_400000_NS6detail17trampoline_kernelINS0_14default_configENS1_25partition_config_selectorILNS1_17partition_subalgoE8ElNS0_10empty_typeEbEEZZNS1_14partition_implILS5_8ELb0ES3_jPlPS6_PKS6_NS0_5tupleIJS9_S6_EEENSD_IJSA_SA_EEENS0_18inequality_wrapperIZN2at6native12_GLOBAL__N_124unique_dim_cuda_templateIN3c104HalfEEESt5tupleIJNSH_6TensorESO_SO_EERKSO_lbbbEUlllE0_EEPmJS6_EEE10hipError_tPvRmT3_T4_T5_T6_T7_T9_mT8_P12ihipStream_tbDpT10_ENKUlT_T0_E_clISt17integral_constantIbLb1EES1D_IbLb0EEEEDaS19_S1A_EUlS19_E_NS1_11comp_targetILNS1_3genE0ELNS1_11target_archE4294967295ELNS1_3gpuE0ELNS1_3repE0EEENS1_30default_config_static_selectorELNS0_4arch9wavefront6targetE1EEEvT1_
                                        ; -- End function
	.set _ZN7rocprim17ROCPRIM_400000_NS6detail17trampoline_kernelINS0_14default_configENS1_25partition_config_selectorILNS1_17partition_subalgoE8ElNS0_10empty_typeEbEEZZNS1_14partition_implILS5_8ELb0ES3_jPlPS6_PKS6_NS0_5tupleIJS9_S6_EEENSD_IJSA_SA_EEENS0_18inequality_wrapperIZN2at6native12_GLOBAL__N_124unique_dim_cuda_templateIN3c104HalfEEESt5tupleIJNSH_6TensorESO_SO_EERKSO_lbbbEUlllE0_EEPmJS6_EEE10hipError_tPvRmT3_T4_T5_T6_T7_T9_mT8_P12ihipStream_tbDpT10_ENKUlT_T0_E_clISt17integral_constantIbLb1EES1D_IbLb0EEEEDaS19_S1A_EUlS19_E_NS1_11comp_targetILNS1_3genE0ELNS1_11target_archE4294967295ELNS1_3gpuE0ELNS1_3repE0EEENS1_30default_config_static_selectorELNS0_4arch9wavefront6targetE1EEEvT1_.num_vgpr, 0
	.set _ZN7rocprim17ROCPRIM_400000_NS6detail17trampoline_kernelINS0_14default_configENS1_25partition_config_selectorILNS1_17partition_subalgoE8ElNS0_10empty_typeEbEEZZNS1_14partition_implILS5_8ELb0ES3_jPlPS6_PKS6_NS0_5tupleIJS9_S6_EEENSD_IJSA_SA_EEENS0_18inequality_wrapperIZN2at6native12_GLOBAL__N_124unique_dim_cuda_templateIN3c104HalfEEESt5tupleIJNSH_6TensorESO_SO_EERKSO_lbbbEUlllE0_EEPmJS6_EEE10hipError_tPvRmT3_T4_T5_T6_T7_T9_mT8_P12ihipStream_tbDpT10_ENKUlT_T0_E_clISt17integral_constantIbLb1EES1D_IbLb0EEEEDaS19_S1A_EUlS19_E_NS1_11comp_targetILNS1_3genE0ELNS1_11target_archE4294967295ELNS1_3gpuE0ELNS1_3repE0EEENS1_30default_config_static_selectorELNS0_4arch9wavefront6targetE1EEEvT1_.num_agpr, 0
	.set _ZN7rocprim17ROCPRIM_400000_NS6detail17trampoline_kernelINS0_14default_configENS1_25partition_config_selectorILNS1_17partition_subalgoE8ElNS0_10empty_typeEbEEZZNS1_14partition_implILS5_8ELb0ES3_jPlPS6_PKS6_NS0_5tupleIJS9_S6_EEENSD_IJSA_SA_EEENS0_18inequality_wrapperIZN2at6native12_GLOBAL__N_124unique_dim_cuda_templateIN3c104HalfEEESt5tupleIJNSH_6TensorESO_SO_EERKSO_lbbbEUlllE0_EEPmJS6_EEE10hipError_tPvRmT3_T4_T5_T6_T7_T9_mT8_P12ihipStream_tbDpT10_ENKUlT_T0_E_clISt17integral_constantIbLb1EES1D_IbLb0EEEEDaS19_S1A_EUlS19_E_NS1_11comp_targetILNS1_3genE0ELNS1_11target_archE4294967295ELNS1_3gpuE0ELNS1_3repE0EEENS1_30default_config_static_selectorELNS0_4arch9wavefront6targetE1EEEvT1_.numbered_sgpr, 0
	.set _ZN7rocprim17ROCPRIM_400000_NS6detail17trampoline_kernelINS0_14default_configENS1_25partition_config_selectorILNS1_17partition_subalgoE8ElNS0_10empty_typeEbEEZZNS1_14partition_implILS5_8ELb0ES3_jPlPS6_PKS6_NS0_5tupleIJS9_S6_EEENSD_IJSA_SA_EEENS0_18inequality_wrapperIZN2at6native12_GLOBAL__N_124unique_dim_cuda_templateIN3c104HalfEEESt5tupleIJNSH_6TensorESO_SO_EERKSO_lbbbEUlllE0_EEPmJS6_EEE10hipError_tPvRmT3_T4_T5_T6_T7_T9_mT8_P12ihipStream_tbDpT10_ENKUlT_T0_E_clISt17integral_constantIbLb1EES1D_IbLb0EEEEDaS19_S1A_EUlS19_E_NS1_11comp_targetILNS1_3genE0ELNS1_11target_archE4294967295ELNS1_3gpuE0ELNS1_3repE0EEENS1_30default_config_static_selectorELNS0_4arch9wavefront6targetE1EEEvT1_.num_named_barrier, 0
	.set _ZN7rocprim17ROCPRIM_400000_NS6detail17trampoline_kernelINS0_14default_configENS1_25partition_config_selectorILNS1_17partition_subalgoE8ElNS0_10empty_typeEbEEZZNS1_14partition_implILS5_8ELb0ES3_jPlPS6_PKS6_NS0_5tupleIJS9_S6_EEENSD_IJSA_SA_EEENS0_18inequality_wrapperIZN2at6native12_GLOBAL__N_124unique_dim_cuda_templateIN3c104HalfEEESt5tupleIJNSH_6TensorESO_SO_EERKSO_lbbbEUlllE0_EEPmJS6_EEE10hipError_tPvRmT3_T4_T5_T6_T7_T9_mT8_P12ihipStream_tbDpT10_ENKUlT_T0_E_clISt17integral_constantIbLb1EES1D_IbLb0EEEEDaS19_S1A_EUlS19_E_NS1_11comp_targetILNS1_3genE0ELNS1_11target_archE4294967295ELNS1_3gpuE0ELNS1_3repE0EEENS1_30default_config_static_selectorELNS0_4arch9wavefront6targetE1EEEvT1_.private_seg_size, 0
	.set _ZN7rocprim17ROCPRIM_400000_NS6detail17trampoline_kernelINS0_14default_configENS1_25partition_config_selectorILNS1_17partition_subalgoE8ElNS0_10empty_typeEbEEZZNS1_14partition_implILS5_8ELb0ES3_jPlPS6_PKS6_NS0_5tupleIJS9_S6_EEENSD_IJSA_SA_EEENS0_18inequality_wrapperIZN2at6native12_GLOBAL__N_124unique_dim_cuda_templateIN3c104HalfEEESt5tupleIJNSH_6TensorESO_SO_EERKSO_lbbbEUlllE0_EEPmJS6_EEE10hipError_tPvRmT3_T4_T5_T6_T7_T9_mT8_P12ihipStream_tbDpT10_ENKUlT_T0_E_clISt17integral_constantIbLb1EES1D_IbLb0EEEEDaS19_S1A_EUlS19_E_NS1_11comp_targetILNS1_3genE0ELNS1_11target_archE4294967295ELNS1_3gpuE0ELNS1_3repE0EEENS1_30default_config_static_selectorELNS0_4arch9wavefront6targetE1EEEvT1_.uses_vcc, 0
	.set _ZN7rocprim17ROCPRIM_400000_NS6detail17trampoline_kernelINS0_14default_configENS1_25partition_config_selectorILNS1_17partition_subalgoE8ElNS0_10empty_typeEbEEZZNS1_14partition_implILS5_8ELb0ES3_jPlPS6_PKS6_NS0_5tupleIJS9_S6_EEENSD_IJSA_SA_EEENS0_18inequality_wrapperIZN2at6native12_GLOBAL__N_124unique_dim_cuda_templateIN3c104HalfEEESt5tupleIJNSH_6TensorESO_SO_EERKSO_lbbbEUlllE0_EEPmJS6_EEE10hipError_tPvRmT3_T4_T5_T6_T7_T9_mT8_P12ihipStream_tbDpT10_ENKUlT_T0_E_clISt17integral_constantIbLb1EES1D_IbLb0EEEEDaS19_S1A_EUlS19_E_NS1_11comp_targetILNS1_3genE0ELNS1_11target_archE4294967295ELNS1_3gpuE0ELNS1_3repE0EEENS1_30default_config_static_selectorELNS0_4arch9wavefront6targetE1EEEvT1_.uses_flat_scratch, 0
	.set _ZN7rocprim17ROCPRIM_400000_NS6detail17trampoline_kernelINS0_14default_configENS1_25partition_config_selectorILNS1_17partition_subalgoE8ElNS0_10empty_typeEbEEZZNS1_14partition_implILS5_8ELb0ES3_jPlPS6_PKS6_NS0_5tupleIJS9_S6_EEENSD_IJSA_SA_EEENS0_18inequality_wrapperIZN2at6native12_GLOBAL__N_124unique_dim_cuda_templateIN3c104HalfEEESt5tupleIJNSH_6TensorESO_SO_EERKSO_lbbbEUlllE0_EEPmJS6_EEE10hipError_tPvRmT3_T4_T5_T6_T7_T9_mT8_P12ihipStream_tbDpT10_ENKUlT_T0_E_clISt17integral_constantIbLb1EES1D_IbLb0EEEEDaS19_S1A_EUlS19_E_NS1_11comp_targetILNS1_3genE0ELNS1_11target_archE4294967295ELNS1_3gpuE0ELNS1_3repE0EEENS1_30default_config_static_selectorELNS0_4arch9wavefront6targetE1EEEvT1_.has_dyn_sized_stack, 0
	.set _ZN7rocprim17ROCPRIM_400000_NS6detail17trampoline_kernelINS0_14default_configENS1_25partition_config_selectorILNS1_17partition_subalgoE8ElNS0_10empty_typeEbEEZZNS1_14partition_implILS5_8ELb0ES3_jPlPS6_PKS6_NS0_5tupleIJS9_S6_EEENSD_IJSA_SA_EEENS0_18inequality_wrapperIZN2at6native12_GLOBAL__N_124unique_dim_cuda_templateIN3c104HalfEEESt5tupleIJNSH_6TensorESO_SO_EERKSO_lbbbEUlllE0_EEPmJS6_EEE10hipError_tPvRmT3_T4_T5_T6_T7_T9_mT8_P12ihipStream_tbDpT10_ENKUlT_T0_E_clISt17integral_constantIbLb1EES1D_IbLb0EEEEDaS19_S1A_EUlS19_E_NS1_11comp_targetILNS1_3genE0ELNS1_11target_archE4294967295ELNS1_3gpuE0ELNS1_3repE0EEENS1_30default_config_static_selectorELNS0_4arch9wavefront6targetE1EEEvT1_.has_recursion, 0
	.set _ZN7rocprim17ROCPRIM_400000_NS6detail17trampoline_kernelINS0_14default_configENS1_25partition_config_selectorILNS1_17partition_subalgoE8ElNS0_10empty_typeEbEEZZNS1_14partition_implILS5_8ELb0ES3_jPlPS6_PKS6_NS0_5tupleIJS9_S6_EEENSD_IJSA_SA_EEENS0_18inequality_wrapperIZN2at6native12_GLOBAL__N_124unique_dim_cuda_templateIN3c104HalfEEESt5tupleIJNSH_6TensorESO_SO_EERKSO_lbbbEUlllE0_EEPmJS6_EEE10hipError_tPvRmT3_T4_T5_T6_T7_T9_mT8_P12ihipStream_tbDpT10_ENKUlT_T0_E_clISt17integral_constantIbLb1EES1D_IbLb0EEEEDaS19_S1A_EUlS19_E_NS1_11comp_targetILNS1_3genE0ELNS1_11target_archE4294967295ELNS1_3gpuE0ELNS1_3repE0EEENS1_30default_config_static_selectorELNS0_4arch9wavefront6targetE1EEEvT1_.has_indirect_call, 0
	.section	.AMDGPU.csdata,"",@progbits
; Kernel info:
; codeLenInByte = 4
; TotalNumSgprs: 6
; NumVgprs: 0
; NumAgprs: 0
; TotalNumVgprs: 0
; ScratchSize: 0
; MemoryBound: 0
; FloatMode: 240
; IeeeMode: 1
; LDSByteSize: 0 bytes/workgroup (compile time only)
; SGPRBlocks: 0
; VGPRBlocks: 0
; NumSGPRsForWavesPerEU: 6
; NumVGPRsForWavesPerEU: 1
; AccumOffset: 4
; Occupancy: 8
; WaveLimiterHint : 0
; COMPUTE_PGM_RSRC2:SCRATCH_EN: 0
; COMPUTE_PGM_RSRC2:USER_SGPR: 2
; COMPUTE_PGM_RSRC2:TRAP_HANDLER: 0
; COMPUTE_PGM_RSRC2:TGID_X_EN: 1
; COMPUTE_PGM_RSRC2:TGID_Y_EN: 0
; COMPUTE_PGM_RSRC2:TGID_Z_EN: 0
; COMPUTE_PGM_RSRC2:TIDIG_COMP_CNT: 0
; COMPUTE_PGM_RSRC3_GFX90A:ACCUM_OFFSET: 0
; COMPUTE_PGM_RSRC3_GFX90A:TG_SPLIT: 0
	.section	.text._ZN7rocprim17ROCPRIM_400000_NS6detail17trampoline_kernelINS0_14default_configENS1_25partition_config_selectorILNS1_17partition_subalgoE8ElNS0_10empty_typeEbEEZZNS1_14partition_implILS5_8ELb0ES3_jPlPS6_PKS6_NS0_5tupleIJS9_S6_EEENSD_IJSA_SA_EEENS0_18inequality_wrapperIZN2at6native12_GLOBAL__N_124unique_dim_cuda_templateIN3c104HalfEEESt5tupleIJNSH_6TensorESO_SO_EERKSO_lbbbEUlllE0_EEPmJS6_EEE10hipError_tPvRmT3_T4_T5_T6_T7_T9_mT8_P12ihipStream_tbDpT10_ENKUlT_T0_E_clISt17integral_constantIbLb1EES1D_IbLb0EEEEDaS19_S1A_EUlS19_E_NS1_11comp_targetILNS1_3genE5ELNS1_11target_archE942ELNS1_3gpuE9ELNS1_3repE0EEENS1_30default_config_static_selectorELNS0_4arch9wavefront6targetE1EEEvT1_,"axG",@progbits,_ZN7rocprim17ROCPRIM_400000_NS6detail17trampoline_kernelINS0_14default_configENS1_25partition_config_selectorILNS1_17partition_subalgoE8ElNS0_10empty_typeEbEEZZNS1_14partition_implILS5_8ELb0ES3_jPlPS6_PKS6_NS0_5tupleIJS9_S6_EEENSD_IJSA_SA_EEENS0_18inequality_wrapperIZN2at6native12_GLOBAL__N_124unique_dim_cuda_templateIN3c104HalfEEESt5tupleIJNSH_6TensorESO_SO_EERKSO_lbbbEUlllE0_EEPmJS6_EEE10hipError_tPvRmT3_T4_T5_T6_T7_T9_mT8_P12ihipStream_tbDpT10_ENKUlT_T0_E_clISt17integral_constantIbLb1EES1D_IbLb0EEEEDaS19_S1A_EUlS19_E_NS1_11comp_targetILNS1_3genE5ELNS1_11target_archE942ELNS1_3gpuE9ELNS1_3repE0EEENS1_30default_config_static_selectorELNS0_4arch9wavefront6targetE1EEEvT1_,comdat
	.globl	_ZN7rocprim17ROCPRIM_400000_NS6detail17trampoline_kernelINS0_14default_configENS1_25partition_config_selectorILNS1_17partition_subalgoE8ElNS0_10empty_typeEbEEZZNS1_14partition_implILS5_8ELb0ES3_jPlPS6_PKS6_NS0_5tupleIJS9_S6_EEENSD_IJSA_SA_EEENS0_18inequality_wrapperIZN2at6native12_GLOBAL__N_124unique_dim_cuda_templateIN3c104HalfEEESt5tupleIJNSH_6TensorESO_SO_EERKSO_lbbbEUlllE0_EEPmJS6_EEE10hipError_tPvRmT3_T4_T5_T6_T7_T9_mT8_P12ihipStream_tbDpT10_ENKUlT_T0_E_clISt17integral_constantIbLb1EES1D_IbLb0EEEEDaS19_S1A_EUlS19_E_NS1_11comp_targetILNS1_3genE5ELNS1_11target_archE942ELNS1_3gpuE9ELNS1_3repE0EEENS1_30default_config_static_selectorELNS0_4arch9wavefront6targetE1EEEvT1_ ; -- Begin function _ZN7rocprim17ROCPRIM_400000_NS6detail17trampoline_kernelINS0_14default_configENS1_25partition_config_selectorILNS1_17partition_subalgoE8ElNS0_10empty_typeEbEEZZNS1_14partition_implILS5_8ELb0ES3_jPlPS6_PKS6_NS0_5tupleIJS9_S6_EEENSD_IJSA_SA_EEENS0_18inequality_wrapperIZN2at6native12_GLOBAL__N_124unique_dim_cuda_templateIN3c104HalfEEESt5tupleIJNSH_6TensorESO_SO_EERKSO_lbbbEUlllE0_EEPmJS6_EEE10hipError_tPvRmT3_T4_T5_T6_T7_T9_mT8_P12ihipStream_tbDpT10_ENKUlT_T0_E_clISt17integral_constantIbLb1EES1D_IbLb0EEEEDaS19_S1A_EUlS19_E_NS1_11comp_targetILNS1_3genE5ELNS1_11target_archE942ELNS1_3gpuE9ELNS1_3repE0EEENS1_30default_config_static_selectorELNS0_4arch9wavefront6targetE1EEEvT1_
	.p2align	8
	.type	_ZN7rocprim17ROCPRIM_400000_NS6detail17trampoline_kernelINS0_14default_configENS1_25partition_config_selectorILNS1_17partition_subalgoE8ElNS0_10empty_typeEbEEZZNS1_14partition_implILS5_8ELb0ES3_jPlPS6_PKS6_NS0_5tupleIJS9_S6_EEENSD_IJSA_SA_EEENS0_18inequality_wrapperIZN2at6native12_GLOBAL__N_124unique_dim_cuda_templateIN3c104HalfEEESt5tupleIJNSH_6TensorESO_SO_EERKSO_lbbbEUlllE0_EEPmJS6_EEE10hipError_tPvRmT3_T4_T5_T6_T7_T9_mT8_P12ihipStream_tbDpT10_ENKUlT_T0_E_clISt17integral_constantIbLb1EES1D_IbLb0EEEEDaS19_S1A_EUlS19_E_NS1_11comp_targetILNS1_3genE5ELNS1_11target_archE942ELNS1_3gpuE9ELNS1_3repE0EEENS1_30default_config_static_selectorELNS0_4arch9wavefront6targetE1EEEvT1_,@function
_ZN7rocprim17ROCPRIM_400000_NS6detail17trampoline_kernelINS0_14default_configENS1_25partition_config_selectorILNS1_17partition_subalgoE8ElNS0_10empty_typeEbEEZZNS1_14partition_implILS5_8ELb0ES3_jPlPS6_PKS6_NS0_5tupleIJS9_S6_EEENSD_IJSA_SA_EEENS0_18inequality_wrapperIZN2at6native12_GLOBAL__N_124unique_dim_cuda_templateIN3c104HalfEEESt5tupleIJNSH_6TensorESO_SO_EERKSO_lbbbEUlllE0_EEPmJS6_EEE10hipError_tPvRmT3_T4_T5_T6_T7_T9_mT8_P12ihipStream_tbDpT10_ENKUlT_T0_E_clISt17integral_constantIbLb1EES1D_IbLb0EEEEDaS19_S1A_EUlS19_E_NS1_11comp_targetILNS1_3genE5ELNS1_11target_archE942ELNS1_3gpuE9ELNS1_3repE0EEENS1_30default_config_static_selectorELNS0_4arch9wavefront6targetE1EEEvT1_: ; @_ZN7rocprim17ROCPRIM_400000_NS6detail17trampoline_kernelINS0_14default_configENS1_25partition_config_selectorILNS1_17partition_subalgoE8ElNS0_10empty_typeEbEEZZNS1_14partition_implILS5_8ELb0ES3_jPlPS6_PKS6_NS0_5tupleIJS9_S6_EEENSD_IJSA_SA_EEENS0_18inequality_wrapperIZN2at6native12_GLOBAL__N_124unique_dim_cuda_templateIN3c104HalfEEESt5tupleIJNSH_6TensorESO_SO_EERKSO_lbbbEUlllE0_EEPmJS6_EEE10hipError_tPvRmT3_T4_T5_T6_T7_T9_mT8_P12ihipStream_tbDpT10_ENKUlT_T0_E_clISt17integral_constantIbLb1EES1D_IbLb0EEEEDaS19_S1A_EUlS19_E_NS1_11comp_targetILNS1_3genE5ELNS1_11target_archE942ELNS1_3gpuE9ELNS1_3repE0EEENS1_30default_config_static_selectorELNS0_4arch9wavefront6targetE1EEEvT1_
; %bb.0:
	.section	.rodata,"a",@progbits
	.p2align	6, 0x0
	.amdhsa_kernel _ZN7rocprim17ROCPRIM_400000_NS6detail17trampoline_kernelINS0_14default_configENS1_25partition_config_selectorILNS1_17partition_subalgoE8ElNS0_10empty_typeEbEEZZNS1_14partition_implILS5_8ELb0ES3_jPlPS6_PKS6_NS0_5tupleIJS9_S6_EEENSD_IJSA_SA_EEENS0_18inequality_wrapperIZN2at6native12_GLOBAL__N_124unique_dim_cuda_templateIN3c104HalfEEESt5tupleIJNSH_6TensorESO_SO_EERKSO_lbbbEUlllE0_EEPmJS6_EEE10hipError_tPvRmT3_T4_T5_T6_T7_T9_mT8_P12ihipStream_tbDpT10_ENKUlT_T0_E_clISt17integral_constantIbLb1EES1D_IbLb0EEEEDaS19_S1A_EUlS19_E_NS1_11comp_targetILNS1_3genE5ELNS1_11target_archE942ELNS1_3gpuE9ELNS1_3repE0EEENS1_30default_config_static_selectorELNS0_4arch9wavefront6targetE1EEEvT1_
		.amdhsa_group_segment_fixed_size 0
		.amdhsa_private_segment_fixed_size 0
		.amdhsa_kernarg_size 120
		.amdhsa_user_sgpr_count 2
		.amdhsa_user_sgpr_dispatch_ptr 0
		.amdhsa_user_sgpr_queue_ptr 0
		.amdhsa_user_sgpr_kernarg_segment_ptr 1
		.amdhsa_user_sgpr_dispatch_id 0
		.amdhsa_user_sgpr_kernarg_preload_length 0
		.amdhsa_user_sgpr_kernarg_preload_offset 0
		.amdhsa_user_sgpr_private_segment_size 0
		.amdhsa_uses_dynamic_stack 0
		.amdhsa_enable_private_segment 0
		.amdhsa_system_sgpr_workgroup_id_x 1
		.amdhsa_system_sgpr_workgroup_id_y 0
		.amdhsa_system_sgpr_workgroup_id_z 0
		.amdhsa_system_sgpr_workgroup_info 0
		.amdhsa_system_vgpr_workitem_id 0
		.amdhsa_next_free_vgpr 1
		.amdhsa_next_free_sgpr 0
		.amdhsa_accum_offset 4
		.amdhsa_reserve_vcc 0
		.amdhsa_float_round_mode_32 0
		.amdhsa_float_round_mode_16_64 0
		.amdhsa_float_denorm_mode_32 3
		.amdhsa_float_denorm_mode_16_64 3
		.amdhsa_dx10_clamp 1
		.amdhsa_ieee_mode 1
		.amdhsa_fp16_overflow 0
		.amdhsa_tg_split 0
		.amdhsa_exception_fp_ieee_invalid_op 0
		.amdhsa_exception_fp_denorm_src 0
		.amdhsa_exception_fp_ieee_div_zero 0
		.amdhsa_exception_fp_ieee_overflow 0
		.amdhsa_exception_fp_ieee_underflow 0
		.amdhsa_exception_fp_ieee_inexact 0
		.amdhsa_exception_int_div_zero 0
	.end_amdhsa_kernel
	.section	.text._ZN7rocprim17ROCPRIM_400000_NS6detail17trampoline_kernelINS0_14default_configENS1_25partition_config_selectorILNS1_17partition_subalgoE8ElNS0_10empty_typeEbEEZZNS1_14partition_implILS5_8ELb0ES3_jPlPS6_PKS6_NS0_5tupleIJS9_S6_EEENSD_IJSA_SA_EEENS0_18inequality_wrapperIZN2at6native12_GLOBAL__N_124unique_dim_cuda_templateIN3c104HalfEEESt5tupleIJNSH_6TensorESO_SO_EERKSO_lbbbEUlllE0_EEPmJS6_EEE10hipError_tPvRmT3_T4_T5_T6_T7_T9_mT8_P12ihipStream_tbDpT10_ENKUlT_T0_E_clISt17integral_constantIbLb1EES1D_IbLb0EEEEDaS19_S1A_EUlS19_E_NS1_11comp_targetILNS1_3genE5ELNS1_11target_archE942ELNS1_3gpuE9ELNS1_3repE0EEENS1_30default_config_static_selectorELNS0_4arch9wavefront6targetE1EEEvT1_,"axG",@progbits,_ZN7rocprim17ROCPRIM_400000_NS6detail17trampoline_kernelINS0_14default_configENS1_25partition_config_selectorILNS1_17partition_subalgoE8ElNS0_10empty_typeEbEEZZNS1_14partition_implILS5_8ELb0ES3_jPlPS6_PKS6_NS0_5tupleIJS9_S6_EEENSD_IJSA_SA_EEENS0_18inequality_wrapperIZN2at6native12_GLOBAL__N_124unique_dim_cuda_templateIN3c104HalfEEESt5tupleIJNSH_6TensorESO_SO_EERKSO_lbbbEUlllE0_EEPmJS6_EEE10hipError_tPvRmT3_T4_T5_T6_T7_T9_mT8_P12ihipStream_tbDpT10_ENKUlT_T0_E_clISt17integral_constantIbLb1EES1D_IbLb0EEEEDaS19_S1A_EUlS19_E_NS1_11comp_targetILNS1_3genE5ELNS1_11target_archE942ELNS1_3gpuE9ELNS1_3repE0EEENS1_30default_config_static_selectorELNS0_4arch9wavefront6targetE1EEEvT1_,comdat
.Lfunc_end1314:
	.size	_ZN7rocprim17ROCPRIM_400000_NS6detail17trampoline_kernelINS0_14default_configENS1_25partition_config_selectorILNS1_17partition_subalgoE8ElNS0_10empty_typeEbEEZZNS1_14partition_implILS5_8ELb0ES3_jPlPS6_PKS6_NS0_5tupleIJS9_S6_EEENSD_IJSA_SA_EEENS0_18inequality_wrapperIZN2at6native12_GLOBAL__N_124unique_dim_cuda_templateIN3c104HalfEEESt5tupleIJNSH_6TensorESO_SO_EERKSO_lbbbEUlllE0_EEPmJS6_EEE10hipError_tPvRmT3_T4_T5_T6_T7_T9_mT8_P12ihipStream_tbDpT10_ENKUlT_T0_E_clISt17integral_constantIbLb1EES1D_IbLb0EEEEDaS19_S1A_EUlS19_E_NS1_11comp_targetILNS1_3genE5ELNS1_11target_archE942ELNS1_3gpuE9ELNS1_3repE0EEENS1_30default_config_static_selectorELNS0_4arch9wavefront6targetE1EEEvT1_, .Lfunc_end1314-_ZN7rocprim17ROCPRIM_400000_NS6detail17trampoline_kernelINS0_14default_configENS1_25partition_config_selectorILNS1_17partition_subalgoE8ElNS0_10empty_typeEbEEZZNS1_14partition_implILS5_8ELb0ES3_jPlPS6_PKS6_NS0_5tupleIJS9_S6_EEENSD_IJSA_SA_EEENS0_18inequality_wrapperIZN2at6native12_GLOBAL__N_124unique_dim_cuda_templateIN3c104HalfEEESt5tupleIJNSH_6TensorESO_SO_EERKSO_lbbbEUlllE0_EEPmJS6_EEE10hipError_tPvRmT3_T4_T5_T6_T7_T9_mT8_P12ihipStream_tbDpT10_ENKUlT_T0_E_clISt17integral_constantIbLb1EES1D_IbLb0EEEEDaS19_S1A_EUlS19_E_NS1_11comp_targetILNS1_3genE5ELNS1_11target_archE942ELNS1_3gpuE9ELNS1_3repE0EEENS1_30default_config_static_selectorELNS0_4arch9wavefront6targetE1EEEvT1_
                                        ; -- End function
	.set _ZN7rocprim17ROCPRIM_400000_NS6detail17trampoline_kernelINS0_14default_configENS1_25partition_config_selectorILNS1_17partition_subalgoE8ElNS0_10empty_typeEbEEZZNS1_14partition_implILS5_8ELb0ES3_jPlPS6_PKS6_NS0_5tupleIJS9_S6_EEENSD_IJSA_SA_EEENS0_18inequality_wrapperIZN2at6native12_GLOBAL__N_124unique_dim_cuda_templateIN3c104HalfEEESt5tupleIJNSH_6TensorESO_SO_EERKSO_lbbbEUlllE0_EEPmJS6_EEE10hipError_tPvRmT3_T4_T5_T6_T7_T9_mT8_P12ihipStream_tbDpT10_ENKUlT_T0_E_clISt17integral_constantIbLb1EES1D_IbLb0EEEEDaS19_S1A_EUlS19_E_NS1_11comp_targetILNS1_3genE5ELNS1_11target_archE942ELNS1_3gpuE9ELNS1_3repE0EEENS1_30default_config_static_selectorELNS0_4arch9wavefront6targetE1EEEvT1_.num_vgpr, 0
	.set _ZN7rocprim17ROCPRIM_400000_NS6detail17trampoline_kernelINS0_14default_configENS1_25partition_config_selectorILNS1_17partition_subalgoE8ElNS0_10empty_typeEbEEZZNS1_14partition_implILS5_8ELb0ES3_jPlPS6_PKS6_NS0_5tupleIJS9_S6_EEENSD_IJSA_SA_EEENS0_18inequality_wrapperIZN2at6native12_GLOBAL__N_124unique_dim_cuda_templateIN3c104HalfEEESt5tupleIJNSH_6TensorESO_SO_EERKSO_lbbbEUlllE0_EEPmJS6_EEE10hipError_tPvRmT3_T4_T5_T6_T7_T9_mT8_P12ihipStream_tbDpT10_ENKUlT_T0_E_clISt17integral_constantIbLb1EES1D_IbLb0EEEEDaS19_S1A_EUlS19_E_NS1_11comp_targetILNS1_3genE5ELNS1_11target_archE942ELNS1_3gpuE9ELNS1_3repE0EEENS1_30default_config_static_selectorELNS0_4arch9wavefront6targetE1EEEvT1_.num_agpr, 0
	.set _ZN7rocprim17ROCPRIM_400000_NS6detail17trampoline_kernelINS0_14default_configENS1_25partition_config_selectorILNS1_17partition_subalgoE8ElNS0_10empty_typeEbEEZZNS1_14partition_implILS5_8ELb0ES3_jPlPS6_PKS6_NS0_5tupleIJS9_S6_EEENSD_IJSA_SA_EEENS0_18inequality_wrapperIZN2at6native12_GLOBAL__N_124unique_dim_cuda_templateIN3c104HalfEEESt5tupleIJNSH_6TensorESO_SO_EERKSO_lbbbEUlllE0_EEPmJS6_EEE10hipError_tPvRmT3_T4_T5_T6_T7_T9_mT8_P12ihipStream_tbDpT10_ENKUlT_T0_E_clISt17integral_constantIbLb1EES1D_IbLb0EEEEDaS19_S1A_EUlS19_E_NS1_11comp_targetILNS1_3genE5ELNS1_11target_archE942ELNS1_3gpuE9ELNS1_3repE0EEENS1_30default_config_static_selectorELNS0_4arch9wavefront6targetE1EEEvT1_.numbered_sgpr, 0
	.set _ZN7rocprim17ROCPRIM_400000_NS6detail17trampoline_kernelINS0_14default_configENS1_25partition_config_selectorILNS1_17partition_subalgoE8ElNS0_10empty_typeEbEEZZNS1_14partition_implILS5_8ELb0ES3_jPlPS6_PKS6_NS0_5tupleIJS9_S6_EEENSD_IJSA_SA_EEENS0_18inequality_wrapperIZN2at6native12_GLOBAL__N_124unique_dim_cuda_templateIN3c104HalfEEESt5tupleIJNSH_6TensorESO_SO_EERKSO_lbbbEUlllE0_EEPmJS6_EEE10hipError_tPvRmT3_T4_T5_T6_T7_T9_mT8_P12ihipStream_tbDpT10_ENKUlT_T0_E_clISt17integral_constantIbLb1EES1D_IbLb0EEEEDaS19_S1A_EUlS19_E_NS1_11comp_targetILNS1_3genE5ELNS1_11target_archE942ELNS1_3gpuE9ELNS1_3repE0EEENS1_30default_config_static_selectorELNS0_4arch9wavefront6targetE1EEEvT1_.num_named_barrier, 0
	.set _ZN7rocprim17ROCPRIM_400000_NS6detail17trampoline_kernelINS0_14default_configENS1_25partition_config_selectorILNS1_17partition_subalgoE8ElNS0_10empty_typeEbEEZZNS1_14partition_implILS5_8ELb0ES3_jPlPS6_PKS6_NS0_5tupleIJS9_S6_EEENSD_IJSA_SA_EEENS0_18inequality_wrapperIZN2at6native12_GLOBAL__N_124unique_dim_cuda_templateIN3c104HalfEEESt5tupleIJNSH_6TensorESO_SO_EERKSO_lbbbEUlllE0_EEPmJS6_EEE10hipError_tPvRmT3_T4_T5_T6_T7_T9_mT8_P12ihipStream_tbDpT10_ENKUlT_T0_E_clISt17integral_constantIbLb1EES1D_IbLb0EEEEDaS19_S1A_EUlS19_E_NS1_11comp_targetILNS1_3genE5ELNS1_11target_archE942ELNS1_3gpuE9ELNS1_3repE0EEENS1_30default_config_static_selectorELNS0_4arch9wavefront6targetE1EEEvT1_.private_seg_size, 0
	.set _ZN7rocprim17ROCPRIM_400000_NS6detail17trampoline_kernelINS0_14default_configENS1_25partition_config_selectorILNS1_17partition_subalgoE8ElNS0_10empty_typeEbEEZZNS1_14partition_implILS5_8ELb0ES3_jPlPS6_PKS6_NS0_5tupleIJS9_S6_EEENSD_IJSA_SA_EEENS0_18inequality_wrapperIZN2at6native12_GLOBAL__N_124unique_dim_cuda_templateIN3c104HalfEEESt5tupleIJNSH_6TensorESO_SO_EERKSO_lbbbEUlllE0_EEPmJS6_EEE10hipError_tPvRmT3_T4_T5_T6_T7_T9_mT8_P12ihipStream_tbDpT10_ENKUlT_T0_E_clISt17integral_constantIbLb1EES1D_IbLb0EEEEDaS19_S1A_EUlS19_E_NS1_11comp_targetILNS1_3genE5ELNS1_11target_archE942ELNS1_3gpuE9ELNS1_3repE0EEENS1_30default_config_static_selectorELNS0_4arch9wavefront6targetE1EEEvT1_.uses_vcc, 0
	.set _ZN7rocprim17ROCPRIM_400000_NS6detail17trampoline_kernelINS0_14default_configENS1_25partition_config_selectorILNS1_17partition_subalgoE8ElNS0_10empty_typeEbEEZZNS1_14partition_implILS5_8ELb0ES3_jPlPS6_PKS6_NS0_5tupleIJS9_S6_EEENSD_IJSA_SA_EEENS0_18inequality_wrapperIZN2at6native12_GLOBAL__N_124unique_dim_cuda_templateIN3c104HalfEEESt5tupleIJNSH_6TensorESO_SO_EERKSO_lbbbEUlllE0_EEPmJS6_EEE10hipError_tPvRmT3_T4_T5_T6_T7_T9_mT8_P12ihipStream_tbDpT10_ENKUlT_T0_E_clISt17integral_constantIbLb1EES1D_IbLb0EEEEDaS19_S1A_EUlS19_E_NS1_11comp_targetILNS1_3genE5ELNS1_11target_archE942ELNS1_3gpuE9ELNS1_3repE0EEENS1_30default_config_static_selectorELNS0_4arch9wavefront6targetE1EEEvT1_.uses_flat_scratch, 0
	.set _ZN7rocprim17ROCPRIM_400000_NS6detail17trampoline_kernelINS0_14default_configENS1_25partition_config_selectorILNS1_17partition_subalgoE8ElNS0_10empty_typeEbEEZZNS1_14partition_implILS5_8ELb0ES3_jPlPS6_PKS6_NS0_5tupleIJS9_S6_EEENSD_IJSA_SA_EEENS0_18inequality_wrapperIZN2at6native12_GLOBAL__N_124unique_dim_cuda_templateIN3c104HalfEEESt5tupleIJNSH_6TensorESO_SO_EERKSO_lbbbEUlllE0_EEPmJS6_EEE10hipError_tPvRmT3_T4_T5_T6_T7_T9_mT8_P12ihipStream_tbDpT10_ENKUlT_T0_E_clISt17integral_constantIbLb1EES1D_IbLb0EEEEDaS19_S1A_EUlS19_E_NS1_11comp_targetILNS1_3genE5ELNS1_11target_archE942ELNS1_3gpuE9ELNS1_3repE0EEENS1_30default_config_static_selectorELNS0_4arch9wavefront6targetE1EEEvT1_.has_dyn_sized_stack, 0
	.set _ZN7rocprim17ROCPRIM_400000_NS6detail17trampoline_kernelINS0_14default_configENS1_25partition_config_selectorILNS1_17partition_subalgoE8ElNS0_10empty_typeEbEEZZNS1_14partition_implILS5_8ELb0ES3_jPlPS6_PKS6_NS0_5tupleIJS9_S6_EEENSD_IJSA_SA_EEENS0_18inequality_wrapperIZN2at6native12_GLOBAL__N_124unique_dim_cuda_templateIN3c104HalfEEESt5tupleIJNSH_6TensorESO_SO_EERKSO_lbbbEUlllE0_EEPmJS6_EEE10hipError_tPvRmT3_T4_T5_T6_T7_T9_mT8_P12ihipStream_tbDpT10_ENKUlT_T0_E_clISt17integral_constantIbLb1EES1D_IbLb0EEEEDaS19_S1A_EUlS19_E_NS1_11comp_targetILNS1_3genE5ELNS1_11target_archE942ELNS1_3gpuE9ELNS1_3repE0EEENS1_30default_config_static_selectorELNS0_4arch9wavefront6targetE1EEEvT1_.has_recursion, 0
	.set _ZN7rocprim17ROCPRIM_400000_NS6detail17trampoline_kernelINS0_14default_configENS1_25partition_config_selectorILNS1_17partition_subalgoE8ElNS0_10empty_typeEbEEZZNS1_14partition_implILS5_8ELb0ES3_jPlPS6_PKS6_NS0_5tupleIJS9_S6_EEENSD_IJSA_SA_EEENS0_18inequality_wrapperIZN2at6native12_GLOBAL__N_124unique_dim_cuda_templateIN3c104HalfEEESt5tupleIJNSH_6TensorESO_SO_EERKSO_lbbbEUlllE0_EEPmJS6_EEE10hipError_tPvRmT3_T4_T5_T6_T7_T9_mT8_P12ihipStream_tbDpT10_ENKUlT_T0_E_clISt17integral_constantIbLb1EES1D_IbLb0EEEEDaS19_S1A_EUlS19_E_NS1_11comp_targetILNS1_3genE5ELNS1_11target_archE942ELNS1_3gpuE9ELNS1_3repE0EEENS1_30default_config_static_selectorELNS0_4arch9wavefront6targetE1EEEvT1_.has_indirect_call, 0
	.section	.AMDGPU.csdata,"",@progbits
; Kernel info:
; codeLenInByte = 0
; TotalNumSgprs: 6
; NumVgprs: 0
; NumAgprs: 0
; TotalNumVgprs: 0
; ScratchSize: 0
; MemoryBound: 0
; FloatMode: 240
; IeeeMode: 1
; LDSByteSize: 0 bytes/workgroup (compile time only)
; SGPRBlocks: 0
; VGPRBlocks: 0
; NumSGPRsForWavesPerEU: 6
; NumVGPRsForWavesPerEU: 1
; AccumOffset: 4
; Occupancy: 8
; WaveLimiterHint : 0
; COMPUTE_PGM_RSRC2:SCRATCH_EN: 0
; COMPUTE_PGM_RSRC2:USER_SGPR: 2
; COMPUTE_PGM_RSRC2:TRAP_HANDLER: 0
; COMPUTE_PGM_RSRC2:TGID_X_EN: 1
; COMPUTE_PGM_RSRC2:TGID_Y_EN: 0
; COMPUTE_PGM_RSRC2:TGID_Z_EN: 0
; COMPUTE_PGM_RSRC2:TIDIG_COMP_CNT: 0
; COMPUTE_PGM_RSRC3_GFX90A:ACCUM_OFFSET: 0
; COMPUTE_PGM_RSRC3_GFX90A:TG_SPLIT: 0
	.section	.text._ZN7rocprim17ROCPRIM_400000_NS6detail17trampoline_kernelINS0_14default_configENS1_25partition_config_selectorILNS1_17partition_subalgoE8ElNS0_10empty_typeEbEEZZNS1_14partition_implILS5_8ELb0ES3_jPlPS6_PKS6_NS0_5tupleIJS9_S6_EEENSD_IJSA_SA_EEENS0_18inequality_wrapperIZN2at6native12_GLOBAL__N_124unique_dim_cuda_templateIN3c104HalfEEESt5tupleIJNSH_6TensorESO_SO_EERKSO_lbbbEUlllE0_EEPmJS6_EEE10hipError_tPvRmT3_T4_T5_T6_T7_T9_mT8_P12ihipStream_tbDpT10_ENKUlT_T0_E_clISt17integral_constantIbLb1EES1D_IbLb0EEEEDaS19_S1A_EUlS19_E_NS1_11comp_targetILNS1_3genE4ELNS1_11target_archE910ELNS1_3gpuE8ELNS1_3repE0EEENS1_30default_config_static_selectorELNS0_4arch9wavefront6targetE1EEEvT1_,"axG",@progbits,_ZN7rocprim17ROCPRIM_400000_NS6detail17trampoline_kernelINS0_14default_configENS1_25partition_config_selectorILNS1_17partition_subalgoE8ElNS0_10empty_typeEbEEZZNS1_14partition_implILS5_8ELb0ES3_jPlPS6_PKS6_NS0_5tupleIJS9_S6_EEENSD_IJSA_SA_EEENS0_18inequality_wrapperIZN2at6native12_GLOBAL__N_124unique_dim_cuda_templateIN3c104HalfEEESt5tupleIJNSH_6TensorESO_SO_EERKSO_lbbbEUlllE0_EEPmJS6_EEE10hipError_tPvRmT3_T4_T5_T6_T7_T9_mT8_P12ihipStream_tbDpT10_ENKUlT_T0_E_clISt17integral_constantIbLb1EES1D_IbLb0EEEEDaS19_S1A_EUlS19_E_NS1_11comp_targetILNS1_3genE4ELNS1_11target_archE910ELNS1_3gpuE8ELNS1_3repE0EEENS1_30default_config_static_selectorELNS0_4arch9wavefront6targetE1EEEvT1_,comdat
	.globl	_ZN7rocprim17ROCPRIM_400000_NS6detail17trampoline_kernelINS0_14default_configENS1_25partition_config_selectorILNS1_17partition_subalgoE8ElNS0_10empty_typeEbEEZZNS1_14partition_implILS5_8ELb0ES3_jPlPS6_PKS6_NS0_5tupleIJS9_S6_EEENSD_IJSA_SA_EEENS0_18inequality_wrapperIZN2at6native12_GLOBAL__N_124unique_dim_cuda_templateIN3c104HalfEEESt5tupleIJNSH_6TensorESO_SO_EERKSO_lbbbEUlllE0_EEPmJS6_EEE10hipError_tPvRmT3_T4_T5_T6_T7_T9_mT8_P12ihipStream_tbDpT10_ENKUlT_T0_E_clISt17integral_constantIbLb1EES1D_IbLb0EEEEDaS19_S1A_EUlS19_E_NS1_11comp_targetILNS1_3genE4ELNS1_11target_archE910ELNS1_3gpuE8ELNS1_3repE0EEENS1_30default_config_static_selectorELNS0_4arch9wavefront6targetE1EEEvT1_ ; -- Begin function _ZN7rocprim17ROCPRIM_400000_NS6detail17trampoline_kernelINS0_14default_configENS1_25partition_config_selectorILNS1_17partition_subalgoE8ElNS0_10empty_typeEbEEZZNS1_14partition_implILS5_8ELb0ES3_jPlPS6_PKS6_NS0_5tupleIJS9_S6_EEENSD_IJSA_SA_EEENS0_18inequality_wrapperIZN2at6native12_GLOBAL__N_124unique_dim_cuda_templateIN3c104HalfEEESt5tupleIJNSH_6TensorESO_SO_EERKSO_lbbbEUlllE0_EEPmJS6_EEE10hipError_tPvRmT3_T4_T5_T6_T7_T9_mT8_P12ihipStream_tbDpT10_ENKUlT_T0_E_clISt17integral_constantIbLb1EES1D_IbLb0EEEEDaS19_S1A_EUlS19_E_NS1_11comp_targetILNS1_3genE4ELNS1_11target_archE910ELNS1_3gpuE8ELNS1_3repE0EEENS1_30default_config_static_selectorELNS0_4arch9wavefront6targetE1EEEvT1_
	.p2align	8
	.type	_ZN7rocprim17ROCPRIM_400000_NS6detail17trampoline_kernelINS0_14default_configENS1_25partition_config_selectorILNS1_17partition_subalgoE8ElNS0_10empty_typeEbEEZZNS1_14partition_implILS5_8ELb0ES3_jPlPS6_PKS6_NS0_5tupleIJS9_S6_EEENSD_IJSA_SA_EEENS0_18inequality_wrapperIZN2at6native12_GLOBAL__N_124unique_dim_cuda_templateIN3c104HalfEEESt5tupleIJNSH_6TensorESO_SO_EERKSO_lbbbEUlllE0_EEPmJS6_EEE10hipError_tPvRmT3_T4_T5_T6_T7_T9_mT8_P12ihipStream_tbDpT10_ENKUlT_T0_E_clISt17integral_constantIbLb1EES1D_IbLb0EEEEDaS19_S1A_EUlS19_E_NS1_11comp_targetILNS1_3genE4ELNS1_11target_archE910ELNS1_3gpuE8ELNS1_3repE0EEENS1_30default_config_static_selectorELNS0_4arch9wavefront6targetE1EEEvT1_,@function
_ZN7rocprim17ROCPRIM_400000_NS6detail17trampoline_kernelINS0_14default_configENS1_25partition_config_selectorILNS1_17partition_subalgoE8ElNS0_10empty_typeEbEEZZNS1_14partition_implILS5_8ELb0ES3_jPlPS6_PKS6_NS0_5tupleIJS9_S6_EEENSD_IJSA_SA_EEENS0_18inequality_wrapperIZN2at6native12_GLOBAL__N_124unique_dim_cuda_templateIN3c104HalfEEESt5tupleIJNSH_6TensorESO_SO_EERKSO_lbbbEUlllE0_EEPmJS6_EEE10hipError_tPvRmT3_T4_T5_T6_T7_T9_mT8_P12ihipStream_tbDpT10_ENKUlT_T0_E_clISt17integral_constantIbLb1EES1D_IbLb0EEEEDaS19_S1A_EUlS19_E_NS1_11comp_targetILNS1_3genE4ELNS1_11target_archE910ELNS1_3gpuE8ELNS1_3repE0EEENS1_30default_config_static_selectorELNS0_4arch9wavefront6targetE1EEEvT1_: ; @_ZN7rocprim17ROCPRIM_400000_NS6detail17trampoline_kernelINS0_14default_configENS1_25partition_config_selectorILNS1_17partition_subalgoE8ElNS0_10empty_typeEbEEZZNS1_14partition_implILS5_8ELb0ES3_jPlPS6_PKS6_NS0_5tupleIJS9_S6_EEENSD_IJSA_SA_EEENS0_18inequality_wrapperIZN2at6native12_GLOBAL__N_124unique_dim_cuda_templateIN3c104HalfEEESt5tupleIJNSH_6TensorESO_SO_EERKSO_lbbbEUlllE0_EEPmJS6_EEE10hipError_tPvRmT3_T4_T5_T6_T7_T9_mT8_P12ihipStream_tbDpT10_ENKUlT_T0_E_clISt17integral_constantIbLb1EES1D_IbLb0EEEEDaS19_S1A_EUlS19_E_NS1_11comp_targetILNS1_3genE4ELNS1_11target_archE910ELNS1_3gpuE8ELNS1_3repE0EEENS1_30default_config_static_selectorELNS0_4arch9wavefront6targetE1EEEvT1_
; %bb.0:
	.section	.rodata,"a",@progbits
	.p2align	6, 0x0
	.amdhsa_kernel _ZN7rocprim17ROCPRIM_400000_NS6detail17trampoline_kernelINS0_14default_configENS1_25partition_config_selectorILNS1_17partition_subalgoE8ElNS0_10empty_typeEbEEZZNS1_14partition_implILS5_8ELb0ES3_jPlPS6_PKS6_NS0_5tupleIJS9_S6_EEENSD_IJSA_SA_EEENS0_18inequality_wrapperIZN2at6native12_GLOBAL__N_124unique_dim_cuda_templateIN3c104HalfEEESt5tupleIJNSH_6TensorESO_SO_EERKSO_lbbbEUlllE0_EEPmJS6_EEE10hipError_tPvRmT3_T4_T5_T6_T7_T9_mT8_P12ihipStream_tbDpT10_ENKUlT_T0_E_clISt17integral_constantIbLb1EES1D_IbLb0EEEEDaS19_S1A_EUlS19_E_NS1_11comp_targetILNS1_3genE4ELNS1_11target_archE910ELNS1_3gpuE8ELNS1_3repE0EEENS1_30default_config_static_selectorELNS0_4arch9wavefront6targetE1EEEvT1_
		.amdhsa_group_segment_fixed_size 0
		.amdhsa_private_segment_fixed_size 0
		.amdhsa_kernarg_size 120
		.amdhsa_user_sgpr_count 2
		.amdhsa_user_sgpr_dispatch_ptr 0
		.amdhsa_user_sgpr_queue_ptr 0
		.amdhsa_user_sgpr_kernarg_segment_ptr 1
		.amdhsa_user_sgpr_dispatch_id 0
		.amdhsa_user_sgpr_kernarg_preload_length 0
		.amdhsa_user_sgpr_kernarg_preload_offset 0
		.amdhsa_user_sgpr_private_segment_size 0
		.amdhsa_uses_dynamic_stack 0
		.amdhsa_enable_private_segment 0
		.amdhsa_system_sgpr_workgroup_id_x 1
		.amdhsa_system_sgpr_workgroup_id_y 0
		.amdhsa_system_sgpr_workgroup_id_z 0
		.amdhsa_system_sgpr_workgroup_info 0
		.amdhsa_system_vgpr_workitem_id 0
		.amdhsa_next_free_vgpr 1
		.amdhsa_next_free_sgpr 0
		.amdhsa_accum_offset 4
		.amdhsa_reserve_vcc 0
		.amdhsa_float_round_mode_32 0
		.amdhsa_float_round_mode_16_64 0
		.amdhsa_float_denorm_mode_32 3
		.amdhsa_float_denorm_mode_16_64 3
		.amdhsa_dx10_clamp 1
		.amdhsa_ieee_mode 1
		.amdhsa_fp16_overflow 0
		.amdhsa_tg_split 0
		.amdhsa_exception_fp_ieee_invalid_op 0
		.amdhsa_exception_fp_denorm_src 0
		.amdhsa_exception_fp_ieee_div_zero 0
		.amdhsa_exception_fp_ieee_overflow 0
		.amdhsa_exception_fp_ieee_underflow 0
		.amdhsa_exception_fp_ieee_inexact 0
		.amdhsa_exception_int_div_zero 0
	.end_amdhsa_kernel
	.section	.text._ZN7rocprim17ROCPRIM_400000_NS6detail17trampoline_kernelINS0_14default_configENS1_25partition_config_selectorILNS1_17partition_subalgoE8ElNS0_10empty_typeEbEEZZNS1_14partition_implILS5_8ELb0ES3_jPlPS6_PKS6_NS0_5tupleIJS9_S6_EEENSD_IJSA_SA_EEENS0_18inequality_wrapperIZN2at6native12_GLOBAL__N_124unique_dim_cuda_templateIN3c104HalfEEESt5tupleIJNSH_6TensorESO_SO_EERKSO_lbbbEUlllE0_EEPmJS6_EEE10hipError_tPvRmT3_T4_T5_T6_T7_T9_mT8_P12ihipStream_tbDpT10_ENKUlT_T0_E_clISt17integral_constantIbLb1EES1D_IbLb0EEEEDaS19_S1A_EUlS19_E_NS1_11comp_targetILNS1_3genE4ELNS1_11target_archE910ELNS1_3gpuE8ELNS1_3repE0EEENS1_30default_config_static_selectorELNS0_4arch9wavefront6targetE1EEEvT1_,"axG",@progbits,_ZN7rocprim17ROCPRIM_400000_NS6detail17trampoline_kernelINS0_14default_configENS1_25partition_config_selectorILNS1_17partition_subalgoE8ElNS0_10empty_typeEbEEZZNS1_14partition_implILS5_8ELb0ES3_jPlPS6_PKS6_NS0_5tupleIJS9_S6_EEENSD_IJSA_SA_EEENS0_18inequality_wrapperIZN2at6native12_GLOBAL__N_124unique_dim_cuda_templateIN3c104HalfEEESt5tupleIJNSH_6TensorESO_SO_EERKSO_lbbbEUlllE0_EEPmJS6_EEE10hipError_tPvRmT3_T4_T5_T6_T7_T9_mT8_P12ihipStream_tbDpT10_ENKUlT_T0_E_clISt17integral_constantIbLb1EES1D_IbLb0EEEEDaS19_S1A_EUlS19_E_NS1_11comp_targetILNS1_3genE4ELNS1_11target_archE910ELNS1_3gpuE8ELNS1_3repE0EEENS1_30default_config_static_selectorELNS0_4arch9wavefront6targetE1EEEvT1_,comdat
.Lfunc_end1315:
	.size	_ZN7rocprim17ROCPRIM_400000_NS6detail17trampoline_kernelINS0_14default_configENS1_25partition_config_selectorILNS1_17partition_subalgoE8ElNS0_10empty_typeEbEEZZNS1_14partition_implILS5_8ELb0ES3_jPlPS6_PKS6_NS0_5tupleIJS9_S6_EEENSD_IJSA_SA_EEENS0_18inequality_wrapperIZN2at6native12_GLOBAL__N_124unique_dim_cuda_templateIN3c104HalfEEESt5tupleIJNSH_6TensorESO_SO_EERKSO_lbbbEUlllE0_EEPmJS6_EEE10hipError_tPvRmT3_T4_T5_T6_T7_T9_mT8_P12ihipStream_tbDpT10_ENKUlT_T0_E_clISt17integral_constantIbLb1EES1D_IbLb0EEEEDaS19_S1A_EUlS19_E_NS1_11comp_targetILNS1_3genE4ELNS1_11target_archE910ELNS1_3gpuE8ELNS1_3repE0EEENS1_30default_config_static_selectorELNS0_4arch9wavefront6targetE1EEEvT1_, .Lfunc_end1315-_ZN7rocprim17ROCPRIM_400000_NS6detail17trampoline_kernelINS0_14default_configENS1_25partition_config_selectorILNS1_17partition_subalgoE8ElNS0_10empty_typeEbEEZZNS1_14partition_implILS5_8ELb0ES3_jPlPS6_PKS6_NS0_5tupleIJS9_S6_EEENSD_IJSA_SA_EEENS0_18inequality_wrapperIZN2at6native12_GLOBAL__N_124unique_dim_cuda_templateIN3c104HalfEEESt5tupleIJNSH_6TensorESO_SO_EERKSO_lbbbEUlllE0_EEPmJS6_EEE10hipError_tPvRmT3_T4_T5_T6_T7_T9_mT8_P12ihipStream_tbDpT10_ENKUlT_T0_E_clISt17integral_constantIbLb1EES1D_IbLb0EEEEDaS19_S1A_EUlS19_E_NS1_11comp_targetILNS1_3genE4ELNS1_11target_archE910ELNS1_3gpuE8ELNS1_3repE0EEENS1_30default_config_static_selectorELNS0_4arch9wavefront6targetE1EEEvT1_
                                        ; -- End function
	.set _ZN7rocprim17ROCPRIM_400000_NS6detail17trampoline_kernelINS0_14default_configENS1_25partition_config_selectorILNS1_17partition_subalgoE8ElNS0_10empty_typeEbEEZZNS1_14partition_implILS5_8ELb0ES3_jPlPS6_PKS6_NS0_5tupleIJS9_S6_EEENSD_IJSA_SA_EEENS0_18inequality_wrapperIZN2at6native12_GLOBAL__N_124unique_dim_cuda_templateIN3c104HalfEEESt5tupleIJNSH_6TensorESO_SO_EERKSO_lbbbEUlllE0_EEPmJS6_EEE10hipError_tPvRmT3_T4_T5_T6_T7_T9_mT8_P12ihipStream_tbDpT10_ENKUlT_T0_E_clISt17integral_constantIbLb1EES1D_IbLb0EEEEDaS19_S1A_EUlS19_E_NS1_11comp_targetILNS1_3genE4ELNS1_11target_archE910ELNS1_3gpuE8ELNS1_3repE0EEENS1_30default_config_static_selectorELNS0_4arch9wavefront6targetE1EEEvT1_.num_vgpr, 0
	.set _ZN7rocprim17ROCPRIM_400000_NS6detail17trampoline_kernelINS0_14default_configENS1_25partition_config_selectorILNS1_17partition_subalgoE8ElNS0_10empty_typeEbEEZZNS1_14partition_implILS5_8ELb0ES3_jPlPS6_PKS6_NS0_5tupleIJS9_S6_EEENSD_IJSA_SA_EEENS0_18inequality_wrapperIZN2at6native12_GLOBAL__N_124unique_dim_cuda_templateIN3c104HalfEEESt5tupleIJNSH_6TensorESO_SO_EERKSO_lbbbEUlllE0_EEPmJS6_EEE10hipError_tPvRmT3_T4_T5_T6_T7_T9_mT8_P12ihipStream_tbDpT10_ENKUlT_T0_E_clISt17integral_constantIbLb1EES1D_IbLb0EEEEDaS19_S1A_EUlS19_E_NS1_11comp_targetILNS1_3genE4ELNS1_11target_archE910ELNS1_3gpuE8ELNS1_3repE0EEENS1_30default_config_static_selectorELNS0_4arch9wavefront6targetE1EEEvT1_.num_agpr, 0
	.set _ZN7rocprim17ROCPRIM_400000_NS6detail17trampoline_kernelINS0_14default_configENS1_25partition_config_selectorILNS1_17partition_subalgoE8ElNS0_10empty_typeEbEEZZNS1_14partition_implILS5_8ELb0ES3_jPlPS6_PKS6_NS0_5tupleIJS9_S6_EEENSD_IJSA_SA_EEENS0_18inequality_wrapperIZN2at6native12_GLOBAL__N_124unique_dim_cuda_templateIN3c104HalfEEESt5tupleIJNSH_6TensorESO_SO_EERKSO_lbbbEUlllE0_EEPmJS6_EEE10hipError_tPvRmT3_T4_T5_T6_T7_T9_mT8_P12ihipStream_tbDpT10_ENKUlT_T0_E_clISt17integral_constantIbLb1EES1D_IbLb0EEEEDaS19_S1A_EUlS19_E_NS1_11comp_targetILNS1_3genE4ELNS1_11target_archE910ELNS1_3gpuE8ELNS1_3repE0EEENS1_30default_config_static_selectorELNS0_4arch9wavefront6targetE1EEEvT1_.numbered_sgpr, 0
	.set _ZN7rocprim17ROCPRIM_400000_NS6detail17trampoline_kernelINS0_14default_configENS1_25partition_config_selectorILNS1_17partition_subalgoE8ElNS0_10empty_typeEbEEZZNS1_14partition_implILS5_8ELb0ES3_jPlPS6_PKS6_NS0_5tupleIJS9_S6_EEENSD_IJSA_SA_EEENS0_18inequality_wrapperIZN2at6native12_GLOBAL__N_124unique_dim_cuda_templateIN3c104HalfEEESt5tupleIJNSH_6TensorESO_SO_EERKSO_lbbbEUlllE0_EEPmJS6_EEE10hipError_tPvRmT3_T4_T5_T6_T7_T9_mT8_P12ihipStream_tbDpT10_ENKUlT_T0_E_clISt17integral_constantIbLb1EES1D_IbLb0EEEEDaS19_S1A_EUlS19_E_NS1_11comp_targetILNS1_3genE4ELNS1_11target_archE910ELNS1_3gpuE8ELNS1_3repE0EEENS1_30default_config_static_selectorELNS0_4arch9wavefront6targetE1EEEvT1_.num_named_barrier, 0
	.set _ZN7rocprim17ROCPRIM_400000_NS6detail17trampoline_kernelINS0_14default_configENS1_25partition_config_selectorILNS1_17partition_subalgoE8ElNS0_10empty_typeEbEEZZNS1_14partition_implILS5_8ELb0ES3_jPlPS6_PKS6_NS0_5tupleIJS9_S6_EEENSD_IJSA_SA_EEENS0_18inequality_wrapperIZN2at6native12_GLOBAL__N_124unique_dim_cuda_templateIN3c104HalfEEESt5tupleIJNSH_6TensorESO_SO_EERKSO_lbbbEUlllE0_EEPmJS6_EEE10hipError_tPvRmT3_T4_T5_T6_T7_T9_mT8_P12ihipStream_tbDpT10_ENKUlT_T0_E_clISt17integral_constantIbLb1EES1D_IbLb0EEEEDaS19_S1A_EUlS19_E_NS1_11comp_targetILNS1_3genE4ELNS1_11target_archE910ELNS1_3gpuE8ELNS1_3repE0EEENS1_30default_config_static_selectorELNS0_4arch9wavefront6targetE1EEEvT1_.private_seg_size, 0
	.set _ZN7rocprim17ROCPRIM_400000_NS6detail17trampoline_kernelINS0_14default_configENS1_25partition_config_selectorILNS1_17partition_subalgoE8ElNS0_10empty_typeEbEEZZNS1_14partition_implILS5_8ELb0ES3_jPlPS6_PKS6_NS0_5tupleIJS9_S6_EEENSD_IJSA_SA_EEENS0_18inequality_wrapperIZN2at6native12_GLOBAL__N_124unique_dim_cuda_templateIN3c104HalfEEESt5tupleIJNSH_6TensorESO_SO_EERKSO_lbbbEUlllE0_EEPmJS6_EEE10hipError_tPvRmT3_T4_T5_T6_T7_T9_mT8_P12ihipStream_tbDpT10_ENKUlT_T0_E_clISt17integral_constantIbLb1EES1D_IbLb0EEEEDaS19_S1A_EUlS19_E_NS1_11comp_targetILNS1_3genE4ELNS1_11target_archE910ELNS1_3gpuE8ELNS1_3repE0EEENS1_30default_config_static_selectorELNS0_4arch9wavefront6targetE1EEEvT1_.uses_vcc, 0
	.set _ZN7rocprim17ROCPRIM_400000_NS6detail17trampoline_kernelINS0_14default_configENS1_25partition_config_selectorILNS1_17partition_subalgoE8ElNS0_10empty_typeEbEEZZNS1_14partition_implILS5_8ELb0ES3_jPlPS6_PKS6_NS0_5tupleIJS9_S6_EEENSD_IJSA_SA_EEENS0_18inequality_wrapperIZN2at6native12_GLOBAL__N_124unique_dim_cuda_templateIN3c104HalfEEESt5tupleIJNSH_6TensorESO_SO_EERKSO_lbbbEUlllE0_EEPmJS6_EEE10hipError_tPvRmT3_T4_T5_T6_T7_T9_mT8_P12ihipStream_tbDpT10_ENKUlT_T0_E_clISt17integral_constantIbLb1EES1D_IbLb0EEEEDaS19_S1A_EUlS19_E_NS1_11comp_targetILNS1_3genE4ELNS1_11target_archE910ELNS1_3gpuE8ELNS1_3repE0EEENS1_30default_config_static_selectorELNS0_4arch9wavefront6targetE1EEEvT1_.uses_flat_scratch, 0
	.set _ZN7rocprim17ROCPRIM_400000_NS6detail17trampoline_kernelINS0_14default_configENS1_25partition_config_selectorILNS1_17partition_subalgoE8ElNS0_10empty_typeEbEEZZNS1_14partition_implILS5_8ELb0ES3_jPlPS6_PKS6_NS0_5tupleIJS9_S6_EEENSD_IJSA_SA_EEENS0_18inequality_wrapperIZN2at6native12_GLOBAL__N_124unique_dim_cuda_templateIN3c104HalfEEESt5tupleIJNSH_6TensorESO_SO_EERKSO_lbbbEUlllE0_EEPmJS6_EEE10hipError_tPvRmT3_T4_T5_T6_T7_T9_mT8_P12ihipStream_tbDpT10_ENKUlT_T0_E_clISt17integral_constantIbLb1EES1D_IbLb0EEEEDaS19_S1A_EUlS19_E_NS1_11comp_targetILNS1_3genE4ELNS1_11target_archE910ELNS1_3gpuE8ELNS1_3repE0EEENS1_30default_config_static_selectorELNS0_4arch9wavefront6targetE1EEEvT1_.has_dyn_sized_stack, 0
	.set _ZN7rocprim17ROCPRIM_400000_NS6detail17trampoline_kernelINS0_14default_configENS1_25partition_config_selectorILNS1_17partition_subalgoE8ElNS0_10empty_typeEbEEZZNS1_14partition_implILS5_8ELb0ES3_jPlPS6_PKS6_NS0_5tupleIJS9_S6_EEENSD_IJSA_SA_EEENS0_18inequality_wrapperIZN2at6native12_GLOBAL__N_124unique_dim_cuda_templateIN3c104HalfEEESt5tupleIJNSH_6TensorESO_SO_EERKSO_lbbbEUlllE0_EEPmJS6_EEE10hipError_tPvRmT3_T4_T5_T6_T7_T9_mT8_P12ihipStream_tbDpT10_ENKUlT_T0_E_clISt17integral_constantIbLb1EES1D_IbLb0EEEEDaS19_S1A_EUlS19_E_NS1_11comp_targetILNS1_3genE4ELNS1_11target_archE910ELNS1_3gpuE8ELNS1_3repE0EEENS1_30default_config_static_selectorELNS0_4arch9wavefront6targetE1EEEvT1_.has_recursion, 0
	.set _ZN7rocprim17ROCPRIM_400000_NS6detail17trampoline_kernelINS0_14default_configENS1_25partition_config_selectorILNS1_17partition_subalgoE8ElNS0_10empty_typeEbEEZZNS1_14partition_implILS5_8ELb0ES3_jPlPS6_PKS6_NS0_5tupleIJS9_S6_EEENSD_IJSA_SA_EEENS0_18inequality_wrapperIZN2at6native12_GLOBAL__N_124unique_dim_cuda_templateIN3c104HalfEEESt5tupleIJNSH_6TensorESO_SO_EERKSO_lbbbEUlllE0_EEPmJS6_EEE10hipError_tPvRmT3_T4_T5_T6_T7_T9_mT8_P12ihipStream_tbDpT10_ENKUlT_T0_E_clISt17integral_constantIbLb1EES1D_IbLb0EEEEDaS19_S1A_EUlS19_E_NS1_11comp_targetILNS1_3genE4ELNS1_11target_archE910ELNS1_3gpuE8ELNS1_3repE0EEENS1_30default_config_static_selectorELNS0_4arch9wavefront6targetE1EEEvT1_.has_indirect_call, 0
	.section	.AMDGPU.csdata,"",@progbits
; Kernel info:
; codeLenInByte = 0
; TotalNumSgprs: 6
; NumVgprs: 0
; NumAgprs: 0
; TotalNumVgprs: 0
; ScratchSize: 0
; MemoryBound: 0
; FloatMode: 240
; IeeeMode: 1
; LDSByteSize: 0 bytes/workgroup (compile time only)
; SGPRBlocks: 0
; VGPRBlocks: 0
; NumSGPRsForWavesPerEU: 6
; NumVGPRsForWavesPerEU: 1
; AccumOffset: 4
; Occupancy: 8
; WaveLimiterHint : 0
; COMPUTE_PGM_RSRC2:SCRATCH_EN: 0
; COMPUTE_PGM_RSRC2:USER_SGPR: 2
; COMPUTE_PGM_RSRC2:TRAP_HANDLER: 0
; COMPUTE_PGM_RSRC2:TGID_X_EN: 1
; COMPUTE_PGM_RSRC2:TGID_Y_EN: 0
; COMPUTE_PGM_RSRC2:TGID_Z_EN: 0
; COMPUTE_PGM_RSRC2:TIDIG_COMP_CNT: 0
; COMPUTE_PGM_RSRC3_GFX90A:ACCUM_OFFSET: 0
; COMPUTE_PGM_RSRC3_GFX90A:TG_SPLIT: 0
	.section	.text._ZN7rocprim17ROCPRIM_400000_NS6detail17trampoline_kernelINS0_14default_configENS1_25partition_config_selectorILNS1_17partition_subalgoE8ElNS0_10empty_typeEbEEZZNS1_14partition_implILS5_8ELb0ES3_jPlPS6_PKS6_NS0_5tupleIJS9_S6_EEENSD_IJSA_SA_EEENS0_18inequality_wrapperIZN2at6native12_GLOBAL__N_124unique_dim_cuda_templateIN3c104HalfEEESt5tupleIJNSH_6TensorESO_SO_EERKSO_lbbbEUlllE0_EEPmJS6_EEE10hipError_tPvRmT3_T4_T5_T6_T7_T9_mT8_P12ihipStream_tbDpT10_ENKUlT_T0_E_clISt17integral_constantIbLb1EES1D_IbLb0EEEEDaS19_S1A_EUlS19_E_NS1_11comp_targetILNS1_3genE3ELNS1_11target_archE908ELNS1_3gpuE7ELNS1_3repE0EEENS1_30default_config_static_selectorELNS0_4arch9wavefront6targetE1EEEvT1_,"axG",@progbits,_ZN7rocprim17ROCPRIM_400000_NS6detail17trampoline_kernelINS0_14default_configENS1_25partition_config_selectorILNS1_17partition_subalgoE8ElNS0_10empty_typeEbEEZZNS1_14partition_implILS5_8ELb0ES3_jPlPS6_PKS6_NS0_5tupleIJS9_S6_EEENSD_IJSA_SA_EEENS0_18inequality_wrapperIZN2at6native12_GLOBAL__N_124unique_dim_cuda_templateIN3c104HalfEEESt5tupleIJNSH_6TensorESO_SO_EERKSO_lbbbEUlllE0_EEPmJS6_EEE10hipError_tPvRmT3_T4_T5_T6_T7_T9_mT8_P12ihipStream_tbDpT10_ENKUlT_T0_E_clISt17integral_constantIbLb1EES1D_IbLb0EEEEDaS19_S1A_EUlS19_E_NS1_11comp_targetILNS1_3genE3ELNS1_11target_archE908ELNS1_3gpuE7ELNS1_3repE0EEENS1_30default_config_static_selectorELNS0_4arch9wavefront6targetE1EEEvT1_,comdat
	.globl	_ZN7rocprim17ROCPRIM_400000_NS6detail17trampoline_kernelINS0_14default_configENS1_25partition_config_selectorILNS1_17partition_subalgoE8ElNS0_10empty_typeEbEEZZNS1_14partition_implILS5_8ELb0ES3_jPlPS6_PKS6_NS0_5tupleIJS9_S6_EEENSD_IJSA_SA_EEENS0_18inequality_wrapperIZN2at6native12_GLOBAL__N_124unique_dim_cuda_templateIN3c104HalfEEESt5tupleIJNSH_6TensorESO_SO_EERKSO_lbbbEUlllE0_EEPmJS6_EEE10hipError_tPvRmT3_T4_T5_T6_T7_T9_mT8_P12ihipStream_tbDpT10_ENKUlT_T0_E_clISt17integral_constantIbLb1EES1D_IbLb0EEEEDaS19_S1A_EUlS19_E_NS1_11comp_targetILNS1_3genE3ELNS1_11target_archE908ELNS1_3gpuE7ELNS1_3repE0EEENS1_30default_config_static_selectorELNS0_4arch9wavefront6targetE1EEEvT1_ ; -- Begin function _ZN7rocprim17ROCPRIM_400000_NS6detail17trampoline_kernelINS0_14default_configENS1_25partition_config_selectorILNS1_17partition_subalgoE8ElNS0_10empty_typeEbEEZZNS1_14partition_implILS5_8ELb0ES3_jPlPS6_PKS6_NS0_5tupleIJS9_S6_EEENSD_IJSA_SA_EEENS0_18inequality_wrapperIZN2at6native12_GLOBAL__N_124unique_dim_cuda_templateIN3c104HalfEEESt5tupleIJNSH_6TensorESO_SO_EERKSO_lbbbEUlllE0_EEPmJS6_EEE10hipError_tPvRmT3_T4_T5_T6_T7_T9_mT8_P12ihipStream_tbDpT10_ENKUlT_T0_E_clISt17integral_constantIbLb1EES1D_IbLb0EEEEDaS19_S1A_EUlS19_E_NS1_11comp_targetILNS1_3genE3ELNS1_11target_archE908ELNS1_3gpuE7ELNS1_3repE0EEENS1_30default_config_static_selectorELNS0_4arch9wavefront6targetE1EEEvT1_
	.p2align	8
	.type	_ZN7rocprim17ROCPRIM_400000_NS6detail17trampoline_kernelINS0_14default_configENS1_25partition_config_selectorILNS1_17partition_subalgoE8ElNS0_10empty_typeEbEEZZNS1_14partition_implILS5_8ELb0ES3_jPlPS6_PKS6_NS0_5tupleIJS9_S6_EEENSD_IJSA_SA_EEENS0_18inequality_wrapperIZN2at6native12_GLOBAL__N_124unique_dim_cuda_templateIN3c104HalfEEESt5tupleIJNSH_6TensorESO_SO_EERKSO_lbbbEUlllE0_EEPmJS6_EEE10hipError_tPvRmT3_T4_T5_T6_T7_T9_mT8_P12ihipStream_tbDpT10_ENKUlT_T0_E_clISt17integral_constantIbLb1EES1D_IbLb0EEEEDaS19_S1A_EUlS19_E_NS1_11comp_targetILNS1_3genE3ELNS1_11target_archE908ELNS1_3gpuE7ELNS1_3repE0EEENS1_30default_config_static_selectorELNS0_4arch9wavefront6targetE1EEEvT1_,@function
_ZN7rocprim17ROCPRIM_400000_NS6detail17trampoline_kernelINS0_14default_configENS1_25partition_config_selectorILNS1_17partition_subalgoE8ElNS0_10empty_typeEbEEZZNS1_14partition_implILS5_8ELb0ES3_jPlPS6_PKS6_NS0_5tupleIJS9_S6_EEENSD_IJSA_SA_EEENS0_18inequality_wrapperIZN2at6native12_GLOBAL__N_124unique_dim_cuda_templateIN3c104HalfEEESt5tupleIJNSH_6TensorESO_SO_EERKSO_lbbbEUlllE0_EEPmJS6_EEE10hipError_tPvRmT3_T4_T5_T6_T7_T9_mT8_P12ihipStream_tbDpT10_ENKUlT_T0_E_clISt17integral_constantIbLb1EES1D_IbLb0EEEEDaS19_S1A_EUlS19_E_NS1_11comp_targetILNS1_3genE3ELNS1_11target_archE908ELNS1_3gpuE7ELNS1_3repE0EEENS1_30default_config_static_selectorELNS0_4arch9wavefront6targetE1EEEvT1_: ; @_ZN7rocprim17ROCPRIM_400000_NS6detail17trampoline_kernelINS0_14default_configENS1_25partition_config_selectorILNS1_17partition_subalgoE8ElNS0_10empty_typeEbEEZZNS1_14partition_implILS5_8ELb0ES3_jPlPS6_PKS6_NS0_5tupleIJS9_S6_EEENSD_IJSA_SA_EEENS0_18inequality_wrapperIZN2at6native12_GLOBAL__N_124unique_dim_cuda_templateIN3c104HalfEEESt5tupleIJNSH_6TensorESO_SO_EERKSO_lbbbEUlllE0_EEPmJS6_EEE10hipError_tPvRmT3_T4_T5_T6_T7_T9_mT8_P12ihipStream_tbDpT10_ENKUlT_T0_E_clISt17integral_constantIbLb1EES1D_IbLb0EEEEDaS19_S1A_EUlS19_E_NS1_11comp_targetILNS1_3genE3ELNS1_11target_archE908ELNS1_3gpuE7ELNS1_3repE0EEENS1_30default_config_static_selectorELNS0_4arch9wavefront6targetE1EEEvT1_
; %bb.0:
	.section	.rodata,"a",@progbits
	.p2align	6, 0x0
	.amdhsa_kernel _ZN7rocprim17ROCPRIM_400000_NS6detail17trampoline_kernelINS0_14default_configENS1_25partition_config_selectorILNS1_17partition_subalgoE8ElNS0_10empty_typeEbEEZZNS1_14partition_implILS5_8ELb0ES3_jPlPS6_PKS6_NS0_5tupleIJS9_S6_EEENSD_IJSA_SA_EEENS0_18inequality_wrapperIZN2at6native12_GLOBAL__N_124unique_dim_cuda_templateIN3c104HalfEEESt5tupleIJNSH_6TensorESO_SO_EERKSO_lbbbEUlllE0_EEPmJS6_EEE10hipError_tPvRmT3_T4_T5_T6_T7_T9_mT8_P12ihipStream_tbDpT10_ENKUlT_T0_E_clISt17integral_constantIbLb1EES1D_IbLb0EEEEDaS19_S1A_EUlS19_E_NS1_11comp_targetILNS1_3genE3ELNS1_11target_archE908ELNS1_3gpuE7ELNS1_3repE0EEENS1_30default_config_static_selectorELNS0_4arch9wavefront6targetE1EEEvT1_
		.amdhsa_group_segment_fixed_size 0
		.amdhsa_private_segment_fixed_size 0
		.amdhsa_kernarg_size 120
		.amdhsa_user_sgpr_count 2
		.amdhsa_user_sgpr_dispatch_ptr 0
		.amdhsa_user_sgpr_queue_ptr 0
		.amdhsa_user_sgpr_kernarg_segment_ptr 1
		.amdhsa_user_sgpr_dispatch_id 0
		.amdhsa_user_sgpr_kernarg_preload_length 0
		.amdhsa_user_sgpr_kernarg_preload_offset 0
		.amdhsa_user_sgpr_private_segment_size 0
		.amdhsa_uses_dynamic_stack 0
		.amdhsa_enable_private_segment 0
		.amdhsa_system_sgpr_workgroup_id_x 1
		.amdhsa_system_sgpr_workgroup_id_y 0
		.amdhsa_system_sgpr_workgroup_id_z 0
		.amdhsa_system_sgpr_workgroup_info 0
		.amdhsa_system_vgpr_workitem_id 0
		.amdhsa_next_free_vgpr 1
		.amdhsa_next_free_sgpr 0
		.amdhsa_accum_offset 4
		.amdhsa_reserve_vcc 0
		.amdhsa_float_round_mode_32 0
		.amdhsa_float_round_mode_16_64 0
		.amdhsa_float_denorm_mode_32 3
		.amdhsa_float_denorm_mode_16_64 3
		.amdhsa_dx10_clamp 1
		.amdhsa_ieee_mode 1
		.amdhsa_fp16_overflow 0
		.amdhsa_tg_split 0
		.amdhsa_exception_fp_ieee_invalid_op 0
		.amdhsa_exception_fp_denorm_src 0
		.amdhsa_exception_fp_ieee_div_zero 0
		.amdhsa_exception_fp_ieee_overflow 0
		.amdhsa_exception_fp_ieee_underflow 0
		.amdhsa_exception_fp_ieee_inexact 0
		.amdhsa_exception_int_div_zero 0
	.end_amdhsa_kernel
	.section	.text._ZN7rocprim17ROCPRIM_400000_NS6detail17trampoline_kernelINS0_14default_configENS1_25partition_config_selectorILNS1_17partition_subalgoE8ElNS0_10empty_typeEbEEZZNS1_14partition_implILS5_8ELb0ES3_jPlPS6_PKS6_NS0_5tupleIJS9_S6_EEENSD_IJSA_SA_EEENS0_18inequality_wrapperIZN2at6native12_GLOBAL__N_124unique_dim_cuda_templateIN3c104HalfEEESt5tupleIJNSH_6TensorESO_SO_EERKSO_lbbbEUlllE0_EEPmJS6_EEE10hipError_tPvRmT3_T4_T5_T6_T7_T9_mT8_P12ihipStream_tbDpT10_ENKUlT_T0_E_clISt17integral_constantIbLb1EES1D_IbLb0EEEEDaS19_S1A_EUlS19_E_NS1_11comp_targetILNS1_3genE3ELNS1_11target_archE908ELNS1_3gpuE7ELNS1_3repE0EEENS1_30default_config_static_selectorELNS0_4arch9wavefront6targetE1EEEvT1_,"axG",@progbits,_ZN7rocprim17ROCPRIM_400000_NS6detail17trampoline_kernelINS0_14default_configENS1_25partition_config_selectorILNS1_17partition_subalgoE8ElNS0_10empty_typeEbEEZZNS1_14partition_implILS5_8ELb0ES3_jPlPS6_PKS6_NS0_5tupleIJS9_S6_EEENSD_IJSA_SA_EEENS0_18inequality_wrapperIZN2at6native12_GLOBAL__N_124unique_dim_cuda_templateIN3c104HalfEEESt5tupleIJNSH_6TensorESO_SO_EERKSO_lbbbEUlllE0_EEPmJS6_EEE10hipError_tPvRmT3_T4_T5_T6_T7_T9_mT8_P12ihipStream_tbDpT10_ENKUlT_T0_E_clISt17integral_constantIbLb1EES1D_IbLb0EEEEDaS19_S1A_EUlS19_E_NS1_11comp_targetILNS1_3genE3ELNS1_11target_archE908ELNS1_3gpuE7ELNS1_3repE0EEENS1_30default_config_static_selectorELNS0_4arch9wavefront6targetE1EEEvT1_,comdat
.Lfunc_end1316:
	.size	_ZN7rocprim17ROCPRIM_400000_NS6detail17trampoline_kernelINS0_14default_configENS1_25partition_config_selectorILNS1_17partition_subalgoE8ElNS0_10empty_typeEbEEZZNS1_14partition_implILS5_8ELb0ES3_jPlPS6_PKS6_NS0_5tupleIJS9_S6_EEENSD_IJSA_SA_EEENS0_18inequality_wrapperIZN2at6native12_GLOBAL__N_124unique_dim_cuda_templateIN3c104HalfEEESt5tupleIJNSH_6TensorESO_SO_EERKSO_lbbbEUlllE0_EEPmJS6_EEE10hipError_tPvRmT3_T4_T5_T6_T7_T9_mT8_P12ihipStream_tbDpT10_ENKUlT_T0_E_clISt17integral_constantIbLb1EES1D_IbLb0EEEEDaS19_S1A_EUlS19_E_NS1_11comp_targetILNS1_3genE3ELNS1_11target_archE908ELNS1_3gpuE7ELNS1_3repE0EEENS1_30default_config_static_selectorELNS0_4arch9wavefront6targetE1EEEvT1_, .Lfunc_end1316-_ZN7rocprim17ROCPRIM_400000_NS6detail17trampoline_kernelINS0_14default_configENS1_25partition_config_selectorILNS1_17partition_subalgoE8ElNS0_10empty_typeEbEEZZNS1_14partition_implILS5_8ELb0ES3_jPlPS6_PKS6_NS0_5tupleIJS9_S6_EEENSD_IJSA_SA_EEENS0_18inequality_wrapperIZN2at6native12_GLOBAL__N_124unique_dim_cuda_templateIN3c104HalfEEESt5tupleIJNSH_6TensorESO_SO_EERKSO_lbbbEUlllE0_EEPmJS6_EEE10hipError_tPvRmT3_T4_T5_T6_T7_T9_mT8_P12ihipStream_tbDpT10_ENKUlT_T0_E_clISt17integral_constantIbLb1EES1D_IbLb0EEEEDaS19_S1A_EUlS19_E_NS1_11comp_targetILNS1_3genE3ELNS1_11target_archE908ELNS1_3gpuE7ELNS1_3repE0EEENS1_30default_config_static_selectorELNS0_4arch9wavefront6targetE1EEEvT1_
                                        ; -- End function
	.set _ZN7rocprim17ROCPRIM_400000_NS6detail17trampoline_kernelINS0_14default_configENS1_25partition_config_selectorILNS1_17partition_subalgoE8ElNS0_10empty_typeEbEEZZNS1_14partition_implILS5_8ELb0ES3_jPlPS6_PKS6_NS0_5tupleIJS9_S6_EEENSD_IJSA_SA_EEENS0_18inequality_wrapperIZN2at6native12_GLOBAL__N_124unique_dim_cuda_templateIN3c104HalfEEESt5tupleIJNSH_6TensorESO_SO_EERKSO_lbbbEUlllE0_EEPmJS6_EEE10hipError_tPvRmT3_T4_T5_T6_T7_T9_mT8_P12ihipStream_tbDpT10_ENKUlT_T0_E_clISt17integral_constantIbLb1EES1D_IbLb0EEEEDaS19_S1A_EUlS19_E_NS1_11comp_targetILNS1_3genE3ELNS1_11target_archE908ELNS1_3gpuE7ELNS1_3repE0EEENS1_30default_config_static_selectorELNS0_4arch9wavefront6targetE1EEEvT1_.num_vgpr, 0
	.set _ZN7rocprim17ROCPRIM_400000_NS6detail17trampoline_kernelINS0_14default_configENS1_25partition_config_selectorILNS1_17partition_subalgoE8ElNS0_10empty_typeEbEEZZNS1_14partition_implILS5_8ELb0ES3_jPlPS6_PKS6_NS0_5tupleIJS9_S6_EEENSD_IJSA_SA_EEENS0_18inequality_wrapperIZN2at6native12_GLOBAL__N_124unique_dim_cuda_templateIN3c104HalfEEESt5tupleIJNSH_6TensorESO_SO_EERKSO_lbbbEUlllE0_EEPmJS6_EEE10hipError_tPvRmT3_T4_T5_T6_T7_T9_mT8_P12ihipStream_tbDpT10_ENKUlT_T0_E_clISt17integral_constantIbLb1EES1D_IbLb0EEEEDaS19_S1A_EUlS19_E_NS1_11comp_targetILNS1_3genE3ELNS1_11target_archE908ELNS1_3gpuE7ELNS1_3repE0EEENS1_30default_config_static_selectorELNS0_4arch9wavefront6targetE1EEEvT1_.num_agpr, 0
	.set _ZN7rocprim17ROCPRIM_400000_NS6detail17trampoline_kernelINS0_14default_configENS1_25partition_config_selectorILNS1_17partition_subalgoE8ElNS0_10empty_typeEbEEZZNS1_14partition_implILS5_8ELb0ES3_jPlPS6_PKS6_NS0_5tupleIJS9_S6_EEENSD_IJSA_SA_EEENS0_18inequality_wrapperIZN2at6native12_GLOBAL__N_124unique_dim_cuda_templateIN3c104HalfEEESt5tupleIJNSH_6TensorESO_SO_EERKSO_lbbbEUlllE0_EEPmJS6_EEE10hipError_tPvRmT3_T4_T5_T6_T7_T9_mT8_P12ihipStream_tbDpT10_ENKUlT_T0_E_clISt17integral_constantIbLb1EES1D_IbLb0EEEEDaS19_S1A_EUlS19_E_NS1_11comp_targetILNS1_3genE3ELNS1_11target_archE908ELNS1_3gpuE7ELNS1_3repE0EEENS1_30default_config_static_selectorELNS0_4arch9wavefront6targetE1EEEvT1_.numbered_sgpr, 0
	.set _ZN7rocprim17ROCPRIM_400000_NS6detail17trampoline_kernelINS0_14default_configENS1_25partition_config_selectorILNS1_17partition_subalgoE8ElNS0_10empty_typeEbEEZZNS1_14partition_implILS5_8ELb0ES3_jPlPS6_PKS6_NS0_5tupleIJS9_S6_EEENSD_IJSA_SA_EEENS0_18inequality_wrapperIZN2at6native12_GLOBAL__N_124unique_dim_cuda_templateIN3c104HalfEEESt5tupleIJNSH_6TensorESO_SO_EERKSO_lbbbEUlllE0_EEPmJS6_EEE10hipError_tPvRmT3_T4_T5_T6_T7_T9_mT8_P12ihipStream_tbDpT10_ENKUlT_T0_E_clISt17integral_constantIbLb1EES1D_IbLb0EEEEDaS19_S1A_EUlS19_E_NS1_11comp_targetILNS1_3genE3ELNS1_11target_archE908ELNS1_3gpuE7ELNS1_3repE0EEENS1_30default_config_static_selectorELNS0_4arch9wavefront6targetE1EEEvT1_.num_named_barrier, 0
	.set _ZN7rocprim17ROCPRIM_400000_NS6detail17trampoline_kernelINS0_14default_configENS1_25partition_config_selectorILNS1_17partition_subalgoE8ElNS0_10empty_typeEbEEZZNS1_14partition_implILS5_8ELb0ES3_jPlPS6_PKS6_NS0_5tupleIJS9_S6_EEENSD_IJSA_SA_EEENS0_18inequality_wrapperIZN2at6native12_GLOBAL__N_124unique_dim_cuda_templateIN3c104HalfEEESt5tupleIJNSH_6TensorESO_SO_EERKSO_lbbbEUlllE0_EEPmJS6_EEE10hipError_tPvRmT3_T4_T5_T6_T7_T9_mT8_P12ihipStream_tbDpT10_ENKUlT_T0_E_clISt17integral_constantIbLb1EES1D_IbLb0EEEEDaS19_S1A_EUlS19_E_NS1_11comp_targetILNS1_3genE3ELNS1_11target_archE908ELNS1_3gpuE7ELNS1_3repE0EEENS1_30default_config_static_selectorELNS0_4arch9wavefront6targetE1EEEvT1_.private_seg_size, 0
	.set _ZN7rocprim17ROCPRIM_400000_NS6detail17trampoline_kernelINS0_14default_configENS1_25partition_config_selectorILNS1_17partition_subalgoE8ElNS0_10empty_typeEbEEZZNS1_14partition_implILS5_8ELb0ES3_jPlPS6_PKS6_NS0_5tupleIJS9_S6_EEENSD_IJSA_SA_EEENS0_18inequality_wrapperIZN2at6native12_GLOBAL__N_124unique_dim_cuda_templateIN3c104HalfEEESt5tupleIJNSH_6TensorESO_SO_EERKSO_lbbbEUlllE0_EEPmJS6_EEE10hipError_tPvRmT3_T4_T5_T6_T7_T9_mT8_P12ihipStream_tbDpT10_ENKUlT_T0_E_clISt17integral_constantIbLb1EES1D_IbLb0EEEEDaS19_S1A_EUlS19_E_NS1_11comp_targetILNS1_3genE3ELNS1_11target_archE908ELNS1_3gpuE7ELNS1_3repE0EEENS1_30default_config_static_selectorELNS0_4arch9wavefront6targetE1EEEvT1_.uses_vcc, 0
	.set _ZN7rocprim17ROCPRIM_400000_NS6detail17trampoline_kernelINS0_14default_configENS1_25partition_config_selectorILNS1_17partition_subalgoE8ElNS0_10empty_typeEbEEZZNS1_14partition_implILS5_8ELb0ES3_jPlPS6_PKS6_NS0_5tupleIJS9_S6_EEENSD_IJSA_SA_EEENS0_18inequality_wrapperIZN2at6native12_GLOBAL__N_124unique_dim_cuda_templateIN3c104HalfEEESt5tupleIJNSH_6TensorESO_SO_EERKSO_lbbbEUlllE0_EEPmJS6_EEE10hipError_tPvRmT3_T4_T5_T6_T7_T9_mT8_P12ihipStream_tbDpT10_ENKUlT_T0_E_clISt17integral_constantIbLb1EES1D_IbLb0EEEEDaS19_S1A_EUlS19_E_NS1_11comp_targetILNS1_3genE3ELNS1_11target_archE908ELNS1_3gpuE7ELNS1_3repE0EEENS1_30default_config_static_selectorELNS0_4arch9wavefront6targetE1EEEvT1_.uses_flat_scratch, 0
	.set _ZN7rocprim17ROCPRIM_400000_NS6detail17trampoline_kernelINS0_14default_configENS1_25partition_config_selectorILNS1_17partition_subalgoE8ElNS0_10empty_typeEbEEZZNS1_14partition_implILS5_8ELb0ES3_jPlPS6_PKS6_NS0_5tupleIJS9_S6_EEENSD_IJSA_SA_EEENS0_18inequality_wrapperIZN2at6native12_GLOBAL__N_124unique_dim_cuda_templateIN3c104HalfEEESt5tupleIJNSH_6TensorESO_SO_EERKSO_lbbbEUlllE0_EEPmJS6_EEE10hipError_tPvRmT3_T4_T5_T6_T7_T9_mT8_P12ihipStream_tbDpT10_ENKUlT_T0_E_clISt17integral_constantIbLb1EES1D_IbLb0EEEEDaS19_S1A_EUlS19_E_NS1_11comp_targetILNS1_3genE3ELNS1_11target_archE908ELNS1_3gpuE7ELNS1_3repE0EEENS1_30default_config_static_selectorELNS0_4arch9wavefront6targetE1EEEvT1_.has_dyn_sized_stack, 0
	.set _ZN7rocprim17ROCPRIM_400000_NS6detail17trampoline_kernelINS0_14default_configENS1_25partition_config_selectorILNS1_17partition_subalgoE8ElNS0_10empty_typeEbEEZZNS1_14partition_implILS5_8ELb0ES3_jPlPS6_PKS6_NS0_5tupleIJS9_S6_EEENSD_IJSA_SA_EEENS0_18inequality_wrapperIZN2at6native12_GLOBAL__N_124unique_dim_cuda_templateIN3c104HalfEEESt5tupleIJNSH_6TensorESO_SO_EERKSO_lbbbEUlllE0_EEPmJS6_EEE10hipError_tPvRmT3_T4_T5_T6_T7_T9_mT8_P12ihipStream_tbDpT10_ENKUlT_T0_E_clISt17integral_constantIbLb1EES1D_IbLb0EEEEDaS19_S1A_EUlS19_E_NS1_11comp_targetILNS1_3genE3ELNS1_11target_archE908ELNS1_3gpuE7ELNS1_3repE0EEENS1_30default_config_static_selectorELNS0_4arch9wavefront6targetE1EEEvT1_.has_recursion, 0
	.set _ZN7rocprim17ROCPRIM_400000_NS6detail17trampoline_kernelINS0_14default_configENS1_25partition_config_selectorILNS1_17partition_subalgoE8ElNS0_10empty_typeEbEEZZNS1_14partition_implILS5_8ELb0ES3_jPlPS6_PKS6_NS0_5tupleIJS9_S6_EEENSD_IJSA_SA_EEENS0_18inequality_wrapperIZN2at6native12_GLOBAL__N_124unique_dim_cuda_templateIN3c104HalfEEESt5tupleIJNSH_6TensorESO_SO_EERKSO_lbbbEUlllE0_EEPmJS6_EEE10hipError_tPvRmT3_T4_T5_T6_T7_T9_mT8_P12ihipStream_tbDpT10_ENKUlT_T0_E_clISt17integral_constantIbLb1EES1D_IbLb0EEEEDaS19_S1A_EUlS19_E_NS1_11comp_targetILNS1_3genE3ELNS1_11target_archE908ELNS1_3gpuE7ELNS1_3repE0EEENS1_30default_config_static_selectorELNS0_4arch9wavefront6targetE1EEEvT1_.has_indirect_call, 0
	.section	.AMDGPU.csdata,"",@progbits
; Kernel info:
; codeLenInByte = 0
; TotalNumSgprs: 6
; NumVgprs: 0
; NumAgprs: 0
; TotalNumVgprs: 0
; ScratchSize: 0
; MemoryBound: 0
; FloatMode: 240
; IeeeMode: 1
; LDSByteSize: 0 bytes/workgroup (compile time only)
; SGPRBlocks: 0
; VGPRBlocks: 0
; NumSGPRsForWavesPerEU: 6
; NumVGPRsForWavesPerEU: 1
; AccumOffset: 4
; Occupancy: 8
; WaveLimiterHint : 0
; COMPUTE_PGM_RSRC2:SCRATCH_EN: 0
; COMPUTE_PGM_RSRC2:USER_SGPR: 2
; COMPUTE_PGM_RSRC2:TRAP_HANDLER: 0
; COMPUTE_PGM_RSRC2:TGID_X_EN: 1
; COMPUTE_PGM_RSRC2:TGID_Y_EN: 0
; COMPUTE_PGM_RSRC2:TGID_Z_EN: 0
; COMPUTE_PGM_RSRC2:TIDIG_COMP_CNT: 0
; COMPUTE_PGM_RSRC3_GFX90A:ACCUM_OFFSET: 0
; COMPUTE_PGM_RSRC3_GFX90A:TG_SPLIT: 0
	.section	.text._ZN7rocprim17ROCPRIM_400000_NS6detail17trampoline_kernelINS0_14default_configENS1_25partition_config_selectorILNS1_17partition_subalgoE8ElNS0_10empty_typeEbEEZZNS1_14partition_implILS5_8ELb0ES3_jPlPS6_PKS6_NS0_5tupleIJS9_S6_EEENSD_IJSA_SA_EEENS0_18inequality_wrapperIZN2at6native12_GLOBAL__N_124unique_dim_cuda_templateIN3c104HalfEEESt5tupleIJNSH_6TensorESO_SO_EERKSO_lbbbEUlllE0_EEPmJS6_EEE10hipError_tPvRmT3_T4_T5_T6_T7_T9_mT8_P12ihipStream_tbDpT10_ENKUlT_T0_E_clISt17integral_constantIbLb1EES1D_IbLb0EEEEDaS19_S1A_EUlS19_E_NS1_11comp_targetILNS1_3genE2ELNS1_11target_archE906ELNS1_3gpuE6ELNS1_3repE0EEENS1_30default_config_static_selectorELNS0_4arch9wavefront6targetE1EEEvT1_,"axG",@progbits,_ZN7rocprim17ROCPRIM_400000_NS6detail17trampoline_kernelINS0_14default_configENS1_25partition_config_selectorILNS1_17partition_subalgoE8ElNS0_10empty_typeEbEEZZNS1_14partition_implILS5_8ELb0ES3_jPlPS6_PKS6_NS0_5tupleIJS9_S6_EEENSD_IJSA_SA_EEENS0_18inequality_wrapperIZN2at6native12_GLOBAL__N_124unique_dim_cuda_templateIN3c104HalfEEESt5tupleIJNSH_6TensorESO_SO_EERKSO_lbbbEUlllE0_EEPmJS6_EEE10hipError_tPvRmT3_T4_T5_T6_T7_T9_mT8_P12ihipStream_tbDpT10_ENKUlT_T0_E_clISt17integral_constantIbLb1EES1D_IbLb0EEEEDaS19_S1A_EUlS19_E_NS1_11comp_targetILNS1_3genE2ELNS1_11target_archE906ELNS1_3gpuE6ELNS1_3repE0EEENS1_30default_config_static_selectorELNS0_4arch9wavefront6targetE1EEEvT1_,comdat
	.globl	_ZN7rocprim17ROCPRIM_400000_NS6detail17trampoline_kernelINS0_14default_configENS1_25partition_config_selectorILNS1_17partition_subalgoE8ElNS0_10empty_typeEbEEZZNS1_14partition_implILS5_8ELb0ES3_jPlPS6_PKS6_NS0_5tupleIJS9_S6_EEENSD_IJSA_SA_EEENS0_18inequality_wrapperIZN2at6native12_GLOBAL__N_124unique_dim_cuda_templateIN3c104HalfEEESt5tupleIJNSH_6TensorESO_SO_EERKSO_lbbbEUlllE0_EEPmJS6_EEE10hipError_tPvRmT3_T4_T5_T6_T7_T9_mT8_P12ihipStream_tbDpT10_ENKUlT_T0_E_clISt17integral_constantIbLb1EES1D_IbLb0EEEEDaS19_S1A_EUlS19_E_NS1_11comp_targetILNS1_3genE2ELNS1_11target_archE906ELNS1_3gpuE6ELNS1_3repE0EEENS1_30default_config_static_selectorELNS0_4arch9wavefront6targetE1EEEvT1_ ; -- Begin function _ZN7rocprim17ROCPRIM_400000_NS6detail17trampoline_kernelINS0_14default_configENS1_25partition_config_selectorILNS1_17partition_subalgoE8ElNS0_10empty_typeEbEEZZNS1_14partition_implILS5_8ELb0ES3_jPlPS6_PKS6_NS0_5tupleIJS9_S6_EEENSD_IJSA_SA_EEENS0_18inequality_wrapperIZN2at6native12_GLOBAL__N_124unique_dim_cuda_templateIN3c104HalfEEESt5tupleIJNSH_6TensorESO_SO_EERKSO_lbbbEUlllE0_EEPmJS6_EEE10hipError_tPvRmT3_T4_T5_T6_T7_T9_mT8_P12ihipStream_tbDpT10_ENKUlT_T0_E_clISt17integral_constantIbLb1EES1D_IbLb0EEEEDaS19_S1A_EUlS19_E_NS1_11comp_targetILNS1_3genE2ELNS1_11target_archE906ELNS1_3gpuE6ELNS1_3repE0EEENS1_30default_config_static_selectorELNS0_4arch9wavefront6targetE1EEEvT1_
	.p2align	8
	.type	_ZN7rocprim17ROCPRIM_400000_NS6detail17trampoline_kernelINS0_14default_configENS1_25partition_config_selectorILNS1_17partition_subalgoE8ElNS0_10empty_typeEbEEZZNS1_14partition_implILS5_8ELb0ES3_jPlPS6_PKS6_NS0_5tupleIJS9_S6_EEENSD_IJSA_SA_EEENS0_18inequality_wrapperIZN2at6native12_GLOBAL__N_124unique_dim_cuda_templateIN3c104HalfEEESt5tupleIJNSH_6TensorESO_SO_EERKSO_lbbbEUlllE0_EEPmJS6_EEE10hipError_tPvRmT3_T4_T5_T6_T7_T9_mT8_P12ihipStream_tbDpT10_ENKUlT_T0_E_clISt17integral_constantIbLb1EES1D_IbLb0EEEEDaS19_S1A_EUlS19_E_NS1_11comp_targetILNS1_3genE2ELNS1_11target_archE906ELNS1_3gpuE6ELNS1_3repE0EEENS1_30default_config_static_selectorELNS0_4arch9wavefront6targetE1EEEvT1_,@function
_ZN7rocprim17ROCPRIM_400000_NS6detail17trampoline_kernelINS0_14default_configENS1_25partition_config_selectorILNS1_17partition_subalgoE8ElNS0_10empty_typeEbEEZZNS1_14partition_implILS5_8ELb0ES3_jPlPS6_PKS6_NS0_5tupleIJS9_S6_EEENSD_IJSA_SA_EEENS0_18inequality_wrapperIZN2at6native12_GLOBAL__N_124unique_dim_cuda_templateIN3c104HalfEEESt5tupleIJNSH_6TensorESO_SO_EERKSO_lbbbEUlllE0_EEPmJS6_EEE10hipError_tPvRmT3_T4_T5_T6_T7_T9_mT8_P12ihipStream_tbDpT10_ENKUlT_T0_E_clISt17integral_constantIbLb1EES1D_IbLb0EEEEDaS19_S1A_EUlS19_E_NS1_11comp_targetILNS1_3genE2ELNS1_11target_archE906ELNS1_3gpuE6ELNS1_3repE0EEENS1_30default_config_static_selectorELNS0_4arch9wavefront6targetE1EEEvT1_: ; @_ZN7rocprim17ROCPRIM_400000_NS6detail17trampoline_kernelINS0_14default_configENS1_25partition_config_selectorILNS1_17partition_subalgoE8ElNS0_10empty_typeEbEEZZNS1_14partition_implILS5_8ELb0ES3_jPlPS6_PKS6_NS0_5tupleIJS9_S6_EEENSD_IJSA_SA_EEENS0_18inequality_wrapperIZN2at6native12_GLOBAL__N_124unique_dim_cuda_templateIN3c104HalfEEESt5tupleIJNSH_6TensorESO_SO_EERKSO_lbbbEUlllE0_EEPmJS6_EEE10hipError_tPvRmT3_T4_T5_T6_T7_T9_mT8_P12ihipStream_tbDpT10_ENKUlT_T0_E_clISt17integral_constantIbLb1EES1D_IbLb0EEEEDaS19_S1A_EUlS19_E_NS1_11comp_targetILNS1_3genE2ELNS1_11target_archE906ELNS1_3gpuE6ELNS1_3repE0EEENS1_30default_config_static_selectorELNS0_4arch9wavefront6targetE1EEEvT1_
; %bb.0:
	.section	.rodata,"a",@progbits
	.p2align	6, 0x0
	.amdhsa_kernel _ZN7rocprim17ROCPRIM_400000_NS6detail17trampoline_kernelINS0_14default_configENS1_25partition_config_selectorILNS1_17partition_subalgoE8ElNS0_10empty_typeEbEEZZNS1_14partition_implILS5_8ELb0ES3_jPlPS6_PKS6_NS0_5tupleIJS9_S6_EEENSD_IJSA_SA_EEENS0_18inequality_wrapperIZN2at6native12_GLOBAL__N_124unique_dim_cuda_templateIN3c104HalfEEESt5tupleIJNSH_6TensorESO_SO_EERKSO_lbbbEUlllE0_EEPmJS6_EEE10hipError_tPvRmT3_T4_T5_T6_T7_T9_mT8_P12ihipStream_tbDpT10_ENKUlT_T0_E_clISt17integral_constantIbLb1EES1D_IbLb0EEEEDaS19_S1A_EUlS19_E_NS1_11comp_targetILNS1_3genE2ELNS1_11target_archE906ELNS1_3gpuE6ELNS1_3repE0EEENS1_30default_config_static_selectorELNS0_4arch9wavefront6targetE1EEEvT1_
		.amdhsa_group_segment_fixed_size 0
		.amdhsa_private_segment_fixed_size 0
		.amdhsa_kernarg_size 120
		.amdhsa_user_sgpr_count 2
		.amdhsa_user_sgpr_dispatch_ptr 0
		.amdhsa_user_sgpr_queue_ptr 0
		.amdhsa_user_sgpr_kernarg_segment_ptr 1
		.amdhsa_user_sgpr_dispatch_id 0
		.amdhsa_user_sgpr_kernarg_preload_length 0
		.amdhsa_user_sgpr_kernarg_preload_offset 0
		.amdhsa_user_sgpr_private_segment_size 0
		.amdhsa_uses_dynamic_stack 0
		.amdhsa_enable_private_segment 0
		.amdhsa_system_sgpr_workgroup_id_x 1
		.amdhsa_system_sgpr_workgroup_id_y 0
		.amdhsa_system_sgpr_workgroup_id_z 0
		.amdhsa_system_sgpr_workgroup_info 0
		.amdhsa_system_vgpr_workitem_id 0
		.amdhsa_next_free_vgpr 1
		.amdhsa_next_free_sgpr 0
		.amdhsa_accum_offset 4
		.amdhsa_reserve_vcc 0
		.amdhsa_float_round_mode_32 0
		.amdhsa_float_round_mode_16_64 0
		.amdhsa_float_denorm_mode_32 3
		.amdhsa_float_denorm_mode_16_64 3
		.amdhsa_dx10_clamp 1
		.amdhsa_ieee_mode 1
		.amdhsa_fp16_overflow 0
		.amdhsa_tg_split 0
		.amdhsa_exception_fp_ieee_invalid_op 0
		.amdhsa_exception_fp_denorm_src 0
		.amdhsa_exception_fp_ieee_div_zero 0
		.amdhsa_exception_fp_ieee_overflow 0
		.amdhsa_exception_fp_ieee_underflow 0
		.amdhsa_exception_fp_ieee_inexact 0
		.amdhsa_exception_int_div_zero 0
	.end_amdhsa_kernel
	.section	.text._ZN7rocprim17ROCPRIM_400000_NS6detail17trampoline_kernelINS0_14default_configENS1_25partition_config_selectorILNS1_17partition_subalgoE8ElNS0_10empty_typeEbEEZZNS1_14partition_implILS5_8ELb0ES3_jPlPS6_PKS6_NS0_5tupleIJS9_S6_EEENSD_IJSA_SA_EEENS0_18inequality_wrapperIZN2at6native12_GLOBAL__N_124unique_dim_cuda_templateIN3c104HalfEEESt5tupleIJNSH_6TensorESO_SO_EERKSO_lbbbEUlllE0_EEPmJS6_EEE10hipError_tPvRmT3_T4_T5_T6_T7_T9_mT8_P12ihipStream_tbDpT10_ENKUlT_T0_E_clISt17integral_constantIbLb1EES1D_IbLb0EEEEDaS19_S1A_EUlS19_E_NS1_11comp_targetILNS1_3genE2ELNS1_11target_archE906ELNS1_3gpuE6ELNS1_3repE0EEENS1_30default_config_static_selectorELNS0_4arch9wavefront6targetE1EEEvT1_,"axG",@progbits,_ZN7rocprim17ROCPRIM_400000_NS6detail17trampoline_kernelINS0_14default_configENS1_25partition_config_selectorILNS1_17partition_subalgoE8ElNS0_10empty_typeEbEEZZNS1_14partition_implILS5_8ELb0ES3_jPlPS6_PKS6_NS0_5tupleIJS9_S6_EEENSD_IJSA_SA_EEENS0_18inequality_wrapperIZN2at6native12_GLOBAL__N_124unique_dim_cuda_templateIN3c104HalfEEESt5tupleIJNSH_6TensorESO_SO_EERKSO_lbbbEUlllE0_EEPmJS6_EEE10hipError_tPvRmT3_T4_T5_T6_T7_T9_mT8_P12ihipStream_tbDpT10_ENKUlT_T0_E_clISt17integral_constantIbLb1EES1D_IbLb0EEEEDaS19_S1A_EUlS19_E_NS1_11comp_targetILNS1_3genE2ELNS1_11target_archE906ELNS1_3gpuE6ELNS1_3repE0EEENS1_30default_config_static_selectorELNS0_4arch9wavefront6targetE1EEEvT1_,comdat
.Lfunc_end1317:
	.size	_ZN7rocprim17ROCPRIM_400000_NS6detail17trampoline_kernelINS0_14default_configENS1_25partition_config_selectorILNS1_17partition_subalgoE8ElNS0_10empty_typeEbEEZZNS1_14partition_implILS5_8ELb0ES3_jPlPS6_PKS6_NS0_5tupleIJS9_S6_EEENSD_IJSA_SA_EEENS0_18inequality_wrapperIZN2at6native12_GLOBAL__N_124unique_dim_cuda_templateIN3c104HalfEEESt5tupleIJNSH_6TensorESO_SO_EERKSO_lbbbEUlllE0_EEPmJS6_EEE10hipError_tPvRmT3_T4_T5_T6_T7_T9_mT8_P12ihipStream_tbDpT10_ENKUlT_T0_E_clISt17integral_constantIbLb1EES1D_IbLb0EEEEDaS19_S1A_EUlS19_E_NS1_11comp_targetILNS1_3genE2ELNS1_11target_archE906ELNS1_3gpuE6ELNS1_3repE0EEENS1_30default_config_static_selectorELNS0_4arch9wavefront6targetE1EEEvT1_, .Lfunc_end1317-_ZN7rocprim17ROCPRIM_400000_NS6detail17trampoline_kernelINS0_14default_configENS1_25partition_config_selectorILNS1_17partition_subalgoE8ElNS0_10empty_typeEbEEZZNS1_14partition_implILS5_8ELb0ES3_jPlPS6_PKS6_NS0_5tupleIJS9_S6_EEENSD_IJSA_SA_EEENS0_18inequality_wrapperIZN2at6native12_GLOBAL__N_124unique_dim_cuda_templateIN3c104HalfEEESt5tupleIJNSH_6TensorESO_SO_EERKSO_lbbbEUlllE0_EEPmJS6_EEE10hipError_tPvRmT3_T4_T5_T6_T7_T9_mT8_P12ihipStream_tbDpT10_ENKUlT_T0_E_clISt17integral_constantIbLb1EES1D_IbLb0EEEEDaS19_S1A_EUlS19_E_NS1_11comp_targetILNS1_3genE2ELNS1_11target_archE906ELNS1_3gpuE6ELNS1_3repE0EEENS1_30default_config_static_selectorELNS0_4arch9wavefront6targetE1EEEvT1_
                                        ; -- End function
	.set _ZN7rocprim17ROCPRIM_400000_NS6detail17trampoline_kernelINS0_14default_configENS1_25partition_config_selectorILNS1_17partition_subalgoE8ElNS0_10empty_typeEbEEZZNS1_14partition_implILS5_8ELb0ES3_jPlPS6_PKS6_NS0_5tupleIJS9_S6_EEENSD_IJSA_SA_EEENS0_18inequality_wrapperIZN2at6native12_GLOBAL__N_124unique_dim_cuda_templateIN3c104HalfEEESt5tupleIJNSH_6TensorESO_SO_EERKSO_lbbbEUlllE0_EEPmJS6_EEE10hipError_tPvRmT3_T4_T5_T6_T7_T9_mT8_P12ihipStream_tbDpT10_ENKUlT_T0_E_clISt17integral_constantIbLb1EES1D_IbLb0EEEEDaS19_S1A_EUlS19_E_NS1_11comp_targetILNS1_3genE2ELNS1_11target_archE906ELNS1_3gpuE6ELNS1_3repE0EEENS1_30default_config_static_selectorELNS0_4arch9wavefront6targetE1EEEvT1_.num_vgpr, 0
	.set _ZN7rocprim17ROCPRIM_400000_NS6detail17trampoline_kernelINS0_14default_configENS1_25partition_config_selectorILNS1_17partition_subalgoE8ElNS0_10empty_typeEbEEZZNS1_14partition_implILS5_8ELb0ES3_jPlPS6_PKS6_NS0_5tupleIJS9_S6_EEENSD_IJSA_SA_EEENS0_18inequality_wrapperIZN2at6native12_GLOBAL__N_124unique_dim_cuda_templateIN3c104HalfEEESt5tupleIJNSH_6TensorESO_SO_EERKSO_lbbbEUlllE0_EEPmJS6_EEE10hipError_tPvRmT3_T4_T5_T6_T7_T9_mT8_P12ihipStream_tbDpT10_ENKUlT_T0_E_clISt17integral_constantIbLb1EES1D_IbLb0EEEEDaS19_S1A_EUlS19_E_NS1_11comp_targetILNS1_3genE2ELNS1_11target_archE906ELNS1_3gpuE6ELNS1_3repE0EEENS1_30default_config_static_selectorELNS0_4arch9wavefront6targetE1EEEvT1_.num_agpr, 0
	.set _ZN7rocprim17ROCPRIM_400000_NS6detail17trampoline_kernelINS0_14default_configENS1_25partition_config_selectorILNS1_17partition_subalgoE8ElNS0_10empty_typeEbEEZZNS1_14partition_implILS5_8ELb0ES3_jPlPS6_PKS6_NS0_5tupleIJS9_S6_EEENSD_IJSA_SA_EEENS0_18inequality_wrapperIZN2at6native12_GLOBAL__N_124unique_dim_cuda_templateIN3c104HalfEEESt5tupleIJNSH_6TensorESO_SO_EERKSO_lbbbEUlllE0_EEPmJS6_EEE10hipError_tPvRmT3_T4_T5_T6_T7_T9_mT8_P12ihipStream_tbDpT10_ENKUlT_T0_E_clISt17integral_constantIbLb1EES1D_IbLb0EEEEDaS19_S1A_EUlS19_E_NS1_11comp_targetILNS1_3genE2ELNS1_11target_archE906ELNS1_3gpuE6ELNS1_3repE0EEENS1_30default_config_static_selectorELNS0_4arch9wavefront6targetE1EEEvT1_.numbered_sgpr, 0
	.set _ZN7rocprim17ROCPRIM_400000_NS6detail17trampoline_kernelINS0_14default_configENS1_25partition_config_selectorILNS1_17partition_subalgoE8ElNS0_10empty_typeEbEEZZNS1_14partition_implILS5_8ELb0ES3_jPlPS6_PKS6_NS0_5tupleIJS9_S6_EEENSD_IJSA_SA_EEENS0_18inequality_wrapperIZN2at6native12_GLOBAL__N_124unique_dim_cuda_templateIN3c104HalfEEESt5tupleIJNSH_6TensorESO_SO_EERKSO_lbbbEUlllE0_EEPmJS6_EEE10hipError_tPvRmT3_T4_T5_T6_T7_T9_mT8_P12ihipStream_tbDpT10_ENKUlT_T0_E_clISt17integral_constantIbLb1EES1D_IbLb0EEEEDaS19_S1A_EUlS19_E_NS1_11comp_targetILNS1_3genE2ELNS1_11target_archE906ELNS1_3gpuE6ELNS1_3repE0EEENS1_30default_config_static_selectorELNS0_4arch9wavefront6targetE1EEEvT1_.num_named_barrier, 0
	.set _ZN7rocprim17ROCPRIM_400000_NS6detail17trampoline_kernelINS0_14default_configENS1_25partition_config_selectorILNS1_17partition_subalgoE8ElNS0_10empty_typeEbEEZZNS1_14partition_implILS5_8ELb0ES3_jPlPS6_PKS6_NS0_5tupleIJS9_S6_EEENSD_IJSA_SA_EEENS0_18inequality_wrapperIZN2at6native12_GLOBAL__N_124unique_dim_cuda_templateIN3c104HalfEEESt5tupleIJNSH_6TensorESO_SO_EERKSO_lbbbEUlllE0_EEPmJS6_EEE10hipError_tPvRmT3_T4_T5_T6_T7_T9_mT8_P12ihipStream_tbDpT10_ENKUlT_T0_E_clISt17integral_constantIbLb1EES1D_IbLb0EEEEDaS19_S1A_EUlS19_E_NS1_11comp_targetILNS1_3genE2ELNS1_11target_archE906ELNS1_3gpuE6ELNS1_3repE0EEENS1_30default_config_static_selectorELNS0_4arch9wavefront6targetE1EEEvT1_.private_seg_size, 0
	.set _ZN7rocprim17ROCPRIM_400000_NS6detail17trampoline_kernelINS0_14default_configENS1_25partition_config_selectorILNS1_17partition_subalgoE8ElNS0_10empty_typeEbEEZZNS1_14partition_implILS5_8ELb0ES3_jPlPS6_PKS6_NS0_5tupleIJS9_S6_EEENSD_IJSA_SA_EEENS0_18inequality_wrapperIZN2at6native12_GLOBAL__N_124unique_dim_cuda_templateIN3c104HalfEEESt5tupleIJNSH_6TensorESO_SO_EERKSO_lbbbEUlllE0_EEPmJS6_EEE10hipError_tPvRmT3_T4_T5_T6_T7_T9_mT8_P12ihipStream_tbDpT10_ENKUlT_T0_E_clISt17integral_constantIbLb1EES1D_IbLb0EEEEDaS19_S1A_EUlS19_E_NS1_11comp_targetILNS1_3genE2ELNS1_11target_archE906ELNS1_3gpuE6ELNS1_3repE0EEENS1_30default_config_static_selectorELNS0_4arch9wavefront6targetE1EEEvT1_.uses_vcc, 0
	.set _ZN7rocprim17ROCPRIM_400000_NS6detail17trampoline_kernelINS0_14default_configENS1_25partition_config_selectorILNS1_17partition_subalgoE8ElNS0_10empty_typeEbEEZZNS1_14partition_implILS5_8ELb0ES3_jPlPS6_PKS6_NS0_5tupleIJS9_S6_EEENSD_IJSA_SA_EEENS0_18inequality_wrapperIZN2at6native12_GLOBAL__N_124unique_dim_cuda_templateIN3c104HalfEEESt5tupleIJNSH_6TensorESO_SO_EERKSO_lbbbEUlllE0_EEPmJS6_EEE10hipError_tPvRmT3_T4_T5_T6_T7_T9_mT8_P12ihipStream_tbDpT10_ENKUlT_T0_E_clISt17integral_constantIbLb1EES1D_IbLb0EEEEDaS19_S1A_EUlS19_E_NS1_11comp_targetILNS1_3genE2ELNS1_11target_archE906ELNS1_3gpuE6ELNS1_3repE0EEENS1_30default_config_static_selectorELNS0_4arch9wavefront6targetE1EEEvT1_.uses_flat_scratch, 0
	.set _ZN7rocprim17ROCPRIM_400000_NS6detail17trampoline_kernelINS0_14default_configENS1_25partition_config_selectorILNS1_17partition_subalgoE8ElNS0_10empty_typeEbEEZZNS1_14partition_implILS5_8ELb0ES3_jPlPS6_PKS6_NS0_5tupleIJS9_S6_EEENSD_IJSA_SA_EEENS0_18inequality_wrapperIZN2at6native12_GLOBAL__N_124unique_dim_cuda_templateIN3c104HalfEEESt5tupleIJNSH_6TensorESO_SO_EERKSO_lbbbEUlllE0_EEPmJS6_EEE10hipError_tPvRmT3_T4_T5_T6_T7_T9_mT8_P12ihipStream_tbDpT10_ENKUlT_T0_E_clISt17integral_constantIbLb1EES1D_IbLb0EEEEDaS19_S1A_EUlS19_E_NS1_11comp_targetILNS1_3genE2ELNS1_11target_archE906ELNS1_3gpuE6ELNS1_3repE0EEENS1_30default_config_static_selectorELNS0_4arch9wavefront6targetE1EEEvT1_.has_dyn_sized_stack, 0
	.set _ZN7rocprim17ROCPRIM_400000_NS6detail17trampoline_kernelINS0_14default_configENS1_25partition_config_selectorILNS1_17partition_subalgoE8ElNS0_10empty_typeEbEEZZNS1_14partition_implILS5_8ELb0ES3_jPlPS6_PKS6_NS0_5tupleIJS9_S6_EEENSD_IJSA_SA_EEENS0_18inequality_wrapperIZN2at6native12_GLOBAL__N_124unique_dim_cuda_templateIN3c104HalfEEESt5tupleIJNSH_6TensorESO_SO_EERKSO_lbbbEUlllE0_EEPmJS6_EEE10hipError_tPvRmT3_T4_T5_T6_T7_T9_mT8_P12ihipStream_tbDpT10_ENKUlT_T0_E_clISt17integral_constantIbLb1EES1D_IbLb0EEEEDaS19_S1A_EUlS19_E_NS1_11comp_targetILNS1_3genE2ELNS1_11target_archE906ELNS1_3gpuE6ELNS1_3repE0EEENS1_30default_config_static_selectorELNS0_4arch9wavefront6targetE1EEEvT1_.has_recursion, 0
	.set _ZN7rocprim17ROCPRIM_400000_NS6detail17trampoline_kernelINS0_14default_configENS1_25partition_config_selectorILNS1_17partition_subalgoE8ElNS0_10empty_typeEbEEZZNS1_14partition_implILS5_8ELb0ES3_jPlPS6_PKS6_NS0_5tupleIJS9_S6_EEENSD_IJSA_SA_EEENS0_18inequality_wrapperIZN2at6native12_GLOBAL__N_124unique_dim_cuda_templateIN3c104HalfEEESt5tupleIJNSH_6TensorESO_SO_EERKSO_lbbbEUlllE0_EEPmJS6_EEE10hipError_tPvRmT3_T4_T5_T6_T7_T9_mT8_P12ihipStream_tbDpT10_ENKUlT_T0_E_clISt17integral_constantIbLb1EES1D_IbLb0EEEEDaS19_S1A_EUlS19_E_NS1_11comp_targetILNS1_3genE2ELNS1_11target_archE906ELNS1_3gpuE6ELNS1_3repE0EEENS1_30default_config_static_selectorELNS0_4arch9wavefront6targetE1EEEvT1_.has_indirect_call, 0
	.section	.AMDGPU.csdata,"",@progbits
; Kernel info:
; codeLenInByte = 0
; TotalNumSgprs: 6
; NumVgprs: 0
; NumAgprs: 0
; TotalNumVgprs: 0
; ScratchSize: 0
; MemoryBound: 0
; FloatMode: 240
; IeeeMode: 1
; LDSByteSize: 0 bytes/workgroup (compile time only)
; SGPRBlocks: 0
; VGPRBlocks: 0
; NumSGPRsForWavesPerEU: 6
; NumVGPRsForWavesPerEU: 1
; AccumOffset: 4
; Occupancy: 8
; WaveLimiterHint : 0
; COMPUTE_PGM_RSRC2:SCRATCH_EN: 0
; COMPUTE_PGM_RSRC2:USER_SGPR: 2
; COMPUTE_PGM_RSRC2:TRAP_HANDLER: 0
; COMPUTE_PGM_RSRC2:TGID_X_EN: 1
; COMPUTE_PGM_RSRC2:TGID_Y_EN: 0
; COMPUTE_PGM_RSRC2:TGID_Z_EN: 0
; COMPUTE_PGM_RSRC2:TIDIG_COMP_CNT: 0
; COMPUTE_PGM_RSRC3_GFX90A:ACCUM_OFFSET: 0
; COMPUTE_PGM_RSRC3_GFX90A:TG_SPLIT: 0
	.section	.text._ZN7rocprim17ROCPRIM_400000_NS6detail17trampoline_kernelINS0_14default_configENS1_25partition_config_selectorILNS1_17partition_subalgoE8ElNS0_10empty_typeEbEEZZNS1_14partition_implILS5_8ELb0ES3_jPlPS6_PKS6_NS0_5tupleIJS9_S6_EEENSD_IJSA_SA_EEENS0_18inequality_wrapperIZN2at6native12_GLOBAL__N_124unique_dim_cuda_templateIN3c104HalfEEESt5tupleIJNSH_6TensorESO_SO_EERKSO_lbbbEUlllE0_EEPmJS6_EEE10hipError_tPvRmT3_T4_T5_T6_T7_T9_mT8_P12ihipStream_tbDpT10_ENKUlT_T0_E_clISt17integral_constantIbLb1EES1D_IbLb0EEEEDaS19_S1A_EUlS19_E_NS1_11comp_targetILNS1_3genE10ELNS1_11target_archE1200ELNS1_3gpuE4ELNS1_3repE0EEENS1_30default_config_static_selectorELNS0_4arch9wavefront6targetE1EEEvT1_,"axG",@progbits,_ZN7rocprim17ROCPRIM_400000_NS6detail17trampoline_kernelINS0_14default_configENS1_25partition_config_selectorILNS1_17partition_subalgoE8ElNS0_10empty_typeEbEEZZNS1_14partition_implILS5_8ELb0ES3_jPlPS6_PKS6_NS0_5tupleIJS9_S6_EEENSD_IJSA_SA_EEENS0_18inequality_wrapperIZN2at6native12_GLOBAL__N_124unique_dim_cuda_templateIN3c104HalfEEESt5tupleIJNSH_6TensorESO_SO_EERKSO_lbbbEUlllE0_EEPmJS6_EEE10hipError_tPvRmT3_T4_T5_T6_T7_T9_mT8_P12ihipStream_tbDpT10_ENKUlT_T0_E_clISt17integral_constantIbLb1EES1D_IbLb0EEEEDaS19_S1A_EUlS19_E_NS1_11comp_targetILNS1_3genE10ELNS1_11target_archE1200ELNS1_3gpuE4ELNS1_3repE0EEENS1_30default_config_static_selectorELNS0_4arch9wavefront6targetE1EEEvT1_,comdat
	.globl	_ZN7rocprim17ROCPRIM_400000_NS6detail17trampoline_kernelINS0_14default_configENS1_25partition_config_selectorILNS1_17partition_subalgoE8ElNS0_10empty_typeEbEEZZNS1_14partition_implILS5_8ELb0ES3_jPlPS6_PKS6_NS0_5tupleIJS9_S6_EEENSD_IJSA_SA_EEENS0_18inequality_wrapperIZN2at6native12_GLOBAL__N_124unique_dim_cuda_templateIN3c104HalfEEESt5tupleIJNSH_6TensorESO_SO_EERKSO_lbbbEUlllE0_EEPmJS6_EEE10hipError_tPvRmT3_T4_T5_T6_T7_T9_mT8_P12ihipStream_tbDpT10_ENKUlT_T0_E_clISt17integral_constantIbLb1EES1D_IbLb0EEEEDaS19_S1A_EUlS19_E_NS1_11comp_targetILNS1_3genE10ELNS1_11target_archE1200ELNS1_3gpuE4ELNS1_3repE0EEENS1_30default_config_static_selectorELNS0_4arch9wavefront6targetE1EEEvT1_ ; -- Begin function _ZN7rocprim17ROCPRIM_400000_NS6detail17trampoline_kernelINS0_14default_configENS1_25partition_config_selectorILNS1_17partition_subalgoE8ElNS0_10empty_typeEbEEZZNS1_14partition_implILS5_8ELb0ES3_jPlPS6_PKS6_NS0_5tupleIJS9_S6_EEENSD_IJSA_SA_EEENS0_18inequality_wrapperIZN2at6native12_GLOBAL__N_124unique_dim_cuda_templateIN3c104HalfEEESt5tupleIJNSH_6TensorESO_SO_EERKSO_lbbbEUlllE0_EEPmJS6_EEE10hipError_tPvRmT3_T4_T5_T6_T7_T9_mT8_P12ihipStream_tbDpT10_ENKUlT_T0_E_clISt17integral_constantIbLb1EES1D_IbLb0EEEEDaS19_S1A_EUlS19_E_NS1_11comp_targetILNS1_3genE10ELNS1_11target_archE1200ELNS1_3gpuE4ELNS1_3repE0EEENS1_30default_config_static_selectorELNS0_4arch9wavefront6targetE1EEEvT1_
	.p2align	8
	.type	_ZN7rocprim17ROCPRIM_400000_NS6detail17trampoline_kernelINS0_14default_configENS1_25partition_config_selectorILNS1_17partition_subalgoE8ElNS0_10empty_typeEbEEZZNS1_14partition_implILS5_8ELb0ES3_jPlPS6_PKS6_NS0_5tupleIJS9_S6_EEENSD_IJSA_SA_EEENS0_18inequality_wrapperIZN2at6native12_GLOBAL__N_124unique_dim_cuda_templateIN3c104HalfEEESt5tupleIJNSH_6TensorESO_SO_EERKSO_lbbbEUlllE0_EEPmJS6_EEE10hipError_tPvRmT3_T4_T5_T6_T7_T9_mT8_P12ihipStream_tbDpT10_ENKUlT_T0_E_clISt17integral_constantIbLb1EES1D_IbLb0EEEEDaS19_S1A_EUlS19_E_NS1_11comp_targetILNS1_3genE10ELNS1_11target_archE1200ELNS1_3gpuE4ELNS1_3repE0EEENS1_30default_config_static_selectorELNS0_4arch9wavefront6targetE1EEEvT1_,@function
_ZN7rocprim17ROCPRIM_400000_NS6detail17trampoline_kernelINS0_14default_configENS1_25partition_config_selectorILNS1_17partition_subalgoE8ElNS0_10empty_typeEbEEZZNS1_14partition_implILS5_8ELb0ES3_jPlPS6_PKS6_NS0_5tupleIJS9_S6_EEENSD_IJSA_SA_EEENS0_18inequality_wrapperIZN2at6native12_GLOBAL__N_124unique_dim_cuda_templateIN3c104HalfEEESt5tupleIJNSH_6TensorESO_SO_EERKSO_lbbbEUlllE0_EEPmJS6_EEE10hipError_tPvRmT3_T4_T5_T6_T7_T9_mT8_P12ihipStream_tbDpT10_ENKUlT_T0_E_clISt17integral_constantIbLb1EES1D_IbLb0EEEEDaS19_S1A_EUlS19_E_NS1_11comp_targetILNS1_3genE10ELNS1_11target_archE1200ELNS1_3gpuE4ELNS1_3repE0EEENS1_30default_config_static_selectorELNS0_4arch9wavefront6targetE1EEEvT1_: ; @_ZN7rocprim17ROCPRIM_400000_NS6detail17trampoline_kernelINS0_14default_configENS1_25partition_config_selectorILNS1_17partition_subalgoE8ElNS0_10empty_typeEbEEZZNS1_14partition_implILS5_8ELb0ES3_jPlPS6_PKS6_NS0_5tupleIJS9_S6_EEENSD_IJSA_SA_EEENS0_18inequality_wrapperIZN2at6native12_GLOBAL__N_124unique_dim_cuda_templateIN3c104HalfEEESt5tupleIJNSH_6TensorESO_SO_EERKSO_lbbbEUlllE0_EEPmJS6_EEE10hipError_tPvRmT3_T4_T5_T6_T7_T9_mT8_P12ihipStream_tbDpT10_ENKUlT_T0_E_clISt17integral_constantIbLb1EES1D_IbLb0EEEEDaS19_S1A_EUlS19_E_NS1_11comp_targetILNS1_3genE10ELNS1_11target_archE1200ELNS1_3gpuE4ELNS1_3repE0EEENS1_30default_config_static_selectorELNS0_4arch9wavefront6targetE1EEEvT1_
; %bb.0:
	.section	.rodata,"a",@progbits
	.p2align	6, 0x0
	.amdhsa_kernel _ZN7rocprim17ROCPRIM_400000_NS6detail17trampoline_kernelINS0_14default_configENS1_25partition_config_selectorILNS1_17partition_subalgoE8ElNS0_10empty_typeEbEEZZNS1_14partition_implILS5_8ELb0ES3_jPlPS6_PKS6_NS0_5tupleIJS9_S6_EEENSD_IJSA_SA_EEENS0_18inequality_wrapperIZN2at6native12_GLOBAL__N_124unique_dim_cuda_templateIN3c104HalfEEESt5tupleIJNSH_6TensorESO_SO_EERKSO_lbbbEUlllE0_EEPmJS6_EEE10hipError_tPvRmT3_T4_T5_T6_T7_T9_mT8_P12ihipStream_tbDpT10_ENKUlT_T0_E_clISt17integral_constantIbLb1EES1D_IbLb0EEEEDaS19_S1A_EUlS19_E_NS1_11comp_targetILNS1_3genE10ELNS1_11target_archE1200ELNS1_3gpuE4ELNS1_3repE0EEENS1_30default_config_static_selectorELNS0_4arch9wavefront6targetE1EEEvT1_
		.amdhsa_group_segment_fixed_size 0
		.amdhsa_private_segment_fixed_size 0
		.amdhsa_kernarg_size 120
		.amdhsa_user_sgpr_count 2
		.amdhsa_user_sgpr_dispatch_ptr 0
		.amdhsa_user_sgpr_queue_ptr 0
		.amdhsa_user_sgpr_kernarg_segment_ptr 1
		.amdhsa_user_sgpr_dispatch_id 0
		.amdhsa_user_sgpr_kernarg_preload_length 0
		.amdhsa_user_sgpr_kernarg_preload_offset 0
		.amdhsa_user_sgpr_private_segment_size 0
		.amdhsa_uses_dynamic_stack 0
		.amdhsa_enable_private_segment 0
		.amdhsa_system_sgpr_workgroup_id_x 1
		.amdhsa_system_sgpr_workgroup_id_y 0
		.amdhsa_system_sgpr_workgroup_id_z 0
		.amdhsa_system_sgpr_workgroup_info 0
		.amdhsa_system_vgpr_workitem_id 0
		.amdhsa_next_free_vgpr 1
		.amdhsa_next_free_sgpr 0
		.amdhsa_accum_offset 4
		.amdhsa_reserve_vcc 0
		.amdhsa_float_round_mode_32 0
		.amdhsa_float_round_mode_16_64 0
		.amdhsa_float_denorm_mode_32 3
		.amdhsa_float_denorm_mode_16_64 3
		.amdhsa_dx10_clamp 1
		.amdhsa_ieee_mode 1
		.amdhsa_fp16_overflow 0
		.amdhsa_tg_split 0
		.amdhsa_exception_fp_ieee_invalid_op 0
		.amdhsa_exception_fp_denorm_src 0
		.amdhsa_exception_fp_ieee_div_zero 0
		.amdhsa_exception_fp_ieee_overflow 0
		.amdhsa_exception_fp_ieee_underflow 0
		.amdhsa_exception_fp_ieee_inexact 0
		.amdhsa_exception_int_div_zero 0
	.end_amdhsa_kernel
	.section	.text._ZN7rocprim17ROCPRIM_400000_NS6detail17trampoline_kernelINS0_14default_configENS1_25partition_config_selectorILNS1_17partition_subalgoE8ElNS0_10empty_typeEbEEZZNS1_14partition_implILS5_8ELb0ES3_jPlPS6_PKS6_NS0_5tupleIJS9_S6_EEENSD_IJSA_SA_EEENS0_18inequality_wrapperIZN2at6native12_GLOBAL__N_124unique_dim_cuda_templateIN3c104HalfEEESt5tupleIJNSH_6TensorESO_SO_EERKSO_lbbbEUlllE0_EEPmJS6_EEE10hipError_tPvRmT3_T4_T5_T6_T7_T9_mT8_P12ihipStream_tbDpT10_ENKUlT_T0_E_clISt17integral_constantIbLb1EES1D_IbLb0EEEEDaS19_S1A_EUlS19_E_NS1_11comp_targetILNS1_3genE10ELNS1_11target_archE1200ELNS1_3gpuE4ELNS1_3repE0EEENS1_30default_config_static_selectorELNS0_4arch9wavefront6targetE1EEEvT1_,"axG",@progbits,_ZN7rocprim17ROCPRIM_400000_NS6detail17trampoline_kernelINS0_14default_configENS1_25partition_config_selectorILNS1_17partition_subalgoE8ElNS0_10empty_typeEbEEZZNS1_14partition_implILS5_8ELb0ES3_jPlPS6_PKS6_NS0_5tupleIJS9_S6_EEENSD_IJSA_SA_EEENS0_18inequality_wrapperIZN2at6native12_GLOBAL__N_124unique_dim_cuda_templateIN3c104HalfEEESt5tupleIJNSH_6TensorESO_SO_EERKSO_lbbbEUlllE0_EEPmJS6_EEE10hipError_tPvRmT3_T4_T5_T6_T7_T9_mT8_P12ihipStream_tbDpT10_ENKUlT_T0_E_clISt17integral_constantIbLb1EES1D_IbLb0EEEEDaS19_S1A_EUlS19_E_NS1_11comp_targetILNS1_3genE10ELNS1_11target_archE1200ELNS1_3gpuE4ELNS1_3repE0EEENS1_30default_config_static_selectorELNS0_4arch9wavefront6targetE1EEEvT1_,comdat
.Lfunc_end1318:
	.size	_ZN7rocprim17ROCPRIM_400000_NS6detail17trampoline_kernelINS0_14default_configENS1_25partition_config_selectorILNS1_17partition_subalgoE8ElNS0_10empty_typeEbEEZZNS1_14partition_implILS5_8ELb0ES3_jPlPS6_PKS6_NS0_5tupleIJS9_S6_EEENSD_IJSA_SA_EEENS0_18inequality_wrapperIZN2at6native12_GLOBAL__N_124unique_dim_cuda_templateIN3c104HalfEEESt5tupleIJNSH_6TensorESO_SO_EERKSO_lbbbEUlllE0_EEPmJS6_EEE10hipError_tPvRmT3_T4_T5_T6_T7_T9_mT8_P12ihipStream_tbDpT10_ENKUlT_T0_E_clISt17integral_constantIbLb1EES1D_IbLb0EEEEDaS19_S1A_EUlS19_E_NS1_11comp_targetILNS1_3genE10ELNS1_11target_archE1200ELNS1_3gpuE4ELNS1_3repE0EEENS1_30default_config_static_selectorELNS0_4arch9wavefront6targetE1EEEvT1_, .Lfunc_end1318-_ZN7rocprim17ROCPRIM_400000_NS6detail17trampoline_kernelINS0_14default_configENS1_25partition_config_selectorILNS1_17partition_subalgoE8ElNS0_10empty_typeEbEEZZNS1_14partition_implILS5_8ELb0ES3_jPlPS6_PKS6_NS0_5tupleIJS9_S6_EEENSD_IJSA_SA_EEENS0_18inequality_wrapperIZN2at6native12_GLOBAL__N_124unique_dim_cuda_templateIN3c104HalfEEESt5tupleIJNSH_6TensorESO_SO_EERKSO_lbbbEUlllE0_EEPmJS6_EEE10hipError_tPvRmT3_T4_T5_T6_T7_T9_mT8_P12ihipStream_tbDpT10_ENKUlT_T0_E_clISt17integral_constantIbLb1EES1D_IbLb0EEEEDaS19_S1A_EUlS19_E_NS1_11comp_targetILNS1_3genE10ELNS1_11target_archE1200ELNS1_3gpuE4ELNS1_3repE0EEENS1_30default_config_static_selectorELNS0_4arch9wavefront6targetE1EEEvT1_
                                        ; -- End function
	.set _ZN7rocprim17ROCPRIM_400000_NS6detail17trampoline_kernelINS0_14default_configENS1_25partition_config_selectorILNS1_17partition_subalgoE8ElNS0_10empty_typeEbEEZZNS1_14partition_implILS5_8ELb0ES3_jPlPS6_PKS6_NS0_5tupleIJS9_S6_EEENSD_IJSA_SA_EEENS0_18inequality_wrapperIZN2at6native12_GLOBAL__N_124unique_dim_cuda_templateIN3c104HalfEEESt5tupleIJNSH_6TensorESO_SO_EERKSO_lbbbEUlllE0_EEPmJS6_EEE10hipError_tPvRmT3_T4_T5_T6_T7_T9_mT8_P12ihipStream_tbDpT10_ENKUlT_T0_E_clISt17integral_constantIbLb1EES1D_IbLb0EEEEDaS19_S1A_EUlS19_E_NS1_11comp_targetILNS1_3genE10ELNS1_11target_archE1200ELNS1_3gpuE4ELNS1_3repE0EEENS1_30default_config_static_selectorELNS0_4arch9wavefront6targetE1EEEvT1_.num_vgpr, 0
	.set _ZN7rocprim17ROCPRIM_400000_NS6detail17trampoline_kernelINS0_14default_configENS1_25partition_config_selectorILNS1_17partition_subalgoE8ElNS0_10empty_typeEbEEZZNS1_14partition_implILS5_8ELb0ES3_jPlPS6_PKS6_NS0_5tupleIJS9_S6_EEENSD_IJSA_SA_EEENS0_18inequality_wrapperIZN2at6native12_GLOBAL__N_124unique_dim_cuda_templateIN3c104HalfEEESt5tupleIJNSH_6TensorESO_SO_EERKSO_lbbbEUlllE0_EEPmJS6_EEE10hipError_tPvRmT3_T4_T5_T6_T7_T9_mT8_P12ihipStream_tbDpT10_ENKUlT_T0_E_clISt17integral_constantIbLb1EES1D_IbLb0EEEEDaS19_S1A_EUlS19_E_NS1_11comp_targetILNS1_3genE10ELNS1_11target_archE1200ELNS1_3gpuE4ELNS1_3repE0EEENS1_30default_config_static_selectorELNS0_4arch9wavefront6targetE1EEEvT1_.num_agpr, 0
	.set _ZN7rocprim17ROCPRIM_400000_NS6detail17trampoline_kernelINS0_14default_configENS1_25partition_config_selectorILNS1_17partition_subalgoE8ElNS0_10empty_typeEbEEZZNS1_14partition_implILS5_8ELb0ES3_jPlPS6_PKS6_NS0_5tupleIJS9_S6_EEENSD_IJSA_SA_EEENS0_18inequality_wrapperIZN2at6native12_GLOBAL__N_124unique_dim_cuda_templateIN3c104HalfEEESt5tupleIJNSH_6TensorESO_SO_EERKSO_lbbbEUlllE0_EEPmJS6_EEE10hipError_tPvRmT3_T4_T5_T6_T7_T9_mT8_P12ihipStream_tbDpT10_ENKUlT_T0_E_clISt17integral_constantIbLb1EES1D_IbLb0EEEEDaS19_S1A_EUlS19_E_NS1_11comp_targetILNS1_3genE10ELNS1_11target_archE1200ELNS1_3gpuE4ELNS1_3repE0EEENS1_30default_config_static_selectorELNS0_4arch9wavefront6targetE1EEEvT1_.numbered_sgpr, 0
	.set _ZN7rocprim17ROCPRIM_400000_NS6detail17trampoline_kernelINS0_14default_configENS1_25partition_config_selectorILNS1_17partition_subalgoE8ElNS0_10empty_typeEbEEZZNS1_14partition_implILS5_8ELb0ES3_jPlPS6_PKS6_NS0_5tupleIJS9_S6_EEENSD_IJSA_SA_EEENS0_18inequality_wrapperIZN2at6native12_GLOBAL__N_124unique_dim_cuda_templateIN3c104HalfEEESt5tupleIJNSH_6TensorESO_SO_EERKSO_lbbbEUlllE0_EEPmJS6_EEE10hipError_tPvRmT3_T4_T5_T6_T7_T9_mT8_P12ihipStream_tbDpT10_ENKUlT_T0_E_clISt17integral_constantIbLb1EES1D_IbLb0EEEEDaS19_S1A_EUlS19_E_NS1_11comp_targetILNS1_3genE10ELNS1_11target_archE1200ELNS1_3gpuE4ELNS1_3repE0EEENS1_30default_config_static_selectorELNS0_4arch9wavefront6targetE1EEEvT1_.num_named_barrier, 0
	.set _ZN7rocprim17ROCPRIM_400000_NS6detail17trampoline_kernelINS0_14default_configENS1_25partition_config_selectorILNS1_17partition_subalgoE8ElNS0_10empty_typeEbEEZZNS1_14partition_implILS5_8ELb0ES3_jPlPS6_PKS6_NS0_5tupleIJS9_S6_EEENSD_IJSA_SA_EEENS0_18inequality_wrapperIZN2at6native12_GLOBAL__N_124unique_dim_cuda_templateIN3c104HalfEEESt5tupleIJNSH_6TensorESO_SO_EERKSO_lbbbEUlllE0_EEPmJS6_EEE10hipError_tPvRmT3_T4_T5_T6_T7_T9_mT8_P12ihipStream_tbDpT10_ENKUlT_T0_E_clISt17integral_constantIbLb1EES1D_IbLb0EEEEDaS19_S1A_EUlS19_E_NS1_11comp_targetILNS1_3genE10ELNS1_11target_archE1200ELNS1_3gpuE4ELNS1_3repE0EEENS1_30default_config_static_selectorELNS0_4arch9wavefront6targetE1EEEvT1_.private_seg_size, 0
	.set _ZN7rocprim17ROCPRIM_400000_NS6detail17trampoline_kernelINS0_14default_configENS1_25partition_config_selectorILNS1_17partition_subalgoE8ElNS0_10empty_typeEbEEZZNS1_14partition_implILS5_8ELb0ES3_jPlPS6_PKS6_NS0_5tupleIJS9_S6_EEENSD_IJSA_SA_EEENS0_18inequality_wrapperIZN2at6native12_GLOBAL__N_124unique_dim_cuda_templateIN3c104HalfEEESt5tupleIJNSH_6TensorESO_SO_EERKSO_lbbbEUlllE0_EEPmJS6_EEE10hipError_tPvRmT3_T4_T5_T6_T7_T9_mT8_P12ihipStream_tbDpT10_ENKUlT_T0_E_clISt17integral_constantIbLb1EES1D_IbLb0EEEEDaS19_S1A_EUlS19_E_NS1_11comp_targetILNS1_3genE10ELNS1_11target_archE1200ELNS1_3gpuE4ELNS1_3repE0EEENS1_30default_config_static_selectorELNS0_4arch9wavefront6targetE1EEEvT1_.uses_vcc, 0
	.set _ZN7rocprim17ROCPRIM_400000_NS6detail17trampoline_kernelINS0_14default_configENS1_25partition_config_selectorILNS1_17partition_subalgoE8ElNS0_10empty_typeEbEEZZNS1_14partition_implILS5_8ELb0ES3_jPlPS6_PKS6_NS0_5tupleIJS9_S6_EEENSD_IJSA_SA_EEENS0_18inequality_wrapperIZN2at6native12_GLOBAL__N_124unique_dim_cuda_templateIN3c104HalfEEESt5tupleIJNSH_6TensorESO_SO_EERKSO_lbbbEUlllE0_EEPmJS6_EEE10hipError_tPvRmT3_T4_T5_T6_T7_T9_mT8_P12ihipStream_tbDpT10_ENKUlT_T0_E_clISt17integral_constantIbLb1EES1D_IbLb0EEEEDaS19_S1A_EUlS19_E_NS1_11comp_targetILNS1_3genE10ELNS1_11target_archE1200ELNS1_3gpuE4ELNS1_3repE0EEENS1_30default_config_static_selectorELNS0_4arch9wavefront6targetE1EEEvT1_.uses_flat_scratch, 0
	.set _ZN7rocprim17ROCPRIM_400000_NS6detail17trampoline_kernelINS0_14default_configENS1_25partition_config_selectorILNS1_17partition_subalgoE8ElNS0_10empty_typeEbEEZZNS1_14partition_implILS5_8ELb0ES3_jPlPS6_PKS6_NS0_5tupleIJS9_S6_EEENSD_IJSA_SA_EEENS0_18inequality_wrapperIZN2at6native12_GLOBAL__N_124unique_dim_cuda_templateIN3c104HalfEEESt5tupleIJNSH_6TensorESO_SO_EERKSO_lbbbEUlllE0_EEPmJS6_EEE10hipError_tPvRmT3_T4_T5_T6_T7_T9_mT8_P12ihipStream_tbDpT10_ENKUlT_T0_E_clISt17integral_constantIbLb1EES1D_IbLb0EEEEDaS19_S1A_EUlS19_E_NS1_11comp_targetILNS1_3genE10ELNS1_11target_archE1200ELNS1_3gpuE4ELNS1_3repE0EEENS1_30default_config_static_selectorELNS0_4arch9wavefront6targetE1EEEvT1_.has_dyn_sized_stack, 0
	.set _ZN7rocprim17ROCPRIM_400000_NS6detail17trampoline_kernelINS0_14default_configENS1_25partition_config_selectorILNS1_17partition_subalgoE8ElNS0_10empty_typeEbEEZZNS1_14partition_implILS5_8ELb0ES3_jPlPS6_PKS6_NS0_5tupleIJS9_S6_EEENSD_IJSA_SA_EEENS0_18inequality_wrapperIZN2at6native12_GLOBAL__N_124unique_dim_cuda_templateIN3c104HalfEEESt5tupleIJNSH_6TensorESO_SO_EERKSO_lbbbEUlllE0_EEPmJS6_EEE10hipError_tPvRmT3_T4_T5_T6_T7_T9_mT8_P12ihipStream_tbDpT10_ENKUlT_T0_E_clISt17integral_constantIbLb1EES1D_IbLb0EEEEDaS19_S1A_EUlS19_E_NS1_11comp_targetILNS1_3genE10ELNS1_11target_archE1200ELNS1_3gpuE4ELNS1_3repE0EEENS1_30default_config_static_selectorELNS0_4arch9wavefront6targetE1EEEvT1_.has_recursion, 0
	.set _ZN7rocprim17ROCPRIM_400000_NS6detail17trampoline_kernelINS0_14default_configENS1_25partition_config_selectorILNS1_17partition_subalgoE8ElNS0_10empty_typeEbEEZZNS1_14partition_implILS5_8ELb0ES3_jPlPS6_PKS6_NS0_5tupleIJS9_S6_EEENSD_IJSA_SA_EEENS0_18inequality_wrapperIZN2at6native12_GLOBAL__N_124unique_dim_cuda_templateIN3c104HalfEEESt5tupleIJNSH_6TensorESO_SO_EERKSO_lbbbEUlllE0_EEPmJS6_EEE10hipError_tPvRmT3_T4_T5_T6_T7_T9_mT8_P12ihipStream_tbDpT10_ENKUlT_T0_E_clISt17integral_constantIbLb1EES1D_IbLb0EEEEDaS19_S1A_EUlS19_E_NS1_11comp_targetILNS1_3genE10ELNS1_11target_archE1200ELNS1_3gpuE4ELNS1_3repE0EEENS1_30default_config_static_selectorELNS0_4arch9wavefront6targetE1EEEvT1_.has_indirect_call, 0
	.section	.AMDGPU.csdata,"",@progbits
; Kernel info:
; codeLenInByte = 0
; TotalNumSgprs: 6
; NumVgprs: 0
; NumAgprs: 0
; TotalNumVgprs: 0
; ScratchSize: 0
; MemoryBound: 0
; FloatMode: 240
; IeeeMode: 1
; LDSByteSize: 0 bytes/workgroup (compile time only)
; SGPRBlocks: 0
; VGPRBlocks: 0
; NumSGPRsForWavesPerEU: 6
; NumVGPRsForWavesPerEU: 1
; AccumOffset: 4
; Occupancy: 8
; WaveLimiterHint : 0
; COMPUTE_PGM_RSRC2:SCRATCH_EN: 0
; COMPUTE_PGM_RSRC2:USER_SGPR: 2
; COMPUTE_PGM_RSRC2:TRAP_HANDLER: 0
; COMPUTE_PGM_RSRC2:TGID_X_EN: 1
; COMPUTE_PGM_RSRC2:TGID_Y_EN: 0
; COMPUTE_PGM_RSRC2:TGID_Z_EN: 0
; COMPUTE_PGM_RSRC2:TIDIG_COMP_CNT: 0
; COMPUTE_PGM_RSRC3_GFX90A:ACCUM_OFFSET: 0
; COMPUTE_PGM_RSRC3_GFX90A:TG_SPLIT: 0
	.section	.text._ZN7rocprim17ROCPRIM_400000_NS6detail17trampoline_kernelINS0_14default_configENS1_25partition_config_selectorILNS1_17partition_subalgoE8ElNS0_10empty_typeEbEEZZNS1_14partition_implILS5_8ELb0ES3_jPlPS6_PKS6_NS0_5tupleIJS9_S6_EEENSD_IJSA_SA_EEENS0_18inequality_wrapperIZN2at6native12_GLOBAL__N_124unique_dim_cuda_templateIN3c104HalfEEESt5tupleIJNSH_6TensorESO_SO_EERKSO_lbbbEUlllE0_EEPmJS6_EEE10hipError_tPvRmT3_T4_T5_T6_T7_T9_mT8_P12ihipStream_tbDpT10_ENKUlT_T0_E_clISt17integral_constantIbLb1EES1D_IbLb0EEEEDaS19_S1A_EUlS19_E_NS1_11comp_targetILNS1_3genE9ELNS1_11target_archE1100ELNS1_3gpuE3ELNS1_3repE0EEENS1_30default_config_static_selectorELNS0_4arch9wavefront6targetE1EEEvT1_,"axG",@progbits,_ZN7rocprim17ROCPRIM_400000_NS6detail17trampoline_kernelINS0_14default_configENS1_25partition_config_selectorILNS1_17partition_subalgoE8ElNS0_10empty_typeEbEEZZNS1_14partition_implILS5_8ELb0ES3_jPlPS6_PKS6_NS0_5tupleIJS9_S6_EEENSD_IJSA_SA_EEENS0_18inequality_wrapperIZN2at6native12_GLOBAL__N_124unique_dim_cuda_templateIN3c104HalfEEESt5tupleIJNSH_6TensorESO_SO_EERKSO_lbbbEUlllE0_EEPmJS6_EEE10hipError_tPvRmT3_T4_T5_T6_T7_T9_mT8_P12ihipStream_tbDpT10_ENKUlT_T0_E_clISt17integral_constantIbLb1EES1D_IbLb0EEEEDaS19_S1A_EUlS19_E_NS1_11comp_targetILNS1_3genE9ELNS1_11target_archE1100ELNS1_3gpuE3ELNS1_3repE0EEENS1_30default_config_static_selectorELNS0_4arch9wavefront6targetE1EEEvT1_,comdat
	.globl	_ZN7rocprim17ROCPRIM_400000_NS6detail17trampoline_kernelINS0_14default_configENS1_25partition_config_selectorILNS1_17partition_subalgoE8ElNS0_10empty_typeEbEEZZNS1_14partition_implILS5_8ELb0ES3_jPlPS6_PKS6_NS0_5tupleIJS9_S6_EEENSD_IJSA_SA_EEENS0_18inequality_wrapperIZN2at6native12_GLOBAL__N_124unique_dim_cuda_templateIN3c104HalfEEESt5tupleIJNSH_6TensorESO_SO_EERKSO_lbbbEUlllE0_EEPmJS6_EEE10hipError_tPvRmT3_T4_T5_T6_T7_T9_mT8_P12ihipStream_tbDpT10_ENKUlT_T0_E_clISt17integral_constantIbLb1EES1D_IbLb0EEEEDaS19_S1A_EUlS19_E_NS1_11comp_targetILNS1_3genE9ELNS1_11target_archE1100ELNS1_3gpuE3ELNS1_3repE0EEENS1_30default_config_static_selectorELNS0_4arch9wavefront6targetE1EEEvT1_ ; -- Begin function _ZN7rocprim17ROCPRIM_400000_NS6detail17trampoline_kernelINS0_14default_configENS1_25partition_config_selectorILNS1_17partition_subalgoE8ElNS0_10empty_typeEbEEZZNS1_14partition_implILS5_8ELb0ES3_jPlPS6_PKS6_NS0_5tupleIJS9_S6_EEENSD_IJSA_SA_EEENS0_18inequality_wrapperIZN2at6native12_GLOBAL__N_124unique_dim_cuda_templateIN3c104HalfEEESt5tupleIJNSH_6TensorESO_SO_EERKSO_lbbbEUlllE0_EEPmJS6_EEE10hipError_tPvRmT3_T4_T5_T6_T7_T9_mT8_P12ihipStream_tbDpT10_ENKUlT_T0_E_clISt17integral_constantIbLb1EES1D_IbLb0EEEEDaS19_S1A_EUlS19_E_NS1_11comp_targetILNS1_3genE9ELNS1_11target_archE1100ELNS1_3gpuE3ELNS1_3repE0EEENS1_30default_config_static_selectorELNS0_4arch9wavefront6targetE1EEEvT1_
	.p2align	8
	.type	_ZN7rocprim17ROCPRIM_400000_NS6detail17trampoline_kernelINS0_14default_configENS1_25partition_config_selectorILNS1_17partition_subalgoE8ElNS0_10empty_typeEbEEZZNS1_14partition_implILS5_8ELb0ES3_jPlPS6_PKS6_NS0_5tupleIJS9_S6_EEENSD_IJSA_SA_EEENS0_18inequality_wrapperIZN2at6native12_GLOBAL__N_124unique_dim_cuda_templateIN3c104HalfEEESt5tupleIJNSH_6TensorESO_SO_EERKSO_lbbbEUlllE0_EEPmJS6_EEE10hipError_tPvRmT3_T4_T5_T6_T7_T9_mT8_P12ihipStream_tbDpT10_ENKUlT_T0_E_clISt17integral_constantIbLb1EES1D_IbLb0EEEEDaS19_S1A_EUlS19_E_NS1_11comp_targetILNS1_3genE9ELNS1_11target_archE1100ELNS1_3gpuE3ELNS1_3repE0EEENS1_30default_config_static_selectorELNS0_4arch9wavefront6targetE1EEEvT1_,@function
_ZN7rocprim17ROCPRIM_400000_NS6detail17trampoline_kernelINS0_14default_configENS1_25partition_config_selectorILNS1_17partition_subalgoE8ElNS0_10empty_typeEbEEZZNS1_14partition_implILS5_8ELb0ES3_jPlPS6_PKS6_NS0_5tupleIJS9_S6_EEENSD_IJSA_SA_EEENS0_18inequality_wrapperIZN2at6native12_GLOBAL__N_124unique_dim_cuda_templateIN3c104HalfEEESt5tupleIJNSH_6TensorESO_SO_EERKSO_lbbbEUlllE0_EEPmJS6_EEE10hipError_tPvRmT3_T4_T5_T6_T7_T9_mT8_P12ihipStream_tbDpT10_ENKUlT_T0_E_clISt17integral_constantIbLb1EES1D_IbLb0EEEEDaS19_S1A_EUlS19_E_NS1_11comp_targetILNS1_3genE9ELNS1_11target_archE1100ELNS1_3gpuE3ELNS1_3repE0EEENS1_30default_config_static_selectorELNS0_4arch9wavefront6targetE1EEEvT1_: ; @_ZN7rocprim17ROCPRIM_400000_NS6detail17trampoline_kernelINS0_14default_configENS1_25partition_config_selectorILNS1_17partition_subalgoE8ElNS0_10empty_typeEbEEZZNS1_14partition_implILS5_8ELb0ES3_jPlPS6_PKS6_NS0_5tupleIJS9_S6_EEENSD_IJSA_SA_EEENS0_18inequality_wrapperIZN2at6native12_GLOBAL__N_124unique_dim_cuda_templateIN3c104HalfEEESt5tupleIJNSH_6TensorESO_SO_EERKSO_lbbbEUlllE0_EEPmJS6_EEE10hipError_tPvRmT3_T4_T5_T6_T7_T9_mT8_P12ihipStream_tbDpT10_ENKUlT_T0_E_clISt17integral_constantIbLb1EES1D_IbLb0EEEEDaS19_S1A_EUlS19_E_NS1_11comp_targetILNS1_3genE9ELNS1_11target_archE1100ELNS1_3gpuE3ELNS1_3repE0EEENS1_30default_config_static_selectorELNS0_4arch9wavefront6targetE1EEEvT1_
; %bb.0:
	.section	.rodata,"a",@progbits
	.p2align	6, 0x0
	.amdhsa_kernel _ZN7rocprim17ROCPRIM_400000_NS6detail17trampoline_kernelINS0_14default_configENS1_25partition_config_selectorILNS1_17partition_subalgoE8ElNS0_10empty_typeEbEEZZNS1_14partition_implILS5_8ELb0ES3_jPlPS6_PKS6_NS0_5tupleIJS9_S6_EEENSD_IJSA_SA_EEENS0_18inequality_wrapperIZN2at6native12_GLOBAL__N_124unique_dim_cuda_templateIN3c104HalfEEESt5tupleIJNSH_6TensorESO_SO_EERKSO_lbbbEUlllE0_EEPmJS6_EEE10hipError_tPvRmT3_T4_T5_T6_T7_T9_mT8_P12ihipStream_tbDpT10_ENKUlT_T0_E_clISt17integral_constantIbLb1EES1D_IbLb0EEEEDaS19_S1A_EUlS19_E_NS1_11comp_targetILNS1_3genE9ELNS1_11target_archE1100ELNS1_3gpuE3ELNS1_3repE0EEENS1_30default_config_static_selectorELNS0_4arch9wavefront6targetE1EEEvT1_
		.amdhsa_group_segment_fixed_size 0
		.amdhsa_private_segment_fixed_size 0
		.amdhsa_kernarg_size 120
		.amdhsa_user_sgpr_count 2
		.amdhsa_user_sgpr_dispatch_ptr 0
		.amdhsa_user_sgpr_queue_ptr 0
		.amdhsa_user_sgpr_kernarg_segment_ptr 1
		.amdhsa_user_sgpr_dispatch_id 0
		.amdhsa_user_sgpr_kernarg_preload_length 0
		.amdhsa_user_sgpr_kernarg_preload_offset 0
		.amdhsa_user_sgpr_private_segment_size 0
		.amdhsa_uses_dynamic_stack 0
		.amdhsa_enable_private_segment 0
		.amdhsa_system_sgpr_workgroup_id_x 1
		.amdhsa_system_sgpr_workgroup_id_y 0
		.amdhsa_system_sgpr_workgroup_id_z 0
		.amdhsa_system_sgpr_workgroup_info 0
		.amdhsa_system_vgpr_workitem_id 0
		.amdhsa_next_free_vgpr 1
		.amdhsa_next_free_sgpr 0
		.amdhsa_accum_offset 4
		.amdhsa_reserve_vcc 0
		.amdhsa_float_round_mode_32 0
		.amdhsa_float_round_mode_16_64 0
		.amdhsa_float_denorm_mode_32 3
		.amdhsa_float_denorm_mode_16_64 3
		.amdhsa_dx10_clamp 1
		.amdhsa_ieee_mode 1
		.amdhsa_fp16_overflow 0
		.amdhsa_tg_split 0
		.amdhsa_exception_fp_ieee_invalid_op 0
		.amdhsa_exception_fp_denorm_src 0
		.amdhsa_exception_fp_ieee_div_zero 0
		.amdhsa_exception_fp_ieee_overflow 0
		.amdhsa_exception_fp_ieee_underflow 0
		.amdhsa_exception_fp_ieee_inexact 0
		.amdhsa_exception_int_div_zero 0
	.end_amdhsa_kernel
	.section	.text._ZN7rocprim17ROCPRIM_400000_NS6detail17trampoline_kernelINS0_14default_configENS1_25partition_config_selectorILNS1_17partition_subalgoE8ElNS0_10empty_typeEbEEZZNS1_14partition_implILS5_8ELb0ES3_jPlPS6_PKS6_NS0_5tupleIJS9_S6_EEENSD_IJSA_SA_EEENS0_18inequality_wrapperIZN2at6native12_GLOBAL__N_124unique_dim_cuda_templateIN3c104HalfEEESt5tupleIJNSH_6TensorESO_SO_EERKSO_lbbbEUlllE0_EEPmJS6_EEE10hipError_tPvRmT3_T4_T5_T6_T7_T9_mT8_P12ihipStream_tbDpT10_ENKUlT_T0_E_clISt17integral_constantIbLb1EES1D_IbLb0EEEEDaS19_S1A_EUlS19_E_NS1_11comp_targetILNS1_3genE9ELNS1_11target_archE1100ELNS1_3gpuE3ELNS1_3repE0EEENS1_30default_config_static_selectorELNS0_4arch9wavefront6targetE1EEEvT1_,"axG",@progbits,_ZN7rocprim17ROCPRIM_400000_NS6detail17trampoline_kernelINS0_14default_configENS1_25partition_config_selectorILNS1_17partition_subalgoE8ElNS0_10empty_typeEbEEZZNS1_14partition_implILS5_8ELb0ES3_jPlPS6_PKS6_NS0_5tupleIJS9_S6_EEENSD_IJSA_SA_EEENS0_18inequality_wrapperIZN2at6native12_GLOBAL__N_124unique_dim_cuda_templateIN3c104HalfEEESt5tupleIJNSH_6TensorESO_SO_EERKSO_lbbbEUlllE0_EEPmJS6_EEE10hipError_tPvRmT3_T4_T5_T6_T7_T9_mT8_P12ihipStream_tbDpT10_ENKUlT_T0_E_clISt17integral_constantIbLb1EES1D_IbLb0EEEEDaS19_S1A_EUlS19_E_NS1_11comp_targetILNS1_3genE9ELNS1_11target_archE1100ELNS1_3gpuE3ELNS1_3repE0EEENS1_30default_config_static_selectorELNS0_4arch9wavefront6targetE1EEEvT1_,comdat
.Lfunc_end1319:
	.size	_ZN7rocprim17ROCPRIM_400000_NS6detail17trampoline_kernelINS0_14default_configENS1_25partition_config_selectorILNS1_17partition_subalgoE8ElNS0_10empty_typeEbEEZZNS1_14partition_implILS5_8ELb0ES3_jPlPS6_PKS6_NS0_5tupleIJS9_S6_EEENSD_IJSA_SA_EEENS0_18inequality_wrapperIZN2at6native12_GLOBAL__N_124unique_dim_cuda_templateIN3c104HalfEEESt5tupleIJNSH_6TensorESO_SO_EERKSO_lbbbEUlllE0_EEPmJS6_EEE10hipError_tPvRmT3_T4_T5_T6_T7_T9_mT8_P12ihipStream_tbDpT10_ENKUlT_T0_E_clISt17integral_constantIbLb1EES1D_IbLb0EEEEDaS19_S1A_EUlS19_E_NS1_11comp_targetILNS1_3genE9ELNS1_11target_archE1100ELNS1_3gpuE3ELNS1_3repE0EEENS1_30default_config_static_selectorELNS0_4arch9wavefront6targetE1EEEvT1_, .Lfunc_end1319-_ZN7rocprim17ROCPRIM_400000_NS6detail17trampoline_kernelINS0_14default_configENS1_25partition_config_selectorILNS1_17partition_subalgoE8ElNS0_10empty_typeEbEEZZNS1_14partition_implILS5_8ELb0ES3_jPlPS6_PKS6_NS0_5tupleIJS9_S6_EEENSD_IJSA_SA_EEENS0_18inequality_wrapperIZN2at6native12_GLOBAL__N_124unique_dim_cuda_templateIN3c104HalfEEESt5tupleIJNSH_6TensorESO_SO_EERKSO_lbbbEUlllE0_EEPmJS6_EEE10hipError_tPvRmT3_T4_T5_T6_T7_T9_mT8_P12ihipStream_tbDpT10_ENKUlT_T0_E_clISt17integral_constantIbLb1EES1D_IbLb0EEEEDaS19_S1A_EUlS19_E_NS1_11comp_targetILNS1_3genE9ELNS1_11target_archE1100ELNS1_3gpuE3ELNS1_3repE0EEENS1_30default_config_static_selectorELNS0_4arch9wavefront6targetE1EEEvT1_
                                        ; -- End function
	.set _ZN7rocprim17ROCPRIM_400000_NS6detail17trampoline_kernelINS0_14default_configENS1_25partition_config_selectorILNS1_17partition_subalgoE8ElNS0_10empty_typeEbEEZZNS1_14partition_implILS5_8ELb0ES3_jPlPS6_PKS6_NS0_5tupleIJS9_S6_EEENSD_IJSA_SA_EEENS0_18inequality_wrapperIZN2at6native12_GLOBAL__N_124unique_dim_cuda_templateIN3c104HalfEEESt5tupleIJNSH_6TensorESO_SO_EERKSO_lbbbEUlllE0_EEPmJS6_EEE10hipError_tPvRmT3_T4_T5_T6_T7_T9_mT8_P12ihipStream_tbDpT10_ENKUlT_T0_E_clISt17integral_constantIbLb1EES1D_IbLb0EEEEDaS19_S1A_EUlS19_E_NS1_11comp_targetILNS1_3genE9ELNS1_11target_archE1100ELNS1_3gpuE3ELNS1_3repE0EEENS1_30default_config_static_selectorELNS0_4arch9wavefront6targetE1EEEvT1_.num_vgpr, 0
	.set _ZN7rocprim17ROCPRIM_400000_NS6detail17trampoline_kernelINS0_14default_configENS1_25partition_config_selectorILNS1_17partition_subalgoE8ElNS0_10empty_typeEbEEZZNS1_14partition_implILS5_8ELb0ES3_jPlPS6_PKS6_NS0_5tupleIJS9_S6_EEENSD_IJSA_SA_EEENS0_18inequality_wrapperIZN2at6native12_GLOBAL__N_124unique_dim_cuda_templateIN3c104HalfEEESt5tupleIJNSH_6TensorESO_SO_EERKSO_lbbbEUlllE0_EEPmJS6_EEE10hipError_tPvRmT3_T4_T5_T6_T7_T9_mT8_P12ihipStream_tbDpT10_ENKUlT_T0_E_clISt17integral_constantIbLb1EES1D_IbLb0EEEEDaS19_S1A_EUlS19_E_NS1_11comp_targetILNS1_3genE9ELNS1_11target_archE1100ELNS1_3gpuE3ELNS1_3repE0EEENS1_30default_config_static_selectorELNS0_4arch9wavefront6targetE1EEEvT1_.num_agpr, 0
	.set _ZN7rocprim17ROCPRIM_400000_NS6detail17trampoline_kernelINS0_14default_configENS1_25partition_config_selectorILNS1_17partition_subalgoE8ElNS0_10empty_typeEbEEZZNS1_14partition_implILS5_8ELb0ES3_jPlPS6_PKS6_NS0_5tupleIJS9_S6_EEENSD_IJSA_SA_EEENS0_18inequality_wrapperIZN2at6native12_GLOBAL__N_124unique_dim_cuda_templateIN3c104HalfEEESt5tupleIJNSH_6TensorESO_SO_EERKSO_lbbbEUlllE0_EEPmJS6_EEE10hipError_tPvRmT3_T4_T5_T6_T7_T9_mT8_P12ihipStream_tbDpT10_ENKUlT_T0_E_clISt17integral_constantIbLb1EES1D_IbLb0EEEEDaS19_S1A_EUlS19_E_NS1_11comp_targetILNS1_3genE9ELNS1_11target_archE1100ELNS1_3gpuE3ELNS1_3repE0EEENS1_30default_config_static_selectorELNS0_4arch9wavefront6targetE1EEEvT1_.numbered_sgpr, 0
	.set _ZN7rocprim17ROCPRIM_400000_NS6detail17trampoline_kernelINS0_14default_configENS1_25partition_config_selectorILNS1_17partition_subalgoE8ElNS0_10empty_typeEbEEZZNS1_14partition_implILS5_8ELb0ES3_jPlPS6_PKS6_NS0_5tupleIJS9_S6_EEENSD_IJSA_SA_EEENS0_18inequality_wrapperIZN2at6native12_GLOBAL__N_124unique_dim_cuda_templateIN3c104HalfEEESt5tupleIJNSH_6TensorESO_SO_EERKSO_lbbbEUlllE0_EEPmJS6_EEE10hipError_tPvRmT3_T4_T5_T6_T7_T9_mT8_P12ihipStream_tbDpT10_ENKUlT_T0_E_clISt17integral_constantIbLb1EES1D_IbLb0EEEEDaS19_S1A_EUlS19_E_NS1_11comp_targetILNS1_3genE9ELNS1_11target_archE1100ELNS1_3gpuE3ELNS1_3repE0EEENS1_30default_config_static_selectorELNS0_4arch9wavefront6targetE1EEEvT1_.num_named_barrier, 0
	.set _ZN7rocprim17ROCPRIM_400000_NS6detail17trampoline_kernelINS0_14default_configENS1_25partition_config_selectorILNS1_17partition_subalgoE8ElNS0_10empty_typeEbEEZZNS1_14partition_implILS5_8ELb0ES3_jPlPS6_PKS6_NS0_5tupleIJS9_S6_EEENSD_IJSA_SA_EEENS0_18inequality_wrapperIZN2at6native12_GLOBAL__N_124unique_dim_cuda_templateIN3c104HalfEEESt5tupleIJNSH_6TensorESO_SO_EERKSO_lbbbEUlllE0_EEPmJS6_EEE10hipError_tPvRmT3_T4_T5_T6_T7_T9_mT8_P12ihipStream_tbDpT10_ENKUlT_T0_E_clISt17integral_constantIbLb1EES1D_IbLb0EEEEDaS19_S1A_EUlS19_E_NS1_11comp_targetILNS1_3genE9ELNS1_11target_archE1100ELNS1_3gpuE3ELNS1_3repE0EEENS1_30default_config_static_selectorELNS0_4arch9wavefront6targetE1EEEvT1_.private_seg_size, 0
	.set _ZN7rocprim17ROCPRIM_400000_NS6detail17trampoline_kernelINS0_14default_configENS1_25partition_config_selectorILNS1_17partition_subalgoE8ElNS0_10empty_typeEbEEZZNS1_14partition_implILS5_8ELb0ES3_jPlPS6_PKS6_NS0_5tupleIJS9_S6_EEENSD_IJSA_SA_EEENS0_18inequality_wrapperIZN2at6native12_GLOBAL__N_124unique_dim_cuda_templateIN3c104HalfEEESt5tupleIJNSH_6TensorESO_SO_EERKSO_lbbbEUlllE0_EEPmJS6_EEE10hipError_tPvRmT3_T4_T5_T6_T7_T9_mT8_P12ihipStream_tbDpT10_ENKUlT_T0_E_clISt17integral_constantIbLb1EES1D_IbLb0EEEEDaS19_S1A_EUlS19_E_NS1_11comp_targetILNS1_3genE9ELNS1_11target_archE1100ELNS1_3gpuE3ELNS1_3repE0EEENS1_30default_config_static_selectorELNS0_4arch9wavefront6targetE1EEEvT1_.uses_vcc, 0
	.set _ZN7rocprim17ROCPRIM_400000_NS6detail17trampoline_kernelINS0_14default_configENS1_25partition_config_selectorILNS1_17partition_subalgoE8ElNS0_10empty_typeEbEEZZNS1_14partition_implILS5_8ELb0ES3_jPlPS6_PKS6_NS0_5tupleIJS9_S6_EEENSD_IJSA_SA_EEENS0_18inequality_wrapperIZN2at6native12_GLOBAL__N_124unique_dim_cuda_templateIN3c104HalfEEESt5tupleIJNSH_6TensorESO_SO_EERKSO_lbbbEUlllE0_EEPmJS6_EEE10hipError_tPvRmT3_T4_T5_T6_T7_T9_mT8_P12ihipStream_tbDpT10_ENKUlT_T0_E_clISt17integral_constantIbLb1EES1D_IbLb0EEEEDaS19_S1A_EUlS19_E_NS1_11comp_targetILNS1_3genE9ELNS1_11target_archE1100ELNS1_3gpuE3ELNS1_3repE0EEENS1_30default_config_static_selectorELNS0_4arch9wavefront6targetE1EEEvT1_.uses_flat_scratch, 0
	.set _ZN7rocprim17ROCPRIM_400000_NS6detail17trampoline_kernelINS0_14default_configENS1_25partition_config_selectorILNS1_17partition_subalgoE8ElNS0_10empty_typeEbEEZZNS1_14partition_implILS5_8ELb0ES3_jPlPS6_PKS6_NS0_5tupleIJS9_S6_EEENSD_IJSA_SA_EEENS0_18inequality_wrapperIZN2at6native12_GLOBAL__N_124unique_dim_cuda_templateIN3c104HalfEEESt5tupleIJNSH_6TensorESO_SO_EERKSO_lbbbEUlllE0_EEPmJS6_EEE10hipError_tPvRmT3_T4_T5_T6_T7_T9_mT8_P12ihipStream_tbDpT10_ENKUlT_T0_E_clISt17integral_constantIbLb1EES1D_IbLb0EEEEDaS19_S1A_EUlS19_E_NS1_11comp_targetILNS1_3genE9ELNS1_11target_archE1100ELNS1_3gpuE3ELNS1_3repE0EEENS1_30default_config_static_selectorELNS0_4arch9wavefront6targetE1EEEvT1_.has_dyn_sized_stack, 0
	.set _ZN7rocprim17ROCPRIM_400000_NS6detail17trampoline_kernelINS0_14default_configENS1_25partition_config_selectorILNS1_17partition_subalgoE8ElNS0_10empty_typeEbEEZZNS1_14partition_implILS5_8ELb0ES3_jPlPS6_PKS6_NS0_5tupleIJS9_S6_EEENSD_IJSA_SA_EEENS0_18inequality_wrapperIZN2at6native12_GLOBAL__N_124unique_dim_cuda_templateIN3c104HalfEEESt5tupleIJNSH_6TensorESO_SO_EERKSO_lbbbEUlllE0_EEPmJS6_EEE10hipError_tPvRmT3_T4_T5_T6_T7_T9_mT8_P12ihipStream_tbDpT10_ENKUlT_T0_E_clISt17integral_constantIbLb1EES1D_IbLb0EEEEDaS19_S1A_EUlS19_E_NS1_11comp_targetILNS1_3genE9ELNS1_11target_archE1100ELNS1_3gpuE3ELNS1_3repE0EEENS1_30default_config_static_selectorELNS0_4arch9wavefront6targetE1EEEvT1_.has_recursion, 0
	.set _ZN7rocprim17ROCPRIM_400000_NS6detail17trampoline_kernelINS0_14default_configENS1_25partition_config_selectorILNS1_17partition_subalgoE8ElNS0_10empty_typeEbEEZZNS1_14partition_implILS5_8ELb0ES3_jPlPS6_PKS6_NS0_5tupleIJS9_S6_EEENSD_IJSA_SA_EEENS0_18inequality_wrapperIZN2at6native12_GLOBAL__N_124unique_dim_cuda_templateIN3c104HalfEEESt5tupleIJNSH_6TensorESO_SO_EERKSO_lbbbEUlllE0_EEPmJS6_EEE10hipError_tPvRmT3_T4_T5_T6_T7_T9_mT8_P12ihipStream_tbDpT10_ENKUlT_T0_E_clISt17integral_constantIbLb1EES1D_IbLb0EEEEDaS19_S1A_EUlS19_E_NS1_11comp_targetILNS1_3genE9ELNS1_11target_archE1100ELNS1_3gpuE3ELNS1_3repE0EEENS1_30default_config_static_selectorELNS0_4arch9wavefront6targetE1EEEvT1_.has_indirect_call, 0
	.section	.AMDGPU.csdata,"",@progbits
; Kernel info:
; codeLenInByte = 0
; TotalNumSgprs: 6
; NumVgprs: 0
; NumAgprs: 0
; TotalNumVgprs: 0
; ScratchSize: 0
; MemoryBound: 0
; FloatMode: 240
; IeeeMode: 1
; LDSByteSize: 0 bytes/workgroup (compile time only)
; SGPRBlocks: 0
; VGPRBlocks: 0
; NumSGPRsForWavesPerEU: 6
; NumVGPRsForWavesPerEU: 1
; AccumOffset: 4
; Occupancy: 8
; WaveLimiterHint : 0
; COMPUTE_PGM_RSRC2:SCRATCH_EN: 0
; COMPUTE_PGM_RSRC2:USER_SGPR: 2
; COMPUTE_PGM_RSRC2:TRAP_HANDLER: 0
; COMPUTE_PGM_RSRC2:TGID_X_EN: 1
; COMPUTE_PGM_RSRC2:TGID_Y_EN: 0
; COMPUTE_PGM_RSRC2:TGID_Z_EN: 0
; COMPUTE_PGM_RSRC2:TIDIG_COMP_CNT: 0
; COMPUTE_PGM_RSRC3_GFX90A:ACCUM_OFFSET: 0
; COMPUTE_PGM_RSRC3_GFX90A:TG_SPLIT: 0
	.section	.text._ZN7rocprim17ROCPRIM_400000_NS6detail17trampoline_kernelINS0_14default_configENS1_25partition_config_selectorILNS1_17partition_subalgoE8ElNS0_10empty_typeEbEEZZNS1_14partition_implILS5_8ELb0ES3_jPlPS6_PKS6_NS0_5tupleIJS9_S6_EEENSD_IJSA_SA_EEENS0_18inequality_wrapperIZN2at6native12_GLOBAL__N_124unique_dim_cuda_templateIN3c104HalfEEESt5tupleIJNSH_6TensorESO_SO_EERKSO_lbbbEUlllE0_EEPmJS6_EEE10hipError_tPvRmT3_T4_T5_T6_T7_T9_mT8_P12ihipStream_tbDpT10_ENKUlT_T0_E_clISt17integral_constantIbLb1EES1D_IbLb0EEEEDaS19_S1A_EUlS19_E_NS1_11comp_targetILNS1_3genE8ELNS1_11target_archE1030ELNS1_3gpuE2ELNS1_3repE0EEENS1_30default_config_static_selectorELNS0_4arch9wavefront6targetE1EEEvT1_,"axG",@progbits,_ZN7rocprim17ROCPRIM_400000_NS6detail17trampoline_kernelINS0_14default_configENS1_25partition_config_selectorILNS1_17partition_subalgoE8ElNS0_10empty_typeEbEEZZNS1_14partition_implILS5_8ELb0ES3_jPlPS6_PKS6_NS0_5tupleIJS9_S6_EEENSD_IJSA_SA_EEENS0_18inequality_wrapperIZN2at6native12_GLOBAL__N_124unique_dim_cuda_templateIN3c104HalfEEESt5tupleIJNSH_6TensorESO_SO_EERKSO_lbbbEUlllE0_EEPmJS6_EEE10hipError_tPvRmT3_T4_T5_T6_T7_T9_mT8_P12ihipStream_tbDpT10_ENKUlT_T0_E_clISt17integral_constantIbLb1EES1D_IbLb0EEEEDaS19_S1A_EUlS19_E_NS1_11comp_targetILNS1_3genE8ELNS1_11target_archE1030ELNS1_3gpuE2ELNS1_3repE0EEENS1_30default_config_static_selectorELNS0_4arch9wavefront6targetE1EEEvT1_,comdat
	.globl	_ZN7rocprim17ROCPRIM_400000_NS6detail17trampoline_kernelINS0_14default_configENS1_25partition_config_selectorILNS1_17partition_subalgoE8ElNS0_10empty_typeEbEEZZNS1_14partition_implILS5_8ELb0ES3_jPlPS6_PKS6_NS0_5tupleIJS9_S6_EEENSD_IJSA_SA_EEENS0_18inequality_wrapperIZN2at6native12_GLOBAL__N_124unique_dim_cuda_templateIN3c104HalfEEESt5tupleIJNSH_6TensorESO_SO_EERKSO_lbbbEUlllE0_EEPmJS6_EEE10hipError_tPvRmT3_T4_T5_T6_T7_T9_mT8_P12ihipStream_tbDpT10_ENKUlT_T0_E_clISt17integral_constantIbLb1EES1D_IbLb0EEEEDaS19_S1A_EUlS19_E_NS1_11comp_targetILNS1_3genE8ELNS1_11target_archE1030ELNS1_3gpuE2ELNS1_3repE0EEENS1_30default_config_static_selectorELNS0_4arch9wavefront6targetE1EEEvT1_ ; -- Begin function _ZN7rocprim17ROCPRIM_400000_NS6detail17trampoline_kernelINS0_14default_configENS1_25partition_config_selectorILNS1_17partition_subalgoE8ElNS0_10empty_typeEbEEZZNS1_14partition_implILS5_8ELb0ES3_jPlPS6_PKS6_NS0_5tupleIJS9_S6_EEENSD_IJSA_SA_EEENS0_18inequality_wrapperIZN2at6native12_GLOBAL__N_124unique_dim_cuda_templateIN3c104HalfEEESt5tupleIJNSH_6TensorESO_SO_EERKSO_lbbbEUlllE0_EEPmJS6_EEE10hipError_tPvRmT3_T4_T5_T6_T7_T9_mT8_P12ihipStream_tbDpT10_ENKUlT_T0_E_clISt17integral_constantIbLb1EES1D_IbLb0EEEEDaS19_S1A_EUlS19_E_NS1_11comp_targetILNS1_3genE8ELNS1_11target_archE1030ELNS1_3gpuE2ELNS1_3repE0EEENS1_30default_config_static_selectorELNS0_4arch9wavefront6targetE1EEEvT1_
	.p2align	8
	.type	_ZN7rocprim17ROCPRIM_400000_NS6detail17trampoline_kernelINS0_14default_configENS1_25partition_config_selectorILNS1_17partition_subalgoE8ElNS0_10empty_typeEbEEZZNS1_14partition_implILS5_8ELb0ES3_jPlPS6_PKS6_NS0_5tupleIJS9_S6_EEENSD_IJSA_SA_EEENS0_18inequality_wrapperIZN2at6native12_GLOBAL__N_124unique_dim_cuda_templateIN3c104HalfEEESt5tupleIJNSH_6TensorESO_SO_EERKSO_lbbbEUlllE0_EEPmJS6_EEE10hipError_tPvRmT3_T4_T5_T6_T7_T9_mT8_P12ihipStream_tbDpT10_ENKUlT_T0_E_clISt17integral_constantIbLb1EES1D_IbLb0EEEEDaS19_S1A_EUlS19_E_NS1_11comp_targetILNS1_3genE8ELNS1_11target_archE1030ELNS1_3gpuE2ELNS1_3repE0EEENS1_30default_config_static_selectorELNS0_4arch9wavefront6targetE1EEEvT1_,@function
_ZN7rocprim17ROCPRIM_400000_NS6detail17trampoline_kernelINS0_14default_configENS1_25partition_config_selectorILNS1_17partition_subalgoE8ElNS0_10empty_typeEbEEZZNS1_14partition_implILS5_8ELb0ES3_jPlPS6_PKS6_NS0_5tupleIJS9_S6_EEENSD_IJSA_SA_EEENS0_18inequality_wrapperIZN2at6native12_GLOBAL__N_124unique_dim_cuda_templateIN3c104HalfEEESt5tupleIJNSH_6TensorESO_SO_EERKSO_lbbbEUlllE0_EEPmJS6_EEE10hipError_tPvRmT3_T4_T5_T6_T7_T9_mT8_P12ihipStream_tbDpT10_ENKUlT_T0_E_clISt17integral_constantIbLb1EES1D_IbLb0EEEEDaS19_S1A_EUlS19_E_NS1_11comp_targetILNS1_3genE8ELNS1_11target_archE1030ELNS1_3gpuE2ELNS1_3repE0EEENS1_30default_config_static_selectorELNS0_4arch9wavefront6targetE1EEEvT1_: ; @_ZN7rocprim17ROCPRIM_400000_NS6detail17trampoline_kernelINS0_14default_configENS1_25partition_config_selectorILNS1_17partition_subalgoE8ElNS0_10empty_typeEbEEZZNS1_14partition_implILS5_8ELb0ES3_jPlPS6_PKS6_NS0_5tupleIJS9_S6_EEENSD_IJSA_SA_EEENS0_18inequality_wrapperIZN2at6native12_GLOBAL__N_124unique_dim_cuda_templateIN3c104HalfEEESt5tupleIJNSH_6TensorESO_SO_EERKSO_lbbbEUlllE0_EEPmJS6_EEE10hipError_tPvRmT3_T4_T5_T6_T7_T9_mT8_P12ihipStream_tbDpT10_ENKUlT_T0_E_clISt17integral_constantIbLb1EES1D_IbLb0EEEEDaS19_S1A_EUlS19_E_NS1_11comp_targetILNS1_3genE8ELNS1_11target_archE1030ELNS1_3gpuE2ELNS1_3repE0EEENS1_30default_config_static_selectorELNS0_4arch9wavefront6targetE1EEEvT1_
; %bb.0:
	.section	.rodata,"a",@progbits
	.p2align	6, 0x0
	.amdhsa_kernel _ZN7rocprim17ROCPRIM_400000_NS6detail17trampoline_kernelINS0_14default_configENS1_25partition_config_selectorILNS1_17partition_subalgoE8ElNS0_10empty_typeEbEEZZNS1_14partition_implILS5_8ELb0ES3_jPlPS6_PKS6_NS0_5tupleIJS9_S6_EEENSD_IJSA_SA_EEENS0_18inequality_wrapperIZN2at6native12_GLOBAL__N_124unique_dim_cuda_templateIN3c104HalfEEESt5tupleIJNSH_6TensorESO_SO_EERKSO_lbbbEUlllE0_EEPmJS6_EEE10hipError_tPvRmT3_T4_T5_T6_T7_T9_mT8_P12ihipStream_tbDpT10_ENKUlT_T0_E_clISt17integral_constantIbLb1EES1D_IbLb0EEEEDaS19_S1A_EUlS19_E_NS1_11comp_targetILNS1_3genE8ELNS1_11target_archE1030ELNS1_3gpuE2ELNS1_3repE0EEENS1_30default_config_static_selectorELNS0_4arch9wavefront6targetE1EEEvT1_
		.amdhsa_group_segment_fixed_size 0
		.amdhsa_private_segment_fixed_size 0
		.amdhsa_kernarg_size 120
		.amdhsa_user_sgpr_count 2
		.amdhsa_user_sgpr_dispatch_ptr 0
		.amdhsa_user_sgpr_queue_ptr 0
		.amdhsa_user_sgpr_kernarg_segment_ptr 1
		.amdhsa_user_sgpr_dispatch_id 0
		.amdhsa_user_sgpr_kernarg_preload_length 0
		.amdhsa_user_sgpr_kernarg_preload_offset 0
		.amdhsa_user_sgpr_private_segment_size 0
		.amdhsa_uses_dynamic_stack 0
		.amdhsa_enable_private_segment 0
		.amdhsa_system_sgpr_workgroup_id_x 1
		.amdhsa_system_sgpr_workgroup_id_y 0
		.amdhsa_system_sgpr_workgroup_id_z 0
		.amdhsa_system_sgpr_workgroup_info 0
		.amdhsa_system_vgpr_workitem_id 0
		.amdhsa_next_free_vgpr 1
		.amdhsa_next_free_sgpr 0
		.amdhsa_accum_offset 4
		.amdhsa_reserve_vcc 0
		.amdhsa_float_round_mode_32 0
		.amdhsa_float_round_mode_16_64 0
		.amdhsa_float_denorm_mode_32 3
		.amdhsa_float_denorm_mode_16_64 3
		.amdhsa_dx10_clamp 1
		.amdhsa_ieee_mode 1
		.amdhsa_fp16_overflow 0
		.amdhsa_tg_split 0
		.amdhsa_exception_fp_ieee_invalid_op 0
		.amdhsa_exception_fp_denorm_src 0
		.amdhsa_exception_fp_ieee_div_zero 0
		.amdhsa_exception_fp_ieee_overflow 0
		.amdhsa_exception_fp_ieee_underflow 0
		.amdhsa_exception_fp_ieee_inexact 0
		.amdhsa_exception_int_div_zero 0
	.end_amdhsa_kernel
	.section	.text._ZN7rocprim17ROCPRIM_400000_NS6detail17trampoline_kernelINS0_14default_configENS1_25partition_config_selectorILNS1_17partition_subalgoE8ElNS0_10empty_typeEbEEZZNS1_14partition_implILS5_8ELb0ES3_jPlPS6_PKS6_NS0_5tupleIJS9_S6_EEENSD_IJSA_SA_EEENS0_18inequality_wrapperIZN2at6native12_GLOBAL__N_124unique_dim_cuda_templateIN3c104HalfEEESt5tupleIJNSH_6TensorESO_SO_EERKSO_lbbbEUlllE0_EEPmJS6_EEE10hipError_tPvRmT3_T4_T5_T6_T7_T9_mT8_P12ihipStream_tbDpT10_ENKUlT_T0_E_clISt17integral_constantIbLb1EES1D_IbLb0EEEEDaS19_S1A_EUlS19_E_NS1_11comp_targetILNS1_3genE8ELNS1_11target_archE1030ELNS1_3gpuE2ELNS1_3repE0EEENS1_30default_config_static_selectorELNS0_4arch9wavefront6targetE1EEEvT1_,"axG",@progbits,_ZN7rocprim17ROCPRIM_400000_NS6detail17trampoline_kernelINS0_14default_configENS1_25partition_config_selectorILNS1_17partition_subalgoE8ElNS0_10empty_typeEbEEZZNS1_14partition_implILS5_8ELb0ES3_jPlPS6_PKS6_NS0_5tupleIJS9_S6_EEENSD_IJSA_SA_EEENS0_18inequality_wrapperIZN2at6native12_GLOBAL__N_124unique_dim_cuda_templateIN3c104HalfEEESt5tupleIJNSH_6TensorESO_SO_EERKSO_lbbbEUlllE0_EEPmJS6_EEE10hipError_tPvRmT3_T4_T5_T6_T7_T9_mT8_P12ihipStream_tbDpT10_ENKUlT_T0_E_clISt17integral_constantIbLb1EES1D_IbLb0EEEEDaS19_S1A_EUlS19_E_NS1_11comp_targetILNS1_3genE8ELNS1_11target_archE1030ELNS1_3gpuE2ELNS1_3repE0EEENS1_30default_config_static_selectorELNS0_4arch9wavefront6targetE1EEEvT1_,comdat
.Lfunc_end1320:
	.size	_ZN7rocprim17ROCPRIM_400000_NS6detail17trampoline_kernelINS0_14default_configENS1_25partition_config_selectorILNS1_17partition_subalgoE8ElNS0_10empty_typeEbEEZZNS1_14partition_implILS5_8ELb0ES3_jPlPS6_PKS6_NS0_5tupleIJS9_S6_EEENSD_IJSA_SA_EEENS0_18inequality_wrapperIZN2at6native12_GLOBAL__N_124unique_dim_cuda_templateIN3c104HalfEEESt5tupleIJNSH_6TensorESO_SO_EERKSO_lbbbEUlllE0_EEPmJS6_EEE10hipError_tPvRmT3_T4_T5_T6_T7_T9_mT8_P12ihipStream_tbDpT10_ENKUlT_T0_E_clISt17integral_constantIbLb1EES1D_IbLb0EEEEDaS19_S1A_EUlS19_E_NS1_11comp_targetILNS1_3genE8ELNS1_11target_archE1030ELNS1_3gpuE2ELNS1_3repE0EEENS1_30default_config_static_selectorELNS0_4arch9wavefront6targetE1EEEvT1_, .Lfunc_end1320-_ZN7rocprim17ROCPRIM_400000_NS6detail17trampoline_kernelINS0_14default_configENS1_25partition_config_selectorILNS1_17partition_subalgoE8ElNS0_10empty_typeEbEEZZNS1_14partition_implILS5_8ELb0ES3_jPlPS6_PKS6_NS0_5tupleIJS9_S6_EEENSD_IJSA_SA_EEENS0_18inequality_wrapperIZN2at6native12_GLOBAL__N_124unique_dim_cuda_templateIN3c104HalfEEESt5tupleIJNSH_6TensorESO_SO_EERKSO_lbbbEUlllE0_EEPmJS6_EEE10hipError_tPvRmT3_T4_T5_T6_T7_T9_mT8_P12ihipStream_tbDpT10_ENKUlT_T0_E_clISt17integral_constantIbLb1EES1D_IbLb0EEEEDaS19_S1A_EUlS19_E_NS1_11comp_targetILNS1_3genE8ELNS1_11target_archE1030ELNS1_3gpuE2ELNS1_3repE0EEENS1_30default_config_static_selectorELNS0_4arch9wavefront6targetE1EEEvT1_
                                        ; -- End function
	.set _ZN7rocprim17ROCPRIM_400000_NS6detail17trampoline_kernelINS0_14default_configENS1_25partition_config_selectorILNS1_17partition_subalgoE8ElNS0_10empty_typeEbEEZZNS1_14partition_implILS5_8ELb0ES3_jPlPS6_PKS6_NS0_5tupleIJS9_S6_EEENSD_IJSA_SA_EEENS0_18inequality_wrapperIZN2at6native12_GLOBAL__N_124unique_dim_cuda_templateIN3c104HalfEEESt5tupleIJNSH_6TensorESO_SO_EERKSO_lbbbEUlllE0_EEPmJS6_EEE10hipError_tPvRmT3_T4_T5_T6_T7_T9_mT8_P12ihipStream_tbDpT10_ENKUlT_T0_E_clISt17integral_constantIbLb1EES1D_IbLb0EEEEDaS19_S1A_EUlS19_E_NS1_11comp_targetILNS1_3genE8ELNS1_11target_archE1030ELNS1_3gpuE2ELNS1_3repE0EEENS1_30default_config_static_selectorELNS0_4arch9wavefront6targetE1EEEvT1_.num_vgpr, 0
	.set _ZN7rocprim17ROCPRIM_400000_NS6detail17trampoline_kernelINS0_14default_configENS1_25partition_config_selectorILNS1_17partition_subalgoE8ElNS0_10empty_typeEbEEZZNS1_14partition_implILS5_8ELb0ES3_jPlPS6_PKS6_NS0_5tupleIJS9_S6_EEENSD_IJSA_SA_EEENS0_18inequality_wrapperIZN2at6native12_GLOBAL__N_124unique_dim_cuda_templateIN3c104HalfEEESt5tupleIJNSH_6TensorESO_SO_EERKSO_lbbbEUlllE0_EEPmJS6_EEE10hipError_tPvRmT3_T4_T5_T6_T7_T9_mT8_P12ihipStream_tbDpT10_ENKUlT_T0_E_clISt17integral_constantIbLb1EES1D_IbLb0EEEEDaS19_S1A_EUlS19_E_NS1_11comp_targetILNS1_3genE8ELNS1_11target_archE1030ELNS1_3gpuE2ELNS1_3repE0EEENS1_30default_config_static_selectorELNS0_4arch9wavefront6targetE1EEEvT1_.num_agpr, 0
	.set _ZN7rocprim17ROCPRIM_400000_NS6detail17trampoline_kernelINS0_14default_configENS1_25partition_config_selectorILNS1_17partition_subalgoE8ElNS0_10empty_typeEbEEZZNS1_14partition_implILS5_8ELb0ES3_jPlPS6_PKS6_NS0_5tupleIJS9_S6_EEENSD_IJSA_SA_EEENS0_18inequality_wrapperIZN2at6native12_GLOBAL__N_124unique_dim_cuda_templateIN3c104HalfEEESt5tupleIJNSH_6TensorESO_SO_EERKSO_lbbbEUlllE0_EEPmJS6_EEE10hipError_tPvRmT3_T4_T5_T6_T7_T9_mT8_P12ihipStream_tbDpT10_ENKUlT_T0_E_clISt17integral_constantIbLb1EES1D_IbLb0EEEEDaS19_S1A_EUlS19_E_NS1_11comp_targetILNS1_3genE8ELNS1_11target_archE1030ELNS1_3gpuE2ELNS1_3repE0EEENS1_30default_config_static_selectorELNS0_4arch9wavefront6targetE1EEEvT1_.numbered_sgpr, 0
	.set _ZN7rocprim17ROCPRIM_400000_NS6detail17trampoline_kernelINS0_14default_configENS1_25partition_config_selectorILNS1_17partition_subalgoE8ElNS0_10empty_typeEbEEZZNS1_14partition_implILS5_8ELb0ES3_jPlPS6_PKS6_NS0_5tupleIJS9_S6_EEENSD_IJSA_SA_EEENS0_18inequality_wrapperIZN2at6native12_GLOBAL__N_124unique_dim_cuda_templateIN3c104HalfEEESt5tupleIJNSH_6TensorESO_SO_EERKSO_lbbbEUlllE0_EEPmJS6_EEE10hipError_tPvRmT3_T4_T5_T6_T7_T9_mT8_P12ihipStream_tbDpT10_ENKUlT_T0_E_clISt17integral_constantIbLb1EES1D_IbLb0EEEEDaS19_S1A_EUlS19_E_NS1_11comp_targetILNS1_3genE8ELNS1_11target_archE1030ELNS1_3gpuE2ELNS1_3repE0EEENS1_30default_config_static_selectorELNS0_4arch9wavefront6targetE1EEEvT1_.num_named_barrier, 0
	.set _ZN7rocprim17ROCPRIM_400000_NS6detail17trampoline_kernelINS0_14default_configENS1_25partition_config_selectorILNS1_17partition_subalgoE8ElNS0_10empty_typeEbEEZZNS1_14partition_implILS5_8ELb0ES3_jPlPS6_PKS6_NS0_5tupleIJS9_S6_EEENSD_IJSA_SA_EEENS0_18inequality_wrapperIZN2at6native12_GLOBAL__N_124unique_dim_cuda_templateIN3c104HalfEEESt5tupleIJNSH_6TensorESO_SO_EERKSO_lbbbEUlllE0_EEPmJS6_EEE10hipError_tPvRmT3_T4_T5_T6_T7_T9_mT8_P12ihipStream_tbDpT10_ENKUlT_T0_E_clISt17integral_constantIbLb1EES1D_IbLb0EEEEDaS19_S1A_EUlS19_E_NS1_11comp_targetILNS1_3genE8ELNS1_11target_archE1030ELNS1_3gpuE2ELNS1_3repE0EEENS1_30default_config_static_selectorELNS0_4arch9wavefront6targetE1EEEvT1_.private_seg_size, 0
	.set _ZN7rocprim17ROCPRIM_400000_NS6detail17trampoline_kernelINS0_14default_configENS1_25partition_config_selectorILNS1_17partition_subalgoE8ElNS0_10empty_typeEbEEZZNS1_14partition_implILS5_8ELb0ES3_jPlPS6_PKS6_NS0_5tupleIJS9_S6_EEENSD_IJSA_SA_EEENS0_18inequality_wrapperIZN2at6native12_GLOBAL__N_124unique_dim_cuda_templateIN3c104HalfEEESt5tupleIJNSH_6TensorESO_SO_EERKSO_lbbbEUlllE0_EEPmJS6_EEE10hipError_tPvRmT3_T4_T5_T6_T7_T9_mT8_P12ihipStream_tbDpT10_ENKUlT_T0_E_clISt17integral_constantIbLb1EES1D_IbLb0EEEEDaS19_S1A_EUlS19_E_NS1_11comp_targetILNS1_3genE8ELNS1_11target_archE1030ELNS1_3gpuE2ELNS1_3repE0EEENS1_30default_config_static_selectorELNS0_4arch9wavefront6targetE1EEEvT1_.uses_vcc, 0
	.set _ZN7rocprim17ROCPRIM_400000_NS6detail17trampoline_kernelINS0_14default_configENS1_25partition_config_selectorILNS1_17partition_subalgoE8ElNS0_10empty_typeEbEEZZNS1_14partition_implILS5_8ELb0ES3_jPlPS6_PKS6_NS0_5tupleIJS9_S6_EEENSD_IJSA_SA_EEENS0_18inequality_wrapperIZN2at6native12_GLOBAL__N_124unique_dim_cuda_templateIN3c104HalfEEESt5tupleIJNSH_6TensorESO_SO_EERKSO_lbbbEUlllE0_EEPmJS6_EEE10hipError_tPvRmT3_T4_T5_T6_T7_T9_mT8_P12ihipStream_tbDpT10_ENKUlT_T0_E_clISt17integral_constantIbLb1EES1D_IbLb0EEEEDaS19_S1A_EUlS19_E_NS1_11comp_targetILNS1_3genE8ELNS1_11target_archE1030ELNS1_3gpuE2ELNS1_3repE0EEENS1_30default_config_static_selectorELNS0_4arch9wavefront6targetE1EEEvT1_.uses_flat_scratch, 0
	.set _ZN7rocprim17ROCPRIM_400000_NS6detail17trampoline_kernelINS0_14default_configENS1_25partition_config_selectorILNS1_17partition_subalgoE8ElNS0_10empty_typeEbEEZZNS1_14partition_implILS5_8ELb0ES3_jPlPS6_PKS6_NS0_5tupleIJS9_S6_EEENSD_IJSA_SA_EEENS0_18inequality_wrapperIZN2at6native12_GLOBAL__N_124unique_dim_cuda_templateIN3c104HalfEEESt5tupleIJNSH_6TensorESO_SO_EERKSO_lbbbEUlllE0_EEPmJS6_EEE10hipError_tPvRmT3_T4_T5_T6_T7_T9_mT8_P12ihipStream_tbDpT10_ENKUlT_T0_E_clISt17integral_constantIbLb1EES1D_IbLb0EEEEDaS19_S1A_EUlS19_E_NS1_11comp_targetILNS1_3genE8ELNS1_11target_archE1030ELNS1_3gpuE2ELNS1_3repE0EEENS1_30default_config_static_selectorELNS0_4arch9wavefront6targetE1EEEvT1_.has_dyn_sized_stack, 0
	.set _ZN7rocprim17ROCPRIM_400000_NS6detail17trampoline_kernelINS0_14default_configENS1_25partition_config_selectorILNS1_17partition_subalgoE8ElNS0_10empty_typeEbEEZZNS1_14partition_implILS5_8ELb0ES3_jPlPS6_PKS6_NS0_5tupleIJS9_S6_EEENSD_IJSA_SA_EEENS0_18inequality_wrapperIZN2at6native12_GLOBAL__N_124unique_dim_cuda_templateIN3c104HalfEEESt5tupleIJNSH_6TensorESO_SO_EERKSO_lbbbEUlllE0_EEPmJS6_EEE10hipError_tPvRmT3_T4_T5_T6_T7_T9_mT8_P12ihipStream_tbDpT10_ENKUlT_T0_E_clISt17integral_constantIbLb1EES1D_IbLb0EEEEDaS19_S1A_EUlS19_E_NS1_11comp_targetILNS1_3genE8ELNS1_11target_archE1030ELNS1_3gpuE2ELNS1_3repE0EEENS1_30default_config_static_selectorELNS0_4arch9wavefront6targetE1EEEvT1_.has_recursion, 0
	.set _ZN7rocprim17ROCPRIM_400000_NS6detail17trampoline_kernelINS0_14default_configENS1_25partition_config_selectorILNS1_17partition_subalgoE8ElNS0_10empty_typeEbEEZZNS1_14partition_implILS5_8ELb0ES3_jPlPS6_PKS6_NS0_5tupleIJS9_S6_EEENSD_IJSA_SA_EEENS0_18inequality_wrapperIZN2at6native12_GLOBAL__N_124unique_dim_cuda_templateIN3c104HalfEEESt5tupleIJNSH_6TensorESO_SO_EERKSO_lbbbEUlllE0_EEPmJS6_EEE10hipError_tPvRmT3_T4_T5_T6_T7_T9_mT8_P12ihipStream_tbDpT10_ENKUlT_T0_E_clISt17integral_constantIbLb1EES1D_IbLb0EEEEDaS19_S1A_EUlS19_E_NS1_11comp_targetILNS1_3genE8ELNS1_11target_archE1030ELNS1_3gpuE2ELNS1_3repE0EEENS1_30default_config_static_selectorELNS0_4arch9wavefront6targetE1EEEvT1_.has_indirect_call, 0
	.section	.AMDGPU.csdata,"",@progbits
; Kernel info:
; codeLenInByte = 0
; TotalNumSgprs: 6
; NumVgprs: 0
; NumAgprs: 0
; TotalNumVgprs: 0
; ScratchSize: 0
; MemoryBound: 0
; FloatMode: 240
; IeeeMode: 1
; LDSByteSize: 0 bytes/workgroup (compile time only)
; SGPRBlocks: 0
; VGPRBlocks: 0
; NumSGPRsForWavesPerEU: 6
; NumVGPRsForWavesPerEU: 1
; AccumOffset: 4
; Occupancy: 8
; WaveLimiterHint : 0
; COMPUTE_PGM_RSRC2:SCRATCH_EN: 0
; COMPUTE_PGM_RSRC2:USER_SGPR: 2
; COMPUTE_PGM_RSRC2:TRAP_HANDLER: 0
; COMPUTE_PGM_RSRC2:TGID_X_EN: 1
; COMPUTE_PGM_RSRC2:TGID_Y_EN: 0
; COMPUTE_PGM_RSRC2:TGID_Z_EN: 0
; COMPUTE_PGM_RSRC2:TIDIG_COMP_CNT: 0
; COMPUTE_PGM_RSRC3_GFX90A:ACCUM_OFFSET: 0
; COMPUTE_PGM_RSRC3_GFX90A:TG_SPLIT: 0
	.section	.text._ZN7rocprim17ROCPRIM_400000_NS6detail17trampoline_kernelINS0_14default_configENS1_25partition_config_selectorILNS1_17partition_subalgoE8ElNS0_10empty_typeEbEEZZNS1_14partition_implILS5_8ELb0ES3_jPlPS6_PKS6_NS0_5tupleIJS9_S6_EEENSD_IJSA_SA_EEENS0_18inequality_wrapperIZN2at6native12_GLOBAL__N_124unique_dim_cuda_templateIN3c104HalfEEESt5tupleIJNSH_6TensorESO_SO_EERKSO_lbbbEUlllE0_EEPmJS6_EEE10hipError_tPvRmT3_T4_T5_T6_T7_T9_mT8_P12ihipStream_tbDpT10_ENKUlT_T0_E_clISt17integral_constantIbLb0EES1D_IbLb1EEEEDaS19_S1A_EUlS19_E_NS1_11comp_targetILNS1_3genE0ELNS1_11target_archE4294967295ELNS1_3gpuE0ELNS1_3repE0EEENS1_30default_config_static_selectorELNS0_4arch9wavefront6targetE1EEEvT1_,"axG",@progbits,_ZN7rocprim17ROCPRIM_400000_NS6detail17trampoline_kernelINS0_14default_configENS1_25partition_config_selectorILNS1_17partition_subalgoE8ElNS0_10empty_typeEbEEZZNS1_14partition_implILS5_8ELb0ES3_jPlPS6_PKS6_NS0_5tupleIJS9_S6_EEENSD_IJSA_SA_EEENS0_18inequality_wrapperIZN2at6native12_GLOBAL__N_124unique_dim_cuda_templateIN3c104HalfEEESt5tupleIJNSH_6TensorESO_SO_EERKSO_lbbbEUlllE0_EEPmJS6_EEE10hipError_tPvRmT3_T4_T5_T6_T7_T9_mT8_P12ihipStream_tbDpT10_ENKUlT_T0_E_clISt17integral_constantIbLb0EES1D_IbLb1EEEEDaS19_S1A_EUlS19_E_NS1_11comp_targetILNS1_3genE0ELNS1_11target_archE4294967295ELNS1_3gpuE0ELNS1_3repE0EEENS1_30default_config_static_selectorELNS0_4arch9wavefront6targetE1EEEvT1_,comdat
	.globl	_ZN7rocprim17ROCPRIM_400000_NS6detail17trampoline_kernelINS0_14default_configENS1_25partition_config_selectorILNS1_17partition_subalgoE8ElNS0_10empty_typeEbEEZZNS1_14partition_implILS5_8ELb0ES3_jPlPS6_PKS6_NS0_5tupleIJS9_S6_EEENSD_IJSA_SA_EEENS0_18inequality_wrapperIZN2at6native12_GLOBAL__N_124unique_dim_cuda_templateIN3c104HalfEEESt5tupleIJNSH_6TensorESO_SO_EERKSO_lbbbEUlllE0_EEPmJS6_EEE10hipError_tPvRmT3_T4_T5_T6_T7_T9_mT8_P12ihipStream_tbDpT10_ENKUlT_T0_E_clISt17integral_constantIbLb0EES1D_IbLb1EEEEDaS19_S1A_EUlS19_E_NS1_11comp_targetILNS1_3genE0ELNS1_11target_archE4294967295ELNS1_3gpuE0ELNS1_3repE0EEENS1_30default_config_static_selectorELNS0_4arch9wavefront6targetE1EEEvT1_ ; -- Begin function _ZN7rocprim17ROCPRIM_400000_NS6detail17trampoline_kernelINS0_14default_configENS1_25partition_config_selectorILNS1_17partition_subalgoE8ElNS0_10empty_typeEbEEZZNS1_14partition_implILS5_8ELb0ES3_jPlPS6_PKS6_NS0_5tupleIJS9_S6_EEENSD_IJSA_SA_EEENS0_18inequality_wrapperIZN2at6native12_GLOBAL__N_124unique_dim_cuda_templateIN3c104HalfEEESt5tupleIJNSH_6TensorESO_SO_EERKSO_lbbbEUlllE0_EEPmJS6_EEE10hipError_tPvRmT3_T4_T5_T6_T7_T9_mT8_P12ihipStream_tbDpT10_ENKUlT_T0_E_clISt17integral_constantIbLb0EES1D_IbLb1EEEEDaS19_S1A_EUlS19_E_NS1_11comp_targetILNS1_3genE0ELNS1_11target_archE4294967295ELNS1_3gpuE0ELNS1_3repE0EEENS1_30default_config_static_selectorELNS0_4arch9wavefront6targetE1EEEvT1_
	.p2align	8
	.type	_ZN7rocprim17ROCPRIM_400000_NS6detail17trampoline_kernelINS0_14default_configENS1_25partition_config_selectorILNS1_17partition_subalgoE8ElNS0_10empty_typeEbEEZZNS1_14partition_implILS5_8ELb0ES3_jPlPS6_PKS6_NS0_5tupleIJS9_S6_EEENSD_IJSA_SA_EEENS0_18inequality_wrapperIZN2at6native12_GLOBAL__N_124unique_dim_cuda_templateIN3c104HalfEEESt5tupleIJNSH_6TensorESO_SO_EERKSO_lbbbEUlllE0_EEPmJS6_EEE10hipError_tPvRmT3_T4_T5_T6_T7_T9_mT8_P12ihipStream_tbDpT10_ENKUlT_T0_E_clISt17integral_constantIbLb0EES1D_IbLb1EEEEDaS19_S1A_EUlS19_E_NS1_11comp_targetILNS1_3genE0ELNS1_11target_archE4294967295ELNS1_3gpuE0ELNS1_3repE0EEENS1_30default_config_static_selectorELNS0_4arch9wavefront6targetE1EEEvT1_,@function
_ZN7rocprim17ROCPRIM_400000_NS6detail17trampoline_kernelINS0_14default_configENS1_25partition_config_selectorILNS1_17partition_subalgoE8ElNS0_10empty_typeEbEEZZNS1_14partition_implILS5_8ELb0ES3_jPlPS6_PKS6_NS0_5tupleIJS9_S6_EEENSD_IJSA_SA_EEENS0_18inequality_wrapperIZN2at6native12_GLOBAL__N_124unique_dim_cuda_templateIN3c104HalfEEESt5tupleIJNSH_6TensorESO_SO_EERKSO_lbbbEUlllE0_EEPmJS6_EEE10hipError_tPvRmT3_T4_T5_T6_T7_T9_mT8_P12ihipStream_tbDpT10_ENKUlT_T0_E_clISt17integral_constantIbLb0EES1D_IbLb1EEEEDaS19_S1A_EUlS19_E_NS1_11comp_targetILNS1_3genE0ELNS1_11target_archE4294967295ELNS1_3gpuE0ELNS1_3repE0EEENS1_30default_config_static_selectorELNS0_4arch9wavefront6targetE1EEEvT1_: ; @_ZN7rocprim17ROCPRIM_400000_NS6detail17trampoline_kernelINS0_14default_configENS1_25partition_config_selectorILNS1_17partition_subalgoE8ElNS0_10empty_typeEbEEZZNS1_14partition_implILS5_8ELb0ES3_jPlPS6_PKS6_NS0_5tupleIJS9_S6_EEENSD_IJSA_SA_EEENS0_18inequality_wrapperIZN2at6native12_GLOBAL__N_124unique_dim_cuda_templateIN3c104HalfEEESt5tupleIJNSH_6TensorESO_SO_EERKSO_lbbbEUlllE0_EEPmJS6_EEE10hipError_tPvRmT3_T4_T5_T6_T7_T9_mT8_P12ihipStream_tbDpT10_ENKUlT_T0_E_clISt17integral_constantIbLb0EES1D_IbLb1EEEEDaS19_S1A_EUlS19_E_NS1_11comp_targetILNS1_3genE0ELNS1_11target_archE4294967295ELNS1_3gpuE0ELNS1_3repE0EEENS1_30default_config_static_selectorELNS0_4arch9wavefront6targetE1EEEvT1_
; %bb.0:
	s_load_dwordx2 s[34:35], s[0:1], 0x28
	s_load_dwordx8 s[20:27], s[0:1], 0x40
	s_load_dwordx4 s[28:31], s[0:1], 0x60
	v_cmp_ne_u32_e64 s[2:3], 0, v0
	v_cmp_eq_u32_e64 s[18:19], 0, v0
	s_and_saveexec_b64 s[4:5], s[18:19]
	s_cbranch_execz .LBB1321_4
; %bb.1:
	s_mov_b64 s[8:9], exec
	v_mbcnt_lo_u32_b32 v1, s8, 0
	v_mbcnt_hi_u32_b32 v1, s9, v1
	v_cmp_eq_u32_e32 vcc, 0, v1
                                        ; implicit-def: $vgpr2
	s_and_saveexec_b64 s[6:7], vcc
	s_cbranch_execz .LBB1321_3
; %bb.2:
	s_load_dwordx2 s[10:11], s[0:1], 0x78
	s_bcnt1_i32_b64 s8, s[8:9]
	v_mov_b32_e32 v2, 0
	v_mov_b32_e32 v3, s8
	s_waitcnt lgkmcnt(0)
	global_atomic_add v2, v2, v3, s[10:11] sc0
.LBB1321_3:
	s_or_b64 exec, exec, s[6:7]
	s_waitcnt vmcnt(0)
	v_readfirstlane_b32 s6, v2
	v_mov_b32_e32 v2, 0
	s_nop 0
	v_add_u32_e32 v1, s6, v1
	ds_write_b32 v2, v1
.LBB1321_4:
	s_or_b64 exec, exec, s[4:5]
	v_mov_b32_e32 v3, 0
	s_load_dwordx4 s[4:7], s[0:1], 0x8
	s_load_dword s8, s[0:1], 0x70
	s_waitcnt lgkmcnt(0)
	s_barrier
	ds_read_b32 v1, v3
	s_waitcnt lgkmcnt(0)
	s_barrier
	global_load_dwordx2 v[4:5], v3, s[22:23]
	s_lshl_b64 s[10:11], s[6:7], 3
	s_mul_i32 s9, s8, 0xe00
	s_add_u32 s4, s4, s10
	s_addc_u32 s5, s5, s11
	s_add_i32 s10, s8, -1
	s_add_i32 s8, s9, s6
	s_sub_i32 s50, s24, s8
	s_add_u32 s8, s6, s9
	s_addc_u32 s9, s7, 0
	v_readfirstlane_b32 s33, v1
	v_mov_b64_e32 v[6:7], s[8:9]
	s_cmp_eq_u32 s33, s10
	s_movk_i32 s12, 0xe00
	v_cmp_le_u64_e32 vcc, s[24:25], v[6:7]
	s_cselect_b64 s[24:25], -1, 0
	v_mul_lo_u32 v2, v1, s12
	s_and_b64 s[8:9], vcc, s[24:25]
	v_lshlrev_b64 v[6:7], 3, v[2:3]
	s_xor_b64 s[36:37], s[8:9], -1
	s_mov_b64 s[0:1], -1
	v_lshlrev_b32_e32 v18, 3, v0
	v_lshl_add_u64 v[20:21], s[4:5], 0, v[6:7]
	s_and_b64 vcc, exec, s[36:37]
	s_waitcnt vmcnt(0)
	v_readfirstlane_b32 s22, v4
	v_readfirstlane_b32 s23, v5
	s_cbranch_vccz .LBB1321_6
; %bb.5:
	v_lshlrev_b32_e32 v2, 3, v0
	v_lshl_add_u64 v[4:5], v[20:21], 0, v[2:3]
	v_add_co_u32_e32 v8, vcc, 0x1000, v4
	v_readfirstlane_b32 s0, v20
	s_nop 0
	v_addc_co_u32_e32 v9, vcc, 0, v5, vcc
	v_add_co_u32_e32 v10, vcc, 0x2000, v4
	v_readfirstlane_b32 s1, v21
	s_nop 0
	v_addc_co_u32_e32 v11, vcc, 0, v5, vcc
	v_add_co_u32_e32 v12, vcc, 0x3000, v4
	s_nop 1
	v_addc_co_u32_e32 v13, vcc, 0, v5, vcc
	v_add_co_u32_e32 v14, vcc, 0x4000, v4
	global_load_dwordx2 v[6:7], v2, s[0:1]
	s_nop 0
	v_addc_co_u32_e32 v15, vcc, 0, v5, vcc
	global_load_dwordx2 v[16:17], v[8:9], off
	global_load_dwordx2 v[22:23], v[10:11], off
	;; [unrolled: 1-line block ×4, first 2 shown]
	v_add_co_u32_e32 v8, vcc, 0x5000, v4
	s_mov_b64 s[0:1], 0
	s_nop 0
	v_addc_co_u32_e32 v9, vcc, 0, v5, vcc
	v_add_co_u32_e32 v4, vcc, 0x6000, v4
	s_nop 1
	v_addc_co_u32_e32 v5, vcc, 0, v5, vcc
	global_load_dwordx2 v[10:11], v[8:9], off
	global_load_dwordx2 v[12:13], v[4:5], off
	s_waitcnt vmcnt(5)
	ds_write2st64_b64 v2, v[6:7], v[16:17] offset1:8
	s_waitcnt vmcnt(3)
	ds_write2st64_b64 v2, v[22:23], v[24:25] offset0:16 offset1:24
	s_waitcnt vmcnt(1)
	ds_write2st64_b64 v2, v[26:27], v[10:11] offset0:32 offset1:40
	s_waitcnt vmcnt(0)
	ds_write_b64 v2, v[12:13] offset:24576
	s_waitcnt lgkmcnt(0)
	s_barrier
.LBB1321_6:
	s_andn2_b64 vcc, exec, s[0:1]
	s_addk_i32 s50, 0xe00
	s_cbranch_vccnz .LBB1321_22
; %bb.7:
	v_mov_b32_e32 v2, 0
	v_cmp_gt_u32_e32 vcc, s50, v0
	v_mov_b32_e32 v3, v2
	v_mov_b32_e32 v4, v2
	v_mov_b32_e32 v5, v2
	v_mov_b32_e32 v6, v2
	v_mov_b32_e32 v7, v2
	v_mov_b32_e32 v8, v2
	v_mov_b32_e32 v9, v2
	v_mov_b32_e32 v10, v2
	v_mov_b32_e32 v11, v2
	v_mov_b32_e32 v12, v2
	v_mov_b32_e32 v13, v2
	v_mov_b32_e32 v14, v2
	v_mov_b32_e32 v15, v2
	s_and_saveexec_b64 s[0:1], vcc
	s_cbranch_execz .LBB1321_9
; %bb.8:
	v_lshlrev_b32_e32 v1, 3, v0
	v_readfirstlane_b32 s4, v20
	v_readfirstlane_b32 s5, v21
	v_mov_b32_e32 v6, v2
	v_mov_b32_e32 v7, v2
	;; [unrolled: 1-line block ×5, first 2 shown]
	global_load_dwordx2 v[4:5], v1, s[4:5]
	v_mov_b32_e32 v11, v2
	v_mov_b32_e32 v12, v2
	;; [unrolled: 1-line block ×7, first 2 shown]
	s_waitcnt vmcnt(0)
	v_mov_b64_e32 v[2:3], v[4:5]
	v_mov_b64_e32 v[4:5], v[6:7]
	v_mov_b64_e32 v[6:7], v[8:9]
	v_mov_b64_e32 v[8:9], v[10:11]
	v_mov_b64_e32 v[10:11], v[12:13]
	v_mov_b64_e32 v[12:13], v[14:15]
	v_mov_b64_e32 v[14:15], v[16:17]
	v_mov_b64_e32 v[16:17], v[18:19]
.LBB1321_9:
	s_or_b64 exec, exec, s[0:1]
	v_or_b32_e32 v1, 0x200, v0
	v_cmp_gt_u32_e32 vcc, s50, v1
	s_and_saveexec_b64 s[0:1], vcc
	s_cbranch_execz .LBB1321_11
; %bb.10:
	v_lshlrev_b32_e32 v1, 3, v1
	v_readfirstlane_b32 s4, v20
	v_readfirstlane_b32 s5, v21
	s_nop 4
	global_load_dwordx2 v[4:5], v1, s[4:5]
.LBB1321_11:
	s_or_b64 exec, exec, s[0:1]
	v_or_b32_e32 v1, 0x400, v0
	v_cmp_gt_u32_e32 vcc, s50, v1
	s_and_saveexec_b64 s[0:1], vcc
	s_cbranch_execz .LBB1321_13
; %bb.12:
	v_lshlrev_b32_e32 v1, 3, v1
	v_readfirstlane_b32 s4, v20
	v_readfirstlane_b32 s5, v21
	s_nop 4
	global_load_dwordx2 v[6:7], v1, s[4:5]
.LBB1321_13:
	;; [unrolled: 12-line block ×6, first 2 shown]
	s_or_b64 exec, exec, s[0:1]
	v_lshlrev_b32_e32 v1, 3, v0
	s_waitcnt vmcnt(0)
	ds_write2st64_b64 v1, v[2:3], v[4:5] offset1:8
	ds_write2st64_b64 v1, v[6:7], v[8:9] offset0:16 offset1:24
	ds_write2st64_b64 v1, v[10:11], v[12:13] offset0:32 offset1:40
	ds_write_b64 v1, v[14:15] offset:24576
	s_waitcnt lgkmcnt(0)
	s_barrier
.LBB1321_22:
	v_mul_u32_u24_e32 v1, 7, v0
	v_lshlrev_b32_e32 v26, 3, v1
	ds_read2_b64 v[10:13], v26 offset1:1
	ds_read2_b64 v[6:9], v26 offset0:2 offset1:3
	ds_read2_b64 v[2:5], v26 offset0:4 offset1:5
	ds_read_b64 v[14:15], v26 offset:48
	s_cmp_lg_u32 s33, 0
	s_cselect_b64 s[16:17], -1, 0
	s_cmp_lg_u64 s[6:7], 0
	s_cselect_b64 s[0:1], -1, 0
	s_or_b64 s[0:1], s[0:1], s[16:17]
	s_mov_b64 s[10:11], 0
	s_and_b64 vcc, exec, s[0:1]
	v_cmp_gt_i64_e64 s[4:5], s[26:27], 0
	s_waitcnt lgkmcnt(0)
	s_barrier
	s_cbranch_vccz .LBB1321_38
; %bb.23:
	global_load_dwordx2 v[20:21], v[20:21], off offset:-8
	v_cndmask_b32_e64 v16, 0, 1, s[4:5]
	v_lshlrev_b32_e32 v27, 3, v0
	s_mov_b64 s[0:1], 0
	s_and_b64 vcc, exec, s[36:37]
	v_cmp_ne_u32_e64 s[4:5], 1, v16
	ds_write_b64 v27, v[14:15]
	s_cbranch_vccz .LBB1321_40
; %bb.24:
	s_and_b64 vcc, exec, s[4:5]
	s_cbranch_vccnz .LBB1321_41
; %bb.25:
	v_mul_lo_u32 v19, v5, s26
	v_mul_lo_u32 v22, v4, s27
	v_mad_u64_u32 v[16:17], s[0:1], v4, s26, 0
	v_add3_u32 v17, v17, v22, v19
	v_mul_lo_u32 v19, v15, s26
	v_mul_lo_u32 v24, v14, s27
	v_mad_u64_u32 v[22:23], s[0:1], v14, s26, 0
	s_add_u32 s10, s26, -1
	v_lshl_add_u64 v[16:17], v[16:17], 1, s[28:29]
	v_add3_u32 v23, v23, v24, v19
	s_addc_u32 s11, s27, -1
	v_lshl_add_u64 v[22:23], v[22:23], 1, s[28:29]
	s_mov_b64 s[12:13], 0
	s_mov_b64 s[14:15], s[10:11]
	v_mov_b64_e32 v[24:25], v[16:17]
                                        ; implicit-def: $sgpr6_sgpr7
.LBB1321_26:                            ; =>This Inner Loop Header: Depth=1
	global_load_ushort v19, v[24:25], off
	global_load_ushort v28, v[22:23], off
	s_add_u32 s0, s14, -1
	s_addc_u32 s1, s15, -1
	s_cmp_eq_u64 s[14:15], 0
	s_mov_b64 s[14:15], s[0:1]
	s_cselect_b64 s[38:39], -1, 0
	v_lshl_add_u64 v[24:25], v[24:25], 0, 2
	v_lshl_add_u64 v[22:23], v[22:23], 0, 2
	s_waitcnt vmcnt(0)
	v_cmp_neq_f16_e64 s[0:1], v19, v28
	s_or_b64 s[0:1], s[0:1], s[38:39]
	s_and_b64 s[0:1], exec, s[0:1]
	v_cmp_eq_f16_e32 vcc, v19, v28
	s_or_b64 s[12:13], s[0:1], s[12:13]
	s_andn2_b64 s[0:1], s[6:7], exec
	s_and_b64 s[6:7], vcc, exec
	s_or_b64 s[6:7], s[0:1], s[6:7]
	s_andn2_b64 exec, exec, s[12:13]
	s_cbranch_execnz .LBB1321_26
; %bb.27:
	s_or_b64 exec, exec, s[12:13]
	v_mul_lo_u32 v19, v3, s26
	v_mul_lo_u32 v24, v2, s27
	v_mad_u64_u32 v[22:23], s[0:1], v2, s26, 0
	v_add3_u32 v23, v23, v24, v19
	v_lshl_add_u64 v[22:23], v[22:23], 1, s[28:29]
	s_mov_b64 s[14:15], 0
	s_mov_b64 s[38:39], s[10:11]
	v_mov_b64_e32 v[24:25], v[22:23]
                                        ; implicit-def: $sgpr12_sgpr13
.LBB1321_28:                            ; =>This Inner Loop Header: Depth=1
	global_load_ushort v19, v[24:25], off
	global_load_ushort v28, v[16:17], off
	s_add_u32 s0, s38, -1
	s_addc_u32 s1, s39, -1
	s_cmp_eq_u64 s[38:39], 0
	s_mov_b64 s[38:39], s[0:1]
	s_cselect_b64 s[40:41], -1, 0
	v_lshl_add_u64 v[24:25], v[24:25], 0, 2
	v_lshl_add_u64 v[16:17], v[16:17], 0, 2
	s_waitcnt vmcnt(0)
	v_cmp_neq_f16_e64 s[0:1], v19, v28
	s_or_b64 s[0:1], s[0:1], s[40:41]
	s_and_b64 s[0:1], exec, s[0:1]
	v_cmp_eq_f16_e32 vcc, v19, v28
	s_or_b64 s[14:15], s[0:1], s[14:15]
	s_andn2_b64 s[0:1], s[12:13], exec
	s_and_b64 s[12:13], vcc, exec
	s_or_b64 s[12:13], s[0:1], s[12:13]
	s_andn2_b64 exec, exec, s[14:15]
	s_cbranch_execnz .LBB1321_28
; %bb.29:
	s_or_b64 exec, exec, s[14:15]
	v_mul_lo_u32 v19, v9, s26
	v_mul_lo_u32 v24, v8, s27
	v_mad_u64_u32 v[16:17], s[0:1], v8, s26, 0
	v_add3_u32 v17, v17, v24, v19
	v_lshl_add_u64 v[16:17], v[16:17], 1, s[28:29]
	s_mov_b64 s[38:39], 0
	s_mov_b64 s[40:41], s[10:11]
	v_mov_b64_e32 v[24:25], v[16:17]
                                        ; implicit-def: $sgpr14_sgpr15
.LBB1321_30:                            ; =>This Inner Loop Header: Depth=1
	global_load_ushort v19, v[24:25], off
	global_load_ushort v28, v[22:23], off
	s_add_u32 s0, s40, -1
	s_addc_u32 s1, s41, -1
	s_cmp_eq_u64 s[40:41], 0
	s_mov_b64 s[40:41], s[0:1]
	s_cselect_b64 s[42:43], -1, 0
	v_lshl_add_u64 v[24:25], v[24:25], 0, 2
	v_lshl_add_u64 v[22:23], v[22:23], 0, 2
	s_waitcnt vmcnt(0)
	v_cmp_neq_f16_e64 s[0:1], v19, v28
	s_or_b64 s[0:1], s[0:1], s[42:43]
	s_and_b64 s[0:1], exec, s[0:1]
	v_cmp_eq_f16_e32 vcc, v19, v28
	s_or_b64 s[38:39], s[0:1], s[38:39]
	s_andn2_b64 s[0:1], s[14:15], exec
	s_and_b64 s[14:15], vcc, exec
	s_or_b64 s[14:15], s[0:1], s[14:15]
	s_andn2_b64 exec, exec, s[38:39]
	s_cbranch_execnz .LBB1321_30
; %bb.31:
	s_or_b64 exec, exec, s[38:39]
	v_mul_lo_u32 v19, v7, s26
	v_mul_lo_u32 v24, v6, s27
	v_mad_u64_u32 v[22:23], s[0:1], v6, s26, 0
	v_add3_u32 v23, v23, v24, v19
	v_lshl_add_u64 v[22:23], v[22:23], 1, s[28:29]
	s_mov_b64 s[40:41], 0
	s_mov_b64 s[42:43], s[10:11]
	v_mov_b64_e32 v[24:25], v[22:23]
                                        ; implicit-def: $sgpr38_sgpr39
.LBB1321_32:                            ; =>This Inner Loop Header: Depth=1
	global_load_ushort v19, v[24:25], off
	global_load_ushort v28, v[16:17], off
	s_add_u32 s0, s42, -1
	s_addc_u32 s1, s43, -1
	s_cmp_eq_u64 s[42:43], 0
	s_mov_b64 s[42:43], s[0:1]
	s_cselect_b64 s[44:45], -1, 0
	v_lshl_add_u64 v[24:25], v[24:25], 0, 2
	v_lshl_add_u64 v[16:17], v[16:17], 0, 2
	s_waitcnt vmcnt(0)
	v_cmp_neq_f16_e64 s[0:1], v19, v28
	s_or_b64 s[0:1], s[0:1], s[44:45]
	s_and_b64 s[0:1], exec, s[0:1]
	v_cmp_eq_f16_e32 vcc, v19, v28
	s_or_b64 s[40:41], s[0:1], s[40:41]
	s_andn2_b64 s[0:1], s[38:39], exec
	s_and_b64 s[38:39], vcc, exec
	s_or_b64 s[38:39], s[0:1], s[38:39]
	s_andn2_b64 exec, exec, s[40:41]
	s_cbranch_execnz .LBB1321_32
; %bb.33:
	s_or_b64 exec, exec, s[40:41]
	v_mul_lo_u32 v19, v13, s26
	v_mul_lo_u32 v24, v12, s27
	v_mad_u64_u32 v[16:17], s[0:1], v12, s26, 0
	v_add3_u32 v17, v17, v24, v19
	v_lshl_add_u64 v[16:17], v[16:17], 1, s[28:29]
	s_mov_b64 s[42:43], 0
	s_mov_b64 s[44:45], s[10:11]
	v_mov_b64_e32 v[24:25], v[16:17]
                                        ; implicit-def: $sgpr40_sgpr41
.LBB1321_34:                            ; =>This Inner Loop Header: Depth=1
	global_load_ushort v19, v[24:25], off
	global_load_ushort v28, v[22:23], off
	s_add_u32 s0, s44, -1
	s_addc_u32 s1, s45, -1
	s_cmp_eq_u64 s[44:45], 0
	s_mov_b64 s[44:45], s[0:1]
	s_cselect_b64 s[46:47], -1, 0
	v_lshl_add_u64 v[24:25], v[24:25], 0, 2
	v_lshl_add_u64 v[22:23], v[22:23], 0, 2
	s_waitcnt vmcnt(0)
	v_cmp_neq_f16_e64 s[0:1], v19, v28
	s_or_b64 s[0:1], s[0:1], s[46:47]
	s_and_b64 s[0:1], exec, s[0:1]
	v_cmp_eq_f16_e32 vcc, v19, v28
	s_or_b64 s[42:43], s[0:1], s[42:43]
	s_andn2_b64 s[0:1], s[40:41], exec
	s_and_b64 s[40:41], vcc, exec
	s_or_b64 s[40:41], s[0:1], s[40:41]
	s_andn2_b64 exec, exec, s[42:43]
	s_cbranch_execnz .LBB1321_34
; %bb.35:
	s_or_b64 exec, exec, s[42:43]
	v_mul_lo_u32 v19, v11, s26
	v_mul_lo_u32 v24, v10, s27
	v_mad_u64_u32 v[22:23], s[0:1], v10, s26, 0
	v_add3_u32 v23, v23, v24, v19
	v_lshl_add_u64 v[22:23], v[22:23], 1, s[28:29]
	s_mov_b64 s[44:45], 0
                                        ; implicit-def: $sgpr42_sgpr43
.LBB1321_36:                            ; =>This Inner Loop Header: Depth=1
	global_load_ushort v19, v[22:23], off
	global_load_ushort v24, v[16:17], off
	s_add_u32 s0, s10, -1
	s_addc_u32 s1, s11, -1
	s_cmp_eq_u64 s[10:11], 0
	s_mov_b64 s[10:11], s[0:1]
	s_cselect_b64 s[46:47], -1, 0
	v_lshl_add_u64 v[22:23], v[22:23], 0, 2
	v_lshl_add_u64 v[16:17], v[16:17], 0, 2
	s_waitcnt vmcnt(0)
	v_cmp_neq_f16_e64 s[0:1], v19, v24
	s_or_b64 s[0:1], s[0:1], s[46:47]
	s_and_b64 s[0:1], exec, s[0:1]
	v_cmp_eq_f16_e32 vcc, v19, v24
	s_or_b64 s[44:45], s[0:1], s[44:45]
	s_andn2_b64 s[0:1], s[42:43], exec
	s_and_b64 s[42:43], vcc, exec
	s_or_b64 s[42:43], s[0:1], s[42:43]
	s_andn2_b64 exec, exec, s[44:45]
	s_cbranch_execnz .LBB1321_36
; %bb.37:
	s_or_b64 exec, exec, s[44:45]
	s_xor_b64 s[0:1], s[12:13], -1
	v_cndmask_b32_e64 v40, 0, 1, s[0:1]
	s_xor_b64 s[0:1], s[38:39], -1
	v_cndmask_b32_e64 v16, 0, 1, s[0:1]
	v_lshlrev_b16_e32 v16, 8, v16
	s_xor_b64 s[0:1], s[6:7], -1
	v_lshrrev_b32_e32 v16, 8, v16
	v_mov_b32_e32 v22, 1
	s_xor_b64 s[6:7], s[40:41], -1
	v_cndmask_b32_e64 v19, 0, 1, s[0:1]
	s_xor_b64 s[0:1], s[14:15], -1
	v_and_b32_sdwa v16, v16, v22 dst_sel:BYTE_1 dst_unused:UNUSED_PAD src0_sel:DWORD src1_sel:DWORD
	v_cndmask_b32_e64 v22, 0, 1, s[6:7]
	v_cndmask_b32_e64 v17, 0, 1, s[0:1]
	s_xor_b64 s[0:1], s[42:43], -1
	v_or_b32_sdwa v24, v22, v16 dst_sel:WORD_1 dst_unused:UNUSED_PAD src0_sel:DWORD src1_sel:DWORD
	s_branch .LBB1321_42
.LBB1321_38:
                                        ; implicit-def: $sgpr0_sgpr1
                                        ; implicit-def: $vgpr19
                                        ; implicit-def: $vgpr40
                                        ; implicit-def: $vgpr17
                                        ; implicit-def: $vgpr22
	s_branch .LBB1321_95
.LBB1321_39:
                                        ; implicit-def: $vgpr42
                                        ; implicit-def: $vgpr41
                                        ; implicit-def: $vgpr20
	s_branch .LBB1321_164
.LBB1321_40:
                                        ; implicit-def: $sgpr0_sgpr1
                                        ; implicit-def: $vgpr19
                                        ; implicit-def: $vgpr40
                                        ; implicit-def: $vgpr17
                                        ; implicit-def: $vgpr22
	s_cbranch_execnz .LBB1321_49
	s_branch .LBB1321_94
.LBB1321_41:
	v_mov_b32_e32 v24, 0
	v_mov_b32_e32 v19, 0
	;; [unrolled: 1-line block ×4, first 2 shown]
.LBB1321_42:
	s_waitcnt vmcnt(0)
	v_mov_b64_e32 v[22:23], v[20:21]
	s_waitcnt lgkmcnt(0)
	s_barrier
	s_and_saveexec_b64 s[6:7], s[2:3]
; %bb.43:
	v_add_u32_e32 v16, -8, v27
	ds_read_b64 v[22:23], v16
; %bb.44:
	s_or_b64 exec, exec, s[6:7]
	v_cndmask_b32_e64 v25, 0, 1, s[0:1]
	v_lshrrev_b32_e32 v16, 16, v24
	s_mov_b32 s0, 0xc0c0304
	v_perm_b32 v16, v16, v24, s0
	v_lshlrev_b16_e32 v25, 8, v25
	s_movk_i32 s0, 0xff
	v_bitop3_b16 v24, v24, v25, s0 bitop3:0xec
	v_and_b32_e32 v28, 0xffff, v24
	s_mov_b64 s[6:7], 0
	s_and_b64 vcc, exec, s[4:5]
	s_mov_b64 s[0:1], 0
	s_cbranch_vccnz .LBB1321_48
; %bb.45:
	s_waitcnt lgkmcnt(0)
	v_mul_lo_u32 v24, v23, s26
	v_mul_lo_u32 v25, v22, s27
	v_mad_u64_u32 v[22:23], s[0:1], v22, s26, 0
	v_add3_u32 v23, v23, v25, v24
	v_mul_lo_u32 v29, v11, s26
	v_mul_lo_u32 v30, v10, s27
	v_mad_u64_u32 v[24:25], s[0:1], v10, s26, 0
	v_add3_u32 v25, v25, v30, v29
	s_add_u32 s14, s26, -1
	v_lshl_add_u64 v[22:23], v[22:23], 1, s[28:29]
	v_lshl_add_u64 v[24:25], v[24:25], 1, s[28:29]
	s_addc_u32 s15, s27, -1
	s_mov_b64 s[10:11], 0
                                        ; implicit-def: $sgpr12_sgpr13
.LBB1321_46:                            ; =>This Inner Loop Header: Depth=1
	global_load_ushort v29, v[22:23], off
	global_load_ushort v30, v[24:25], off
	s_add_u32 s0, s14, -1
	s_addc_u32 s1, s15, -1
	s_cmp_eq_u64 s[14:15], 0
	s_mov_b64 s[14:15], s[0:1]
	s_cselect_b64 s[38:39], -1, 0
	v_lshl_add_u64 v[22:23], v[22:23], 0, 2
	v_lshl_add_u64 v[24:25], v[24:25], 0, 2
	s_waitcnt vmcnt(0)
	v_cmp_neq_f16_e64 s[0:1], v29, v30
	s_or_b64 s[0:1], s[0:1], s[38:39]
	s_and_b64 s[0:1], exec, s[0:1]
	v_cmp_eq_f16_e32 vcc, v29, v30
	s_or_b64 s[10:11], s[0:1], s[10:11]
	s_andn2_b64 s[0:1], s[12:13], exec
	s_and_b64 s[12:13], vcc, exec
	s_or_b64 s[12:13], s[0:1], s[12:13]
	s_andn2_b64 exec, exec, s[10:11]
	s_cbranch_execnz .LBB1321_46
; %bb.47:
	s_or_b64 exec, exec, s[10:11]
	s_xor_b64 s[0:1], s[12:13], -1
.LBB1321_48:
	s_waitcnt lgkmcnt(0)
	v_lshl_or_b32 v22, v16, 16, v28
	s_and_b64 vcc, exec, s[6:7]
	s_cbranch_vccz .LBB1321_94
.LBB1321_49:
	v_add_u32_e32 v16, 6, v1
	v_cmp_gt_u32_e32 vcc, s50, v16
	s_mov_b64 s[10:11], 0
	s_mov_b64 s[6:7], 0
	s_and_saveexec_b64 s[12:13], vcc
	s_cbranch_execz .LBB1321_55
; %bb.50:
	s_and_b64 vcc, exec, s[4:5]
	s_mov_b64 s[0:1], 0
	s_cbranch_vccnz .LBB1321_54
; %bb.51:
	v_mul_lo_u32 v19, v5, s26
	v_mul_lo_u32 v22, v4, s27
	v_mad_u64_u32 v[16:17], s[0:1], v4, s26, 0
	v_add3_u32 v17, v17, v22, v19
	v_mul_lo_u32 v19, v15, s26
	v_mul_lo_u32 v24, v14, s27
	v_mad_u64_u32 v[22:23], s[0:1], v14, s26, 0
	v_add3_u32 v23, v23, v24, v19
	s_add_u32 s38, s26, -1
	v_lshl_add_u64 v[16:17], v[16:17], 1, s[28:29]
	v_lshl_add_u64 v[22:23], v[22:23], 1, s[28:29]
	s_addc_u32 s39, s27, -1
                                        ; implicit-def: $sgpr14_sgpr15
.LBB1321_52:                            ; =>This Inner Loop Header: Depth=1
	global_load_ushort v19, v[16:17], off
	global_load_ushort v24, v[22:23], off
	s_add_u32 s0, s38, -1
	s_addc_u32 s1, s39, -1
	s_cmp_eq_u64 s[38:39], 0
	s_mov_b64 s[38:39], s[0:1]
	s_cselect_b64 s[40:41], -1, 0
	v_lshl_add_u64 v[16:17], v[16:17], 0, 2
	v_lshl_add_u64 v[22:23], v[22:23], 0, 2
	s_waitcnt vmcnt(0)
	v_cmp_neq_f16_e64 s[0:1], v19, v24
	s_or_b64 s[0:1], s[0:1], s[40:41]
	s_and_b64 s[0:1], exec, s[0:1]
	v_cmp_eq_f16_e32 vcc, v19, v24
	s_or_b64 s[6:7], s[0:1], s[6:7]
	s_andn2_b64 s[0:1], s[14:15], exec
	s_and_b64 s[14:15], vcc, exec
	s_or_b64 s[14:15], s[0:1], s[14:15]
	s_andn2_b64 exec, exec, s[6:7]
	s_cbranch_execnz .LBB1321_52
; %bb.53:
	s_or_b64 exec, exec, s[6:7]
	s_xor_b64 s[0:1], s[14:15], -1
.LBB1321_54:
	s_and_b64 s[6:7], s[0:1], exec
.LBB1321_55:
	s_or_b64 exec, exec, s[12:13]
	v_add_u32_e32 v16, 5, v1
	v_cmp_gt_u32_e32 vcc, s50, v16
	s_and_saveexec_b64 s[12:13], vcc
	s_cbranch_execz .LBB1321_61
; %bb.56:
	s_and_b64 vcc, exec, s[4:5]
	s_mov_b64 s[0:1], 0
	s_cbranch_vccnz .LBB1321_60
; %bb.57:
	v_mul_lo_u32 v19, v3, s26
	v_mul_lo_u32 v22, v2, s27
	v_mad_u64_u32 v[16:17], s[0:1], v2, s26, 0
	v_add3_u32 v17, v17, v22, v19
	v_mul_lo_u32 v19, v5, s26
	v_mul_lo_u32 v24, v4, s27
	v_mad_u64_u32 v[22:23], s[0:1], v4, s26, 0
	v_add3_u32 v23, v23, v24, v19
	s_add_u32 s38, s26, -1
	v_lshl_add_u64 v[16:17], v[16:17], 1, s[28:29]
	v_lshl_add_u64 v[22:23], v[22:23], 1, s[28:29]
	s_addc_u32 s39, s27, -1
	s_mov_b64 s[10:11], 0
                                        ; implicit-def: $sgpr14_sgpr15
.LBB1321_58:                            ; =>This Inner Loop Header: Depth=1
	global_load_ushort v19, v[16:17], off
	global_load_ushort v24, v[22:23], off
	s_add_u32 s0, s38, -1
	s_addc_u32 s1, s39, -1
	s_cmp_eq_u64 s[38:39], 0
	s_mov_b64 s[38:39], s[0:1]
	s_cselect_b64 s[40:41], -1, 0
	v_lshl_add_u64 v[16:17], v[16:17], 0, 2
	v_lshl_add_u64 v[22:23], v[22:23], 0, 2
	s_waitcnt vmcnt(0)
	v_cmp_neq_f16_e64 s[0:1], v19, v24
	s_or_b64 s[0:1], s[0:1], s[40:41]
	s_and_b64 s[0:1], exec, s[0:1]
	v_cmp_eq_f16_e32 vcc, v19, v24
	s_or_b64 s[10:11], s[0:1], s[10:11]
	s_andn2_b64 s[0:1], s[14:15], exec
	s_and_b64 s[14:15], vcc, exec
	s_or_b64 s[14:15], s[0:1], s[14:15]
	s_andn2_b64 exec, exec, s[10:11]
	s_cbranch_execnz .LBB1321_58
; %bb.59:
	s_or_b64 exec, exec, s[10:11]
	s_xor_b64 s[0:1], s[14:15], -1
.LBB1321_60:
	s_and_b64 s[10:11], s[0:1], exec
.LBB1321_61:
	s_or_b64 exec, exec, s[12:13]
	v_add_u32_e32 v16, 4, v1
	v_cmp_gt_u32_e32 vcc, s50, v16
	s_mov_b64 s[14:15], 0
	s_mov_b64 s[12:13], 0
	s_and_saveexec_b64 s[38:39], vcc
	s_cbranch_execz .LBB1321_67
; %bb.62:
	s_and_b64 vcc, exec, s[4:5]
	s_mov_b64 s[0:1], 0
	s_cbranch_vccnz .LBB1321_66
; %bb.63:
	v_mul_lo_u32 v19, v9, s26
	v_mul_lo_u32 v22, v8, s27
	v_mad_u64_u32 v[16:17], s[0:1], v8, s26, 0
	v_add3_u32 v17, v17, v22, v19
	v_mul_lo_u32 v19, v3, s26
	v_mul_lo_u32 v24, v2, s27
	v_mad_u64_u32 v[22:23], s[0:1], v2, s26, 0
	v_add3_u32 v23, v23, v24, v19
	s_add_u32 s42, s26, -1
	v_lshl_add_u64 v[16:17], v[16:17], 1, s[28:29]
	v_lshl_add_u64 v[22:23], v[22:23], 1, s[28:29]
	s_addc_u32 s43, s27, -1
                                        ; implicit-def: $sgpr40_sgpr41
.LBB1321_64:                            ; =>This Inner Loop Header: Depth=1
	global_load_ushort v19, v[16:17], off
	global_load_ushort v24, v[22:23], off
	s_add_u32 s0, s42, -1
	s_addc_u32 s1, s43, -1
	s_cmp_eq_u64 s[42:43], 0
	s_mov_b64 s[42:43], s[0:1]
	s_cselect_b64 s[44:45], -1, 0
	v_lshl_add_u64 v[16:17], v[16:17], 0, 2
	v_lshl_add_u64 v[22:23], v[22:23], 0, 2
	s_waitcnt vmcnt(0)
	v_cmp_neq_f16_e64 s[0:1], v19, v24
	s_or_b64 s[0:1], s[0:1], s[44:45]
	s_and_b64 s[0:1], exec, s[0:1]
	v_cmp_eq_f16_e32 vcc, v19, v24
	s_or_b64 s[12:13], s[0:1], s[12:13]
	s_andn2_b64 s[0:1], s[40:41], exec
	s_and_b64 s[40:41], vcc, exec
	s_or_b64 s[40:41], s[0:1], s[40:41]
	s_andn2_b64 exec, exec, s[12:13]
	s_cbranch_execnz .LBB1321_64
; %bb.65:
	s_or_b64 exec, exec, s[12:13]
	s_xor_b64 s[0:1], s[40:41], -1
.LBB1321_66:
	s_and_b64 s[12:13], s[0:1], exec
.LBB1321_67:
	s_or_b64 exec, exec, s[38:39]
	v_add_u32_e32 v16, 3, v1
	v_cmp_gt_u32_e32 vcc, s50, v16
	s_and_saveexec_b64 s[38:39], vcc
	s_cbranch_execz .LBB1321_73
; %bb.68:
	s_and_b64 vcc, exec, s[4:5]
	s_mov_b64 s[0:1], 0
	s_cbranch_vccnz .LBB1321_72
; %bb.69:
	v_mul_lo_u32 v19, v7, s26
	v_mul_lo_u32 v22, v6, s27
	v_mad_u64_u32 v[16:17], s[0:1], v6, s26, 0
	v_add3_u32 v17, v17, v22, v19
	v_mul_lo_u32 v19, v9, s26
	v_mul_lo_u32 v24, v8, s27
	v_mad_u64_u32 v[22:23], s[0:1], v8, s26, 0
	v_add3_u32 v23, v23, v24, v19
	s_add_u32 s42, s26, -1
	v_lshl_add_u64 v[16:17], v[16:17], 1, s[28:29]
	v_lshl_add_u64 v[22:23], v[22:23], 1, s[28:29]
	s_addc_u32 s43, s27, -1
	s_mov_b64 s[14:15], 0
                                        ; implicit-def: $sgpr40_sgpr41
.LBB1321_70:                            ; =>This Inner Loop Header: Depth=1
	global_load_ushort v19, v[16:17], off
	global_load_ushort v24, v[22:23], off
	s_add_u32 s0, s42, -1
	s_addc_u32 s1, s43, -1
	s_cmp_eq_u64 s[42:43], 0
	s_mov_b64 s[42:43], s[0:1]
	s_cselect_b64 s[44:45], -1, 0
	v_lshl_add_u64 v[16:17], v[16:17], 0, 2
	v_lshl_add_u64 v[22:23], v[22:23], 0, 2
	s_waitcnt vmcnt(0)
	v_cmp_neq_f16_e64 s[0:1], v19, v24
	s_or_b64 s[0:1], s[0:1], s[44:45]
	s_and_b64 s[0:1], exec, s[0:1]
	v_cmp_eq_f16_e32 vcc, v19, v24
	s_or_b64 s[14:15], s[0:1], s[14:15]
	s_andn2_b64 s[0:1], s[40:41], exec
	s_and_b64 s[40:41], vcc, exec
	s_or_b64 s[40:41], s[0:1], s[40:41]
	s_andn2_b64 exec, exec, s[14:15]
	s_cbranch_execnz .LBB1321_70
; %bb.71:
	s_or_b64 exec, exec, s[14:15]
	s_xor_b64 s[0:1], s[40:41], -1
.LBB1321_72:
	s_and_b64 s[14:15], s[0:1], exec
.LBB1321_73:
	s_or_b64 exec, exec, s[38:39]
	v_add_u32_e32 v16, 2, v1
	v_cmp_gt_u32_e32 vcc, s50, v16
	s_mov_b64 s[38:39], 0
	s_mov_b64 s[40:41], 0
	s_and_saveexec_b64 s[42:43], vcc
	s_cbranch_execz .LBB1321_79
; %bb.74:
	s_and_b64 vcc, exec, s[4:5]
	s_mov_b64 s[0:1], 0
	s_cbranch_vccnz .LBB1321_78
; %bb.75:
	v_mul_lo_u32 v19, v13, s26
	v_mul_lo_u32 v22, v12, s27
	v_mad_u64_u32 v[16:17], s[0:1], v12, s26, 0
	v_add3_u32 v17, v17, v22, v19
	v_mul_lo_u32 v19, v7, s26
	v_mul_lo_u32 v24, v6, s27
	v_mad_u64_u32 v[22:23], s[0:1], v6, s26, 0
	v_add3_u32 v23, v23, v24, v19
	s_add_u32 s46, s26, -1
	v_lshl_add_u64 v[16:17], v[16:17], 1, s[28:29]
	v_lshl_add_u64 v[22:23], v[22:23], 1, s[28:29]
	s_addc_u32 s47, s27, -1
                                        ; implicit-def: $sgpr44_sgpr45
.LBB1321_76:                            ; =>This Inner Loop Header: Depth=1
	global_load_ushort v19, v[16:17], off
	global_load_ushort v24, v[22:23], off
	s_add_u32 s0, s46, -1
	s_addc_u32 s1, s47, -1
	s_cmp_eq_u64 s[46:47], 0
	s_mov_b64 s[46:47], s[0:1]
	s_cselect_b64 s[48:49], -1, 0
	v_lshl_add_u64 v[16:17], v[16:17], 0, 2
	v_lshl_add_u64 v[22:23], v[22:23], 0, 2
	s_waitcnt vmcnt(0)
	v_cmp_neq_f16_e64 s[0:1], v19, v24
	s_or_b64 s[0:1], s[0:1], s[48:49]
	s_and_b64 s[0:1], exec, s[0:1]
	v_cmp_eq_f16_e32 vcc, v19, v24
	s_or_b64 s[40:41], s[0:1], s[40:41]
	s_andn2_b64 s[0:1], s[44:45], exec
	s_and_b64 s[44:45], vcc, exec
	s_or_b64 s[44:45], s[0:1], s[44:45]
	s_andn2_b64 exec, exec, s[40:41]
	s_cbranch_execnz .LBB1321_76
; %bb.77:
	s_or_b64 exec, exec, s[40:41]
	s_xor_b64 s[0:1], s[44:45], -1
.LBB1321_78:
	s_and_b64 s[40:41], s[0:1], exec
.LBB1321_79:
	s_or_b64 exec, exec, s[42:43]
	v_add_u32_e32 v16, 1, v1
	v_cmp_gt_u32_e32 vcc, s50, v16
	s_and_saveexec_b64 s[42:43], vcc
	s_cbranch_execz .LBB1321_85
; %bb.80:
	s_and_b64 vcc, exec, s[4:5]
	s_mov_b64 s[0:1], 0
	s_cbranch_vccnz .LBB1321_84
; %bb.81:
	v_mul_lo_u32 v19, v11, s26
	v_mul_lo_u32 v22, v10, s27
	v_mad_u64_u32 v[16:17], s[0:1], v10, s26, 0
	v_add3_u32 v17, v17, v22, v19
	v_mul_lo_u32 v19, v13, s26
	v_mul_lo_u32 v24, v12, s27
	v_mad_u64_u32 v[22:23], s[0:1], v12, s26, 0
	v_add3_u32 v23, v23, v24, v19
	s_add_u32 s46, s26, -1
	v_lshl_add_u64 v[16:17], v[16:17], 1, s[28:29]
	v_lshl_add_u64 v[22:23], v[22:23], 1, s[28:29]
	s_addc_u32 s47, s27, -1
	s_mov_b64 s[38:39], 0
                                        ; implicit-def: $sgpr44_sgpr45
.LBB1321_82:                            ; =>This Inner Loop Header: Depth=1
	global_load_ushort v19, v[16:17], off
	global_load_ushort v24, v[22:23], off
	s_add_u32 s0, s46, -1
	s_addc_u32 s1, s47, -1
	s_cmp_eq_u64 s[46:47], 0
	s_mov_b64 s[46:47], s[0:1]
	s_cselect_b64 s[48:49], -1, 0
	v_lshl_add_u64 v[16:17], v[16:17], 0, 2
	v_lshl_add_u64 v[22:23], v[22:23], 0, 2
	s_waitcnt vmcnt(0)
	v_cmp_neq_f16_e64 s[0:1], v19, v24
	s_or_b64 s[0:1], s[0:1], s[48:49]
	s_and_b64 s[0:1], exec, s[0:1]
	v_cmp_eq_f16_e32 vcc, v19, v24
	s_or_b64 s[38:39], s[0:1], s[38:39]
	s_andn2_b64 s[0:1], s[44:45], exec
	s_and_b64 s[44:45], vcc, exec
	s_or_b64 s[44:45], s[0:1], s[44:45]
	s_andn2_b64 exec, exec, s[38:39]
	s_cbranch_execnz .LBB1321_82
; %bb.83:
	s_or_b64 exec, exec, s[38:39]
	s_xor_b64 s[0:1], s[44:45], -1
.LBB1321_84:
	s_and_b64 s[38:39], s[0:1], exec
.LBB1321_85:
	s_or_b64 exec, exec, s[42:43]
	s_waitcnt lgkmcnt(0)
	s_barrier
	s_and_saveexec_b64 s[0:1], s[2:3]
	s_cbranch_execz .LBB1321_87
; %bb.86:
	v_add_u32_e32 v16, -8, v27
	s_waitcnt vmcnt(0)
	ds_read_b64 v[20:21], v16
.LBB1321_87:
	s_or_b64 exec, exec, s[0:1]
	v_cndmask_b32_e64 v17, 0, 1, s[14:15]
	v_cndmask_b32_e64 v16, 0, 1, s[40:41]
	;; [unrolled: 1-line block ×3, first 2 shown]
	v_lshlrev_b16_e32 v17, 8, v17
	v_cmp_gt_u32_e32 vcc, s50, v1
	v_lshlrev_b16_e32 v22, 8, v19
	v_or_b32_sdwa v23, v16, v17 dst_sel:WORD_1 dst_unused:UNUSED_PAD src0_sel:DWORD src1_sel:DWORD
	s_mov_b64 s[0:1], 0
	s_and_saveexec_b64 s[14:15], vcc
	s_cbranch_execz .LBB1321_93
; %bb.88:
	s_and_b64 vcc, exec, s[4:5]
	s_cbranch_vccnz .LBB1321_92
; %bb.89:
	s_waitcnt vmcnt(0) lgkmcnt(0)
	v_mul_lo_u32 v19, v21, s26
	v_mul_lo_u32 v21, v20, s27
	v_mad_u64_u32 v[16:17], s[0:1], v20, s26, 0
	v_add3_u32 v17, v17, v21, v19
	v_mul_lo_u32 v19, v11, s26
	v_mul_lo_u32 v24, v10, s27
	v_mad_u64_u32 v[20:21], s[0:1], v10, s26, 0
	v_add3_u32 v21, v21, v24, v19
	s_add_u32 s40, s26, -1
	v_lshl_add_u64 v[16:17], v[16:17], 1, s[28:29]
	v_lshl_add_u64 v[20:21], v[20:21], 1, s[28:29]
	s_addc_u32 s41, s27, -1
	s_mov_b64 s[4:5], 0
                                        ; implicit-def: $sgpr38_sgpr39
.LBB1321_90:                            ; =>This Inner Loop Header: Depth=1
	global_load_ushort v19, v[16:17], off
	global_load_ushort v24, v[20:21], off
	s_add_u32 s0, s40, -1
	s_addc_u32 s1, s41, -1
	s_cmp_eq_u64 s[40:41], 0
	s_mov_b64 s[40:41], s[0:1]
	s_cselect_b64 s[42:43], -1, 0
	v_lshl_add_u64 v[16:17], v[16:17], 0, 2
	v_lshl_add_u64 v[20:21], v[20:21], 0, 2
	s_waitcnt vmcnt(0)
	v_cmp_neq_f16_e64 s[0:1], v19, v24
	s_or_b64 s[0:1], s[0:1], s[42:43]
	s_and_b64 s[0:1], exec, s[0:1]
	v_cmp_eq_f16_e32 vcc, v19, v24
	s_or_b64 s[4:5], s[0:1], s[4:5]
	s_andn2_b64 s[0:1], s[38:39], exec
	s_and_b64 s[38:39], vcc, exec
	s_or_b64 s[38:39], s[0:1], s[38:39]
	s_andn2_b64 exec, exec, s[4:5]
	s_cbranch_execnz .LBB1321_90
; %bb.91:
	s_or_b64 exec, exec, s[4:5]
	s_xor_b64 s[0:1], s[38:39], -1
.LBB1321_92:
	s_and_b64 s[0:1], s[0:1], exec
.LBB1321_93:
	s_or_b64 exec, exec, s[14:15]
	v_cndmask_b32_e64 v17, 0, 1, s[12:13]
	v_cndmask_b32_e64 v40, 0, 1, s[10:11]
	;; [unrolled: 1-line block ×3, first 2 shown]
	v_or_b32_e32 v22, v22, v23
.LBB1321_94:
	s_mov_b64 s[10:11], -1
	s_cbranch_execnz .LBB1321_39
.LBB1321_95:
	s_movk_i32 s0, 0xffd0
	v_mad_i32_i24 v26, v0, s0, v26
	s_mov_b64 s[0:1], 0
	v_cmp_gt_i64_e64 s[6:7], s[26:27], 0
	s_and_b64 vcc, exec, s[36:37]
	ds_write_b64 v26, v[14:15]
	s_cbranch_vccz .LBB1321_110
; %bb.96:
	v_cndmask_b32_e64 v16, 0, 1, s[6:7]
	v_cmp_ne_u32_e64 s[4:5], 1, v16
	s_andn2_b64 vcc, exec, s[6:7]
	s_cbranch_vccnz .LBB1321_111
; %bb.97:
	v_mul_lo_u32 v19, v5, s26
	s_waitcnt vmcnt(0) lgkmcnt(1)
	v_mul_lo_u32 v20, v4, s27
	v_mad_u64_u32 v[16:17], s[0:1], v4, s26, 0
	v_add3_u32 v17, v17, v20, v19
	v_mul_lo_u32 v19, v15, s26
	v_mul_lo_u32 v22, v14, s27
	v_mad_u64_u32 v[20:21], s[0:1], v14, s26, 0
	s_add_u32 s14, s26, -1
	v_lshl_add_u64 v[16:17], v[16:17], 1, s[28:29]
	v_add3_u32 v21, v21, v22, v19
	s_addc_u32 s15, s27, -1
	v_lshl_add_u64 v[20:21], v[20:21], 1, s[28:29]
	s_mov_b64 s[38:39], 0
	s_mov_b64 s[40:41], s[14:15]
	v_mov_b64_e32 v[22:23], v[16:17]
                                        ; implicit-def: $sgpr12_sgpr13
.LBB1321_98:                            ; =>This Inner Loop Header: Depth=1
	global_load_ushort v19, v[22:23], off
	global_load_ushort v24, v[20:21], off
	s_add_u32 s0, s40, -1
	s_addc_u32 s1, s41, -1
	s_cmp_eq_u64 s[40:41], 0
	s_mov_b64 s[40:41], s[0:1]
	s_cselect_b64 s[42:43], -1, 0
	v_lshl_add_u64 v[22:23], v[22:23], 0, 2
	v_lshl_add_u64 v[20:21], v[20:21], 0, 2
	s_waitcnt vmcnt(0)
	v_cmp_neq_f16_e64 s[0:1], v19, v24
	s_or_b64 s[0:1], s[0:1], s[42:43]
	s_and_b64 s[0:1], exec, s[0:1]
	v_cmp_eq_f16_e32 vcc, v19, v24
	s_or_b64 s[38:39], s[0:1], s[38:39]
	s_andn2_b64 s[0:1], s[12:13], exec
	s_and_b64 s[12:13], vcc, exec
	s_or_b64 s[12:13], s[0:1], s[12:13]
	s_andn2_b64 exec, exec, s[38:39]
	s_cbranch_execnz .LBB1321_98
; %bb.99:
	s_or_b64 exec, exec, s[38:39]
	v_mul_lo_u32 v19, v3, s26
	v_mul_lo_u32 v22, v2, s27
	v_mad_u64_u32 v[20:21], s[0:1], v2, s26, 0
	v_add3_u32 v21, v21, v22, v19
	v_lshl_add_u64 v[20:21], v[20:21], 1, s[28:29]
	s_mov_b64 s[40:41], 0
	s_mov_b64 s[42:43], s[14:15]
	v_mov_b64_e32 v[22:23], v[20:21]
                                        ; implicit-def: $sgpr38_sgpr39
.LBB1321_100:                           ; =>This Inner Loop Header: Depth=1
	global_load_ushort v19, v[22:23], off
	global_load_ushort v24, v[16:17], off
	s_add_u32 s0, s42, -1
	s_addc_u32 s1, s43, -1
	s_cmp_eq_u64 s[42:43], 0
	s_mov_b64 s[42:43], s[0:1]
	s_cselect_b64 s[44:45], -1, 0
	v_lshl_add_u64 v[22:23], v[22:23], 0, 2
	v_lshl_add_u64 v[16:17], v[16:17], 0, 2
	s_waitcnt vmcnt(0)
	v_cmp_neq_f16_e64 s[0:1], v19, v24
	s_or_b64 s[0:1], s[0:1], s[44:45]
	s_and_b64 s[0:1], exec, s[0:1]
	v_cmp_eq_f16_e32 vcc, v19, v24
	s_or_b64 s[40:41], s[0:1], s[40:41]
	s_andn2_b64 s[0:1], s[38:39], exec
	s_and_b64 s[38:39], vcc, exec
	s_or_b64 s[38:39], s[0:1], s[38:39]
	s_andn2_b64 exec, exec, s[40:41]
	s_cbranch_execnz .LBB1321_100
; %bb.101:
	s_or_b64 exec, exec, s[40:41]
	v_mul_lo_u32 v19, v9, s26
	v_mul_lo_u32 v22, v8, s27
	v_mad_u64_u32 v[16:17], s[0:1], v8, s26, 0
	v_add3_u32 v17, v17, v22, v19
	v_lshl_add_u64 v[16:17], v[16:17], 1, s[28:29]
	s_mov_b64 s[42:43], 0
	s_mov_b64 s[44:45], s[14:15]
	v_mov_b64_e32 v[22:23], v[16:17]
                                        ; implicit-def: $sgpr40_sgpr41
.LBB1321_102:                           ; =>This Inner Loop Header: Depth=1
	global_load_ushort v19, v[22:23], off
	global_load_ushort v24, v[20:21], off
	s_add_u32 s0, s44, -1
	s_addc_u32 s1, s45, -1
	s_cmp_eq_u64 s[44:45], 0
	s_mov_b64 s[44:45], s[0:1]
	s_cselect_b64 s[46:47], -1, 0
	v_lshl_add_u64 v[22:23], v[22:23], 0, 2
	v_lshl_add_u64 v[20:21], v[20:21], 0, 2
	s_waitcnt vmcnt(0)
	v_cmp_neq_f16_e64 s[0:1], v19, v24
	s_or_b64 s[0:1], s[0:1], s[46:47]
	s_and_b64 s[0:1], exec, s[0:1]
	v_cmp_eq_f16_e32 vcc, v19, v24
	s_or_b64 s[42:43], s[0:1], s[42:43]
	s_andn2_b64 s[0:1], s[40:41], exec
	s_and_b64 s[40:41], vcc, exec
	s_or_b64 s[40:41], s[0:1], s[40:41]
	s_andn2_b64 exec, exec, s[42:43]
	s_cbranch_execnz .LBB1321_102
; %bb.103:
	s_or_b64 exec, exec, s[42:43]
	v_mul_lo_u32 v19, v7, s26
	v_mul_lo_u32 v22, v6, s27
	v_mad_u64_u32 v[20:21], s[0:1], v6, s26, 0
	v_add3_u32 v21, v21, v22, v19
	v_lshl_add_u64 v[20:21], v[20:21], 1, s[28:29]
	s_mov_b64 s[44:45], 0
	s_mov_b64 s[46:47], s[14:15]
	v_mov_b64_e32 v[22:23], v[20:21]
                                        ; implicit-def: $sgpr42_sgpr43
.LBB1321_104:                           ; =>This Inner Loop Header: Depth=1
	global_load_ushort v19, v[22:23], off
	global_load_ushort v24, v[16:17], off
	s_add_u32 s0, s46, -1
	s_addc_u32 s1, s47, -1
	s_cmp_eq_u64 s[46:47], 0
	s_mov_b64 s[46:47], s[0:1]
	s_cselect_b64 s[48:49], -1, 0
	v_lshl_add_u64 v[22:23], v[22:23], 0, 2
	v_lshl_add_u64 v[16:17], v[16:17], 0, 2
	s_waitcnt vmcnt(0)
	v_cmp_neq_f16_e64 s[0:1], v19, v24
	s_or_b64 s[0:1], s[0:1], s[48:49]
	s_and_b64 s[0:1], exec, s[0:1]
	v_cmp_eq_f16_e32 vcc, v19, v24
	s_or_b64 s[44:45], s[0:1], s[44:45]
	s_andn2_b64 s[0:1], s[42:43], exec
	s_and_b64 s[42:43], vcc, exec
	s_or_b64 s[42:43], s[0:1], s[42:43]
	s_andn2_b64 exec, exec, s[44:45]
	s_cbranch_execnz .LBB1321_104
; %bb.105:
	s_or_b64 exec, exec, s[44:45]
	v_mul_lo_u32 v19, v13, s26
	v_mul_lo_u32 v22, v12, s27
	v_mad_u64_u32 v[16:17], s[0:1], v12, s26, 0
	v_add3_u32 v17, v17, v22, v19
	v_lshl_add_u64 v[16:17], v[16:17], 1, s[28:29]
	s_mov_b64 s[46:47], 0
	s_mov_b64 s[48:49], s[14:15]
	v_mov_b64_e32 v[22:23], v[16:17]
                                        ; implicit-def: $sgpr44_sgpr45
.LBB1321_106:                           ; =>This Inner Loop Header: Depth=1
	global_load_ushort v19, v[22:23], off
	global_load_ushort v24, v[20:21], off
	s_add_u32 s0, s48, -1
	s_addc_u32 s1, s49, -1
	s_cmp_eq_u64 s[48:49], 0
	s_mov_b64 s[48:49], s[0:1]
	s_cselect_b64 s[52:53], -1, 0
	v_lshl_add_u64 v[22:23], v[22:23], 0, 2
	v_lshl_add_u64 v[20:21], v[20:21], 0, 2
	s_waitcnt vmcnt(0)
	v_cmp_neq_f16_e64 s[0:1], v19, v24
	s_or_b64 s[0:1], s[0:1], s[52:53]
	s_and_b64 s[0:1], exec, s[0:1]
	v_cmp_eq_f16_e32 vcc, v19, v24
	s_or_b64 s[46:47], s[0:1], s[46:47]
	s_andn2_b64 s[0:1], s[44:45], exec
	s_and_b64 s[44:45], vcc, exec
	s_or_b64 s[44:45], s[0:1], s[44:45]
	s_andn2_b64 exec, exec, s[46:47]
	s_cbranch_execnz .LBB1321_106
; %bb.107:
	s_or_b64 exec, exec, s[46:47]
	v_mul_lo_u32 v19, v11, s26
	v_mul_lo_u32 v22, v10, s27
	v_mad_u64_u32 v[20:21], s[0:1], v10, s26, 0
	v_add3_u32 v21, v21, v22, v19
	v_lshl_add_u64 v[20:21], v[20:21], 1, s[28:29]
	s_mov_b64 s[48:49], 0
                                        ; implicit-def: $sgpr46_sgpr47
.LBB1321_108:                           ; =>This Inner Loop Header: Depth=1
	global_load_ushort v19, v[20:21], off
	global_load_ushort v22, v[16:17], off
	s_add_u32 s0, s14, -1
	s_addc_u32 s1, s15, -1
	s_cmp_eq_u64 s[14:15], 0
	s_mov_b64 s[14:15], s[0:1]
	s_cselect_b64 s[52:53], -1, 0
	v_lshl_add_u64 v[20:21], v[20:21], 0, 2
	v_lshl_add_u64 v[16:17], v[16:17], 0, 2
	s_waitcnt vmcnt(0)
	v_cmp_neq_f16_e64 s[0:1], v19, v22
	s_or_b64 s[0:1], s[0:1], s[52:53]
	s_and_b64 s[0:1], exec, s[0:1]
	v_cmp_eq_f16_e32 vcc, v19, v22
	s_or_b64 s[48:49], s[0:1], s[48:49]
	s_andn2_b64 s[0:1], s[46:47], exec
	s_and_b64 s[46:47], vcc, exec
	s_or_b64 s[46:47], s[0:1], s[46:47]
	s_andn2_b64 exec, exec, s[48:49]
	s_cbranch_execnz .LBB1321_108
; %bb.109:
	s_or_b64 exec, exec, s[48:49]
	s_xor_b64 s[0:1], s[38:39], -1
	v_cndmask_b32_e64 v40, 0, 1, s[0:1]
	s_xor_b64 s[0:1], s[42:43], -1
	v_cndmask_b32_e64 v16, 0, 1, s[0:1]
	v_lshlrev_b16_e32 v16, 8, v16
	s_xor_b64 s[0:1], s[12:13], -1
	v_lshrrev_b32_e32 v16, 8, v16
	v_mov_b32_e32 v20, 1
	s_xor_b64 s[12:13], s[44:45], -1
	v_cndmask_b32_e64 v19, 0, 1, s[0:1]
	s_xor_b64 s[0:1], s[40:41], -1
	v_and_b32_sdwa v16, v16, v20 dst_sel:BYTE_1 dst_unused:UNUSED_PAD src0_sel:DWORD src1_sel:DWORD
	v_cndmask_b32_e64 v20, 0, 1, s[12:13]
	v_cndmask_b32_e64 v17, 0, 1, s[0:1]
	s_xor_b64 s[0:1], s[46:47], -1
	v_or_b32_sdwa v16, v20, v16 dst_sel:WORD_1 dst_unused:UNUSED_PAD src0_sel:DWORD src1_sel:DWORD
	s_branch .LBB1321_112
.LBB1321_110:
                                        ; implicit-def: $sgpr0_sgpr1
                                        ; implicit-def: $vgpr19
                                        ; implicit-def: $vgpr40
                                        ; implicit-def: $vgpr17
                                        ; implicit-def: $vgpr22
                                        ; implicit-def: $vgpr42
                                        ; implicit-def: $vgpr41
                                        ; implicit-def: $vgpr20
	s_cbranch_execnz .LBB1321_119
	s_branch .LBB1321_164
.LBB1321_111:
	v_mov_b32_e32 v16, 0
	v_mov_b32_e32 v19, 0
	;; [unrolled: 1-line block ×4, first 2 shown]
.LBB1321_112:
	v_lshrrev_b32_e32 v41, 16, v16
	s_waitcnt vmcnt(0) lgkmcnt(1)
	v_lshrrev_b32_e32 v20, 24, v16
	v_cndmask_b32_e64 v42, 0, 1, s[0:1]
	v_mov_b32_e32 v16, 1
	s_waitcnt lgkmcnt(0)
	s_barrier
                                        ; implicit-def: $sgpr0_sgpr1
                                        ; implicit-def: $vgpr22
	s_and_saveexec_b64 s[12:13], s[2:3]
	s_xor_b64 s[12:13], exec, s[12:13]
	s_cbranch_execz .LBB1321_118
; %bb.113:
	v_lshlrev_b16_e32 v21, 8, v20
	s_movk_i32 s0, 0xff
	v_bitop3_b16 v21, v41, v21, s0 bitop3:0xec
	v_lshlrev_b16_e32 v22, 8, v42
	v_lshlrev_b32_e32 v21, 16, v21
	v_or_b32_e32 v22, 1, v22
	v_or_b32_sdwa v21, v22, v21 dst_sel:DWORD dst_unused:UNUSED_PAD src0_sel:WORD_0 src1_sel:DWORD
	s_mov_b32 s40, 0x3020104
	s_and_b64 vcc, exec, s[4:5]
	s_mov_b64 s[0:1], 0
	s_cbranch_vccnz .LBB1321_117
; %bb.114:
	v_add_u32_e32 v22, -8, v26
	ds_read_b64 v[22:23], v22
	v_mul_lo_u32 v27, v11, s26
	v_mul_lo_u32 v28, v10, s27
	s_add_u32 s38, s26, -1
	s_addc_u32 s39, s27, -1
	s_waitcnt lgkmcnt(0)
	v_mul_lo_u32 v24, v23, s26
	v_mul_lo_u32 v25, v22, s27
	v_mad_u64_u32 v[22:23], s[0:1], v22, s26, 0
	v_add3_u32 v23, v23, v25, v24
	v_mad_u64_u32 v[24:25], s[0:1], v10, s26, 0
	v_add3_u32 v25, v25, v28, v27
	v_lshl_add_u64 v[22:23], v[22:23], 1, s[28:29]
	v_lshl_add_u64 v[24:25], v[24:25], 1, s[28:29]
	s_mov_b64 s[4:5], 0
                                        ; implicit-def: $sgpr14_sgpr15
.LBB1321_115:                           ; =>This Inner Loop Header: Depth=1
	global_load_ushort v27, v[22:23], off
	global_load_ushort v28, v[24:25], off
	s_add_u32 s0, s38, -1
	s_addc_u32 s1, s39, -1
	s_cmp_eq_u64 s[38:39], 0
	s_mov_b64 s[38:39], s[0:1]
	s_cselect_b64 s[42:43], -1, 0
	v_lshl_add_u64 v[22:23], v[22:23], 0, 2
	v_lshl_add_u64 v[24:25], v[24:25], 0, 2
	s_waitcnt vmcnt(0)
	v_cmp_neq_f16_e64 s[0:1], v27, v28
	s_or_b64 s[0:1], s[0:1], s[42:43]
	s_and_b64 s[0:1], exec, s[0:1]
	v_cmp_eq_f16_e32 vcc, v27, v28
	s_or_b64 s[4:5], s[0:1], s[4:5]
	s_andn2_b64 s[0:1], s[14:15], exec
	s_and_b64 s[14:15], vcc, exec
	s_or_b64 s[14:15], s[0:1], s[14:15]
	s_andn2_b64 exec, exec, s[4:5]
	s_cbranch_execnz .LBB1321_115
; %bb.116:
	s_or_b64 exec, exec, s[4:5]
	s_xor_b64 s[0:1], s[14:15], -1
.LBB1321_117:
	v_perm_b32 v22, v21, v21, s40
	s_or_b64 s[10:11], s[10:11], exec
.LBB1321_118:
	s_or_b64 exec, exec, s[12:13]
	s_branch .LBB1321_164
.LBB1321_119:
	v_add_u32_e32 v16, 6, v1
	v_cmp_gt_u32_e32 vcc, s50, v16
	s_mov_b64 s[12:13], 0
	s_mov_b64 s[4:5], 0
	s_and_saveexec_b64 s[14:15], vcc
	s_cbranch_execz .LBB1321_125
; %bb.120:
	s_andn2_b64 vcc, exec, s[6:7]
	s_mov_b64 s[0:1], 0
	s_cbranch_vccnz .LBB1321_124
; %bb.121:
	v_mul_lo_u32 v19, v5, s26
	s_waitcnt vmcnt(0) lgkmcnt(1)
	v_mul_lo_u32 v20, v4, s27
	v_mad_u64_u32 v[16:17], s[0:1], v4, s26, 0
	v_add3_u32 v17, v17, v20, v19
	v_mul_lo_u32 v19, v15, s26
	v_mul_lo_u32 v22, v14, s27
	v_mad_u64_u32 v[20:21], s[0:1], v14, s26, 0
	v_add3_u32 v21, v21, v22, v19
	s_add_u32 s40, s26, -1
	v_lshl_add_u64 v[16:17], v[16:17], 1, s[28:29]
	v_lshl_add_u64 v[20:21], v[20:21], 1, s[28:29]
	s_addc_u32 s41, s27, -1
                                        ; implicit-def: $sgpr38_sgpr39
.LBB1321_122:                           ; =>This Inner Loop Header: Depth=1
	global_load_ushort v19, v[16:17], off
	global_load_ushort v22, v[20:21], off
	s_add_u32 s0, s40, -1
	s_addc_u32 s1, s41, -1
	s_cmp_eq_u64 s[40:41], 0
	s_mov_b64 s[40:41], s[0:1]
	s_cselect_b64 s[42:43], -1, 0
	v_lshl_add_u64 v[16:17], v[16:17], 0, 2
	v_lshl_add_u64 v[20:21], v[20:21], 0, 2
	s_waitcnt vmcnt(0)
	v_cmp_neq_f16_e64 s[0:1], v19, v22
	s_or_b64 s[0:1], s[0:1], s[42:43]
	s_and_b64 s[0:1], exec, s[0:1]
	v_cmp_eq_f16_e32 vcc, v19, v22
	s_or_b64 s[4:5], s[0:1], s[4:5]
	s_andn2_b64 s[0:1], s[38:39], exec
	s_and_b64 s[38:39], vcc, exec
	s_or_b64 s[38:39], s[0:1], s[38:39]
	s_andn2_b64 exec, exec, s[4:5]
	s_cbranch_execnz .LBB1321_122
; %bb.123:
	s_or_b64 exec, exec, s[4:5]
	s_xor_b64 s[0:1], s[38:39], -1
.LBB1321_124:
	s_and_b64 s[4:5], s[0:1], exec
.LBB1321_125:
	s_or_b64 exec, exec, s[14:15]
	v_add_u32_e32 v16, 5, v1
	v_cmp_gt_u32_e32 vcc, s50, v16
	s_and_saveexec_b64 s[14:15], vcc
	s_cbranch_execz .LBB1321_131
; %bb.126:
	s_andn2_b64 vcc, exec, s[6:7]
	s_mov_b64 s[0:1], 0
	s_cbranch_vccnz .LBB1321_130
; %bb.127:
	v_mul_lo_u32 v19, v3, s26
	s_waitcnt vmcnt(0) lgkmcnt(1)
	v_mul_lo_u32 v20, v2, s27
	v_mad_u64_u32 v[16:17], s[0:1], v2, s26, 0
	v_add3_u32 v17, v17, v20, v19
	v_mul_lo_u32 v19, v5, s26
	v_mul_lo_u32 v22, v4, s27
	v_mad_u64_u32 v[20:21], s[0:1], v4, s26, 0
	v_add3_u32 v21, v21, v22, v19
	s_add_u32 s40, s26, -1
	v_lshl_add_u64 v[16:17], v[16:17], 1, s[28:29]
	v_lshl_add_u64 v[20:21], v[20:21], 1, s[28:29]
	s_addc_u32 s41, s27, -1
	s_mov_b64 s[12:13], 0
                                        ; implicit-def: $sgpr38_sgpr39
.LBB1321_128:                           ; =>This Inner Loop Header: Depth=1
	global_load_ushort v19, v[16:17], off
	global_load_ushort v22, v[20:21], off
	s_add_u32 s0, s40, -1
	s_addc_u32 s1, s41, -1
	s_cmp_eq_u64 s[40:41], 0
	s_mov_b64 s[40:41], s[0:1]
	s_cselect_b64 s[42:43], -1, 0
	v_lshl_add_u64 v[16:17], v[16:17], 0, 2
	v_lshl_add_u64 v[20:21], v[20:21], 0, 2
	s_waitcnt vmcnt(0)
	v_cmp_neq_f16_e64 s[0:1], v19, v22
	s_or_b64 s[0:1], s[0:1], s[42:43]
	s_and_b64 s[0:1], exec, s[0:1]
	v_cmp_eq_f16_e32 vcc, v19, v22
	s_or_b64 s[12:13], s[0:1], s[12:13]
	s_andn2_b64 s[0:1], s[38:39], exec
	s_and_b64 s[38:39], vcc, exec
	s_or_b64 s[38:39], s[0:1], s[38:39]
	s_andn2_b64 exec, exec, s[12:13]
	s_cbranch_execnz .LBB1321_128
; %bb.129:
	s_or_b64 exec, exec, s[12:13]
	s_xor_b64 s[0:1], s[38:39], -1
.LBB1321_130:
	s_and_b64 s[12:13], s[0:1], exec
.LBB1321_131:
	s_or_b64 exec, exec, s[14:15]
	v_add_u32_e32 v16, 4, v1
	v_cmp_gt_u32_e32 vcc, s50, v16
	s_mov_b64 s[14:15], 0
	s_mov_b64 s[38:39], 0
	s_and_saveexec_b64 s[40:41], vcc
	s_cbranch_execz .LBB1321_137
; %bb.132:
	s_andn2_b64 vcc, exec, s[6:7]
	s_mov_b64 s[0:1], 0
	s_cbranch_vccnz .LBB1321_136
; %bb.133:
	v_mul_lo_u32 v19, v9, s26
	s_waitcnt vmcnt(0) lgkmcnt(1)
	v_mul_lo_u32 v20, v8, s27
	v_mad_u64_u32 v[16:17], s[0:1], v8, s26, 0
	v_add3_u32 v17, v17, v20, v19
	v_mul_lo_u32 v19, v3, s26
	v_mul_lo_u32 v22, v2, s27
	v_mad_u64_u32 v[20:21], s[0:1], v2, s26, 0
	v_add3_u32 v21, v21, v22, v19
	s_add_u32 s44, s26, -1
	v_lshl_add_u64 v[16:17], v[16:17], 1, s[28:29]
	v_lshl_add_u64 v[20:21], v[20:21], 1, s[28:29]
	s_addc_u32 s45, s27, -1
                                        ; implicit-def: $sgpr42_sgpr43
.LBB1321_134:                           ; =>This Inner Loop Header: Depth=1
	global_load_ushort v19, v[16:17], off
	global_load_ushort v22, v[20:21], off
	s_add_u32 s0, s44, -1
	s_addc_u32 s1, s45, -1
	s_cmp_eq_u64 s[44:45], 0
	s_mov_b64 s[44:45], s[0:1]
	s_cselect_b64 s[46:47], -1, 0
	v_lshl_add_u64 v[16:17], v[16:17], 0, 2
	v_lshl_add_u64 v[20:21], v[20:21], 0, 2
	s_waitcnt vmcnt(0)
	v_cmp_neq_f16_e64 s[0:1], v19, v22
	s_or_b64 s[0:1], s[0:1], s[46:47]
	s_and_b64 s[0:1], exec, s[0:1]
	v_cmp_eq_f16_e32 vcc, v19, v22
	s_or_b64 s[38:39], s[0:1], s[38:39]
	s_andn2_b64 s[0:1], s[42:43], exec
	s_and_b64 s[42:43], vcc, exec
	s_or_b64 s[42:43], s[0:1], s[42:43]
	s_andn2_b64 exec, exec, s[38:39]
	s_cbranch_execnz .LBB1321_134
; %bb.135:
	s_or_b64 exec, exec, s[38:39]
	s_xor_b64 s[0:1], s[42:43], -1
.LBB1321_136:
	s_and_b64 s[38:39], s[0:1], exec
.LBB1321_137:
	s_or_b64 exec, exec, s[40:41]
	v_add_u32_e32 v16, 3, v1
	v_cmp_gt_u32_e32 vcc, s50, v16
	s_and_saveexec_b64 s[40:41], vcc
	s_cbranch_execz .LBB1321_143
; %bb.138:
	s_andn2_b64 vcc, exec, s[6:7]
	s_mov_b64 s[0:1], 0
	s_cbranch_vccnz .LBB1321_142
; %bb.139:
	v_mul_lo_u32 v19, v7, s26
	s_waitcnt vmcnt(0) lgkmcnt(1)
	v_mul_lo_u32 v20, v6, s27
	v_mad_u64_u32 v[16:17], s[0:1], v6, s26, 0
	v_add3_u32 v17, v17, v20, v19
	v_mul_lo_u32 v19, v9, s26
	v_mul_lo_u32 v22, v8, s27
	v_mad_u64_u32 v[20:21], s[0:1], v8, s26, 0
	v_add3_u32 v21, v21, v22, v19
	s_add_u32 s44, s26, -1
	v_lshl_add_u64 v[16:17], v[16:17], 1, s[28:29]
	v_lshl_add_u64 v[20:21], v[20:21], 1, s[28:29]
	s_addc_u32 s45, s27, -1
	s_mov_b64 s[14:15], 0
                                        ; implicit-def: $sgpr42_sgpr43
.LBB1321_140:                           ; =>This Inner Loop Header: Depth=1
	global_load_ushort v19, v[16:17], off
	global_load_ushort v22, v[20:21], off
	s_add_u32 s0, s44, -1
	s_addc_u32 s1, s45, -1
	s_cmp_eq_u64 s[44:45], 0
	s_mov_b64 s[44:45], s[0:1]
	s_cselect_b64 s[46:47], -1, 0
	v_lshl_add_u64 v[16:17], v[16:17], 0, 2
	v_lshl_add_u64 v[20:21], v[20:21], 0, 2
	s_waitcnt vmcnt(0)
	v_cmp_neq_f16_e64 s[0:1], v19, v22
	s_or_b64 s[0:1], s[0:1], s[46:47]
	s_and_b64 s[0:1], exec, s[0:1]
	v_cmp_eq_f16_e32 vcc, v19, v22
	s_or_b64 s[14:15], s[0:1], s[14:15]
	s_andn2_b64 s[0:1], s[42:43], exec
	s_and_b64 s[42:43], vcc, exec
	s_or_b64 s[42:43], s[0:1], s[42:43]
	s_andn2_b64 exec, exec, s[14:15]
	s_cbranch_execnz .LBB1321_140
; %bb.141:
	s_or_b64 exec, exec, s[14:15]
	s_xor_b64 s[0:1], s[42:43], -1
.LBB1321_142:
	s_and_b64 s[14:15], s[0:1], exec
.LBB1321_143:
	s_or_b64 exec, exec, s[40:41]
	v_add_u32_e32 v16, 2, v1
	v_cmp_gt_u32_e32 vcc, s50, v16
	s_mov_b64 s[40:41], 0
	s_mov_b64 s[42:43], 0
	s_and_saveexec_b64 s[44:45], vcc
	s_cbranch_execz .LBB1321_149
; %bb.144:
	s_andn2_b64 vcc, exec, s[6:7]
	s_mov_b64 s[0:1], 0
	s_cbranch_vccnz .LBB1321_148
; %bb.145:
	v_mul_lo_u32 v19, v13, s26
	s_waitcnt vmcnt(0) lgkmcnt(1)
	v_mul_lo_u32 v20, v12, s27
	v_mad_u64_u32 v[16:17], s[0:1], v12, s26, 0
	v_add3_u32 v17, v17, v20, v19
	v_mul_lo_u32 v19, v7, s26
	v_mul_lo_u32 v22, v6, s27
	v_mad_u64_u32 v[20:21], s[0:1], v6, s26, 0
	v_add3_u32 v21, v21, v22, v19
	s_add_u32 s48, s26, -1
	v_lshl_add_u64 v[16:17], v[16:17], 1, s[28:29]
	v_lshl_add_u64 v[20:21], v[20:21], 1, s[28:29]
	s_addc_u32 s49, s27, -1
                                        ; implicit-def: $sgpr46_sgpr47
.LBB1321_146:                           ; =>This Inner Loop Header: Depth=1
	global_load_ushort v19, v[16:17], off
	global_load_ushort v22, v[20:21], off
	s_add_u32 s0, s48, -1
	s_addc_u32 s1, s49, -1
	s_cmp_eq_u64 s[48:49], 0
	s_mov_b64 s[48:49], s[0:1]
	s_cselect_b64 s[52:53], -1, 0
	v_lshl_add_u64 v[16:17], v[16:17], 0, 2
	v_lshl_add_u64 v[20:21], v[20:21], 0, 2
	s_waitcnt vmcnt(0)
	v_cmp_neq_f16_e64 s[0:1], v19, v22
	s_or_b64 s[0:1], s[0:1], s[52:53]
	s_and_b64 s[0:1], exec, s[0:1]
	v_cmp_eq_f16_e32 vcc, v19, v22
	s_or_b64 s[42:43], s[0:1], s[42:43]
	s_andn2_b64 s[0:1], s[46:47], exec
	s_and_b64 s[46:47], vcc, exec
	s_or_b64 s[46:47], s[0:1], s[46:47]
	s_andn2_b64 exec, exec, s[42:43]
	s_cbranch_execnz .LBB1321_146
; %bb.147:
	s_or_b64 exec, exec, s[42:43]
	s_xor_b64 s[0:1], s[46:47], -1
.LBB1321_148:
	s_and_b64 s[42:43], s[0:1], exec
.LBB1321_149:
	s_or_b64 exec, exec, s[44:45]
	v_add_u32_e32 v16, 1, v1
	v_cmp_gt_u32_e32 vcc, s50, v16
	s_and_saveexec_b64 s[44:45], vcc
	s_cbranch_execz .LBB1321_155
; %bb.150:
	s_andn2_b64 vcc, exec, s[6:7]
	s_mov_b64 s[0:1], 0
	s_cbranch_vccnz .LBB1321_154
; %bb.151:
	v_mul_lo_u32 v19, v11, s26
	s_waitcnt vmcnt(0) lgkmcnt(1)
	v_mul_lo_u32 v20, v10, s27
	v_mad_u64_u32 v[16:17], s[0:1], v10, s26, 0
	v_add3_u32 v17, v17, v20, v19
	v_mul_lo_u32 v19, v13, s26
	v_mul_lo_u32 v22, v12, s27
	v_mad_u64_u32 v[20:21], s[0:1], v12, s26, 0
	v_add3_u32 v21, v21, v22, v19
	s_add_u32 s48, s26, -1
	v_lshl_add_u64 v[16:17], v[16:17], 1, s[28:29]
	v_lshl_add_u64 v[20:21], v[20:21], 1, s[28:29]
	s_addc_u32 s49, s27, -1
	s_mov_b64 s[40:41], 0
                                        ; implicit-def: $sgpr46_sgpr47
.LBB1321_152:                           ; =>This Inner Loop Header: Depth=1
	global_load_ushort v19, v[16:17], off
	global_load_ushort v22, v[20:21], off
	s_add_u32 s0, s48, -1
	s_addc_u32 s1, s49, -1
	s_cmp_eq_u64 s[48:49], 0
	s_mov_b64 s[48:49], s[0:1]
	s_cselect_b64 s[52:53], -1, 0
	v_lshl_add_u64 v[16:17], v[16:17], 0, 2
	v_lshl_add_u64 v[20:21], v[20:21], 0, 2
	s_waitcnt vmcnt(0)
	v_cmp_neq_f16_e64 s[0:1], v19, v22
	s_or_b64 s[0:1], s[0:1], s[52:53]
	s_and_b64 s[0:1], exec, s[0:1]
	v_cmp_eq_f16_e32 vcc, v19, v22
	s_or_b64 s[40:41], s[0:1], s[40:41]
	s_andn2_b64 s[0:1], s[46:47], exec
	s_and_b64 s[46:47], vcc, exec
	s_or_b64 s[46:47], s[0:1], s[46:47]
	s_andn2_b64 exec, exec, s[40:41]
	s_cbranch_execnz .LBB1321_152
; %bb.153:
	s_or_b64 exec, exec, s[40:41]
	s_xor_b64 s[0:1], s[46:47], -1
.LBB1321_154:
	s_and_b64 s[40:41], s[0:1], exec
.LBB1321_155:
	s_or_b64 exec, exec, s[44:45]
	v_cndmask_b32_e64 v17, 0, 1, s[38:39]
	v_cndmask_b32_e64 v40, 0, 1, s[12:13]
	;; [unrolled: 1-line block ×4, first 2 shown]
	s_waitcnt vmcnt(0) lgkmcnt(1)
	v_cndmask_b32_e64 v20, 0, 1, s[14:15]
	v_cndmask_b32_e64 v42, 0, 1, s[40:41]
	v_mov_b32_e32 v16, 1
	s_waitcnt lgkmcnt(0)
	s_barrier
                                        ; implicit-def: $sgpr0_sgpr1
                                        ; implicit-def: $vgpr22
	s_and_saveexec_b64 s[4:5], s[2:3]
	s_cbranch_execz .LBB1321_163
; %bb.156:
	v_lshlrev_b16_e32 v21, 8, v42
	v_lshlrev_b16_e32 v22, 8, v20
	v_or_b32_e32 v21, 1, v21
	v_or_b32_sdwa v22, v41, v22 dst_sel:WORD_1 dst_unused:UNUSED_PAD src0_sel:DWORD src1_sel:DWORD
	v_cmp_gt_u32_e32 vcc, s50, v1
	v_or_b32_sdwa v21, v21, v22 dst_sel:DWORD dst_unused:UNUSED_PAD src0_sel:WORD_0 src1_sel:DWORD
	s_mov_b32 s38, 0x3020104
	s_mov_b64 s[0:1], 0
	s_and_saveexec_b64 s[2:3], vcc
	s_cbranch_execz .LBB1321_162
; %bb.157:
	s_andn2_b64 vcc, exec, s[6:7]
	s_cbranch_vccnz .LBB1321_161
; %bb.158:
	v_add_u32_e32 v22, -8, v26
	ds_read_b64 v[22:23], v22
	v_mul_lo_u32 v26, v11, s26
	v_mul_lo_u32 v27, v10, s27
	s_add_u32 s14, s26, -1
	s_addc_u32 s15, s27, -1
	s_waitcnt lgkmcnt(0)
	v_mul_lo_u32 v24, v23, s26
	v_mul_lo_u32 v25, v22, s27
	v_mad_u64_u32 v[22:23], s[0:1], v22, s26, 0
	v_add3_u32 v23, v23, v25, v24
	v_mad_u64_u32 v[24:25], s[0:1], v10, s26, 0
	v_add3_u32 v25, v25, v27, v26
	v_lshl_add_u64 v[22:23], v[22:23], 1, s[28:29]
	v_lshl_add_u64 v[24:25], v[24:25], 1, s[28:29]
	s_mov_b64 s[6:7], 0
                                        ; implicit-def: $sgpr12_sgpr13
.LBB1321_159:                           ; =>This Inner Loop Header: Depth=1
	global_load_ushort v26, v[22:23], off
	global_load_ushort v27, v[24:25], off
	s_add_u32 s0, s14, -1
	s_addc_u32 s1, s15, -1
	s_cmp_eq_u64 s[14:15], 0
	s_mov_b64 s[14:15], s[0:1]
	s_cselect_b64 s[26:27], -1, 0
	v_lshl_add_u64 v[22:23], v[22:23], 0, 2
	v_lshl_add_u64 v[24:25], v[24:25], 0, 2
	s_waitcnt vmcnt(0)
	v_cmp_neq_f16_e64 s[0:1], v26, v27
	s_or_b64 s[0:1], s[0:1], s[26:27]
	s_and_b64 s[0:1], exec, s[0:1]
	v_cmp_eq_f16_e32 vcc, v26, v27
	s_or_b64 s[6:7], s[0:1], s[6:7]
	s_andn2_b64 s[0:1], s[12:13], exec
	s_and_b64 s[12:13], vcc, exec
	s_or_b64 s[12:13], s[0:1], s[12:13]
	s_andn2_b64 exec, exec, s[6:7]
	s_cbranch_execnz .LBB1321_159
; %bb.160:
	s_or_b64 exec, exec, s[6:7]
	s_xor_b64 s[0:1], s[12:13], -1
.LBB1321_161:
	s_and_b64 s[0:1], s[0:1], exec
.LBB1321_162:
	s_or_b64 exec, exec, s[2:3]
	v_perm_b32 v22, v21, v21, s38
	s_or_b64 s[10:11], s[10:11], exec
.LBB1321_163:
	s_or_b64 exec, exec, s[4:5]
.LBB1321_164:
	s_and_saveexec_b64 s[2:3], s[10:11]
	s_cbranch_execz .LBB1321_166
; %bb.165:
	s_waitcnt vmcnt(0) lgkmcnt(0)
	v_lshrrev_b32_e32 v20, 24, v22
	v_lshrrev_b32_e32 v41, 16, v22
	;; [unrolled: 1-line block ×3, first 2 shown]
	v_cndmask_b32_e64 v16, 0, 1, s[0:1]
.LBB1321_166:
	s_or_b64 exec, exec, s[2:3]
	s_andn2_b64 vcc, exec, s[8:9]
	s_cbranch_vccnz .LBB1321_170
; %bb.167:
	s_mov_b32 s0, 0xc0c0004
	s_waitcnt vmcnt(0) lgkmcnt(0)
	v_perm_b32 v20, v41, v20, s0
	v_perm_b32 v16, v16, v42, s0
	v_lshlrev_b32_e32 v20, 16, v20
	v_or_b32_e32 v16, v16, v20
	v_cmp_gt_u32_e32 vcc, s50, v1
	v_add_u32_e32 v22, 1, v1
	v_perm_b32 v17, v17, v40, s0
	v_cndmask_b32_e32 v20, v20, v16, vcc
	v_and_b32_e32 v20, 0xffff00ff, v20
	v_cmp_gt_u32_e32 vcc, s50, v22
	v_add_u32_e32 v22, 2, v1
	s_mov_b32 s0, 0x40c0100
	v_cndmask_b32_e32 v20, v20, v16, vcc
	v_lshrrev_b32_e32 v23, 24, v20
	v_and_b32_e32 v19, 0xff, v19
	v_perm_b32 v20, v23, v20, s0
	v_cmp_gt_u32_e32 vcc, s50, v22
	v_lshlrev_b32_e32 v19, 16, v19
	v_add_u32_e32 v22, 3, v1
	v_cndmask_b32_e32 v20, v20, v16, vcc
	s_mov_b32 s0, 0xffff00
	v_or_b32_e32 v21, v17, v19
	v_and_b32_e32 v20, 0xffffff, v20
	v_cmp_gt_u32_e32 vcc, s50, v22
	v_bitop3_b32 v17, v17, s0, v19 bitop3:0xc8
	v_add_u32_e32 v19, 4, v1
	v_cndmask_b32_e32 v20, v20, v16, vcc
	v_cmp_gt_u32_e32 vcc, s50, v19
	v_add_u32_e32 v19, 5, v1
	v_cmp_gt_u32_e64 s[0:1], s50, v19
	v_cndmask_b32_e32 v17, v17, v21, vcc
	v_and_b32_e32 v17, 0xffff00ff, v17
	s_or_b64 vcc, s[0:1], vcc
	v_cndmask_b32_e64 v17, v17, v21, s[0:1]
	v_cndmask_b32_e32 v16, v20, v16, vcc
	v_add_u32_e32 v1, 6, v1
	v_lshrrev_b32_e32 v41, 16, v16
	v_lshrrev_b32_e32 v42, 8, v16
	v_lshrrev_b64 v[20:21], 24, v[16:17]
	v_lshrrev_b32_e32 v19, 16, v17
	v_lshrrev_b32_e32 v40, 8, v17
	v_cmp_le_u32_e32 vcc, s50, v1
	s_and_saveexec_b64 s[0:1], vcc
; %bb.168:
	v_mov_b32_e32 v19, 0
; %bb.169:
	s_or_b64 exec, exec, s[0:1]
.LBB1321_170:
	v_and_b32_e32 v1, 0xff, v16
	s_waitcnt vmcnt(0) lgkmcnt(0)
	v_and_b32_e32 v21, 0xff, v42
	v_and_b32_e32 v33, 0xff, v41
	v_and_b32_e32 v35, 0xff, v20
	v_and_b32_e32 v37, 0xff, v17
	v_add3_u32 v23, v21, v1, v33
	v_and_b32_e32 v39, 0xff, v40
	v_and_b32_e32 v22, 0xff, v19
	v_add3_u32 v23, v23, v35, v37
	v_add3_u32 v45, v23, v39, v22
	v_mbcnt_lo_u32_b32 v22, -1, 0
	v_mbcnt_hi_u32_b32 v43, -1, v22
	v_and_b32_e32 v22, 15, v43
	v_cmp_eq_u32_e64 s[14:15], 0, v22
	v_cmp_lt_u32_e64 s[12:13], 1, v22
	v_cmp_lt_u32_e64 s[10:11], 3, v22
	;; [unrolled: 1-line block ×3, first 2 shown]
	v_and_b32_e32 v22, 16, v43
	v_cmp_eq_u32_e64 s[6:7], 0, v22
	v_or_b32_e32 v22, 63, v0
	v_cmp_lt_u32_e64 s[2:3], 31, v43
	v_lshrrev_b32_e32 v44, 6, v0
	v_cmp_eq_u32_e64 s[4:5], v0, v22
	s_and_b64 vcc, exec, s[16:17]
	s_barrier
	s_cbranch_vccz .LBB1321_192
; %bb.171:
	v_mov_b32_dpp v22, v45 row_shr:1 row_mask:0xf bank_mask:0xf
	v_cndmask_b32_e64 v22, v22, 0, s[14:15]
	v_add_u32_e32 v22, v22, v45
	s_nop 1
	v_mov_b32_dpp v23, v22 row_shr:2 row_mask:0xf bank_mask:0xf
	v_cndmask_b32_e64 v23, 0, v23, s[12:13]
	v_add_u32_e32 v22, v22, v23
	s_nop 1
	;; [unrolled: 4-line block ×4, first 2 shown]
	v_mov_b32_dpp v23, v22 row_bcast:15 row_mask:0xf bank_mask:0xf
	v_cndmask_b32_e64 v23, v23, 0, s[6:7]
	v_add_u32_e32 v22, v22, v23
	s_nop 1
	v_mov_b32_dpp v23, v22 row_bcast:31 row_mask:0xf bank_mask:0xf
	v_cndmask_b32_e64 v23, 0, v23, s[2:3]
	v_add_u32_e32 v22, v22, v23
	s_and_saveexec_b64 s[0:1], s[4:5]
; %bb.172:
	v_lshlrev_b32_e32 v23, 2, v44
	ds_write_b32 v23, v22
; %bb.173:
	s_or_b64 exec, exec, s[0:1]
	v_cmp_gt_u32_e32 vcc, 8, v0
	s_waitcnt lgkmcnt(0)
	s_barrier
	s_and_saveexec_b64 s[0:1], vcc
	s_cbranch_execz .LBB1321_175
; %bb.174:
	v_lshlrev_b32_e32 v23, 2, v0
	ds_read_b32 v24, v23
	v_and_b32_e32 v25, 7, v43
	v_cmp_ne_u32_e32 vcc, 0, v25
	s_waitcnt lgkmcnt(0)
	v_mov_b32_dpp v26, v24 row_shr:1 row_mask:0xf bank_mask:0xf
	v_cndmask_b32_e32 v26, 0, v26, vcc
	v_add_u32_e32 v24, v26, v24
	v_cmp_lt_u32_e32 vcc, 1, v25
	s_nop 0
	v_mov_b32_dpp v26, v24 row_shr:2 row_mask:0xf bank_mask:0xf
	v_cndmask_b32_e32 v26, 0, v26, vcc
	v_add_u32_e32 v24, v24, v26
	v_cmp_lt_u32_e32 vcc, 3, v25
	s_nop 0
	v_mov_b32_dpp v26, v24 row_shr:4 row_mask:0xf bank_mask:0xf
	v_cndmask_b32_e32 v25, 0, v26, vcc
	v_add_u32_e32 v24, v24, v25
	ds_write_b32 v23, v24
.LBB1321_175:
	s_or_b64 exec, exec, s[0:1]
	v_cmp_gt_u32_e32 vcc, 64, v0
	v_cmp_lt_u32_e64 s[0:1], 63, v0
	s_waitcnt lgkmcnt(0)
	s_barrier
                                        ; implicit-def: $vgpr32
	s_and_saveexec_b64 s[16:17], s[0:1]
	s_cbranch_execz .LBB1321_177
; %bb.176:
	v_lshl_add_u32 v23, v44, 2, -4
	ds_read_b32 v32, v23
	s_waitcnt lgkmcnt(0)
	v_add_u32_e32 v22, v32, v22
.LBB1321_177:
	s_or_b64 exec, exec, s[16:17]
	v_subrev_co_u32_e64 v23, s[16:17], 1, v43
	v_and_b32_e32 v24, 64, v43
	v_cmp_lt_i32_e64 s[0:1], v23, v24
	s_nop 1
	v_cndmask_b32_e64 v23, v23, v43, s[0:1]
	v_lshlrev_b32_e32 v23, 2, v23
	ds_bpermute_b32 v34, v23, v22
	s_and_saveexec_b64 s[0:1], vcc
	s_cbranch_execz .LBB1321_197
; %bb.178:
	v_mov_b32_e32 v29, 0
	ds_read_b32 v22, v29 offset:28
	s_and_saveexec_b64 s[26:27], s[16:17]
	s_cbranch_execz .LBB1321_180
; %bb.179:
	s_add_i32 s28, s33, 64
	s_mov_b32 s29, 0
	s_lshl_b64 s[28:29], s[28:29], 3
	s_add_u32 s28, s30, s28
	v_mov_b32_e32 v23, 1
	s_addc_u32 s29, s31, s29
	s_waitcnt lgkmcnt(0)
	global_store_dwordx2 v29, v[22:23], s[28:29] sc1
.LBB1321_180:
	s_or_b64 exec, exec, s[26:27]
	v_xad_u32 v24, v43, -1, s33
	v_add_u32_e32 v28, 64, v24
	v_lshl_add_u64 v[30:31], v[28:29], 3, s[30:31]
	global_load_dwordx2 v[26:27], v[30:31], off sc1
	s_waitcnt vmcnt(0)
	v_cmp_eq_u16_sdwa s[28:29], v27, v29 src0_sel:BYTE_0 src1_sel:DWORD
	s_and_saveexec_b64 s[26:27], s[28:29]
	s_cbranch_execz .LBB1321_184
; %bb.181:
	s_mov_b64 s[28:29], 0
	v_mov_b32_e32 v23, 0
.LBB1321_182:                           ; =>This Inner Loop Header: Depth=1
	global_load_dwordx2 v[26:27], v[30:31], off sc1
	s_waitcnt vmcnt(0)
	v_cmp_ne_u16_sdwa s[38:39], v27, v23 src0_sel:BYTE_0 src1_sel:DWORD
	s_or_b64 s[28:29], s[38:39], s[28:29]
	s_andn2_b64 exec, exec, s[28:29]
	s_cbranch_execnz .LBB1321_182
; %bb.183:
	s_or_b64 exec, exec, s[28:29]
.LBB1321_184:
	s_or_b64 exec, exec, s[26:27]
	v_and_b32_e32 v38, 63, v43
	v_mov_b32_e32 v36, 2
	v_cmp_ne_u32_e32 vcc, 63, v38
	v_cmp_eq_u16_sdwa s[26:27], v27, v36 src0_sel:BYTE_0 src1_sel:DWORD
	v_lshlrev_b64 v[28:29], v43, -1
	v_addc_co_u32_e32 v30, vcc, 0, v43, vcc
	v_and_b32_e32 v23, s27, v29
	v_lshlrev_b32_e32 v46, 2, v30
	v_or_b32_e32 v23, 0x80000000, v23
	ds_bpermute_b32 v30, v46, v26
	v_and_b32_e32 v25, s26, v28
	v_ffbl_b32_e32 v23, v23
	v_add_u32_e32 v23, 32, v23
	v_ffbl_b32_e32 v25, v25
	v_min_u32_e32 v23, v25, v23
	v_cmp_lt_u32_e32 vcc, v38, v23
	v_add_u32_e32 v48, 2, v38
	v_add_u32_e32 v50, 4, v38
	s_waitcnt lgkmcnt(0)
	v_cndmask_b32_e32 v25, 0, v30, vcc
	v_cmp_gt_u32_e32 vcc, 62, v38
	v_add_u32_e32 v25, v25, v26
	v_add_u32_e32 v52, 8, v38
	v_cndmask_b32_e64 v26, 0, 2, vcc
	v_add_lshl_u32 v47, v26, v43, 2
	ds_bpermute_b32 v26, v47, v25
	v_cmp_le_u32_e32 vcc, v48, v23
	v_add_u32_e32 v54, 16, v38
	v_add_u32_e32 v56, 32, v38
	s_waitcnt lgkmcnt(0)
	v_cndmask_b32_e32 v26, 0, v26, vcc
	v_cmp_gt_u32_e32 vcc, 60, v38
	v_add_u32_e32 v25, v25, v26
	s_nop 0
	v_cndmask_b32_e64 v26, 0, 4, vcc
	v_add_lshl_u32 v49, v26, v43, 2
	ds_bpermute_b32 v26, v49, v25
	v_cmp_le_u32_e32 vcc, v50, v23
	s_waitcnt lgkmcnt(0)
	s_nop 0
	v_cndmask_b32_e32 v26, 0, v26, vcc
	v_cmp_gt_u32_e32 vcc, 56, v38
	v_add_u32_e32 v25, v25, v26
	s_nop 0
	v_cndmask_b32_e64 v26, 0, 8, vcc
	v_add_lshl_u32 v51, v26, v43, 2
	ds_bpermute_b32 v26, v51, v25
	v_cmp_le_u32_e32 vcc, v52, v23
	s_waitcnt lgkmcnt(0)
	s_nop 0
	;; [unrolled: 10-line block ×3, first 2 shown]
	v_cndmask_b32_e32 v26, 0, v26, vcc
	v_add_u32_e32 v25, v25, v26
	v_mov_b32_e32 v26, 0x80
	v_lshl_or_b32 v55, v43, 2, v26
	ds_bpermute_b32 v26, v55, v25
	v_cmp_le_u32_e32 vcc, v56, v23
	s_waitcnt lgkmcnt(0)
	s_nop 0
	v_cndmask_b32_e32 v23, 0, v26, vcc
	v_add_u32_e32 v26, v25, v23
	v_mov_b32_e32 v25, 0
	s_branch .LBB1321_187
.LBB1321_185:                           ;   in Loop: Header=BB1321_187 Depth=1
	s_or_b64 exec, exec, s[26:27]
	v_cmp_eq_u16_sdwa s[26:27], v27, v36 src0_sel:BYTE_0 src1_sel:DWORD
	ds_bpermute_b32 v57, v46, v26
	v_subrev_u32_e32 v24, 64, v24
	v_and_b32_e32 v30, s27, v29
	v_or_b32_e32 v30, 0x80000000, v30
	v_and_b32_e32 v31, s26, v28
	v_ffbl_b32_e32 v30, v30
	v_add_u32_e32 v30, 32, v30
	v_ffbl_b32_e32 v31, v31
	v_min_u32_e32 v30, v31, v30
	v_cmp_lt_u32_e32 vcc, v38, v30
	s_mov_b64 s[26:27], 0
	s_waitcnt lgkmcnt(0)
	v_cndmask_b32_e32 v31, 0, v57, vcc
	v_add_u32_e32 v26, v31, v26
	ds_bpermute_b32 v31, v47, v26
	v_cmp_le_u32_e32 vcc, v48, v30
	s_waitcnt lgkmcnt(0)
	s_nop 0
	v_cndmask_b32_e32 v31, 0, v31, vcc
	v_add_u32_e32 v26, v26, v31
	ds_bpermute_b32 v31, v49, v26
	v_cmp_le_u32_e32 vcc, v50, v30
	s_waitcnt lgkmcnt(0)
	s_nop 0
	;; [unrolled: 6-line block ×5, first 2 shown]
	v_cndmask_b32_e32 v30, 0, v31, vcc
	v_add3_u32 v26, v30, v23, v26
.LBB1321_186:                           ;   in Loop: Header=BB1321_187 Depth=1
	s_and_b64 vcc, exec, s[26:27]
	s_cbranch_vccnz .LBB1321_193
.LBB1321_187:                           ; =>This Loop Header: Depth=1
                                        ;     Child Loop BB1321_190 Depth 2
	v_cmp_ne_u16_sdwa s[26:27], v27, v36 src0_sel:BYTE_0 src1_sel:DWORD
	v_mov_b32_e32 v23, v26
	s_cmp_lg_u64 s[26:27], exec
	s_mov_b64 s[26:27], -1
                                        ; implicit-def: $vgpr26
                                        ; implicit-def: $vgpr27
	s_cbranch_scc1 .LBB1321_186
; %bb.188:                              ;   in Loop: Header=BB1321_187 Depth=1
	v_lshl_add_u64 v[30:31], v[24:25], 3, s[30:31]
	global_load_dwordx2 v[26:27], v[30:31], off sc1
	s_waitcnt vmcnt(0)
	v_cmp_eq_u16_sdwa s[28:29], v27, v25 src0_sel:BYTE_0 src1_sel:DWORD
	s_and_saveexec_b64 s[26:27], s[28:29]
	s_cbranch_execz .LBB1321_185
; %bb.189:                              ;   in Loop: Header=BB1321_187 Depth=1
	s_mov_b64 s[28:29], 0
.LBB1321_190:                           ;   Parent Loop BB1321_187 Depth=1
                                        ; =>  This Inner Loop Header: Depth=2
	global_load_dwordx2 v[26:27], v[30:31], off sc1
	s_waitcnt vmcnt(0)
	v_cmp_ne_u16_sdwa s[38:39], v27, v25 src0_sel:BYTE_0 src1_sel:DWORD
	s_or_b64 s[28:29], s[38:39], s[28:29]
	s_andn2_b64 exec, exec, s[28:29]
	s_cbranch_execnz .LBB1321_190
; %bb.191:                              ;   in Loop: Header=BB1321_187 Depth=1
	s_or_b64 exec, exec, s[28:29]
	s_branch .LBB1321_185
.LBB1321_192:
                                        ; implicit-def: $vgpr26
                                        ; implicit-def: $vgpr28
                                        ; implicit-def: $vgpr30
                                        ; implicit-def: $vgpr32
                                        ; implicit-def: $vgpr34
                                        ; implicit-def: $vgpr36
                                        ; implicit-def: $vgpr38
                                        ; implicit-def: $vgpr24
                                        ; implicit-def: $vgpr22
	s_cbranch_execnz .LBB1321_198
	s_branch .LBB1321_207
.LBB1321_193:
	s_and_saveexec_b64 s[26:27], s[16:17]
	s_cbranch_execz .LBB1321_195
; %bb.194:
	s_add_i32 s28, s33, 64
	s_mov_b32 s29, 0
	s_lshl_b64 s[28:29], s[28:29], 3
	s_add_u32 s28, s30, s28
	v_add_u32_e32 v24, v23, v22
	v_mov_b32_e32 v25, 2
	s_addc_u32 s29, s31, s29
	v_mov_b32_e32 v26, 0
	global_store_dwordx2 v26, v[24:25], s[28:29] sc1
	ds_write_b64 v26, v[22:23] offset:28672
.LBB1321_195:
	s_or_b64 exec, exec, s[26:27]
	s_and_b64 exec, exec, s[18:19]
; %bb.196:
	v_mov_b32_e32 v22, 0
	ds_write_b32 v22, v23 offset:28
.LBB1321_197:
	s_or_b64 exec, exec, s[0:1]
	v_mov_b32_e32 v22, 0
	s_waitcnt lgkmcnt(0)
	s_barrier
	ds_read_b32 v23, v22 offset:28
	v_cndmask_b32_e64 v24, v34, v32, s[16:17]
	v_cndmask_b32_e64 v24, v24, 0, s[18:19]
	s_waitcnt lgkmcnt(0)
	s_barrier
	v_add_u32_e32 v38, v23, v24
	v_add_u32_e32 v36, v38, v1
	ds_read_b64 v[22:23], v22 offset:28672
	v_add_u32_e32 v34, v36, v21
	v_add_u32_e32 v32, v34, v33
	;; [unrolled: 1-line block ×5, first 2 shown]
	s_waitcnt lgkmcnt(0)
	v_mov_b32_e32 v24, v23
	s_branch .LBB1321_207
.LBB1321_198:
	v_mov_b32_dpp v22, v45 row_shr:1 row_mask:0xf bank_mask:0xf
	v_cndmask_b32_e64 v22, v22, 0, s[14:15]
	v_add_u32_e32 v22, v22, v45
	s_nop 1
	v_mov_b32_dpp v23, v22 row_shr:2 row_mask:0xf bank_mask:0xf
	v_cndmask_b32_e64 v23, 0, v23, s[12:13]
	v_add_u32_e32 v22, v22, v23
	s_nop 1
	v_mov_b32_dpp v23, v22 row_shr:4 row_mask:0xf bank_mask:0xf
	v_cndmask_b32_e64 v23, 0, v23, s[10:11]
	v_add_u32_e32 v22, v22, v23
	s_nop 1
	v_mov_b32_dpp v23, v22 row_shr:8 row_mask:0xf bank_mask:0xf
	v_cndmask_b32_e64 v23, 0, v23, s[8:9]
	v_add_u32_e32 v22, v22, v23
	s_nop 1
	v_mov_b32_dpp v23, v22 row_bcast:15 row_mask:0xf bank_mask:0xf
	v_cndmask_b32_e64 v23, v23, 0, s[6:7]
	v_add_u32_e32 v22, v22, v23
	s_nop 1
	v_mov_b32_dpp v23, v22 row_bcast:31 row_mask:0xf bank_mask:0xf
	v_cndmask_b32_e64 v23, 0, v23, s[2:3]
	v_add_u32_e32 v22, v22, v23
	s_and_saveexec_b64 s[0:1], s[4:5]
; %bb.199:
	v_lshlrev_b32_e32 v23, 2, v44
	ds_write_b32 v23, v22
; %bb.200:
	s_or_b64 exec, exec, s[0:1]
	v_cmp_gt_u32_e32 vcc, 8, v0
	s_waitcnt lgkmcnt(0)
	s_barrier
	s_and_saveexec_b64 s[0:1], vcc
	s_cbranch_execz .LBB1321_202
; %bb.201:
	v_lshlrev_b32_e32 v23, 2, v0
	ds_read_b32 v24, v23
	v_and_b32_e32 v25, 7, v43
	v_cmp_ne_u32_e32 vcc, 0, v25
	s_waitcnt lgkmcnt(0)
	v_mov_b32_dpp v26, v24 row_shr:1 row_mask:0xf bank_mask:0xf
	v_cndmask_b32_e32 v26, 0, v26, vcc
	v_add_u32_e32 v24, v26, v24
	v_cmp_lt_u32_e32 vcc, 1, v25
	s_nop 0
	v_mov_b32_dpp v26, v24 row_shr:2 row_mask:0xf bank_mask:0xf
	v_cndmask_b32_e32 v26, 0, v26, vcc
	v_add_u32_e32 v24, v24, v26
	v_cmp_lt_u32_e32 vcc, 3, v25
	s_nop 0
	v_mov_b32_dpp v26, v24 row_shr:4 row_mask:0xf bank_mask:0xf
	v_cndmask_b32_e32 v25, 0, v26, vcc
	v_add_u32_e32 v24, v24, v25
	ds_write_b32 v23, v24
.LBB1321_202:
	s_or_b64 exec, exec, s[0:1]
	v_cmp_lt_u32_e32 vcc, 63, v0
	v_mov_b32_e32 v23, 0
	v_mov_b32_e32 v24, 0
	s_waitcnt lgkmcnt(0)
	s_barrier
	s_and_saveexec_b64 s[0:1], vcc
; %bb.203:
	v_lshl_add_u32 v24, v44, 2, -4
	ds_read_b32 v24, v24
; %bb.204:
	s_or_b64 exec, exec, s[0:1]
	v_subrev_co_u32_e32 v25, vcc, 1, v43
	v_and_b32_e32 v26, 64, v43
	v_cmp_lt_i32_e64 s[0:1], v25, v26
	s_waitcnt lgkmcnt(0)
	v_add_u32_e32 v22, v24, v22
	v_cndmask_b32_e64 v25, v25, v43, s[0:1]
	v_lshlrev_b32_e32 v25, 2, v25
	ds_bpermute_b32 v25, v25, v22
	ds_read_b32 v22, v23 offset:28
	s_and_saveexec_b64 s[0:1], s[18:19]
	s_cbranch_execz .LBB1321_206
; %bb.205:
	v_mov_b32_e32 v26, 0
	v_mov_b32_e32 v23, 2
	s_waitcnt lgkmcnt(0)
	global_store_dwordx2 v26, v[22:23], s[30:31] offset:512 sc1
.LBB1321_206:
	s_or_b64 exec, exec, s[0:1]
	s_waitcnt lgkmcnt(1)
	v_cndmask_b32_e32 v23, v25, v24, vcc
	v_cndmask_b32_e64 v38, v23, 0, s[18:19]
	v_add_u32_e32 v36, v38, v1
	v_add_u32_e32 v34, v36, v21
	;; [unrolled: 1-line block ×6, first 2 shown]
	s_waitcnt lgkmcnt(0)
	s_barrier
	v_mov_b32_e32 v24, 0
.LBB1321_207:
	s_movk_i32 s0, 0x201
	v_cmp_gt_u32_e32 vcc, s0, v22
	v_and_b32_e32 v1, 1, v16
	s_mov_b64 s[2:3], -1
	v_cmp_eq_u32_e64 s[0:1], 1, v1
	s_cbranch_vccnz .LBB1321_211
; %bb.208:
	s_and_b64 vcc, exec, s[2:3]
	s_cbranch_vccnz .LBB1321_226
.LBB1321_209:
	s_and_b64 s[0:1], s[18:19], s[24:25]
	s_and_saveexec_b64 s[2:3], s[0:1]
	s_cbranch_execnz .LBB1321_243
.LBB1321_210:
	s_endpgm
.LBB1321_211:
	v_add_u32_e32 v16, v24, v22
	v_cmp_lt_u32_e32 vcc, v38, v16
	s_or_b64 s[2:3], s[36:37], vcc
	s_and_b64 s[2:3], s[2:3], s[0:1]
	s_and_saveexec_b64 s[0:1], s[2:3]
	s_cbranch_execz .LBB1321_213
; %bb.212:
	s_lshl_b64 s[2:3], s[22:23], 3
	s_add_u32 s2, s34, s2
	s_addc_u32 s3, s35, s3
	v_mov_b32_e32 v39, 0
	v_lshl_add_u64 v[44:45], v[38:39], 3, s[2:3]
	global_store_dwordx2 v[44:45], v[10:11], off
.LBB1321_213:
	s_or_b64 exec, exec, s[0:1]
	v_cmp_lt_u32_e32 vcc, v36, v16
	v_and_b32_e32 v21, 1, v42
	s_or_b64 s[0:1], s[36:37], vcc
	v_cmp_eq_u32_e32 vcc, 1, v21
	s_and_b64 s[2:3], s[0:1], vcc
	s_and_saveexec_b64 s[0:1], s[2:3]
	s_cbranch_execz .LBB1321_215
; %bb.214:
	s_lshl_b64 s[2:3], s[22:23], 3
	s_add_u32 s2, s34, s2
	s_addc_u32 s3, s35, s3
	v_mov_b32_e32 v37, 0
	v_lshl_add_u64 v[44:45], v[36:37], 3, s[2:3]
	global_store_dwordx2 v[44:45], v[12:13], off
.LBB1321_215:
	s_or_b64 exec, exec, s[0:1]
	v_cmp_lt_u32_e32 vcc, v34, v16
	v_and_b32_e32 v21, 1, v41
	s_or_b64 s[0:1], s[36:37], vcc
	v_cmp_eq_u32_e32 vcc, 1, v21
	s_and_b64 s[2:3], s[0:1], vcc
	;; [unrolled: 16-line block ×6, first 2 shown]
	s_and_saveexec_b64 s[0:1], s[2:3]
	s_cbranch_execz .LBB1321_225
; %bb.224:
	s_lshl_b64 s[2:3], s[22:23], 3
	s_add_u32 s2, s34, s2
	s_addc_u32 s3, s35, s3
	v_mov_b32_e32 v27, 0
	v_lshl_add_u64 v[44:45], v[26:27], 3, s[2:3]
	global_store_dwordx2 v[44:45], v[14:15], off
.LBB1321_225:
	s_or_b64 exec, exec, s[0:1]
	s_branch .LBB1321_209
.LBB1321_226:
	v_cmp_eq_u32_e32 vcc, 1, v1
	s_and_saveexec_b64 s[0:1], vcc
; %bb.227:
	v_sub_u32_e32 v1, v38, v24
	v_lshlrev_b32_e32 v1, 3, v1
	ds_write_b64 v1, v[10:11]
; %bb.228:
	s_or_b64 exec, exec, s[0:1]
	v_and_b32_e32 v1, 1, v42
	v_cmp_eq_u32_e32 vcc, 1, v1
	s_and_saveexec_b64 s[0:1], vcc
; %bb.229:
	v_sub_u32_e32 v1, v36, v24
	v_lshlrev_b32_e32 v1, 3, v1
	ds_write_b64 v1, v[12:13]
; %bb.230:
	s_or_b64 exec, exec, s[0:1]
	v_and_b32_e32 v1, 1, v41
	;; [unrolled: 9-line block ×6, first 2 shown]
	v_cmp_eq_u32_e32 vcc, 1, v1
	s_and_saveexec_b64 s[0:1], vcc
; %bb.239:
	v_sub_u32_e32 v1, v26, v24
	v_lshlrev_b32_e32 v1, 3, v1
	ds_write_b64 v1, v[14:15]
; %bb.240:
	s_or_b64 exec, exec, s[0:1]
	v_mov_b32_e32 v25, 0
	s_lshl_b64 s[0:1], s[22:23], 3
	v_lshlrev_b64 v[2:3], 3, v[24:25]
	v_lshl_add_u64 v[2:3], s[0:1], 0, v[2:3]
	v_mov_b32_e32 v19, v25
	v_lshl_add_u64 v[2:3], s[34:35], 0, v[2:3]
	v_lshl_add_u64 v[2:3], v[2:3], 0, v[18:19]
	s_mov_b64 s[0:1], 0
	s_mov_b64 s[2:3], 0x1000
	s_waitcnt lgkmcnt(0)
	s_barrier
.LBB1321_241:                           ; =>This Inner Loop Header: Depth=1
	ds_read_b64 v[4:5], v18
	v_add_u32_e32 v0, 0x200, v0
	v_cmp_ge_u32_e32 vcc, v0, v22
	v_add_u32_e32 v18, 0x1000, v18
	s_or_b64 s[0:1], vcc, s[0:1]
	s_waitcnt lgkmcnt(0)
	global_store_dwordx2 v[2:3], v[4:5], off
	v_lshl_add_u64 v[2:3], v[2:3], 0, s[2:3]
	s_andn2_b64 exec, exec, s[0:1]
	s_cbranch_execnz .LBB1321_241
; %bb.242:
	s_or_b64 exec, exec, s[0:1]
	s_and_b64 s[0:1], s[18:19], s[24:25]
	s_and_saveexec_b64 s[2:3], s[0:1]
	s_cbranch_execz .LBB1321_210
.LBB1321_243:
	v_mov_b32_e32 v23, 0
	v_lshl_add_u64 v[0:1], s[22:23], 0, v[22:23]
	v_mov_b32_e32 v25, v23
	v_lshl_add_u64 v[0:1], v[0:1], 0, v[24:25]
	global_store_dwordx2 v23, v[0:1], s[20:21]
	s_endpgm
	.section	.rodata,"a",@progbits
	.p2align	6, 0x0
	.amdhsa_kernel _ZN7rocprim17ROCPRIM_400000_NS6detail17trampoline_kernelINS0_14default_configENS1_25partition_config_selectorILNS1_17partition_subalgoE8ElNS0_10empty_typeEbEEZZNS1_14partition_implILS5_8ELb0ES3_jPlPS6_PKS6_NS0_5tupleIJS9_S6_EEENSD_IJSA_SA_EEENS0_18inequality_wrapperIZN2at6native12_GLOBAL__N_124unique_dim_cuda_templateIN3c104HalfEEESt5tupleIJNSH_6TensorESO_SO_EERKSO_lbbbEUlllE0_EEPmJS6_EEE10hipError_tPvRmT3_T4_T5_T6_T7_T9_mT8_P12ihipStream_tbDpT10_ENKUlT_T0_E_clISt17integral_constantIbLb0EES1D_IbLb1EEEEDaS19_S1A_EUlS19_E_NS1_11comp_targetILNS1_3genE0ELNS1_11target_archE4294967295ELNS1_3gpuE0ELNS1_3repE0EEENS1_30default_config_static_selectorELNS0_4arch9wavefront6targetE1EEEvT1_
		.amdhsa_group_segment_fixed_size 28680
		.amdhsa_private_segment_fixed_size 0
		.amdhsa_kernarg_size 136
		.amdhsa_user_sgpr_count 2
		.amdhsa_user_sgpr_dispatch_ptr 0
		.amdhsa_user_sgpr_queue_ptr 0
		.amdhsa_user_sgpr_kernarg_segment_ptr 1
		.amdhsa_user_sgpr_dispatch_id 0
		.amdhsa_user_sgpr_kernarg_preload_length 0
		.amdhsa_user_sgpr_kernarg_preload_offset 0
		.amdhsa_user_sgpr_private_segment_size 0
		.amdhsa_uses_dynamic_stack 0
		.amdhsa_enable_private_segment 0
		.amdhsa_system_sgpr_workgroup_id_x 1
		.amdhsa_system_sgpr_workgroup_id_y 0
		.amdhsa_system_sgpr_workgroup_id_z 0
		.amdhsa_system_sgpr_workgroup_info 0
		.amdhsa_system_vgpr_workitem_id 0
		.amdhsa_next_free_vgpr 58
		.amdhsa_next_free_sgpr 54
		.amdhsa_accum_offset 60
		.amdhsa_reserve_vcc 1
		.amdhsa_float_round_mode_32 0
		.amdhsa_float_round_mode_16_64 0
		.amdhsa_float_denorm_mode_32 3
		.amdhsa_float_denorm_mode_16_64 3
		.amdhsa_dx10_clamp 1
		.amdhsa_ieee_mode 1
		.amdhsa_fp16_overflow 0
		.amdhsa_tg_split 0
		.amdhsa_exception_fp_ieee_invalid_op 0
		.amdhsa_exception_fp_denorm_src 0
		.amdhsa_exception_fp_ieee_div_zero 0
		.amdhsa_exception_fp_ieee_overflow 0
		.amdhsa_exception_fp_ieee_underflow 0
		.amdhsa_exception_fp_ieee_inexact 0
		.amdhsa_exception_int_div_zero 0
	.end_amdhsa_kernel
	.section	.text._ZN7rocprim17ROCPRIM_400000_NS6detail17trampoline_kernelINS0_14default_configENS1_25partition_config_selectorILNS1_17partition_subalgoE8ElNS0_10empty_typeEbEEZZNS1_14partition_implILS5_8ELb0ES3_jPlPS6_PKS6_NS0_5tupleIJS9_S6_EEENSD_IJSA_SA_EEENS0_18inequality_wrapperIZN2at6native12_GLOBAL__N_124unique_dim_cuda_templateIN3c104HalfEEESt5tupleIJNSH_6TensorESO_SO_EERKSO_lbbbEUlllE0_EEPmJS6_EEE10hipError_tPvRmT3_T4_T5_T6_T7_T9_mT8_P12ihipStream_tbDpT10_ENKUlT_T0_E_clISt17integral_constantIbLb0EES1D_IbLb1EEEEDaS19_S1A_EUlS19_E_NS1_11comp_targetILNS1_3genE0ELNS1_11target_archE4294967295ELNS1_3gpuE0ELNS1_3repE0EEENS1_30default_config_static_selectorELNS0_4arch9wavefront6targetE1EEEvT1_,"axG",@progbits,_ZN7rocprim17ROCPRIM_400000_NS6detail17trampoline_kernelINS0_14default_configENS1_25partition_config_selectorILNS1_17partition_subalgoE8ElNS0_10empty_typeEbEEZZNS1_14partition_implILS5_8ELb0ES3_jPlPS6_PKS6_NS0_5tupleIJS9_S6_EEENSD_IJSA_SA_EEENS0_18inequality_wrapperIZN2at6native12_GLOBAL__N_124unique_dim_cuda_templateIN3c104HalfEEESt5tupleIJNSH_6TensorESO_SO_EERKSO_lbbbEUlllE0_EEPmJS6_EEE10hipError_tPvRmT3_T4_T5_T6_T7_T9_mT8_P12ihipStream_tbDpT10_ENKUlT_T0_E_clISt17integral_constantIbLb0EES1D_IbLb1EEEEDaS19_S1A_EUlS19_E_NS1_11comp_targetILNS1_3genE0ELNS1_11target_archE4294967295ELNS1_3gpuE0ELNS1_3repE0EEENS1_30default_config_static_selectorELNS0_4arch9wavefront6targetE1EEEvT1_,comdat
.Lfunc_end1321:
	.size	_ZN7rocprim17ROCPRIM_400000_NS6detail17trampoline_kernelINS0_14default_configENS1_25partition_config_selectorILNS1_17partition_subalgoE8ElNS0_10empty_typeEbEEZZNS1_14partition_implILS5_8ELb0ES3_jPlPS6_PKS6_NS0_5tupleIJS9_S6_EEENSD_IJSA_SA_EEENS0_18inequality_wrapperIZN2at6native12_GLOBAL__N_124unique_dim_cuda_templateIN3c104HalfEEESt5tupleIJNSH_6TensorESO_SO_EERKSO_lbbbEUlllE0_EEPmJS6_EEE10hipError_tPvRmT3_T4_T5_T6_T7_T9_mT8_P12ihipStream_tbDpT10_ENKUlT_T0_E_clISt17integral_constantIbLb0EES1D_IbLb1EEEEDaS19_S1A_EUlS19_E_NS1_11comp_targetILNS1_3genE0ELNS1_11target_archE4294967295ELNS1_3gpuE0ELNS1_3repE0EEENS1_30default_config_static_selectorELNS0_4arch9wavefront6targetE1EEEvT1_, .Lfunc_end1321-_ZN7rocprim17ROCPRIM_400000_NS6detail17trampoline_kernelINS0_14default_configENS1_25partition_config_selectorILNS1_17partition_subalgoE8ElNS0_10empty_typeEbEEZZNS1_14partition_implILS5_8ELb0ES3_jPlPS6_PKS6_NS0_5tupleIJS9_S6_EEENSD_IJSA_SA_EEENS0_18inequality_wrapperIZN2at6native12_GLOBAL__N_124unique_dim_cuda_templateIN3c104HalfEEESt5tupleIJNSH_6TensorESO_SO_EERKSO_lbbbEUlllE0_EEPmJS6_EEE10hipError_tPvRmT3_T4_T5_T6_T7_T9_mT8_P12ihipStream_tbDpT10_ENKUlT_T0_E_clISt17integral_constantIbLb0EES1D_IbLb1EEEEDaS19_S1A_EUlS19_E_NS1_11comp_targetILNS1_3genE0ELNS1_11target_archE4294967295ELNS1_3gpuE0ELNS1_3repE0EEENS1_30default_config_static_selectorELNS0_4arch9wavefront6targetE1EEEvT1_
                                        ; -- End function
	.set _ZN7rocprim17ROCPRIM_400000_NS6detail17trampoline_kernelINS0_14default_configENS1_25partition_config_selectorILNS1_17partition_subalgoE8ElNS0_10empty_typeEbEEZZNS1_14partition_implILS5_8ELb0ES3_jPlPS6_PKS6_NS0_5tupleIJS9_S6_EEENSD_IJSA_SA_EEENS0_18inequality_wrapperIZN2at6native12_GLOBAL__N_124unique_dim_cuda_templateIN3c104HalfEEESt5tupleIJNSH_6TensorESO_SO_EERKSO_lbbbEUlllE0_EEPmJS6_EEE10hipError_tPvRmT3_T4_T5_T6_T7_T9_mT8_P12ihipStream_tbDpT10_ENKUlT_T0_E_clISt17integral_constantIbLb0EES1D_IbLb1EEEEDaS19_S1A_EUlS19_E_NS1_11comp_targetILNS1_3genE0ELNS1_11target_archE4294967295ELNS1_3gpuE0ELNS1_3repE0EEENS1_30default_config_static_selectorELNS0_4arch9wavefront6targetE1EEEvT1_.num_vgpr, 58
	.set _ZN7rocprim17ROCPRIM_400000_NS6detail17trampoline_kernelINS0_14default_configENS1_25partition_config_selectorILNS1_17partition_subalgoE8ElNS0_10empty_typeEbEEZZNS1_14partition_implILS5_8ELb0ES3_jPlPS6_PKS6_NS0_5tupleIJS9_S6_EEENSD_IJSA_SA_EEENS0_18inequality_wrapperIZN2at6native12_GLOBAL__N_124unique_dim_cuda_templateIN3c104HalfEEESt5tupleIJNSH_6TensorESO_SO_EERKSO_lbbbEUlllE0_EEPmJS6_EEE10hipError_tPvRmT3_T4_T5_T6_T7_T9_mT8_P12ihipStream_tbDpT10_ENKUlT_T0_E_clISt17integral_constantIbLb0EES1D_IbLb1EEEEDaS19_S1A_EUlS19_E_NS1_11comp_targetILNS1_3genE0ELNS1_11target_archE4294967295ELNS1_3gpuE0ELNS1_3repE0EEENS1_30default_config_static_selectorELNS0_4arch9wavefront6targetE1EEEvT1_.num_agpr, 0
	.set _ZN7rocprim17ROCPRIM_400000_NS6detail17trampoline_kernelINS0_14default_configENS1_25partition_config_selectorILNS1_17partition_subalgoE8ElNS0_10empty_typeEbEEZZNS1_14partition_implILS5_8ELb0ES3_jPlPS6_PKS6_NS0_5tupleIJS9_S6_EEENSD_IJSA_SA_EEENS0_18inequality_wrapperIZN2at6native12_GLOBAL__N_124unique_dim_cuda_templateIN3c104HalfEEESt5tupleIJNSH_6TensorESO_SO_EERKSO_lbbbEUlllE0_EEPmJS6_EEE10hipError_tPvRmT3_T4_T5_T6_T7_T9_mT8_P12ihipStream_tbDpT10_ENKUlT_T0_E_clISt17integral_constantIbLb0EES1D_IbLb1EEEEDaS19_S1A_EUlS19_E_NS1_11comp_targetILNS1_3genE0ELNS1_11target_archE4294967295ELNS1_3gpuE0ELNS1_3repE0EEENS1_30default_config_static_selectorELNS0_4arch9wavefront6targetE1EEEvT1_.numbered_sgpr, 54
	.set _ZN7rocprim17ROCPRIM_400000_NS6detail17trampoline_kernelINS0_14default_configENS1_25partition_config_selectorILNS1_17partition_subalgoE8ElNS0_10empty_typeEbEEZZNS1_14partition_implILS5_8ELb0ES3_jPlPS6_PKS6_NS0_5tupleIJS9_S6_EEENSD_IJSA_SA_EEENS0_18inequality_wrapperIZN2at6native12_GLOBAL__N_124unique_dim_cuda_templateIN3c104HalfEEESt5tupleIJNSH_6TensorESO_SO_EERKSO_lbbbEUlllE0_EEPmJS6_EEE10hipError_tPvRmT3_T4_T5_T6_T7_T9_mT8_P12ihipStream_tbDpT10_ENKUlT_T0_E_clISt17integral_constantIbLb0EES1D_IbLb1EEEEDaS19_S1A_EUlS19_E_NS1_11comp_targetILNS1_3genE0ELNS1_11target_archE4294967295ELNS1_3gpuE0ELNS1_3repE0EEENS1_30default_config_static_selectorELNS0_4arch9wavefront6targetE1EEEvT1_.num_named_barrier, 0
	.set _ZN7rocprim17ROCPRIM_400000_NS6detail17trampoline_kernelINS0_14default_configENS1_25partition_config_selectorILNS1_17partition_subalgoE8ElNS0_10empty_typeEbEEZZNS1_14partition_implILS5_8ELb0ES3_jPlPS6_PKS6_NS0_5tupleIJS9_S6_EEENSD_IJSA_SA_EEENS0_18inequality_wrapperIZN2at6native12_GLOBAL__N_124unique_dim_cuda_templateIN3c104HalfEEESt5tupleIJNSH_6TensorESO_SO_EERKSO_lbbbEUlllE0_EEPmJS6_EEE10hipError_tPvRmT3_T4_T5_T6_T7_T9_mT8_P12ihipStream_tbDpT10_ENKUlT_T0_E_clISt17integral_constantIbLb0EES1D_IbLb1EEEEDaS19_S1A_EUlS19_E_NS1_11comp_targetILNS1_3genE0ELNS1_11target_archE4294967295ELNS1_3gpuE0ELNS1_3repE0EEENS1_30default_config_static_selectorELNS0_4arch9wavefront6targetE1EEEvT1_.private_seg_size, 0
	.set _ZN7rocprim17ROCPRIM_400000_NS6detail17trampoline_kernelINS0_14default_configENS1_25partition_config_selectorILNS1_17partition_subalgoE8ElNS0_10empty_typeEbEEZZNS1_14partition_implILS5_8ELb0ES3_jPlPS6_PKS6_NS0_5tupleIJS9_S6_EEENSD_IJSA_SA_EEENS0_18inequality_wrapperIZN2at6native12_GLOBAL__N_124unique_dim_cuda_templateIN3c104HalfEEESt5tupleIJNSH_6TensorESO_SO_EERKSO_lbbbEUlllE0_EEPmJS6_EEE10hipError_tPvRmT3_T4_T5_T6_T7_T9_mT8_P12ihipStream_tbDpT10_ENKUlT_T0_E_clISt17integral_constantIbLb0EES1D_IbLb1EEEEDaS19_S1A_EUlS19_E_NS1_11comp_targetILNS1_3genE0ELNS1_11target_archE4294967295ELNS1_3gpuE0ELNS1_3repE0EEENS1_30default_config_static_selectorELNS0_4arch9wavefront6targetE1EEEvT1_.uses_vcc, 1
	.set _ZN7rocprim17ROCPRIM_400000_NS6detail17trampoline_kernelINS0_14default_configENS1_25partition_config_selectorILNS1_17partition_subalgoE8ElNS0_10empty_typeEbEEZZNS1_14partition_implILS5_8ELb0ES3_jPlPS6_PKS6_NS0_5tupleIJS9_S6_EEENSD_IJSA_SA_EEENS0_18inequality_wrapperIZN2at6native12_GLOBAL__N_124unique_dim_cuda_templateIN3c104HalfEEESt5tupleIJNSH_6TensorESO_SO_EERKSO_lbbbEUlllE0_EEPmJS6_EEE10hipError_tPvRmT3_T4_T5_T6_T7_T9_mT8_P12ihipStream_tbDpT10_ENKUlT_T0_E_clISt17integral_constantIbLb0EES1D_IbLb1EEEEDaS19_S1A_EUlS19_E_NS1_11comp_targetILNS1_3genE0ELNS1_11target_archE4294967295ELNS1_3gpuE0ELNS1_3repE0EEENS1_30default_config_static_selectorELNS0_4arch9wavefront6targetE1EEEvT1_.uses_flat_scratch, 0
	.set _ZN7rocprim17ROCPRIM_400000_NS6detail17trampoline_kernelINS0_14default_configENS1_25partition_config_selectorILNS1_17partition_subalgoE8ElNS0_10empty_typeEbEEZZNS1_14partition_implILS5_8ELb0ES3_jPlPS6_PKS6_NS0_5tupleIJS9_S6_EEENSD_IJSA_SA_EEENS0_18inequality_wrapperIZN2at6native12_GLOBAL__N_124unique_dim_cuda_templateIN3c104HalfEEESt5tupleIJNSH_6TensorESO_SO_EERKSO_lbbbEUlllE0_EEPmJS6_EEE10hipError_tPvRmT3_T4_T5_T6_T7_T9_mT8_P12ihipStream_tbDpT10_ENKUlT_T0_E_clISt17integral_constantIbLb0EES1D_IbLb1EEEEDaS19_S1A_EUlS19_E_NS1_11comp_targetILNS1_3genE0ELNS1_11target_archE4294967295ELNS1_3gpuE0ELNS1_3repE0EEENS1_30default_config_static_selectorELNS0_4arch9wavefront6targetE1EEEvT1_.has_dyn_sized_stack, 0
	.set _ZN7rocprim17ROCPRIM_400000_NS6detail17trampoline_kernelINS0_14default_configENS1_25partition_config_selectorILNS1_17partition_subalgoE8ElNS0_10empty_typeEbEEZZNS1_14partition_implILS5_8ELb0ES3_jPlPS6_PKS6_NS0_5tupleIJS9_S6_EEENSD_IJSA_SA_EEENS0_18inequality_wrapperIZN2at6native12_GLOBAL__N_124unique_dim_cuda_templateIN3c104HalfEEESt5tupleIJNSH_6TensorESO_SO_EERKSO_lbbbEUlllE0_EEPmJS6_EEE10hipError_tPvRmT3_T4_T5_T6_T7_T9_mT8_P12ihipStream_tbDpT10_ENKUlT_T0_E_clISt17integral_constantIbLb0EES1D_IbLb1EEEEDaS19_S1A_EUlS19_E_NS1_11comp_targetILNS1_3genE0ELNS1_11target_archE4294967295ELNS1_3gpuE0ELNS1_3repE0EEENS1_30default_config_static_selectorELNS0_4arch9wavefront6targetE1EEEvT1_.has_recursion, 0
	.set _ZN7rocprim17ROCPRIM_400000_NS6detail17trampoline_kernelINS0_14default_configENS1_25partition_config_selectorILNS1_17partition_subalgoE8ElNS0_10empty_typeEbEEZZNS1_14partition_implILS5_8ELb0ES3_jPlPS6_PKS6_NS0_5tupleIJS9_S6_EEENSD_IJSA_SA_EEENS0_18inequality_wrapperIZN2at6native12_GLOBAL__N_124unique_dim_cuda_templateIN3c104HalfEEESt5tupleIJNSH_6TensorESO_SO_EERKSO_lbbbEUlllE0_EEPmJS6_EEE10hipError_tPvRmT3_T4_T5_T6_T7_T9_mT8_P12ihipStream_tbDpT10_ENKUlT_T0_E_clISt17integral_constantIbLb0EES1D_IbLb1EEEEDaS19_S1A_EUlS19_E_NS1_11comp_targetILNS1_3genE0ELNS1_11target_archE4294967295ELNS1_3gpuE0ELNS1_3repE0EEENS1_30default_config_static_selectorELNS0_4arch9wavefront6targetE1EEEvT1_.has_indirect_call, 0
	.section	.AMDGPU.csdata,"",@progbits
; Kernel info:
; codeLenInByte = 11008
; TotalNumSgprs: 60
; NumVgprs: 58
; NumAgprs: 0
; TotalNumVgprs: 58
; ScratchSize: 0
; MemoryBound: 0
; FloatMode: 240
; IeeeMode: 1
; LDSByteSize: 28680 bytes/workgroup (compile time only)
; SGPRBlocks: 7
; VGPRBlocks: 7
; NumSGPRsForWavesPerEU: 60
; NumVGPRsForWavesPerEU: 58
; AccumOffset: 60
; Occupancy: 8
; WaveLimiterHint : 1
; COMPUTE_PGM_RSRC2:SCRATCH_EN: 0
; COMPUTE_PGM_RSRC2:USER_SGPR: 2
; COMPUTE_PGM_RSRC2:TRAP_HANDLER: 0
; COMPUTE_PGM_RSRC2:TGID_X_EN: 1
; COMPUTE_PGM_RSRC2:TGID_Y_EN: 0
; COMPUTE_PGM_RSRC2:TGID_Z_EN: 0
; COMPUTE_PGM_RSRC2:TIDIG_COMP_CNT: 0
; COMPUTE_PGM_RSRC3_GFX90A:ACCUM_OFFSET: 14
; COMPUTE_PGM_RSRC3_GFX90A:TG_SPLIT: 0
	.section	.text._ZN7rocprim17ROCPRIM_400000_NS6detail17trampoline_kernelINS0_14default_configENS1_25partition_config_selectorILNS1_17partition_subalgoE8ElNS0_10empty_typeEbEEZZNS1_14partition_implILS5_8ELb0ES3_jPlPS6_PKS6_NS0_5tupleIJS9_S6_EEENSD_IJSA_SA_EEENS0_18inequality_wrapperIZN2at6native12_GLOBAL__N_124unique_dim_cuda_templateIN3c104HalfEEESt5tupleIJNSH_6TensorESO_SO_EERKSO_lbbbEUlllE0_EEPmJS6_EEE10hipError_tPvRmT3_T4_T5_T6_T7_T9_mT8_P12ihipStream_tbDpT10_ENKUlT_T0_E_clISt17integral_constantIbLb0EES1D_IbLb1EEEEDaS19_S1A_EUlS19_E_NS1_11comp_targetILNS1_3genE5ELNS1_11target_archE942ELNS1_3gpuE9ELNS1_3repE0EEENS1_30default_config_static_selectorELNS0_4arch9wavefront6targetE1EEEvT1_,"axG",@progbits,_ZN7rocprim17ROCPRIM_400000_NS6detail17trampoline_kernelINS0_14default_configENS1_25partition_config_selectorILNS1_17partition_subalgoE8ElNS0_10empty_typeEbEEZZNS1_14partition_implILS5_8ELb0ES3_jPlPS6_PKS6_NS0_5tupleIJS9_S6_EEENSD_IJSA_SA_EEENS0_18inequality_wrapperIZN2at6native12_GLOBAL__N_124unique_dim_cuda_templateIN3c104HalfEEESt5tupleIJNSH_6TensorESO_SO_EERKSO_lbbbEUlllE0_EEPmJS6_EEE10hipError_tPvRmT3_T4_T5_T6_T7_T9_mT8_P12ihipStream_tbDpT10_ENKUlT_T0_E_clISt17integral_constantIbLb0EES1D_IbLb1EEEEDaS19_S1A_EUlS19_E_NS1_11comp_targetILNS1_3genE5ELNS1_11target_archE942ELNS1_3gpuE9ELNS1_3repE0EEENS1_30default_config_static_selectorELNS0_4arch9wavefront6targetE1EEEvT1_,comdat
	.globl	_ZN7rocprim17ROCPRIM_400000_NS6detail17trampoline_kernelINS0_14default_configENS1_25partition_config_selectorILNS1_17partition_subalgoE8ElNS0_10empty_typeEbEEZZNS1_14partition_implILS5_8ELb0ES3_jPlPS6_PKS6_NS0_5tupleIJS9_S6_EEENSD_IJSA_SA_EEENS0_18inequality_wrapperIZN2at6native12_GLOBAL__N_124unique_dim_cuda_templateIN3c104HalfEEESt5tupleIJNSH_6TensorESO_SO_EERKSO_lbbbEUlllE0_EEPmJS6_EEE10hipError_tPvRmT3_T4_T5_T6_T7_T9_mT8_P12ihipStream_tbDpT10_ENKUlT_T0_E_clISt17integral_constantIbLb0EES1D_IbLb1EEEEDaS19_S1A_EUlS19_E_NS1_11comp_targetILNS1_3genE5ELNS1_11target_archE942ELNS1_3gpuE9ELNS1_3repE0EEENS1_30default_config_static_selectorELNS0_4arch9wavefront6targetE1EEEvT1_ ; -- Begin function _ZN7rocprim17ROCPRIM_400000_NS6detail17trampoline_kernelINS0_14default_configENS1_25partition_config_selectorILNS1_17partition_subalgoE8ElNS0_10empty_typeEbEEZZNS1_14partition_implILS5_8ELb0ES3_jPlPS6_PKS6_NS0_5tupleIJS9_S6_EEENSD_IJSA_SA_EEENS0_18inequality_wrapperIZN2at6native12_GLOBAL__N_124unique_dim_cuda_templateIN3c104HalfEEESt5tupleIJNSH_6TensorESO_SO_EERKSO_lbbbEUlllE0_EEPmJS6_EEE10hipError_tPvRmT3_T4_T5_T6_T7_T9_mT8_P12ihipStream_tbDpT10_ENKUlT_T0_E_clISt17integral_constantIbLb0EES1D_IbLb1EEEEDaS19_S1A_EUlS19_E_NS1_11comp_targetILNS1_3genE5ELNS1_11target_archE942ELNS1_3gpuE9ELNS1_3repE0EEENS1_30default_config_static_selectorELNS0_4arch9wavefront6targetE1EEEvT1_
	.p2align	8
	.type	_ZN7rocprim17ROCPRIM_400000_NS6detail17trampoline_kernelINS0_14default_configENS1_25partition_config_selectorILNS1_17partition_subalgoE8ElNS0_10empty_typeEbEEZZNS1_14partition_implILS5_8ELb0ES3_jPlPS6_PKS6_NS0_5tupleIJS9_S6_EEENSD_IJSA_SA_EEENS0_18inequality_wrapperIZN2at6native12_GLOBAL__N_124unique_dim_cuda_templateIN3c104HalfEEESt5tupleIJNSH_6TensorESO_SO_EERKSO_lbbbEUlllE0_EEPmJS6_EEE10hipError_tPvRmT3_T4_T5_T6_T7_T9_mT8_P12ihipStream_tbDpT10_ENKUlT_T0_E_clISt17integral_constantIbLb0EES1D_IbLb1EEEEDaS19_S1A_EUlS19_E_NS1_11comp_targetILNS1_3genE5ELNS1_11target_archE942ELNS1_3gpuE9ELNS1_3repE0EEENS1_30default_config_static_selectorELNS0_4arch9wavefront6targetE1EEEvT1_,@function
_ZN7rocprim17ROCPRIM_400000_NS6detail17trampoline_kernelINS0_14default_configENS1_25partition_config_selectorILNS1_17partition_subalgoE8ElNS0_10empty_typeEbEEZZNS1_14partition_implILS5_8ELb0ES3_jPlPS6_PKS6_NS0_5tupleIJS9_S6_EEENSD_IJSA_SA_EEENS0_18inequality_wrapperIZN2at6native12_GLOBAL__N_124unique_dim_cuda_templateIN3c104HalfEEESt5tupleIJNSH_6TensorESO_SO_EERKSO_lbbbEUlllE0_EEPmJS6_EEE10hipError_tPvRmT3_T4_T5_T6_T7_T9_mT8_P12ihipStream_tbDpT10_ENKUlT_T0_E_clISt17integral_constantIbLb0EES1D_IbLb1EEEEDaS19_S1A_EUlS19_E_NS1_11comp_targetILNS1_3genE5ELNS1_11target_archE942ELNS1_3gpuE9ELNS1_3repE0EEENS1_30default_config_static_selectorELNS0_4arch9wavefront6targetE1EEEvT1_: ; @_ZN7rocprim17ROCPRIM_400000_NS6detail17trampoline_kernelINS0_14default_configENS1_25partition_config_selectorILNS1_17partition_subalgoE8ElNS0_10empty_typeEbEEZZNS1_14partition_implILS5_8ELb0ES3_jPlPS6_PKS6_NS0_5tupleIJS9_S6_EEENSD_IJSA_SA_EEENS0_18inequality_wrapperIZN2at6native12_GLOBAL__N_124unique_dim_cuda_templateIN3c104HalfEEESt5tupleIJNSH_6TensorESO_SO_EERKSO_lbbbEUlllE0_EEPmJS6_EEE10hipError_tPvRmT3_T4_T5_T6_T7_T9_mT8_P12ihipStream_tbDpT10_ENKUlT_T0_E_clISt17integral_constantIbLb0EES1D_IbLb1EEEEDaS19_S1A_EUlS19_E_NS1_11comp_targetILNS1_3genE5ELNS1_11target_archE942ELNS1_3gpuE9ELNS1_3repE0EEENS1_30default_config_static_selectorELNS0_4arch9wavefront6targetE1EEEvT1_
; %bb.0:
	.section	.rodata,"a",@progbits
	.p2align	6, 0x0
	.amdhsa_kernel _ZN7rocprim17ROCPRIM_400000_NS6detail17trampoline_kernelINS0_14default_configENS1_25partition_config_selectorILNS1_17partition_subalgoE8ElNS0_10empty_typeEbEEZZNS1_14partition_implILS5_8ELb0ES3_jPlPS6_PKS6_NS0_5tupleIJS9_S6_EEENSD_IJSA_SA_EEENS0_18inequality_wrapperIZN2at6native12_GLOBAL__N_124unique_dim_cuda_templateIN3c104HalfEEESt5tupleIJNSH_6TensorESO_SO_EERKSO_lbbbEUlllE0_EEPmJS6_EEE10hipError_tPvRmT3_T4_T5_T6_T7_T9_mT8_P12ihipStream_tbDpT10_ENKUlT_T0_E_clISt17integral_constantIbLb0EES1D_IbLb1EEEEDaS19_S1A_EUlS19_E_NS1_11comp_targetILNS1_3genE5ELNS1_11target_archE942ELNS1_3gpuE9ELNS1_3repE0EEENS1_30default_config_static_selectorELNS0_4arch9wavefront6targetE1EEEvT1_
		.amdhsa_group_segment_fixed_size 0
		.amdhsa_private_segment_fixed_size 0
		.amdhsa_kernarg_size 136
		.amdhsa_user_sgpr_count 2
		.amdhsa_user_sgpr_dispatch_ptr 0
		.amdhsa_user_sgpr_queue_ptr 0
		.amdhsa_user_sgpr_kernarg_segment_ptr 1
		.amdhsa_user_sgpr_dispatch_id 0
		.amdhsa_user_sgpr_kernarg_preload_length 0
		.amdhsa_user_sgpr_kernarg_preload_offset 0
		.amdhsa_user_sgpr_private_segment_size 0
		.amdhsa_uses_dynamic_stack 0
		.amdhsa_enable_private_segment 0
		.amdhsa_system_sgpr_workgroup_id_x 1
		.amdhsa_system_sgpr_workgroup_id_y 0
		.amdhsa_system_sgpr_workgroup_id_z 0
		.amdhsa_system_sgpr_workgroup_info 0
		.amdhsa_system_vgpr_workitem_id 0
		.amdhsa_next_free_vgpr 1
		.amdhsa_next_free_sgpr 0
		.amdhsa_accum_offset 4
		.amdhsa_reserve_vcc 0
		.amdhsa_float_round_mode_32 0
		.amdhsa_float_round_mode_16_64 0
		.amdhsa_float_denorm_mode_32 3
		.amdhsa_float_denorm_mode_16_64 3
		.amdhsa_dx10_clamp 1
		.amdhsa_ieee_mode 1
		.amdhsa_fp16_overflow 0
		.amdhsa_tg_split 0
		.amdhsa_exception_fp_ieee_invalid_op 0
		.amdhsa_exception_fp_denorm_src 0
		.amdhsa_exception_fp_ieee_div_zero 0
		.amdhsa_exception_fp_ieee_overflow 0
		.amdhsa_exception_fp_ieee_underflow 0
		.amdhsa_exception_fp_ieee_inexact 0
		.amdhsa_exception_int_div_zero 0
	.end_amdhsa_kernel
	.section	.text._ZN7rocprim17ROCPRIM_400000_NS6detail17trampoline_kernelINS0_14default_configENS1_25partition_config_selectorILNS1_17partition_subalgoE8ElNS0_10empty_typeEbEEZZNS1_14partition_implILS5_8ELb0ES3_jPlPS6_PKS6_NS0_5tupleIJS9_S6_EEENSD_IJSA_SA_EEENS0_18inequality_wrapperIZN2at6native12_GLOBAL__N_124unique_dim_cuda_templateIN3c104HalfEEESt5tupleIJNSH_6TensorESO_SO_EERKSO_lbbbEUlllE0_EEPmJS6_EEE10hipError_tPvRmT3_T4_T5_T6_T7_T9_mT8_P12ihipStream_tbDpT10_ENKUlT_T0_E_clISt17integral_constantIbLb0EES1D_IbLb1EEEEDaS19_S1A_EUlS19_E_NS1_11comp_targetILNS1_3genE5ELNS1_11target_archE942ELNS1_3gpuE9ELNS1_3repE0EEENS1_30default_config_static_selectorELNS0_4arch9wavefront6targetE1EEEvT1_,"axG",@progbits,_ZN7rocprim17ROCPRIM_400000_NS6detail17trampoline_kernelINS0_14default_configENS1_25partition_config_selectorILNS1_17partition_subalgoE8ElNS0_10empty_typeEbEEZZNS1_14partition_implILS5_8ELb0ES3_jPlPS6_PKS6_NS0_5tupleIJS9_S6_EEENSD_IJSA_SA_EEENS0_18inequality_wrapperIZN2at6native12_GLOBAL__N_124unique_dim_cuda_templateIN3c104HalfEEESt5tupleIJNSH_6TensorESO_SO_EERKSO_lbbbEUlllE0_EEPmJS6_EEE10hipError_tPvRmT3_T4_T5_T6_T7_T9_mT8_P12ihipStream_tbDpT10_ENKUlT_T0_E_clISt17integral_constantIbLb0EES1D_IbLb1EEEEDaS19_S1A_EUlS19_E_NS1_11comp_targetILNS1_3genE5ELNS1_11target_archE942ELNS1_3gpuE9ELNS1_3repE0EEENS1_30default_config_static_selectorELNS0_4arch9wavefront6targetE1EEEvT1_,comdat
.Lfunc_end1322:
	.size	_ZN7rocprim17ROCPRIM_400000_NS6detail17trampoline_kernelINS0_14default_configENS1_25partition_config_selectorILNS1_17partition_subalgoE8ElNS0_10empty_typeEbEEZZNS1_14partition_implILS5_8ELb0ES3_jPlPS6_PKS6_NS0_5tupleIJS9_S6_EEENSD_IJSA_SA_EEENS0_18inequality_wrapperIZN2at6native12_GLOBAL__N_124unique_dim_cuda_templateIN3c104HalfEEESt5tupleIJNSH_6TensorESO_SO_EERKSO_lbbbEUlllE0_EEPmJS6_EEE10hipError_tPvRmT3_T4_T5_T6_T7_T9_mT8_P12ihipStream_tbDpT10_ENKUlT_T0_E_clISt17integral_constantIbLb0EES1D_IbLb1EEEEDaS19_S1A_EUlS19_E_NS1_11comp_targetILNS1_3genE5ELNS1_11target_archE942ELNS1_3gpuE9ELNS1_3repE0EEENS1_30default_config_static_selectorELNS0_4arch9wavefront6targetE1EEEvT1_, .Lfunc_end1322-_ZN7rocprim17ROCPRIM_400000_NS6detail17trampoline_kernelINS0_14default_configENS1_25partition_config_selectorILNS1_17partition_subalgoE8ElNS0_10empty_typeEbEEZZNS1_14partition_implILS5_8ELb0ES3_jPlPS6_PKS6_NS0_5tupleIJS9_S6_EEENSD_IJSA_SA_EEENS0_18inequality_wrapperIZN2at6native12_GLOBAL__N_124unique_dim_cuda_templateIN3c104HalfEEESt5tupleIJNSH_6TensorESO_SO_EERKSO_lbbbEUlllE0_EEPmJS6_EEE10hipError_tPvRmT3_T4_T5_T6_T7_T9_mT8_P12ihipStream_tbDpT10_ENKUlT_T0_E_clISt17integral_constantIbLb0EES1D_IbLb1EEEEDaS19_S1A_EUlS19_E_NS1_11comp_targetILNS1_3genE5ELNS1_11target_archE942ELNS1_3gpuE9ELNS1_3repE0EEENS1_30default_config_static_selectorELNS0_4arch9wavefront6targetE1EEEvT1_
                                        ; -- End function
	.set _ZN7rocprim17ROCPRIM_400000_NS6detail17trampoline_kernelINS0_14default_configENS1_25partition_config_selectorILNS1_17partition_subalgoE8ElNS0_10empty_typeEbEEZZNS1_14partition_implILS5_8ELb0ES3_jPlPS6_PKS6_NS0_5tupleIJS9_S6_EEENSD_IJSA_SA_EEENS0_18inequality_wrapperIZN2at6native12_GLOBAL__N_124unique_dim_cuda_templateIN3c104HalfEEESt5tupleIJNSH_6TensorESO_SO_EERKSO_lbbbEUlllE0_EEPmJS6_EEE10hipError_tPvRmT3_T4_T5_T6_T7_T9_mT8_P12ihipStream_tbDpT10_ENKUlT_T0_E_clISt17integral_constantIbLb0EES1D_IbLb1EEEEDaS19_S1A_EUlS19_E_NS1_11comp_targetILNS1_3genE5ELNS1_11target_archE942ELNS1_3gpuE9ELNS1_3repE0EEENS1_30default_config_static_selectorELNS0_4arch9wavefront6targetE1EEEvT1_.num_vgpr, 0
	.set _ZN7rocprim17ROCPRIM_400000_NS6detail17trampoline_kernelINS0_14default_configENS1_25partition_config_selectorILNS1_17partition_subalgoE8ElNS0_10empty_typeEbEEZZNS1_14partition_implILS5_8ELb0ES3_jPlPS6_PKS6_NS0_5tupleIJS9_S6_EEENSD_IJSA_SA_EEENS0_18inequality_wrapperIZN2at6native12_GLOBAL__N_124unique_dim_cuda_templateIN3c104HalfEEESt5tupleIJNSH_6TensorESO_SO_EERKSO_lbbbEUlllE0_EEPmJS6_EEE10hipError_tPvRmT3_T4_T5_T6_T7_T9_mT8_P12ihipStream_tbDpT10_ENKUlT_T0_E_clISt17integral_constantIbLb0EES1D_IbLb1EEEEDaS19_S1A_EUlS19_E_NS1_11comp_targetILNS1_3genE5ELNS1_11target_archE942ELNS1_3gpuE9ELNS1_3repE0EEENS1_30default_config_static_selectorELNS0_4arch9wavefront6targetE1EEEvT1_.num_agpr, 0
	.set _ZN7rocprim17ROCPRIM_400000_NS6detail17trampoline_kernelINS0_14default_configENS1_25partition_config_selectorILNS1_17partition_subalgoE8ElNS0_10empty_typeEbEEZZNS1_14partition_implILS5_8ELb0ES3_jPlPS6_PKS6_NS0_5tupleIJS9_S6_EEENSD_IJSA_SA_EEENS0_18inequality_wrapperIZN2at6native12_GLOBAL__N_124unique_dim_cuda_templateIN3c104HalfEEESt5tupleIJNSH_6TensorESO_SO_EERKSO_lbbbEUlllE0_EEPmJS6_EEE10hipError_tPvRmT3_T4_T5_T6_T7_T9_mT8_P12ihipStream_tbDpT10_ENKUlT_T0_E_clISt17integral_constantIbLb0EES1D_IbLb1EEEEDaS19_S1A_EUlS19_E_NS1_11comp_targetILNS1_3genE5ELNS1_11target_archE942ELNS1_3gpuE9ELNS1_3repE0EEENS1_30default_config_static_selectorELNS0_4arch9wavefront6targetE1EEEvT1_.numbered_sgpr, 0
	.set _ZN7rocprim17ROCPRIM_400000_NS6detail17trampoline_kernelINS0_14default_configENS1_25partition_config_selectorILNS1_17partition_subalgoE8ElNS0_10empty_typeEbEEZZNS1_14partition_implILS5_8ELb0ES3_jPlPS6_PKS6_NS0_5tupleIJS9_S6_EEENSD_IJSA_SA_EEENS0_18inequality_wrapperIZN2at6native12_GLOBAL__N_124unique_dim_cuda_templateIN3c104HalfEEESt5tupleIJNSH_6TensorESO_SO_EERKSO_lbbbEUlllE0_EEPmJS6_EEE10hipError_tPvRmT3_T4_T5_T6_T7_T9_mT8_P12ihipStream_tbDpT10_ENKUlT_T0_E_clISt17integral_constantIbLb0EES1D_IbLb1EEEEDaS19_S1A_EUlS19_E_NS1_11comp_targetILNS1_3genE5ELNS1_11target_archE942ELNS1_3gpuE9ELNS1_3repE0EEENS1_30default_config_static_selectorELNS0_4arch9wavefront6targetE1EEEvT1_.num_named_barrier, 0
	.set _ZN7rocprim17ROCPRIM_400000_NS6detail17trampoline_kernelINS0_14default_configENS1_25partition_config_selectorILNS1_17partition_subalgoE8ElNS0_10empty_typeEbEEZZNS1_14partition_implILS5_8ELb0ES3_jPlPS6_PKS6_NS0_5tupleIJS9_S6_EEENSD_IJSA_SA_EEENS0_18inequality_wrapperIZN2at6native12_GLOBAL__N_124unique_dim_cuda_templateIN3c104HalfEEESt5tupleIJNSH_6TensorESO_SO_EERKSO_lbbbEUlllE0_EEPmJS6_EEE10hipError_tPvRmT3_T4_T5_T6_T7_T9_mT8_P12ihipStream_tbDpT10_ENKUlT_T0_E_clISt17integral_constantIbLb0EES1D_IbLb1EEEEDaS19_S1A_EUlS19_E_NS1_11comp_targetILNS1_3genE5ELNS1_11target_archE942ELNS1_3gpuE9ELNS1_3repE0EEENS1_30default_config_static_selectorELNS0_4arch9wavefront6targetE1EEEvT1_.private_seg_size, 0
	.set _ZN7rocprim17ROCPRIM_400000_NS6detail17trampoline_kernelINS0_14default_configENS1_25partition_config_selectorILNS1_17partition_subalgoE8ElNS0_10empty_typeEbEEZZNS1_14partition_implILS5_8ELb0ES3_jPlPS6_PKS6_NS0_5tupleIJS9_S6_EEENSD_IJSA_SA_EEENS0_18inequality_wrapperIZN2at6native12_GLOBAL__N_124unique_dim_cuda_templateIN3c104HalfEEESt5tupleIJNSH_6TensorESO_SO_EERKSO_lbbbEUlllE0_EEPmJS6_EEE10hipError_tPvRmT3_T4_T5_T6_T7_T9_mT8_P12ihipStream_tbDpT10_ENKUlT_T0_E_clISt17integral_constantIbLb0EES1D_IbLb1EEEEDaS19_S1A_EUlS19_E_NS1_11comp_targetILNS1_3genE5ELNS1_11target_archE942ELNS1_3gpuE9ELNS1_3repE0EEENS1_30default_config_static_selectorELNS0_4arch9wavefront6targetE1EEEvT1_.uses_vcc, 0
	.set _ZN7rocprim17ROCPRIM_400000_NS6detail17trampoline_kernelINS0_14default_configENS1_25partition_config_selectorILNS1_17partition_subalgoE8ElNS0_10empty_typeEbEEZZNS1_14partition_implILS5_8ELb0ES3_jPlPS6_PKS6_NS0_5tupleIJS9_S6_EEENSD_IJSA_SA_EEENS0_18inequality_wrapperIZN2at6native12_GLOBAL__N_124unique_dim_cuda_templateIN3c104HalfEEESt5tupleIJNSH_6TensorESO_SO_EERKSO_lbbbEUlllE0_EEPmJS6_EEE10hipError_tPvRmT3_T4_T5_T6_T7_T9_mT8_P12ihipStream_tbDpT10_ENKUlT_T0_E_clISt17integral_constantIbLb0EES1D_IbLb1EEEEDaS19_S1A_EUlS19_E_NS1_11comp_targetILNS1_3genE5ELNS1_11target_archE942ELNS1_3gpuE9ELNS1_3repE0EEENS1_30default_config_static_selectorELNS0_4arch9wavefront6targetE1EEEvT1_.uses_flat_scratch, 0
	.set _ZN7rocprim17ROCPRIM_400000_NS6detail17trampoline_kernelINS0_14default_configENS1_25partition_config_selectorILNS1_17partition_subalgoE8ElNS0_10empty_typeEbEEZZNS1_14partition_implILS5_8ELb0ES3_jPlPS6_PKS6_NS0_5tupleIJS9_S6_EEENSD_IJSA_SA_EEENS0_18inequality_wrapperIZN2at6native12_GLOBAL__N_124unique_dim_cuda_templateIN3c104HalfEEESt5tupleIJNSH_6TensorESO_SO_EERKSO_lbbbEUlllE0_EEPmJS6_EEE10hipError_tPvRmT3_T4_T5_T6_T7_T9_mT8_P12ihipStream_tbDpT10_ENKUlT_T0_E_clISt17integral_constantIbLb0EES1D_IbLb1EEEEDaS19_S1A_EUlS19_E_NS1_11comp_targetILNS1_3genE5ELNS1_11target_archE942ELNS1_3gpuE9ELNS1_3repE0EEENS1_30default_config_static_selectorELNS0_4arch9wavefront6targetE1EEEvT1_.has_dyn_sized_stack, 0
	.set _ZN7rocprim17ROCPRIM_400000_NS6detail17trampoline_kernelINS0_14default_configENS1_25partition_config_selectorILNS1_17partition_subalgoE8ElNS0_10empty_typeEbEEZZNS1_14partition_implILS5_8ELb0ES3_jPlPS6_PKS6_NS0_5tupleIJS9_S6_EEENSD_IJSA_SA_EEENS0_18inequality_wrapperIZN2at6native12_GLOBAL__N_124unique_dim_cuda_templateIN3c104HalfEEESt5tupleIJNSH_6TensorESO_SO_EERKSO_lbbbEUlllE0_EEPmJS6_EEE10hipError_tPvRmT3_T4_T5_T6_T7_T9_mT8_P12ihipStream_tbDpT10_ENKUlT_T0_E_clISt17integral_constantIbLb0EES1D_IbLb1EEEEDaS19_S1A_EUlS19_E_NS1_11comp_targetILNS1_3genE5ELNS1_11target_archE942ELNS1_3gpuE9ELNS1_3repE0EEENS1_30default_config_static_selectorELNS0_4arch9wavefront6targetE1EEEvT1_.has_recursion, 0
	.set _ZN7rocprim17ROCPRIM_400000_NS6detail17trampoline_kernelINS0_14default_configENS1_25partition_config_selectorILNS1_17partition_subalgoE8ElNS0_10empty_typeEbEEZZNS1_14partition_implILS5_8ELb0ES3_jPlPS6_PKS6_NS0_5tupleIJS9_S6_EEENSD_IJSA_SA_EEENS0_18inequality_wrapperIZN2at6native12_GLOBAL__N_124unique_dim_cuda_templateIN3c104HalfEEESt5tupleIJNSH_6TensorESO_SO_EERKSO_lbbbEUlllE0_EEPmJS6_EEE10hipError_tPvRmT3_T4_T5_T6_T7_T9_mT8_P12ihipStream_tbDpT10_ENKUlT_T0_E_clISt17integral_constantIbLb0EES1D_IbLb1EEEEDaS19_S1A_EUlS19_E_NS1_11comp_targetILNS1_3genE5ELNS1_11target_archE942ELNS1_3gpuE9ELNS1_3repE0EEENS1_30default_config_static_selectorELNS0_4arch9wavefront6targetE1EEEvT1_.has_indirect_call, 0
	.section	.AMDGPU.csdata,"",@progbits
; Kernel info:
; codeLenInByte = 0
; TotalNumSgprs: 6
; NumVgprs: 0
; NumAgprs: 0
; TotalNumVgprs: 0
; ScratchSize: 0
; MemoryBound: 0
; FloatMode: 240
; IeeeMode: 1
; LDSByteSize: 0 bytes/workgroup (compile time only)
; SGPRBlocks: 0
; VGPRBlocks: 0
; NumSGPRsForWavesPerEU: 6
; NumVGPRsForWavesPerEU: 1
; AccumOffset: 4
; Occupancy: 8
; WaveLimiterHint : 0
; COMPUTE_PGM_RSRC2:SCRATCH_EN: 0
; COMPUTE_PGM_RSRC2:USER_SGPR: 2
; COMPUTE_PGM_RSRC2:TRAP_HANDLER: 0
; COMPUTE_PGM_RSRC2:TGID_X_EN: 1
; COMPUTE_PGM_RSRC2:TGID_Y_EN: 0
; COMPUTE_PGM_RSRC2:TGID_Z_EN: 0
; COMPUTE_PGM_RSRC2:TIDIG_COMP_CNT: 0
; COMPUTE_PGM_RSRC3_GFX90A:ACCUM_OFFSET: 0
; COMPUTE_PGM_RSRC3_GFX90A:TG_SPLIT: 0
	.section	.text._ZN7rocprim17ROCPRIM_400000_NS6detail17trampoline_kernelINS0_14default_configENS1_25partition_config_selectorILNS1_17partition_subalgoE8ElNS0_10empty_typeEbEEZZNS1_14partition_implILS5_8ELb0ES3_jPlPS6_PKS6_NS0_5tupleIJS9_S6_EEENSD_IJSA_SA_EEENS0_18inequality_wrapperIZN2at6native12_GLOBAL__N_124unique_dim_cuda_templateIN3c104HalfEEESt5tupleIJNSH_6TensorESO_SO_EERKSO_lbbbEUlllE0_EEPmJS6_EEE10hipError_tPvRmT3_T4_T5_T6_T7_T9_mT8_P12ihipStream_tbDpT10_ENKUlT_T0_E_clISt17integral_constantIbLb0EES1D_IbLb1EEEEDaS19_S1A_EUlS19_E_NS1_11comp_targetILNS1_3genE4ELNS1_11target_archE910ELNS1_3gpuE8ELNS1_3repE0EEENS1_30default_config_static_selectorELNS0_4arch9wavefront6targetE1EEEvT1_,"axG",@progbits,_ZN7rocprim17ROCPRIM_400000_NS6detail17trampoline_kernelINS0_14default_configENS1_25partition_config_selectorILNS1_17partition_subalgoE8ElNS0_10empty_typeEbEEZZNS1_14partition_implILS5_8ELb0ES3_jPlPS6_PKS6_NS0_5tupleIJS9_S6_EEENSD_IJSA_SA_EEENS0_18inequality_wrapperIZN2at6native12_GLOBAL__N_124unique_dim_cuda_templateIN3c104HalfEEESt5tupleIJNSH_6TensorESO_SO_EERKSO_lbbbEUlllE0_EEPmJS6_EEE10hipError_tPvRmT3_T4_T5_T6_T7_T9_mT8_P12ihipStream_tbDpT10_ENKUlT_T0_E_clISt17integral_constantIbLb0EES1D_IbLb1EEEEDaS19_S1A_EUlS19_E_NS1_11comp_targetILNS1_3genE4ELNS1_11target_archE910ELNS1_3gpuE8ELNS1_3repE0EEENS1_30default_config_static_selectorELNS0_4arch9wavefront6targetE1EEEvT1_,comdat
	.globl	_ZN7rocprim17ROCPRIM_400000_NS6detail17trampoline_kernelINS0_14default_configENS1_25partition_config_selectorILNS1_17partition_subalgoE8ElNS0_10empty_typeEbEEZZNS1_14partition_implILS5_8ELb0ES3_jPlPS6_PKS6_NS0_5tupleIJS9_S6_EEENSD_IJSA_SA_EEENS0_18inequality_wrapperIZN2at6native12_GLOBAL__N_124unique_dim_cuda_templateIN3c104HalfEEESt5tupleIJNSH_6TensorESO_SO_EERKSO_lbbbEUlllE0_EEPmJS6_EEE10hipError_tPvRmT3_T4_T5_T6_T7_T9_mT8_P12ihipStream_tbDpT10_ENKUlT_T0_E_clISt17integral_constantIbLb0EES1D_IbLb1EEEEDaS19_S1A_EUlS19_E_NS1_11comp_targetILNS1_3genE4ELNS1_11target_archE910ELNS1_3gpuE8ELNS1_3repE0EEENS1_30default_config_static_selectorELNS0_4arch9wavefront6targetE1EEEvT1_ ; -- Begin function _ZN7rocprim17ROCPRIM_400000_NS6detail17trampoline_kernelINS0_14default_configENS1_25partition_config_selectorILNS1_17partition_subalgoE8ElNS0_10empty_typeEbEEZZNS1_14partition_implILS5_8ELb0ES3_jPlPS6_PKS6_NS0_5tupleIJS9_S6_EEENSD_IJSA_SA_EEENS0_18inequality_wrapperIZN2at6native12_GLOBAL__N_124unique_dim_cuda_templateIN3c104HalfEEESt5tupleIJNSH_6TensorESO_SO_EERKSO_lbbbEUlllE0_EEPmJS6_EEE10hipError_tPvRmT3_T4_T5_T6_T7_T9_mT8_P12ihipStream_tbDpT10_ENKUlT_T0_E_clISt17integral_constantIbLb0EES1D_IbLb1EEEEDaS19_S1A_EUlS19_E_NS1_11comp_targetILNS1_3genE4ELNS1_11target_archE910ELNS1_3gpuE8ELNS1_3repE0EEENS1_30default_config_static_selectorELNS0_4arch9wavefront6targetE1EEEvT1_
	.p2align	8
	.type	_ZN7rocprim17ROCPRIM_400000_NS6detail17trampoline_kernelINS0_14default_configENS1_25partition_config_selectorILNS1_17partition_subalgoE8ElNS0_10empty_typeEbEEZZNS1_14partition_implILS5_8ELb0ES3_jPlPS6_PKS6_NS0_5tupleIJS9_S6_EEENSD_IJSA_SA_EEENS0_18inequality_wrapperIZN2at6native12_GLOBAL__N_124unique_dim_cuda_templateIN3c104HalfEEESt5tupleIJNSH_6TensorESO_SO_EERKSO_lbbbEUlllE0_EEPmJS6_EEE10hipError_tPvRmT3_T4_T5_T6_T7_T9_mT8_P12ihipStream_tbDpT10_ENKUlT_T0_E_clISt17integral_constantIbLb0EES1D_IbLb1EEEEDaS19_S1A_EUlS19_E_NS1_11comp_targetILNS1_3genE4ELNS1_11target_archE910ELNS1_3gpuE8ELNS1_3repE0EEENS1_30default_config_static_selectorELNS0_4arch9wavefront6targetE1EEEvT1_,@function
_ZN7rocprim17ROCPRIM_400000_NS6detail17trampoline_kernelINS0_14default_configENS1_25partition_config_selectorILNS1_17partition_subalgoE8ElNS0_10empty_typeEbEEZZNS1_14partition_implILS5_8ELb0ES3_jPlPS6_PKS6_NS0_5tupleIJS9_S6_EEENSD_IJSA_SA_EEENS0_18inequality_wrapperIZN2at6native12_GLOBAL__N_124unique_dim_cuda_templateIN3c104HalfEEESt5tupleIJNSH_6TensorESO_SO_EERKSO_lbbbEUlllE0_EEPmJS6_EEE10hipError_tPvRmT3_T4_T5_T6_T7_T9_mT8_P12ihipStream_tbDpT10_ENKUlT_T0_E_clISt17integral_constantIbLb0EES1D_IbLb1EEEEDaS19_S1A_EUlS19_E_NS1_11comp_targetILNS1_3genE4ELNS1_11target_archE910ELNS1_3gpuE8ELNS1_3repE0EEENS1_30default_config_static_selectorELNS0_4arch9wavefront6targetE1EEEvT1_: ; @_ZN7rocprim17ROCPRIM_400000_NS6detail17trampoline_kernelINS0_14default_configENS1_25partition_config_selectorILNS1_17partition_subalgoE8ElNS0_10empty_typeEbEEZZNS1_14partition_implILS5_8ELb0ES3_jPlPS6_PKS6_NS0_5tupleIJS9_S6_EEENSD_IJSA_SA_EEENS0_18inequality_wrapperIZN2at6native12_GLOBAL__N_124unique_dim_cuda_templateIN3c104HalfEEESt5tupleIJNSH_6TensorESO_SO_EERKSO_lbbbEUlllE0_EEPmJS6_EEE10hipError_tPvRmT3_T4_T5_T6_T7_T9_mT8_P12ihipStream_tbDpT10_ENKUlT_T0_E_clISt17integral_constantIbLb0EES1D_IbLb1EEEEDaS19_S1A_EUlS19_E_NS1_11comp_targetILNS1_3genE4ELNS1_11target_archE910ELNS1_3gpuE8ELNS1_3repE0EEENS1_30default_config_static_selectorELNS0_4arch9wavefront6targetE1EEEvT1_
; %bb.0:
	.section	.rodata,"a",@progbits
	.p2align	6, 0x0
	.amdhsa_kernel _ZN7rocprim17ROCPRIM_400000_NS6detail17trampoline_kernelINS0_14default_configENS1_25partition_config_selectorILNS1_17partition_subalgoE8ElNS0_10empty_typeEbEEZZNS1_14partition_implILS5_8ELb0ES3_jPlPS6_PKS6_NS0_5tupleIJS9_S6_EEENSD_IJSA_SA_EEENS0_18inequality_wrapperIZN2at6native12_GLOBAL__N_124unique_dim_cuda_templateIN3c104HalfEEESt5tupleIJNSH_6TensorESO_SO_EERKSO_lbbbEUlllE0_EEPmJS6_EEE10hipError_tPvRmT3_T4_T5_T6_T7_T9_mT8_P12ihipStream_tbDpT10_ENKUlT_T0_E_clISt17integral_constantIbLb0EES1D_IbLb1EEEEDaS19_S1A_EUlS19_E_NS1_11comp_targetILNS1_3genE4ELNS1_11target_archE910ELNS1_3gpuE8ELNS1_3repE0EEENS1_30default_config_static_selectorELNS0_4arch9wavefront6targetE1EEEvT1_
		.amdhsa_group_segment_fixed_size 0
		.amdhsa_private_segment_fixed_size 0
		.amdhsa_kernarg_size 136
		.amdhsa_user_sgpr_count 2
		.amdhsa_user_sgpr_dispatch_ptr 0
		.amdhsa_user_sgpr_queue_ptr 0
		.amdhsa_user_sgpr_kernarg_segment_ptr 1
		.amdhsa_user_sgpr_dispatch_id 0
		.amdhsa_user_sgpr_kernarg_preload_length 0
		.amdhsa_user_sgpr_kernarg_preload_offset 0
		.amdhsa_user_sgpr_private_segment_size 0
		.amdhsa_uses_dynamic_stack 0
		.amdhsa_enable_private_segment 0
		.amdhsa_system_sgpr_workgroup_id_x 1
		.amdhsa_system_sgpr_workgroup_id_y 0
		.amdhsa_system_sgpr_workgroup_id_z 0
		.amdhsa_system_sgpr_workgroup_info 0
		.amdhsa_system_vgpr_workitem_id 0
		.amdhsa_next_free_vgpr 1
		.amdhsa_next_free_sgpr 0
		.amdhsa_accum_offset 4
		.amdhsa_reserve_vcc 0
		.amdhsa_float_round_mode_32 0
		.amdhsa_float_round_mode_16_64 0
		.amdhsa_float_denorm_mode_32 3
		.amdhsa_float_denorm_mode_16_64 3
		.amdhsa_dx10_clamp 1
		.amdhsa_ieee_mode 1
		.amdhsa_fp16_overflow 0
		.amdhsa_tg_split 0
		.amdhsa_exception_fp_ieee_invalid_op 0
		.amdhsa_exception_fp_denorm_src 0
		.amdhsa_exception_fp_ieee_div_zero 0
		.amdhsa_exception_fp_ieee_overflow 0
		.amdhsa_exception_fp_ieee_underflow 0
		.amdhsa_exception_fp_ieee_inexact 0
		.amdhsa_exception_int_div_zero 0
	.end_amdhsa_kernel
	.section	.text._ZN7rocprim17ROCPRIM_400000_NS6detail17trampoline_kernelINS0_14default_configENS1_25partition_config_selectorILNS1_17partition_subalgoE8ElNS0_10empty_typeEbEEZZNS1_14partition_implILS5_8ELb0ES3_jPlPS6_PKS6_NS0_5tupleIJS9_S6_EEENSD_IJSA_SA_EEENS0_18inequality_wrapperIZN2at6native12_GLOBAL__N_124unique_dim_cuda_templateIN3c104HalfEEESt5tupleIJNSH_6TensorESO_SO_EERKSO_lbbbEUlllE0_EEPmJS6_EEE10hipError_tPvRmT3_T4_T5_T6_T7_T9_mT8_P12ihipStream_tbDpT10_ENKUlT_T0_E_clISt17integral_constantIbLb0EES1D_IbLb1EEEEDaS19_S1A_EUlS19_E_NS1_11comp_targetILNS1_3genE4ELNS1_11target_archE910ELNS1_3gpuE8ELNS1_3repE0EEENS1_30default_config_static_selectorELNS0_4arch9wavefront6targetE1EEEvT1_,"axG",@progbits,_ZN7rocprim17ROCPRIM_400000_NS6detail17trampoline_kernelINS0_14default_configENS1_25partition_config_selectorILNS1_17partition_subalgoE8ElNS0_10empty_typeEbEEZZNS1_14partition_implILS5_8ELb0ES3_jPlPS6_PKS6_NS0_5tupleIJS9_S6_EEENSD_IJSA_SA_EEENS0_18inequality_wrapperIZN2at6native12_GLOBAL__N_124unique_dim_cuda_templateIN3c104HalfEEESt5tupleIJNSH_6TensorESO_SO_EERKSO_lbbbEUlllE0_EEPmJS6_EEE10hipError_tPvRmT3_T4_T5_T6_T7_T9_mT8_P12ihipStream_tbDpT10_ENKUlT_T0_E_clISt17integral_constantIbLb0EES1D_IbLb1EEEEDaS19_S1A_EUlS19_E_NS1_11comp_targetILNS1_3genE4ELNS1_11target_archE910ELNS1_3gpuE8ELNS1_3repE0EEENS1_30default_config_static_selectorELNS0_4arch9wavefront6targetE1EEEvT1_,comdat
.Lfunc_end1323:
	.size	_ZN7rocprim17ROCPRIM_400000_NS6detail17trampoline_kernelINS0_14default_configENS1_25partition_config_selectorILNS1_17partition_subalgoE8ElNS0_10empty_typeEbEEZZNS1_14partition_implILS5_8ELb0ES3_jPlPS6_PKS6_NS0_5tupleIJS9_S6_EEENSD_IJSA_SA_EEENS0_18inequality_wrapperIZN2at6native12_GLOBAL__N_124unique_dim_cuda_templateIN3c104HalfEEESt5tupleIJNSH_6TensorESO_SO_EERKSO_lbbbEUlllE0_EEPmJS6_EEE10hipError_tPvRmT3_T4_T5_T6_T7_T9_mT8_P12ihipStream_tbDpT10_ENKUlT_T0_E_clISt17integral_constantIbLb0EES1D_IbLb1EEEEDaS19_S1A_EUlS19_E_NS1_11comp_targetILNS1_3genE4ELNS1_11target_archE910ELNS1_3gpuE8ELNS1_3repE0EEENS1_30default_config_static_selectorELNS0_4arch9wavefront6targetE1EEEvT1_, .Lfunc_end1323-_ZN7rocprim17ROCPRIM_400000_NS6detail17trampoline_kernelINS0_14default_configENS1_25partition_config_selectorILNS1_17partition_subalgoE8ElNS0_10empty_typeEbEEZZNS1_14partition_implILS5_8ELb0ES3_jPlPS6_PKS6_NS0_5tupleIJS9_S6_EEENSD_IJSA_SA_EEENS0_18inequality_wrapperIZN2at6native12_GLOBAL__N_124unique_dim_cuda_templateIN3c104HalfEEESt5tupleIJNSH_6TensorESO_SO_EERKSO_lbbbEUlllE0_EEPmJS6_EEE10hipError_tPvRmT3_T4_T5_T6_T7_T9_mT8_P12ihipStream_tbDpT10_ENKUlT_T0_E_clISt17integral_constantIbLb0EES1D_IbLb1EEEEDaS19_S1A_EUlS19_E_NS1_11comp_targetILNS1_3genE4ELNS1_11target_archE910ELNS1_3gpuE8ELNS1_3repE0EEENS1_30default_config_static_selectorELNS0_4arch9wavefront6targetE1EEEvT1_
                                        ; -- End function
	.set _ZN7rocprim17ROCPRIM_400000_NS6detail17trampoline_kernelINS0_14default_configENS1_25partition_config_selectorILNS1_17partition_subalgoE8ElNS0_10empty_typeEbEEZZNS1_14partition_implILS5_8ELb0ES3_jPlPS6_PKS6_NS0_5tupleIJS9_S6_EEENSD_IJSA_SA_EEENS0_18inequality_wrapperIZN2at6native12_GLOBAL__N_124unique_dim_cuda_templateIN3c104HalfEEESt5tupleIJNSH_6TensorESO_SO_EERKSO_lbbbEUlllE0_EEPmJS6_EEE10hipError_tPvRmT3_T4_T5_T6_T7_T9_mT8_P12ihipStream_tbDpT10_ENKUlT_T0_E_clISt17integral_constantIbLb0EES1D_IbLb1EEEEDaS19_S1A_EUlS19_E_NS1_11comp_targetILNS1_3genE4ELNS1_11target_archE910ELNS1_3gpuE8ELNS1_3repE0EEENS1_30default_config_static_selectorELNS0_4arch9wavefront6targetE1EEEvT1_.num_vgpr, 0
	.set _ZN7rocprim17ROCPRIM_400000_NS6detail17trampoline_kernelINS0_14default_configENS1_25partition_config_selectorILNS1_17partition_subalgoE8ElNS0_10empty_typeEbEEZZNS1_14partition_implILS5_8ELb0ES3_jPlPS6_PKS6_NS0_5tupleIJS9_S6_EEENSD_IJSA_SA_EEENS0_18inequality_wrapperIZN2at6native12_GLOBAL__N_124unique_dim_cuda_templateIN3c104HalfEEESt5tupleIJNSH_6TensorESO_SO_EERKSO_lbbbEUlllE0_EEPmJS6_EEE10hipError_tPvRmT3_T4_T5_T6_T7_T9_mT8_P12ihipStream_tbDpT10_ENKUlT_T0_E_clISt17integral_constantIbLb0EES1D_IbLb1EEEEDaS19_S1A_EUlS19_E_NS1_11comp_targetILNS1_3genE4ELNS1_11target_archE910ELNS1_3gpuE8ELNS1_3repE0EEENS1_30default_config_static_selectorELNS0_4arch9wavefront6targetE1EEEvT1_.num_agpr, 0
	.set _ZN7rocprim17ROCPRIM_400000_NS6detail17trampoline_kernelINS0_14default_configENS1_25partition_config_selectorILNS1_17partition_subalgoE8ElNS0_10empty_typeEbEEZZNS1_14partition_implILS5_8ELb0ES3_jPlPS6_PKS6_NS0_5tupleIJS9_S6_EEENSD_IJSA_SA_EEENS0_18inequality_wrapperIZN2at6native12_GLOBAL__N_124unique_dim_cuda_templateIN3c104HalfEEESt5tupleIJNSH_6TensorESO_SO_EERKSO_lbbbEUlllE0_EEPmJS6_EEE10hipError_tPvRmT3_T4_T5_T6_T7_T9_mT8_P12ihipStream_tbDpT10_ENKUlT_T0_E_clISt17integral_constantIbLb0EES1D_IbLb1EEEEDaS19_S1A_EUlS19_E_NS1_11comp_targetILNS1_3genE4ELNS1_11target_archE910ELNS1_3gpuE8ELNS1_3repE0EEENS1_30default_config_static_selectorELNS0_4arch9wavefront6targetE1EEEvT1_.numbered_sgpr, 0
	.set _ZN7rocprim17ROCPRIM_400000_NS6detail17trampoline_kernelINS0_14default_configENS1_25partition_config_selectorILNS1_17partition_subalgoE8ElNS0_10empty_typeEbEEZZNS1_14partition_implILS5_8ELb0ES3_jPlPS6_PKS6_NS0_5tupleIJS9_S6_EEENSD_IJSA_SA_EEENS0_18inequality_wrapperIZN2at6native12_GLOBAL__N_124unique_dim_cuda_templateIN3c104HalfEEESt5tupleIJNSH_6TensorESO_SO_EERKSO_lbbbEUlllE0_EEPmJS6_EEE10hipError_tPvRmT3_T4_T5_T6_T7_T9_mT8_P12ihipStream_tbDpT10_ENKUlT_T0_E_clISt17integral_constantIbLb0EES1D_IbLb1EEEEDaS19_S1A_EUlS19_E_NS1_11comp_targetILNS1_3genE4ELNS1_11target_archE910ELNS1_3gpuE8ELNS1_3repE0EEENS1_30default_config_static_selectorELNS0_4arch9wavefront6targetE1EEEvT1_.num_named_barrier, 0
	.set _ZN7rocprim17ROCPRIM_400000_NS6detail17trampoline_kernelINS0_14default_configENS1_25partition_config_selectorILNS1_17partition_subalgoE8ElNS0_10empty_typeEbEEZZNS1_14partition_implILS5_8ELb0ES3_jPlPS6_PKS6_NS0_5tupleIJS9_S6_EEENSD_IJSA_SA_EEENS0_18inequality_wrapperIZN2at6native12_GLOBAL__N_124unique_dim_cuda_templateIN3c104HalfEEESt5tupleIJNSH_6TensorESO_SO_EERKSO_lbbbEUlllE0_EEPmJS6_EEE10hipError_tPvRmT3_T4_T5_T6_T7_T9_mT8_P12ihipStream_tbDpT10_ENKUlT_T0_E_clISt17integral_constantIbLb0EES1D_IbLb1EEEEDaS19_S1A_EUlS19_E_NS1_11comp_targetILNS1_3genE4ELNS1_11target_archE910ELNS1_3gpuE8ELNS1_3repE0EEENS1_30default_config_static_selectorELNS0_4arch9wavefront6targetE1EEEvT1_.private_seg_size, 0
	.set _ZN7rocprim17ROCPRIM_400000_NS6detail17trampoline_kernelINS0_14default_configENS1_25partition_config_selectorILNS1_17partition_subalgoE8ElNS0_10empty_typeEbEEZZNS1_14partition_implILS5_8ELb0ES3_jPlPS6_PKS6_NS0_5tupleIJS9_S6_EEENSD_IJSA_SA_EEENS0_18inequality_wrapperIZN2at6native12_GLOBAL__N_124unique_dim_cuda_templateIN3c104HalfEEESt5tupleIJNSH_6TensorESO_SO_EERKSO_lbbbEUlllE0_EEPmJS6_EEE10hipError_tPvRmT3_T4_T5_T6_T7_T9_mT8_P12ihipStream_tbDpT10_ENKUlT_T0_E_clISt17integral_constantIbLb0EES1D_IbLb1EEEEDaS19_S1A_EUlS19_E_NS1_11comp_targetILNS1_3genE4ELNS1_11target_archE910ELNS1_3gpuE8ELNS1_3repE0EEENS1_30default_config_static_selectorELNS0_4arch9wavefront6targetE1EEEvT1_.uses_vcc, 0
	.set _ZN7rocprim17ROCPRIM_400000_NS6detail17trampoline_kernelINS0_14default_configENS1_25partition_config_selectorILNS1_17partition_subalgoE8ElNS0_10empty_typeEbEEZZNS1_14partition_implILS5_8ELb0ES3_jPlPS6_PKS6_NS0_5tupleIJS9_S6_EEENSD_IJSA_SA_EEENS0_18inequality_wrapperIZN2at6native12_GLOBAL__N_124unique_dim_cuda_templateIN3c104HalfEEESt5tupleIJNSH_6TensorESO_SO_EERKSO_lbbbEUlllE0_EEPmJS6_EEE10hipError_tPvRmT3_T4_T5_T6_T7_T9_mT8_P12ihipStream_tbDpT10_ENKUlT_T0_E_clISt17integral_constantIbLb0EES1D_IbLb1EEEEDaS19_S1A_EUlS19_E_NS1_11comp_targetILNS1_3genE4ELNS1_11target_archE910ELNS1_3gpuE8ELNS1_3repE0EEENS1_30default_config_static_selectorELNS0_4arch9wavefront6targetE1EEEvT1_.uses_flat_scratch, 0
	.set _ZN7rocprim17ROCPRIM_400000_NS6detail17trampoline_kernelINS0_14default_configENS1_25partition_config_selectorILNS1_17partition_subalgoE8ElNS0_10empty_typeEbEEZZNS1_14partition_implILS5_8ELb0ES3_jPlPS6_PKS6_NS0_5tupleIJS9_S6_EEENSD_IJSA_SA_EEENS0_18inequality_wrapperIZN2at6native12_GLOBAL__N_124unique_dim_cuda_templateIN3c104HalfEEESt5tupleIJNSH_6TensorESO_SO_EERKSO_lbbbEUlllE0_EEPmJS6_EEE10hipError_tPvRmT3_T4_T5_T6_T7_T9_mT8_P12ihipStream_tbDpT10_ENKUlT_T0_E_clISt17integral_constantIbLb0EES1D_IbLb1EEEEDaS19_S1A_EUlS19_E_NS1_11comp_targetILNS1_3genE4ELNS1_11target_archE910ELNS1_3gpuE8ELNS1_3repE0EEENS1_30default_config_static_selectorELNS0_4arch9wavefront6targetE1EEEvT1_.has_dyn_sized_stack, 0
	.set _ZN7rocprim17ROCPRIM_400000_NS6detail17trampoline_kernelINS0_14default_configENS1_25partition_config_selectorILNS1_17partition_subalgoE8ElNS0_10empty_typeEbEEZZNS1_14partition_implILS5_8ELb0ES3_jPlPS6_PKS6_NS0_5tupleIJS9_S6_EEENSD_IJSA_SA_EEENS0_18inequality_wrapperIZN2at6native12_GLOBAL__N_124unique_dim_cuda_templateIN3c104HalfEEESt5tupleIJNSH_6TensorESO_SO_EERKSO_lbbbEUlllE0_EEPmJS6_EEE10hipError_tPvRmT3_T4_T5_T6_T7_T9_mT8_P12ihipStream_tbDpT10_ENKUlT_T0_E_clISt17integral_constantIbLb0EES1D_IbLb1EEEEDaS19_S1A_EUlS19_E_NS1_11comp_targetILNS1_3genE4ELNS1_11target_archE910ELNS1_3gpuE8ELNS1_3repE0EEENS1_30default_config_static_selectorELNS0_4arch9wavefront6targetE1EEEvT1_.has_recursion, 0
	.set _ZN7rocprim17ROCPRIM_400000_NS6detail17trampoline_kernelINS0_14default_configENS1_25partition_config_selectorILNS1_17partition_subalgoE8ElNS0_10empty_typeEbEEZZNS1_14partition_implILS5_8ELb0ES3_jPlPS6_PKS6_NS0_5tupleIJS9_S6_EEENSD_IJSA_SA_EEENS0_18inequality_wrapperIZN2at6native12_GLOBAL__N_124unique_dim_cuda_templateIN3c104HalfEEESt5tupleIJNSH_6TensorESO_SO_EERKSO_lbbbEUlllE0_EEPmJS6_EEE10hipError_tPvRmT3_T4_T5_T6_T7_T9_mT8_P12ihipStream_tbDpT10_ENKUlT_T0_E_clISt17integral_constantIbLb0EES1D_IbLb1EEEEDaS19_S1A_EUlS19_E_NS1_11comp_targetILNS1_3genE4ELNS1_11target_archE910ELNS1_3gpuE8ELNS1_3repE0EEENS1_30default_config_static_selectorELNS0_4arch9wavefront6targetE1EEEvT1_.has_indirect_call, 0
	.section	.AMDGPU.csdata,"",@progbits
; Kernel info:
; codeLenInByte = 0
; TotalNumSgprs: 6
; NumVgprs: 0
; NumAgprs: 0
; TotalNumVgprs: 0
; ScratchSize: 0
; MemoryBound: 0
; FloatMode: 240
; IeeeMode: 1
; LDSByteSize: 0 bytes/workgroup (compile time only)
; SGPRBlocks: 0
; VGPRBlocks: 0
; NumSGPRsForWavesPerEU: 6
; NumVGPRsForWavesPerEU: 1
; AccumOffset: 4
; Occupancy: 8
; WaveLimiterHint : 0
; COMPUTE_PGM_RSRC2:SCRATCH_EN: 0
; COMPUTE_PGM_RSRC2:USER_SGPR: 2
; COMPUTE_PGM_RSRC2:TRAP_HANDLER: 0
; COMPUTE_PGM_RSRC2:TGID_X_EN: 1
; COMPUTE_PGM_RSRC2:TGID_Y_EN: 0
; COMPUTE_PGM_RSRC2:TGID_Z_EN: 0
; COMPUTE_PGM_RSRC2:TIDIG_COMP_CNT: 0
; COMPUTE_PGM_RSRC3_GFX90A:ACCUM_OFFSET: 0
; COMPUTE_PGM_RSRC3_GFX90A:TG_SPLIT: 0
	.section	.text._ZN7rocprim17ROCPRIM_400000_NS6detail17trampoline_kernelINS0_14default_configENS1_25partition_config_selectorILNS1_17partition_subalgoE8ElNS0_10empty_typeEbEEZZNS1_14partition_implILS5_8ELb0ES3_jPlPS6_PKS6_NS0_5tupleIJS9_S6_EEENSD_IJSA_SA_EEENS0_18inequality_wrapperIZN2at6native12_GLOBAL__N_124unique_dim_cuda_templateIN3c104HalfEEESt5tupleIJNSH_6TensorESO_SO_EERKSO_lbbbEUlllE0_EEPmJS6_EEE10hipError_tPvRmT3_T4_T5_T6_T7_T9_mT8_P12ihipStream_tbDpT10_ENKUlT_T0_E_clISt17integral_constantIbLb0EES1D_IbLb1EEEEDaS19_S1A_EUlS19_E_NS1_11comp_targetILNS1_3genE3ELNS1_11target_archE908ELNS1_3gpuE7ELNS1_3repE0EEENS1_30default_config_static_selectorELNS0_4arch9wavefront6targetE1EEEvT1_,"axG",@progbits,_ZN7rocprim17ROCPRIM_400000_NS6detail17trampoline_kernelINS0_14default_configENS1_25partition_config_selectorILNS1_17partition_subalgoE8ElNS0_10empty_typeEbEEZZNS1_14partition_implILS5_8ELb0ES3_jPlPS6_PKS6_NS0_5tupleIJS9_S6_EEENSD_IJSA_SA_EEENS0_18inequality_wrapperIZN2at6native12_GLOBAL__N_124unique_dim_cuda_templateIN3c104HalfEEESt5tupleIJNSH_6TensorESO_SO_EERKSO_lbbbEUlllE0_EEPmJS6_EEE10hipError_tPvRmT3_T4_T5_T6_T7_T9_mT8_P12ihipStream_tbDpT10_ENKUlT_T0_E_clISt17integral_constantIbLb0EES1D_IbLb1EEEEDaS19_S1A_EUlS19_E_NS1_11comp_targetILNS1_3genE3ELNS1_11target_archE908ELNS1_3gpuE7ELNS1_3repE0EEENS1_30default_config_static_selectorELNS0_4arch9wavefront6targetE1EEEvT1_,comdat
	.globl	_ZN7rocprim17ROCPRIM_400000_NS6detail17trampoline_kernelINS0_14default_configENS1_25partition_config_selectorILNS1_17partition_subalgoE8ElNS0_10empty_typeEbEEZZNS1_14partition_implILS5_8ELb0ES3_jPlPS6_PKS6_NS0_5tupleIJS9_S6_EEENSD_IJSA_SA_EEENS0_18inequality_wrapperIZN2at6native12_GLOBAL__N_124unique_dim_cuda_templateIN3c104HalfEEESt5tupleIJNSH_6TensorESO_SO_EERKSO_lbbbEUlllE0_EEPmJS6_EEE10hipError_tPvRmT3_T4_T5_T6_T7_T9_mT8_P12ihipStream_tbDpT10_ENKUlT_T0_E_clISt17integral_constantIbLb0EES1D_IbLb1EEEEDaS19_S1A_EUlS19_E_NS1_11comp_targetILNS1_3genE3ELNS1_11target_archE908ELNS1_3gpuE7ELNS1_3repE0EEENS1_30default_config_static_selectorELNS0_4arch9wavefront6targetE1EEEvT1_ ; -- Begin function _ZN7rocprim17ROCPRIM_400000_NS6detail17trampoline_kernelINS0_14default_configENS1_25partition_config_selectorILNS1_17partition_subalgoE8ElNS0_10empty_typeEbEEZZNS1_14partition_implILS5_8ELb0ES3_jPlPS6_PKS6_NS0_5tupleIJS9_S6_EEENSD_IJSA_SA_EEENS0_18inequality_wrapperIZN2at6native12_GLOBAL__N_124unique_dim_cuda_templateIN3c104HalfEEESt5tupleIJNSH_6TensorESO_SO_EERKSO_lbbbEUlllE0_EEPmJS6_EEE10hipError_tPvRmT3_T4_T5_T6_T7_T9_mT8_P12ihipStream_tbDpT10_ENKUlT_T0_E_clISt17integral_constantIbLb0EES1D_IbLb1EEEEDaS19_S1A_EUlS19_E_NS1_11comp_targetILNS1_3genE3ELNS1_11target_archE908ELNS1_3gpuE7ELNS1_3repE0EEENS1_30default_config_static_selectorELNS0_4arch9wavefront6targetE1EEEvT1_
	.p2align	8
	.type	_ZN7rocprim17ROCPRIM_400000_NS6detail17trampoline_kernelINS0_14default_configENS1_25partition_config_selectorILNS1_17partition_subalgoE8ElNS0_10empty_typeEbEEZZNS1_14partition_implILS5_8ELb0ES3_jPlPS6_PKS6_NS0_5tupleIJS9_S6_EEENSD_IJSA_SA_EEENS0_18inequality_wrapperIZN2at6native12_GLOBAL__N_124unique_dim_cuda_templateIN3c104HalfEEESt5tupleIJNSH_6TensorESO_SO_EERKSO_lbbbEUlllE0_EEPmJS6_EEE10hipError_tPvRmT3_T4_T5_T6_T7_T9_mT8_P12ihipStream_tbDpT10_ENKUlT_T0_E_clISt17integral_constantIbLb0EES1D_IbLb1EEEEDaS19_S1A_EUlS19_E_NS1_11comp_targetILNS1_3genE3ELNS1_11target_archE908ELNS1_3gpuE7ELNS1_3repE0EEENS1_30default_config_static_selectorELNS0_4arch9wavefront6targetE1EEEvT1_,@function
_ZN7rocprim17ROCPRIM_400000_NS6detail17trampoline_kernelINS0_14default_configENS1_25partition_config_selectorILNS1_17partition_subalgoE8ElNS0_10empty_typeEbEEZZNS1_14partition_implILS5_8ELb0ES3_jPlPS6_PKS6_NS0_5tupleIJS9_S6_EEENSD_IJSA_SA_EEENS0_18inequality_wrapperIZN2at6native12_GLOBAL__N_124unique_dim_cuda_templateIN3c104HalfEEESt5tupleIJNSH_6TensorESO_SO_EERKSO_lbbbEUlllE0_EEPmJS6_EEE10hipError_tPvRmT3_T4_T5_T6_T7_T9_mT8_P12ihipStream_tbDpT10_ENKUlT_T0_E_clISt17integral_constantIbLb0EES1D_IbLb1EEEEDaS19_S1A_EUlS19_E_NS1_11comp_targetILNS1_3genE3ELNS1_11target_archE908ELNS1_3gpuE7ELNS1_3repE0EEENS1_30default_config_static_selectorELNS0_4arch9wavefront6targetE1EEEvT1_: ; @_ZN7rocprim17ROCPRIM_400000_NS6detail17trampoline_kernelINS0_14default_configENS1_25partition_config_selectorILNS1_17partition_subalgoE8ElNS0_10empty_typeEbEEZZNS1_14partition_implILS5_8ELb0ES3_jPlPS6_PKS6_NS0_5tupleIJS9_S6_EEENSD_IJSA_SA_EEENS0_18inequality_wrapperIZN2at6native12_GLOBAL__N_124unique_dim_cuda_templateIN3c104HalfEEESt5tupleIJNSH_6TensorESO_SO_EERKSO_lbbbEUlllE0_EEPmJS6_EEE10hipError_tPvRmT3_T4_T5_T6_T7_T9_mT8_P12ihipStream_tbDpT10_ENKUlT_T0_E_clISt17integral_constantIbLb0EES1D_IbLb1EEEEDaS19_S1A_EUlS19_E_NS1_11comp_targetILNS1_3genE3ELNS1_11target_archE908ELNS1_3gpuE7ELNS1_3repE0EEENS1_30default_config_static_selectorELNS0_4arch9wavefront6targetE1EEEvT1_
; %bb.0:
	.section	.rodata,"a",@progbits
	.p2align	6, 0x0
	.amdhsa_kernel _ZN7rocprim17ROCPRIM_400000_NS6detail17trampoline_kernelINS0_14default_configENS1_25partition_config_selectorILNS1_17partition_subalgoE8ElNS0_10empty_typeEbEEZZNS1_14partition_implILS5_8ELb0ES3_jPlPS6_PKS6_NS0_5tupleIJS9_S6_EEENSD_IJSA_SA_EEENS0_18inequality_wrapperIZN2at6native12_GLOBAL__N_124unique_dim_cuda_templateIN3c104HalfEEESt5tupleIJNSH_6TensorESO_SO_EERKSO_lbbbEUlllE0_EEPmJS6_EEE10hipError_tPvRmT3_T4_T5_T6_T7_T9_mT8_P12ihipStream_tbDpT10_ENKUlT_T0_E_clISt17integral_constantIbLb0EES1D_IbLb1EEEEDaS19_S1A_EUlS19_E_NS1_11comp_targetILNS1_3genE3ELNS1_11target_archE908ELNS1_3gpuE7ELNS1_3repE0EEENS1_30default_config_static_selectorELNS0_4arch9wavefront6targetE1EEEvT1_
		.amdhsa_group_segment_fixed_size 0
		.amdhsa_private_segment_fixed_size 0
		.amdhsa_kernarg_size 136
		.amdhsa_user_sgpr_count 2
		.amdhsa_user_sgpr_dispatch_ptr 0
		.amdhsa_user_sgpr_queue_ptr 0
		.amdhsa_user_sgpr_kernarg_segment_ptr 1
		.amdhsa_user_sgpr_dispatch_id 0
		.amdhsa_user_sgpr_kernarg_preload_length 0
		.amdhsa_user_sgpr_kernarg_preload_offset 0
		.amdhsa_user_sgpr_private_segment_size 0
		.amdhsa_uses_dynamic_stack 0
		.amdhsa_enable_private_segment 0
		.amdhsa_system_sgpr_workgroup_id_x 1
		.amdhsa_system_sgpr_workgroup_id_y 0
		.amdhsa_system_sgpr_workgroup_id_z 0
		.amdhsa_system_sgpr_workgroup_info 0
		.amdhsa_system_vgpr_workitem_id 0
		.amdhsa_next_free_vgpr 1
		.amdhsa_next_free_sgpr 0
		.amdhsa_accum_offset 4
		.amdhsa_reserve_vcc 0
		.amdhsa_float_round_mode_32 0
		.amdhsa_float_round_mode_16_64 0
		.amdhsa_float_denorm_mode_32 3
		.amdhsa_float_denorm_mode_16_64 3
		.amdhsa_dx10_clamp 1
		.amdhsa_ieee_mode 1
		.amdhsa_fp16_overflow 0
		.amdhsa_tg_split 0
		.amdhsa_exception_fp_ieee_invalid_op 0
		.amdhsa_exception_fp_denorm_src 0
		.amdhsa_exception_fp_ieee_div_zero 0
		.amdhsa_exception_fp_ieee_overflow 0
		.amdhsa_exception_fp_ieee_underflow 0
		.amdhsa_exception_fp_ieee_inexact 0
		.amdhsa_exception_int_div_zero 0
	.end_amdhsa_kernel
	.section	.text._ZN7rocprim17ROCPRIM_400000_NS6detail17trampoline_kernelINS0_14default_configENS1_25partition_config_selectorILNS1_17partition_subalgoE8ElNS0_10empty_typeEbEEZZNS1_14partition_implILS5_8ELb0ES3_jPlPS6_PKS6_NS0_5tupleIJS9_S6_EEENSD_IJSA_SA_EEENS0_18inequality_wrapperIZN2at6native12_GLOBAL__N_124unique_dim_cuda_templateIN3c104HalfEEESt5tupleIJNSH_6TensorESO_SO_EERKSO_lbbbEUlllE0_EEPmJS6_EEE10hipError_tPvRmT3_T4_T5_T6_T7_T9_mT8_P12ihipStream_tbDpT10_ENKUlT_T0_E_clISt17integral_constantIbLb0EES1D_IbLb1EEEEDaS19_S1A_EUlS19_E_NS1_11comp_targetILNS1_3genE3ELNS1_11target_archE908ELNS1_3gpuE7ELNS1_3repE0EEENS1_30default_config_static_selectorELNS0_4arch9wavefront6targetE1EEEvT1_,"axG",@progbits,_ZN7rocprim17ROCPRIM_400000_NS6detail17trampoline_kernelINS0_14default_configENS1_25partition_config_selectorILNS1_17partition_subalgoE8ElNS0_10empty_typeEbEEZZNS1_14partition_implILS5_8ELb0ES3_jPlPS6_PKS6_NS0_5tupleIJS9_S6_EEENSD_IJSA_SA_EEENS0_18inequality_wrapperIZN2at6native12_GLOBAL__N_124unique_dim_cuda_templateIN3c104HalfEEESt5tupleIJNSH_6TensorESO_SO_EERKSO_lbbbEUlllE0_EEPmJS6_EEE10hipError_tPvRmT3_T4_T5_T6_T7_T9_mT8_P12ihipStream_tbDpT10_ENKUlT_T0_E_clISt17integral_constantIbLb0EES1D_IbLb1EEEEDaS19_S1A_EUlS19_E_NS1_11comp_targetILNS1_3genE3ELNS1_11target_archE908ELNS1_3gpuE7ELNS1_3repE0EEENS1_30default_config_static_selectorELNS0_4arch9wavefront6targetE1EEEvT1_,comdat
.Lfunc_end1324:
	.size	_ZN7rocprim17ROCPRIM_400000_NS6detail17trampoline_kernelINS0_14default_configENS1_25partition_config_selectorILNS1_17partition_subalgoE8ElNS0_10empty_typeEbEEZZNS1_14partition_implILS5_8ELb0ES3_jPlPS6_PKS6_NS0_5tupleIJS9_S6_EEENSD_IJSA_SA_EEENS0_18inequality_wrapperIZN2at6native12_GLOBAL__N_124unique_dim_cuda_templateIN3c104HalfEEESt5tupleIJNSH_6TensorESO_SO_EERKSO_lbbbEUlllE0_EEPmJS6_EEE10hipError_tPvRmT3_T4_T5_T6_T7_T9_mT8_P12ihipStream_tbDpT10_ENKUlT_T0_E_clISt17integral_constantIbLb0EES1D_IbLb1EEEEDaS19_S1A_EUlS19_E_NS1_11comp_targetILNS1_3genE3ELNS1_11target_archE908ELNS1_3gpuE7ELNS1_3repE0EEENS1_30default_config_static_selectorELNS0_4arch9wavefront6targetE1EEEvT1_, .Lfunc_end1324-_ZN7rocprim17ROCPRIM_400000_NS6detail17trampoline_kernelINS0_14default_configENS1_25partition_config_selectorILNS1_17partition_subalgoE8ElNS0_10empty_typeEbEEZZNS1_14partition_implILS5_8ELb0ES3_jPlPS6_PKS6_NS0_5tupleIJS9_S6_EEENSD_IJSA_SA_EEENS0_18inequality_wrapperIZN2at6native12_GLOBAL__N_124unique_dim_cuda_templateIN3c104HalfEEESt5tupleIJNSH_6TensorESO_SO_EERKSO_lbbbEUlllE0_EEPmJS6_EEE10hipError_tPvRmT3_T4_T5_T6_T7_T9_mT8_P12ihipStream_tbDpT10_ENKUlT_T0_E_clISt17integral_constantIbLb0EES1D_IbLb1EEEEDaS19_S1A_EUlS19_E_NS1_11comp_targetILNS1_3genE3ELNS1_11target_archE908ELNS1_3gpuE7ELNS1_3repE0EEENS1_30default_config_static_selectorELNS0_4arch9wavefront6targetE1EEEvT1_
                                        ; -- End function
	.set _ZN7rocprim17ROCPRIM_400000_NS6detail17trampoline_kernelINS0_14default_configENS1_25partition_config_selectorILNS1_17partition_subalgoE8ElNS0_10empty_typeEbEEZZNS1_14partition_implILS5_8ELb0ES3_jPlPS6_PKS6_NS0_5tupleIJS9_S6_EEENSD_IJSA_SA_EEENS0_18inequality_wrapperIZN2at6native12_GLOBAL__N_124unique_dim_cuda_templateIN3c104HalfEEESt5tupleIJNSH_6TensorESO_SO_EERKSO_lbbbEUlllE0_EEPmJS6_EEE10hipError_tPvRmT3_T4_T5_T6_T7_T9_mT8_P12ihipStream_tbDpT10_ENKUlT_T0_E_clISt17integral_constantIbLb0EES1D_IbLb1EEEEDaS19_S1A_EUlS19_E_NS1_11comp_targetILNS1_3genE3ELNS1_11target_archE908ELNS1_3gpuE7ELNS1_3repE0EEENS1_30default_config_static_selectorELNS0_4arch9wavefront6targetE1EEEvT1_.num_vgpr, 0
	.set _ZN7rocprim17ROCPRIM_400000_NS6detail17trampoline_kernelINS0_14default_configENS1_25partition_config_selectorILNS1_17partition_subalgoE8ElNS0_10empty_typeEbEEZZNS1_14partition_implILS5_8ELb0ES3_jPlPS6_PKS6_NS0_5tupleIJS9_S6_EEENSD_IJSA_SA_EEENS0_18inequality_wrapperIZN2at6native12_GLOBAL__N_124unique_dim_cuda_templateIN3c104HalfEEESt5tupleIJNSH_6TensorESO_SO_EERKSO_lbbbEUlllE0_EEPmJS6_EEE10hipError_tPvRmT3_T4_T5_T6_T7_T9_mT8_P12ihipStream_tbDpT10_ENKUlT_T0_E_clISt17integral_constantIbLb0EES1D_IbLb1EEEEDaS19_S1A_EUlS19_E_NS1_11comp_targetILNS1_3genE3ELNS1_11target_archE908ELNS1_3gpuE7ELNS1_3repE0EEENS1_30default_config_static_selectorELNS0_4arch9wavefront6targetE1EEEvT1_.num_agpr, 0
	.set _ZN7rocprim17ROCPRIM_400000_NS6detail17trampoline_kernelINS0_14default_configENS1_25partition_config_selectorILNS1_17partition_subalgoE8ElNS0_10empty_typeEbEEZZNS1_14partition_implILS5_8ELb0ES3_jPlPS6_PKS6_NS0_5tupleIJS9_S6_EEENSD_IJSA_SA_EEENS0_18inequality_wrapperIZN2at6native12_GLOBAL__N_124unique_dim_cuda_templateIN3c104HalfEEESt5tupleIJNSH_6TensorESO_SO_EERKSO_lbbbEUlllE0_EEPmJS6_EEE10hipError_tPvRmT3_T4_T5_T6_T7_T9_mT8_P12ihipStream_tbDpT10_ENKUlT_T0_E_clISt17integral_constantIbLb0EES1D_IbLb1EEEEDaS19_S1A_EUlS19_E_NS1_11comp_targetILNS1_3genE3ELNS1_11target_archE908ELNS1_3gpuE7ELNS1_3repE0EEENS1_30default_config_static_selectorELNS0_4arch9wavefront6targetE1EEEvT1_.numbered_sgpr, 0
	.set _ZN7rocprim17ROCPRIM_400000_NS6detail17trampoline_kernelINS0_14default_configENS1_25partition_config_selectorILNS1_17partition_subalgoE8ElNS0_10empty_typeEbEEZZNS1_14partition_implILS5_8ELb0ES3_jPlPS6_PKS6_NS0_5tupleIJS9_S6_EEENSD_IJSA_SA_EEENS0_18inequality_wrapperIZN2at6native12_GLOBAL__N_124unique_dim_cuda_templateIN3c104HalfEEESt5tupleIJNSH_6TensorESO_SO_EERKSO_lbbbEUlllE0_EEPmJS6_EEE10hipError_tPvRmT3_T4_T5_T6_T7_T9_mT8_P12ihipStream_tbDpT10_ENKUlT_T0_E_clISt17integral_constantIbLb0EES1D_IbLb1EEEEDaS19_S1A_EUlS19_E_NS1_11comp_targetILNS1_3genE3ELNS1_11target_archE908ELNS1_3gpuE7ELNS1_3repE0EEENS1_30default_config_static_selectorELNS0_4arch9wavefront6targetE1EEEvT1_.num_named_barrier, 0
	.set _ZN7rocprim17ROCPRIM_400000_NS6detail17trampoline_kernelINS0_14default_configENS1_25partition_config_selectorILNS1_17partition_subalgoE8ElNS0_10empty_typeEbEEZZNS1_14partition_implILS5_8ELb0ES3_jPlPS6_PKS6_NS0_5tupleIJS9_S6_EEENSD_IJSA_SA_EEENS0_18inequality_wrapperIZN2at6native12_GLOBAL__N_124unique_dim_cuda_templateIN3c104HalfEEESt5tupleIJNSH_6TensorESO_SO_EERKSO_lbbbEUlllE0_EEPmJS6_EEE10hipError_tPvRmT3_T4_T5_T6_T7_T9_mT8_P12ihipStream_tbDpT10_ENKUlT_T0_E_clISt17integral_constantIbLb0EES1D_IbLb1EEEEDaS19_S1A_EUlS19_E_NS1_11comp_targetILNS1_3genE3ELNS1_11target_archE908ELNS1_3gpuE7ELNS1_3repE0EEENS1_30default_config_static_selectorELNS0_4arch9wavefront6targetE1EEEvT1_.private_seg_size, 0
	.set _ZN7rocprim17ROCPRIM_400000_NS6detail17trampoline_kernelINS0_14default_configENS1_25partition_config_selectorILNS1_17partition_subalgoE8ElNS0_10empty_typeEbEEZZNS1_14partition_implILS5_8ELb0ES3_jPlPS6_PKS6_NS0_5tupleIJS9_S6_EEENSD_IJSA_SA_EEENS0_18inequality_wrapperIZN2at6native12_GLOBAL__N_124unique_dim_cuda_templateIN3c104HalfEEESt5tupleIJNSH_6TensorESO_SO_EERKSO_lbbbEUlllE0_EEPmJS6_EEE10hipError_tPvRmT3_T4_T5_T6_T7_T9_mT8_P12ihipStream_tbDpT10_ENKUlT_T0_E_clISt17integral_constantIbLb0EES1D_IbLb1EEEEDaS19_S1A_EUlS19_E_NS1_11comp_targetILNS1_3genE3ELNS1_11target_archE908ELNS1_3gpuE7ELNS1_3repE0EEENS1_30default_config_static_selectorELNS0_4arch9wavefront6targetE1EEEvT1_.uses_vcc, 0
	.set _ZN7rocprim17ROCPRIM_400000_NS6detail17trampoline_kernelINS0_14default_configENS1_25partition_config_selectorILNS1_17partition_subalgoE8ElNS0_10empty_typeEbEEZZNS1_14partition_implILS5_8ELb0ES3_jPlPS6_PKS6_NS0_5tupleIJS9_S6_EEENSD_IJSA_SA_EEENS0_18inequality_wrapperIZN2at6native12_GLOBAL__N_124unique_dim_cuda_templateIN3c104HalfEEESt5tupleIJNSH_6TensorESO_SO_EERKSO_lbbbEUlllE0_EEPmJS6_EEE10hipError_tPvRmT3_T4_T5_T6_T7_T9_mT8_P12ihipStream_tbDpT10_ENKUlT_T0_E_clISt17integral_constantIbLb0EES1D_IbLb1EEEEDaS19_S1A_EUlS19_E_NS1_11comp_targetILNS1_3genE3ELNS1_11target_archE908ELNS1_3gpuE7ELNS1_3repE0EEENS1_30default_config_static_selectorELNS0_4arch9wavefront6targetE1EEEvT1_.uses_flat_scratch, 0
	.set _ZN7rocprim17ROCPRIM_400000_NS6detail17trampoline_kernelINS0_14default_configENS1_25partition_config_selectorILNS1_17partition_subalgoE8ElNS0_10empty_typeEbEEZZNS1_14partition_implILS5_8ELb0ES3_jPlPS6_PKS6_NS0_5tupleIJS9_S6_EEENSD_IJSA_SA_EEENS0_18inequality_wrapperIZN2at6native12_GLOBAL__N_124unique_dim_cuda_templateIN3c104HalfEEESt5tupleIJNSH_6TensorESO_SO_EERKSO_lbbbEUlllE0_EEPmJS6_EEE10hipError_tPvRmT3_T4_T5_T6_T7_T9_mT8_P12ihipStream_tbDpT10_ENKUlT_T0_E_clISt17integral_constantIbLb0EES1D_IbLb1EEEEDaS19_S1A_EUlS19_E_NS1_11comp_targetILNS1_3genE3ELNS1_11target_archE908ELNS1_3gpuE7ELNS1_3repE0EEENS1_30default_config_static_selectorELNS0_4arch9wavefront6targetE1EEEvT1_.has_dyn_sized_stack, 0
	.set _ZN7rocprim17ROCPRIM_400000_NS6detail17trampoline_kernelINS0_14default_configENS1_25partition_config_selectorILNS1_17partition_subalgoE8ElNS0_10empty_typeEbEEZZNS1_14partition_implILS5_8ELb0ES3_jPlPS6_PKS6_NS0_5tupleIJS9_S6_EEENSD_IJSA_SA_EEENS0_18inequality_wrapperIZN2at6native12_GLOBAL__N_124unique_dim_cuda_templateIN3c104HalfEEESt5tupleIJNSH_6TensorESO_SO_EERKSO_lbbbEUlllE0_EEPmJS6_EEE10hipError_tPvRmT3_T4_T5_T6_T7_T9_mT8_P12ihipStream_tbDpT10_ENKUlT_T0_E_clISt17integral_constantIbLb0EES1D_IbLb1EEEEDaS19_S1A_EUlS19_E_NS1_11comp_targetILNS1_3genE3ELNS1_11target_archE908ELNS1_3gpuE7ELNS1_3repE0EEENS1_30default_config_static_selectorELNS0_4arch9wavefront6targetE1EEEvT1_.has_recursion, 0
	.set _ZN7rocprim17ROCPRIM_400000_NS6detail17trampoline_kernelINS0_14default_configENS1_25partition_config_selectorILNS1_17partition_subalgoE8ElNS0_10empty_typeEbEEZZNS1_14partition_implILS5_8ELb0ES3_jPlPS6_PKS6_NS0_5tupleIJS9_S6_EEENSD_IJSA_SA_EEENS0_18inequality_wrapperIZN2at6native12_GLOBAL__N_124unique_dim_cuda_templateIN3c104HalfEEESt5tupleIJNSH_6TensorESO_SO_EERKSO_lbbbEUlllE0_EEPmJS6_EEE10hipError_tPvRmT3_T4_T5_T6_T7_T9_mT8_P12ihipStream_tbDpT10_ENKUlT_T0_E_clISt17integral_constantIbLb0EES1D_IbLb1EEEEDaS19_S1A_EUlS19_E_NS1_11comp_targetILNS1_3genE3ELNS1_11target_archE908ELNS1_3gpuE7ELNS1_3repE0EEENS1_30default_config_static_selectorELNS0_4arch9wavefront6targetE1EEEvT1_.has_indirect_call, 0
	.section	.AMDGPU.csdata,"",@progbits
; Kernel info:
; codeLenInByte = 0
; TotalNumSgprs: 6
; NumVgprs: 0
; NumAgprs: 0
; TotalNumVgprs: 0
; ScratchSize: 0
; MemoryBound: 0
; FloatMode: 240
; IeeeMode: 1
; LDSByteSize: 0 bytes/workgroup (compile time only)
; SGPRBlocks: 0
; VGPRBlocks: 0
; NumSGPRsForWavesPerEU: 6
; NumVGPRsForWavesPerEU: 1
; AccumOffset: 4
; Occupancy: 8
; WaveLimiterHint : 0
; COMPUTE_PGM_RSRC2:SCRATCH_EN: 0
; COMPUTE_PGM_RSRC2:USER_SGPR: 2
; COMPUTE_PGM_RSRC2:TRAP_HANDLER: 0
; COMPUTE_PGM_RSRC2:TGID_X_EN: 1
; COMPUTE_PGM_RSRC2:TGID_Y_EN: 0
; COMPUTE_PGM_RSRC2:TGID_Z_EN: 0
; COMPUTE_PGM_RSRC2:TIDIG_COMP_CNT: 0
; COMPUTE_PGM_RSRC3_GFX90A:ACCUM_OFFSET: 0
; COMPUTE_PGM_RSRC3_GFX90A:TG_SPLIT: 0
	.section	.text._ZN7rocprim17ROCPRIM_400000_NS6detail17trampoline_kernelINS0_14default_configENS1_25partition_config_selectorILNS1_17partition_subalgoE8ElNS0_10empty_typeEbEEZZNS1_14partition_implILS5_8ELb0ES3_jPlPS6_PKS6_NS0_5tupleIJS9_S6_EEENSD_IJSA_SA_EEENS0_18inequality_wrapperIZN2at6native12_GLOBAL__N_124unique_dim_cuda_templateIN3c104HalfEEESt5tupleIJNSH_6TensorESO_SO_EERKSO_lbbbEUlllE0_EEPmJS6_EEE10hipError_tPvRmT3_T4_T5_T6_T7_T9_mT8_P12ihipStream_tbDpT10_ENKUlT_T0_E_clISt17integral_constantIbLb0EES1D_IbLb1EEEEDaS19_S1A_EUlS19_E_NS1_11comp_targetILNS1_3genE2ELNS1_11target_archE906ELNS1_3gpuE6ELNS1_3repE0EEENS1_30default_config_static_selectorELNS0_4arch9wavefront6targetE1EEEvT1_,"axG",@progbits,_ZN7rocprim17ROCPRIM_400000_NS6detail17trampoline_kernelINS0_14default_configENS1_25partition_config_selectorILNS1_17partition_subalgoE8ElNS0_10empty_typeEbEEZZNS1_14partition_implILS5_8ELb0ES3_jPlPS6_PKS6_NS0_5tupleIJS9_S6_EEENSD_IJSA_SA_EEENS0_18inequality_wrapperIZN2at6native12_GLOBAL__N_124unique_dim_cuda_templateIN3c104HalfEEESt5tupleIJNSH_6TensorESO_SO_EERKSO_lbbbEUlllE0_EEPmJS6_EEE10hipError_tPvRmT3_T4_T5_T6_T7_T9_mT8_P12ihipStream_tbDpT10_ENKUlT_T0_E_clISt17integral_constantIbLb0EES1D_IbLb1EEEEDaS19_S1A_EUlS19_E_NS1_11comp_targetILNS1_3genE2ELNS1_11target_archE906ELNS1_3gpuE6ELNS1_3repE0EEENS1_30default_config_static_selectorELNS0_4arch9wavefront6targetE1EEEvT1_,comdat
	.globl	_ZN7rocprim17ROCPRIM_400000_NS6detail17trampoline_kernelINS0_14default_configENS1_25partition_config_selectorILNS1_17partition_subalgoE8ElNS0_10empty_typeEbEEZZNS1_14partition_implILS5_8ELb0ES3_jPlPS6_PKS6_NS0_5tupleIJS9_S6_EEENSD_IJSA_SA_EEENS0_18inequality_wrapperIZN2at6native12_GLOBAL__N_124unique_dim_cuda_templateIN3c104HalfEEESt5tupleIJNSH_6TensorESO_SO_EERKSO_lbbbEUlllE0_EEPmJS6_EEE10hipError_tPvRmT3_T4_T5_T6_T7_T9_mT8_P12ihipStream_tbDpT10_ENKUlT_T0_E_clISt17integral_constantIbLb0EES1D_IbLb1EEEEDaS19_S1A_EUlS19_E_NS1_11comp_targetILNS1_3genE2ELNS1_11target_archE906ELNS1_3gpuE6ELNS1_3repE0EEENS1_30default_config_static_selectorELNS0_4arch9wavefront6targetE1EEEvT1_ ; -- Begin function _ZN7rocprim17ROCPRIM_400000_NS6detail17trampoline_kernelINS0_14default_configENS1_25partition_config_selectorILNS1_17partition_subalgoE8ElNS0_10empty_typeEbEEZZNS1_14partition_implILS5_8ELb0ES3_jPlPS6_PKS6_NS0_5tupleIJS9_S6_EEENSD_IJSA_SA_EEENS0_18inequality_wrapperIZN2at6native12_GLOBAL__N_124unique_dim_cuda_templateIN3c104HalfEEESt5tupleIJNSH_6TensorESO_SO_EERKSO_lbbbEUlllE0_EEPmJS6_EEE10hipError_tPvRmT3_T4_T5_T6_T7_T9_mT8_P12ihipStream_tbDpT10_ENKUlT_T0_E_clISt17integral_constantIbLb0EES1D_IbLb1EEEEDaS19_S1A_EUlS19_E_NS1_11comp_targetILNS1_3genE2ELNS1_11target_archE906ELNS1_3gpuE6ELNS1_3repE0EEENS1_30default_config_static_selectorELNS0_4arch9wavefront6targetE1EEEvT1_
	.p2align	8
	.type	_ZN7rocprim17ROCPRIM_400000_NS6detail17trampoline_kernelINS0_14default_configENS1_25partition_config_selectorILNS1_17partition_subalgoE8ElNS0_10empty_typeEbEEZZNS1_14partition_implILS5_8ELb0ES3_jPlPS6_PKS6_NS0_5tupleIJS9_S6_EEENSD_IJSA_SA_EEENS0_18inequality_wrapperIZN2at6native12_GLOBAL__N_124unique_dim_cuda_templateIN3c104HalfEEESt5tupleIJNSH_6TensorESO_SO_EERKSO_lbbbEUlllE0_EEPmJS6_EEE10hipError_tPvRmT3_T4_T5_T6_T7_T9_mT8_P12ihipStream_tbDpT10_ENKUlT_T0_E_clISt17integral_constantIbLb0EES1D_IbLb1EEEEDaS19_S1A_EUlS19_E_NS1_11comp_targetILNS1_3genE2ELNS1_11target_archE906ELNS1_3gpuE6ELNS1_3repE0EEENS1_30default_config_static_selectorELNS0_4arch9wavefront6targetE1EEEvT1_,@function
_ZN7rocprim17ROCPRIM_400000_NS6detail17trampoline_kernelINS0_14default_configENS1_25partition_config_selectorILNS1_17partition_subalgoE8ElNS0_10empty_typeEbEEZZNS1_14partition_implILS5_8ELb0ES3_jPlPS6_PKS6_NS0_5tupleIJS9_S6_EEENSD_IJSA_SA_EEENS0_18inequality_wrapperIZN2at6native12_GLOBAL__N_124unique_dim_cuda_templateIN3c104HalfEEESt5tupleIJNSH_6TensorESO_SO_EERKSO_lbbbEUlllE0_EEPmJS6_EEE10hipError_tPvRmT3_T4_T5_T6_T7_T9_mT8_P12ihipStream_tbDpT10_ENKUlT_T0_E_clISt17integral_constantIbLb0EES1D_IbLb1EEEEDaS19_S1A_EUlS19_E_NS1_11comp_targetILNS1_3genE2ELNS1_11target_archE906ELNS1_3gpuE6ELNS1_3repE0EEENS1_30default_config_static_selectorELNS0_4arch9wavefront6targetE1EEEvT1_: ; @_ZN7rocprim17ROCPRIM_400000_NS6detail17trampoline_kernelINS0_14default_configENS1_25partition_config_selectorILNS1_17partition_subalgoE8ElNS0_10empty_typeEbEEZZNS1_14partition_implILS5_8ELb0ES3_jPlPS6_PKS6_NS0_5tupleIJS9_S6_EEENSD_IJSA_SA_EEENS0_18inequality_wrapperIZN2at6native12_GLOBAL__N_124unique_dim_cuda_templateIN3c104HalfEEESt5tupleIJNSH_6TensorESO_SO_EERKSO_lbbbEUlllE0_EEPmJS6_EEE10hipError_tPvRmT3_T4_T5_T6_T7_T9_mT8_P12ihipStream_tbDpT10_ENKUlT_T0_E_clISt17integral_constantIbLb0EES1D_IbLb1EEEEDaS19_S1A_EUlS19_E_NS1_11comp_targetILNS1_3genE2ELNS1_11target_archE906ELNS1_3gpuE6ELNS1_3repE0EEENS1_30default_config_static_selectorELNS0_4arch9wavefront6targetE1EEEvT1_
; %bb.0:
	.section	.rodata,"a",@progbits
	.p2align	6, 0x0
	.amdhsa_kernel _ZN7rocprim17ROCPRIM_400000_NS6detail17trampoline_kernelINS0_14default_configENS1_25partition_config_selectorILNS1_17partition_subalgoE8ElNS0_10empty_typeEbEEZZNS1_14partition_implILS5_8ELb0ES3_jPlPS6_PKS6_NS0_5tupleIJS9_S6_EEENSD_IJSA_SA_EEENS0_18inequality_wrapperIZN2at6native12_GLOBAL__N_124unique_dim_cuda_templateIN3c104HalfEEESt5tupleIJNSH_6TensorESO_SO_EERKSO_lbbbEUlllE0_EEPmJS6_EEE10hipError_tPvRmT3_T4_T5_T6_T7_T9_mT8_P12ihipStream_tbDpT10_ENKUlT_T0_E_clISt17integral_constantIbLb0EES1D_IbLb1EEEEDaS19_S1A_EUlS19_E_NS1_11comp_targetILNS1_3genE2ELNS1_11target_archE906ELNS1_3gpuE6ELNS1_3repE0EEENS1_30default_config_static_selectorELNS0_4arch9wavefront6targetE1EEEvT1_
		.amdhsa_group_segment_fixed_size 0
		.amdhsa_private_segment_fixed_size 0
		.amdhsa_kernarg_size 136
		.amdhsa_user_sgpr_count 2
		.amdhsa_user_sgpr_dispatch_ptr 0
		.amdhsa_user_sgpr_queue_ptr 0
		.amdhsa_user_sgpr_kernarg_segment_ptr 1
		.amdhsa_user_sgpr_dispatch_id 0
		.amdhsa_user_sgpr_kernarg_preload_length 0
		.amdhsa_user_sgpr_kernarg_preload_offset 0
		.amdhsa_user_sgpr_private_segment_size 0
		.amdhsa_uses_dynamic_stack 0
		.amdhsa_enable_private_segment 0
		.amdhsa_system_sgpr_workgroup_id_x 1
		.amdhsa_system_sgpr_workgroup_id_y 0
		.amdhsa_system_sgpr_workgroup_id_z 0
		.amdhsa_system_sgpr_workgroup_info 0
		.amdhsa_system_vgpr_workitem_id 0
		.amdhsa_next_free_vgpr 1
		.amdhsa_next_free_sgpr 0
		.amdhsa_accum_offset 4
		.amdhsa_reserve_vcc 0
		.amdhsa_float_round_mode_32 0
		.amdhsa_float_round_mode_16_64 0
		.amdhsa_float_denorm_mode_32 3
		.amdhsa_float_denorm_mode_16_64 3
		.amdhsa_dx10_clamp 1
		.amdhsa_ieee_mode 1
		.amdhsa_fp16_overflow 0
		.amdhsa_tg_split 0
		.amdhsa_exception_fp_ieee_invalid_op 0
		.amdhsa_exception_fp_denorm_src 0
		.amdhsa_exception_fp_ieee_div_zero 0
		.amdhsa_exception_fp_ieee_overflow 0
		.amdhsa_exception_fp_ieee_underflow 0
		.amdhsa_exception_fp_ieee_inexact 0
		.amdhsa_exception_int_div_zero 0
	.end_amdhsa_kernel
	.section	.text._ZN7rocprim17ROCPRIM_400000_NS6detail17trampoline_kernelINS0_14default_configENS1_25partition_config_selectorILNS1_17partition_subalgoE8ElNS0_10empty_typeEbEEZZNS1_14partition_implILS5_8ELb0ES3_jPlPS6_PKS6_NS0_5tupleIJS9_S6_EEENSD_IJSA_SA_EEENS0_18inequality_wrapperIZN2at6native12_GLOBAL__N_124unique_dim_cuda_templateIN3c104HalfEEESt5tupleIJNSH_6TensorESO_SO_EERKSO_lbbbEUlllE0_EEPmJS6_EEE10hipError_tPvRmT3_T4_T5_T6_T7_T9_mT8_P12ihipStream_tbDpT10_ENKUlT_T0_E_clISt17integral_constantIbLb0EES1D_IbLb1EEEEDaS19_S1A_EUlS19_E_NS1_11comp_targetILNS1_3genE2ELNS1_11target_archE906ELNS1_3gpuE6ELNS1_3repE0EEENS1_30default_config_static_selectorELNS0_4arch9wavefront6targetE1EEEvT1_,"axG",@progbits,_ZN7rocprim17ROCPRIM_400000_NS6detail17trampoline_kernelINS0_14default_configENS1_25partition_config_selectorILNS1_17partition_subalgoE8ElNS0_10empty_typeEbEEZZNS1_14partition_implILS5_8ELb0ES3_jPlPS6_PKS6_NS0_5tupleIJS9_S6_EEENSD_IJSA_SA_EEENS0_18inequality_wrapperIZN2at6native12_GLOBAL__N_124unique_dim_cuda_templateIN3c104HalfEEESt5tupleIJNSH_6TensorESO_SO_EERKSO_lbbbEUlllE0_EEPmJS6_EEE10hipError_tPvRmT3_T4_T5_T6_T7_T9_mT8_P12ihipStream_tbDpT10_ENKUlT_T0_E_clISt17integral_constantIbLb0EES1D_IbLb1EEEEDaS19_S1A_EUlS19_E_NS1_11comp_targetILNS1_3genE2ELNS1_11target_archE906ELNS1_3gpuE6ELNS1_3repE0EEENS1_30default_config_static_selectorELNS0_4arch9wavefront6targetE1EEEvT1_,comdat
.Lfunc_end1325:
	.size	_ZN7rocprim17ROCPRIM_400000_NS6detail17trampoline_kernelINS0_14default_configENS1_25partition_config_selectorILNS1_17partition_subalgoE8ElNS0_10empty_typeEbEEZZNS1_14partition_implILS5_8ELb0ES3_jPlPS6_PKS6_NS0_5tupleIJS9_S6_EEENSD_IJSA_SA_EEENS0_18inequality_wrapperIZN2at6native12_GLOBAL__N_124unique_dim_cuda_templateIN3c104HalfEEESt5tupleIJNSH_6TensorESO_SO_EERKSO_lbbbEUlllE0_EEPmJS6_EEE10hipError_tPvRmT3_T4_T5_T6_T7_T9_mT8_P12ihipStream_tbDpT10_ENKUlT_T0_E_clISt17integral_constantIbLb0EES1D_IbLb1EEEEDaS19_S1A_EUlS19_E_NS1_11comp_targetILNS1_3genE2ELNS1_11target_archE906ELNS1_3gpuE6ELNS1_3repE0EEENS1_30default_config_static_selectorELNS0_4arch9wavefront6targetE1EEEvT1_, .Lfunc_end1325-_ZN7rocprim17ROCPRIM_400000_NS6detail17trampoline_kernelINS0_14default_configENS1_25partition_config_selectorILNS1_17partition_subalgoE8ElNS0_10empty_typeEbEEZZNS1_14partition_implILS5_8ELb0ES3_jPlPS6_PKS6_NS0_5tupleIJS9_S6_EEENSD_IJSA_SA_EEENS0_18inequality_wrapperIZN2at6native12_GLOBAL__N_124unique_dim_cuda_templateIN3c104HalfEEESt5tupleIJNSH_6TensorESO_SO_EERKSO_lbbbEUlllE0_EEPmJS6_EEE10hipError_tPvRmT3_T4_T5_T6_T7_T9_mT8_P12ihipStream_tbDpT10_ENKUlT_T0_E_clISt17integral_constantIbLb0EES1D_IbLb1EEEEDaS19_S1A_EUlS19_E_NS1_11comp_targetILNS1_3genE2ELNS1_11target_archE906ELNS1_3gpuE6ELNS1_3repE0EEENS1_30default_config_static_selectorELNS0_4arch9wavefront6targetE1EEEvT1_
                                        ; -- End function
	.set _ZN7rocprim17ROCPRIM_400000_NS6detail17trampoline_kernelINS0_14default_configENS1_25partition_config_selectorILNS1_17partition_subalgoE8ElNS0_10empty_typeEbEEZZNS1_14partition_implILS5_8ELb0ES3_jPlPS6_PKS6_NS0_5tupleIJS9_S6_EEENSD_IJSA_SA_EEENS0_18inequality_wrapperIZN2at6native12_GLOBAL__N_124unique_dim_cuda_templateIN3c104HalfEEESt5tupleIJNSH_6TensorESO_SO_EERKSO_lbbbEUlllE0_EEPmJS6_EEE10hipError_tPvRmT3_T4_T5_T6_T7_T9_mT8_P12ihipStream_tbDpT10_ENKUlT_T0_E_clISt17integral_constantIbLb0EES1D_IbLb1EEEEDaS19_S1A_EUlS19_E_NS1_11comp_targetILNS1_3genE2ELNS1_11target_archE906ELNS1_3gpuE6ELNS1_3repE0EEENS1_30default_config_static_selectorELNS0_4arch9wavefront6targetE1EEEvT1_.num_vgpr, 0
	.set _ZN7rocprim17ROCPRIM_400000_NS6detail17trampoline_kernelINS0_14default_configENS1_25partition_config_selectorILNS1_17partition_subalgoE8ElNS0_10empty_typeEbEEZZNS1_14partition_implILS5_8ELb0ES3_jPlPS6_PKS6_NS0_5tupleIJS9_S6_EEENSD_IJSA_SA_EEENS0_18inequality_wrapperIZN2at6native12_GLOBAL__N_124unique_dim_cuda_templateIN3c104HalfEEESt5tupleIJNSH_6TensorESO_SO_EERKSO_lbbbEUlllE0_EEPmJS6_EEE10hipError_tPvRmT3_T4_T5_T6_T7_T9_mT8_P12ihipStream_tbDpT10_ENKUlT_T0_E_clISt17integral_constantIbLb0EES1D_IbLb1EEEEDaS19_S1A_EUlS19_E_NS1_11comp_targetILNS1_3genE2ELNS1_11target_archE906ELNS1_3gpuE6ELNS1_3repE0EEENS1_30default_config_static_selectorELNS0_4arch9wavefront6targetE1EEEvT1_.num_agpr, 0
	.set _ZN7rocprim17ROCPRIM_400000_NS6detail17trampoline_kernelINS0_14default_configENS1_25partition_config_selectorILNS1_17partition_subalgoE8ElNS0_10empty_typeEbEEZZNS1_14partition_implILS5_8ELb0ES3_jPlPS6_PKS6_NS0_5tupleIJS9_S6_EEENSD_IJSA_SA_EEENS0_18inequality_wrapperIZN2at6native12_GLOBAL__N_124unique_dim_cuda_templateIN3c104HalfEEESt5tupleIJNSH_6TensorESO_SO_EERKSO_lbbbEUlllE0_EEPmJS6_EEE10hipError_tPvRmT3_T4_T5_T6_T7_T9_mT8_P12ihipStream_tbDpT10_ENKUlT_T0_E_clISt17integral_constantIbLb0EES1D_IbLb1EEEEDaS19_S1A_EUlS19_E_NS1_11comp_targetILNS1_3genE2ELNS1_11target_archE906ELNS1_3gpuE6ELNS1_3repE0EEENS1_30default_config_static_selectorELNS0_4arch9wavefront6targetE1EEEvT1_.numbered_sgpr, 0
	.set _ZN7rocprim17ROCPRIM_400000_NS6detail17trampoline_kernelINS0_14default_configENS1_25partition_config_selectorILNS1_17partition_subalgoE8ElNS0_10empty_typeEbEEZZNS1_14partition_implILS5_8ELb0ES3_jPlPS6_PKS6_NS0_5tupleIJS9_S6_EEENSD_IJSA_SA_EEENS0_18inequality_wrapperIZN2at6native12_GLOBAL__N_124unique_dim_cuda_templateIN3c104HalfEEESt5tupleIJNSH_6TensorESO_SO_EERKSO_lbbbEUlllE0_EEPmJS6_EEE10hipError_tPvRmT3_T4_T5_T6_T7_T9_mT8_P12ihipStream_tbDpT10_ENKUlT_T0_E_clISt17integral_constantIbLb0EES1D_IbLb1EEEEDaS19_S1A_EUlS19_E_NS1_11comp_targetILNS1_3genE2ELNS1_11target_archE906ELNS1_3gpuE6ELNS1_3repE0EEENS1_30default_config_static_selectorELNS0_4arch9wavefront6targetE1EEEvT1_.num_named_barrier, 0
	.set _ZN7rocprim17ROCPRIM_400000_NS6detail17trampoline_kernelINS0_14default_configENS1_25partition_config_selectorILNS1_17partition_subalgoE8ElNS0_10empty_typeEbEEZZNS1_14partition_implILS5_8ELb0ES3_jPlPS6_PKS6_NS0_5tupleIJS9_S6_EEENSD_IJSA_SA_EEENS0_18inequality_wrapperIZN2at6native12_GLOBAL__N_124unique_dim_cuda_templateIN3c104HalfEEESt5tupleIJNSH_6TensorESO_SO_EERKSO_lbbbEUlllE0_EEPmJS6_EEE10hipError_tPvRmT3_T4_T5_T6_T7_T9_mT8_P12ihipStream_tbDpT10_ENKUlT_T0_E_clISt17integral_constantIbLb0EES1D_IbLb1EEEEDaS19_S1A_EUlS19_E_NS1_11comp_targetILNS1_3genE2ELNS1_11target_archE906ELNS1_3gpuE6ELNS1_3repE0EEENS1_30default_config_static_selectorELNS0_4arch9wavefront6targetE1EEEvT1_.private_seg_size, 0
	.set _ZN7rocprim17ROCPRIM_400000_NS6detail17trampoline_kernelINS0_14default_configENS1_25partition_config_selectorILNS1_17partition_subalgoE8ElNS0_10empty_typeEbEEZZNS1_14partition_implILS5_8ELb0ES3_jPlPS6_PKS6_NS0_5tupleIJS9_S6_EEENSD_IJSA_SA_EEENS0_18inequality_wrapperIZN2at6native12_GLOBAL__N_124unique_dim_cuda_templateIN3c104HalfEEESt5tupleIJNSH_6TensorESO_SO_EERKSO_lbbbEUlllE0_EEPmJS6_EEE10hipError_tPvRmT3_T4_T5_T6_T7_T9_mT8_P12ihipStream_tbDpT10_ENKUlT_T0_E_clISt17integral_constantIbLb0EES1D_IbLb1EEEEDaS19_S1A_EUlS19_E_NS1_11comp_targetILNS1_3genE2ELNS1_11target_archE906ELNS1_3gpuE6ELNS1_3repE0EEENS1_30default_config_static_selectorELNS0_4arch9wavefront6targetE1EEEvT1_.uses_vcc, 0
	.set _ZN7rocprim17ROCPRIM_400000_NS6detail17trampoline_kernelINS0_14default_configENS1_25partition_config_selectorILNS1_17partition_subalgoE8ElNS0_10empty_typeEbEEZZNS1_14partition_implILS5_8ELb0ES3_jPlPS6_PKS6_NS0_5tupleIJS9_S6_EEENSD_IJSA_SA_EEENS0_18inequality_wrapperIZN2at6native12_GLOBAL__N_124unique_dim_cuda_templateIN3c104HalfEEESt5tupleIJNSH_6TensorESO_SO_EERKSO_lbbbEUlllE0_EEPmJS6_EEE10hipError_tPvRmT3_T4_T5_T6_T7_T9_mT8_P12ihipStream_tbDpT10_ENKUlT_T0_E_clISt17integral_constantIbLb0EES1D_IbLb1EEEEDaS19_S1A_EUlS19_E_NS1_11comp_targetILNS1_3genE2ELNS1_11target_archE906ELNS1_3gpuE6ELNS1_3repE0EEENS1_30default_config_static_selectorELNS0_4arch9wavefront6targetE1EEEvT1_.uses_flat_scratch, 0
	.set _ZN7rocprim17ROCPRIM_400000_NS6detail17trampoline_kernelINS0_14default_configENS1_25partition_config_selectorILNS1_17partition_subalgoE8ElNS0_10empty_typeEbEEZZNS1_14partition_implILS5_8ELb0ES3_jPlPS6_PKS6_NS0_5tupleIJS9_S6_EEENSD_IJSA_SA_EEENS0_18inequality_wrapperIZN2at6native12_GLOBAL__N_124unique_dim_cuda_templateIN3c104HalfEEESt5tupleIJNSH_6TensorESO_SO_EERKSO_lbbbEUlllE0_EEPmJS6_EEE10hipError_tPvRmT3_T4_T5_T6_T7_T9_mT8_P12ihipStream_tbDpT10_ENKUlT_T0_E_clISt17integral_constantIbLb0EES1D_IbLb1EEEEDaS19_S1A_EUlS19_E_NS1_11comp_targetILNS1_3genE2ELNS1_11target_archE906ELNS1_3gpuE6ELNS1_3repE0EEENS1_30default_config_static_selectorELNS0_4arch9wavefront6targetE1EEEvT1_.has_dyn_sized_stack, 0
	.set _ZN7rocprim17ROCPRIM_400000_NS6detail17trampoline_kernelINS0_14default_configENS1_25partition_config_selectorILNS1_17partition_subalgoE8ElNS0_10empty_typeEbEEZZNS1_14partition_implILS5_8ELb0ES3_jPlPS6_PKS6_NS0_5tupleIJS9_S6_EEENSD_IJSA_SA_EEENS0_18inequality_wrapperIZN2at6native12_GLOBAL__N_124unique_dim_cuda_templateIN3c104HalfEEESt5tupleIJNSH_6TensorESO_SO_EERKSO_lbbbEUlllE0_EEPmJS6_EEE10hipError_tPvRmT3_T4_T5_T6_T7_T9_mT8_P12ihipStream_tbDpT10_ENKUlT_T0_E_clISt17integral_constantIbLb0EES1D_IbLb1EEEEDaS19_S1A_EUlS19_E_NS1_11comp_targetILNS1_3genE2ELNS1_11target_archE906ELNS1_3gpuE6ELNS1_3repE0EEENS1_30default_config_static_selectorELNS0_4arch9wavefront6targetE1EEEvT1_.has_recursion, 0
	.set _ZN7rocprim17ROCPRIM_400000_NS6detail17trampoline_kernelINS0_14default_configENS1_25partition_config_selectorILNS1_17partition_subalgoE8ElNS0_10empty_typeEbEEZZNS1_14partition_implILS5_8ELb0ES3_jPlPS6_PKS6_NS0_5tupleIJS9_S6_EEENSD_IJSA_SA_EEENS0_18inequality_wrapperIZN2at6native12_GLOBAL__N_124unique_dim_cuda_templateIN3c104HalfEEESt5tupleIJNSH_6TensorESO_SO_EERKSO_lbbbEUlllE0_EEPmJS6_EEE10hipError_tPvRmT3_T4_T5_T6_T7_T9_mT8_P12ihipStream_tbDpT10_ENKUlT_T0_E_clISt17integral_constantIbLb0EES1D_IbLb1EEEEDaS19_S1A_EUlS19_E_NS1_11comp_targetILNS1_3genE2ELNS1_11target_archE906ELNS1_3gpuE6ELNS1_3repE0EEENS1_30default_config_static_selectorELNS0_4arch9wavefront6targetE1EEEvT1_.has_indirect_call, 0
	.section	.AMDGPU.csdata,"",@progbits
; Kernel info:
; codeLenInByte = 0
; TotalNumSgprs: 6
; NumVgprs: 0
; NumAgprs: 0
; TotalNumVgprs: 0
; ScratchSize: 0
; MemoryBound: 0
; FloatMode: 240
; IeeeMode: 1
; LDSByteSize: 0 bytes/workgroup (compile time only)
; SGPRBlocks: 0
; VGPRBlocks: 0
; NumSGPRsForWavesPerEU: 6
; NumVGPRsForWavesPerEU: 1
; AccumOffset: 4
; Occupancy: 8
; WaveLimiterHint : 0
; COMPUTE_PGM_RSRC2:SCRATCH_EN: 0
; COMPUTE_PGM_RSRC2:USER_SGPR: 2
; COMPUTE_PGM_RSRC2:TRAP_HANDLER: 0
; COMPUTE_PGM_RSRC2:TGID_X_EN: 1
; COMPUTE_PGM_RSRC2:TGID_Y_EN: 0
; COMPUTE_PGM_RSRC2:TGID_Z_EN: 0
; COMPUTE_PGM_RSRC2:TIDIG_COMP_CNT: 0
; COMPUTE_PGM_RSRC3_GFX90A:ACCUM_OFFSET: 0
; COMPUTE_PGM_RSRC3_GFX90A:TG_SPLIT: 0
	.section	.text._ZN7rocprim17ROCPRIM_400000_NS6detail17trampoline_kernelINS0_14default_configENS1_25partition_config_selectorILNS1_17partition_subalgoE8ElNS0_10empty_typeEbEEZZNS1_14partition_implILS5_8ELb0ES3_jPlPS6_PKS6_NS0_5tupleIJS9_S6_EEENSD_IJSA_SA_EEENS0_18inequality_wrapperIZN2at6native12_GLOBAL__N_124unique_dim_cuda_templateIN3c104HalfEEESt5tupleIJNSH_6TensorESO_SO_EERKSO_lbbbEUlllE0_EEPmJS6_EEE10hipError_tPvRmT3_T4_T5_T6_T7_T9_mT8_P12ihipStream_tbDpT10_ENKUlT_T0_E_clISt17integral_constantIbLb0EES1D_IbLb1EEEEDaS19_S1A_EUlS19_E_NS1_11comp_targetILNS1_3genE10ELNS1_11target_archE1200ELNS1_3gpuE4ELNS1_3repE0EEENS1_30default_config_static_selectorELNS0_4arch9wavefront6targetE1EEEvT1_,"axG",@progbits,_ZN7rocprim17ROCPRIM_400000_NS6detail17trampoline_kernelINS0_14default_configENS1_25partition_config_selectorILNS1_17partition_subalgoE8ElNS0_10empty_typeEbEEZZNS1_14partition_implILS5_8ELb0ES3_jPlPS6_PKS6_NS0_5tupleIJS9_S6_EEENSD_IJSA_SA_EEENS0_18inequality_wrapperIZN2at6native12_GLOBAL__N_124unique_dim_cuda_templateIN3c104HalfEEESt5tupleIJNSH_6TensorESO_SO_EERKSO_lbbbEUlllE0_EEPmJS6_EEE10hipError_tPvRmT3_T4_T5_T6_T7_T9_mT8_P12ihipStream_tbDpT10_ENKUlT_T0_E_clISt17integral_constantIbLb0EES1D_IbLb1EEEEDaS19_S1A_EUlS19_E_NS1_11comp_targetILNS1_3genE10ELNS1_11target_archE1200ELNS1_3gpuE4ELNS1_3repE0EEENS1_30default_config_static_selectorELNS0_4arch9wavefront6targetE1EEEvT1_,comdat
	.globl	_ZN7rocprim17ROCPRIM_400000_NS6detail17trampoline_kernelINS0_14default_configENS1_25partition_config_selectorILNS1_17partition_subalgoE8ElNS0_10empty_typeEbEEZZNS1_14partition_implILS5_8ELb0ES3_jPlPS6_PKS6_NS0_5tupleIJS9_S6_EEENSD_IJSA_SA_EEENS0_18inequality_wrapperIZN2at6native12_GLOBAL__N_124unique_dim_cuda_templateIN3c104HalfEEESt5tupleIJNSH_6TensorESO_SO_EERKSO_lbbbEUlllE0_EEPmJS6_EEE10hipError_tPvRmT3_T4_T5_T6_T7_T9_mT8_P12ihipStream_tbDpT10_ENKUlT_T0_E_clISt17integral_constantIbLb0EES1D_IbLb1EEEEDaS19_S1A_EUlS19_E_NS1_11comp_targetILNS1_3genE10ELNS1_11target_archE1200ELNS1_3gpuE4ELNS1_3repE0EEENS1_30default_config_static_selectorELNS0_4arch9wavefront6targetE1EEEvT1_ ; -- Begin function _ZN7rocprim17ROCPRIM_400000_NS6detail17trampoline_kernelINS0_14default_configENS1_25partition_config_selectorILNS1_17partition_subalgoE8ElNS0_10empty_typeEbEEZZNS1_14partition_implILS5_8ELb0ES3_jPlPS6_PKS6_NS0_5tupleIJS9_S6_EEENSD_IJSA_SA_EEENS0_18inequality_wrapperIZN2at6native12_GLOBAL__N_124unique_dim_cuda_templateIN3c104HalfEEESt5tupleIJNSH_6TensorESO_SO_EERKSO_lbbbEUlllE0_EEPmJS6_EEE10hipError_tPvRmT3_T4_T5_T6_T7_T9_mT8_P12ihipStream_tbDpT10_ENKUlT_T0_E_clISt17integral_constantIbLb0EES1D_IbLb1EEEEDaS19_S1A_EUlS19_E_NS1_11comp_targetILNS1_3genE10ELNS1_11target_archE1200ELNS1_3gpuE4ELNS1_3repE0EEENS1_30default_config_static_selectorELNS0_4arch9wavefront6targetE1EEEvT1_
	.p2align	8
	.type	_ZN7rocprim17ROCPRIM_400000_NS6detail17trampoline_kernelINS0_14default_configENS1_25partition_config_selectorILNS1_17partition_subalgoE8ElNS0_10empty_typeEbEEZZNS1_14partition_implILS5_8ELb0ES3_jPlPS6_PKS6_NS0_5tupleIJS9_S6_EEENSD_IJSA_SA_EEENS0_18inequality_wrapperIZN2at6native12_GLOBAL__N_124unique_dim_cuda_templateIN3c104HalfEEESt5tupleIJNSH_6TensorESO_SO_EERKSO_lbbbEUlllE0_EEPmJS6_EEE10hipError_tPvRmT3_T4_T5_T6_T7_T9_mT8_P12ihipStream_tbDpT10_ENKUlT_T0_E_clISt17integral_constantIbLb0EES1D_IbLb1EEEEDaS19_S1A_EUlS19_E_NS1_11comp_targetILNS1_3genE10ELNS1_11target_archE1200ELNS1_3gpuE4ELNS1_3repE0EEENS1_30default_config_static_selectorELNS0_4arch9wavefront6targetE1EEEvT1_,@function
_ZN7rocprim17ROCPRIM_400000_NS6detail17trampoline_kernelINS0_14default_configENS1_25partition_config_selectorILNS1_17partition_subalgoE8ElNS0_10empty_typeEbEEZZNS1_14partition_implILS5_8ELb0ES3_jPlPS6_PKS6_NS0_5tupleIJS9_S6_EEENSD_IJSA_SA_EEENS0_18inequality_wrapperIZN2at6native12_GLOBAL__N_124unique_dim_cuda_templateIN3c104HalfEEESt5tupleIJNSH_6TensorESO_SO_EERKSO_lbbbEUlllE0_EEPmJS6_EEE10hipError_tPvRmT3_T4_T5_T6_T7_T9_mT8_P12ihipStream_tbDpT10_ENKUlT_T0_E_clISt17integral_constantIbLb0EES1D_IbLb1EEEEDaS19_S1A_EUlS19_E_NS1_11comp_targetILNS1_3genE10ELNS1_11target_archE1200ELNS1_3gpuE4ELNS1_3repE0EEENS1_30default_config_static_selectorELNS0_4arch9wavefront6targetE1EEEvT1_: ; @_ZN7rocprim17ROCPRIM_400000_NS6detail17trampoline_kernelINS0_14default_configENS1_25partition_config_selectorILNS1_17partition_subalgoE8ElNS0_10empty_typeEbEEZZNS1_14partition_implILS5_8ELb0ES3_jPlPS6_PKS6_NS0_5tupleIJS9_S6_EEENSD_IJSA_SA_EEENS0_18inequality_wrapperIZN2at6native12_GLOBAL__N_124unique_dim_cuda_templateIN3c104HalfEEESt5tupleIJNSH_6TensorESO_SO_EERKSO_lbbbEUlllE0_EEPmJS6_EEE10hipError_tPvRmT3_T4_T5_T6_T7_T9_mT8_P12ihipStream_tbDpT10_ENKUlT_T0_E_clISt17integral_constantIbLb0EES1D_IbLb1EEEEDaS19_S1A_EUlS19_E_NS1_11comp_targetILNS1_3genE10ELNS1_11target_archE1200ELNS1_3gpuE4ELNS1_3repE0EEENS1_30default_config_static_selectorELNS0_4arch9wavefront6targetE1EEEvT1_
; %bb.0:
	.section	.rodata,"a",@progbits
	.p2align	6, 0x0
	.amdhsa_kernel _ZN7rocprim17ROCPRIM_400000_NS6detail17trampoline_kernelINS0_14default_configENS1_25partition_config_selectorILNS1_17partition_subalgoE8ElNS0_10empty_typeEbEEZZNS1_14partition_implILS5_8ELb0ES3_jPlPS6_PKS6_NS0_5tupleIJS9_S6_EEENSD_IJSA_SA_EEENS0_18inequality_wrapperIZN2at6native12_GLOBAL__N_124unique_dim_cuda_templateIN3c104HalfEEESt5tupleIJNSH_6TensorESO_SO_EERKSO_lbbbEUlllE0_EEPmJS6_EEE10hipError_tPvRmT3_T4_T5_T6_T7_T9_mT8_P12ihipStream_tbDpT10_ENKUlT_T0_E_clISt17integral_constantIbLb0EES1D_IbLb1EEEEDaS19_S1A_EUlS19_E_NS1_11comp_targetILNS1_3genE10ELNS1_11target_archE1200ELNS1_3gpuE4ELNS1_3repE0EEENS1_30default_config_static_selectorELNS0_4arch9wavefront6targetE1EEEvT1_
		.amdhsa_group_segment_fixed_size 0
		.amdhsa_private_segment_fixed_size 0
		.amdhsa_kernarg_size 136
		.amdhsa_user_sgpr_count 2
		.amdhsa_user_sgpr_dispatch_ptr 0
		.amdhsa_user_sgpr_queue_ptr 0
		.amdhsa_user_sgpr_kernarg_segment_ptr 1
		.amdhsa_user_sgpr_dispatch_id 0
		.amdhsa_user_sgpr_kernarg_preload_length 0
		.amdhsa_user_sgpr_kernarg_preload_offset 0
		.amdhsa_user_sgpr_private_segment_size 0
		.amdhsa_uses_dynamic_stack 0
		.amdhsa_enable_private_segment 0
		.amdhsa_system_sgpr_workgroup_id_x 1
		.amdhsa_system_sgpr_workgroup_id_y 0
		.amdhsa_system_sgpr_workgroup_id_z 0
		.amdhsa_system_sgpr_workgroup_info 0
		.amdhsa_system_vgpr_workitem_id 0
		.amdhsa_next_free_vgpr 1
		.amdhsa_next_free_sgpr 0
		.amdhsa_accum_offset 4
		.amdhsa_reserve_vcc 0
		.amdhsa_float_round_mode_32 0
		.amdhsa_float_round_mode_16_64 0
		.amdhsa_float_denorm_mode_32 3
		.amdhsa_float_denorm_mode_16_64 3
		.amdhsa_dx10_clamp 1
		.amdhsa_ieee_mode 1
		.amdhsa_fp16_overflow 0
		.amdhsa_tg_split 0
		.amdhsa_exception_fp_ieee_invalid_op 0
		.amdhsa_exception_fp_denorm_src 0
		.amdhsa_exception_fp_ieee_div_zero 0
		.amdhsa_exception_fp_ieee_overflow 0
		.amdhsa_exception_fp_ieee_underflow 0
		.amdhsa_exception_fp_ieee_inexact 0
		.amdhsa_exception_int_div_zero 0
	.end_amdhsa_kernel
	.section	.text._ZN7rocprim17ROCPRIM_400000_NS6detail17trampoline_kernelINS0_14default_configENS1_25partition_config_selectorILNS1_17partition_subalgoE8ElNS0_10empty_typeEbEEZZNS1_14partition_implILS5_8ELb0ES3_jPlPS6_PKS6_NS0_5tupleIJS9_S6_EEENSD_IJSA_SA_EEENS0_18inequality_wrapperIZN2at6native12_GLOBAL__N_124unique_dim_cuda_templateIN3c104HalfEEESt5tupleIJNSH_6TensorESO_SO_EERKSO_lbbbEUlllE0_EEPmJS6_EEE10hipError_tPvRmT3_T4_T5_T6_T7_T9_mT8_P12ihipStream_tbDpT10_ENKUlT_T0_E_clISt17integral_constantIbLb0EES1D_IbLb1EEEEDaS19_S1A_EUlS19_E_NS1_11comp_targetILNS1_3genE10ELNS1_11target_archE1200ELNS1_3gpuE4ELNS1_3repE0EEENS1_30default_config_static_selectorELNS0_4arch9wavefront6targetE1EEEvT1_,"axG",@progbits,_ZN7rocprim17ROCPRIM_400000_NS6detail17trampoline_kernelINS0_14default_configENS1_25partition_config_selectorILNS1_17partition_subalgoE8ElNS0_10empty_typeEbEEZZNS1_14partition_implILS5_8ELb0ES3_jPlPS6_PKS6_NS0_5tupleIJS9_S6_EEENSD_IJSA_SA_EEENS0_18inequality_wrapperIZN2at6native12_GLOBAL__N_124unique_dim_cuda_templateIN3c104HalfEEESt5tupleIJNSH_6TensorESO_SO_EERKSO_lbbbEUlllE0_EEPmJS6_EEE10hipError_tPvRmT3_T4_T5_T6_T7_T9_mT8_P12ihipStream_tbDpT10_ENKUlT_T0_E_clISt17integral_constantIbLb0EES1D_IbLb1EEEEDaS19_S1A_EUlS19_E_NS1_11comp_targetILNS1_3genE10ELNS1_11target_archE1200ELNS1_3gpuE4ELNS1_3repE0EEENS1_30default_config_static_selectorELNS0_4arch9wavefront6targetE1EEEvT1_,comdat
.Lfunc_end1326:
	.size	_ZN7rocprim17ROCPRIM_400000_NS6detail17trampoline_kernelINS0_14default_configENS1_25partition_config_selectorILNS1_17partition_subalgoE8ElNS0_10empty_typeEbEEZZNS1_14partition_implILS5_8ELb0ES3_jPlPS6_PKS6_NS0_5tupleIJS9_S6_EEENSD_IJSA_SA_EEENS0_18inequality_wrapperIZN2at6native12_GLOBAL__N_124unique_dim_cuda_templateIN3c104HalfEEESt5tupleIJNSH_6TensorESO_SO_EERKSO_lbbbEUlllE0_EEPmJS6_EEE10hipError_tPvRmT3_T4_T5_T6_T7_T9_mT8_P12ihipStream_tbDpT10_ENKUlT_T0_E_clISt17integral_constantIbLb0EES1D_IbLb1EEEEDaS19_S1A_EUlS19_E_NS1_11comp_targetILNS1_3genE10ELNS1_11target_archE1200ELNS1_3gpuE4ELNS1_3repE0EEENS1_30default_config_static_selectorELNS0_4arch9wavefront6targetE1EEEvT1_, .Lfunc_end1326-_ZN7rocprim17ROCPRIM_400000_NS6detail17trampoline_kernelINS0_14default_configENS1_25partition_config_selectorILNS1_17partition_subalgoE8ElNS0_10empty_typeEbEEZZNS1_14partition_implILS5_8ELb0ES3_jPlPS6_PKS6_NS0_5tupleIJS9_S6_EEENSD_IJSA_SA_EEENS0_18inequality_wrapperIZN2at6native12_GLOBAL__N_124unique_dim_cuda_templateIN3c104HalfEEESt5tupleIJNSH_6TensorESO_SO_EERKSO_lbbbEUlllE0_EEPmJS6_EEE10hipError_tPvRmT3_T4_T5_T6_T7_T9_mT8_P12ihipStream_tbDpT10_ENKUlT_T0_E_clISt17integral_constantIbLb0EES1D_IbLb1EEEEDaS19_S1A_EUlS19_E_NS1_11comp_targetILNS1_3genE10ELNS1_11target_archE1200ELNS1_3gpuE4ELNS1_3repE0EEENS1_30default_config_static_selectorELNS0_4arch9wavefront6targetE1EEEvT1_
                                        ; -- End function
	.set _ZN7rocprim17ROCPRIM_400000_NS6detail17trampoline_kernelINS0_14default_configENS1_25partition_config_selectorILNS1_17partition_subalgoE8ElNS0_10empty_typeEbEEZZNS1_14partition_implILS5_8ELb0ES3_jPlPS6_PKS6_NS0_5tupleIJS9_S6_EEENSD_IJSA_SA_EEENS0_18inequality_wrapperIZN2at6native12_GLOBAL__N_124unique_dim_cuda_templateIN3c104HalfEEESt5tupleIJNSH_6TensorESO_SO_EERKSO_lbbbEUlllE0_EEPmJS6_EEE10hipError_tPvRmT3_T4_T5_T6_T7_T9_mT8_P12ihipStream_tbDpT10_ENKUlT_T0_E_clISt17integral_constantIbLb0EES1D_IbLb1EEEEDaS19_S1A_EUlS19_E_NS1_11comp_targetILNS1_3genE10ELNS1_11target_archE1200ELNS1_3gpuE4ELNS1_3repE0EEENS1_30default_config_static_selectorELNS0_4arch9wavefront6targetE1EEEvT1_.num_vgpr, 0
	.set _ZN7rocprim17ROCPRIM_400000_NS6detail17trampoline_kernelINS0_14default_configENS1_25partition_config_selectorILNS1_17partition_subalgoE8ElNS0_10empty_typeEbEEZZNS1_14partition_implILS5_8ELb0ES3_jPlPS6_PKS6_NS0_5tupleIJS9_S6_EEENSD_IJSA_SA_EEENS0_18inequality_wrapperIZN2at6native12_GLOBAL__N_124unique_dim_cuda_templateIN3c104HalfEEESt5tupleIJNSH_6TensorESO_SO_EERKSO_lbbbEUlllE0_EEPmJS6_EEE10hipError_tPvRmT3_T4_T5_T6_T7_T9_mT8_P12ihipStream_tbDpT10_ENKUlT_T0_E_clISt17integral_constantIbLb0EES1D_IbLb1EEEEDaS19_S1A_EUlS19_E_NS1_11comp_targetILNS1_3genE10ELNS1_11target_archE1200ELNS1_3gpuE4ELNS1_3repE0EEENS1_30default_config_static_selectorELNS0_4arch9wavefront6targetE1EEEvT1_.num_agpr, 0
	.set _ZN7rocprim17ROCPRIM_400000_NS6detail17trampoline_kernelINS0_14default_configENS1_25partition_config_selectorILNS1_17partition_subalgoE8ElNS0_10empty_typeEbEEZZNS1_14partition_implILS5_8ELb0ES3_jPlPS6_PKS6_NS0_5tupleIJS9_S6_EEENSD_IJSA_SA_EEENS0_18inequality_wrapperIZN2at6native12_GLOBAL__N_124unique_dim_cuda_templateIN3c104HalfEEESt5tupleIJNSH_6TensorESO_SO_EERKSO_lbbbEUlllE0_EEPmJS6_EEE10hipError_tPvRmT3_T4_T5_T6_T7_T9_mT8_P12ihipStream_tbDpT10_ENKUlT_T0_E_clISt17integral_constantIbLb0EES1D_IbLb1EEEEDaS19_S1A_EUlS19_E_NS1_11comp_targetILNS1_3genE10ELNS1_11target_archE1200ELNS1_3gpuE4ELNS1_3repE0EEENS1_30default_config_static_selectorELNS0_4arch9wavefront6targetE1EEEvT1_.numbered_sgpr, 0
	.set _ZN7rocprim17ROCPRIM_400000_NS6detail17trampoline_kernelINS0_14default_configENS1_25partition_config_selectorILNS1_17partition_subalgoE8ElNS0_10empty_typeEbEEZZNS1_14partition_implILS5_8ELb0ES3_jPlPS6_PKS6_NS0_5tupleIJS9_S6_EEENSD_IJSA_SA_EEENS0_18inequality_wrapperIZN2at6native12_GLOBAL__N_124unique_dim_cuda_templateIN3c104HalfEEESt5tupleIJNSH_6TensorESO_SO_EERKSO_lbbbEUlllE0_EEPmJS6_EEE10hipError_tPvRmT3_T4_T5_T6_T7_T9_mT8_P12ihipStream_tbDpT10_ENKUlT_T0_E_clISt17integral_constantIbLb0EES1D_IbLb1EEEEDaS19_S1A_EUlS19_E_NS1_11comp_targetILNS1_3genE10ELNS1_11target_archE1200ELNS1_3gpuE4ELNS1_3repE0EEENS1_30default_config_static_selectorELNS0_4arch9wavefront6targetE1EEEvT1_.num_named_barrier, 0
	.set _ZN7rocprim17ROCPRIM_400000_NS6detail17trampoline_kernelINS0_14default_configENS1_25partition_config_selectorILNS1_17partition_subalgoE8ElNS0_10empty_typeEbEEZZNS1_14partition_implILS5_8ELb0ES3_jPlPS6_PKS6_NS0_5tupleIJS9_S6_EEENSD_IJSA_SA_EEENS0_18inequality_wrapperIZN2at6native12_GLOBAL__N_124unique_dim_cuda_templateIN3c104HalfEEESt5tupleIJNSH_6TensorESO_SO_EERKSO_lbbbEUlllE0_EEPmJS6_EEE10hipError_tPvRmT3_T4_T5_T6_T7_T9_mT8_P12ihipStream_tbDpT10_ENKUlT_T0_E_clISt17integral_constantIbLb0EES1D_IbLb1EEEEDaS19_S1A_EUlS19_E_NS1_11comp_targetILNS1_3genE10ELNS1_11target_archE1200ELNS1_3gpuE4ELNS1_3repE0EEENS1_30default_config_static_selectorELNS0_4arch9wavefront6targetE1EEEvT1_.private_seg_size, 0
	.set _ZN7rocprim17ROCPRIM_400000_NS6detail17trampoline_kernelINS0_14default_configENS1_25partition_config_selectorILNS1_17partition_subalgoE8ElNS0_10empty_typeEbEEZZNS1_14partition_implILS5_8ELb0ES3_jPlPS6_PKS6_NS0_5tupleIJS9_S6_EEENSD_IJSA_SA_EEENS0_18inequality_wrapperIZN2at6native12_GLOBAL__N_124unique_dim_cuda_templateIN3c104HalfEEESt5tupleIJNSH_6TensorESO_SO_EERKSO_lbbbEUlllE0_EEPmJS6_EEE10hipError_tPvRmT3_T4_T5_T6_T7_T9_mT8_P12ihipStream_tbDpT10_ENKUlT_T0_E_clISt17integral_constantIbLb0EES1D_IbLb1EEEEDaS19_S1A_EUlS19_E_NS1_11comp_targetILNS1_3genE10ELNS1_11target_archE1200ELNS1_3gpuE4ELNS1_3repE0EEENS1_30default_config_static_selectorELNS0_4arch9wavefront6targetE1EEEvT1_.uses_vcc, 0
	.set _ZN7rocprim17ROCPRIM_400000_NS6detail17trampoline_kernelINS0_14default_configENS1_25partition_config_selectorILNS1_17partition_subalgoE8ElNS0_10empty_typeEbEEZZNS1_14partition_implILS5_8ELb0ES3_jPlPS6_PKS6_NS0_5tupleIJS9_S6_EEENSD_IJSA_SA_EEENS0_18inequality_wrapperIZN2at6native12_GLOBAL__N_124unique_dim_cuda_templateIN3c104HalfEEESt5tupleIJNSH_6TensorESO_SO_EERKSO_lbbbEUlllE0_EEPmJS6_EEE10hipError_tPvRmT3_T4_T5_T6_T7_T9_mT8_P12ihipStream_tbDpT10_ENKUlT_T0_E_clISt17integral_constantIbLb0EES1D_IbLb1EEEEDaS19_S1A_EUlS19_E_NS1_11comp_targetILNS1_3genE10ELNS1_11target_archE1200ELNS1_3gpuE4ELNS1_3repE0EEENS1_30default_config_static_selectorELNS0_4arch9wavefront6targetE1EEEvT1_.uses_flat_scratch, 0
	.set _ZN7rocprim17ROCPRIM_400000_NS6detail17trampoline_kernelINS0_14default_configENS1_25partition_config_selectorILNS1_17partition_subalgoE8ElNS0_10empty_typeEbEEZZNS1_14partition_implILS5_8ELb0ES3_jPlPS6_PKS6_NS0_5tupleIJS9_S6_EEENSD_IJSA_SA_EEENS0_18inequality_wrapperIZN2at6native12_GLOBAL__N_124unique_dim_cuda_templateIN3c104HalfEEESt5tupleIJNSH_6TensorESO_SO_EERKSO_lbbbEUlllE0_EEPmJS6_EEE10hipError_tPvRmT3_T4_T5_T6_T7_T9_mT8_P12ihipStream_tbDpT10_ENKUlT_T0_E_clISt17integral_constantIbLb0EES1D_IbLb1EEEEDaS19_S1A_EUlS19_E_NS1_11comp_targetILNS1_3genE10ELNS1_11target_archE1200ELNS1_3gpuE4ELNS1_3repE0EEENS1_30default_config_static_selectorELNS0_4arch9wavefront6targetE1EEEvT1_.has_dyn_sized_stack, 0
	.set _ZN7rocprim17ROCPRIM_400000_NS6detail17trampoline_kernelINS0_14default_configENS1_25partition_config_selectorILNS1_17partition_subalgoE8ElNS0_10empty_typeEbEEZZNS1_14partition_implILS5_8ELb0ES3_jPlPS6_PKS6_NS0_5tupleIJS9_S6_EEENSD_IJSA_SA_EEENS0_18inequality_wrapperIZN2at6native12_GLOBAL__N_124unique_dim_cuda_templateIN3c104HalfEEESt5tupleIJNSH_6TensorESO_SO_EERKSO_lbbbEUlllE0_EEPmJS6_EEE10hipError_tPvRmT3_T4_T5_T6_T7_T9_mT8_P12ihipStream_tbDpT10_ENKUlT_T0_E_clISt17integral_constantIbLb0EES1D_IbLb1EEEEDaS19_S1A_EUlS19_E_NS1_11comp_targetILNS1_3genE10ELNS1_11target_archE1200ELNS1_3gpuE4ELNS1_3repE0EEENS1_30default_config_static_selectorELNS0_4arch9wavefront6targetE1EEEvT1_.has_recursion, 0
	.set _ZN7rocprim17ROCPRIM_400000_NS6detail17trampoline_kernelINS0_14default_configENS1_25partition_config_selectorILNS1_17partition_subalgoE8ElNS0_10empty_typeEbEEZZNS1_14partition_implILS5_8ELb0ES3_jPlPS6_PKS6_NS0_5tupleIJS9_S6_EEENSD_IJSA_SA_EEENS0_18inequality_wrapperIZN2at6native12_GLOBAL__N_124unique_dim_cuda_templateIN3c104HalfEEESt5tupleIJNSH_6TensorESO_SO_EERKSO_lbbbEUlllE0_EEPmJS6_EEE10hipError_tPvRmT3_T4_T5_T6_T7_T9_mT8_P12ihipStream_tbDpT10_ENKUlT_T0_E_clISt17integral_constantIbLb0EES1D_IbLb1EEEEDaS19_S1A_EUlS19_E_NS1_11comp_targetILNS1_3genE10ELNS1_11target_archE1200ELNS1_3gpuE4ELNS1_3repE0EEENS1_30default_config_static_selectorELNS0_4arch9wavefront6targetE1EEEvT1_.has_indirect_call, 0
	.section	.AMDGPU.csdata,"",@progbits
; Kernel info:
; codeLenInByte = 0
; TotalNumSgprs: 6
; NumVgprs: 0
; NumAgprs: 0
; TotalNumVgprs: 0
; ScratchSize: 0
; MemoryBound: 0
; FloatMode: 240
; IeeeMode: 1
; LDSByteSize: 0 bytes/workgroup (compile time only)
; SGPRBlocks: 0
; VGPRBlocks: 0
; NumSGPRsForWavesPerEU: 6
; NumVGPRsForWavesPerEU: 1
; AccumOffset: 4
; Occupancy: 8
; WaveLimiterHint : 0
; COMPUTE_PGM_RSRC2:SCRATCH_EN: 0
; COMPUTE_PGM_RSRC2:USER_SGPR: 2
; COMPUTE_PGM_RSRC2:TRAP_HANDLER: 0
; COMPUTE_PGM_RSRC2:TGID_X_EN: 1
; COMPUTE_PGM_RSRC2:TGID_Y_EN: 0
; COMPUTE_PGM_RSRC2:TGID_Z_EN: 0
; COMPUTE_PGM_RSRC2:TIDIG_COMP_CNT: 0
; COMPUTE_PGM_RSRC3_GFX90A:ACCUM_OFFSET: 0
; COMPUTE_PGM_RSRC3_GFX90A:TG_SPLIT: 0
	.section	.text._ZN7rocprim17ROCPRIM_400000_NS6detail17trampoline_kernelINS0_14default_configENS1_25partition_config_selectorILNS1_17partition_subalgoE8ElNS0_10empty_typeEbEEZZNS1_14partition_implILS5_8ELb0ES3_jPlPS6_PKS6_NS0_5tupleIJS9_S6_EEENSD_IJSA_SA_EEENS0_18inequality_wrapperIZN2at6native12_GLOBAL__N_124unique_dim_cuda_templateIN3c104HalfEEESt5tupleIJNSH_6TensorESO_SO_EERKSO_lbbbEUlllE0_EEPmJS6_EEE10hipError_tPvRmT3_T4_T5_T6_T7_T9_mT8_P12ihipStream_tbDpT10_ENKUlT_T0_E_clISt17integral_constantIbLb0EES1D_IbLb1EEEEDaS19_S1A_EUlS19_E_NS1_11comp_targetILNS1_3genE9ELNS1_11target_archE1100ELNS1_3gpuE3ELNS1_3repE0EEENS1_30default_config_static_selectorELNS0_4arch9wavefront6targetE1EEEvT1_,"axG",@progbits,_ZN7rocprim17ROCPRIM_400000_NS6detail17trampoline_kernelINS0_14default_configENS1_25partition_config_selectorILNS1_17partition_subalgoE8ElNS0_10empty_typeEbEEZZNS1_14partition_implILS5_8ELb0ES3_jPlPS6_PKS6_NS0_5tupleIJS9_S6_EEENSD_IJSA_SA_EEENS0_18inequality_wrapperIZN2at6native12_GLOBAL__N_124unique_dim_cuda_templateIN3c104HalfEEESt5tupleIJNSH_6TensorESO_SO_EERKSO_lbbbEUlllE0_EEPmJS6_EEE10hipError_tPvRmT3_T4_T5_T6_T7_T9_mT8_P12ihipStream_tbDpT10_ENKUlT_T0_E_clISt17integral_constantIbLb0EES1D_IbLb1EEEEDaS19_S1A_EUlS19_E_NS1_11comp_targetILNS1_3genE9ELNS1_11target_archE1100ELNS1_3gpuE3ELNS1_3repE0EEENS1_30default_config_static_selectorELNS0_4arch9wavefront6targetE1EEEvT1_,comdat
	.globl	_ZN7rocprim17ROCPRIM_400000_NS6detail17trampoline_kernelINS0_14default_configENS1_25partition_config_selectorILNS1_17partition_subalgoE8ElNS0_10empty_typeEbEEZZNS1_14partition_implILS5_8ELb0ES3_jPlPS6_PKS6_NS0_5tupleIJS9_S6_EEENSD_IJSA_SA_EEENS0_18inequality_wrapperIZN2at6native12_GLOBAL__N_124unique_dim_cuda_templateIN3c104HalfEEESt5tupleIJNSH_6TensorESO_SO_EERKSO_lbbbEUlllE0_EEPmJS6_EEE10hipError_tPvRmT3_T4_T5_T6_T7_T9_mT8_P12ihipStream_tbDpT10_ENKUlT_T0_E_clISt17integral_constantIbLb0EES1D_IbLb1EEEEDaS19_S1A_EUlS19_E_NS1_11comp_targetILNS1_3genE9ELNS1_11target_archE1100ELNS1_3gpuE3ELNS1_3repE0EEENS1_30default_config_static_selectorELNS0_4arch9wavefront6targetE1EEEvT1_ ; -- Begin function _ZN7rocprim17ROCPRIM_400000_NS6detail17trampoline_kernelINS0_14default_configENS1_25partition_config_selectorILNS1_17partition_subalgoE8ElNS0_10empty_typeEbEEZZNS1_14partition_implILS5_8ELb0ES3_jPlPS6_PKS6_NS0_5tupleIJS9_S6_EEENSD_IJSA_SA_EEENS0_18inequality_wrapperIZN2at6native12_GLOBAL__N_124unique_dim_cuda_templateIN3c104HalfEEESt5tupleIJNSH_6TensorESO_SO_EERKSO_lbbbEUlllE0_EEPmJS6_EEE10hipError_tPvRmT3_T4_T5_T6_T7_T9_mT8_P12ihipStream_tbDpT10_ENKUlT_T0_E_clISt17integral_constantIbLb0EES1D_IbLb1EEEEDaS19_S1A_EUlS19_E_NS1_11comp_targetILNS1_3genE9ELNS1_11target_archE1100ELNS1_3gpuE3ELNS1_3repE0EEENS1_30default_config_static_selectorELNS0_4arch9wavefront6targetE1EEEvT1_
	.p2align	8
	.type	_ZN7rocprim17ROCPRIM_400000_NS6detail17trampoline_kernelINS0_14default_configENS1_25partition_config_selectorILNS1_17partition_subalgoE8ElNS0_10empty_typeEbEEZZNS1_14partition_implILS5_8ELb0ES3_jPlPS6_PKS6_NS0_5tupleIJS9_S6_EEENSD_IJSA_SA_EEENS0_18inequality_wrapperIZN2at6native12_GLOBAL__N_124unique_dim_cuda_templateIN3c104HalfEEESt5tupleIJNSH_6TensorESO_SO_EERKSO_lbbbEUlllE0_EEPmJS6_EEE10hipError_tPvRmT3_T4_T5_T6_T7_T9_mT8_P12ihipStream_tbDpT10_ENKUlT_T0_E_clISt17integral_constantIbLb0EES1D_IbLb1EEEEDaS19_S1A_EUlS19_E_NS1_11comp_targetILNS1_3genE9ELNS1_11target_archE1100ELNS1_3gpuE3ELNS1_3repE0EEENS1_30default_config_static_selectorELNS0_4arch9wavefront6targetE1EEEvT1_,@function
_ZN7rocprim17ROCPRIM_400000_NS6detail17trampoline_kernelINS0_14default_configENS1_25partition_config_selectorILNS1_17partition_subalgoE8ElNS0_10empty_typeEbEEZZNS1_14partition_implILS5_8ELb0ES3_jPlPS6_PKS6_NS0_5tupleIJS9_S6_EEENSD_IJSA_SA_EEENS0_18inequality_wrapperIZN2at6native12_GLOBAL__N_124unique_dim_cuda_templateIN3c104HalfEEESt5tupleIJNSH_6TensorESO_SO_EERKSO_lbbbEUlllE0_EEPmJS6_EEE10hipError_tPvRmT3_T4_T5_T6_T7_T9_mT8_P12ihipStream_tbDpT10_ENKUlT_T0_E_clISt17integral_constantIbLb0EES1D_IbLb1EEEEDaS19_S1A_EUlS19_E_NS1_11comp_targetILNS1_3genE9ELNS1_11target_archE1100ELNS1_3gpuE3ELNS1_3repE0EEENS1_30default_config_static_selectorELNS0_4arch9wavefront6targetE1EEEvT1_: ; @_ZN7rocprim17ROCPRIM_400000_NS6detail17trampoline_kernelINS0_14default_configENS1_25partition_config_selectorILNS1_17partition_subalgoE8ElNS0_10empty_typeEbEEZZNS1_14partition_implILS5_8ELb0ES3_jPlPS6_PKS6_NS0_5tupleIJS9_S6_EEENSD_IJSA_SA_EEENS0_18inequality_wrapperIZN2at6native12_GLOBAL__N_124unique_dim_cuda_templateIN3c104HalfEEESt5tupleIJNSH_6TensorESO_SO_EERKSO_lbbbEUlllE0_EEPmJS6_EEE10hipError_tPvRmT3_T4_T5_T6_T7_T9_mT8_P12ihipStream_tbDpT10_ENKUlT_T0_E_clISt17integral_constantIbLb0EES1D_IbLb1EEEEDaS19_S1A_EUlS19_E_NS1_11comp_targetILNS1_3genE9ELNS1_11target_archE1100ELNS1_3gpuE3ELNS1_3repE0EEENS1_30default_config_static_selectorELNS0_4arch9wavefront6targetE1EEEvT1_
; %bb.0:
	.section	.rodata,"a",@progbits
	.p2align	6, 0x0
	.amdhsa_kernel _ZN7rocprim17ROCPRIM_400000_NS6detail17trampoline_kernelINS0_14default_configENS1_25partition_config_selectorILNS1_17partition_subalgoE8ElNS0_10empty_typeEbEEZZNS1_14partition_implILS5_8ELb0ES3_jPlPS6_PKS6_NS0_5tupleIJS9_S6_EEENSD_IJSA_SA_EEENS0_18inequality_wrapperIZN2at6native12_GLOBAL__N_124unique_dim_cuda_templateIN3c104HalfEEESt5tupleIJNSH_6TensorESO_SO_EERKSO_lbbbEUlllE0_EEPmJS6_EEE10hipError_tPvRmT3_T4_T5_T6_T7_T9_mT8_P12ihipStream_tbDpT10_ENKUlT_T0_E_clISt17integral_constantIbLb0EES1D_IbLb1EEEEDaS19_S1A_EUlS19_E_NS1_11comp_targetILNS1_3genE9ELNS1_11target_archE1100ELNS1_3gpuE3ELNS1_3repE0EEENS1_30default_config_static_selectorELNS0_4arch9wavefront6targetE1EEEvT1_
		.amdhsa_group_segment_fixed_size 0
		.amdhsa_private_segment_fixed_size 0
		.amdhsa_kernarg_size 136
		.amdhsa_user_sgpr_count 2
		.amdhsa_user_sgpr_dispatch_ptr 0
		.amdhsa_user_sgpr_queue_ptr 0
		.amdhsa_user_sgpr_kernarg_segment_ptr 1
		.amdhsa_user_sgpr_dispatch_id 0
		.amdhsa_user_sgpr_kernarg_preload_length 0
		.amdhsa_user_sgpr_kernarg_preload_offset 0
		.amdhsa_user_sgpr_private_segment_size 0
		.amdhsa_uses_dynamic_stack 0
		.amdhsa_enable_private_segment 0
		.amdhsa_system_sgpr_workgroup_id_x 1
		.amdhsa_system_sgpr_workgroup_id_y 0
		.amdhsa_system_sgpr_workgroup_id_z 0
		.amdhsa_system_sgpr_workgroup_info 0
		.amdhsa_system_vgpr_workitem_id 0
		.amdhsa_next_free_vgpr 1
		.amdhsa_next_free_sgpr 0
		.amdhsa_accum_offset 4
		.amdhsa_reserve_vcc 0
		.amdhsa_float_round_mode_32 0
		.amdhsa_float_round_mode_16_64 0
		.amdhsa_float_denorm_mode_32 3
		.amdhsa_float_denorm_mode_16_64 3
		.amdhsa_dx10_clamp 1
		.amdhsa_ieee_mode 1
		.amdhsa_fp16_overflow 0
		.amdhsa_tg_split 0
		.amdhsa_exception_fp_ieee_invalid_op 0
		.amdhsa_exception_fp_denorm_src 0
		.amdhsa_exception_fp_ieee_div_zero 0
		.amdhsa_exception_fp_ieee_overflow 0
		.amdhsa_exception_fp_ieee_underflow 0
		.amdhsa_exception_fp_ieee_inexact 0
		.amdhsa_exception_int_div_zero 0
	.end_amdhsa_kernel
	.section	.text._ZN7rocprim17ROCPRIM_400000_NS6detail17trampoline_kernelINS0_14default_configENS1_25partition_config_selectorILNS1_17partition_subalgoE8ElNS0_10empty_typeEbEEZZNS1_14partition_implILS5_8ELb0ES3_jPlPS6_PKS6_NS0_5tupleIJS9_S6_EEENSD_IJSA_SA_EEENS0_18inequality_wrapperIZN2at6native12_GLOBAL__N_124unique_dim_cuda_templateIN3c104HalfEEESt5tupleIJNSH_6TensorESO_SO_EERKSO_lbbbEUlllE0_EEPmJS6_EEE10hipError_tPvRmT3_T4_T5_T6_T7_T9_mT8_P12ihipStream_tbDpT10_ENKUlT_T0_E_clISt17integral_constantIbLb0EES1D_IbLb1EEEEDaS19_S1A_EUlS19_E_NS1_11comp_targetILNS1_3genE9ELNS1_11target_archE1100ELNS1_3gpuE3ELNS1_3repE0EEENS1_30default_config_static_selectorELNS0_4arch9wavefront6targetE1EEEvT1_,"axG",@progbits,_ZN7rocprim17ROCPRIM_400000_NS6detail17trampoline_kernelINS0_14default_configENS1_25partition_config_selectorILNS1_17partition_subalgoE8ElNS0_10empty_typeEbEEZZNS1_14partition_implILS5_8ELb0ES3_jPlPS6_PKS6_NS0_5tupleIJS9_S6_EEENSD_IJSA_SA_EEENS0_18inequality_wrapperIZN2at6native12_GLOBAL__N_124unique_dim_cuda_templateIN3c104HalfEEESt5tupleIJNSH_6TensorESO_SO_EERKSO_lbbbEUlllE0_EEPmJS6_EEE10hipError_tPvRmT3_T4_T5_T6_T7_T9_mT8_P12ihipStream_tbDpT10_ENKUlT_T0_E_clISt17integral_constantIbLb0EES1D_IbLb1EEEEDaS19_S1A_EUlS19_E_NS1_11comp_targetILNS1_3genE9ELNS1_11target_archE1100ELNS1_3gpuE3ELNS1_3repE0EEENS1_30default_config_static_selectorELNS0_4arch9wavefront6targetE1EEEvT1_,comdat
.Lfunc_end1327:
	.size	_ZN7rocprim17ROCPRIM_400000_NS6detail17trampoline_kernelINS0_14default_configENS1_25partition_config_selectorILNS1_17partition_subalgoE8ElNS0_10empty_typeEbEEZZNS1_14partition_implILS5_8ELb0ES3_jPlPS6_PKS6_NS0_5tupleIJS9_S6_EEENSD_IJSA_SA_EEENS0_18inequality_wrapperIZN2at6native12_GLOBAL__N_124unique_dim_cuda_templateIN3c104HalfEEESt5tupleIJNSH_6TensorESO_SO_EERKSO_lbbbEUlllE0_EEPmJS6_EEE10hipError_tPvRmT3_T4_T5_T6_T7_T9_mT8_P12ihipStream_tbDpT10_ENKUlT_T0_E_clISt17integral_constantIbLb0EES1D_IbLb1EEEEDaS19_S1A_EUlS19_E_NS1_11comp_targetILNS1_3genE9ELNS1_11target_archE1100ELNS1_3gpuE3ELNS1_3repE0EEENS1_30default_config_static_selectorELNS0_4arch9wavefront6targetE1EEEvT1_, .Lfunc_end1327-_ZN7rocprim17ROCPRIM_400000_NS6detail17trampoline_kernelINS0_14default_configENS1_25partition_config_selectorILNS1_17partition_subalgoE8ElNS0_10empty_typeEbEEZZNS1_14partition_implILS5_8ELb0ES3_jPlPS6_PKS6_NS0_5tupleIJS9_S6_EEENSD_IJSA_SA_EEENS0_18inequality_wrapperIZN2at6native12_GLOBAL__N_124unique_dim_cuda_templateIN3c104HalfEEESt5tupleIJNSH_6TensorESO_SO_EERKSO_lbbbEUlllE0_EEPmJS6_EEE10hipError_tPvRmT3_T4_T5_T6_T7_T9_mT8_P12ihipStream_tbDpT10_ENKUlT_T0_E_clISt17integral_constantIbLb0EES1D_IbLb1EEEEDaS19_S1A_EUlS19_E_NS1_11comp_targetILNS1_3genE9ELNS1_11target_archE1100ELNS1_3gpuE3ELNS1_3repE0EEENS1_30default_config_static_selectorELNS0_4arch9wavefront6targetE1EEEvT1_
                                        ; -- End function
	.set _ZN7rocprim17ROCPRIM_400000_NS6detail17trampoline_kernelINS0_14default_configENS1_25partition_config_selectorILNS1_17partition_subalgoE8ElNS0_10empty_typeEbEEZZNS1_14partition_implILS5_8ELb0ES3_jPlPS6_PKS6_NS0_5tupleIJS9_S6_EEENSD_IJSA_SA_EEENS0_18inequality_wrapperIZN2at6native12_GLOBAL__N_124unique_dim_cuda_templateIN3c104HalfEEESt5tupleIJNSH_6TensorESO_SO_EERKSO_lbbbEUlllE0_EEPmJS6_EEE10hipError_tPvRmT3_T4_T5_T6_T7_T9_mT8_P12ihipStream_tbDpT10_ENKUlT_T0_E_clISt17integral_constantIbLb0EES1D_IbLb1EEEEDaS19_S1A_EUlS19_E_NS1_11comp_targetILNS1_3genE9ELNS1_11target_archE1100ELNS1_3gpuE3ELNS1_3repE0EEENS1_30default_config_static_selectorELNS0_4arch9wavefront6targetE1EEEvT1_.num_vgpr, 0
	.set _ZN7rocprim17ROCPRIM_400000_NS6detail17trampoline_kernelINS0_14default_configENS1_25partition_config_selectorILNS1_17partition_subalgoE8ElNS0_10empty_typeEbEEZZNS1_14partition_implILS5_8ELb0ES3_jPlPS6_PKS6_NS0_5tupleIJS9_S6_EEENSD_IJSA_SA_EEENS0_18inequality_wrapperIZN2at6native12_GLOBAL__N_124unique_dim_cuda_templateIN3c104HalfEEESt5tupleIJNSH_6TensorESO_SO_EERKSO_lbbbEUlllE0_EEPmJS6_EEE10hipError_tPvRmT3_T4_T5_T6_T7_T9_mT8_P12ihipStream_tbDpT10_ENKUlT_T0_E_clISt17integral_constantIbLb0EES1D_IbLb1EEEEDaS19_S1A_EUlS19_E_NS1_11comp_targetILNS1_3genE9ELNS1_11target_archE1100ELNS1_3gpuE3ELNS1_3repE0EEENS1_30default_config_static_selectorELNS0_4arch9wavefront6targetE1EEEvT1_.num_agpr, 0
	.set _ZN7rocprim17ROCPRIM_400000_NS6detail17trampoline_kernelINS0_14default_configENS1_25partition_config_selectorILNS1_17partition_subalgoE8ElNS0_10empty_typeEbEEZZNS1_14partition_implILS5_8ELb0ES3_jPlPS6_PKS6_NS0_5tupleIJS9_S6_EEENSD_IJSA_SA_EEENS0_18inequality_wrapperIZN2at6native12_GLOBAL__N_124unique_dim_cuda_templateIN3c104HalfEEESt5tupleIJNSH_6TensorESO_SO_EERKSO_lbbbEUlllE0_EEPmJS6_EEE10hipError_tPvRmT3_T4_T5_T6_T7_T9_mT8_P12ihipStream_tbDpT10_ENKUlT_T0_E_clISt17integral_constantIbLb0EES1D_IbLb1EEEEDaS19_S1A_EUlS19_E_NS1_11comp_targetILNS1_3genE9ELNS1_11target_archE1100ELNS1_3gpuE3ELNS1_3repE0EEENS1_30default_config_static_selectorELNS0_4arch9wavefront6targetE1EEEvT1_.numbered_sgpr, 0
	.set _ZN7rocprim17ROCPRIM_400000_NS6detail17trampoline_kernelINS0_14default_configENS1_25partition_config_selectorILNS1_17partition_subalgoE8ElNS0_10empty_typeEbEEZZNS1_14partition_implILS5_8ELb0ES3_jPlPS6_PKS6_NS0_5tupleIJS9_S6_EEENSD_IJSA_SA_EEENS0_18inequality_wrapperIZN2at6native12_GLOBAL__N_124unique_dim_cuda_templateIN3c104HalfEEESt5tupleIJNSH_6TensorESO_SO_EERKSO_lbbbEUlllE0_EEPmJS6_EEE10hipError_tPvRmT3_T4_T5_T6_T7_T9_mT8_P12ihipStream_tbDpT10_ENKUlT_T0_E_clISt17integral_constantIbLb0EES1D_IbLb1EEEEDaS19_S1A_EUlS19_E_NS1_11comp_targetILNS1_3genE9ELNS1_11target_archE1100ELNS1_3gpuE3ELNS1_3repE0EEENS1_30default_config_static_selectorELNS0_4arch9wavefront6targetE1EEEvT1_.num_named_barrier, 0
	.set _ZN7rocprim17ROCPRIM_400000_NS6detail17trampoline_kernelINS0_14default_configENS1_25partition_config_selectorILNS1_17partition_subalgoE8ElNS0_10empty_typeEbEEZZNS1_14partition_implILS5_8ELb0ES3_jPlPS6_PKS6_NS0_5tupleIJS9_S6_EEENSD_IJSA_SA_EEENS0_18inequality_wrapperIZN2at6native12_GLOBAL__N_124unique_dim_cuda_templateIN3c104HalfEEESt5tupleIJNSH_6TensorESO_SO_EERKSO_lbbbEUlllE0_EEPmJS6_EEE10hipError_tPvRmT3_T4_T5_T6_T7_T9_mT8_P12ihipStream_tbDpT10_ENKUlT_T0_E_clISt17integral_constantIbLb0EES1D_IbLb1EEEEDaS19_S1A_EUlS19_E_NS1_11comp_targetILNS1_3genE9ELNS1_11target_archE1100ELNS1_3gpuE3ELNS1_3repE0EEENS1_30default_config_static_selectorELNS0_4arch9wavefront6targetE1EEEvT1_.private_seg_size, 0
	.set _ZN7rocprim17ROCPRIM_400000_NS6detail17trampoline_kernelINS0_14default_configENS1_25partition_config_selectorILNS1_17partition_subalgoE8ElNS0_10empty_typeEbEEZZNS1_14partition_implILS5_8ELb0ES3_jPlPS6_PKS6_NS0_5tupleIJS9_S6_EEENSD_IJSA_SA_EEENS0_18inequality_wrapperIZN2at6native12_GLOBAL__N_124unique_dim_cuda_templateIN3c104HalfEEESt5tupleIJNSH_6TensorESO_SO_EERKSO_lbbbEUlllE0_EEPmJS6_EEE10hipError_tPvRmT3_T4_T5_T6_T7_T9_mT8_P12ihipStream_tbDpT10_ENKUlT_T0_E_clISt17integral_constantIbLb0EES1D_IbLb1EEEEDaS19_S1A_EUlS19_E_NS1_11comp_targetILNS1_3genE9ELNS1_11target_archE1100ELNS1_3gpuE3ELNS1_3repE0EEENS1_30default_config_static_selectorELNS0_4arch9wavefront6targetE1EEEvT1_.uses_vcc, 0
	.set _ZN7rocprim17ROCPRIM_400000_NS6detail17trampoline_kernelINS0_14default_configENS1_25partition_config_selectorILNS1_17partition_subalgoE8ElNS0_10empty_typeEbEEZZNS1_14partition_implILS5_8ELb0ES3_jPlPS6_PKS6_NS0_5tupleIJS9_S6_EEENSD_IJSA_SA_EEENS0_18inequality_wrapperIZN2at6native12_GLOBAL__N_124unique_dim_cuda_templateIN3c104HalfEEESt5tupleIJNSH_6TensorESO_SO_EERKSO_lbbbEUlllE0_EEPmJS6_EEE10hipError_tPvRmT3_T4_T5_T6_T7_T9_mT8_P12ihipStream_tbDpT10_ENKUlT_T0_E_clISt17integral_constantIbLb0EES1D_IbLb1EEEEDaS19_S1A_EUlS19_E_NS1_11comp_targetILNS1_3genE9ELNS1_11target_archE1100ELNS1_3gpuE3ELNS1_3repE0EEENS1_30default_config_static_selectorELNS0_4arch9wavefront6targetE1EEEvT1_.uses_flat_scratch, 0
	.set _ZN7rocprim17ROCPRIM_400000_NS6detail17trampoline_kernelINS0_14default_configENS1_25partition_config_selectorILNS1_17partition_subalgoE8ElNS0_10empty_typeEbEEZZNS1_14partition_implILS5_8ELb0ES3_jPlPS6_PKS6_NS0_5tupleIJS9_S6_EEENSD_IJSA_SA_EEENS0_18inequality_wrapperIZN2at6native12_GLOBAL__N_124unique_dim_cuda_templateIN3c104HalfEEESt5tupleIJNSH_6TensorESO_SO_EERKSO_lbbbEUlllE0_EEPmJS6_EEE10hipError_tPvRmT3_T4_T5_T6_T7_T9_mT8_P12ihipStream_tbDpT10_ENKUlT_T0_E_clISt17integral_constantIbLb0EES1D_IbLb1EEEEDaS19_S1A_EUlS19_E_NS1_11comp_targetILNS1_3genE9ELNS1_11target_archE1100ELNS1_3gpuE3ELNS1_3repE0EEENS1_30default_config_static_selectorELNS0_4arch9wavefront6targetE1EEEvT1_.has_dyn_sized_stack, 0
	.set _ZN7rocprim17ROCPRIM_400000_NS6detail17trampoline_kernelINS0_14default_configENS1_25partition_config_selectorILNS1_17partition_subalgoE8ElNS0_10empty_typeEbEEZZNS1_14partition_implILS5_8ELb0ES3_jPlPS6_PKS6_NS0_5tupleIJS9_S6_EEENSD_IJSA_SA_EEENS0_18inequality_wrapperIZN2at6native12_GLOBAL__N_124unique_dim_cuda_templateIN3c104HalfEEESt5tupleIJNSH_6TensorESO_SO_EERKSO_lbbbEUlllE0_EEPmJS6_EEE10hipError_tPvRmT3_T4_T5_T6_T7_T9_mT8_P12ihipStream_tbDpT10_ENKUlT_T0_E_clISt17integral_constantIbLb0EES1D_IbLb1EEEEDaS19_S1A_EUlS19_E_NS1_11comp_targetILNS1_3genE9ELNS1_11target_archE1100ELNS1_3gpuE3ELNS1_3repE0EEENS1_30default_config_static_selectorELNS0_4arch9wavefront6targetE1EEEvT1_.has_recursion, 0
	.set _ZN7rocprim17ROCPRIM_400000_NS6detail17trampoline_kernelINS0_14default_configENS1_25partition_config_selectorILNS1_17partition_subalgoE8ElNS0_10empty_typeEbEEZZNS1_14partition_implILS5_8ELb0ES3_jPlPS6_PKS6_NS0_5tupleIJS9_S6_EEENSD_IJSA_SA_EEENS0_18inequality_wrapperIZN2at6native12_GLOBAL__N_124unique_dim_cuda_templateIN3c104HalfEEESt5tupleIJNSH_6TensorESO_SO_EERKSO_lbbbEUlllE0_EEPmJS6_EEE10hipError_tPvRmT3_T4_T5_T6_T7_T9_mT8_P12ihipStream_tbDpT10_ENKUlT_T0_E_clISt17integral_constantIbLb0EES1D_IbLb1EEEEDaS19_S1A_EUlS19_E_NS1_11comp_targetILNS1_3genE9ELNS1_11target_archE1100ELNS1_3gpuE3ELNS1_3repE0EEENS1_30default_config_static_selectorELNS0_4arch9wavefront6targetE1EEEvT1_.has_indirect_call, 0
	.section	.AMDGPU.csdata,"",@progbits
; Kernel info:
; codeLenInByte = 0
; TotalNumSgprs: 6
; NumVgprs: 0
; NumAgprs: 0
; TotalNumVgprs: 0
; ScratchSize: 0
; MemoryBound: 0
; FloatMode: 240
; IeeeMode: 1
; LDSByteSize: 0 bytes/workgroup (compile time only)
; SGPRBlocks: 0
; VGPRBlocks: 0
; NumSGPRsForWavesPerEU: 6
; NumVGPRsForWavesPerEU: 1
; AccumOffset: 4
; Occupancy: 8
; WaveLimiterHint : 0
; COMPUTE_PGM_RSRC2:SCRATCH_EN: 0
; COMPUTE_PGM_RSRC2:USER_SGPR: 2
; COMPUTE_PGM_RSRC2:TRAP_HANDLER: 0
; COMPUTE_PGM_RSRC2:TGID_X_EN: 1
; COMPUTE_PGM_RSRC2:TGID_Y_EN: 0
; COMPUTE_PGM_RSRC2:TGID_Z_EN: 0
; COMPUTE_PGM_RSRC2:TIDIG_COMP_CNT: 0
; COMPUTE_PGM_RSRC3_GFX90A:ACCUM_OFFSET: 0
; COMPUTE_PGM_RSRC3_GFX90A:TG_SPLIT: 0
	.section	.text._ZN7rocprim17ROCPRIM_400000_NS6detail17trampoline_kernelINS0_14default_configENS1_25partition_config_selectorILNS1_17partition_subalgoE8ElNS0_10empty_typeEbEEZZNS1_14partition_implILS5_8ELb0ES3_jPlPS6_PKS6_NS0_5tupleIJS9_S6_EEENSD_IJSA_SA_EEENS0_18inequality_wrapperIZN2at6native12_GLOBAL__N_124unique_dim_cuda_templateIN3c104HalfEEESt5tupleIJNSH_6TensorESO_SO_EERKSO_lbbbEUlllE0_EEPmJS6_EEE10hipError_tPvRmT3_T4_T5_T6_T7_T9_mT8_P12ihipStream_tbDpT10_ENKUlT_T0_E_clISt17integral_constantIbLb0EES1D_IbLb1EEEEDaS19_S1A_EUlS19_E_NS1_11comp_targetILNS1_3genE8ELNS1_11target_archE1030ELNS1_3gpuE2ELNS1_3repE0EEENS1_30default_config_static_selectorELNS0_4arch9wavefront6targetE1EEEvT1_,"axG",@progbits,_ZN7rocprim17ROCPRIM_400000_NS6detail17trampoline_kernelINS0_14default_configENS1_25partition_config_selectorILNS1_17partition_subalgoE8ElNS0_10empty_typeEbEEZZNS1_14partition_implILS5_8ELb0ES3_jPlPS6_PKS6_NS0_5tupleIJS9_S6_EEENSD_IJSA_SA_EEENS0_18inequality_wrapperIZN2at6native12_GLOBAL__N_124unique_dim_cuda_templateIN3c104HalfEEESt5tupleIJNSH_6TensorESO_SO_EERKSO_lbbbEUlllE0_EEPmJS6_EEE10hipError_tPvRmT3_T4_T5_T6_T7_T9_mT8_P12ihipStream_tbDpT10_ENKUlT_T0_E_clISt17integral_constantIbLb0EES1D_IbLb1EEEEDaS19_S1A_EUlS19_E_NS1_11comp_targetILNS1_3genE8ELNS1_11target_archE1030ELNS1_3gpuE2ELNS1_3repE0EEENS1_30default_config_static_selectorELNS0_4arch9wavefront6targetE1EEEvT1_,comdat
	.globl	_ZN7rocprim17ROCPRIM_400000_NS6detail17trampoline_kernelINS0_14default_configENS1_25partition_config_selectorILNS1_17partition_subalgoE8ElNS0_10empty_typeEbEEZZNS1_14partition_implILS5_8ELb0ES3_jPlPS6_PKS6_NS0_5tupleIJS9_S6_EEENSD_IJSA_SA_EEENS0_18inequality_wrapperIZN2at6native12_GLOBAL__N_124unique_dim_cuda_templateIN3c104HalfEEESt5tupleIJNSH_6TensorESO_SO_EERKSO_lbbbEUlllE0_EEPmJS6_EEE10hipError_tPvRmT3_T4_T5_T6_T7_T9_mT8_P12ihipStream_tbDpT10_ENKUlT_T0_E_clISt17integral_constantIbLb0EES1D_IbLb1EEEEDaS19_S1A_EUlS19_E_NS1_11comp_targetILNS1_3genE8ELNS1_11target_archE1030ELNS1_3gpuE2ELNS1_3repE0EEENS1_30default_config_static_selectorELNS0_4arch9wavefront6targetE1EEEvT1_ ; -- Begin function _ZN7rocprim17ROCPRIM_400000_NS6detail17trampoline_kernelINS0_14default_configENS1_25partition_config_selectorILNS1_17partition_subalgoE8ElNS0_10empty_typeEbEEZZNS1_14partition_implILS5_8ELb0ES3_jPlPS6_PKS6_NS0_5tupleIJS9_S6_EEENSD_IJSA_SA_EEENS0_18inequality_wrapperIZN2at6native12_GLOBAL__N_124unique_dim_cuda_templateIN3c104HalfEEESt5tupleIJNSH_6TensorESO_SO_EERKSO_lbbbEUlllE0_EEPmJS6_EEE10hipError_tPvRmT3_T4_T5_T6_T7_T9_mT8_P12ihipStream_tbDpT10_ENKUlT_T0_E_clISt17integral_constantIbLb0EES1D_IbLb1EEEEDaS19_S1A_EUlS19_E_NS1_11comp_targetILNS1_3genE8ELNS1_11target_archE1030ELNS1_3gpuE2ELNS1_3repE0EEENS1_30default_config_static_selectorELNS0_4arch9wavefront6targetE1EEEvT1_
	.p2align	8
	.type	_ZN7rocprim17ROCPRIM_400000_NS6detail17trampoline_kernelINS0_14default_configENS1_25partition_config_selectorILNS1_17partition_subalgoE8ElNS0_10empty_typeEbEEZZNS1_14partition_implILS5_8ELb0ES3_jPlPS6_PKS6_NS0_5tupleIJS9_S6_EEENSD_IJSA_SA_EEENS0_18inequality_wrapperIZN2at6native12_GLOBAL__N_124unique_dim_cuda_templateIN3c104HalfEEESt5tupleIJNSH_6TensorESO_SO_EERKSO_lbbbEUlllE0_EEPmJS6_EEE10hipError_tPvRmT3_T4_T5_T6_T7_T9_mT8_P12ihipStream_tbDpT10_ENKUlT_T0_E_clISt17integral_constantIbLb0EES1D_IbLb1EEEEDaS19_S1A_EUlS19_E_NS1_11comp_targetILNS1_3genE8ELNS1_11target_archE1030ELNS1_3gpuE2ELNS1_3repE0EEENS1_30default_config_static_selectorELNS0_4arch9wavefront6targetE1EEEvT1_,@function
_ZN7rocprim17ROCPRIM_400000_NS6detail17trampoline_kernelINS0_14default_configENS1_25partition_config_selectorILNS1_17partition_subalgoE8ElNS0_10empty_typeEbEEZZNS1_14partition_implILS5_8ELb0ES3_jPlPS6_PKS6_NS0_5tupleIJS9_S6_EEENSD_IJSA_SA_EEENS0_18inequality_wrapperIZN2at6native12_GLOBAL__N_124unique_dim_cuda_templateIN3c104HalfEEESt5tupleIJNSH_6TensorESO_SO_EERKSO_lbbbEUlllE0_EEPmJS6_EEE10hipError_tPvRmT3_T4_T5_T6_T7_T9_mT8_P12ihipStream_tbDpT10_ENKUlT_T0_E_clISt17integral_constantIbLb0EES1D_IbLb1EEEEDaS19_S1A_EUlS19_E_NS1_11comp_targetILNS1_3genE8ELNS1_11target_archE1030ELNS1_3gpuE2ELNS1_3repE0EEENS1_30default_config_static_selectorELNS0_4arch9wavefront6targetE1EEEvT1_: ; @_ZN7rocprim17ROCPRIM_400000_NS6detail17trampoline_kernelINS0_14default_configENS1_25partition_config_selectorILNS1_17partition_subalgoE8ElNS0_10empty_typeEbEEZZNS1_14partition_implILS5_8ELb0ES3_jPlPS6_PKS6_NS0_5tupleIJS9_S6_EEENSD_IJSA_SA_EEENS0_18inequality_wrapperIZN2at6native12_GLOBAL__N_124unique_dim_cuda_templateIN3c104HalfEEESt5tupleIJNSH_6TensorESO_SO_EERKSO_lbbbEUlllE0_EEPmJS6_EEE10hipError_tPvRmT3_T4_T5_T6_T7_T9_mT8_P12ihipStream_tbDpT10_ENKUlT_T0_E_clISt17integral_constantIbLb0EES1D_IbLb1EEEEDaS19_S1A_EUlS19_E_NS1_11comp_targetILNS1_3genE8ELNS1_11target_archE1030ELNS1_3gpuE2ELNS1_3repE0EEENS1_30default_config_static_selectorELNS0_4arch9wavefront6targetE1EEEvT1_
; %bb.0:
	.section	.rodata,"a",@progbits
	.p2align	6, 0x0
	.amdhsa_kernel _ZN7rocprim17ROCPRIM_400000_NS6detail17trampoline_kernelINS0_14default_configENS1_25partition_config_selectorILNS1_17partition_subalgoE8ElNS0_10empty_typeEbEEZZNS1_14partition_implILS5_8ELb0ES3_jPlPS6_PKS6_NS0_5tupleIJS9_S6_EEENSD_IJSA_SA_EEENS0_18inequality_wrapperIZN2at6native12_GLOBAL__N_124unique_dim_cuda_templateIN3c104HalfEEESt5tupleIJNSH_6TensorESO_SO_EERKSO_lbbbEUlllE0_EEPmJS6_EEE10hipError_tPvRmT3_T4_T5_T6_T7_T9_mT8_P12ihipStream_tbDpT10_ENKUlT_T0_E_clISt17integral_constantIbLb0EES1D_IbLb1EEEEDaS19_S1A_EUlS19_E_NS1_11comp_targetILNS1_3genE8ELNS1_11target_archE1030ELNS1_3gpuE2ELNS1_3repE0EEENS1_30default_config_static_selectorELNS0_4arch9wavefront6targetE1EEEvT1_
		.amdhsa_group_segment_fixed_size 0
		.amdhsa_private_segment_fixed_size 0
		.amdhsa_kernarg_size 136
		.amdhsa_user_sgpr_count 2
		.amdhsa_user_sgpr_dispatch_ptr 0
		.amdhsa_user_sgpr_queue_ptr 0
		.amdhsa_user_sgpr_kernarg_segment_ptr 1
		.amdhsa_user_sgpr_dispatch_id 0
		.amdhsa_user_sgpr_kernarg_preload_length 0
		.amdhsa_user_sgpr_kernarg_preload_offset 0
		.amdhsa_user_sgpr_private_segment_size 0
		.amdhsa_uses_dynamic_stack 0
		.amdhsa_enable_private_segment 0
		.amdhsa_system_sgpr_workgroup_id_x 1
		.amdhsa_system_sgpr_workgroup_id_y 0
		.amdhsa_system_sgpr_workgroup_id_z 0
		.amdhsa_system_sgpr_workgroup_info 0
		.amdhsa_system_vgpr_workitem_id 0
		.amdhsa_next_free_vgpr 1
		.amdhsa_next_free_sgpr 0
		.amdhsa_accum_offset 4
		.amdhsa_reserve_vcc 0
		.amdhsa_float_round_mode_32 0
		.amdhsa_float_round_mode_16_64 0
		.amdhsa_float_denorm_mode_32 3
		.amdhsa_float_denorm_mode_16_64 3
		.amdhsa_dx10_clamp 1
		.amdhsa_ieee_mode 1
		.amdhsa_fp16_overflow 0
		.amdhsa_tg_split 0
		.amdhsa_exception_fp_ieee_invalid_op 0
		.amdhsa_exception_fp_denorm_src 0
		.amdhsa_exception_fp_ieee_div_zero 0
		.amdhsa_exception_fp_ieee_overflow 0
		.amdhsa_exception_fp_ieee_underflow 0
		.amdhsa_exception_fp_ieee_inexact 0
		.amdhsa_exception_int_div_zero 0
	.end_amdhsa_kernel
	.section	.text._ZN7rocprim17ROCPRIM_400000_NS6detail17trampoline_kernelINS0_14default_configENS1_25partition_config_selectorILNS1_17partition_subalgoE8ElNS0_10empty_typeEbEEZZNS1_14partition_implILS5_8ELb0ES3_jPlPS6_PKS6_NS0_5tupleIJS9_S6_EEENSD_IJSA_SA_EEENS0_18inequality_wrapperIZN2at6native12_GLOBAL__N_124unique_dim_cuda_templateIN3c104HalfEEESt5tupleIJNSH_6TensorESO_SO_EERKSO_lbbbEUlllE0_EEPmJS6_EEE10hipError_tPvRmT3_T4_T5_T6_T7_T9_mT8_P12ihipStream_tbDpT10_ENKUlT_T0_E_clISt17integral_constantIbLb0EES1D_IbLb1EEEEDaS19_S1A_EUlS19_E_NS1_11comp_targetILNS1_3genE8ELNS1_11target_archE1030ELNS1_3gpuE2ELNS1_3repE0EEENS1_30default_config_static_selectorELNS0_4arch9wavefront6targetE1EEEvT1_,"axG",@progbits,_ZN7rocprim17ROCPRIM_400000_NS6detail17trampoline_kernelINS0_14default_configENS1_25partition_config_selectorILNS1_17partition_subalgoE8ElNS0_10empty_typeEbEEZZNS1_14partition_implILS5_8ELb0ES3_jPlPS6_PKS6_NS0_5tupleIJS9_S6_EEENSD_IJSA_SA_EEENS0_18inequality_wrapperIZN2at6native12_GLOBAL__N_124unique_dim_cuda_templateIN3c104HalfEEESt5tupleIJNSH_6TensorESO_SO_EERKSO_lbbbEUlllE0_EEPmJS6_EEE10hipError_tPvRmT3_T4_T5_T6_T7_T9_mT8_P12ihipStream_tbDpT10_ENKUlT_T0_E_clISt17integral_constantIbLb0EES1D_IbLb1EEEEDaS19_S1A_EUlS19_E_NS1_11comp_targetILNS1_3genE8ELNS1_11target_archE1030ELNS1_3gpuE2ELNS1_3repE0EEENS1_30default_config_static_selectorELNS0_4arch9wavefront6targetE1EEEvT1_,comdat
.Lfunc_end1328:
	.size	_ZN7rocprim17ROCPRIM_400000_NS6detail17trampoline_kernelINS0_14default_configENS1_25partition_config_selectorILNS1_17partition_subalgoE8ElNS0_10empty_typeEbEEZZNS1_14partition_implILS5_8ELb0ES3_jPlPS6_PKS6_NS0_5tupleIJS9_S6_EEENSD_IJSA_SA_EEENS0_18inequality_wrapperIZN2at6native12_GLOBAL__N_124unique_dim_cuda_templateIN3c104HalfEEESt5tupleIJNSH_6TensorESO_SO_EERKSO_lbbbEUlllE0_EEPmJS6_EEE10hipError_tPvRmT3_T4_T5_T6_T7_T9_mT8_P12ihipStream_tbDpT10_ENKUlT_T0_E_clISt17integral_constantIbLb0EES1D_IbLb1EEEEDaS19_S1A_EUlS19_E_NS1_11comp_targetILNS1_3genE8ELNS1_11target_archE1030ELNS1_3gpuE2ELNS1_3repE0EEENS1_30default_config_static_selectorELNS0_4arch9wavefront6targetE1EEEvT1_, .Lfunc_end1328-_ZN7rocprim17ROCPRIM_400000_NS6detail17trampoline_kernelINS0_14default_configENS1_25partition_config_selectorILNS1_17partition_subalgoE8ElNS0_10empty_typeEbEEZZNS1_14partition_implILS5_8ELb0ES3_jPlPS6_PKS6_NS0_5tupleIJS9_S6_EEENSD_IJSA_SA_EEENS0_18inequality_wrapperIZN2at6native12_GLOBAL__N_124unique_dim_cuda_templateIN3c104HalfEEESt5tupleIJNSH_6TensorESO_SO_EERKSO_lbbbEUlllE0_EEPmJS6_EEE10hipError_tPvRmT3_T4_T5_T6_T7_T9_mT8_P12ihipStream_tbDpT10_ENKUlT_T0_E_clISt17integral_constantIbLb0EES1D_IbLb1EEEEDaS19_S1A_EUlS19_E_NS1_11comp_targetILNS1_3genE8ELNS1_11target_archE1030ELNS1_3gpuE2ELNS1_3repE0EEENS1_30default_config_static_selectorELNS0_4arch9wavefront6targetE1EEEvT1_
                                        ; -- End function
	.set _ZN7rocprim17ROCPRIM_400000_NS6detail17trampoline_kernelINS0_14default_configENS1_25partition_config_selectorILNS1_17partition_subalgoE8ElNS0_10empty_typeEbEEZZNS1_14partition_implILS5_8ELb0ES3_jPlPS6_PKS6_NS0_5tupleIJS9_S6_EEENSD_IJSA_SA_EEENS0_18inequality_wrapperIZN2at6native12_GLOBAL__N_124unique_dim_cuda_templateIN3c104HalfEEESt5tupleIJNSH_6TensorESO_SO_EERKSO_lbbbEUlllE0_EEPmJS6_EEE10hipError_tPvRmT3_T4_T5_T6_T7_T9_mT8_P12ihipStream_tbDpT10_ENKUlT_T0_E_clISt17integral_constantIbLb0EES1D_IbLb1EEEEDaS19_S1A_EUlS19_E_NS1_11comp_targetILNS1_3genE8ELNS1_11target_archE1030ELNS1_3gpuE2ELNS1_3repE0EEENS1_30default_config_static_selectorELNS0_4arch9wavefront6targetE1EEEvT1_.num_vgpr, 0
	.set _ZN7rocprim17ROCPRIM_400000_NS6detail17trampoline_kernelINS0_14default_configENS1_25partition_config_selectorILNS1_17partition_subalgoE8ElNS0_10empty_typeEbEEZZNS1_14partition_implILS5_8ELb0ES3_jPlPS6_PKS6_NS0_5tupleIJS9_S6_EEENSD_IJSA_SA_EEENS0_18inequality_wrapperIZN2at6native12_GLOBAL__N_124unique_dim_cuda_templateIN3c104HalfEEESt5tupleIJNSH_6TensorESO_SO_EERKSO_lbbbEUlllE0_EEPmJS6_EEE10hipError_tPvRmT3_T4_T5_T6_T7_T9_mT8_P12ihipStream_tbDpT10_ENKUlT_T0_E_clISt17integral_constantIbLb0EES1D_IbLb1EEEEDaS19_S1A_EUlS19_E_NS1_11comp_targetILNS1_3genE8ELNS1_11target_archE1030ELNS1_3gpuE2ELNS1_3repE0EEENS1_30default_config_static_selectorELNS0_4arch9wavefront6targetE1EEEvT1_.num_agpr, 0
	.set _ZN7rocprim17ROCPRIM_400000_NS6detail17trampoline_kernelINS0_14default_configENS1_25partition_config_selectorILNS1_17partition_subalgoE8ElNS0_10empty_typeEbEEZZNS1_14partition_implILS5_8ELb0ES3_jPlPS6_PKS6_NS0_5tupleIJS9_S6_EEENSD_IJSA_SA_EEENS0_18inequality_wrapperIZN2at6native12_GLOBAL__N_124unique_dim_cuda_templateIN3c104HalfEEESt5tupleIJNSH_6TensorESO_SO_EERKSO_lbbbEUlllE0_EEPmJS6_EEE10hipError_tPvRmT3_T4_T5_T6_T7_T9_mT8_P12ihipStream_tbDpT10_ENKUlT_T0_E_clISt17integral_constantIbLb0EES1D_IbLb1EEEEDaS19_S1A_EUlS19_E_NS1_11comp_targetILNS1_3genE8ELNS1_11target_archE1030ELNS1_3gpuE2ELNS1_3repE0EEENS1_30default_config_static_selectorELNS0_4arch9wavefront6targetE1EEEvT1_.numbered_sgpr, 0
	.set _ZN7rocprim17ROCPRIM_400000_NS6detail17trampoline_kernelINS0_14default_configENS1_25partition_config_selectorILNS1_17partition_subalgoE8ElNS0_10empty_typeEbEEZZNS1_14partition_implILS5_8ELb0ES3_jPlPS6_PKS6_NS0_5tupleIJS9_S6_EEENSD_IJSA_SA_EEENS0_18inequality_wrapperIZN2at6native12_GLOBAL__N_124unique_dim_cuda_templateIN3c104HalfEEESt5tupleIJNSH_6TensorESO_SO_EERKSO_lbbbEUlllE0_EEPmJS6_EEE10hipError_tPvRmT3_T4_T5_T6_T7_T9_mT8_P12ihipStream_tbDpT10_ENKUlT_T0_E_clISt17integral_constantIbLb0EES1D_IbLb1EEEEDaS19_S1A_EUlS19_E_NS1_11comp_targetILNS1_3genE8ELNS1_11target_archE1030ELNS1_3gpuE2ELNS1_3repE0EEENS1_30default_config_static_selectorELNS0_4arch9wavefront6targetE1EEEvT1_.num_named_barrier, 0
	.set _ZN7rocprim17ROCPRIM_400000_NS6detail17trampoline_kernelINS0_14default_configENS1_25partition_config_selectorILNS1_17partition_subalgoE8ElNS0_10empty_typeEbEEZZNS1_14partition_implILS5_8ELb0ES3_jPlPS6_PKS6_NS0_5tupleIJS9_S6_EEENSD_IJSA_SA_EEENS0_18inequality_wrapperIZN2at6native12_GLOBAL__N_124unique_dim_cuda_templateIN3c104HalfEEESt5tupleIJNSH_6TensorESO_SO_EERKSO_lbbbEUlllE0_EEPmJS6_EEE10hipError_tPvRmT3_T4_T5_T6_T7_T9_mT8_P12ihipStream_tbDpT10_ENKUlT_T0_E_clISt17integral_constantIbLb0EES1D_IbLb1EEEEDaS19_S1A_EUlS19_E_NS1_11comp_targetILNS1_3genE8ELNS1_11target_archE1030ELNS1_3gpuE2ELNS1_3repE0EEENS1_30default_config_static_selectorELNS0_4arch9wavefront6targetE1EEEvT1_.private_seg_size, 0
	.set _ZN7rocprim17ROCPRIM_400000_NS6detail17trampoline_kernelINS0_14default_configENS1_25partition_config_selectorILNS1_17partition_subalgoE8ElNS0_10empty_typeEbEEZZNS1_14partition_implILS5_8ELb0ES3_jPlPS6_PKS6_NS0_5tupleIJS9_S6_EEENSD_IJSA_SA_EEENS0_18inequality_wrapperIZN2at6native12_GLOBAL__N_124unique_dim_cuda_templateIN3c104HalfEEESt5tupleIJNSH_6TensorESO_SO_EERKSO_lbbbEUlllE0_EEPmJS6_EEE10hipError_tPvRmT3_T4_T5_T6_T7_T9_mT8_P12ihipStream_tbDpT10_ENKUlT_T0_E_clISt17integral_constantIbLb0EES1D_IbLb1EEEEDaS19_S1A_EUlS19_E_NS1_11comp_targetILNS1_3genE8ELNS1_11target_archE1030ELNS1_3gpuE2ELNS1_3repE0EEENS1_30default_config_static_selectorELNS0_4arch9wavefront6targetE1EEEvT1_.uses_vcc, 0
	.set _ZN7rocprim17ROCPRIM_400000_NS6detail17trampoline_kernelINS0_14default_configENS1_25partition_config_selectorILNS1_17partition_subalgoE8ElNS0_10empty_typeEbEEZZNS1_14partition_implILS5_8ELb0ES3_jPlPS6_PKS6_NS0_5tupleIJS9_S6_EEENSD_IJSA_SA_EEENS0_18inequality_wrapperIZN2at6native12_GLOBAL__N_124unique_dim_cuda_templateIN3c104HalfEEESt5tupleIJNSH_6TensorESO_SO_EERKSO_lbbbEUlllE0_EEPmJS6_EEE10hipError_tPvRmT3_T4_T5_T6_T7_T9_mT8_P12ihipStream_tbDpT10_ENKUlT_T0_E_clISt17integral_constantIbLb0EES1D_IbLb1EEEEDaS19_S1A_EUlS19_E_NS1_11comp_targetILNS1_3genE8ELNS1_11target_archE1030ELNS1_3gpuE2ELNS1_3repE0EEENS1_30default_config_static_selectorELNS0_4arch9wavefront6targetE1EEEvT1_.uses_flat_scratch, 0
	.set _ZN7rocprim17ROCPRIM_400000_NS6detail17trampoline_kernelINS0_14default_configENS1_25partition_config_selectorILNS1_17partition_subalgoE8ElNS0_10empty_typeEbEEZZNS1_14partition_implILS5_8ELb0ES3_jPlPS6_PKS6_NS0_5tupleIJS9_S6_EEENSD_IJSA_SA_EEENS0_18inequality_wrapperIZN2at6native12_GLOBAL__N_124unique_dim_cuda_templateIN3c104HalfEEESt5tupleIJNSH_6TensorESO_SO_EERKSO_lbbbEUlllE0_EEPmJS6_EEE10hipError_tPvRmT3_T4_T5_T6_T7_T9_mT8_P12ihipStream_tbDpT10_ENKUlT_T0_E_clISt17integral_constantIbLb0EES1D_IbLb1EEEEDaS19_S1A_EUlS19_E_NS1_11comp_targetILNS1_3genE8ELNS1_11target_archE1030ELNS1_3gpuE2ELNS1_3repE0EEENS1_30default_config_static_selectorELNS0_4arch9wavefront6targetE1EEEvT1_.has_dyn_sized_stack, 0
	.set _ZN7rocprim17ROCPRIM_400000_NS6detail17trampoline_kernelINS0_14default_configENS1_25partition_config_selectorILNS1_17partition_subalgoE8ElNS0_10empty_typeEbEEZZNS1_14partition_implILS5_8ELb0ES3_jPlPS6_PKS6_NS0_5tupleIJS9_S6_EEENSD_IJSA_SA_EEENS0_18inequality_wrapperIZN2at6native12_GLOBAL__N_124unique_dim_cuda_templateIN3c104HalfEEESt5tupleIJNSH_6TensorESO_SO_EERKSO_lbbbEUlllE0_EEPmJS6_EEE10hipError_tPvRmT3_T4_T5_T6_T7_T9_mT8_P12ihipStream_tbDpT10_ENKUlT_T0_E_clISt17integral_constantIbLb0EES1D_IbLb1EEEEDaS19_S1A_EUlS19_E_NS1_11comp_targetILNS1_3genE8ELNS1_11target_archE1030ELNS1_3gpuE2ELNS1_3repE0EEENS1_30default_config_static_selectorELNS0_4arch9wavefront6targetE1EEEvT1_.has_recursion, 0
	.set _ZN7rocprim17ROCPRIM_400000_NS6detail17trampoline_kernelINS0_14default_configENS1_25partition_config_selectorILNS1_17partition_subalgoE8ElNS0_10empty_typeEbEEZZNS1_14partition_implILS5_8ELb0ES3_jPlPS6_PKS6_NS0_5tupleIJS9_S6_EEENSD_IJSA_SA_EEENS0_18inequality_wrapperIZN2at6native12_GLOBAL__N_124unique_dim_cuda_templateIN3c104HalfEEESt5tupleIJNSH_6TensorESO_SO_EERKSO_lbbbEUlllE0_EEPmJS6_EEE10hipError_tPvRmT3_T4_T5_T6_T7_T9_mT8_P12ihipStream_tbDpT10_ENKUlT_T0_E_clISt17integral_constantIbLb0EES1D_IbLb1EEEEDaS19_S1A_EUlS19_E_NS1_11comp_targetILNS1_3genE8ELNS1_11target_archE1030ELNS1_3gpuE2ELNS1_3repE0EEENS1_30default_config_static_selectorELNS0_4arch9wavefront6targetE1EEEvT1_.has_indirect_call, 0
	.section	.AMDGPU.csdata,"",@progbits
; Kernel info:
; codeLenInByte = 0
; TotalNumSgprs: 6
; NumVgprs: 0
; NumAgprs: 0
; TotalNumVgprs: 0
; ScratchSize: 0
; MemoryBound: 0
; FloatMode: 240
; IeeeMode: 1
; LDSByteSize: 0 bytes/workgroup (compile time only)
; SGPRBlocks: 0
; VGPRBlocks: 0
; NumSGPRsForWavesPerEU: 6
; NumVGPRsForWavesPerEU: 1
; AccumOffset: 4
; Occupancy: 8
; WaveLimiterHint : 0
; COMPUTE_PGM_RSRC2:SCRATCH_EN: 0
; COMPUTE_PGM_RSRC2:USER_SGPR: 2
; COMPUTE_PGM_RSRC2:TRAP_HANDLER: 0
; COMPUTE_PGM_RSRC2:TGID_X_EN: 1
; COMPUTE_PGM_RSRC2:TGID_Y_EN: 0
; COMPUTE_PGM_RSRC2:TGID_Z_EN: 0
; COMPUTE_PGM_RSRC2:TIDIG_COMP_CNT: 0
; COMPUTE_PGM_RSRC3_GFX90A:ACCUM_OFFSET: 0
; COMPUTE_PGM_RSRC3_GFX90A:TG_SPLIT: 0
	.section	.text._ZN7rocprim17ROCPRIM_400000_NS6detail17trampoline_kernelINS0_14default_configENS1_25partition_config_selectorILNS1_17partition_subalgoE9EllbEEZZNS1_14partition_implILS5_9ELb0ES3_jPlS8_PNS0_10empty_typeENS0_5tupleIJS8_S9_EEENSB_IJS8_SA_EEENS0_18inequality_wrapperIZN2at6native12_GLOBAL__N_124unique_dim_cuda_templateIN3c104HalfEEESt5tupleIJNSF_6TensorESM_SM_EERKSM_lbbbEUlllE0_EEPmJS9_EEE10hipError_tPvRmT3_T4_T5_T6_T7_T9_mT8_P12ihipStream_tbDpT10_ENKUlT_T0_E_clISt17integral_constantIbLb0EES1C_EEDaS17_S18_EUlS17_E_NS1_11comp_targetILNS1_3genE0ELNS1_11target_archE4294967295ELNS1_3gpuE0ELNS1_3repE0EEENS1_30default_config_static_selectorELNS0_4arch9wavefront6targetE1EEEvT1_,"axG",@progbits,_ZN7rocprim17ROCPRIM_400000_NS6detail17trampoline_kernelINS0_14default_configENS1_25partition_config_selectorILNS1_17partition_subalgoE9EllbEEZZNS1_14partition_implILS5_9ELb0ES3_jPlS8_PNS0_10empty_typeENS0_5tupleIJS8_S9_EEENSB_IJS8_SA_EEENS0_18inequality_wrapperIZN2at6native12_GLOBAL__N_124unique_dim_cuda_templateIN3c104HalfEEESt5tupleIJNSF_6TensorESM_SM_EERKSM_lbbbEUlllE0_EEPmJS9_EEE10hipError_tPvRmT3_T4_T5_T6_T7_T9_mT8_P12ihipStream_tbDpT10_ENKUlT_T0_E_clISt17integral_constantIbLb0EES1C_EEDaS17_S18_EUlS17_E_NS1_11comp_targetILNS1_3genE0ELNS1_11target_archE4294967295ELNS1_3gpuE0ELNS1_3repE0EEENS1_30default_config_static_selectorELNS0_4arch9wavefront6targetE1EEEvT1_,comdat
	.globl	_ZN7rocprim17ROCPRIM_400000_NS6detail17trampoline_kernelINS0_14default_configENS1_25partition_config_selectorILNS1_17partition_subalgoE9EllbEEZZNS1_14partition_implILS5_9ELb0ES3_jPlS8_PNS0_10empty_typeENS0_5tupleIJS8_S9_EEENSB_IJS8_SA_EEENS0_18inequality_wrapperIZN2at6native12_GLOBAL__N_124unique_dim_cuda_templateIN3c104HalfEEESt5tupleIJNSF_6TensorESM_SM_EERKSM_lbbbEUlllE0_EEPmJS9_EEE10hipError_tPvRmT3_T4_T5_T6_T7_T9_mT8_P12ihipStream_tbDpT10_ENKUlT_T0_E_clISt17integral_constantIbLb0EES1C_EEDaS17_S18_EUlS17_E_NS1_11comp_targetILNS1_3genE0ELNS1_11target_archE4294967295ELNS1_3gpuE0ELNS1_3repE0EEENS1_30default_config_static_selectorELNS0_4arch9wavefront6targetE1EEEvT1_ ; -- Begin function _ZN7rocprim17ROCPRIM_400000_NS6detail17trampoline_kernelINS0_14default_configENS1_25partition_config_selectorILNS1_17partition_subalgoE9EllbEEZZNS1_14partition_implILS5_9ELb0ES3_jPlS8_PNS0_10empty_typeENS0_5tupleIJS8_S9_EEENSB_IJS8_SA_EEENS0_18inequality_wrapperIZN2at6native12_GLOBAL__N_124unique_dim_cuda_templateIN3c104HalfEEESt5tupleIJNSF_6TensorESM_SM_EERKSM_lbbbEUlllE0_EEPmJS9_EEE10hipError_tPvRmT3_T4_T5_T6_T7_T9_mT8_P12ihipStream_tbDpT10_ENKUlT_T0_E_clISt17integral_constantIbLb0EES1C_EEDaS17_S18_EUlS17_E_NS1_11comp_targetILNS1_3genE0ELNS1_11target_archE4294967295ELNS1_3gpuE0ELNS1_3repE0EEENS1_30default_config_static_selectorELNS0_4arch9wavefront6targetE1EEEvT1_
	.p2align	8
	.type	_ZN7rocprim17ROCPRIM_400000_NS6detail17trampoline_kernelINS0_14default_configENS1_25partition_config_selectorILNS1_17partition_subalgoE9EllbEEZZNS1_14partition_implILS5_9ELb0ES3_jPlS8_PNS0_10empty_typeENS0_5tupleIJS8_S9_EEENSB_IJS8_SA_EEENS0_18inequality_wrapperIZN2at6native12_GLOBAL__N_124unique_dim_cuda_templateIN3c104HalfEEESt5tupleIJNSF_6TensorESM_SM_EERKSM_lbbbEUlllE0_EEPmJS9_EEE10hipError_tPvRmT3_T4_T5_T6_T7_T9_mT8_P12ihipStream_tbDpT10_ENKUlT_T0_E_clISt17integral_constantIbLb0EES1C_EEDaS17_S18_EUlS17_E_NS1_11comp_targetILNS1_3genE0ELNS1_11target_archE4294967295ELNS1_3gpuE0ELNS1_3repE0EEENS1_30default_config_static_selectorELNS0_4arch9wavefront6targetE1EEEvT1_,@function
_ZN7rocprim17ROCPRIM_400000_NS6detail17trampoline_kernelINS0_14default_configENS1_25partition_config_selectorILNS1_17partition_subalgoE9EllbEEZZNS1_14partition_implILS5_9ELb0ES3_jPlS8_PNS0_10empty_typeENS0_5tupleIJS8_S9_EEENSB_IJS8_SA_EEENS0_18inequality_wrapperIZN2at6native12_GLOBAL__N_124unique_dim_cuda_templateIN3c104HalfEEESt5tupleIJNSF_6TensorESM_SM_EERKSM_lbbbEUlllE0_EEPmJS9_EEE10hipError_tPvRmT3_T4_T5_T6_T7_T9_mT8_P12ihipStream_tbDpT10_ENKUlT_T0_E_clISt17integral_constantIbLb0EES1C_EEDaS17_S18_EUlS17_E_NS1_11comp_targetILNS1_3genE0ELNS1_11target_archE4294967295ELNS1_3gpuE0ELNS1_3repE0EEENS1_30default_config_static_selectorELNS0_4arch9wavefront6targetE1EEEvT1_: ; @_ZN7rocprim17ROCPRIM_400000_NS6detail17trampoline_kernelINS0_14default_configENS1_25partition_config_selectorILNS1_17partition_subalgoE9EllbEEZZNS1_14partition_implILS5_9ELb0ES3_jPlS8_PNS0_10empty_typeENS0_5tupleIJS8_S9_EEENSB_IJS8_SA_EEENS0_18inequality_wrapperIZN2at6native12_GLOBAL__N_124unique_dim_cuda_templateIN3c104HalfEEESt5tupleIJNSF_6TensorESM_SM_EERKSM_lbbbEUlllE0_EEPmJS9_EEE10hipError_tPvRmT3_T4_T5_T6_T7_T9_mT8_P12ihipStream_tbDpT10_ENKUlT_T0_E_clISt17integral_constantIbLb0EES1C_EEDaS17_S18_EUlS17_E_NS1_11comp_targetILNS1_3genE0ELNS1_11target_archE4294967295ELNS1_3gpuE0ELNS1_3repE0EEENS1_30default_config_static_selectorELNS0_4arch9wavefront6targetE1EEEvT1_
; %bb.0:
	s_load_dwordx4 s[4:7], s[0:1], 0x8
	s_load_dwordx2 s[10:11], s[0:1], 0x18
	s_load_dwordx8 s[24:31], s[0:1], 0x40
	s_load_dword s3, s[0:1], 0x70
	s_mul_i32 s12, s2, 0x280
	s_waitcnt lgkmcnt(0)
	s_lshl_b64 s[14:15], s[6:7], 3
	s_add_u32 s18, s4, s14
	s_addc_u32 s19, s5, s15
	s_mul_i32 s4, s3, 0x280
	s_add_i32 s8, s3, -1
	s_add_i32 s3, s4, s6
	s_sub_i32 s3, s28, s3
	s_addk_i32 s3, 0x280
	s_add_u32 s4, s6, s4
	s_addc_u32 s5, s7, 0
	v_mov_b64_e32 v[2:3], s[4:5]
	s_cmp_eq_u32 s2, s8
	s_load_dwordx2 s[26:27], s[26:27], 0x0
	v_cmp_le_u64_e32 vcc, s[28:29], v[2:3]
	s_cselect_b64 s[28:29], -1, 0
	s_mov_b32 s13, 0
	s_and_b64 s[8:9], s[28:29], vcc
	s_xor_b64 s[34:35], s[8:9], -1
	s_lshl_b64 s[16:17], s[12:13], 3
	s_add_u32 s12, s18, s16
	s_mov_b64 s[4:5], -1
	s_addc_u32 s13, s19, s17
	s_and_b64 vcc, exec, s[34:35]
	v_lshlrev_b32_e32 v1, 3, v0
	s_cbranch_vccz .LBB1329_2
; %bb.1:
	v_lshlrev_b32_e32 v2, 3, v0
	v_mov_b32_e32 v3, 0
	v_lshl_add_u64 v[4:5], s[12:13], 0, v[2:3]
	v_add_co_u32_e32 v4, vcc, 0x1000, v4
	global_load_dwordx2 v[6:7], v2, s[12:13] offset:3072
	s_nop 0
	v_addc_co_u32_e32 v5, vcc, 0, v5, vcc
	global_load_dwordx2 v[8:9], v2, s[12:13]
	global_load_dwordx2 v[10:11], v2, s[12:13] offset:1024
	global_load_dwordx2 v[12:13], v2, s[12:13] offset:2048
	global_load_dwordx2 v[14:15], v[4:5], off
	s_mov_b64 s[4:5], 0
	s_waitcnt vmcnt(2)
	ds_write2st64_b64 v2, v[8:9], v[10:11] offset1:2
	s_waitcnt vmcnt(1)
	ds_write2st64_b64 v2, v[12:13], v[6:7] offset0:4 offset1:6
	s_waitcnt vmcnt(0)
	ds_write_b64 v2, v[14:15] offset:4096
	s_waitcnt lgkmcnt(0)
	s_barrier
.LBB1329_2:
	s_load_dwordx4 s[20:23], s[0:1], 0x60
	s_andn2_b64 vcc, exec, s[4:5]
	v_cmp_gt_u32_e64 s[4:5], s3, v0
	s_cbranch_vccnz .LBB1329_14
; %bb.3:
	v_mov_b32_e32 v2, 0
	v_mov_b32_e32 v3, v2
	;; [unrolled: 1-line block ×10, first 2 shown]
	s_and_saveexec_b64 s[18:19], s[4:5]
	s_cbranch_execz .LBB1329_5
; %bb.4:
	v_lshlrev_b32_e32 v3, 3, v0
	global_load_dwordx2 v[4:5], v3, s[12:13]
	v_mov_b32_e32 v6, v2
	v_mov_b32_e32 v7, v2
	;; [unrolled: 1-line block ×8, first 2 shown]
	s_waitcnt vmcnt(0)
	v_mov_b64_e32 v[2:3], v[4:5]
	v_mov_b64_e32 v[4:5], v[6:7]
	;; [unrolled: 1-line block ×8, first 2 shown]
.LBB1329_5:
	s_or_b64 exec, exec, s[18:19]
	v_or_b32_e32 v12, 0x80, v0
	v_cmp_gt_u32_e32 vcc, s3, v12
	s_and_saveexec_b64 s[4:5], vcc
	s_cbranch_execz .LBB1329_7
; %bb.6:
	v_lshlrev_b32_e32 v4, 3, v0
	global_load_dwordx2 v[4:5], v4, s[12:13] offset:1024
.LBB1329_7:
	s_or_b64 exec, exec, s[4:5]
	v_or_b32_e32 v12, 0x100, v0
	v_cmp_gt_u32_e32 vcc, s3, v12
	s_and_saveexec_b64 s[4:5], vcc
	s_cbranch_execz .LBB1329_9
; %bb.8:
	v_lshlrev_b32_e32 v6, 3, v0
	global_load_dwordx2 v[6:7], v6, s[12:13] offset:2048
.LBB1329_9:
	s_or_b64 exec, exec, s[4:5]
	v_or_b32_e32 v12, 0x180, v0
	v_cmp_gt_u32_e32 vcc, s3, v12
	s_and_saveexec_b64 s[4:5], vcc
	s_cbranch_execz .LBB1329_11
; %bb.10:
	v_lshlrev_b32_e32 v8, 3, v0
	global_load_dwordx2 v[8:9], v8, s[12:13] offset:3072
.LBB1329_11:
	s_or_b64 exec, exec, s[4:5]
	v_or_b32_e32 v12, 0x200, v0
	v_cmp_gt_u32_e32 vcc, s3, v12
	s_and_saveexec_b64 s[4:5], vcc
	s_cbranch_execz .LBB1329_13
; %bb.12:
	v_lshlrev_b32_e32 v10, 3, v12
	global_load_dwordx2 v[10:11], v10, s[12:13]
.LBB1329_13:
	s_or_b64 exec, exec, s[4:5]
	v_lshlrev_b32_e32 v12, 3, v0
	s_waitcnt vmcnt(0)
	ds_write2st64_b64 v12, v[2:3], v[4:5] offset1:2
	ds_write2st64_b64 v12, v[6:7], v[8:9] offset0:4 offset1:6
	ds_write_b64 v12, v[10:11] offset:4096
	s_waitcnt lgkmcnt(0)
	s_barrier
.LBB1329_14:
	v_mul_u32_u24_e32 v22, 5, v0
	v_lshlrev_b32_e32 v20, 3, v22
	s_waitcnt lgkmcnt(0)
	ds_read2_b64 v[6:9], v20 offset1:1
	ds_read2_b64 v[2:5], v20 offset0:2 offset1:3
	ds_read_b64 v[12:13], v20 offset:32
	s_add_u32 s4, s10, s14
	s_addc_u32 s5, s11, s15
	s_add_u32 s4, s4, s16
	s_addc_u32 s5, s5, s17
	s_mov_b64 s[10:11], -1
	s_and_b64 vcc, exec, s[34:35]
	s_waitcnt lgkmcnt(0)
	s_barrier
	s_cbranch_vccz .LBB1329_16
; %bb.15:
	v_lshlrev_b32_e32 v10, 3, v0
	v_mov_b32_e32 v11, 0
	v_lshl_add_u64 v[14:15], s[4:5], 0, v[10:11]
	v_add_co_u32_e32 v14, vcc, 0x1000, v14
	global_load_dwordx2 v[16:17], v10, s[4:5] offset:3072
	s_nop 0
	v_addc_co_u32_e32 v15, vcc, 0, v15, vcc
	global_load_dwordx2 v[18:19], v10, s[4:5]
	global_load_dwordx2 v[24:25], v10, s[4:5] offset:1024
	global_load_dwordx2 v[26:27], v10, s[4:5] offset:2048
	global_load_dwordx2 v[28:29], v[14:15], off
	s_mov_b64 s[10:11], 0
	s_waitcnt vmcnt(2)
	ds_write2st64_b64 v10, v[18:19], v[24:25] offset1:2
	s_waitcnt vmcnt(1)
	ds_write2st64_b64 v10, v[26:27], v[16:17] offset0:4 offset1:6
	s_waitcnt vmcnt(0)
	ds_write_b64 v10, v[28:29] offset:4096
	s_waitcnt lgkmcnt(0)
	s_barrier
.LBB1329_16:
	s_andn2_b64 vcc, exec, s[10:11]
	s_cbranch_vccnz .LBB1329_28
; %bb.17:
	v_cmp_gt_u32_e32 vcc, s3, v0
                                        ; implicit-def: $vgpr10_vgpr11
	s_and_saveexec_b64 s[10:11], vcc
	s_cbranch_execz .LBB1329_19
; %bb.18:
	v_lshlrev_b32_e32 v10, 3, v0
	global_load_dwordx2 v[10:11], v10, s[4:5]
.LBB1329_19:
	s_or_b64 exec, exec, s[10:11]
	v_or_b32_e32 v14, 0x80, v0
	v_cmp_gt_u32_e32 vcc, s3, v14
                                        ; implicit-def: $vgpr14_vgpr15
	s_and_saveexec_b64 s[10:11], vcc
	s_cbranch_execz .LBB1329_21
; %bb.20:
	v_lshlrev_b32_e32 v14, 3, v0
	global_load_dwordx2 v[14:15], v14, s[4:5] offset:1024
.LBB1329_21:
	s_or_b64 exec, exec, s[10:11]
	v_or_b32_e32 v16, 0x100, v0
	v_cmp_gt_u32_e32 vcc, s3, v16
                                        ; implicit-def: $vgpr16_vgpr17
	s_and_saveexec_b64 s[10:11], vcc
	s_cbranch_execz .LBB1329_23
; %bb.22:
	v_lshlrev_b32_e32 v16, 3, v0
	global_load_dwordx2 v[16:17], v16, s[4:5] offset:2048
.LBB1329_23:
	s_or_b64 exec, exec, s[10:11]
	v_or_b32_e32 v18, 0x180, v0
	v_cmp_gt_u32_e32 vcc, s3, v18
                                        ; implicit-def: $vgpr18_vgpr19
	s_and_saveexec_b64 s[10:11], vcc
	s_cbranch_execz .LBB1329_25
; %bb.24:
	v_lshlrev_b32_e32 v18, 3, v0
	global_load_dwordx2 v[18:19], v18, s[4:5] offset:3072
.LBB1329_25:
	s_or_b64 exec, exec, s[10:11]
	v_or_b32_e32 v21, 0x200, v0
	v_cmp_gt_u32_e32 vcc, s3, v21
                                        ; implicit-def: $vgpr24_vgpr25
	s_and_saveexec_b64 s[10:11], vcc
	s_cbranch_execz .LBB1329_27
; %bb.26:
	v_lshlrev_b32_e32 v21, 3, v21
	global_load_dwordx2 v[24:25], v21, s[4:5]
.LBB1329_27:
	s_or_b64 exec, exec, s[10:11]
	v_lshlrev_b32_e32 v21, 5, v0
	v_sub_u32_e32 v21, v20, v21
	s_waitcnt vmcnt(0)
	ds_write2st64_b64 v21, v[10:11], v[14:15] offset1:2
	ds_write2st64_b64 v21, v[16:17], v[18:19] offset0:4 offset1:6
	ds_write_b64 v21, v[24:25] offset:4096
	s_waitcnt lgkmcnt(0)
	s_barrier
.LBB1329_28:
	ds_read_b64 v[10:11], v20 offset:32
	ds_read2_b64 v[52:55], v20 offset0:2 offset1:3
	ds_read2_b64 v[56:59], v20 offset1:1
	s_cmp_lg_u32 s2, 0
	s_cselect_b64 s[16:17], -1, 0
	s_cmp_lg_u64 s[6:7], 0
	s_cselect_b64 s[4:5], -1, 0
	s_or_b64 s[4:5], s[16:17], s[4:5]
	s_mov_b64 s[10:11], 0
	s_and_b64 vcc, exec, s[4:5]
	v_cmp_gt_i64_e64 s[4:5], s[30:31], 0
	s_waitcnt lgkmcnt(0)
	s_barrier
	s_cbranch_vccz .LBB1329_40
; %bb.29:
	s_add_u32 s6, s12, -8
	s_addc_u32 s7, s13, -1
	s_load_dwordx2 s[10:11], s[6:7], 0x0
	v_cndmask_b32_e64 v14, 0, 1, s[4:5]
	v_lshlrev_b32_e32 v21, 3, v0
	s_mov_b64 s[6:7], 0
	s_and_b64 vcc, exec, s[34:35]
	v_cmp_ne_u32_e64 s[4:5], 1, v14
	ds_write_b64 v21, v[12:13]
	s_cbranch_vccz .LBB1329_42
; %bb.30:
	s_and_b64 vcc, exec, s[4:5]
	s_cbranch_vccnz .LBB1329_43
; %bb.31:
	v_mul_lo_u32 v16, v5, s30
	v_mul_lo_u32 v17, v4, s31
	v_mad_u64_u32 v[14:15], s[6:7], v4, s30, 0
	v_add3_u32 v15, v15, v17, v16
	v_mul_lo_u32 v18, v13, s30
	v_mul_lo_u32 v19, v12, s31
	v_mad_u64_u32 v[16:17], s[6:7], v12, s30, 0
	s_add_u32 s14, s30, -1
	v_lshl_add_u64 v[14:15], v[14:15], 1, s[20:21]
	v_add3_u32 v17, v17, v19, v18
	s_addc_u32 s15, s31, -1
	v_lshl_add_u64 v[16:17], v[16:17], 1, s[20:21]
	s_mov_b64 s[18:19], 0
	s_mov_b64 s[36:37], s[14:15]
	v_mov_b64_e32 v[18:19], v[14:15]
                                        ; implicit-def: $sgpr12_sgpr13
.LBB1329_32:                            ; =>This Inner Loop Header: Depth=1
	global_load_ushort v23, v[18:19], off
	global_load_ushort v24, v[16:17], off
	s_add_u32 s6, s36, -1
	s_addc_u32 s7, s37, -1
	s_cmp_eq_u64 s[36:37], 0
	s_mov_b64 s[36:37], s[6:7]
	s_cselect_b64 s[38:39], -1, 0
	v_lshl_add_u64 v[18:19], v[18:19], 0, 2
	v_lshl_add_u64 v[16:17], v[16:17], 0, 2
	s_waitcnt vmcnt(0)
	v_cmp_neq_f16_e64 s[6:7], v23, v24
	s_or_b64 s[6:7], s[6:7], s[38:39]
	s_and_b64 s[6:7], exec, s[6:7]
	v_cmp_eq_f16_e32 vcc, v23, v24
	s_or_b64 s[18:19], s[6:7], s[18:19]
	s_andn2_b64 s[6:7], s[12:13], exec
	s_and_b64 s[12:13], vcc, exec
	s_or_b64 s[12:13], s[6:7], s[12:13]
	s_andn2_b64 exec, exec, s[18:19]
	s_cbranch_execnz .LBB1329_32
; %bb.33:
	s_or_b64 exec, exec, s[18:19]
	v_mul_lo_u32 v18, v3, s30
	v_mul_lo_u32 v19, v2, s31
	v_mad_u64_u32 v[16:17], s[6:7], v2, s30, 0
	v_add3_u32 v17, v17, v19, v18
	v_lshl_add_u64 v[16:17], v[16:17], 1, s[20:21]
	s_mov_b64 s[36:37], 0
	s_mov_b64 s[38:39], s[14:15]
	v_mov_b64_e32 v[18:19], v[16:17]
                                        ; implicit-def: $sgpr18_sgpr19
.LBB1329_34:                            ; =>This Inner Loop Header: Depth=1
	global_load_ushort v23, v[18:19], off
	global_load_ushort v24, v[14:15], off
	s_add_u32 s6, s38, -1
	s_addc_u32 s7, s39, -1
	s_cmp_eq_u64 s[38:39], 0
	s_mov_b64 s[38:39], s[6:7]
	s_cselect_b64 s[40:41], -1, 0
	v_lshl_add_u64 v[18:19], v[18:19], 0, 2
	v_lshl_add_u64 v[14:15], v[14:15], 0, 2
	s_waitcnt vmcnt(0)
	v_cmp_neq_f16_e64 s[6:7], v23, v24
	s_or_b64 s[6:7], s[6:7], s[40:41]
	s_and_b64 s[6:7], exec, s[6:7]
	v_cmp_eq_f16_e32 vcc, v23, v24
	s_or_b64 s[36:37], s[6:7], s[36:37]
	s_andn2_b64 s[6:7], s[18:19], exec
	s_and_b64 s[18:19], vcc, exec
	s_or_b64 s[18:19], s[6:7], s[18:19]
	s_andn2_b64 exec, exec, s[36:37]
	s_cbranch_execnz .LBB1329_34
; %bb.35:
	s_or_b64 exec, exec, s[36:37]
	v_mul_lo_u32 v18, v9, s30
	v_mul_lo_u32 v19, v8, s31
	v_mad_u64_u32 v[14:15], s[6:7], v8, s30, 0
	v_add3_u32 v15, v15, v19, v18
	v_lshl_add_u64 v[14:15], v[14:15], 1, s[20:21]
	s_mov_b64 s[38:39], 0
	s_mov_b64 s[40:41], s[14:15]
	v_mov_b64_e32 v[18:19], v[14:15]
                                        ; implicit-def: $sgpr36_sgpr37
.LBB1329_36:                            ; =>This Inner Loop Header: Depth=1
	global_load_ushort v23, v[18:19], off
	global_load_ushort v24, v[16:17], off
	s_add_u32 s6, s40, -1
	s_addc_u32 s7, s41, -1
	s_cmp_eq_u64 s[40:41], 0
	s_mov_b64 s[40:41], s[6:7]
	s_cselect_b64 s[42:43], -1, 0
	v_lshl_add_u64 v[18:19], v[18:19], 0, 2
	v_lshl_add_u64 v[16:17], v[16:17], 0, 2
	s_waitcnt vmcnt(0)
	v_cmp_neq_f16_e64 s[6:7], v23, v24
	s_or_b64 s[6:7], s[6:7], s[42:43]
	s_and_b64 s[6:7], exec, s[6:7]
	v_cmp_eq_f16_e32 vcc, v23, v24
	s_or_b64 s[38:39], s[6:7], s[38:39]
	s_andn2_b64 s[6:7], s[36:37], exec
	s_and_b64 s[36:37], vcc, exec
	s_or_b64 s[36:37], s[6:7], s[36:37]
	s_andn2_b64 exec, exec, s[38:39]
	s_cbranch_execnz .LBB1329_36
; %bb.37:
	s_or_b64 exec, exec, s[38:39]
	v_mul_lo_u32 v18, v7, s30
	v_mul_lo_u32 v19, v6, s31
	v_mad_u64_u32 v[16:17], s[6:7], v6, s30, 0
	v_add3_u32 v17, v17, v19, v18
	v_lshl_add_u64 v[16:17], v[16:17], 1, s[20:21]
	s_mov_b64 s[40:41], 0
                                        ; implicit-def: $sgpr38_sgpr39
.LBB1329_38:                            ; =>This Inner Loop Header: Depth=1
	global_load_ushort v18, v[16:17], off
	global_load_ushort v19, v[14:15], off
	s_add_u32 s6, s14, -1
	s_addc_u32 s7, s15, -1
	s_cmp_eq_u64 s[14:15], 0
	s_mov_b64 s[14:15], s[6:7]
	s_cselect_b64 s[42:43], -1, 0
	v_lshl_add_u64 v[16:17], v[16:17], 0, 2
	v_lshl_add_u64 v[14:15], v[14:15], 0, 2
	s_waitcnt vmcnt(0)
	v_cmp_neq_f16_e64 s[6:7], v18, v19
	s_or_b64 s[6:7], s[6:7], s[42:43]
	s_and_b64 s[6:7], exec, s[6:7]
	v_cmp_eq_f16_e32 vcc, v18, v19
	s_or_b64 s[40:41], s[6:7], s[40:41]
	s_andn2_b64 s[6:7], s[38:39], exec
	s_and_b64 s[38:39], vcc, exec
	s_or_b64 s[38:39], s[6:7], s[38:39]
	s_andn2_b64 exec, exec, s[40:41]
	s_cbranch_execnz .LBB1329_38
; %bb.39:
	s_or_b64 exec, exec, s[40:41]
	s_xor_b64 s[6:7], s[12:13], -1
	v_cndmask_b32_e64 v32, 0, 1, s[6:7]
	s_xor_b64 s[6:7], s[18:19], -1
	v_cndmask_b32_e64 v14, 0, 1, s[6:7]
	v_lshlrev_b16_e32 v14, 8, v14
	v_mov_b32_e32 v15, 8
	s_xor_b64 s[12:13], s[36:37], -1
	v_lshrrev_b32_sdwa v14, v15, v14 dst_sel:BYTE_1 dst_unused:UNUSED_PAD src0_sel:DWORD src1_sel:DWORD
	v_cndmask_b32_e64 v15, 0, 1, s[12:13]
	s_xor_b64 s[6:7], s[38:39], -1
	v_or_b32_sdwa v16, v15, v14 dst_sel:WORD_1 dst_unused:UNUSED_PAD src0_sel:DWORD src1_sel:DWORD
	s_branch .LBB1329_44
.LBB1329_40:
                                        ; implicit-def: $sgpr6_sgpr7
                                        ; implicit-def: $vgpr32
                                        ; implicit-def: $vgpr15
	s_branch .LBB1329_85
.LBB1329_41:
                                        ; implicit-def: $vgpr16
                                        ; implicit-def: $vgpr34
                                        ; implicit-def: $vgpr33
                                        ; implicit-def: $vgpr14
	s_branch .LBB1329_138
.LBB1329_42:
                                        ; implicit-def: $sgpr6_sgpr7
                                        ; implicit-def: $vgpr32
                                        ; implicit-def: $vgpr15
	s_cbranch_execnz .LBB1329_51
	s_branch .LBB1329_84
.LBB1329_43:
	v_mov_b32_e32 v16, 0
	v_mov_b32_e32 v32, 0
.LBB1329_44:
	v_cmp_ne_u32_e32 vcc, 0, v0
	s_waitcnt lgkmcnt(0)
	v_mov_b64_e32 v[14:15], s[10:11]
	s_barrier
	s_and_saveexec_b64 s[12:13], vcc
; %bb.45:
	v_add_u32_e32 v14, -8, v21
	ds_read_b64 v[14:15], v14
; %bb.46:
	s_or_b64 exec, exec, s[12:13]
	v_cndmask_b32_e64 v17, 0, 1, s[6:7]
	v_lshrrev_b32_e32 v18, 16, v16
	s_mov_b32 s6, 0xc0c0304
	v_perm_b32 v18, v18, v16, s6
	v_lshlrev_b16_e32 v17, 8, v17
	s_movk_i32 s6, 0xff
	v_bitop3_b16 v16, v16, v17, s6 bitop3:0xec
	v_and_b32_e32 v19, 0xffff, v16
	s_mov_b64 s[12:13], 0
	s_and_b64 vcc, exec, s[4:5]
	s_mov_b64 s[6:7], 0
	s_cbranch_vccnz .LBB1329_50
; %bb.47:
	s_waitcnt lgkmcnt(0)
	v_mul_lo_u32 v16, v15, s30
	v_mul_lo_u32 v17, v14, s31
	v_mad_u64_u32 v[14:15], s[6:7], v14, s30, 0
	v_add3_u32 v15, v15, v17, v16
	v_mul_lo_u32 v23, v7, s30
	v_mul_lo_u32 v24, v6, s31
	v_mad_u64_u32 v[16:17], s[6:7], v6, s30, 0
	v_add3_u32 v17, v17, v24, v23
	s_add_u32 s36, s30, -1
	v_lshl_add_u64 v[14:15], v[14:15], 1, s[20:21]
	v_lshl_add_u64 v[16:17], v[16:17], 1, s[20:21]
	s_addc_u32 s37, s31, -1
	s_mov_b64 s[14:15], 0
                                        ; implicit-def: $sgpr18_sgpr19
.LBB1329_48:                            ; =>This Inner Loop Header: Depth=1
	global_load_ushort v23, v[14:15], off
	global_load_ushort v24, v[16:17], off
	s_add_u32 s6, s36, -1
	s_addc_u32 s7, s37, -1
	s_cmp_eq_u64 s[36:37], 0
	s_mov_b64 s[36:37], s[6:7]
	s_cselect_b64 s[38:39], -1, 0
	v_lshl_add_u64 v[14:15], v[14:15], 0, 2
	v_lshl_add_u64 v[16:17], v[16:17], 0, 2
	s_waitcnt vmcnt(0)
	v_cmp_neq_f16_e64 s[6:7], v23, v24
	s_or_b64 s[6:7], s[6:7], s[38:39]
	s_and_b64 s[6:7], exec, s[6:7]
	v_cmp_eq_f16_e32 vcc, v23, v24
	s_or_b64 s[14:15], s[6:7], s[14:15]
	s_andn2_b64 s[6:7], s[18:19], exec
	s_and_b64 s[18:19], vcc, exec
	s_or_b64 s[18:19], s[6:7], s[18:19]
	s_andn2_b64 exec, exec, s[14:15]
	s_cbranch_execnz .LBB1329_48
; %bb.49:
	s_or_b64 exec, exec, s[14:15]
	s_xor_b64 s[6:7], s[18:19], -1
.LBB1329_50:
	s_waitcnt lgkmcnt(0)
	v_lshl_or_b32 v15, v18, 16, v19
	s_and_b64 vcc, exec, s[12:13]
	s_cbranch_vccz .LBB1329_84
.LBB1329_51:
	v_add_u32_e32 v14, 4, v22
	v_cmp_gt_u32_e32 vcc, s3, v14
	s_mov_b64 s[14:15], 0
	s_mov_b64 s[12:13], 0
	s_and_saveexec_b64 s[18:19], vcc
	s_cbranch_execz .LBB1329_57
; %bb.52:
	s_and_b64 vcc, exec, s[4:5]
	s_mov_b64 s[6:7], 0
	s_cbranch_vccnz .LBB1329_56
; %bb.53:
	v_mul_lo_u32 v16, v5, s30
	v_mul_lo_u32 v17, v4, s31
	v_mad_u64_u32 v[14:15], s[6:7], v4, s30, 0
	v_add3_u32 v15, v15, v17, v16
	v_mul_lo_u32 v18, v13, s30
	v_mul_lo_u32 v19, v12, s31
	v_mad_u64_u32 v[16:17], s[6:7], v12, s30, 0
	v_add3_u32 v17, v17, v19, v18
	s_add_u32 s38, s30, -1
	v_lshl_add_u64 v[14:15], v[14:15], 1, s[20:21]
	v_lshl_add_u64 v[16:17], v[16:17], 1, s[20:21]
	s_addc_u32 s39, s31, -1
                                        ; implicit-def: $sgpr36_sgpr37
.LBB1329_54:                            ; =>This Inner Loop Header: Depth=1
	global_load_ushort v18, v[14:15], off
	global_load_ushort v19, v[16:17], off
	s_add_u32 s6, s38, -1
	s_addc_u32 s7, s39, -1
	s_cmp_eq_u64 s[38:39], 0
	s_mov_b64 s[38:39], s[6:7]
	s_cselect_b64 s[40:41], -1, 0
	v_lshl_add_u64 v[14:15], v[14:15], 0, 2
	v_lshl_add_u64 v[16:17], v[16:17], 0, 2
	s_waitcnt vmcnt(0)
	v_cmp_neq_f16_e64 s[6:7], v18, v19
	s_or_b64 s[6:7], s[6:7], s[40:41]
	s_and_b64 s[6:7], exec, s[6:7]
	v_cmp_eq_f16_e32 vcc, v18, v19
	s_or_b64 s[12:13], s[6:7], s[12:13]
	s_andn2_b64 s[6:7], s[36:37], exec
	s_and_b64 s[36:37], vcc, exec
	s_or_b64 s[36:37], s[6:7], s[36:37]
	s_andn2_b64 exec, exec, s[12:13]
	s_cbranch_execnz .LBB1329_54
; %bb.55:
	s_or_b64 exec, exec, s[12:13]
	s_xor_b64 s[6:7], s[36:37], -1
.LBB1329_56:
	s_and_b64 s[12:13], s[6:7], exec
.LBB1329_57:
	s_or_b64 exec, exec, s[18:19]
	v_add_u32_e32 v14, 3, v22
	v_cmp_gt_u32_e32 vcc, s3, v14
	s_and_saveexec_b64 s[18:19], vcc
	s_cbranch_execz .LBB1329_63
; %bb.58:
	s_and_b64 vcc, exec, s[4:5]
	s_mov_b64 s[6:7], 0
	s_cbranch_vccnz .LBB1329_62
; %bb.59:
	v_mul_lo_u32 v16, v3, s30
	v_mul_lo_u32 v17, v2, s31
	v_mad_u64_u32 v[14:15], s[6:7], v2, s30, 0
	v_add3_u32 v15, v15, v17, v16
	v_mul_lo_u32 v18, v5, s30
	v_mul_lo_u32 v19, v4, s31
	v_mad_u64_u32 v[16:17], s[6:7], v4, s30, 0
	v_add3_u32 v17, v17, v19, v18
	s_add_u32 s38, s30, -1
	v_lshl_add_u64 v[14:15], v[14:15], 1, s[20:21]
	v_lshl_add_u64 v[16:17], v[16:17], 1, s[20:21]
	s_addc_u32 s39, s31, -1
	s_mov_b64 s[14:15], 0
                                        ; implicit-def: $sgpr36_sgpr37
.LBB1329_60:                            ; =>This Inner Loop Header: Depth=1
	global_load_ushort v18, v[14:15], off
	global_load_ushort v19, v[16:17], off
	s_add_u32 s6, s38, -1
	s_addc_u32 s7, s39, -1
	s_cmp_eq_u64 s[38:39], 0
	s_mov_b64 s[38:39], s[6:7]
	s_cselect_b64 s[40:41], -1, 0
	v_lshl_add_u64 v[14:15], v[14:15], 0, 2
	v_lshl_add_u64 v[16:17], v[16:17], 0, 2
	s_waitcnt vmcnt(0)
	v_cmp_neq_f16_e64 s[6:7], v18, v19
	s_or_b64 s[6:7], s[6:7], s[40:41]
	s_and_b64 s[6:7], exec, s[6:7]
	v_cmp_eq_f16_e32 vcc, v18, v19
	s_or_b64 s[14:15], s[6:7], s[14:15]
	s_andn2_b64 s[6:7], s[36:37], exec
	s_and_b64 s[36:37], vcc, exec
	s_or_b64 s[36:37], s[6:7], s[36:37]
	s_andn2_b64 exec, exec, s[14:15]
	s_cbranch_execnz .LBB1329_60
; %bb.61:
	s_or_b64 exec, exec, s[14:15]
	s_xor_b64 s[6:7], s[36:37], -1
.LBB1329_62:
	s_and_b64 s[14:15], s[6:7], exec
.LBB1329_63:
	s_or_b64 exec, exec, s[18:19]
	v_add_u32_e32 v14, 2, v22
	v_cmp_gt_u32_e32 vcc, s3, v14
	s_mov_b64 s[18:19], 0
	s_mov_b64 s[36:37], 0
	s_and_saveexec_b64 s[38:39], vcc
	s_cbranch_execz .LBB1329_69
; %bb.64:
	s_and_b64 vcc, exec, s[4:5]
	s_mov_b64 s[6:7], 0
	s_cbranch_vccnz .LBB1329_68
; %bb.65:
	v_mul_lo_u32 v16, v9, s30
	v_mul_lo_u32 v17, v8, s31
	v_mad_u64_u32 v[14:15], s[6:7], v8, s30, 0
	v_add3_u32 v15, v15, v17, v16
	v_mul_lo_u32 v18, v3, s30
	v_mul_lo_u32 v19, v2, s31
	v_mad_u64_u32 v[16:17], s[6:7], v2, s30, 0
	v_add3_u32 v17, v17, v19, v18
	s_add_u32 s42, s30, -1
	v_lshl_add_u64 v[14:15], v[14:15], 1, s[20:21]
	v_lshl_add_u64 v[16:17], v[16:17], 1, s[20:21]
	s_addc_u32 s43, s31, -1
                                        ; implicit-def: $sgpr40_sgpr41
.LBB1329_66:                            ; =>This Inner Loop Header: Depth=1
	global_load_ushort v18, v[14:15], off
	global_load_ushort v19, v[16:17], off
	s_add_u32 s6, s42, -1
	s_addc_u32 s7, s43, -1
	s_cmp_eq_u64 s[42:43], 0
	s_mov_b64 s[42:43], s[6:7]
	s_cselect_b64 s[44:45], -1, 0
	v_lshl_add_u64 v[14:15], v[14:15], 0, 2
	v_lshl_add_u64 v[16:17], v[16:17], 0, 2
	s_waitcnt vmcnt(0)
	v_cmp_neq_f16_e64 s[6:7], v18, v19
	s_or_b64 s[6:7], s[6:7], s[44:45]
	s_and_b64 s[6:7], exec, s[6:7]
	v_cmp_eq_f16_e32 vcc, v18, v19
	s_or_b64 s[36:37], s[6:7], s[36:37]
	s_andn2_b64 s[6:7], s[40:41], exec
	s_and_b64 s[40:41], vcc, exec
	s_or_b64 s[40:41], s[6:7], s[40:41]
	s_andn2_b64 exec, exec, s[36:37]
	s_cbranch_execnz .LBB1329_66
; %bb.67:
	s_or_b64 exec, exec, s[36:37]
	s_xor_b64 s[6:7], s[40:41], -1
.LBB1329_68:
	s_and_b64 s[36:37], s[6:7], exec
.LBB1329_69:
	s_or_b64 exec, exec, s[38:39]
	v_add_u32_e32 v14, 1, v22
	v_cmp_gt_u32_e32 vcc, s3, v14
	s_and_saveexec_b64 s[38:39], vcc
	s_cbranch_execz .LBB1329_75
; %bb.70:
	s_and_b64 vcc, exec, s[4:5]
	s_mov_b64 s[6:7], 0
	s_cbranch_vccnz .LBB1329_74
; %bb.71:
	v_mul_lo_u32 v16, v7, s30
	v_mul_lo_u32 v17, v6, s31
	v_mad_u64_u32 v[14:15], s[6:7], v6, s30, 0
	v_add3_u32 v15, v15, v17, v16
	v_mul_lo_u32 v18, v9, s30
	v_mul_lo_u32 v19, v8, s31
	v_mad_u64_u32 v[16:17], s[6:7], v8, s30, 0
	v_add3_u32 v17, v17, v19, v18
	s_add_u32 s42, s30, -1
	v_lshl_add_u64 v[14:15], v[14:15], 1, s[20:21]
	v_lshl_add_u64 v[16:17], v[16:17], 1, s[20:21]
	s_addc_u32 s43, s31, -1
	s_mov_b64 s[18:19], 0
                                        ; implicit-def: $sgpr40_sgpr41
.LBB1329_72:                            ; =>This Inner Loop Header: Depth=1
	global_load_ushort v18, v[14:15], off
	global_load_ushort v19, v[16:17], off
	s_add_u32 s6, s42, -1
	s_addc_u32 s7, s43, -1
	s_cmp_eq_u64 s[42:43], 0
	s_mov_b64 s[42:43], s[6:7]
	s_cselect_b64 s[44:45], -1, 0
	v_lshl_add_u64 v[14:15], v[14:15], 0, 2
	v_lshl_add_u64 v[16:17], v[16:17], 0, 2
	s_waitcnt vmcnt(0)
	v_cmp_neq_f16_e64 s[6:7], v18, v19
	s_or_b64 s[6:7], s[6:7], s[44:45]
	s_and_b64 s[6:7], exec, s[6:7]
	v_cmp_eq_f16_e32 vcc, v18, v19
	s_or_b64 s[18:19], s[6:7], s[18:19]
	s_andn2_b64 s[6:7], s[40:41], exec
	s_and_b64 s[40:41], vcc, exec
	s_or_b64 s[40:41], s[6:7], s[40:41]
	s_andn2_b64 exec, exec, s[18:19]
	s_cbranch_execnz .LBB1329_72
; %bb.73:
	s_or_b64 exec, exec, s[18:19]
	s_xor_b64 s[6:7], s[40:41], -1
.LBB1329_74:
	s_and_b64 s[18:19], s[6:7], exec
.LBB1329_75:
	s_or_b64 exec, exec, s[38:39]
	v_cmp_ne_u32_e32 vcc, 0, v0
	s_waitcnt lgkmcnt(0)
	v_mov_b64_e32 v[14:15], s[10:11]
	s_barrier
	s_and_saveexec_b64 s[6:7], vcc
; %bb.76:
	v_add_u32_e32 v14, -8, v21
	ds_read_b64 v[14:15], v14
; %bb.77:
	s_or_b64 exec, exec, s[6:7]
	v_cndmask_b32_e64 v17, 0, 1, s[14:15]
	v_cndmask_b32_e64 v16, 0, 1, s[36:37]
	;; [unrolled: 1-line block ×3, first 2 shown]
	v_lshlrev_b16_e32 v17, 8, v17
	v_cmp_gt_u32_e32 vcc, s3, v22
	v_lshlrev_b16_e32 v18, 8, v18
	v_or_b32_sdwa v19, v16, v17 dst_sel:WORD_1 dst_unused:UNUSED_PAD src0_sel:DWORD src1_sel:DWORD
	s_mov_b64 s[6:7], 0
	s_and_saveexec_b64 s[10:11], vcc
	s_cbranch_execz .LBB1329_83
; %bb.78:
	s_and_b64 vcc, exec, s[4:5]
	s_mov_b64 s[4:5], 0
	s_cbranch_vccnz .LBB1329_82
; %bb.79:
	s_waitcnt lgkmcnt(0)
	v_mul_lo_u32 v16, v15, s30
	v_mul_lo_u32 v17, v14, s31
	v_mad_u64_u32 v[14:15], s[4:5], v14, s30, 0
	v_add3_u32 v15, v15, v17, v16
	v_mul_lo_u32 v21, v7, s30
	v_mul_lo_u32 v23, v6, s31
	v_mad_u64_u32 v[16:17], s[4:5], v6, s30, 0
	v_add3_u32 v17, v17, v23, v21
	s_add_u32 s18, s30, -1
	v_lshl_add_u64 v[14:15], v[14:15], 1, s[20:21]
	v_lshl_add_u64 v[16:17], v[16:17], 1, s[20:21]
	s_addc_u32 s19, s31, -1
                                        ; implicit-def: $sgpr14_sgpr15
.LBB1329_80:                            ; =>This Inner Loop Header: Depth=1
	global_load_ushort v21, v[14:15], off
	global_load_ushort v23, v[16:17], off
	s_add_u32 s4, s18, -1
	s_addc_u32 s5, s19, -1
	s_cmp_eq_u64 s[18:19], 0
	s_mov_b64 s[18:19], s[4:5]
	s_cselect_b64 s[36:37], -1, 0
	v_lshl_add_u64 v[14:15], v[14:15], 0, 2
	v_lshl_add_u64 v[16:17], v[16:17], 0, 2
	s_waitcnt vmcnt(0)
	v_cmp_neq_f16_e64 s[4:5], v21, v23
	s_or_b64 s[4:5], s[4:5], s[36:37]
	s_and_b64 s[4:5], exec, s[4:5]
	v_cmp_eq_f16_e32 vcc, v21, v23
	s_or_b64 s[6:7], s[4:5], s[6:7]
	s_andn2_b64 s[4:5], s[14:15], exec
	s_and_b64 s[14:15], vcc, exec
	s_or_b64 s[14:15], s[4:5], s[14:15]
	s_andn2_b64 exec, exec, s[6:7]
	s_cbranch_execnz .LBB1329_80
; %bb.81:
	s_or_b64 exec, exec, s[6:7]
	s_xor_b64 s[4:5], s[14:15], -1
.LBB1329_82:
	s_and_b64 s[6:7], s[4:5], exec
.LBB1329_83:
	s_or_b64 exec, exec, s[10:11]
	v_cndmask_b32_e64 v32, 0, 1, s[12:13]
	s_waitcnt lgkmcnt(0)
	v_or_b32_e32 v15, v18, v19
.LBB1329_84:
	s_waitcnt lgkmcnt(0)
	s_mov_b64 s[10:11], -1
	s_cbranch_execnz .LBB1329_41
.LBB1329_85:
	v_lshlrev_b32_e32 v14, 5, v0
	v_sub_u32_e32 v23, v20, v14
	s_mov_b64 s[6:7], 0
	v_cmp_gt_i64_e64 s[12:13], s[30:31], 0
	s_and_b64 vcc, exec, s[34:35]
	ds_write_b64 v23, v[12:13]
	s_cbranch_vccz .LBB1329_96
; %bb.86:
	v_cndmask_b32_e64 v14, 0, 1, s[12:13]
	v_cmp_ne_u32_e64 s[4:5], 1, v14
	s_andn2_b64 vcc, exec, s[12:13]
	s_cbranch_vccnz .LBB1329_97
; %bb.87:
	v_mul_lo_u32 v16, v5, s30
	v_mul_lo_u32 v17, v4, s31
	v_mad_u64_u32 v[14:15], s[6:7], v4, s30, 0
	v_add3_u32 v15, v15, v17, v16
	v_mul_lo_u32 v18, v13, s30
	v_mul_lo_u32 v19, v12, s31
	v_mad_u64_u32 v[16:17], s[6:7], v12, s30, 0
	s_add_u32 s18, s30, -1
	v_lshl_add_u64 v[14:15], v[14:15], 1, s[20:21]
	v_add3_u32 v17, v17, v19, v18
	s_addc_u32 s19, s31, -1
	v_lshl_add_u64 v[16:17], v[16:17], 1, s[20:21]
	s_mov_b64 s[36:37], 0
	s_mov_b64 s[38:39], s[18:19]
	v_mov_b64_e32 v[18:19], v[14:15]
                                        ; implicit-def: $sgpr14_sgpr15
.LBB1329_88:                            ; =>This Inner Loop Header: Depth=1
	global_load_ushort v20, v[18:19], off
	global_load_ushort v21, v[16:17], off
	s_add_u32 s6, s38, -1
	s_addc_u32 s7, s39, -1
	s_cmp_eq_u64 s[38:39], 0
	s_mov_b64 s[38:39], s[6:7]
	s_cselect_b64 s[40:41], -1, 0
	v_lshl_add_u64 v[18:19], v[18:19], 0, 2
	v_lshl_add_u64 v[16:17], v[16:17], 0, 2
	s_waitcnt vmcnt(0)
	v_cmp_neq_f16_e64 s[6:7], v20, v21
	s_or_b64 s[6:7], s[6:7], s[40:41]
	s_and_b64 s[6:7], exec, s[6:7]
	v_cmp_eq_f16_e32 vcc, v20, v21
	s_or_b64 s[36:37], s[6:7], s[36:37]
	s_andn2_b64 s[6:7], s[14:15], exec
	s_and_b64 s[14:15], vcc, exec
	s_or_b64 s[14:15], s[6:7], s[14:15]
	s_andn2_b64 exec, exec, s[36:37]
	s_cbranch_execnz .LBB1329_88
; %bb.89:
	s_or_b64 exec, exec, s[36:37]
	v_mul_lo_u32 v18, v3, s30
	v_mul_lo_u32 v19, v2, s31
	v_mad_u64_u32 v[16:17], s[6:7], v2, s30, 0
	v_add3_u32 v17, v17, v19, v18
	v_lshl_add_u64 v[16:17], v[16:17], 1, s[20:21]
	s_mov_b64 s[38:39], 0
	s_mov_b64 s[40:41], s[18:19]
	v_mov_b64_e32 v[18:19], v[16:17]
                                        ; implicit-def: $sgpr36_sgpr37
.LBB1329_90:                            ; =>This Inner Loop Header: Depth=1
	global_load_ushort v20, v[18:19], off
	global_load_ushort v21, v[14:15], off
	s_add_u32 s6, s40, -1
	s_addc_u32 s7, s41, -1
	s_cmp_eq_u64 s[40:41], 0
	s_mov_b64 s[40:41], s[6:7]
	s_cselect_b64 s[42:43], -1, 0
	v_lshl_add_u64 v[18:19], v[18:19], 0, 2
	v_lshl_add_u64 v[14:15], v[14:15], 0, 2
	s_waitcnt vmcnt(0)
	v_cmp_neq_f16_e64 s[6:7], v20, v21
	s_or_b64 s[6:7], s[6:7], s[42:43]
	s_and_b64 s[6:7], exec, s[6:7]
	v_cmp_eq_f16_e32 vcc, v20, v21
	s_or_b64 s[38:39], s[6:7], s[38:39]
	s_andn2_b64 s[6:7], s[36:37], exec
	s_and_b64 s[36:37], vcc, exec
	s_or_b64 s[36:37], s[6:7], s[36:37]
	s_andn2_b64 exec, exec, s[38:39]
	s_cbranch_execnz .LBB1329_90
; %bb.91:
	s_or_b64 exec, exec, s[38:39]
	v_mul_lo_u32 v18, v9, s30
	v_mul_lo_u32 v19, v8, s31
	v_mad_u64_u32 v[14:15], s[6:7], v8, s30, 0
	v_add3_u32 v15, v15, v19, v18
	v_lshl_add_u64 v[14:15], v[14:15], 1, s[20:21]
	s_mov_b64 s[40:41], 0
	s_mov_b64 s[42:43], s[18:19]
	v_mov_b64_e32 v[18:19], v[14:15]
                                        ; implicit-def: $sgpr38_sgpr39
.LBB1329_92:                            ; =>This Inner Loop Header: Depth=1
	global_load_ushort v20, v[18:19], off
	global_load_ushort v21, v[16:17], off
	s_add_u32 s6, s42, -1
	s_addc_u32 s7, s43, -1
	s_cmp_eq_u64 s[42:43], 0
	s_mov_b64 s[42:43], s[6:7]
	s_cselect_b64 s[44:45], -1, 0
	v_lshl_add_u64 v[18:19], v[18:19], 0, 2
	v_lshl_add_u64 v[16:17], v[16:17], 0, 2
	s_waitcnt vmcnt(0)
	v_cmp_neq_f16_e64 s[6:7], v20, v21
	s_or_b64 s[6:7], s[6:7], s[44:45]
	s_and_b64 s[6:7], exec, s[6:7]
	v_cmp_eq_f16_e32 vcc, v20, v21
	s_or_b64 s[40:41], s[6:7], s[40:41]
	s_andn2_b64 s[6:7], s[38:39], exec
	s_and_b64 s[38:39], vcc, exec
	s_or_b64 s[38:39], s[6:7], s[38:39]
	s_andn2_b64 exec, exec, s[40:41]
	s_cbranch_execnz .LBB1329_92
; %bb.93:
	s_or_b64 exec, exec, s[40:41]
	v_mul_lo_u32 v18, v7, s30
	v_mul_lo_u32 v19, v6, s31
	v_mad_u64_u32 v[16:17], s[6:7], v6, s30, 0
	v_add3_u32 v17, v17, v19, v18
	v_lshl_add_u64 v[16:17], v[16:17], 1, s[20:21]
	s_mov_b64 s[42:43], 0
                                        ; implicit-def: $sgpr40_sgpr41
.LBB1329_94:                            ; =>This Inner Loop Header: Depth=1
	global_load_ushort v18, v[16:17], off
	global_load_ushort v19, v[14:15], off
	s_add_u32 s6, s18, -1
	s_addc_u32 s7, s19, -1
	s_cmp_eq_u64 s[18:19], 0
	s_mov_b64 s[18:19], s[6:7]
	s_cselect_b64 s[44:45], -1, 0
	v_lshl_add_u64 v[16:17], v[16:17], 0, 2
	v_lshl_add_u64 v[14:15], v[14:15], 0, 2
	s_waitcnt vmcnt(0)
	v_cmp_neq_f16_e64 s[6:7], v18, v19
	s_or_b64 s[6:7], s[6:7], s[44:45]
	s_and_b64 s[6:7], exec, s[6:7]
	v_cmp_eq_f16_e32 vcc, v18, v19
	s_or_b64 s[42:43], s[6:7], s[42:43]
	s_andn2_b64 s[6:7], s[40:41], exec
	s_and_b64 s[40:41], vcc, exec
	s_or_b64 s[40:41], s[6:7], s[40:41]
	s_andn2_b64 exec, exec, s[42:43]
	s_cbranch_execnz .LBB1329_94
; %bb.95:
	s_or_b64 exec, exec, s[42:43]
	s_xor_b64 s[6:7], s[14:15], -1
	v_cndmask_b32_e64 v32, 0, 1, s[6:7]
	s_xor_b64 s[6:7], s[36:37], -1
	v_cndmask_b32_e64 v14, 0, 1, s[6:7]
	v_lshlrev_b16_e32 v14, 8, v14
	v_mov_b32_e32 v15, 8
	s_xor_b64 s[14:15], s[38:39], -1
	v_lshrrev_b32_sdwa v14, v15, v14 dst_sel:BYTE_1 dst_unused:UNUSED_PAD src0_sel:DWORD src1_sel:DWORD
	v_cndmask_b32_e64 v15, 0, 1, s[14:15]
	s_xor_b64 s[6:7], s[40:41], -1
	v_or_b32_sdwa v14, v15, v14 dst_sel:WORD_1 dst_unused:UNUSED_PAD src0_sel:DWORD src1_sel:DWORD
	s_branch .LBB1329_98
.LBB1329_96:
                                        ; implicit-def: $sgpr6_sgpr7
                                        ; implicit-def: $vgpr32
                                        ; implicit-def: $vgpr15
                                        ; implicit-def: $vgpr16
                                        ; implicit-def: $vgpr34
                                        ; implicit-def: $vgpr33
                                        ; implicit-def: $vgpr14
	s_cbranch_execnz .LBB1329_105
	s_branch .LBB1329_138
.LBB1329_97:
	v_mov_b32_e32 v14, 0
	v_mov_b32_e32 v32, 0
.LBB1329_98:
	v_lshrrev_b32_e32 v33, 16, v14
	v_lshrrev_b32_e32 v14, 24, v14
	v_cndmask_b32_e64 v34, 0, 1, s[6:7]
	v_mov_b32_e32 v16, 1
	v_cmp_ne_u32_e32 vcc, 0, v0
	s_waitcnt lgkmcnt(0)
	s_barrier
                                        ; implicit-def: $sgpr6_sgpr7
                                        ; implicit-def: $vgpr15
	s_and_saveexec_b64 s[14:15], vcc
	s_xor_b64 s[14:15], exec, s[14:15]
	s_cbranch_execz .LBB1329_104
; %bb.99:
	v_lshlrev_b16_e32 v15, 8, v14
	s_movk_i32 s6, 0xff
	v_bitop3_b16 v15, v33, v15, s6 bitop3:0xec
	v_lshlrev_b16_e32 v17, 8, v34
	v_lshlrev_b32_e32 v15, 16, v15
	v_or_b32_e32 v17, 1, v17
	v_or_b32_sdwa v15, v17, v15 dst_sel:DWORD dst_unused:UNUSED_PAD src0_sel:WORD_0 src1_sel:DWORD
	s_mov_b32 s33, 0x3020104
	s_and_b64 vcc, exec, s[4:5]
	s_mov_b64 s[6:7], 0
	s_cbranch_vccnz .LBB1329_103
; %bb.100:
	v_add_u32_e32 v17, -8, v23
	ds_read_b64 v[18:19], v17
	v_mul_lo_u32 v17, v7, s30
	v_mul_lo_u32 v24, v6, s31
	s_add_u32 s36, s30, -1
	s_addc_u32 s37, s31, -1
	s_waitcnt lgkmcnt(0)
	v_mul_lo_u32 v20, v19, s30
	v_mul_lo_u32 v21, v18, s31
	v_mad_u64_u32 v[18:19], s[4:5], v18, s30, 0
	v_add3_u32 v19, v19, v21, v20
	v_mad_u64_u32 v[20:21], s[4:5], v6, s30, 0
	v_add3_u32 v21, v21, v24, v17
	v_lshl_add_u64 v[18:19], v[18:19], 1, s[20:21]
	v_lshl_add_u64 v[20:21], v[20:21], 1, s[20:21]
                                        ; implicit-def: $sgpr18_sgpr19
.LBB1329_101:                           ; =>This Inner Loop Header: Depth=1
	global_load_ushort v17, v[18:19], off
	global_load_ushort v24, v[20:21], off
	s_add_u32 s4, s36, -1
	s_addc_u32 s5, s37, -1
	s_cmp_eq_u64 s[36:37], 0
	s_mov_b64 s[36:37], s[4:5]
	s_cselect_b64 s[38:39], -1, 0
	v_lshl_add_u64 v[18:19], v[18:19], 0, 2
	v_lshl_add_u64 v[20:21], v[20:21], 0, 2
	s_waitcnt vmcnt(0)
	v_cmp_neq_f16_e64 s[4:5], v17, v24
	s_or_b64 s[4:5], s[4:5], s[38:39]
	s_and_b64 s[4:5], exec, s[4:5]
	v_cmp_eq_f16_e32 vcc, v17, v24
	s_or_b64 s[6:7], s[4:5], s[6:7]
	s_andn2_b64 s[4:5], s[18:19], exec
	s_and_b64 s[18:19], vcc, exec
	s_or_b64 s[18:19], s[4:5], s[18:19]
	s_andn2_b64 exec, exec, s[6:7]
	s_cbranch_execnz .LBB1329_101
; %bb.102:
	s_or_b64 exec, exec, s[6:7]
	s_xor_b64 s[6:7], s[18:19], -1
.LBB1329_103:
	v_perm_b32 v15, v15, v15, s33
	s_or_b64 s[10:11], s[10:11], exec
.LBB1329_104:
	s_or_b64 exec, exec, s[14:15]
	s_branch .LBB1329_138
.LBB1329_105:
	v_add_u32_e32 v14, 4, v22
	v_cmp_gt_u32_e32 vcc, s3, v14
	s_mov_b64 s[6:7], 0
	s_mov_b64 s[14:15], 0
	s_and_saveexec_b64 s[18:19], vcc
	s_cbranch_execz .LBB1329_111
; %bb.106:
	s_andn2_b64 vcc, exec, s[12:13]
	s_mov_b64 s[4:5], 0
	s_cbranch_vccnz .LBB1329_110
; %bb.107:
	v_mul_lo_u32 v16, v5, s30
	v_mul_lo_u32 v17, v4, s31
	v_mad_u64_u32 v[14:15], s[4:5], v4, s30, 0
	v_add3_u32 v15, v15, v17, v16
	v_mul_lo_u32 v18, v13, s30
	v_mul_lo_u32 v19, v12, s31
	v_mad_u64_u32 v[16:17], s[4:5], v12, s30, 0
	v_add3_u32 v17, v17, v19, v18
	s_add_u32 s38, s30, -1
	v_lshl_add_u64 v[14:15], v[14:15], 1, s[20:21]
	v_lshl_add_u64 v[16:17], v[16:17], 1, s[20:21]
	s_addc_u32 s39, s31, -1
                                        ; implicit-def: $sgpr36_sgpr37
.LBB1329_108:                           ; =>This Inner Loop Header: Depth=1
	global_load_ushort v18, v[14:15], off
	global_load_ushort v19, v[16:17], off
	s_add_u32 s4, s38, -1
	s_addc_u32 s5, s39, -1
	s_cmp_eq_u64 s[38:39], 0
	s_mov_b64 s[38:39], s[4:5]
	s_cselect_b64 s[40:41], -1, 0
	v_lshl_add_u64 v[14:15], v[14:15], 0, 2
	v_lshl_add_u64 v[16:17], v[16:17], 0, 2
	s_waitcnt vmcnt(0)
	v_cmp_neq_f16_e64 s[4:5], v18, v19
	s_or_b64 s[4:5], s[4:5], s[40:41]
	s_and_b64 s[4:5], exec, s[4:5]
	v_cmp_eq_f16_e32 vcc, v18, v19
	s_or_b64 s[14:15], s[4:5], s[14:15]
	s_andn2_b64 s[4:5], s[36:37], exec
	s_and_b64 s[36:37], vcc, exec
	s_or_b64 s[36:37], s[4:5], s[36:37]
	s_andn2_b64 exec, exec, s[14:15]
	s_cbranch_execnz .LBB1329_108
; %bb.109:
	s_or_b64 exec, exec, s[14:15]
	s_xor_b64 s[4:5], s[36:37], -1
.LBB1329_110:
	s_and_b64 s[14:15], s[4:5], exec
.LBB1329_111:
	s_or_b64 exec, exec, s[18:19]
	v_add_u32_e32 v14, 3, v22
	v_cmp_gt_u32_e32 vcc, s3, v14
	s_and_saveexec_b64 s[18:19], vcc
	s_cbranch_execz .LBB1329_117
; %bb.112:
	s_andn2_b64 vcc, exec, s[12:13]
	s_mov_b64 s[4:5], 0
	s_cbranch_vccnz .LBB1329_116
; %bb.113:
	v_mul_lo_u32 v16, v3, s30
	v_mul_lo_u32 v17, v2, s31
	v_mad_u64_u32 v[14:15], s[4:5], v2, s30, 0
	v_add3_u32 v15, v15, v17, v16
	v_mul_lo_u32 v18, v5, s30
	v_mul_lo_u32 v19, v4, s31
	v_mad_u64_u32 v[16:17], s[4:5], v4, s30, 0
	v_add3_u32 v17, v17, v19, v18
	s_add_u32 s38, s30, -1
	v_lshl_add_u64 v[14:15], v[14:15], 1, s[20:21]
	v_lshl_add_u64 v[16:17], v[16:17], 1, s[20:21]
	s_addc_u32 s39, s31, -1
	s_mov_b64 s[6:7], 0
                                        ; implicit-def: $sgpr36_sgpr37
.LBB1329_114:                           ; =>This Inner Loop Header: Depth=1
	global_load_ushort v18, v[14:15], off
	global_load_ushort v19, v[16:17], off
	s_add_u32 s4, s38, -1
	s_addc_u32 s5, s39, -1
	s_cmp_eq_u64 s[38:39], 0
	s_mov_b64 s[38:39], s[4:5]
	s_cselect_b64 s[40:41], -1, 0
	v_lshl_add_u64 v[14:15], v[14:15], 0, 2
	v_lshl_add_u64 v[16:17], v[16:17], 0, 2
	s_waitcnt vmcnt(0)
	v_cmp_neq_f16_e64 s[4:5], v18, v19
	s_or_b64 s[4:5], s[4:5], s[40:41]
	s_and_b64 s[4:5], exec, s[4:5]
	v_cmp_eq_f16_e32 vcc, v18, v19
	s_or_b64 s[6:7], s[4:5], s[6:7]
	s_andn2_b64 s[4:5], s[36:37], exec
	s_and_b64 s[36:37], vcc, exec
	s_or_b64 s[36:37], s[4:5], s[36:37]
	s_andn2_b64 exec, exec, s[6:7]
	s_cbranch_execnz .LBB1329_114
; %bb.115:
	s_or_b64 exec, exec, s[6:7]
	s_xor_b64 s[4:5], s[36:37], -1
.LBB1329_116:
	s_and_b64 s[6:7], s[4:5], exec
.LBB1329_117:
	s_or_b64 exec, exec, s[18:19]
	v_add_u32_e32 v14, 2, v22
	v_cmp_gt_u32_e32 vcc, s3, v14
	s_mov_b64 s[18:19], 0
	s_mov_b64 s[36:37], 0
	s_and_saveexec_b64 s[38:39], vcc
	s_cbranch_execz .LBB1329_123
; %bb.118:
	s_andn2_b64 vcc, exec, s[12:13]
	s_mov_b64 s[4:5], 0
	s_cbranch_vccnz .LBB1329_122
; %bb.119:
	v_mul_lo_u32 v16, v9, s30
	v_mul_lo_u32 v17, v8, s31
	v_mad_u64_u32 v[14:15], s[4:5], v8, s30, 0
	v_add3_u32 v15, v15, v17, v16
	v_mul_lo_u32 v18, v3, s30
	v_mul_lo_u32 v19, v2, s31
	v_mad_u64_u32 v[16:17], s[4:5], v2, s30, 0
	v_add3_u32 v17, v17, v19, v18
	s_add_u32 s42, s30, -1
	v_lshl_add_u64 v[14:15], v[14:15], 1, s[20:21]
	v_lshl_add_u64 v[16:17], v[16:17], 1, s[20:21]
	s_addc_u32 s43, s31, -1
                                        ; implicit-def: $sgpr40_sgpr41
.LBB1329_120:                           ; =>This Inner Loop Header: Depth=1
	global_load_ushort v18, v[14:15], off
	global_load_ushort v19, v[16:17], off
	s_add_u32 s4, s42, -1
	s_addc_u32 s5, s43, -1
	s_cmp_eq_u64 s[42:43], 0
	s_mov_b64 s[42:43], s[4:5]
	s_cselect_b64 s[44:45], -1, 0
	v_lshl_add_u64 v[14:15], v[14:15], 0, 2
	v_lshl_add_u64 v[16:17], v[16:17], 0, 2
	s_waitcnt vmcnt(0)
	v_cmp_neq_f16_e64 s[4:5], v18, v19
	s_or_b64 s[4:5], s[4:5], s[44:45]
	s_and_b64 s[4:5], exec, s[4:5]
	v_cmp_eq_f16_e32 vcc, v18, v19
	s_or_b64 s[36:37], s[4:5], s[36:37]
	s_andn2_b64 s[4:5], s[40:41], exec
	s_and_b64 s[40:41], vcc, exec
	s_or_b64 s[40:41], s[4:5], s[40:41]
	s_andn2_b64 exec, exec, s[36:37]
	s_cbranch_execnz .LBB1329_120
; %bb.121:
	s_or_b64 exec, exec, s[36:37]
	s_xor_b64 s[4:5], s[40:41], -1
.LBB1329_122:
	s_and_b64 s[36:37], s[4:5], exec
.LBB1329_123:
	s_or_b64 exec, exec, s[38:39]
	v_add_u32_e32 v14, 1, v22
	v_cmp_gt_u32_e32 vcc, s3, v14
	s_and_saveexec_b64 s[38:39], vcc
	s_cbranch_execz .LBB1329_129
; %bb.124:
	s_andn2_b64 vcc, exec, s[12:13]
	s_mov_b64 s[4:5], 0
	s_cbranch_vccnz .LBB1329_128
; %bb.125:
	v_mul_lo_u32 v16, v7, s30
	v_mul_lo_u32 v17, v6, s31
	v_mad_u64_u32 v[14:15], s[4:5], v6, s30, 0
	v_add3_u32 v15, v15, v17, v16
	v_mul_lo_u32 v18, v9, s30
	v_mul_lo_u32 v19, v8, s31
	v_mad_u64_u32 v[16:17], s[4:5], v8, s30, 0
	v_add3_u32 v17, v17, v19, v18
	s_add_u32 s42, s30, -1
	v_lshl_add_u64 v[14:15], v[14:15], 1, s[20:21]
	v_lshl_add_u64 v[16:17], v[16:17], 1, s[20:21]
	s_addc_u32 s43, s31, -1
	s_mov_b64 s[18:19], 0
                                        ; implicit-def: $sgpr40_sgpr41
.LBB1329_126:                           ; =>This Inner Loop Header: Depth=1
	global_load_ushort v18, v[14:15], off
	global_load_ushort v19, v[16:17], off
	s_add_u32 s4, s42, -1
	s_addc_u32 s5, s43, -1
	s_cmp_eq_u64 s[42:43], 0
	s_mov_b64 s[42:43], s[4:5]
	s_cselect_b64 s[44:45], -1, 0
	v_lshl_add_u64 v[14:15], v[14:15], 0, 2
	v_lshl_add_u64 v[16:17], v[16:17], 0, 2
	s_waitcnt vmcnt(0)
	v_cmp_neq_f16_e64 s[4:5], v18, v19
	s_or_b64 s[4:5], s[4:5], s[44:45]
	s_and_b64 s[4:5], exec, s[4:5]
	v_cmp_eq_f16_e32 vcc, v18, v19
	s_or_b64 s[18:19], s[4:5], s[18:19]
	s_andn2_b64 s[4:5], s[40:41], exec
	s_and_b64 s[40:41], vcc, exec
	s_or_b64 s[40:41], s[4:5], s[40:41]
	s_andn2_b64 exec, exec, s[18:19]
	s_cbranch_execnz .LBB1329_126
; %bb.127:
	s_or_b64 exec, exec, s[18:19]
	s_xor_b64 s[4:5], s[40:41], -1
.LBB1329_128:
	s_and_b64 s[18:19], s[4:5], exec
.LBB1329_129:
	s_or_b64 exec, exec, s[38:39]
	v_cndmask_b32_e64 v32, 0, 1, s[14:15]
	v_cndmask_b32_e64 v33, 0, 1, s[36:37]
	v_cndmask_b32_e64 v14, 0, 1, s[6:7]
	v_cndmask_b32_e64 v34, 0, 1, s[18:19]
	v_mov_b32_e32 v16, 1
	v_cmp_ne_u32_e32 vcc, 0, v0
	s_waitcnt lgkmcnt(0)
	s_barrier
                                        ; implicit-def: $sgpr6_sgpr7
                                        ; implicit-def: $vgpr15
	s_and_saveexec_b64 s[14:15], vcc
	s_cbranch_execz .LBB1329_137
; %bb.130:
	v_lshlrev_b16_e32 v15, 8, v34
	v_lshlrev_b16_e32 v17, 8, v14
	v_or_b32_e32 v15, 1, v15
	v_or_b32_sdwa v17, v33, v17 dst_sel:WORD_1 dst_unused:UNUSED_PAD src0_sel:DWORD src1_sel:DWORD
	v_cmp_gt_u32_e32 vcc, s3, v22
	v_or_b32_sdwa v15, v15, v17 dst_sel:DWORD dst_unused:UNUSED_PAD src0_sel:WORD_0 src1_sel:DWORD
	s_mov_b32 s33, 0x3020104
	s_mov_b64 s[6:7], 0
	s_and_saveexec_b64 s[18:19], vcc
	s_cbranch_execz .LBB1329_136
; %bb.131:
	s_andn2_b64 vcc, exec, s[12:13]
	s_mov_b64 s[4:5], 0
	s_cbranch_vccnz .LBB1329_135
; %bb.132:
	v_add_u32_e32 v17, -8, v23
	ds_read_b64 v[18:19], v17
	v_mul_lo_u32 v17, v7, s30
	v_mul_lo_u32 v23, v6, s31
                                        ; implicit-def: $sgpr12_sgpr13
	s_waitcnt lgkmcnt(0)
	v_mul_lo_u32 v20, v19, s30
	v_mul_lo_u32 v21, v18, s31
	v_mad_u64_u32 v[18:19], s[4:5], v18, s30, 0
	v_add3_u32 v19, v19, v21, v20
	v_mad_u64_u32 v[20:21], s[4:5], v6, s30, 0
	v_add3_u32 v21, v21, v23, v17
	v_lshl_add_u64 v[18:19], v[18:19], 1, s[20:21]
	v_lshl_add_u64 v[20:21], v[20:21], 1, s[20:21]
	s_add_u32 s20, s30, -1
	s_addc_u32 s21, s31, -1
.LBB1329_133:                           ; =>This Inner Loop Header: Depth=1
	global_load_ushort v17, v[18:19], off
	global_load_ushort v23, v[20:21], off
	s_add_u32 s4, s20, -1
	s_addc_u32 s5, s21, -1
	s_cmp_eq_u64 s[20:21], 0
	s_mov_b64 s[20:21], s[4:5]
	s_cselect_b64 s[30:31], -1, 0
	v_lshl_add_u64 v[18:19], v[18:19], 0, 2
	v_lshl_add_u64 v[20:21], v[20:21], 0, 2
	s_waitcnt vmcnt(0)
	v_cmp_neq_f16_e64 s[4:5], v17, v23
	s_or_b64 s[4:5], s[4:5], s[30:31]
	s_and_b64 s[4:5], exec, s[4:5]
	v_cmp_eq_f16_e32 vcc, v17, v23
	s_or_b64 s[6:7], s[4:5], s[6:7]
	s_andn2_b64 s[4:5], s[12:13], exec
	s_and_b64 s[12:13], vcc, exec
	s_or_b64 s[12:13], s[4:5], s[12:13]
	s_andn2_b64 exec, exec, s[6:7]
	s_cbranch_execnz .LBB1329_133
; %bb.134:
	s_or_b64 exec, exec, s[6:7]
	s_xor_b64 s[4:5], s[12:13], -1
.LBB1329_135:
	s_and_b64 s[6:7], s[4:5], exec
.LBB1329_136:
	s_or_b64 exec, exec, s[18:19]
	v_perm_b32 v15, v15, v15, s33
	s_or_b64 s[10:11], s[10:11], exec
.LBB1329_137:
	s_or_b64 exec, exec, s[14:15]
.LBB1329_138:
	s_and_saveexec_b64 s[4:5], s[10:11]
; %bb.139:
	v_lshrrev_b32_e32 v14, 24, v15
	v_lshrrev_b32_e32 v33, 16, v15
	;; [unrolled: 1-line block ×3, first 2 shown]
	v_cndmask_b32_e64 v16, 0, 1, s[6:7]
; %bb.140:
	s_or_b64 exec, exec, s[4:5]
	s_andn2_b64 vcc, exec, s[8:9]
	s_cbranch_vccnz .LBB1329_144
; %bb.141:
	s_mov_b32 s4, 0xc0c0004
	v_perm_b32 v14, v33, v14, s4
	v_perm_b32 v15, v16, v34, s4
	v_lshlrev_b32_e32 v14, 16, v14
	v_or_b32_e32 v15, v15, v14
	v_cmp_gt_u32_e32 vcc, s3, v22
	v_add_u32_e32 v16, 1, v22
	s_mov_b32 s4, 0x40c0100
	v_cndmask_b32_e32 v14, v14, v15, vcc
	v_and_b32_e32 v14, 0xffff00ff, v14
	v_cmp_gt_u32_e32 vcc, s3, v16
	v_add_u32_e32 v16, 2, v22
	v_and_b32_e32 v32, 0xff, v32
	v_cndmask_b32_e32 v14, v14, v15, vcc
	v_lshrrev_b32_e32 v18, 24, v14
	v_perm_b32 v14, v18, v14, s4
	v_cmp_gt_u32_e32 vcc, s3, v16
	v_add_u32_e32 v16, 3, v22
	v_and_b32_e32 v17, 0xffff, v32
	v_cndmask_b32_e32 v14, v14, v15, vcc
	v_and_b32_e32 v14, 0xffffff, v14
	v_cmp_gt_u32_e32 vcc, s3, v16
	s_nop 1
	v_cndmask_b32_e32 v16, v14, v15, vcc
	v_lshrrev_b64 v[14:15], 24, v[16:17]
	v_add_u32_e32 v15, 4, v22
	v_lshrrev_b32_e32 v33, 16, v16
	v_lshrrev_b32_e32 v34, 8, v16
	v_cmp_le_u32_e32 vcc, s3, v15
	s_and_saveexec_b64 s[4:5], vcc
; %bb.142:
	v_mov_b32_e32 v32, 0
; %bb.143:
	s_or_b64 exec, exec, s[4:5]
.LBB1329_144:
	v_and_b32_e32 v15, 0xff, v16
	v_and_b32_e32 v17, 0xff, v34
	;; [unrolled: 1-line block ×5, first 2 shown]
	v_add3_u32 v19, v17, v15, v29
	v_add3_u32 v37, v19, v31, v18
	v_mbcnt_lo_u32_b32 v18, -1, 0
	v_mbcnt_hi_u32_b32 v35, -1, v18
	v_and_b32_e32 v18, 15, v35
	v_cmp_eq_u32_e64 s[14:15], 0, v18
	v_cmp_lt_u32_e64 s[12:13], 1, v18
	v_cmp_lt_u32_e64 s[10:11], 3, v18
	;; [unrolled: 1-line block ×3, first 2 shown]
	v_and_b32_e32 v18, 16, v35
	v_cmp_eq_u32_e64 s[6:7], 0, v18
	v_or_b32_e32 v18, 63, v0
	v_cmp_lt_u32_e64 s[18:19], 31, v35
	v_lshrrev_b32_e32 v36, 6, v0
	v_cmp_eq_u32_e64 s[4:5], v0, v18
	s_and_b64 vcc, exec, s[16:17]
	s_waitcnt lgkmcnt(0)
	s_barrier
	s_cbranch_vccz .LBB1329_166
; %bb.145:
	v_mov_b32_dpp v18, v37 row_shr:1 row_mask:0xf bank_mask:0xf
	v_cndmask_b32_e64 v18, v18, 0, s[14:15]
	v_add_u32_e32 v18, v18, v37
	s_nop 1
	v_mov_b32_dpp v19, v18 row_shr:2 row_mask:0xf bank_mask:0xf
	v_cndmask_b32_e64 v19, 0, v19, s[12:13]
	v_add_u32_e32 v18, v18, v19
	s_nop 1
	;; [unrolled: 4-line block ×4, first 2 shown]
	v_mov_b32_dpp v19, v18 row_bcast:15 row_mask:0xf bank_mask:0xf
	v_cndmask_b32_e64 v19, v19, 0, s[6:7]
	v_add_u32_e32 v18, v18, v19
	s_nop 1
	v_mov_b32_dpp v19, v18 row_bcast:31 row_mask:0xf bank_mask:0xf
	v_cndmask_b32_e64 v19, 0, v19, s[18:19]
	v_add_u32_e32 v18, v18, v19
	s_and_saveexec_b64 s[16:17], s[4:5]
; %bb.146:
	v_lshlrev_b32_e32 v19, 2, v36
	ds_write_b32 v19, v18
; %bb.147:
	s_or_b64 exec, exec, s[16:17]
	v_cmp_gt_u32_e32 vcc, 2, v0
	s_waitcnt lgkmcnt(0)
	s_barrier
	s_and_saveexec_b64 s[16:17], vcc
	s_cbranch_execz .LBB1329_149
; %bb.148:
	v_lshlrev_b32_e32 v19, 2, v0
	ds_read_b32 v20, v19
	v_bfe_i32 v21, v35, 0, 1
	s_waitcnt lgkmcnt(0)
	v_mov_b32_dpp v22, v20 row_shr:1 row_mask:0xf bank_mask:0xf
	v_and_b32_e32 v21, v21, v22
	v_add_u32_e32 v20, v21, v20
	ds_write_b32 v19, v20
.LBB1329_149:
	s_or_b64 exec, exec, s[16:17]
	v_cmp_gt_u32_e32 vcc, 64, v0
	v_cmp_lt_u32_e64 s[16:17], 63, v0
	s_waitcnt lgkmcnt(0)
	s_barrier
                                        ; implicit-def: $vgpr28
	s_and_saveexec_b64 s[20:21], s[16:17]
	s_cbranch_execz .LBB1329_151
; %bb.150:
	v_lshl_add_u32 v19, v36, 2, -4
	ds_read_b32 v28, v19
	s_waitcnt lgkmcnt(0)
	v_add_u32_e32 v18, v28, v18
.LBB1329_151:
	s_or_b64 exec, exec, s[20:21]
	v_subrev_co_u32_e64 v19, s[16:17], 1, v35
	v_and_b32_e32 v20, 64, v35
	v_cmp_lt_i32_e64 s[20:21], v19, v20
	s_nop 1
	v_cndmask_b32_e64 v19, v19, v35, s[20:21]
	v_lshlrev_b32_e32 v19, 2, v19
	ds_bpermute_b32 v30, v19, v18
	s_and_saveexec_b64 s[20:21], vcc
	s_cbranch_execz .LBB1329_171
; %bb.152:
	v_mov_b32_e32 v25, 0
	ds_read_b32 v18, v25 offset:4
	s_and_saveexec_b64 s[30:31], s[16:17]
	s_cbranch_execz .LBB1329_154
; %bb.153:
	s_add_i32 s36, s2, 64
	s_mov_b32 s37, 0
	s_lshl_b64 s[36:37], s[36:37], 3
	s_add_u32 s36, s22, s36
	v_mov_b32_e32 v19, 1
	s_addc_u32 s37, s23, s37
	s_waitcnt lgkmcnt(0)
	global_store_dwordx2 v25, v[18:19], s[36:37] sc1
.LBB1329_154:
	s_or_b64 exec, exec, s[30:31]
	v_xad_u32 v20, v35, -1, s2
	v_add_u32_e32 v24, 64, v20
	v_lshl_add_u64 v[26:27], v[24:25], 3, s[22:23]
	global_load_dwordx2 v[22:23], v[26:27], off sc1
	s_waitcnt vmcnt(0)
	v_cmp_eq_u16_sdwa s[36:37], v23, v25 src0_sel:BYTE_0 src1_sel:DWORD
	s_and_saveexec_b64 s[30:31], s[36:37]
	s_cbranch_execz .LBB1329_158
; %bb.155:
	s_mov_b64 s[36:37], 0
	v_mov_b32_e32 v19, 0
.LBB1329_156:                           ; =>This Inner Loop Header: Depth=1
	global_load_dwordx2 v[22:23], v[26:27], off sc1
	s_waitcnt vmcnt(0)
	v_cmp_ne_u16_sdwa s[38:39], v23, v19 src0_sel:BYTE_0 src1_sel:DWORD
	s_or_b64 s[36:37], s[38:39], s[36:37]
	s_andn2_b64 exec, exec, s[36:37]
	s_cbranch_execnz .LBB1329_156
; %bb.157:
	s_or_b64 exec, exec, s[36:37]
.LBB1329_158:
	s_or_b64 exec, exec, s[30:31]
	v_and_b32_e32 v39, 63, v35
	v_mov_b32_e32 v38, 2
	v_cmp_ne_u32_e32 vcc, 63, v39
	v_cmp_eq_u16_sdwa s[30:31], v23, v38 src0_sel:BYTE_0 src1_sel:DWORD
	v_lshlrev_b64 v[24:25], v35, -1
	v_addc_co_u32_e32 v26, vcc, 0, v35, vcc
	v_and_b32_e32 v19, s31, v25
	v_lshlrev_b32_e32 v40, 2, v26
	v_or_b32_e32 v19, 0x80000000, v19
	ds_bpermute_b32 v26, v40, v22
	v_and_b32_e32 v21, s30, v24
	v_ffbl_b32_e32 v19, v19
	v_add_u32_e32 v19, 32, v19
	v_ffbl_b32_e32 v21, v21
	v_min_u32_e32 v19, v21, v19
	v_cmp_lt_u32_e32 vcc, v39, v19
	v_add_u32_e32 v42, 2, v39
	v_add_u32_e32 v44, 4, v39
	s_waitcnt lgkmcnt(0)
	v_cndmask_b32_e32 v21, 0, v26, vcc
	v_cmp_gt_u32_e32 vcc, 62, v39
	v_add_u32_e32 v21, v21, v22
	v_add_u32_e32 v46, 8, v39
	v_cndmask_b32_e64 v22, 0, 2, vcc
	v_add_lshl_u32 v41, v22, v35, 2
	ds_bpermute_b32 v22, v41, v21
	v_cmp_le_u32_e32 vcc, v42, v19
	v_add_u32_e32 v48, 16, v39
	v_add_u32_e32 v50, 32, v39
	s_waitcnt lgkmcnt(0)
	v_cndmask_b32_e32 v22, 0, v22, vcc
	v_cmp_gt_u32_e32 vcc, 60, v39
	v_add_u32_e32 v21, v21, v22
	s_nop 0
	v_cndmask_b32_e64 v22, 0, 4, vcc
	v_add_lshl_u32 v43, v22, v35, 2
	ds_bpermute_b32 v22, v43, v21
	v_cmp_le_u32_e32 vcc, v44, v19
	s_waitcnt lgkmcnt(0)
	s_nop 0
	v_cndmask_b32_e32 v22, 0, v22, vcc
	v_cmp_gt_u32_e32 vcc, 56, v39
	v_add_u32_e32 v21, v21, v22
	s_nop 0
	v_cndmask_b32_e64 v22, 0, 8, vcc
	v_add_lshl_u32 v45, v22, v35, 2
	ds_bpermute_b32 v22, v45, v21
	v_cmp_le_u32_e32 vcc, v46, v19
	s_waitcnt lgkmcnt(0)
	s_nop 0
	;; [unrolled: 10-line block ×3, first 2 shown]
	v_cndmask_b32_e32 v22, 0, v22, vcc
	v_add_u32_e32 v21, v21, v22
	v_mov_b32_e32 v22, 0x80
	v_lshl_or_b32 v49, v35, 2, v22
	ds_bpermute_b32 v22, v49, v21
	v_cmp_le_u32_e32 vcc, v50, v19
	s_waitcnt lgkmcnt(0)
	s_nop 0
	v_cndmask_b32_e32 v19, 0, v22, vcc
	v_add_u32_e32 v22, v21, v19
	v_mov_b32_e32 v21, 0
	s_branch .LBB1329_161
.LBB1329_159:                           ;   in Loop: Header=BB1329_161 Depth=1
	s_or_b64 exec, exec, s[30:31]
	v_cmp_eq_u16_sdwa s[30:31], v23, v38 src0_sel:BYTE_0 src1_sel:DWORD
	ds_bpermute_b32 v51, v40, v22
	v_subrev_u32_e32 v20, 64, v20
	v_and_b32_e32 v26, s31, v25
	v_or_b32_e32 v26, 0x80000000, v26
	v_and_b32_e32 v27, s30, v24
	v_ffbl_b32_e32 v26, v26
	v_add_u32_e32 v26, 32, v26
	v_ffbl_b32_e32 v27, v27
	v_min_u32_e32 v26, v27, v26
	v_cmp_lt_u32_e32 vcc, v39, v26
	s_mov_b64 s[30:31], 0
	s_waitcnt lgkmcnt(0)
	v_cndmask_b32_e32 v27, 0, v51, vcc
	v_add_u32_e32 v22, v27, v22
	ds_bpermute_b32 v27, v41, v22
	v_cmp_le_u32_e32 vcc, v42, v26
	s_waitcnt lgkmcnt(0)
	s_nop 0
	v_cndmask_b32_e32 v27, 0, v27, vcc
	v_add_u32_e32 v22, v22, v27
	ds_bpermute_b32 v27, v43, v22
	v_cmp_le_u32_e32 vcc, v44, v26
	s_waitcnt lgkmcnt(0)
	s_nop 0
	;; [unrolled: 6-line block ×5, first 2 shown]
	v_cndmask_b32_e32 v26, 0, v27, vcc
	v_add3_u32 v22, v26, v19, v22
.LBB1329_160:                           ;   in Loop: Header=BB1329_161 Depth=1
	s_and_b64 vcc, exec, s[30:31]
	s_cbranch_vccnz .LBB1329_167
.LBB1329_161:                           ; =>This Loop Header: Depth=1
                                        ;     Child Loop BB1329_164 Depth 2
	v_cmp_ne_u16_sdwa s[30:31], v23, v38 src0_sel:BYTE_0 src1_sel:DWORD
	v_mov_b32_e32 v19, v22
	s_cmp_lg_u64 s[30:31], exec
	s_mov_b64 s[30:31], -1
                                        ; implicit-def: $vgpr22
                                        ; implicit-def: $vgpr23
	s_cbranch_scc1 .LBB1329_160
; %bb.162:                              ;   in Loop: Header=BB1329_161 Depth=1
	v_lshl_add_u64 v[26:27], v[20:21], 3, s[22:23]
	global_load_dwordx2 v[22:23], v[26:27], off sc1
	s_waitcnt vmcnt(0)
	v_cmp_eq_u16_sdwa s[36:37], v23, v21 src0_sel:BYTE_0 src1_sel:DWORD
	s_and_saveexec_b64 s[30:31], s[36:37]
	s_cbranch_execz .LBB1329_159
; %bb.163:                              ;   in Loop: Header=BB1329_161 Depth=1
	s_mov_b64 s[36:37], 0
.LBB1329_164:                           ;   Parent Loop BB1329_161 Depth=1
                                        ; =>  This Inner Loop Header: Depth=2
	global_load_dwordx2 v[22:23], v[26:27], off sc1
	s_waitcnt vmcnt(0)
	v_cmp_ne_u16_sdwa s[38:39], v23, v21 src0_sel:BYTE_0 src1_sel:DWORD
	s_or_b64 s[36:37], s[38:39], s[36:37]
	s_andn2_b64 exec, exec, s[36:37]
	s_cbranch_execnz .LBB1329_164
; %bb.165:                              ;   in Loop: Header=BB1329_161 Depth=1
	s_or_b64 exec, exec, s[36:37]
	s_branch .LBB1329_159
.LBB1329_166:
                                        ; implicit-def: $vgpr22
                                        ; implicit-def: $vgpr24
                                        ; implicit-def: $vgpr26
                                        ; implicit-def: $vgpr28
                                        ; implicit-def: $vgpr30
                                        ; implicit-def: $vgpr20
                                        ; implicit-def: $vgpr18
	s_cbranch_execnz .LBB1329_172
	s_branch .LBB1329_181
.LBB1329_167:
	s_and_saveexec_b64 s[30:31], s[16:17]
	s_cbranch_execz .LBB1329_169
; %bb.168:
	s_add_i32 s2, s2, 64
	s_mov_b32 s3, 0
	s_lshl_b64 s[2:3], s[2:3], 3
	s_add_u32 s2, s22, s2
	v_add_u32_e32 v20, v19, v18
	v_mov_b32_e32 v21, 2
	s_addc_u32 s3, s23, s3
	v_mov_b32_e32 v22, 0
	global_store_dwordx2 v22, v[20:21], s[2:3] sc1
	ds_write_b64 v22, v[18:19] offset:5120
.LBB1329_169:
	s_or_b64 exec, exec, s[30:31]
	v_cmp_eq_u32_e32 vcc, 0, v0
	s_and_b64 exec, exec, vcc
; %bb.170:
	v_mov_b32_e32 v18, 0
	ds_write_b32 v18, v19 offset:4
.LBB1329_171:
	s_or_b64 exec, exec, s[20:21]
	v_mov_b32_e32 v18, 0
	s_waitcnt lgkmcnt(0)
	s_barrier
	ds_read_b32 v19, v18 offset:4
	v_cndmask_b32_e64 v20, v30, v28, s[16:17]
	v_cmp_ne_u32_e32 vcc, 0, v0
	s_waitcnt lgkmcnt(0)
	s_barrier
	v_cndmask_b32_e32 v20, 0, v20, vcc
	v_add_u32_e32 v30, v19, v20
	ds_read_b64 v[18:19], v18 offset:5120
	v_add_u32_e32 v28, v30, v15
	v_add_u32_e32 v26, v28, v17
	;; [unrolled: 1-line block ×4, first 2 shown]
	s_waitcnt lgkmcnt(0)
	v_mov_b32_e32 v20, v19
	s_branch .LBB1329_181
.LBB1329_172:
	v_mov_b32_dpp v18, v37 row_shr:1 row_mask:0xf bank_mask:0xf
	v_cndmask_b32_e64 v18, v18, 0, s[14:15]
	v_add_u32_e32 v18, v18, v37
	s_nop 1
	v_mov_b32_dpp v19, v18 row_shr:2 row_mask:0xf bank_mask:0xf
	v_cndmask_b32_e64 v19, 0, v19, s[12:13]
	v_add_u32_e32 v18, v18, v19
	s_nop 1
	;; [unrolled: 4-line block ×4, first 2 shown]
	v_mov_b32_dpp v19, v18 row_bcast:15 row_mask:0xf bank_mask:0xf
	v_cndmask_b32_e64 v19, v19, 0, s[6:7]
	v_add_u32_e32 v18, v18, v19
	s_nop 1
	v_mov_b32_dpp v19, v18 row_bcast:31 row_mask:0xf bank_mask:0xf
	v_cndmask_b32_e64 v19, 0, v19, s[18:19]
	v_add_u32_e32 v18, v18, v19
	s_and_saveexec_b64 s[2:3], s[4:5]
; %bb.173:
	v_lshlrev_b32_e32 v19, 2, v36
	ds_write_b32 v19, v18
; %bb.174:
	s_or_b64 exec, exec, s[2:3]
	v_cmp_gt_u32_e32 vcc, 2, v0
	s_waitcnt lgkmcnt(0)
	s_barrier
	s_and_saveexec_b64 s[2:3], vcc
	s_cbranch_execz .LBB1329_176
; %bb.175:
	v_lshlrev_b32_e32 v19, 2, v0
	ds_read_b32 v20, v19
	v_bfe_i32 v21, v35, 0, 1
	s_waitcnt lgkmcnt(0)
	v_mov_b32_dpp v22, v20 row_shr:1 row_mask:0xf bank_mask:0xf
	v_and_b32_e32 v21, v21, v22
	v_add_u32_e32 v20, v21, v20
	ds_write_b32 v19, v20
.LBB1329_176:
	s_or_b64 exec, exec, s[2:3]
	v_cmp_lt_u32_e32 vcc, 63, v0
	v_mov_b32_e32 v19, 0
	v_mov_b32_e32 v20, 0
	s_waitcnt lgkmcnt(0)
	s_barrier
	s_and_saveexec_b64 s[2:3], vcc
; %bb.177:
	v_lshl_add_u32 v20, v36, 2, -4
	ds_read_b32 v20, v20
; %bb.178:
	s_or_b64 exec, exec, s[2:3]
	v_subrev_co_u32_e32 v21, vcc, 1, v35
	v_and_b32_e32 v22, 64, v35
	v_cmp_lt_i32_e64 s[2:3], v21, v22
	s_waitcnt lgkmcnt(0)
	v_add_u32_e32 v18, v20, v18
	v_cndmask_b32_e64 v21, v21, v35, s[2:3]
	v_lshlrev_b32_e32 v21, 2, v21
	ds_bpermute_b32 v21, v21, v18
	ds_read_b32 v18, v19 offset:4
	v_cmp_eq_u32_e64 s[2:3], 0, v0
	s_and_saveexec_b64 s[4:5], s[2:3]
	s_cbranch_execz .LBB1329_180
; %bb.179:
	v_mov_b32_e32 v22, 0
	v_mov_b32_e32 v19, 2
	s_waitcnt lgkmcnt(0)
	global_store_dwordx2 v22, v[18:19], s[22:23] offset:512 sc1
.LBB1329_180:
	s_or_b64 exec, exec, s[4:5]
	s_waitcnt lgkmcnt(1)
	v_cndmask_b32_e32 v19, v21, v20, vcc
	v_cndmask_b32_e64 v30, v19, 0, s[2:3]
	v_add_u32_e32 v28, v30, v15
	v_add_u32_e32 v26, v28, v17
	;; [unrolled: 1-line block ×4, first 2 shown]
	s_waitcnt lgkmcnt(0)
	s_barrier
	v_mov_b32_e32 v20, 0
.LBB1329_181:
	s_load_dwordx4 s[8:11], s[0:1], 0x28
	s_movk_i32 s0, 0x81
	v_cmp_gt_u32_e64 s[0:1], s0, v18
	v_add_u32_e32 v17, v20, v18
	v_and_b32_e32 v15, 1, v16
	s_mov_b64 s[6:7], -1
	s_and_b64 vcc, exec, s[0:1]
	v_cmp_lt_u32_e64 s[2:3], v30, v17
	v_cmp_eq_u32_e64 s[4:5], 1, v15
	s_cbranch_vccz .LBB1329_193
; %bb.182:
	s_or_b64 s[2:3], s[34:35], s[2:3]
	s_and_b64 s[4:5], s[2:3], s[4:5]
	s_and_saveexec_b64 s[2:3], s[4:5]
	s_cbranch_execz .LBB1329_184
; %bb.183:
	s_lshl_b64 s[4:5], s[26:27], 3
	s_waitcnt lgkmcnt(0)
	s_add_u32 s4, s8, s4
	s_addc_u32 s5, s9, s5
	v_mov_b32_e32 v31, 0
	v_lshl_add_u64 v[36:37], v[30:31], 3, s[4:5]
	global_store_dwordx2 v[36:37], v[6:7], off
.LBB1329_184:
	s_or_b64 exec, exec, s[2:3]
	v_cmp_lt_u32_e32 vcc, v28, v17
	v_and_b32_e32 v16, 1, v34
	s_or_b64 s[2:3], s[34:35], vcc
	v_cmp_eq_u32_e32 vcc, 1, v16
	s_and_b64 s[4:5], s[2:3], vcc
	s_and_saveexec_b64 s[2:3], s[4:5]
	s_cbranch_execz .LBB1329_186
; %bb.185:
	s_lshl_b64 s[4:5], s[26:27], 3
	s_waitcnt lgkmcnt(0)
	s_add_u32 s4, s8, s4
	s_addc_u32 s5, s9, s5
	v_mov_b32_e32 v29, 0
	v_lshl_add_u64 v[36:37], v[28:29], 3, s[4:5]
	global_store_dwordx2 v[36:37], v[8:9], off
.LBB1329_186:
	s_or_b64 exec, exec, s[2:3]
	v_cmp_lt_u32_e32 vcc, v26, v17
	v_and_b32_e32 v16, 1, v33
	s_or_b64 s[2:3], s[34:35], vcc
	v_cmp_eq_u32_e32 vcc, 1, v16
	s_and_b64 s[4:5], s[2:3], vcc
	;; [unrolled: 17-line block ×4, first 2 shown]
	s_and_saveexec_b64 s[2:3], s[4:5]
	s_cbranch_execz .LBB1329_192
; %bb.191:
	s_lshl_b64 s[4:5], s[26:27], 3
	s_waitcnt lgkmcnt(0)
	s_add_u32 s4, s8, s4
	s_addc_u32 s5, s9, s5
	v_mov_b32_e32 v23, 0
	v_lshl_add_u64 v[36:37], v[22:23], 3, s[4:5]
	global_store_dwordx2 v[36:37], v[12:13], off
.LBB1329_192:
	s_or_b64 exec, exec, s[2:3]
	s_mov_b64 s[6:7], 0
.LBB1329_193:
	s_and_b64 vcc, exec, s[6:7]
	s_cbranch_vccz .LBB1329_207
; %bb.194:
	v_cmp_eq_u32_e32 vcc, 1, v15
	s_and_saveexec_b64 s[2:3], vcc
; %bb.195:
	v_sub_u32_e32 v16, v30, v20
	v_lshlrev_b32_e32 v16, 3, v16
	ds_write_b64 v16, v[6:7]
; %bb.196:
	s_or_b64 exec, exec, s[2:3]
	v_and_b32_e32 v6, 1, v34
	v_cmp_eq_u32_e32 vcc, 1, v6
	s_and_saveexec_b64 s[2:3], vcc
; %bb.197:
	v_sub_u32_e32 v6, v28, v20
	v_lshlrev_b32_e32 v6, 3, v6
	ds_write_b64 v6, v[8:9]
; %bb.198:
	s_or_b64 exec, exec, s[2:3]
	v_and_b32_e32 v6, 1, v33
	v_cmp_eq_u32_e32 vcc, 1, v6
	s_and_saveexec_b64 s[2:3], vcc
; %bb.199:
	v_sub_u32_e32 v6, v26, v20
	v_lshlrev_b32_e32 v6, 3, v6
	ds_write_b64 v6, v[2:3]
; %bb.200:
	s_or_b64 exec, exec, s[2:3]
	v_and_b32_e32 v2, 1, v14
	v_cmp_eq_u32_e32 vcc, 1, v2
	s_and_saveexec_b64 s[2:3], vcc
; %bb.201:
	v_sub_u32_e32 v2, v24, v20
	v_lshlrev_b32_e32 v2, 3, v2
	ds_write_b64 v2, v[4:5]
; %bb.202:
	s_or_b64 exec, exec, s[2:3]
	v_and_b32_e32 v2, 1, v32
	v_cmp_eq_u32_e32 vcc, 1, v2
	s_and_saveexec_b64 s[2:3], vcc
; %bb.203:
	v_sub_u32_e32 v2, v22, v20
	v_lshlrev_b32_e32 v2, 3, v2
	ds_write_b64 v2, v[12:13]
; %bb.204:
	s_or_b64 exec, exec, s[2:3]
	v_mov_b32_e32 v3, 0
	v_mov_b32_e32 v21, v3
	v_lshlrev_b64 v[4:5], 3, v[20:21]
	s_waitcnt lgkmcnt(0)
	v_lshl_add_u64 v[4:5], s[8:9], 0, v[4:5]
	s_lshl_b64 s[2:3], s[26:27], 3
	v_lshl_add_u64 v[4:5], v[4:5], 0, s[2:3]
	v_lshlrev_b32_e32 v6, 3, v0
	s_mov_b64 s[2:3], 0
	v_mov_b32_e32 v2, v0
	s_barrier
.LBB1329_205:                           ; =>This Inner Loop Header: Depth=1
	ds_read_b64 v[8:9], v6
	v_lshl_add_u64 v[12:13], v[2:3], 3, v[4:5]
	v_add_u32_e32 v2, 0x80, v2
	v_cmp_ge_u32_e32 vcc, v2, v18
	v_add_u32_e32 v6, 0x400, v6
	s_or_b64 s[2:3], vcc, s[2:3]
	s_waitcnt lgkmcnt(0)
	global_store_dwordx2 v[12:13], v[8:9], off
	s_andn2_b64 exec, exec, s[2:3]
	s_cbranch_execnz .LBB1329_205
; %bb.206:
	s_or_b64 exec, exec, s[2:3]
.LBB1329_207:
	s_mov_b64 s[2:3], -1
	s_and_b64 vcc, exec, s[0:1]
	s_waitcnt lgkmcnt(0)
	s_barrier
	s_cbranch_vccnz .LBB1329_211
; %bb.208:
	s_and_b64 vcc, exec, s[2:3]
	s_cbranch_vccnz .LBB1329_222
.LBB1329_209:
	v_cmp_eq_u32_e32 vcc, 0, v0
	s_and_b64 s[0:1], vcc, s[28:29]
	s_and_saveexec_b64 s[2:3], s[0:1]
	s_cbranch_execnz .LBB1329_235
.LBB1329_210:
	s_endpgm
.LBB1329_211:
	v_cmp_lt_u32_e32 vcc, v30, v17
	s_or_b64 s[0:1], s[34:35], vcc
	v_cmp_eq_u32_e32 vcc, 1, v15
	s_and_b64 s[2:3], s[0:1], vcc
	s_and_saveexec_b64 s[0:1], s[2:3]
	s_cbranch_execz .LBB1329_213
; %bb.212:
	s_lshl_b64 s[2:3], s[26:27], 3
	s_add_u32 s2, s10, s2
	s_addc_u32 s3, s11, s3
	v_mov_b32_e32 v31, 0
	v_lshl_add_u64 v[2:3], v[30:31], 3, s[2:3]
	global_store_dwordx2 v[2:3], v[56:57], off
.LBB1329_213:
	s_or_b64 exec, exec, s[0:1]
	v_cmp_lt_u32_e32 vcc, v28, v17
	v_and_b32_e32 v2, 1, v34
	s_or_b64 s[0:1], s[34:35], vcc
	v_cmp_eq_u32_e32 vcc, 1, v2
	s_and_b64 s[2:3], s[0:1], vcc
	s_and_saveexec_b64 s[0:1], s[2:3]
	s_cbranch_execz .LBB1329_215
; %bb.214:
	s_lshl_b64 s[2:3], s[26:27], 3
	s_add_u32 s2, s10, s2
	s_addc_u32 s3, s11, s3
	v_mov_b32_e32 v29, 0
	v_lshl_add_u64 v[2:3], v[28:29], 3, s[2:3]
	global_store_dwordx2 v[2:3], v[58:59], off
.LBB1329_215:
	s_or_b64 exec, exec, s[0:1]
	v_cmp_lt_u32_e32 vcc, v26, v17
	v_and_b32_e32 v2, 1, v33
	;; [unrolled: 16-line block ×4, first 2 shown]
	s_or_b64 s[0:1], s[34:35], vcc
	v_cmp_eq_u32_e32 vcc, 1, v2
	s_and_b64 s[2:3], s[0:1], vcc
	s_and_saveexec_b64 s[0:1], s[2:3]
	s_cbranch_execz .LBB1329_221
; %bb.220:
	s_lshl_b64 s[2:3], s[26:27], 3
	s_add_u32 s2, s10, s2
	s_addc_u32 s3, s11, s3
	v_mov_b32_e32 v23, 0
	v_lshl_add_u64 v[2:3], v[22:23], 3, s[2:3]
	global_store_dwordx2 v[2:3], v[10:11], off
.LBB1329_221:
	s_or_b64 exec, exec, s[0:1]
	s_branch .LBB1329_209
.LBB1329_222:
	v_cmp_eq_u32_e32 vcc, 1, v15
	s_and_saveexec_b64 s[0:1], vcc
; %bb.223:
	v_sub_u32_e32 v2, v30, v20
	v_lshlrev_b32_e32 v2, 3, v2
	ds_write_b64 v2, v[56:57]
; %bb.224:
	s_or_b64 exec, exec, s[0:1]
	v_and_b32_e32 v2, 1, v34
	v_cmp_eq_u32_e32 vcc, 1, v2
	s_and_saveexec_b64 s[0:1], vcc
; %bb.225:
	v_sub_u32_e32 v2, v28, v20
	v_lshlrev_b32_e32 v2, 3, v2
	ds_write_b64 v2, v[58:59]
; %bb.226:
	s_or_b64 exec, exec, s[0:1]
	v_and_b32_e32 v2, 1, v33
	;; [unrolled: 9-line block ×4, first 2 shown]
	v_cmp_eq_u32_e32 vcc, 1, v2
	s_and_saveexec_b64 s[0:1], vcc
; %bb.231:
	v_sub_u32_e32 v2, v22, v20
	v_lshlrev_b32_e32 v2, 3, v2
	ds_write_b64 v2, v[10:11]
; %bb.232:
	s_or_b64 exec, exec, s[0:1]
	v_mov_b32_e32 v3, 0
	v_mov_b32_e32 v21, v3
	v_lshlrev_b64 v[4:5], 3, v[20:21]
	v_lshl_add_u64 v[4:5], s[10:11], 0, v[4:5]
	s_lshl_b64 s[0:1], s[26:27], 3
	v_lshl_add_u64 v[4:5], v[4:5], 0, s[0:1]
	s_mov_b64 s[0:1], 0
	v_mov_b32_e32 v2, v0
	s_waitcnt lgkmcnt(0)
	s_barrier
.LBB1329_233:                           ; =>This Inner Loop Header: Depth=1
	ds_read_b64 v[6:7], v1
	v_lshl_add_u64 v[8:9], v[2:3], 3, v[4:5]
	v_add_u32_e32 v2, 0x80, v2
	v_cmp_ge_u32_e32 vcc, v2, v18
	v_add_u32_e32 v1, 0x400, v1
	s_or_b64 s[0:1], vcc, s[0:1]
	s_waitcnt lgkmcnt(0)
	global_store_dwordx2 v[8:9], v[6:7], off
	s_andn2_b64 exec, exec, s[0:1]
	s_cbranch_execnz .LBB1329_233
; %bb.234:
	s_or_b64 exec, exec, s[0:1]
	v_cmp_eq_u32_e32 vcc, 0, v0
	s_and_b64 s[0:1], vcc, s[28:29]
	s_and_saveexec_b64 s[2:3], s[0:1]
	s_cbranch_execz .LBB1329_210
.LBB1329_235:
	v_mov_b32_e32 v19, 0
	v_lshl_add_u64 v[0:1], s[26:27], 0, v[18:19]
	v_mov_b32_e32 v21, v19
	v_lshl_add_u64 v[0:1], v[0:1], 0, v[20:21]
	global_store_dwordx2 v19, v[0:1], s[24:25]
	s_endpgm
	.section	.rodata,"a",@progbits
	.p2align	6, 0x0
	.amdhsa_kernel _ZN7rocprim17ROCPRIM_400000_NS6detail17trampoline_kernelINS0_14default_configENS1_25partition_config_selectorILNS1_17partition_subalgoE9EllbEEZZNS1_14partition_implILS5_9ELb0ES3_jPlS8_PNS0_10empty_typeENS0_5tupleIJS8_S9_EEENSB_IJS8_SA_EEENS0_18inequality_wrapperIZN2at6native12_GLOBAL__N_124unique_dim_cuda_templateIN3c104HalfEEESt5tupleIJNSF_6TensorESM_SM_EERKSM_lbbbEUlllE0_EEPmJS9_EEE10hipError_tPvRmT3_T4_T5_T6_T7_T9_mT8_P12ihipStream_tbDpT10_ENKUlT_T0_E_clISt17integral_constantIbLb0EES1C_EEDaS17_S18_EUlS17_E_NS1_11comp_targetILNS1_3genE0ELNS1_11target_archE4294967295ELNS1_3gpuE0ELNS1_3repE0EEENS1_30default_config_static_selectorELNS0_4arch9wavefront6targetE1EEEvT1_
		.amdhsa_group_segment_fixed_size 5128
		.amdhsa_private_segment_fixed_size 0
		.amdhsa_kernarg_size 120
		.amdhsa_user_sgpr_count 2
		.amdhsa_user_sgpr_dispatch_ptr 0
		.amdhsa_user_sgpr_queue_ptr 0
		.amdhsa_user_sgpr_kernarg_segment_ptr 1
		.amdhsa_user_sgpr_dispatch_id 0
		.amdhsa_user_sgpr_kernarg_preload_length 0
		.amdhsa_user_sgpr_kernarg_preload_offset 0
		.amdhsa_user_sgpr_private_segment_size 0
		.amdhsa_uses_dynamic_stack 0
		.amdhsa_enable_private_segment 0
		.amdhsa_system_sgpr_workgroup_id_x 1
		.amdhsa_system_sgpr_workgroup_id_y 0
		.amdhsa_system_sgpr_workgroup_id_z 0
		.amdhsa_system_sgpr_workgroup_info 0
		.amdhsa_system_vgpr_workitem_id 0
		.amdhsa_next_free_vgpr 60
		.amdhsa_next_free_sgpr 46
		.amdhsa_accum_offset 60
		.amdhsa_reserve_vcc 1
		.amdhsa_float_round_mode_32 0
		.amdhsa_float_round_mode_16_64 0
		.amdhsa_float_denorm_mode_32 3
		.amdhsa_float_denorm_mode_16_64 3
		.amdhsa_dx10_clamp 1
		.amdhsa_ieee_mode 1
		.amdhsa_fp16_overflow 0
		.amdhsa_tg_split 0
		.amdhsa_exception_fp_ieee_invalid_op 0
		.amdhsa_exception_fp_denorm_src 0
		.amdhsa_exception_fp_ieee_div_zero 0
		.amdhsa_exception_fp_ieee_overflow 0
		.amdhsa_exception_fp_ieee_underflow 0
		.amdhsa_exception_fp_ieee_inexact 0
		.amdhsa_exception_int_div_zero 0
	.end_amdhsa_kernel
	.section	.text._ZN7rocprim17ROCPRIM_400000_NS6detail17trampoline_kernelINS0_14default_configENS1_25partition_config_selectorILNS1_17partition_subalgoE9EllbEEZZNS1_14partition_implILS5_9ELb0ES3_jPlS8_PNS0_10empty_typeENS0_5tupleIJS8_S9_EEENSB_IJS8_SA_EEENS0_18inequality_wrapperIZN2at6native12_GLOBAL__N_124unique_dim_cuda_templateIN3c104HalfEEESt5tupleIJNSF_6TensorESM_SM_EERKSM_lbbbEUlllE0_EEPmJS9_EEE10hipError_tPvRmT3_T4_T5_T6_T7_T9_mT8_P12ihipStream_tbDpT10_ENKUlT_T0_E_clISt17integral_constantIbLb0EES1C_EEDaS17_S18_EUlS17_E_NS1_11comp_targetILNS1_3genE0ELNS1_11target_archE4294967295ELNS1_3gpuE0ELNS1_3repE0EEENS1_30default_config_static_selectorELNS0_4arch9wavefront6targetE1EEEvT1_,"axG",@progbits,_ZN7rocprim17ROCPRIM_400000_NS6detail17trampoline_kernelINS0_14default_configENS1_25partition_config_selectorILNS1_17partition_subalgoE9EllbEEZZNS1_14partition_implILS5_9ELb0ES3_jPlS8_PNS0_10empty_typeENS0_5tupleIJS8_S9_EEENSB_IJS8_SA_EEENS0_18inequality_wrapperIZN2at6native12_GLOBAL__N_124unique_dim_cuda_templateIN3c104HalfEEESt5tupleIJNSF_6TensorESM_SM_EERKSM_lbbbEUlllE0_EEPmJS9_EEE10hipError_tPvRmT3_T4_T5_T6_T7_T9_mT8_P12ihipStream_tbDpT10_ENKUlT_T0_E_clISt17integral_constantIbLb0EES1C_EEDaS17_S18_EUlS17_E_NS1_11comp_targetILNS1_3genE0ELNS1_11target_archE4294967295ELNS1_3gpuE0ELNS1_3repE0EEENS1_30default_config_static_selectorELNS0_4arch9wavefront6targetE1EEEvT1_,comdat
.Lfunc_end1329:
	.size	_ZN7rocprim17ROCPRIM_400000_NS6detail17trampoline_kernelINS0_14default_configENS1_25partition_config_selectorILNS1_17partition_subalgoE9EllbEEZZNS1_14partition_implILS5_9ELb0ES3_jPlS8_PNS0_10empty_typeENS0_5tupleIJS8_S9_EEENSB_IJS8_SA_EEENS0_18inequality_wrapperIZN2at6native12_GLOBAL__N_124unique_dim_cuda_templateIN3c104HalfEEESt5tupleIJNSF_6TensorESM_SM_EERKSM_lbbbEUlllE0_EEPmJS9_EEE10hipError_tPvRmT3_T4_T5_T6_T7_T9_mT8_P12ihipStream_tbDpT10_ENKUlT_T0_E_clISt17integral_constantIbLb0EES1C_EEDaS17_S18_EUlS17_E_NS1_11comp_targetILNS1_3genE0ELNS1_11target_archE4294967295ELNS1_3gpuE0ELNS1_3repE0EEENS1_30default_config_static_selectorELNS0_4arch9wavefront6targetE1EEEvT1_, .Lfunc_end1329-_ZN7rocprim17ROCPRIM_400000_NS6detail17trampoline_kernelINS0_14default_configENS1_25partition_config_selectorILNS1_17partition_subalgoE9EllbEEZZNS1_14partition_implILS5_9ELb0ES3_jPlS8_PNS0_10empty_typeENS0_5tupleIJS8_S9_EEENSB_IJS8_SA_EEENS0_18inequality_wrapperIZN2at6native12_GLOBAL__N_124unique_dim_cuda_templateIN3c104HalfEEESt5tupleIJNSF_6TensorESM_SM_EERKSM_lbbbEUlllE0_EEPmJS9_EEE10hipError_tPvRmT3_T4_T5_T6_T7_T9_mT8_P12ihipStream_tbDpT10_ENKUlT_T0_E_clISt17integral_constantIbLb0EES1C_EEDaS17_S18_EUlS17_E_NS1_11comp_targetILNS1_3genE0ELNS1_11target_archE4294967295ELNS1_3gpuE0ELNS1_3repE0EEENS1_30default_config_static_selectorELNS0_4arch9wavefront6targetE1EEEvT1_
                                        ; -- End function
	.set _ZN7rocprim17ROCPRIM_400000_NS6detail17trampoline_kernelINS0_14default_configENS1_25partition_config_selectorILNS1_17partition_subalgoE9EllbEEZZNS1_14partition_implILS5_9ELb0ES3_jPlS8_PNS0_10empty_typeENS0_5tupleIJS8_S9_EEENSB_IJS8_SA_EEENS0_18inequality_wrapperIZN2at6native12_GLOBAL__N_124unique_dim_cuda_templateIN3c104HalfEEESt5tupleIJNSF_6TensorESM_SM_EERKSM_lbbbEUlllE0_EEPmJS9_EEE10hipError_tPvRmT3_T4_T5_T6_T7_T9_mT8_P12ihipStream_tbDpT10_ENKUlT_T0_E_clISt17integral_constantIbLb0EES1C_EEDaS17_S18_EUlS17_E_NS1_11comp_targetILNS1_3genE0ELNS1_11target_archE4294967295ELNS1_3gpuE0ELNS1_3repE0EEENS1_30default_config_static_selectorELNS0_4arch9wavefront6targetE1EEEvT1_.num_vgpr, 60
	.set _ZN7rocprim17ROCPRIM_400000_NS6detail17trampoline_kernelINS0_14default_configENS1_25partition_config_selectorILNS1_17partition_subalgoE9EllbEEZZNS1_14partition_implILS5_9ELb0ES3_jPlS8_PNS0_10empty_typeENS0_5tupleIJS8_S9_EEENSB_IJS8_SA_EEENS0_18inequality_wrapperIZN2at6native12_GLOBAL__N_124unique_dim_cuda_templateIN3c104HalfEEESt5tupleIJNSF_6TensorESM_SM_EERKSM_lbbbEUlllE0_EEPmJS9_EEE10hipError_tPvRmT3_T4_T5_T6_T7_T9_mT8_P12ihipStream_tbDpT10_ENKUlT_T0_E_clISt17integral_constantIbLb0EES1C_EEDaS17_S18_EUlS17_E_NS1_11comp_targetILNS1_3genE0ELNS1_11target_archE4294967295ELNS1_3gpuE0ELNS1_3repE0EEENS1_30default_config_static_selectorELNS0_4arch9wavefront6targetE1EEEvT1_.num_agpr, 0
	.set _ZN7rocprim17ROCPRIM_400000_NS6detail17trampoline_kernelINS0_14default_configENS1_25partition_config_selectorILNS1_17partition_subalgoE9EllbEEZZNS1_14partition_implILS5_9ELb0ES3_jPlS8_PNS0_10empty_typeENS0_5tupleIJS8_S9_EEENSB_IJS8_SA_EEENS0_18inequality_wrapperIZN2at6native12_GLOBAL__N_124unique_dim_cuda_templateIN3c104HalfEEESt5tupleIJNSF_6TensorESM_SM_EERKSM_lbbbEUlllE0_EEPmJS9_EEE10hipError_tPvRmT3_T4_T5_T6_T7_T9_mT8_P12ihipStream_tbDpT10_ENKUlT_T0_E_clISt17integral_constantIbLb0EES1C_EEDaS17_S18_EUlS17_E_NS1_11comp_targetILNS1_3genE0ELNS1_11target_archE4294967295ELNS1_3gpuE0ELNS1_3repE0EEENS1_30default_config_static_selectorELNS0_4arch9wavefront6targetE1EEEvT1_.numbered_sgpr, 46
	.set _ZN7rocprim17ROCPRIM_400000_NS6detail17trampoline_kernelINS0_14default_configENS1_25partition_config_selectorILNS1_17partition_subalgoE9EllbEEZZNS1_14partition_implILS5_9ELb0ES3_jPlS8_PNS0_10empty_typeENS0_5tupleIJS8_S9_EEENSB_IJS8_SA_EEENS0_18inequality_wrapperIZN2at6native12_GLOBAL__N_124unique_dim_cuda_templateIN3c104HalfEEESt5tupleIJNSF_6TensorESM_SM_EERKSM_lbbbEUlllE0_EEPmJS9_EEE10hipError_tPvRmT3_T4_T5_T6_T7_T9_mT8_P12ihipStream_tbDpT10_ENKUlT_T0_E_clISt17integral_constantIbLb0EES1C_EEDaS17_S18_EUlS17_E_NS1_11comp_targetILNS1_3genE0ELNS1_11target_archE4294967295ELNS1_3gpuE0ELNS1_3repE0EEENS1_30default_config_static_selectorELNS0_4arch9wavefront6targetE1EEEvT1_.num_named_barrier, 0
	.set _ZN7rocprim17ROCPRIM_400000_NS6detail17trampoline_kernelINS0_14default_configENS1_25partition_config_selectorILNS1_17partition_subalgoE9EllbEEZZNS1_14partition_implILS5_9ELb0ES3_jPlS8_PNS0_10empty_typeENS0_5tupleIJS8_S9_EEENSB_IJS8_SA_EEENS0_18inequality_wrapperIZN2at6native12_GLOBAL__N_124unique_dim_cuda_templateIN3c104HalfEEESt5tupleIJNSF_6TensorESM_SM_EERKSM_lbbbEUlllE0_EEPmJS9_EEE10hipError_tPvRmT3_T4_T5_T6_T7_T9_mT8_P12ihipStream_tbDpT10_ENKUlT_T0_E_clISt17integral_constantIbLb0EES1C_EEDaS17_S18_EUlS17_E_NS1_11comp_targetILNS1_3genE0ELNS1_11target_archE4294967295ELNS1_3gpuE0ELNS1_3repE0EEENS1_30default_config_static_selectorELNS0_4arch9wavefront6targetE1EEEvT1_.private_seg_size, 0
	.set _ZN7rocprim17ROCPRIM_400000_NS6detail17trampoline_kernelINS0_14default_configENS1_25partition_config_selectorILNS1_17partition_subalgoE9EllbEEZZNS1_14partition_implILS5_9ELb0ES3_jPlS8_PNS0_10empty_typeENS0_5tupleIJS8_S9_EEENSB_IJS8_SA_EEENS0_18inequality_wrapperIZN2at6native12_GLOBAL__N_124unique_dim_cuda_templateIN3c104HalfEEESt5tupleIJNSF_6TensorESM_SM_EERKSM_lbbbEUlllE0_EEPmJS9_EEE10hipError_tPvRmT3_T4_T5_T6_T7_T9_mT8_P12ihipStream_tbDpT10_ENKUlT_T0_E_clISt17integral_constantIbLb0EES1C_EEDaS17_S18_EUlS17_E_NS1_11comp_targetILNS1_3genE0ELNS1_11target_archE4294967295ELNS1_3gpuE0ELNS1_3repE0EEENS1_30default_config_static_selectorELNS0_4arch9wavefront6targetE1EEEvT1_.uses_vcc, 1
	.set _ZN7rocprim17ROCPRIM_400000_NS6detail17trampoline_kernelINS0_14default_configENS1_25partition_config_selectorILNS1_17partition_subalgoE9EllbEEZZNS1_14partition_implILS5_9ELb0ES3_jPlS8_PNS0_10empty_typeENS0_5tupleIJS8_S9_EEENSB_IJS8_SA_EEENS0_18inequality_wrapperIZN2at6native12_GLOBAL__N_124unique_dim_cuda_templateIN3c104HalfEEESt5tupleIJNSF_6TensorESM_SM_EERKSM_lbbbEUlllE0_EEPmJS9_EEE10hipError_tPvRmT3_T4_T5_T6_T7_T9_mT8_P12ihipStream_tbDpT10_ENKUlT_T0_E_clISt17integral_constantIbLb0EES1C_EEDaS17_S18_EUlS17_E_NS1_11comp_targetILNS1_3genE0ELNS1_11target_archE4294967295ELNS1_3gpuE0ELNS1_3repE0EEENS1_30default_config_static_selectorELNS0_4arch9wavefront6targetE1EEEvT1_.uses_flat_scratch, 0
	.set _ZN7rocprim17ROCPRIM_400000_NS6detail17trampoline_kernelINS0_14default_configENS1_25partition_config_selectorILNS1_17partition_subalgoE9EllbEEZZNS1_14partition_implILS5_9ELb0ES3_jPlS8_PNS0_10empty_typeENS0_5tupleIJS8_S9_EEENSB_IJS8_SA_EEENS0_18inequality_wrapperIZN2at6native12_GLOBAL__N_124unique_dim_cuda_templateIN3c104HalfEEESt5tupleIJNSF_6TensorESM_SM_EERKSM_lbbbEUlllE0_EEPmJS9_EEE10hipError_tPvRmT3_T4_T5_T6_T7_T9_mT8_P12ihipStream_tbDpT10_ENKUlT_T0_E_clISt17integral_constantIbLb0EES1C_EEDaS17_S18_EUlS17_E_NS1_11comp_targetILNS1_3genE0ELNS1_11target_archE4294967295ELNS1_3gpuE0ELNS1_3repE0EEENS1_30default_config_static_selectorELNS0_4arch9wavefront6targetE1EEEvT1_.has_dyn_sized_stack, 0
	.set _ZN7rocprim17ROCPRIM_400000_NS6detail17trampoline_kernelINS0_14default_configENS1_25partition_config_selectorILNS1_17partition_subalgoE9EllbEEZZNS1_14partition_implILS5_9ELb0ES3_jPlS8_PNS0_10empty_typeENS0_5tupleIJS8_S9_EEENSB_IJS8_SA_EEENS0_18inequality_wrapperIZN2at6native12_GLOBAL__N_124unique_dim_cuda_templateIN3c104HalfEEESt5tupleIJNSF_6TensorESM_SM_EERKSM_lbbbEUlllE0_EEPmJS9_EEE10hipError_tPvRmT3_T4_T5_T6_T7_T9_mT8_P12ihipStream_tbDpT10_ENKUlT_T0_E_clISt17integral_constantIbLb0EES1C_EEDaS17_S18_EUlS17_E_NS1_11comp_targetILNS1_3genE0ELNS1_11target_archE4294967295ELNS1_3gpuE0ELNS1_3repE0EEENS1_30default_config_static_selectorELNS0_4arch9wavefront6targetE1EEEvT1_.has_recursion, 0
	.set _ZN7rocprim17ROCPRIM_400000_NS6detail17trampoline_kernelINS0_14default_configENS1_25partition_config_selectorILNS1_17partition_subalgoE9EllbEEZZNS1_14partition_implILS5_9ELb0ES3_jPlS8_PNS0_10empty_typeENS0_5tupleIJS8_S9_EEENSB_IJS8_SA_EEENS0_18inequality_wrapperIZN2at6native12_GLOBAL__N_124unique_dim_cuda_templateIN3c104HalfEEESt5tupleIJNSF_6TensorESM_SM_EERKSM_lbbbEUlllE0_EEPmJS9_EEE10hipError_tPvRmT3_T4_T5_T6_T7_T9_mT8_P12ihipStream_tbDpT10_ENKUlT_T0_E_clISt17integral_constantIbLb0EES1C_EEDaS17_S18_EUlS17_E_NS1_11comp_targetILNS1_3genE0ELNS1_11target_archE4294967295ELNS1_3gpuE0ELNS1_3repE0EEENS1_30default_config_static_selectorELNS0_4arch9wavefront6targetE1EEEvT1_.has_indirect_call, 0
	.section	.AMDGPU.csdata,"",@progbits
; Kernel info:
; codeLenInByte = 9496
; TotalNumSgprs: 52
; NumVgprs: 60
; NumAgprs: 0
; TotalNumVgprs: 60
; ScratchSize: 0
; MemoryBound: 0
; FloatMode: 240
; IeeeMode: 1
; LDSByteSize: 5128 bytes/workgroup (compile time only)
; SGPRBlocks: 6
; VGPRBlocks: 7
; NumSGPRsForWavesPerEU: 52
; NumVGPRsForWavesPerEU: 60
; AccumOffset: 60
; Occupancy: 8
; WaveLimiterHint : 1
; COMPUTE_PGM_RSRC2:SCRATCH_EN: 0
; COMPUTE_PGM_RSRC2:USER_SGPR: 2
; COMPUTE_PGM_RSRC2:TRAP_HANDLER: 0
; COMPUTE_PGM_RSRC2:TGID_X_EN: 1
; COMPUTE_PGM_RSRC2:TGID_Y_EN: 0
; COMPUTE_PGM_RSRC2:TGID_Z_EN: 0
; COMPUTE_PGM_RSRC2:TIDIG_COMP_CNT: 0
; COMPUTE_PGM_RSRC3_GFX90A:ACCUM_OFFSET: 14
; COMPUTE_PGM_RSRC3_GFX90A:TG_SPLIT: 0
	.section	.text._ZN7rocprim17ROCPRIM_400000_NS6detail17trampoline_kernelINS0_14default_configENS1_25partition_config_selectorILNS1_17partition_subalgoE9EllbEEZZNS1_14partition_implILS5_9ELb0ES3_jPlS8_PNS0_10empty_typeENS0_5tupleIJS8_S9_EEENSB_IJS8_SA_EEENS0_18inequality_wrapperIZN2at6native12_GLOBAL__N_124unique_dim_cuda_templateIN3c104HalfEEESt5tupleIJNSF_6TensorESM_SM_EERKSM_lbbbEUlllE0_EEPmJS9_EEE10hipError_tPvRmT3_T4_T5_T6_T7_T9_mT8_P12ihipStream_tbDpT10_ENKUlT_T0_E_clISt17integral_constantIbLb0EES1C_EEDaS17_S18_EUlS17_E_NS1_11comp_targetILNS1_3genE5ELNS1_11target_archE942ELNS1_3gpuE9ELNS1_3repE0EEENS1_30default_config_static_selectorELNS0_4arch9wavefront6targetE1EEEvT1_,"axG",@progbits,_ZN7rocprim17ROCPRIM_400000_NS6detail17trampoline_kernelINS0_14default_configENS1_25partition_config_selectorILNS1_17partition_subalgoE9EllbEEZZNS1_14partition_implILS5_9ELb0ES3_jPlS8_PNS0_10empty_typeENS0_5tupleIJS8_S9_EEENSB_IJS8_SA_EEENS0_18inequality_wrapperIZN2at6native12_GLOBAL__N_124unique_dim_cuda_templateIN3c104HalfEEESt5tupleIJNSF_6TensorESM_SM_EERKSM_lbbbEUlllE0_EEPmJS9_EEE10hipError_tPvRmT3_T4_T5_T6_T7_T9_mT8_P12ihipStream_tbDpT10_ENKUlT_T0_E_clISt17integral_constantIbLb0EES1C_EEDaS17_S18_EUlS17_E_NS1_11comp_targetILNS1_3genE5ELNS1_11target_archE942ELNS1_3gpuE9ELNS1_3repE0EEENS1_30default_config_static_selectorELNS0_4arch9wavefront6targetE1EEEvT1_,comdat
	.globl	_ZN7rocprim17ROCPRIM_400000_NS6detail17trampoline_kernelINS0_14default_configENS1_25partition_config_selectorILNS1_17partition_subalgoE9EllbEEZZNS1_14partition_implILS5_9ELb0ES3_jPlS8_PNS0_10empty_typeENS0_5tupleIJS8_S9_EEENSB_IJS8_SA_EEENS0_18inequality_wrapperIZN2at6native12_GLOBAL__N_124unique_dim_cuda_templateIN3c104HalfEEESt5tupleIJNSF_6TensorESM_SM_EERKSM_lbbbEUlllE0_EEPmJS9_EEE10hipError_tPvRmT3_T4_T5_T6_T7_T9_mT8_P12ihipStream_tbDpT10_ENKUlT_T0_E_clISt17integral_constantIbLb0EES1C_EEDaS17_S18_EUlS17_E_NS1_11comp_targetILNS1_3genE5ELNS1_11target_archE942ELNS1_3gpuE9ELNS1_3repE0EEENS1_30default_config_static_selectorELNS0_4arch9wavefront6targetE1EEEvT1_ ; -- Begin function _ZN7rocprim17ROCPRIM_400000_NS6detail17trampoline_kernelINS0_14default_configENS1_25partition_config_selectorILNS1_17partition_subalgoE9EllbEEZZNS1_14partition_implILS5_9ELb0ES3_jPlS8_PNS0_10empty_typeENS0_5tupleIJS8_S9_EEENSB_IJS8_SA_EEENS0_18inequality_wrapperIZN2at6native12_GLOBAL__N_124unique_dim_cuda_templateIN3c104HalfEEESt5tupleIJNSF_6TensorESM_SM_EERKSM_lbbbEUlllE0_EEPmJS9_EEE10hipError_tPvRmT3_T4_T5_T6_T7_T9_mT8_P12ihipStream_tbDpT10_ENKUlT_T0_E_clISt17integral_constantIbLb0EES1C_EEDaS17_S18_EUlS17_E_NS1_11comp_targetILNS1_3genE5ELNS1_11target_archE942ELNS1_3gpuE9ELNS1_3repE0EEENS1_30default_config_static_selectorELNS0_4arch9wavefront6targetE1EEEvT1_
	.p2align	8
	.type	_ZN7rocprim17ROCPRIM_400000_NS6detail17trampoline_kernelINS0_14default_configENS1_25partition_config_selectorILNS1_17partition_subalgoE9EllbEEZZNS1_14partition_implILS5_9ELb0ES3_jPlS8_PNS0_10empty_typeENS0_5tupleIJS8_S9_EEENSB_IJS8_SA_EEENS0_18inequality_wrapperIZN2at6native12_GLOBAL__N_124unique_dim_cuda_templateIN3c104HalfEEESt5tupleIJNSF_6TensorESM_SM_EERKSM_lbbbEUlllE0_EEPmJS9_EEE10hipError_tPvRmT3_T4_T5_T6_T7_T9_mT8_P12ihipStream_tbDpT10_ENKUlT_T0_E_clISt17integral_constantIbLb0EES1C_EEDaS17_S18_EUlS17_E_NS1_11comp_targetILNS1_3genE5ELNS1_11target_archE942ELNS1_3gpuE9ELNS1_3repE0EEENS1_30default_config_static_selectorELNS0_4arch9wavefront6targetE1EEEvT1_,@function
_ZN7rocprim17ROCPRIM_400000_NS6detail17trampoline_kernelINS0_14default_configENS1_25partition_config_selectorILNS1_17partition_subalgoE9EllbEEZZNS1_14partition_implILS5_9ELb0ES3_jPlS8_PNS0_10empty_typeENS0_5tupleIJS8_S9_EEENSB_IJS8_SA_EEENS0_18inequality_wrapperIZN2at6native12_GLOBAL__N_124unique_dim_cuda_templateIN3c104HalfEEESt5tupleIJNSF_6TensorESM_SM_EERKSM_lbbbEUlllE0_EEPmJS9_EEE10hipError_tPvRmT3_T4_T5_T6_T7_T9_mT8_P12ihipStream_tbDpT10_ENKUlT_T0_E_clISt17integral_constantIbLb0EES1C_EEDaS17_S18_EUlS17_E_NS1_11comp_targetILNS1_3genE5ELNS1_11target_archE942ELNS1_3gpuE9ELNS1_3repE0EEENS1_30default_config_static_selectorELNS0_4arch9wavefront6targetE1EEEvT1_: ; @_ZN7rocprim17ROCPRIM_400000_NS6detail17trampoline_kernelINS0_14default_configENS1_25partition_config_selectorILNS1_17partition_subalgoE9EllbEEZZNS1_14partition_implILS5_9ELb0ES3_jPlS8_PNS0_10empty_typeENS0_5tupleIJS8_S9_EEENSB_IJS8_SA_EEENS0_18inequality_wrapperIZN2at6native12_GLOBAL__N_124unique_dim_cuda_templateIN3c104HalfEEESt5tupleIJNSF_6TensorESM_SM_EERKSM_lbbbEUlllE0_EEPmJS9_EEE10hipError_tPvRmT3_T4_T5_T6_T7_T9_mT8_P12ihipStream_tbDpT10_ENKUlT_T0_E_clISt17integral_constantIbLb0EES1C_EEDaS17_S18_EUlS17_E_NS1_11comp_targetILNS1_3genE5ELNS1_11target_archE942ELNS1_3gpuE9ELNS1_3repE0EEENS1_30default_config_static_selectorELNS0_4arch9wavefront6targetE1EEEvT1_
; %bb.0:
	.section	.rodata,"a",@progbits
	.p2align	6, 0x0
	.amdhsa_kernel _ZN7rocprim17ROCPRIM_400000_NS6detail17trampoline_kernelINS0_14default_configENS1_25partition_config_selectorILNS1_17partition_subalgoE9EllbEEZZNS1_14partition_implILS5_9ELb0ES3_jPlS8_PNS0_10empty_typeENS0_5tupleIJS8_S9_EEENSB_IJS8_SA_EEENS0_18inequality_wrapperIZN2at6native12_GLOBAL__N_124unique_dim_cuda_templateIN3c104HalfEEESt5tupleIJNSF_6TensorESM_SM_EERKSM_lbbbEUlllE0_EEPmJS9_EEE10hipError_tPvRmT3_T4_T5_T6_T7_T9_mT8_P12ihipStream_tbDpT10_ENKUlT_T0_E_clISt17integral_constantIbLb0EES1C_EEDaS17_S18_EUlS17_E_NS1_11comp_targetILNS1_3genE5ELNS1_11target_archE942ELNS1_3gpuE9ELNS1_3repE0EEENS1_30default_config_static_selectorELNS0_4arch9wavefront6targetE1EEEvT1_
		.amdhsa_group_segment_fixed_size 0
		.amdhsa_private_segment_fixed_size 0
		.amdhsa_kernarg_size 120
		.amdhsa_user_sgpr_count 2
		.amdhsa_user_sgpr_dispatch_ptr 0
		.amdhsa_user_sgpr_queue_ptr 0
		.amdhsa_user_sgpr_kernarg_segment_ptr 1
		.amdhsa_user_sgpr_dispatch_id 0
		.amdhsa_user_sgpr_kernarg_preload_length 0
		.amdhsa_user_sgpr_kernarg_preload_offset 0
		.amdhsa_user_sgpr_private_segment_size 0
		.amdhsa_uses_dynamic_stack 0
		.amdhsa_enable_private_segment 0
		.amdhsa_system_sgpr_workgroup_id_x 1
		.amdhsa_system_sgpr_workgroup_id_y 0
		.amdhsa_system_sgpr_workgroup_id_z 0
		.amdhsa_system_sgpr_workgroup_info 0
		.amdhsa_system_vgpr_workitem_id 0
		.amdhsa_next_free_vgpr 1
		.amdhsa_next_free_sgpr 0
		.amdhsa_accum_offset 4
		.amdhsa_reserve_vcc 0
		.amdhsa_float_round_mode_32 0
		.amdhsa_float_round_mode_16_64 0
		.amdhsa_float_denorm_mode_32 3
		.amdhsa_float_denorm_mode_16_64 3
		.amdhsa_dx10_clamp 1
		.amdhsa_ieee_mode 1
		.amdhsa_fp16_overflow 0
		.amdhsa_tg_split 0
		.amdhsa_exception_fp_ieee_invalid_op 0
		.amdhsa_exception_fp_denorm_src 0
		.amdhsa_exception_fp_ieee_div_zero 0
		.amdhsa_exception_fp_ieee_overflow 0
		.amdhsa_exception_fp_ieee_underflow 0
		.amdhsa_exception_fp_ieee_inexact 0
		.amdhsa_exception_int_div_zero 0
	.end_amdhsa_kernel
	.section	.text._ZN7rocprim17ROCPRIM_400000_NS6detail17trampoline_kernelINS0_14default_configENS1_25partition_config_selectorILNS1_17partition_subalgoE9EllbEEZZNS1_14partition_implILS5_9ELb0ES3_jPlS8_PNS0_10empty_typeENS0_5tupleIJS8_S9_EEENSB_IJS8_SA_EEENS0_18inequality_wrapperIZN2at6native12_GLOBAL__N_124unique_dim_cuda_templateIN3c104HalfEEESt5tupleIJNSF_6TensorESM_SM_EERKSM_lbbbEUlllE0_EEPmJS9_EEE10hipError_tPvRmT3_T4_T5_T6_T7_T9_mT8_P12ihipStream_tbDpT10_ENKUlT_T0_E_clISt17integral_constantIbLb0EES1C_EEDaS17_S18_EUlS17_E_NS1_11comp_targetILNS1_3genE5ELNS1_11target_archE942ELNS1_3gpuE9ELNS1_3repE0EEENS1_30default_config_static_selectorELNS0_4arch9wavefront6targetE1EEEvT1_,"axG",@progbits,_ZN7rocprim17ROCPRIM_400000_NS6detail17trampoline_kernelINS0_14default_configENS1_25partition_config_selectorILNS1_17partition_subalgoE9EllbEEZZNS1_14partition_implILS5_9ELb0ES3_jPlS8_PNS0_10empty_typeENS0_5tupleIJS8_S9_EEENSB_IJS8_SA_EEENS0_18inequality_wrapperIZN2at6native12_GLOBAL__N_124unique_dim_cuda_templateIN3c104HalfEEESt5tupleIJNSF_6TensorESM_SM_EERKSM_lbbbEUlllE0_EEPmJS9_EEE10hipError_tPvRmT3_T4_T5_T6_T7_T9_mT8_P12ihipStream_tbDpT10_ENKUlT_T0_E_clISt17integral_constantIbLb0EES1C_EEDaS17_S18_EUlS17_E_NS1_11comp_targetILNS1_3genE5ELNS1_11target_archE942ELNS1_3gpuE9ELNS1_3repE0EEENS1_30default_config_static_selectorELNS0_4arch9wavefront6targetE1EEEvT1_,comdat
.Lfunc_end1330:
	.size	_ZN7rocprim17ROCPRIM_400000_NS6detail17trampoline_kernelINS0_14default_configENS1_25partition_config_selectorILNS1_17partition_subalgoE9EllbEEZZNS1_14partition_implILS5_9ELb0ES3_jPlS8_PNS0_10empty_typeENS0_5tupleIJS8_S9_EEENSB_IJS8_SA_EEENS0_18inequality_wrapperIZN2at6native12_GLOBAL__N_124unique_dim_cuda_templateIN3c104HalfEEESt5tupleIJNSF_6TensorESM_SM_EERKSM_lbbbEUlllE0_EEPmJS9_EEE10hipError_tPvRmT3_T4_T5_T6_T7_T9_mT8_P12ihipStream_tbDpT10_ENKUlT_T0_E_clISt17integral_constantIbLb0EES1C_EEDaS17_S18_EUlS17_E_NS1_11comp_targetILNS1_3genE5ELNS1_11target_archE942ELNS1_3gpuE9ELNS1_3repE0EEENS1_30default_config_static_selectorELNS0_4arch9wavefront6targetE1EEEvT1_, .Lfunc_end1330-_ZN7rocprim17ROCPRIM_400000_NS6detail17trampoline_kernelINS0_14default_configENS1_25partition_config_selectorILNS1_17partition_subalgoE9EllbEEZZNS1_14partition_implILS5_9ELb0ES3_jPlS8_PNS0_10empty_typeENS0_5tupleIJS8_S9_EEENSB_IJS8_SA_EEENS0_18inequality_wrapperIZN2at6native12_GLOBAL__N_124unique_dim_cuda_templateIN3c104HalfEEESt5tupleIJNSF_6TensorESM_SM_EERKSM_lbbbEUlllE0_EEPmJS9_EEE10hipError_tPvRmT3_T4_T5_T6_T7_T9_mT8_P12ihipStream_tbDpT10_ENKUlT_T0_E_clISt17integral_constantIbLb0EES1C_EEDaS17_S18_EUlS17_E_NS1_11comp_targetILNS1_3genE5ELNS1_11target_archE942ELNS1_3gpuE9ELNS1_3repE0EEENS1_30default_config_static_selectorELNS0_4arch9wavefront6targetE1EEEvT1_
                                        ; -- End function
	.set _ZN7rocprim17ROCPRIM_400000_NS6detail17trampoline_kernelINS0_14default_configENS1_25partition_config_selectorILNS1_17partition_subalgoE9EllbEEZZNS1_14partition_implILS5_9ELb0ES3_jPlS8_PNS0_10empty_typeENS0_5tupleIJS8_S9_EEENSB_IJS8_SA_EEENS0_18inequality_wrapperIZN2at6native12_GLOBAL__N_124unique_dim_cuda_templateIN3c104HalfEEESt5tupleIJNSF_6TensorESM_SM_EERKSM_lbbbEUlllE0_EEPmJS9_EEE10hipError_tPvRmT3_T4_T5_T6_T7_T9_mT8_P12ihipStream_tbDpT10_ENKUlT_T0_E_clISt17integral_constantIbLb0EES1C_EEDaS17_S18_EUlS17_E_NS1_11comp_targetILNS1_3genE5ELNS1_11target_archE942ELNS1_3gpuE9ELNS1_3repE0EEENS1_30default_config_static_selectorELNS0_4arch9wavefront6targetE1EEEvT1_.num_vgpr, 0
	.set _ZN7rocprim17ROCPRIM_400000_NS6detail17trampoline_kernelINS0_14default_configENS1_25partition_config_selectorILNS1_17partition_subalgoE9EllbEEZZNS1_14partition_implILS5_9ELb0ES3_jPlS8_PNS0_10empty_typeENS0_5tupleIJS8_S9_EEENSB_IJS8_SA_EEENS0_18inequality_wrapperIZN2at6native12_GLOBAL__N_124unique_dim_cuda_templateIN3c104HalfEEESt5tupleIJNSF_6TensorESM_SM_EERKSM_lbbbEUlllE0_EEPmJS9_EEE10hipError_tPvRmT3_T4_T5_T6_T7_T9_mT8_P12ihipStream_tbDpT10_ENKUlT_T0_E_clISt17integral_constantIbLb0EES1C_EEDaS17_S18_EUlS17_E_NS1_11comp_targetILNS1_3genE5ELNS1_11target_archE942ELNS1_3gpuE9ELNS1_3repE0EEENS1_30default_config_static_selectorELNS0_4arch9wavefront6targetE1EEEvT1_.num_agpr, 0
	.set _ZN7rocprim17ROCPRIM_400000_NS6detail17trampoline_kernelINS0_14default_configENS1_25partition_config_selectorILNS1_17partition_subalgoE9EllbEEZZNS1_14partition_implILS5_9ELb0ES3_jPlS8_PNS0_10empty_typeENS0_5tupleIJS8_S9_EEENSB_IJS8_SA_EEENS0_18inequality_wrapperIZN2at6native12_GLOBAL__N_124unique_dim_cuda_templateIN3c104HalfEEESt5tupleIJNSF_6TensorESM_SM_EERKSM_lbbbEUlllE0_EEPmJS9_EEE10hipError_tPvRmT3_T4_T5_T6_T7_T9_mT8_P12ihipStream_tbDpT10_ENKUlT_T0_E_clISt17integral_constantIbLb0EES1C_EEDaS17_S18_EUlS17_E_NS1_11comp_targetILNS1_3genE5ELNS1_11target_archE942ELNS1_3gpuE9ELNS1_3repE0EEENS1_30default_config_static_selectorELNS0_4arch9wavefront6targetE1EEEvT1_.numbered_sgpr, 0
	.set _ZN7rocprim17ROCPRIM_400000_NS6detail17trampoline_kernelINS0_14default_configENS1_25partition_config_selectorILNS1_17partition_subalgoE9EllbEEZZNS1_14partition_implILS5_9ELb0ES3_jPlS8_PNS0_10empty_typeENS0_5tupleIJS8_S9_EEENSB_IJS8_SA_EEENS0_18inequality_wrapperIZN2at6native12_GLOBAL__N_124unique_dim_cuda_templateIN3c104HalfEEESt5tupleIJNSF_6TensorESM_SM_EERKSM_lbbbEUlllE0_EEPmJS9_EEE10hipError_tPvRmT3_T4_T5_T6_T7_T9_mT8_P12ihipStream_tbDpT10_ENKUlT_T0_E_clISt17integral_constantIbLb0EES1C_EEDaS17_S18_EUlS17_E_NS1_11comp_targetILNS1_3genE5ELNS1_11target_archE942ELNS1_3gpuE9ELNS1_3repE0EEENS1_30default_config_static_selectorELNS0_4arch9wavefront6targetE1EEEvT1_.num_named_barrier, 0
	.set _ZN7rocprim17ROCPRIM_400000_NS6detail17trampoline_kernelINS0_14default_configENS1_25partition_config_selectorILNS1_17partition_subalgoE9EllbEEZZNS1_14partition_implILS5_9ELb0ES3_jPlS8_PNS0_10empty_typeENS0_5tupleIJS8_S9_EEENSB_IJS8_SA_EEENS0_18inequality_wrapperIZN2at6native12_GLOBAL__N_124unique_dim_cuda_templateIN3c104HalfEEESt5tupleIJNSF_6TensorESM_SM_EERKSM_lbbbEUlllE0_EEPmJS9_EEE10hipError_tPvRmT3_T4_T5_T6_T7_T9_mT8_P12ihipStream_tbDpT10_ENKUlT_T0_E_clISt17integral_constantIbLb0EES1C_EEDaS17_S18_EUlS17_E_NS1_11comp_targetILNS1_3genE5ELNS1_11target_archE942ELNS1_3gpuE9ELNS1_3repE0EEENS1_30default_config_static_selectorELNS0_4arch9wavefront6targetE1EEEvT1_.private_seg_size, 0
	.set _ZN7rocprim17ROCPRIM_400000_NS6detail17trampoline_kernelINS0_14default_configENS1_25partition_config_selectorILNS1_17partition_subalgoE9EllbEEZZNS1_14partition_implILS5_9ELb0ES3_jPlS8_PNS0_10empty_typeENS0_5tupleIJS8_S9_EEENSB_IJS8_SA_EEENS0_18inequality_wrapperIZN2at6native12_GLOBAL__N_124unique_dim_cuda_templateIN3c104HalfEEESt5tupleIJNSF_6TensorESM_SM_EERKSM_lbbbEUlllE0_EEPmJS9_EEE10hipError_tPvRmT3_T4_T5_T6_T7_T9_mT8_P12ihipStream_tbDpT10_ENKUlT_T0_E_clISt17integral_constantIbLb0EES1C_EEDaS17_S18_EUlS17_E_NS1_11comp_targetILNS1_3genE5ELNS1_11target_archE942ELNS1_3gpuE9ELNS1_3repE0EEENS1_30default_config_static_selectorELNS0_4arch9wavefront6targetE1EEEvT1_.uses_vcc, 0
	.set _ZN7rocprim17ROCPRIM_400000_NS6detail17trampoline_kernelINS0_14default_configENS1_25partition_config_selectorILNS1_17partition_subalgoE9EllbEEZZNS1_14partition_implILS5_9ELb0ES3_jPlS8_PNS0_10empty_typeENS0_5tupleIJS8_S9_EEENSB_IJS8_SA_EEENS0_18inequality_wrapperIZN2at6native12_GLOBAL__N_124unique_dim_cuda_templateIN3c104HalfEEESt5tupleIJNSF_6TensorESM_SM_EERKSM_lbbbEUlllE0_EEPmJS9_EEE10hipError_tPvRmT3_T4_T5_T6_T7_T9_mT8_P12ihipStream_tbDpT10_ENKUlT_T0_E_clISt17integral_constantIbLb0EES1C_EEDaS17_S18_EUlS17_E_NS1_11comp_targetILNS1_3genE5ELNS1_11target_archE942ELNS1_3gpuE9ELNS1_3repE0EEENS1_30default_config_static_selectorELNS0_4arch9wavefront6targetE1EEEvT1_.uses_flat_scratch, 0
	.set _ZN7rocprim17ROCPRIM_400000_NS6detail17trampoline_kernelINS0_14default_configENS1_25partition_config_selectorILNS1_17partition_subalgoE9EllbEEZZNS1_14partition_implILS5_9ELb0ES3_jPlS8_PNS0_10empty_typeENS0_5tupleIJS8_S9_EEENSB_IJS8_SA_EEENS0_18inequality_wrapperIZN2at6native12_GLOBAL__N_124unique_dim_cuda_templateIN3c104HalfEEESt5tupleIJNSF_6TensorESM_SM_EERKSM_lbbbEUlllE0_EEPmJS9_EEE10hipError_tPvRmT3_T4_T5_T6_T7_T9_mT8_P12ihipStream_tbDpT10_ENKUlT_T0_E_clISt17integral_constantIbLb0EES1C_EEDaS17_S18_EUlS17_E_NS1_11comp_targetILNS1_3genE5ELNS1_11target_archE942ELNS1_3gpuE9ELNS1_3repE0EEENS1_30default_config_static_selectorELNS0_4arch9wavefront6targetE1EEEvT1_.has_dyn_sized_stack, 0
	.set _ZN7rocprim17ROCPRIM_400000_NS6detail17trampoline_kernelINS0_14default_configENS1_25partition_config_selectorILNS1_17partition_subalgoE9EllbEEZZNS1_14partition_implILS5_9ELb0ES3_jPlS8_PNS0_10empty_typeENS0_5tupleIJS8_S9_EEENSB_IJS8_SA_EEENS0_18inequality_wrapperIZN2at6native12_GLOBAL__N_124unique_dim_cuda_templateIN3c104HalfEEESt5tupleIJNSF_6TensorESM_SM_EERKSM_lbbbEUlllE0_EEPmJS9_EEE10hipError_tPvRmT3_T4_T5_T6_T7_T9_mT8_P12ihipStream_tbDpT10_ENKUlT_T0_E_clISt17integral_constantIbLb0EES1C_EEDaS17_S18_EUlS17_E_NS1_11comp_targetILNS1_3genE5ELNS1_11target_archE942ELNS1_3gpuE9ELNS1_3repE0EEENS1_30default_config_static_selectorELNS0_4arch9wavefront6targetE1EEEvT1_.has_recursion, 0
	.set _ZN7rocprim17ROCPRIM_400000_NS6detail17trampoline_kernelINS0_14default_configENS1_25partition_config_selectorILNS1_17partition_subalgoE9EllbEEZZNS1_14partition_implILS5_9ELb0ES3_jPlS8_PNS0_10empty_typeENS0_5tupleIJS8_S9_EEENSB_IJS8_SA_EEENS0_18inequality_wrapperIZN2at6native12_GLOBAL__N_124unique_dim_cuda_templateIN3c104HalfEEESt5tupleIJNSF_6TensorESM_SM_EERKSM_lbbbEUlllE0_EEPmJS9_EEE10hipError_tPvRmT3_T4_T5_T6_T7_T9_mT8_P12ihipStream_tbDpT10_ENKUlT_T0_E_clISt17integral_constantIbLb0EES1C_EEDaS17_S18_EUlS17_E_NS1_11comp_targetILNS1_3genE5ELNS1_11target_archE942ELNS1_3gpuE9ELNS1_3repE0EEENS1_30default_config_static_selectorELNS0_4arch9wavefront6targetE1EEEvT1_.has_indirect_call, 0
	.section	.AMDGPU.csdata,"",@progbits
; Kernel info:
; codeLenInByte = 0
; TotalNumSgprs: 6
; NumVgprs: 0
; NumAgprs: 0
; TotalNumVgprs: 0
; ScratchSize: 0
; MemoryBound: 0
; FloatMode: 240
; IeeeMode: 1
; LDSByteSize: 0 bytes/workgroup (compile time only)
; SGPRBlocks: 0
; VGPRBlocks: 0
; NumSGPRsForWavesPerEU: 6
; NumVGPRsForWavesPerEU: 1
; AccumOffset: 4
; Occupancy: 8
; WaveLimiterHint : 0
; COMPUTE_PGM_RSRC2:SCRATCH_EN: 0
; COMPUTE_PGM_RSRC2:USER_SGPR: 2
; COMPUTE_PGM_RSRC2:TRAP_HANDLER: 0
; COMPUTE_PGM_RSRC2:TGID_X_EN: 1
; COMPUTE_PGM_RSRC2:TGID_Y_EN: 0
; COMPUTE_PGM_RSRC2:TGID_Z_EN: 0
; COMPUTE_PGM_RSRC2:TIDIG_COMP_CNT: 0
; COMPUTE_PGM_RSRC3_GFX90A:ACCUM_OFFSET: 0
; COMPUTE_PGM_RSRC3_GFX90A:TG_SPLIT: 0
	.section	.text._ZN7rocprim17ROCPRIM_400000_NS6detail17trampoline_kernelINS0_14default_configENS1_25partition_config_selectorILNS1_17partition_subalgoE9EllbEEZZNS1_14partition_implILS5_9ELb0ES3_jPlS8_PNS0_10empty_typeENS0_5tupleIJS8_S9_EEENSB_IJS8_SA_EEENS0_18inequality_wrapperIZN2at6native12_GLOBAL__N_124unique_dim_cuda_templateIN3c104HalfEEESt5tupleIJNSF_6TensorESM_SM_EERKSM_lbbbEUlllE0_EEPmJS9_EEE10hipError_tPvRmT3_T4_T5_T6_T7_T9_mT8_P12ihipStream_tbDpT10_ENKUlT_T0_E_clISt17integral_constantIbLb0EES1C_EEDaS17_S18_EUlS17_E_NS1_11comp_targetILNS1_3genE4ELNS1_11target_archE910ELNS1_3gpuE8ELNS1_3repE0EEENS1_30default_config_static_selectorELNS0_4arch9wavefront6targetE1EEEvT1_,"axG",@progbits,_ZN7rocprim17ROCPRIM_400000_NS6detail17trampoline_kernelINS0_14default_configENS1_25partition_config_selectorILNS1_17partition_subalgoE9EllbEEZZNS1_14partition_implILS5_9ELb0ES3_jPlS8_PNS0_10empty_typeENS0_5tupleIJS8_S9_EEENSB_IJS8_SA_EEENS0_18inequality_wrapperIZN2at6native12_GLOBAL__N_124unique_dim_cuda_templateIN3c104HalfEEESt5tupleIJNSF_6TensorESM_SM_EERKSM_lbbbEUlllE0_EEPmJS9_EEE10hipError_tPvRmT3_T4_T5_T6_T7_T9_mT8_P12ihipStream_tbDpT10_ENKUlT_T0_E_clISt17integral_constantIbLb0EES1C_EEDaS17_S18_EUlS17_E_NS1_11comp_targetILNS1_3genE4ELNS1_11target_archE910ELNS1_3gpuE8ELNS1_3repE0EEENS1_30default_config_static_selectorELNS0_4arch9wavefront6targetE1EEEvT1_,comdat
	.globl	_ZN7rocprim17ROCPRIM_400000_NS6detail17trampoline_kernelINS0_14default_configENS1_25partition_config_selectorILNS1_17partition_subalgoE9EllbEEZZNS1_14partition_implILS5_9ELb0ES3_jPlS8_PNS0_10empty_typeENS0_5tupleIJS8_S9_EEENSB_IJS8_SA_EEENS0_18inequality_wrapperIZN2at6native12_GLOBAL__N_124unique_dim_cuda_templateIN3c104HalfEEESt5tupleIJNSF_6TensorESM_SM_EERKSM_lbbbEUlllE0_EEPmJS9_EEE10hipError_tPvRmT3_T4_T5_T6_T7_T9_mT8_P12ihipStream_tbDpT10_ENKUlT_T0_E_clISt17integral_constantIbLb0EES1C_EEDaS17_S18_EUlS17_E_NS1_11comp_targetILNS1_3genE4ELNS1_11target_archE910ELNS1_3gpuE8ELNS1_3repE0EEENS1_30default_config_static_selectorELNS0_4arch9wavefront6targetE1EEEvT1_ ; -- Begin function _ZN7rocprim17ROCPRIM_400000_NS6detail17trampoline_kernelINS0_14default_configENS1_25partition_config_selectorILNS1_17partition_subalgoE9EllbEEZZNS1_14partition_implILS5_9ELb0ES3_jPlS8_PNS0_10empty_typeENS0_5tupleIJS8_S9_EEENSB_IJS8_SA_EEENS0_18inequality_wrapperIZN2at6native12_GLOBAL__N_124unique_dim_cuda_templateIN3c104HalfEEESt5tupleIJNSF_6TensorESM_SM_EERKSM_lbbbEUlllE0_EEPmJS9_EEE10hipError_tPvRmT3_T4_T5_T6_T7_T9_mT8_P12ihipStream_tbDpT10_ENKUlT_T0_E_clISt17integral_constantIbLb0EES1C_EEDaS17_S18_EUlS17_E_NS1_11comp_targetILNS1_3genE4ELNS1_11target_archE910ELNS1_3gpuE8ELNS1_3repE0EEENS1_30default_config_static_selectorELNS0_4arch9wavefront6targetE1EEEvT1_
	.p2align	8
	.type	_ZN7rocprim17ROCPRIM_400000_NS6detail17trampoline_kernelINS0_14default_configENS1_25partition_config_selectorILNS1_17partition_subalgoE9EllbEEZZNS1_14partition_implILS5_9ELb0ES3_jPlS8_PNS0_10empty_typeENS0_5tupleIJS8_S9_EEENSB_IJS8_SA_EEENS0_18inequality_wrapperIZN2at6native12_GLOBAL__N_124unique_dim_cuda_templateIN3c104HalfEEESt5tupleIJNSF_6TensorESM_SM_EERKSM_lbbbEUlllE0_EEPmJS9_EEE10hipError_tPvRmT3_T4_T5_T6_T7_T9_mT8_P12ihipStream_tbDpT10_ENKUlT_T0_E_clISt17integral_constantIbLb0EES1C_EEDaS17_S18_EUlS17_E_NS1_11comp_targetILNS1_3genE4ELNS1_11target_archE910ELNS1_3gpuE8ELNS1_3repE0EEENS1_30default_config_static_selectorELNS0_4arch9wavefront6targetE1EEEvT1_,@function
_ZN7rocprim17ROCPRIM_400000_NS6detail17trampoline_kernelINS0_14default_configENS1_25partition_config_selectorILNS1_17partition_subalgoE9EllbEEZZNS1_14partition_implILS5_9ELb0ES3_jPlS8_PNS0_10empty_typeENS0_5tupleIJS8_S9_EEENSB_IJS8_SA_EEENS0_18inequality_wrapperIZN2at6native12_GLOBAL__N_124unique_dim_cuda_templateIN3c104HalfEEESt5tupleIJNSF_6TensorESM_SM_EERKSM_lbbbEUlllE0_EEPmJS9_EEE10hipError_tPvRmT3_T4_T5_T6_T7_T9_mT8_P12ihipStream_tbDpT10_ENKUlT_T0_E_clISt17integral_constantIbLb0EES1C_EEDaS17_S18_EUlS17_E_NS1_11comp_targetILNS1_3genE4ELNS1_11target_archE910ELNS1_3gpuE8ELNS1_3repE0EEENS1_30default_config_static_selectorELNS0_4arch9wavefront6targetE1EEEvT1_: ; @_ZN7rocprim17ROCPRIM_400000_NS6detail17trampoline_kernelINS0_14default_configENS1_25partition_config_selectorILNS1_17partition_subalgoE9EllbEEZZNS1_14partition_implILS5_9ELb0ES3_jPlS8_PNS0_10empty_typeENS0_5tupleIJS8_S9_EEENSB_IJS8_SA_EEENS0_18inequality_wrapperIZN2at6native12_GLOBAL__N_124unique_dim_cuda_templateIN3c104HalfEEESt5tupleIJNSF_6TensorESM_SM_EERKSM_lbbbEUlllE0_EEPmJS9_EEE10hipError_tPvRmT3_T4_T5_T6_T7_T9_mT8_P12ihipStream_tbDpT10_ENKUlT_T0_E_clISt17integral_constantIbLb0EES1C_EEDaS17_S18_EUlS17_E_NS1_11comp_targetILNS1_3genE4ELNS1_11target_archE910ELNS1_3gpuE8ELNS1_3repE0EEENS1_30default_config_static_selectorELNS0_4arch9wavefront6targetE1EEEvT1_
; %bb.0:
	.section	.rodata,"a",@progbits
	.p2align	6, 0x0
	.amdhsa_kernel _ZN7rocprim17ROCPRIM_400000_NS6detail17trampoline_kernelINS0_14default_configENS1_25partition_config_selectorILNS1_17partition_subalgoE9EllbEEZZNS1_14partition_implILS5_9ELb0ES3_jPlS8_PNS0_10empty_typeENS0_5tupleIJS8_S9_EEENSB_IJS8_SA_EEENS0_18inequality_wrapperIZN2at6native12_GLOBAL__N_124unique_dim_cuda_templateIN3c104HalfEEESt5tupleIJNSF_6TensorESM_SM_EERKSM_lbbbEUlllE0_EEPmJS9_EEE10hipError_tPvRmT3_T4_T5_T6_T7_T9_mT8_P12ihipStream_tbDpT10_ENKUlT_T0_E_clISt17integral_constantIbLb0EES1C_EEDaS17_S18_EUlS17_E_NS1_11comp_targetILNS1_3genE4ELNS1_11target_archE910ELNS1_3gpuE8ELNS1_3repE0EEENS1_30default_config_static_selectorELNS0_4arch9wavefront6targetE1EEEvT1_
		.amdhsa_group_segment_fixed_size 0
		.amdhsa_private_segment_fixed_size 0
		.amdhsa_kernarg_size 120
		.amdhsa_user_sgpr_count 2
		.amdhsa_user_sgpr_dispatch_ptr 0
		.amdhsa_user_sgpr_queue_ptr 0
		.amdhsa_user_sgpr_kernarg_segment_ptr 1
		.amdhsa_user_sgpr_dispatch_id 0
		.amdhsa_user_sgpr_kernarg_preload_length 0
		.amdhsa_user_sgpr_kernarg_preload_offset 0
		.amdhsa_user_sgpr_private_segment_size 0
		.amdhsa_uses_dynamic_stack 0
		.amdhsa_enable_private_segment 0
		.amdhsa_system_sgpr_workgroup_id_x 1
		.amdhsa_system_sgpr_workgroup_id_y 0
		.amdhsa_system_sgpr_workgroup_id_z 0
		.amdhsa_system_sgpr_workgroup_info 0
		.amdhsa_system_vgpr_workitem_id 0
		.amdhsa_next_free_vgpr 1
		.amdhsa_next_free_sgpr 0
		.amdhsa_accum_offset 4
		.amdhsa_reserve_vcc 0
		.amdhsa_float_round_mode_32 0
		.amdhsa_float_round_mode_16_64 0
		.amdhsa_float_denorm_mode_32 3
		.amdhsa_float_denorm_mode_16_64 3
		.amdhsa_dx10_clamp 1
		.amdhsa_ieee_mode 1
		.amdhsa_fp16_overflow 0
		.amdhsa_tg_split 0
		.amdhsa_exception_fp_ieee_invalid_op 0
		.amdhsa_exception_fp_denorm_src 0
		.amdhsa_exception_fp_ieee_div_zero 0
		.amdhsa_exception_fp_ieee_overflow 0
		.amdhsa_exception_fp_ieee_underflow 0
		.amdhsa_exception_fp_ieee_inexact 0
		.amdhsa_exception_int_div_zero 0
	.end_amdhsa_kernel
	.section	.text._ZN7rocprim17ROCPRIM_400000_NS6detail17trampoline_kernelINS0_14default_configENS1_25partition_config_selectorILNS1_17partition_subalgoE9EllbEEZZNS1_14partition_implILS5_9ELb0ES3_jPlS8_PNS0_10empty_typeENS0_5tupleIJS8_S9_EEENSB_IJS8_SA_EEENS0_18inequality_wrapperIZN2at6native12_GLOBAL__N_124unique_dim_cuda_templateIN3c104HalfEEESt5tupleIJNSF_6TensorESM_SM_EERKSM_lbbbEUlllE0_EEPmJS9_EEE10hipError_tPvRmT3_T4_T5_T6_T7_T9_mT8_P12ihipStream_tbDpT10_ENKUlT_T0_E_clISt17integral_constantIbLb0EES1C_EEDaS17_S18_EUlS17_E_NS1_11comp_targetILNS1_3genE4ELNS1_11target_archE910ELNS1_3gpuE8ELNS1_3repE0EEENS1_30default_config_static_selectorELNS0_4arch9wavefront6targetE1EEEvT1_,"axG",@progbits,_ZN7rocprim17ROCPRIM_400000_NS6detail17trampoline_kernelINS0_14default_configENS1_25partition_config_selectorILNS1_17partition_subalgoE9EllbEEZZNS1_14partition_implILS5_9ELb0ES3_jPlS8_PNS0_10empty_typeENS0_5tupleIJS8_S9_EEENSB_IJS8_SA_EEENS0_18inequality_wrapperIZN2at6native12_GLOBAL__N_124unique_dim_cuda_templateIN3c104HalfEEESt5tupleIJNSF_6TensorESM_SM_EERKSM_lbbbEUlllE0_EEPmJS9_EEE10hipError_tPvRmT3_T4_T5_T6_T7_T9_mT8_P12ihipStream_tbDpT10_ENKUlT_T0_E_clISt17integral_constantIbLb0EES1C_EEDaS17_S18_EUlS17_E_NS1_11comp_targetILNS1_3genE4ELNS1_11target_archE910ELNS1_3gpuE8ELNS1_3repE0EEENS1_30default_config_static_selectorELNS0_4arch9wavefront6targetE1EEEvT1_,comdat
.Lfunc_end1331:
	.size	_ZN7rocprim17ROCPRIM_400000_NS6detail17trampoline_kernelINS0_14default_configENS1_25partition_config_selectorILNS1_17partition_subalgoE9EllbEEZZNS1_14partition_implILS5_9ELb0ES3_jPlS8_PNS0_10empty_typeENS0_5tupleIJS8_S9_EEENSB_IJS8_SA_EEENS0_18inequality_wrapperIZN2at6native12_GLOBAL__N_124unique_dim_cuda_templateIN3c104HalfEEESt5tupleIJNSF_6TensorESM_SM_EERKSM_lbbbEUlllE0_EEPmJS9_EEE10hipError_tPvRmT3_T4_T5_T6_T7_T9_mT8_P12ihipStream_tbDpT10_ENKUlT_T0_E_clISt17integral_constantIbLb0EES1C_EEDaS17_S18_EUlS17_E_NS1_11comp_targetILNS1_3genE4ELNS1_11target_archE910ELNS1_3gpuE8ELNS1_3repE0EEENS1_30default_config_static_selectorELNS0_4arch9wavefront6targetE1EEEvT1_, .Lfunc_end1331-_ZN7rocprim17ROCPRIM_400000_NS6detail17trampoline_kernelINS0_14default_configENS1_25partition_config_selectorILNS1_17partition_subalgoE9EllbEEZZNS1_14partition_implILS5_9ELb0ES3_jPlS8_PNS0_10empty_typeENS0_5tupleIJS8_S9_EEENSB_IJS8_SA_EEENS0_18inequality_wrapperIZN2at6native12_GLOBAL__N_124unique_dim_cuda_templateIN3c104HalfEEESt5tupleIJNSF_6TensorESM_SM_EERKSM_lbbbEUlllE0_EEPmJS9_EEE10hipError_tPvRmT3_T4_T5_T6_T7_T9_mT8_P12ihipStream_tbDpT10_ENKUlT_T0_E_clISt17integral_constantIbLb0EES1C_EEDaS17_S18_EUlS17_E_NS1_11comp_targetILNS1_3genE4ELNS1_11target_archE910ELNS1_3gpuE8ELNS1_3repE0EEENS1_30default_config_static_selectorELNS0_4arch9wavefront6targetE1EEEvT1_
                                        ; -- End function
	.set _ZN7rocprim17ROCPRIM_400000_NS6detail17trampoline_kernelINS0_14default_configENS1_25partition_config_selectorILNS1_17partition_subalgoE9EllbEEZZNS1_14partition_implILS5_9ELb0ES3_jPlS8_PNS0_10empty_typeENS0_5tupleIJS8_S9_EEENSB_IJS8_SA_EEENS0_18inequality_wrapperIZN2at6native12_GLOBAL__N_124unique_dim_cuda_templateIN3c104HalfEEESt5tupleIJNSF_6TensorESM_SM_EERKSM_lbbbEUlllE0_EEPmJS9_EEE10hipError_tPvRmT3_T4_T5_T6_T7_T9_mT8_P12ihipStream_tbDpT10_ENKUlT_T0_E_clISt17integral_constantIbLb0EES1C_EEDaS17_S18_EUlS17_E_NS1_11comp_targetILNS1_3genE4ELNS1_11target_archE910ELNS1_3gpuE8ELNS1_3repE0EEENS1_30default_config_static_selectorELNS0_4arch9wavefront6targetE1EEEvT1_.num_vgpr, 0
	.set _ZN7rocprim17ROCPRIM_400000_NS6detail17trampoline_kernelINS0_14default_configENS1_25partition_config_selectorILNS1_17partition_subalgoE9EllbEEZZNS1_14partition_implILS5_9ELb0ES3_jPlS8_PNS0_10empty_typeENS0_5tupleIJS8_S9_EEENSB_IJS8_SA_EEENS0_18inequality_wrapperIZN2at6native12_GLOBAL__N_124unique_dim_cuda_templateIN3c104HalfEEESt5tupleIJNSF_6TensorESM_SM_EERKSM_lbbbEUlllE0_EEPmJS9_EEE10hipError_tPvRmT3_T4_T5_T6_T7_T9_mT8_P12ihipStream_tbDpT10_ENKUlT_T0_E_clISt17integral_constantIbLb0EES1C_EEDaS17_S18_EUlS17_E_NS1_11comp_targetILNS1_3genE4ELNS1_11target_archE910ELNS1_3gpuE8ELNS1_3repE0EEENS1_30default_config_static_selectorELNS0_4arch9wavefront6targetE1EEEvT1_.num_agpr, 0
	.set _ZN7rocprim17ROCPRIM_400000_NS6detail17trampoline_kernelINS0_14default_configENS1_25partition_config_selectorILNS1_17partition_subalgoE9EllbEEZZNS1_14partition_implILS5_9ELb0ES3_jPlS8_PNS0_10empty_typeENS0_5tupleIJS8_S9_EEENSB_IJS8_SA_EEENS0_18inequality_wrapperIZN2at6native12_GLOBAL__N_124unique_dim_cuda_templateIN3c104HalfEEESt5tupleIJNSF_6TensorESM_SM_EERKSM_lbbbEUlllE0_EEPmJS9_EEE10hipError_tPvRmT3_T4_T5_T6_T7_T9_mT8_P12ihipStream_tbDpT10_ENKUlT_T0_E_clISt17integral_constantIbLb0EES1C_EEDaS17_S18_EUlS17_E_NS1_11comp_targetILNS1_3genE4ELNS1_11target_archE910ELNS1_3gpuE8ELNS1_3repE0EEENS1_30default_config_static_selectorELNS0_4arch9wavefront6targetE1EEEvT1_.numbered_sgpr, 0
	.set _ZN7rocprim17ROCPRIM_400000_NS6detail17trampoline_kernelINS0_14default_configENS1_25partition_config_selectorILNS1_17partition_subalgoE9EllbEEZZNS1_14partition_implILS5_9ELb0ES3_jPlS8_PNS0_10empty_typeENS0_5tupleIJS8_S9_EEENSB_IJS8_SA_EEENS0_18inequality_wrapperIZN2at6native12_GLOBAL__N_124unique_dim_cuda_templateIN3c104HalfEEESt5tupleIJNSF_6TensorESM_SM_EERKSM_lbbbEUlllE0_EEPmJS9_EEE10hipError_tPvRmT3_T4_T5_T6_T7_T9_mT8_P12ihipStream_tbDpT10_ENKUlT_T0_E_clISt17integral_constantIbLb0EES1C_EEDaS17_S18_EUlS17_E_NS1_11comp_targetILNS1_3genE4ELNS1_11target_archE910ELNS1_3gpuE8ELNS1_3repE0EEENS1_30default_config_static_selectorELNS0_4arch9wavefront6targetE1EEEvT1_.num_named_barrier, 0
	.set _ZN7rocprim17ROCPRIM_400000_NS6detail17trampoline_kernelINS0_14default_configENS1_25partition_config_selectorILNS1_17partition_subalgoE9EllbEEZZNS1_14partition_implILS5_9ELb0ES3_jPlS8_PNS0_10empty_typeENS0_5tupleIJS8_S9_EEENSB_IJS8_SA_EEENS0_18inequality_wrapperIZN2at6native12_GLOBAL__N_124unique_dim_cuda_templateIN3c104HalfEEESt5tupleIJNSF_6TensorESM_SM_EERKSM_lbbbEUlllE0_EEPmJS9_EEE10hipError_tPvRmT3_T4_T5_T6_T7_T9_mT8_P12ihipStream_tbDpT10_ENKUlT_T0_E_clISt17integral_constantIbLb0EES1C_EEDaS17_S18_EUlS17_E_NS1_11comp_targetILNS1_3genE4ELNS1_11target_archE910ELNS1_3gpuE8ELNS1_3repE0EEENS1_30default_config_static_selectorELNS0_4arch9wavefront6targetE1EEEvT1_.private_seg_size, 0
	.set _ZN7rocprim17ROCPRIM_400000_NS6detail17trampoline_kernelINS0_14default_configENS1_25partition_config_selectorILNS1_17partition_subalgoE9EllbEEZZNS1_14partition_implILS5_9ELb0ES3_jPlS8_PNS0_10empty_typeENS0_5tupleIJS8_S9_EEENSB_IJS8_SA_EEENS0_18inequality_wrapperIZN2at6native12_GLOBAL__N_124unique_dim_cuda_templateIN3c104HalfEEESt5tupleIJNSF_6TensorESM_SM_EERKSM_lbbbEUlllE0_EEPmJS9_EEE10hipError_tPvRmT3_T4_T5_T6_T7_T9_mT8_P12ihipStream_tbDpT10_ENKUlT_T0_E_clISt17integral_constantIbLb0EES1C_EEDaS17_S18_EUlS17_E_NS1_11comp_targetILNS1_3genE4ELNS1_11target_archE910ELNS1_3gpuE8ELNS1_3repE0EEENS1_30default_config_static_selectorELNS0_4arch9wavefront6targetE1EEEvT1_.uses_vcc, 0
	.set _ZN7rocprim17ROCPRIM_400000_NS6detail17trampoline_kernelINS0_14default_configENS1_25partition_config_selectorILNS1_17partition_subalgoE9EllbEEZZNS1_14partition_implILS5_9ELb0ES3_jPlS8_PNS0_10empty_typeENS0_5tupleIJS8_S9_EEENSB_IJS8_SA_EEENS0_18inequality_wrapperIZN2at6native12_GLOBAL__N_124unique_dim_cuda_templateIN3c104HalfEEESt5tupleIJNSF_6TensorESM_SM_EERKSM_lbbbEUlllE0_EEPmJS9_EEE10hipError_tPvRmT3_T4_T5_T6_T7_T9_mT8_P12ihipStream_tbDpT10_ENKUlT_T0_E_clISt17integral_constantIbLb0EES1C_EEDaS17_S18_EUlS17_E_NS1_11comp_targetILNS1_3genE4ELNS1_11target_archE910ELNS1_3gpuE8ELNS1_3repE0EEENS1_30default_config_static_selectorELNS0_4arch9wavefront6targetE1EEEvT1_.uses_flat_scratch, 0
	.set _ZN7rocprim17ROCPRIM_400000_NS6detail17trampoline_kernelINS0_14default_configENS1_25partition_config_selectorILNS1_17partition_subalgoE9EllbEEZZNS1_14partition_implILS5_9ELb0ES3_jPlS8_PNS0_10empty_typeENS0_5tupleIJS8_S9_EEENSB_IJS8_SA_EEENS0_18inequality_wrapperIZN2at6native12_GLOBAL__N_124unique_dim_cuda_templateIN3c104HalfEEESt5tupleIJNSF_6TensorESM_SM_EERKSM_lbbbEUlllE0_EEPmJS9_EEE10hipError_tPvRmT3_T4_T5_T6_T7_T9_mT8_P12ihipStream_tbDpT10_ENKUlT_T0_E_clISt17integral_constantIbLb0EES1C_EEDaS17_S18_EUlS17_E_NS1_11comp_targetILNS1_3genE4ELNS1_11target_archE910ELNS1_3gpuE8ELNS1_3repE0EEENS1_30default_config_static_selectorELNS0_4arch9wavefront6targetE1EEEvT1_.has_dyn_sized_stack, 0
	.set _ZN7rocprim17ROCPRIM_400000_NS6detail17trampoline_kernelINS0_14default_configENS1_25partition_config_selectorILNS1_17partition_subalgoE9EllbEEZZNS1_14partition_implILS5_9ELb0ES3_jPlS8_PNS0_10empty_typeENS0_5tupleIJS8_S9_EEENSB_IJS8_SA_EEENS0_18inequality_wrapperIZN2at6native12_GLOBAL__N_124unique_dim_cuda_templateIN3c104HalfEEESt5tupleIJNSF_6TensorESM_SM_EERKSM_lbbbEUlllE0_EEPmJS9_EEE10hipError_tPvRmT3_T4_T5_T6_T7_T9_mT8_P12ihipStream_tbDpT10_ENKUlT_T0_E_clISt17integral_constantIbLb0EES1C_EEDaS17_S18_EUlS17_E_NS1_11comp_targetILNS1_3genE4ELNS1_11target_archE910ELNS1_3gpuE8ELNS1_3repE0EEENS1_30default_config_static_selectorELNS0_4arch9wavefront6targetE1EEEvT1_.has_recursion, 0
	.set _ZN7rocprim17ROCPRIM_400000_NS6detail17trampoline_kernelINS0_14default_configENS1_25partition_config_selectorILNS1_17partition_subalgoE9EllbEEZZNS1_14partition_implILS5_9ELb0ES3_jPlS8_PNS0_10empty_typeENS0_5tupleIJS8_S9_EEENSB_IJS8_SA_EEENS0_18inequality_wrapperIZN2at6native12_GLOBAL__N_124unique_dim_cuda_templateIN3c104HalfEEESt5tupleIJNSF_6TensorESM_SM_EERKSM_lbbbEUlllE0_EEPmJS9_EEE10hipError_tPvRmT3_T4_T5_T6_T7_T9_mT8_P12ihipStream_tbDpT10_ENKUlT_T0_E_clISt17integral_constantIbLb0EES1C_EEDaS17_S18_EUlS17_E_NS1_11comp_targetILNS1_3genE4ELNS1_11target_archE910ELNS1_3gpuE8ELNS1_3repE0EEENS1_30default_config_static_selectorELNS0_4arch9wavefront6targetE1EEEvT1_.has_indirect_call, 0
	.section	.AMDGPU.csdata,"",@progbits
; Kernel info:
; codeLenInByte = 0
; TotalNumSgprs: 6
; NumVgprs: 0
; NumAgprs: 0
; TotalNumVgprs: 0
; ScratchSize: 0
; MemoryBound: 0
; FloatMode: 240
; IeeeMode: 1
; LDSByteSize: 0 bytes/workgroup (compile time only)
; SGPRBlocks: 0
; VGPRBlocks: 0
; NumSGPRsForWavesPerEU: 6
; NumVGPRsForWavesPerEU: 1
; AccumOffset: 4
; Occupancy: 8
; WaveLimiterHint : 0
; COMPUTE_PGM_RSRC2:SCRATCH_EN: 0
; COMPUTE_PGM_RSRC2:USER_SGPR: 2
; COMPUTE_PGM_RSRC2:TRAP_HANDLER: 0
; COMPUTE_PGM_RSRC2:TGID_X_EN: 1
; COMPUTE_PGM_RSRC2:TGID_Y_EN: 0
; COMPUTE_PGM_RSRC2:TGID_Z_EN: 0
; COMPUTE_PGM_RSRC2:TIDIG_COMP_CNT: 0
; COMPUTE_PGM_RSRC3_GFX90A:ACCUM_OFFSET: 0
; COMPUTE_PGM_RSRC3_GFX90A:TG_SPLIT: 0
	.section	.text._ZN7rocprim17ROCPRIM_400000_NS6detail17trampoline_kernelINS0_14default_configENS1_25partition_config_selectorILNS1_17partition_subalgoE9EllbEEZZNS1_14partition_implILS5_9ELb0ES3_jPlS8_PNS0_10empty_typeENS0_5tupleIJS8_S9_EEENSB_IJS8_SA_EEENS0_18inequality_wrapperIZN2at6native12_GLOBAL__N_124unique_dim_cuda_templateIN3c104HalfEEESt5tupleIJNSF_6TensorESM_SM_EERKSM_lbbbEUlllE0_EEPmJS9_EEE10hipError_tPvRmT3_T4_T5_T6_T7_T9_mT8_P12ihipStream_tbDpT10_ENKUlT_T0_E_clISt17integral_constantIbLb0EES1C_EEDaS17_S18_EUlS17_E_NS1_11comp_targetILNS1_3genE3ELNS1_11target_archE908ELNS1_3gpuE7ELNS1_3repE0EEENS1_30default_config_static_selectorELNS0_4arch9wavefront6targetE1EEEvT1_,"axG",@progbits,_ZN7rocprim17ROCPRIM_400000_NS6detail17trampoline_kernelINS0_14default_configENS1_25partition_config_selectorILNS1_17partition_subalgoE9EllbEEZZNS1_14partition_implILS5_9ELb0ES3_jPlS8_PNS0_10empty_typeENS0_5tupleIJS8_S9_EEENSB_IJS8_SA_EEENS0_18inequality_wrapperIZN2at6native12_GLOBAL__N_124unique_dim_cuda_templateIN3c104HalfEEESt5tupleIJNSF_6TensorESM_SM_EERKSM_lbbbEUlllE0_EEPmJS9_EEE10hipError_tPvRmT3_T4_T5_T6_T7_T9_mT8_P12ihipStream_tbDpT10_ENKUlT_T0_E_clISt17integral_constantIbLb0EES1C_EEDaS17_S18_EUlS17_E_NS1_11comp_targetILNS1_3genE3ELNS1_11target_archE908ELNS1_3gpuE7ELNS1_3repE0EEENS1_30default_config_static_selectorELNS0_4arch9wavefront6targetE1EEEvT1_,comdat
	.globl	_ZN7rocprim17ROCPRIM_400000_NS6detail17trampoline_kernelINS0_14default_configENS1_25partition_config_selectorILNS1_17partition_subalgoE9EllbEEZZNS1_14partition_implILS5_9ELb0ES3_jPlS8_PNS0_10empty_typeENS0_5tupleIJS8_S9_EEENSB_IJS8_SA_EEENS0_18inequality_wrapperIZN2at6native12_GLOBAL__N_124unique_dim_cuda_templateIN3c104HalfEEESt5tupleIJNSF_6TensorESM_SM_EERKSM_lbbbEUlllE0_EEPmJS9_EEE10hipError_tPvRmT3_T4_T5_T6_T7_T9_mT8_P12ihipStream_tbDpT10_ENKUlT_T0_E_clISt17integral_constantIbLb0EES1C_EEDaS17_S18_EUlS17_E_NS1_11comp_targetILNS1_3genE3ELNS1_11target_archE908ELNS1_3gpuE7ELNS1_3repE0EEENS1_30default_config_static_selectorELNS0_4arch9wavefront6targetE1EEEvT1_ ; -- Begin function _ZN7rocprim17ROCPRIM_400000_NS6detail17trampoline_kernelINS0_14default_configENS1_25partition_config_selectorILNS1_17partition_subalgoE9EllbEEZZNS1_14partition_implILS5_9ELb0ES3_jPlS8_PNS0_10empty_typeENS0_5tupleIJS8_S9_EEENSB_IJS8_SA_EEENS0_18inequality_wrapperIZN2at6native12_GLOBAL__N_124unique_dim_cuda_templateIN3c104HalfEEESt5tupleIJNSF_6TensorESM_SM_EERKSM_lbbbEUlllE0_EEPmJS9_EEE10hipError_tPvRmT3_T4_T5_T6_T7_T9_mT8_P12ihipStream_tbDpT10_ENKUlT_T0_E_clISt17integral_constantIbLb0EES1C_EEDaS17_S18_EUlS17_E_NS1_11comp_targetILNS1_3genE3ELNS1_11target_archE908ELNS1_3gpuE7ELNS1_3repE0EEENS1_30default_config_static_selectorELNS0_4arch9wavefront6targetE1EEEvT1_
	.p2align	8
	.type	_ZN7rocprim17ROCPRIM_400000_NS6detail17trampoline_kernelINS0_14default_configENS1_25partition_config_selectorILNS1_17partition_subalgoE9EllbEEZZNS1_14partition_implILS5_9ELb0ES3_jPlS8_PNS0_10empty_typeENS0_5tupleIJS8_S9_EEENSB_IJS8_SA_EEENS0_18inequality_wrapperIZN2at6native12_GLOBAL__N_124unique_dim_cuda_templateIN3c104HalfEEESt5tupleIJNSF_6TensorESM_SM_EERKSM_lbbbEUlllE0_EEPmJS9_EEE10hipError_tPvRmT3_T4_T5_T6_T7_T9_mT8_P12ihipStream_tbDpT10_ENKUlT_T0_E_clISt17integral_constantIbLb0EES1C_EEDaS17_S18_EUlS17_E_NS1_11comp_targetILNS1_3genE3ELNS1_11target_archE908ELNS1_3gpuE7ELNS1_3repE0EEENS1_30default_config_static_selectorELNS0_4arch9wavefront6targetE1EEEvT1_,@function
_ZN7rocprim17ROCPRIM_400000_NS6detail17trampoline_kernelINS0_14default_configENS1_25partition_config_selectorILNS1_17partition_subalgoE9EllbEEZZNS1_14partition_implILS5_9ELb0ES3_jPlS8_PNS0_10empty_typeENS0_5tupleIJS8_S9_EEENSB_IJS8_SA_EEENS0_18inequality_wrapperIZN2at6native12_GLOBAL__N_124unique_dim_cuda_templateIN3c104HalfEEESt5tupleIJNSF_6TensorESM_SM_EERKSM_lbbbEUlllE0_EEPmJS9_EEE10hipError_tPvRmT3_T4_T5_T6_T7_T9_mT8_P12ihipStream_tbDpT10_ENKUlT_T0_E_clISt17integral_constantIbLb0EES1C_EEDaS17_S18_EUlS17_E_NS1_11comp_targetILNS1_3genE3ELNS1_11target_archE908ELNS1_3gpuE7ELNS1_3repE0EEENS1_30default_config_static_selectorELNS0_4arch9wavefront6targetE1EEEvT1_: ; @_ZN7rocprim17ROCPRIM_400000_NS6detail17trampoline_kernelINS0_14default_configENS1_25partition_config_selectorILNS1_17partition_subalgoE9EllbEEZZNS1_14partition_implILS5_9ELb0ES3_jPlS8_PNS0_10empty_typeENS0_5tupleIJS8_S9_EEENSB_IJS8_SA_EEENS0_18inequality_wrapperIZN2at6native12_GLOBAL__N_124unique_dim_cuda_templateIN3c104HalfEEESt5tupleIJNSF_6TensorESM_SM_EERKSM_lbbbEUlllE0_EEPmJS9_EEE10hipError_tPvRmT3_T4_T5_T6_T7_T9_mT8_P12ihipStream_tbDpT10_ENKUlT_T0_E_clISt17integral_constantIbLb0EES1C_EEDaS17_S18_EUlS17_E_NS1_11comp_targetILNS1_3genE3ELNS1_11target_archE908ELNS1_3gpuE7ELNS1_3repE0EEENS1_30default_config_static_selectorELNS0_4arch9wavefront6targetE1EEEvT1_
; %bb.0:
	.section	.rodata,"a",@progbits
	.p2align	6, 0x0
	.amdhsa_kernel _ZN7rocprim17ROCPRIM_400000_NS6detail17trampoline_kernelINS0_14default_configENS1_25partition_config_selectorILNS1_17partition_subalgoE9EllbEEZZNS1_14partition_implILS5_9ELb0ES3_jPlS8_PNS0_10empty_typeENS0_5tupleIJS8_S9_EEENSB_IJS8_SA_EEENS0_18inequality_wrapperIZN2at6native12_GLOBAL__N_124unique_dim_cuda_templateIN3c104HalfEEESt5tupleIJNSF_6TensorESM_SM_EERKSM_lbbbEUlllE0_EEPmJS9_EEE10hipError_tPvRmT3_T4_T5_T6_T7_T9_mT8_P12ihipStream_tbDpT10_ENKUlT_T0_E_clISt17integral_constantIbLb0EES1C_EEDaS17_S18_EUlS17_E_NS1_11comp_targetILNS1_3genE3ELNS1_11target_archE908ELNS1_3gpuE7ELNS1_3repE0EEENS1_30default_config_static_selectorELNS0_4arch9wavefront6targetE1EEEvT1_
		.amdhsa_group_segment_fixed_size 0
		.amdhsa_private_segment_fixed_size 0
		.amdhsa_kernarg_size 120
		.amdhsa_user_sgpr_count 2
		.amdhsa_user_sgpr_dispatch_ptr 0
		.amdhsa_user_sgpr_queue_ptr 0
		.amdhsa_user_sgpr_kernarg_segment_ptr 1
		.amdhsa_user_sgpr_dispatch_id 0
		.amdhsa_user_sgpr_kernarg_preload_length 0
		.amdhsa_user_sgpr_kernarg_preload_offset 0
		.amdhsa_user_sgpr_private_segment_size 0
		.amdhsa_uses_dynamic_stack 0
		.amdhsa_enable_private_segment 0
		.amdhsa_system_sgpr_workgroup_id_x 1
		.amdhsa_system_sgpr_workgroup_id_y 0
		.amdhsa_system_sgpr_workgroup_id_z 0
		.amdhsa_system_sgpr_workgroup_info 0
		.amdhsa_system_vgpr_workitem_id 0
		.amdhsa_next_free_vgpr 1
		.amdhsa_next_free_sgpr 0
		.amdhsa_accum_offset 4
		.amdhsa_reserve_vcc 0
		.amdhsa_float_round_mode_32 0
		.amdhsa_float_round_mode_16_64 0
		.amdhsa_float_denorm_mode_32 3
		.amdhsa_float_denorm_mode_16_64 3
		.amdhsa_dx10_clamp 1
		.amdhsa_ieee_mode 1
		.amdhsa_fp16_overflow 0
		.amdhsa_tg_split 0
		.amdhsa_exception_fp_ieee_invalid_op 0
		.amdhsa_exception_fp_denorm_src 0
		.amdhsa_exception_fp_ieee_div_zero 0
		.amdhsa_exception_fp_ieee_overflow 0
		.amdhsa_exception_fp_ieee_underflow 0
		.amdhsa_exception_fp_ieee_inexact 0
		.amdhsa_exception_int_div_zero 0
	.end_amdhsa_kernel
	.section	.text._ZN7rocprim17ROCPRIM_400000_NS6detail17trampoline_kernelINS0_14default_configENS1_25partition_config_selectorILNS1_17partition_subalgoE9EllbEEZZNS1_14partition_implILS5_9ELb0ES3_jPlS8_PNS0_10empty_typeENS0_5tupleIJS8_S9_EEENSB_IJS8_SA_EEENS0_18inequality_wrapperIZN2at6native12_GLOBAL__N_124unique_dim_cuda_templateIN3c104HalfEEESt5tupleIJNSF_6TensorESM_SM_EERKSM_lbbbEUlllE0_EEPmJS9_EEE10hipError_tPvRmT3_T4_T5_T6_T7_T9_mT8_P12ihipStream_tbDpT10_ENKUlT_T0_E_clISt17integral_constantIbLb0EES1C_EEDaS17_S18_EUlS17_E_NS1_11comp_targetILNS1_3genE3ELNS1_11target_archE908ELNS1_3gpuE7ELNS1_3repE0EEENS1_30default_config_static_selectorELNS0_4arch9wavefront6targetE1EEEvT1_,"axG",@progbits,_ZN7rocprim17ROCPRIM_400000_NS6detail17trampoline_kernelINS0_14default_configENS1_25partition_config_selectorILNS1_17partition_subalgoE9EllbEEZZNS1_14partition_implILS5_9ELb0ES3_jPlS8_PNS0_10empty_typeENS0_5tupleIJS8_S9_EEENSB_IJS8_SA_EEENS0_18inequality_wrapperIZN2at6native12_GLOBAL__N_124unique_dim_cuda_templateIN3c104HalfEEESt5tupleIJNSF_6TensorESM_SM_EERKSM_lbbbEUlllE0_EEPmJS9_EEE10hipError_tPvRmT3_T4_T5_T6_T7_T9_mT8_P12ihipStream_tbDpT10_ENKUlT_T0_E_clISt17integral_constantIbLb0EES1C_EEDaS17_S18_EUlS17_E_NS1_11comp_targetILNS1_3genE3ELNS1_11target_archE908ELNS1_3gpuE7ELNS1_3repE0EEENS1_30default_config_static_selectorELNS0_4arch9wavefront6targetE1EEEvT1_,comdat
.Lfunc_end1332:
	.size	_ZN7rocprim17ROCPRIM_400000_NS6detail17trampoline_kernelINS0_14default_configENS1_25partition_config_selectorILNS1_17partition_subalgoE9EllbEEZZNS1_14partition_implILS5_9ELb0ES3_jPlS8_PNS0_10empty_typeENS0_5tupleIJS8_S9_EEENSB_IJS8_SA_EEENS0_18inequality_wrapperIZN2at6native12_GLOBAL__N_124unique_dim_cuda_templateIN3c104HalfEEESt5tupleIJNSF_6TensorESM_SM_EERKSM_lbbbEUlllE0_EEPmJS9_EEE10hipError_tPvRmT3_T4_T5_T6_T7_T9_mT8_P12ihipStream_tbDpT10_ENKUlT_T0_E_clISt17integral_constantIbLb0EES1C_EEDaS17_S18_EUlS17_E_NS1_11comp_targetILNS1_3genE3ELNS1_11target_archE908ELNS1_3gpuE7ELNS1_3repE0EEENS1_30default_config_static_selectorELNS0_4arch9wavefront6targetE1EEEvT1_, .Lfunc_end1332-_ZN7rocprim17ROCPRIM_400000_NS6detail17trampoline_kernelINS0_14default_configENS1_25partition_config_selectorILNS1_17partition_subalgoE9EllbEEZZNS1_14partition_implILS5_9ELb0ES3_jPlS8_PNS0_10empty_typeENS0_5tupleIJS8_S9_EEENSB_IJS8_SA_EEENS0_18inequality_wrapperIZN2at6native12_GLOBAL__N_124unique_dim_cuda_templateIN3c104HalfEEESt5tupleIJNSF_6TensorESM_SM_EERKSM_lbbbEUlllE0_EEPmJS9_EEE10hipError_tPvRmT3_T4_T5_T6_T7_T9_mT8_P12ihipStream_tbDpT10_ENKUlT_T0_E_clISt17integral_constantIbLb0EES1C_EEDaS17_S18_EUlS17_E_NS1_11comp_targetILNS1_3genE3ELNS1_11target_archE908ELNS1_3gpuE7ELNS1_3repE0EEENS1_30default_config_static_selectorELNS0_4arch9wavefront6targetE1EEEvT1_
                                        ; -- End function
	.set _ZN7rocprim17ROCPRIM_400000_NS6detail17trampoline_kernelINS0_14default_configENS1_25partition_config_selectorILNS1_17partition_subalgoE9EllbEEZZNS1_14partition_implILS5_9ELb0ES3_jPlS8_PNS0_10empty_typeENS0_5tupleIJS8_S9_EEENSB_IJS8_SA_EEENS0_18inequality_wrapperIZN2at6native12_GLOBAL__N_124unique_dim_cuda_templateIN3c104HalfEEESt5tupleIJNSF_6TensorESM_SM_EERKSM_lbbbEUlllE0_EEPmJS9_EEE10hipError_tPvRmT3_T4_T5_T6_T7_T9_mT8_P12ihipStream_tbDpT10_ENKUlT_T0_E_clISt17integral_constantIbLb0EES1C_EEDaS17_S18_EUlS17_E_NS1_11comp_targetILNS1_3genE3ELNS1_11target_archE908ELNS1_3gpuE7ELNS1_3repE0EEENS1_30default_config_static_selectorELNS0_4arch9wavefront6targetE1EEEvT1_.num_vgpr, 0
	.set _ZN7rocprim17ROCPRIM_400000_NS6detail17trampoline_kernelINS0_14default_configENS1_25partition_config_selectorILNS1_17partition_subalgoE9EllbEEZZNS1_14partition_implILS5_9ELb0ES3_jPlS8_PNS0_10empty_typeENS0_5tupleIJS8_S9_EEENSB_IJS8_SA_EEENS0_18inequality_wrapperIZN2at6native12_GLOBAL__N_124unique_dim_cuda_templateIN3c104HalfEEESt5tupleIJNSF_6TensorESM_SM_EERKSM_lbbbEUlllE0_EEPmJS9_EEE10hipError_tPvRmT3_T4_T5_T6_T7_T9_mT8_P12ihipStream_tbDpT10_ENKUlT_T0_E_clISt17integral_constantIbLb0EES1C_EEDaS17_S18_EUlS17_E_NS1_11comp_targetILNS1_3genE3ELNS1_11target_archE908ELNS1_3gpuE7ELNS1_3repE0EEENS1_30default_config_static_selectorELNS0_4arch9wavefront6targetE1EEEvT1_.num_agpr, 0
	.set _ZN7rocprim17ROCPRIM_400000_NS6detail17trampoline_kernelINS0_14default_configENS1_25partition_config_selectorILNS1_17partition_subalgoE9EllbEEZZNS1_14partition_implILS5_9ELb0ES3_jPlS8_PNS0_10empty_typeENS0_5tupleIJS8_S9_EEENSB_IJS8_SA_EEENS0_18inequality_wrapperIZN2at6native12_GLOBAL__N_124unique_dim_cuda_templateIN3c104HalfEEESt5tupleIJNSF_6TensorESM_SM_EERKSM_lbbbEUlllE0_EEPmJS9_EEE10hipError_tPvRmT3_T4_T5_T6_T7_T9_mT8_P12ihipStream_tbDpT10_ENKUlT_T0_E_clISt17integral_constantIbLb0EES1C_EEDaS17_S18_EUlS17_E_NS1_11comp_targetILNS1_3genE3ELNS1_11target_archE908ELNS1_3gpuE7ELNS1_3repE0EEENS1_30default_config_static_selectorELNS0_4arch9wavefront6targetE1EEEvT1_.numbered_sgpr, 0
	.set _ZN7rocprim17ROCPRIM_400000_NS6detail17trampoline_kernelINS0_14default_configENS1_25partition_config_selectorILNS1_17partition_subalgoE9EllbEEZZNS1_14partition_implILS5_9ELb0ES3_jPlS8_PNS0_10empty_typeENS0_5tupleIJS8_S9_EEENSB_IJS8_SA_EEENS0_18inequality_wrapperIZN2at6native12_GLOBAL__N_124unique_dim_cuda_templateIN3c104HalfEEESt5tupleIJNSF_6TensorESM_SM_EERKSM_lbbbEUlllE0_EEPmJS9_EEE10hipError_tPvRmT3_T4_T5_T6_T7_T9_mT8_P12ihipStream_tbDpT10_ENKUlT_T0_E_clISt17integral_constantIbLb0EES1C_EEDaS17_S18_EUlS17_E_NS1_11comp_targetILNS1_3genE3ELNS1_11target_archE908ELNS1_3gpuE7ELNS1_3repE0EEENS1_30default_config_static_selectorELNS0_4arch9wavefront6targetE1EEEvT1_.num_named_barrier, 0
	.set _ZN7rocprim17ROCPRIM_400000_NS6detail17trampoline_kernelINS0_14default_configENS1_25partition_config_selectorILNS1_17partition_subalgoE9EllbEEZZNS1_14partition_implILS5_9ELb0ES3_jPlS8_PNS0_10empty_typeENS0_5tupleIJS8_S9_EEENSB_IJS8_SA_EEENS0_18inequality_wrapperIZN2at6native12_GLOBAL__N_124unique_dim_cuda_templateIN3c104HalfEEESt5tupleIJNSF_6TensorESM_SM_EERKSM_lbbbEUlllE0_EEPmJS9_EEE10hipError_tPvRmT3_T4_T5_T6_T7_T9_mT8_P12ihipStream_tbDpT10_ENKUlT_T0_E_clISt17integral_constantIbLb0EES1C_EEDaS17_S18_EUlS17_E_NS1_11comp_targetILNS1_3genE3ELNS1_11target_archE908ELNS1_3gpuE7ELNS1_3repE0EEENS1_30default_config_static_selectorELNS0_4arch9wavefront6targetE1EEEvT1_.private_seg_size, 0
	.set _ZN7rocprim17ROCPRIM_400000_NS6detail17trampoline_kernelINS0_14default_configENS1_25partition_config_selectorILNS1_17partition_subalgoE9EllbEEZZNS1_14partition_implILS5_9ELb0ES3_jPlS8_PNS0_10empty_typeENS0_5tupleIJS8_S9_EEENSB_IJS8_SA_EEENS0_18inequality_wrapperIZN2at6native12_GLOBAL__N_124unique_dim_cuda_templateIN3c104HalfEEESt5tupleIJNSF_6TensorESM_SM_EERKSM_lbbbEUlllE0_EEPmJS9_EEE10hipError_tPvRmT3_T4_T5_T6_T7_T9_mT8_P12ihipStream_tbDpT10_ENKUlT_T0_E_clISt17integral_constantIbLb0EES1C_EEDaS17_S18_EUlS17_E_NS1_11comp_targetILNS1_3genE3ELNS1_11target_archE908ELNS1_3gpuE7ELNS1_3repE0EEENS1_30default_config_static_selectorELNS0_4arch9wavefront6targetE1EEEvT1_.uses_vcc, 0
	.set _ZN7rocprim17ROCPRIM_400000_NS6detail17trampoline_kernelINS0_14default_configENS1_25partition_config_selectorILNS1_17partition_subalgoE9EllbEEZZNS1_14partition_implILS5_9ELb0ES3_jPlS8_PNS0_10empty_typeENS0_5tupleIJS8_S9_EEENSB_IJS8_SA_EEENS0_18inequality_wrapperIZN2at6native12_GLOBAL__N_124unique_dim_cuda_templateIN3c104HalfEEESt5tupleIJNSF_6TensorESM_SM_EERKSM_lbbbEUlllE0_EEPmJS9_EEE10hipError_tPvRmT3_T4_T5_T6_T7_T9_mT8_P12ihipStream_tbDpT10_ENKUlT_T0_E_clISt17integral_constantIbLb0EES1C_EEDaS17_S18_EUlS17_E_NS1_11comp_targetILNS1_3genE3ELNS1_11target_archE908ELNS1_3gpuE7ELNS1_3repE0EEENS1_30default_config_static_selectorELNS0_4arch9wavefront6targetE1EEEvT1_.uses_flat_scratch, 0
	.set _ZN7rocprim17ROCPRIM_400000_NS6detail17trampoline_kernelINS0_14default_configENS1_25partition_config_selectorILNS1_17partition_subalgoE9EllbEEZZNS1_14partition_implILS5_9ELb0ES3_jPlS8_PNS0_10empty_typeENS0_5tupleIJS8_S9_EEENSB_IJS8_SA_EEENS0_18inequality_wrapperIZN2at6native12_GLOBAL__N_124unique_dim_cuda_templateIN3c104HalfEEESt5tupleIJNSF_6TensorESM_SM_EERKSM_lbbbEUlllE0_EEPmJS9_EEE10hipError_tPvRmT3_T4_T5_T6_T7_T9_mT8_P12ihipStream_tbDpT10_ENKUlT_T0_E_clISt17integral_constantIbLb0EES1C_EEDaS17_S18_EUlS17_E_NS1_11comp_targetILNS1_3genE3ELNS1_11target_archE908ELNS1_3gpuE7ELNS1_3repE0EEENS1_30default_config_static_selectorELNS0_4arch9wavefront6targetE1EEEvT1_.has_dyn_sized_stack, 0
	.set _ZN7rocprim17ROCPRIM_400000_NS6detail17trampoline_kernelINS0_14default_configENS1_25partition_config_selectorILNS1_17partition_subalgoE9EllbEEZZNS1_14partition_implILS5_9ELb0ES3_jPlS8_PNS0_10empty_typeENS0_5tupleIJS8_S9_EEENSB_IJS8_SA_EEENS0_18inequality_wrapperIZN2at6native12_GLOBAL__N_124unique_dim_cuda_templateIN3c104HalfEEESt5tupleIJNSF_6TensorESM_SM_EERKSM_lbbbEUlllE0_EEPmJS9_EEE10hipError_tPvRmT3_T4_T5_T6_T7_T9_mT8_P12ihipStream_tbDpT10_ENKUlT_T0_E_clISt17integral_constantIbLb0EES1C_EEDaS17_S18_EUlS17_E_NS1_11comp_targetILNS1_3genE3ELNS1_11target_archE908ELNS1_3gpuE7ELNS1_3repE0EEENS1_30default_config_static_selectorELNS0_4arch9wavefront6targetE1EEEvT1_.has_recursion, 0
	.set _ZN7rocprim17ROCPRIM_400000_NS6detail17trampoline_kernelINS0_14default_configENS1_25partition_config_selectorILNS1_17partition_subalgoE9EllbEEZZNS1_14partition_implILS5_9ELb0ES3_jPlS8_PNS0_10empty_typeENS0_5tupleIJS8_S9_EEENSB_IJS8_SA_EEENS0_18inequality_wrapperIZN2at6native12_GLOBAL__N_124unique_dim_cuda_templateIN3c104HalfEEESt5tupleIJNSF_6TensorESM_SM_EERKSM_lbbbEUlllE0_EEPmJS9_EEE10hipError_tPvRmT3_T4_T5_T6_T7_T9_mT8_P12ihipStream_tbDpT10_ENKUlT_T0_E_clISt17integral_constantIbLb0EES1C_EEDaS17_S18_EUlS17_E_NS1_11comp_targetILNS1_3genE3ELNS1_11target_archE908ELNS1_3gpuE7ELNS1_3repE0EEENS1_30default_config_static_selectorELNS0_4arch9wavefront6targetE1EEEvT1_.has_indirect_call, 0
	.section	.AMDGPU.csdata,"",@progbits
; Kernel info:
; codeLenInByte = 0
; TotalNumSgprs: 6
; NumVgprs: 0
; NumAgprs: 0
; TotalNumVgprs: 0
; ScratchSize: 0
; MemoryBound: 0
; FloatMode: 240
; IeeeMode: 1
; LDSByteSize: 0 bytes/workgroup (compile time only)
; SGPRBlocks: 0
; VGPRBlocks: 0
; NumSGPRsForWavesPerEU: 6
; NumVGPRsForWavesPerEU: 1
; AccumOffset: 4
; Occupancy: 8
; WaveLimiterHint : 0
; COMPUTE_PGM_RSRC2:SCRATCH_EN: 0
; COMPUTE_PGM_RSRC2:USER_SGPR: 2
; COMPUTE_PGM_RSRC2:TRAP_HANDLER: 0
; COMPUTE_PGM_RSRC2:TGID_X_EN: 1
; COMPUTE_PGM_RSRC2:TGID_Y_EN: 0
; COMPUTE_PGM_RSRC2:TGID_Z_EN: 0
; COMPUTE_PGM_RSRC2:TIDIG_COMP_CNT: 0
; COMPUTE_PGM_RSRC3_GFX90A:ACCUM_OFFSET: 0
; COMPUTE_PGM_RSRC3_GFX90A:TG_SPLIT: 0
	.section	.text._ZN7rocprim17ROCPRIM_400000_NS6detail17trampoline_kernelINS0_14default_configENS1_25partition_config_selectorILNS1_17partition_subalgoE9EllbEEZZNS1_14partition_implILS5_9ELb0ES3_jPlS8_PNS0_10empty_typeENS0_5tupleIJS8_S9_EEENSB_IJS8_SA_EEENS0_18inequality_wrapperIZN2at6native12_GLOBAL__N_124unique_dim_cuda_templateIN3c104HalfEEESt5tupleIJNSF_6TensorESM_SM_EERKSM_lbbbEUlllE0_EEPmJS9_EEE10hipError_tPvRmT3_T4_T5_T6_T7_T9_mT8_P12ihipStream_tbDpT10_ENKUlT_T0_E_clISt17integral_constantIbLb0EES1C_EEDaS17_S18_EUlS17_E_NS1_11comp_targetILNS1_3genE2ELNS1_11target_archE906ELNS1_3gpuE6ELNS1_3repE0EEENS1_30default_config_static_selectorELNS0_4arch9wavefront6targetE1EEEvT1_,"axG",@progbits,_ZN7rocprim17ROCPRIM_400000_NS6detail17trampoline_kernelINS0_14default_configENS1_25partition_config_selectorILNS1_17partition_subalgoE9EllbEEZZNS1_14partition_implILS5_9ELb0ES3_jPlS8_PNS0_10empty_typeENS0_5tupleIJS8_S9_EEENSB_IJS8_SA_EEENS0_18inequality_wrapperIZN2at6native12_GLOBAL__N_124unique_dim_cuda_templateIN3c104HalfEEESt5tupleIJNSF_6TensorESM_SM_EERKSM_lbbbEUlllE0_EEPmJS9_EEE10hipError_tPvRmT3_T4_T5_T6_T7_T9_mT8_P12ihipStream_tbDpT10_ENKUlT_T0_E_clISt17integral_constantIbLb0EES1C_EEDaS17_S18_EUlS17_E_NS1_11comp_targetILNS1_3genE2ELNS1_11target_archE906ELNS1_3gpuE6ELNS1_3repE0EEENS1_30default_config_static_selectorELNS0_4arch9wavefront6targetE1EEEvT1_,comdat
	.globl	_ZN7rocprim17ROCPRIM_400000_NS6detail17trampoline_kernelINS0_14default_configENS1_25partition_config_selectorILNS1_17partition_subalgoE9EllbEEZZNS1_14partition_implILS5_9ELb0ES3_jPlS8_PNS0_10empty_typeENS0_5tupleIJS8_S9_EEENSB_IJS8_SA_EEENS0_18inequality_wrapperIZN2at6native12_GLOBAL__N_124unique_dim_cuda_templateIN3c104HalfEEESt5tupleIJNSF_6TensorESM_SM_EERKSM_lbbbEUlllE0_EEPmJS9_EEE10hipError_tPvRmT3_T4_T5_T6_T7_T9_mT8_P12ihipStream_tbDpT10_ENKUlT_T0_E_clISt17integral_constantIbLb0EES1C_EEDaS17_S18_EUlS17_E_NS1_11comp_targetILNS1_3genE2ELNS1_11target_archE906ELNS1_3gpuE6ELNS1_3repE0EEENS1_30default_config_static_selectorELNS0_4arch9wavefront6targetE1EEEvT1_ ; -- Begin function _ZN7rocprim17ROCPRIM_400000_NS6detail17trampoline_kernelINS0_14default_configENS1_25partition_config_selectorILNS1_17partition_subalgoE9EllbEEZZNS1_14partition_implILS5_9ELb0ES3_jPlS8_PNS0_10empty_typeENS0_5tupleIJS8_S9_EEENSB_IJS8_SA_EEENS0_18inequality_wrapperIZN2at6native12_GLOBAL__N_124unique_dim_cuda_templateIN3c104HalfEEESt5tupleIJNSF_6TensorESM_SM_EERKSM_lbbbEUlllE0_EEPmJS9_EEE10hipError_tPvRmT3_T4_T5_T6_T7_T9_mT8_P12ihipStream_tbDpT10_ENKUlT_T0_E_clISt17integral_constantIbLb0EES1C_EEDaS17_S18_EUlS17_E_NS1_11comp_targetILNS1_3genE2ELNS1_11target_archE906ELNS1_3gpuE6ELNS1_3repE0EEENS1_30default_config_static_selectorELNS0_4arch9wavefront6targetE1EEEvT1_
	.p2align	8
	.type	_ZN7rocprim17ROCPRIM_400000_NS6detail17trampoline_kernelINS0_14default_configENS1_25partition_config_selectorILNS1_17partition_subalgoE9EllbEEZZNS1_14partition_implILS5_9ELb0ES3_jPlS8_PNS0_10empty_typeENS0_5tupleIJS8_S9_EEENSB_IJS8_SA_EEENS0_18inequality_wrapperIZN2at6native12_GLOBAL__N_124unique_dim_cuda_templateIN3c104HalfEEESt5tupleIJNSF_6TensorESM_SM_EERKSM_lbbbEUlllE0_EEPmJS9_EEE10hipError_tPvRmT3_T4_T5_T6_T7_T9_mT8_P12ihipStream_tbDpT10_ENKUlT_T0_E_clISt17integral_constantIbLb0EES1C_EEDaS17_S18_EUlS17_E_NS1_11comp_targetILNS1_3genE2ELNS1_11target_archE906ELNS1_3gpuE6ELNS1_3repE0EEENS1_30default_config_static_selectorELNS0_4arch9wavefront6targetE1EEEvT1_,@function
_ZN7rocprim17ROCPRIM_400000_NS6detail17trampoline_kernelINS0_14default_configENS1_25partition_config_selectorILNS1_17partition_subalgoE9EllbEEZZNS1_14partition_implILS5_9ELb0ES3_jPlS8_PNS0_10empty_typeENS0_5tupleIJS8_S9_EEENSB_IJS8_SA_EEENS0_18inequality_wrapperIZN2at6native12_GLOBAL__N_124unique_dim_cuda_templateIN3c104HalfEEESt5tupleIJNSF_6TensorESM_SM_EERKSM_lbbbEUlllE0_EEPmJS9_EEE10hipError_tPvRmT3_T4_T5_T6_T7_T9_mT8_P12ihipStream_tbDpT10_ENKUlT_T0_E_clISt17integral_constantIbLb0EES1C_EEDaS17_S18_EUlS17_E_NS1_11comp_targetILNS1_3genE2ELNS1_11target_archE906ELNS1_3gpuE6ELNS1_3repE0EEENS1_30default_config_static_selectorELNS0_4arch9wavefront6targetE1EEEvT1_: ; @_ZN7rocprim17ROCPRIM_400000_NS6detail17trampoline_kernelINS0_14default_configENS1_25partition_config_selectorILNS1_17partition_subalgoE9EllbEEZZNS1_14partition_implILS5_9ELb0ES3_jPlS8_PNS0_10empty_typeENS0_5tupleIJS8_S9_EEENSB_IJS8_SA_EEENS0_18inequality_wrapperIZN2at6native12_GLOBAL__N_124unique_dim_cuda_templateIN3c104HalfEEESt5tupleIJNSF_6TensorESM_SM_EERKSM_lbbbEUlllE0_EEPmJS9_EEE10hipError_tPvRmT3_T4_T5_T6_T7_T9_mT8_P12ihipStream_tbDpT10_ENKUlT_T0_E_clISt17integral_constantIbLb0EES1C_EEDaS17_S18_EUlS17_E_NS1_11comp_targetILNS1_3genE2ELNS1_11target_archE906ELNS1_3gpuE6ELNS1_3repE0EEENS1_30default_config_static_selectorELNS0_4arch9wavefront6targetE1EEEvT1_
; %bb.0:
	.section	.rodata,"a",@progbits
	.p2align	6, 0x0
	.amdhsa_kernel _ZN7rocprim17ROCPRIM_400000_NS6detail17trampoline_kernelINS0_14default_configENS1_25partition_config_selectorILNS1_17partition_subalgoE9EllbEEZZNS1_14partition_implILS5_9ELb0ES3_jPlS8_PNS0_10empty_typeENS0_5tupleIJS8_S9_EEENSB_IJS8_SA_EEENS0_18inequality_wrapperIZN2at6native12_GLOBAL__N_124unique_dim_cuda_templateIN3c104HalfEEESt5tupleIJNSF_6TensorESM_SM_EERKSM_lbbbEUlllE0_EEPmJS9_EEE10hipError_tPvRmT3_T4_T5_T6_T7_T9_mT8_P12ihipStream_tbDpT10_ENKUlT_T0_E_clISt17integral_constantIbLb0EES1C_EEDaS17_S18_EUlS17_E_NS1_11comp_targetILNS1_3genE2ELNS1_11target_archE906ELNS1_3gpuE6ELNS1_3repE0EEENS1_30default_config_static_selectorELNS0_4arch9wavefront6targetE1EEEvT1_
		.amdhsa_group_segment_fixed_size 0
		.amdhsa_private_segment_fixed_size 0
		.amdhsa_kernarg_size 120
		.amdhsa_user_sgpr_count 2
		.amdhsa_user_sgpr_dispatch_ptr 0
		.amdhsa_user_sgpr_queue_ptr 0
		.amdhsa_user_sgpr_kernarg_segment_ptr 1
		.amdhsa_user_sgpr_dispatch_id 0
		.amdhsa_user_sgpr_kernarg_preload_length 0
		.amdhsa_user_sgpr_kernarg_preload_offset 0
		.amdhsa_user_sgpr_private_segment_size 0
		.amdhsa_uses_dynamic_stack 0
		.amdhsa_enable_private_segment 0
		.amdhsa_system_sgpr_workgroup_id_x 1
		.amdhsa_system_sgpr_workgroup_id_y 0
		.amdhsa_system_sgpr_workgroup_id_z 0
		.amdhsa_system_sgpr_workgroup_info 0
		.amdhsa_system_vgpr_workitem_id 0
		.amdhsa_next_free_vgpr 1
		.amdhsa_next_free_sgpr 0
		.amdhsa_accum_offset 4
		.amdhsa_reserve_vcc 0
		.amdhsa_float_round_mode_32 0
		.amdhsa_float_round_mode_16_64 0
		.amdhsa_float_denorm_mode_32 3
		.amdhsa_float_denorm_mode_16_64 3
		.amdhsa_dx10_clamp 1
		.amdhsa_ieee_mode 1
		.amdhsa_fp16_overflow 0
		.amdhsa_tg_split 0
		.amdhsa_exception_fp_ieee_invalid_op 0
		.amdhsa_exception_fp_denorm_src 0
		.amdhsa_exception_fp_ieee_div_zero 0
		.amdhsa_exception_fp_ieee_overflow 0
		.amdhsa_exception_fp_ieee_underflow 0
		.amdhsa_exception_fp_ieee_inexact 0
		.amdhsa_exception_int_div_zero 0
	.end_amdhsa_kernel
	.section	.text._ZN7rocprim17ROCPRIM_400000_NS6detail17trampoline_kernelINS0_14default_configENS1_25partition_config_selectorILNS1_17partition_subalgoE9EllbEEZZNS1_14partition_implILS5_9ELb0ES3_jPlS8_PNS0_10empty_typeENS0_5tupleIJS8_S9_EEENSB_IJS8_SA_EEENS0_18inequality_wrapperIZN2at6native12_GLOBAL__N_124unique_dim_cuda_templateIN3c104HalfEEESt5tupleIJNSF_6TensorESM_SM_EERKSM_lbbbEUlllE0_EEPmJS9_EEE10hipError_tPvRmT3_T4_T5_T6_T7_T9_mT8_P12ihipStream_tbDpT10_ENKUlT_T0_E_clISt17integral_constantIbLb0EES1C_EEDaS17_S18_EUlS17_E_NS1_11comp_targetILNS1_3genE2ELNS1_11target_archE906ELNS1_3gpuE6ELNS1_3repE0EEENS1_30default_config_static_selectorELNS0_4arch9wavefront6targetE1EEEvT1_,"axG",@progbits,_ZN7rocprim17ROCPRIM_400000_NS6detail17trampoline_kernelINS0_14default_configENS1_25partition_config_selectorILNS1_17partition_subalgoE9EllbEEZZNS1_14partition_implILS5_9ELb0ES3_jPlS8_PNS0_10empty_typeENS0_5tupleIJS8_S9_EEENSB_IJS8_SA_EEENS0_18inequality_wrapperIZN2at6native12_GLOBAL__N_124unique_dim_cuda_templateIN3c104HalfEEESt5tupleIJNSF_6TensorESM_SM_EERKSM_lbbbEUlllE0_EEPmJS9_EEE10hipError_tPvRmT3_T4_T5_T6_T7_T9_mT8_P12ihipStream_tbDpT10_ENKUlT_T0_E_clISt17integral_constantIbLb0EES1C_EEDaS17_S18_EUlS17_E_NS1_11comp_targetILNS1_3genE2ELNS1_11target_archE906ELNS1_3gpuE6ELNS1_3repE0EEENS1_30default_config_static_selectorELNS0_4arch9wavefront6targetE1EEEvT1_,comdat
.Lfunc_end1333:
	.size	_ZN7rocprim17ROCPRIM_400000_NS6detail17trampoline_kernelINS0_14default_configENS1_25partition_config_selectorILNS1_17partition_subalgoE9EllbEEZZNS1_14partition_implILS5_9ELb0ES3_jPlS8_PNS0_10empty_typeENS0_5tupleIJS8_S9_EEENSB_IJS8_SA_EEENS0_18inequality_wrapperIZN2at6native12_GLOBAL__N_124unique_dim_cuda_templateIN3c104HalfEEESt5tupleIJNSF_6TensorESM_SM_EERKSM_lbbbEUlllE0_EEPmJS9_EEE10hipError_tPvRmT3_T4_T5_T6_T7_T9_mT8_P12ihipStream_tbDpT10_ENKUlT_T0_E_clISt17integral_constantIbLb0EES1C_EEDaS17_S18_EUlS17_E_NS1_11comp_targetILNS1_3genE2ELNS1_11target_archE906ELNS1_3gpuE6ELNS1_3repE0EEENS1_30default_config_static_selectorELNS0_4arch9wavefront6targetE1EEEvT1_, .Lfunc_end1333-_ZN7rocprim17ROCPRIM_400000_NS6detail17trampoline_kernelINS0_14default_configENS1_25partition_config_selectorILNS1_17partition_subalgoE9EllbEEZZNS1_14partition_implILS5_9ELb0ES3_jPlS8_PNS0_10empty_typeENS0_5tupleIJS8_S9_EEENSB_IJS8_SA_EEENS0_18inequality_wrapperIZN2at6native12_GLOBAL__N_124unique_dim_cuda_templateIN3c104HalfEEESt5tupleIJNSF_6TensorESM_SM_EERKSM_lbbbEUlllE0_EEPmJS9_EEE10hipError_tPvRmT3_T4_T5_T6_T7_T9_mT8_P12ihipStream_tbDpT10_ENKUlT_T0_E_clISt17integral_constantIbLb0EES1C_EEDaS17_S18_EUlS17_E_NS1_11comp_targetILNS1_3genE2ELNS1_11target_archE906ELNS1_3gpuE6ELNS1_3repE0EEENS1_30default_config_static_selectorELNS0_4arch9wavefront6targetE1EEEvT1_
                                        ; -- End function
	.set _ZN7rocprim17ROCPRIM_400000_NS6detail17trampoline_kernelINS0_14default_configENS1_25partition_config_selectorILNS1_17partition_subalgoE9EllbEEZZNS1_14partition_implILS5_9ELb0ES3_jPlS8_PNS0_10empty_typeENS0_5tupleIJS8_S9_EEENSB_IJS8_SA_EEENS0_18inequality_wrapperIZN2at6native12_GLOBAL__N_124unique_dim_cuda_templateIN3c104HalfEEESt5tupleIJNSF_6TensorESM_SM_EERKSM_lbbbEUlllE0_EEPmJS9_EEE10hipError_tPvRmT3_T4_T5_T6_T7_T9_mT8_P12ihipStream_tbDpT10_ENKUlT_T0_E_clISt17integral_constantIbLb0EES1C_EEDaS17_S18_EUlS17_E_NS1_11comp_targetILNS1_3genE2ELNS1_11target_archE906ELNS1_3gpuE6ELNS1_3repE0EEENS1_30default_config_static_selectorELNS0_4arch9wavefront6targetE1EEEvT1_.num_vgpr, 0
	.set _ZN7rocprim17ROCPRIM_400000_NS6detail17trampoline_kernelINS0_14default_configENS1_25partition_config_selectorILNS1_17partition_subalgoE9EllbEEZZNS1_14partition_implILS5_9ELb0ES3_jPlS8_PNS0_10empty_typeENS0_5tupleIJS8_S9_EEENSB_IJS8_SA_EEENS0_18inequality_wrapperIZN2at6native12_GLOBAL__N_124unique_dim_cuda_templateIN3c104HalfEEESt5tupleIJNSF_6TensorESM_SM_EERKSM_lbbbEUlllE0_EEPmJS9_EEE10hipError_tPvRmT3_T4_T5_T6_T7_T9_mT8_P12ihipStream_tbDpT10_ENKUlT_T0_E_clISt17integral_constantIbLb0EES1C_EEDaS17_S18_EUlS17_E_NS1_11comp_targetILNS1_3genE2ELNS1_11target_archE906ELNS1_3gpuE6ELNS1_3repE0EEENS1_30default_config_static_selectorELNS0_4arch9wavefront6targetE1EEEvT1_.num_agpr, 0
	.set _ZN7rocprim17ROCPRIM_400000_NS6detail17trampoline_kernelINS0_14default_configENS1_25partition_config_selectorILNS1_17partition_subalgoE9EllbEEZZNS1_14partition_implILS5_9ELb0ES3_jPlS8_PNS0_10empty_typeENS0_5tupleIJS8_S9_EEENSB_IJS8_SA_EEENS0_18inequality_wrapperIZN2at6native12_GLOBAL__N_124unique_dim_cuda_templateIN3c104HalfEEESt5tupleIJNSF_6TensorESM_SM_EERKSM_lbbbEUlllE0_EEPmJS9_EEE10hipError_tPvRmT3_T4_T5_T6_T7_T9_mT8_P12ihipStream_tbDpT10_ENKUlT_T0_E_clISt17integral_constantIbLb0EES1C_EEDaS17_S18_EUlS17_E_NS1_11comp_targetILNS1_3genE2ELNS1_11target_archE906ELNS1_3gpuE6ELNS1_3repE0EEENS1_30default_config_static_selectorELNS0_4arch9wavefront6targetE1EEEvT1_.numbered_sgpr, 0
	.set _ZN7rocprim17ROCPRIM_400000_NS6detail17trampoline_kernelINS0_14default_configENS1_25partition_config_selectorILNS1_17partition_subalgoE9EllbEEZZNS1_14partition_implILS5_9ELb0ES3_jPlS8_PNS0_10empty_typeENS0_5tupleIJS8_S9_EEENSB_IJS8_SA_EEENS0_18inequality_wrapperIZN2at6native12_GLOBAL__N_124unique_dim_cuda_templateIN3c104HalfEEESt5tupleIJNSF_6TensorESM_SM_EERKSM_lbbbEUlllE0_EEPmJS9_EEE10hipError_tPvRmT3_T4_T5_T6_T7_T9_mT8_P12ihipStream_tbDpT10_ENKUlT_T0_E_clISt17integral_constantIbLb0EES1C_EEDaS17_S18_EUlS17_E_NS1_11comp_targetILNS1_3genE2ELNS1_11target_archE906ELNS1_3gpuE6ELNS1_3repE0EEENS1_30default_config_static_selectorELNS0_4arch9wavefront6targetE1EEEvT1_.num_named_barrier, 0
	.set _ZN7rocprim17ROCPRIM_400000_NS6detail17trampoline_kernelINS0_14default_configENS1_25partition_config_selectorILNS1_17partition_subalgoE9EllbEEZZNS1_14partition_implILS5_9ELb0ES3_jPlS8_PNS0_10empty_typeENS0_5tupleIJS8_S9_EEENSB_IJS8_SA_EEENS0_18inequality_wrapperIZN2at6native12_GLOBAL__N_124unique_dim_cuda_templateIN3c104HalfEEESt5tupleIJNSF_6TensorESM_SM_EERKSM_lbbbEUlllE0_EEPmJS9_EEE10hipError_tPvRmT3_T4_T5_T6_T7_T9_mT8_P12ihipStream_tbDpT10_ENKUlT_T0_E_clISt17integral_constantIbLb0EES1C_EEDaS17_S18_EUlS17_E_NS1_11comp_targetILNS1_3genE2ELNS1_11target_archE906ELNS1_3gpuE6ELNS1_3repE0EEENS1_30default_config_static_selectorELNS0_4arch9wavefront6targetE1EEEvT1_.private_seg_size, 0
	.set _ZN7rocprim17ROCPRIM_400000_NS6detail17trampoline_kernelINS0_14default_configENS1_25partition_config_selectorILNS1_17partition_subalgoE9EllbEEZZNS1_14partition_implILS5_9ELb0ES3_jPlS8_PNS0_10empty_typeENS0_5tupleIJS8_S9_EEENSB_IJS8_SA_EEENS0_18inequality_wrapperIZN2at6native12_GLOBAL__N_124unique_dim_cuda_templateIN3c104HalfEEESt5tupleIJNSF_6TensorESM_SM_EERKSM_lbbbEUlllE0_EEPmJS9_EEE10hipError_tPvRmT3_T4_T5_T6_T7_T9_mT8_P12ihipStream_tbDpT10_ENKUlT_T0_E_clISt17integral_constantIbLb0EES1C_EEDaS17_S18_EUlS17_E_NS1_11comp_targetILNS1_3genE2ELNS1_11target_archE906ELNS1_3gpuE6ELNS1_3repE0EEENS1_30default_config_static_selectorELNS0_4arch9wavefront6targetE1EEEvT1_.uses_vcc, 0
	.set _ZN7rocprim17ROCPRIM_400000_NS6detail17trampoline_kernelINS0_14default_configENS1_25partition_config_selectorILNS1_17partition_subalgoE9EllbEEZZNS1_14partition_implILS5_9ELb0ES3_jPlS8_PNS0_10empty_typeENS0_5tupleIJS8_S9_EEENSB_IJS8_SA_EEENS0_18inequality_wrapperIZN2at6native12_GLOBAL__N_124unique_dim_cuda_templateIN3c104HalfEEESt5tupleIJNSF_6TensorESM_SM_EERKSM_lbbbEUlllE0_EEPmJS9_EEE10hipError_tPvRmT3_T4_T5_T6_T7_T9_mT8_P12ihipStream_tbDpT10_ENKUlT_T0_E_clISt17integral_constantIbLb0EES1C_EEDaS17_S18_EUlS17_E_NS1_11comp_targetILNS1_3genE2ELNS1_11target_archE906ELNS1_3gpuE6ELNS1_3repE0EEENS1_30default_config_static_selectorELNS0_4arch9wavefront6targetE1EEEvT1_.uses_flat_scratch, 0
	.set _ZN7rocprim17ROCPRIM_400000_NS6detail17trampoline_kernelINS0_14default_configENS1_25partition_config_selectorILNS1_17partition_subalgoE9EllbEEZZNS1_14partition_implILS5_9ELb0ES3_jPlS8_PNS0_10empty_typeENS0_5tupleIJS8_S9_EEENSB_IJS8_SA_EEENS0_18inequality_wrapperIZN2at6native12_GLOBAL__N_124unique_dim_cuda_templateIN3c104HalfEEESt5tupleIJNSF_6TensorESM_SM_EERKSM_lbbbEUlllE0_EEPmJS9_EEE10hipError_tPvRmT3_T4_T5_T6_T7_T9_mT8_P12ihipStream_tbDpT10_ENKUlT_T0_E_clISt17integral_constantIbLb0EES1C_EEDaS17_S18_EUlS17_E_NS1_11comp_targetILNS1_3genE2ELNS1_11target_archE906ELNS1_3gpuE6ELNS1_3repE0EEENS1_30default_config_static_selectorELNS0_4arch9wavefront6targetE1EEEvT1_.has_dyn_sized_stack, 0
	.set _ZN7rocprim17ROCPRIM_400000_NS6detail17trampoline_kernelINS0_14default_configENS1_25partition_config_selectorILNS1_17partition_subalgoE9EllbEEZZNS1_14partition_implILS5_9ELb0ES3_jPlS8_PNS0_10empty_typeENS0_5tupleIJS8_S9_EEENSB_IJS8_SA_EEENS0_18inequality_wrapperIZN2at6native12_GLOBAL__N_124unique_dim_cuda_templateIN3c104HalfEEESt5tupleIJNSF_6TensorESM_SM_EERKSM_lbbbEUlllE0_EEPmJS9_EEE10hipError_tPvRmT3_T4_T5_T6_T7_T9_mT8_P12ihipStream_tbDpT10_ENKUlT_T0_E_clISt17integral_constantIbLb0EES1C_EEDaS17_S18_EUlS17_E_NS1_11comp_targetILNS1_3genE2ELNS1_11target_archE906ELNS1_3gpuE6ELNS1_3repE0EEENS1_30default_config_static_selectorELNS0_4arch9wavefront6targetE1EEEvT1_.has_recursion, 0
	.set _ZN7rocprim17ROCPRIM_400000_NS6detail17trampoline_kernelINS0_14default_configENS1_25partition_config_selectorILNS1_17partition_subalgoE9EllbEEZZNS1_14partition_implILS5_9ELb0ES3_jPlS8_PNS0_10empty_typeENS0_5tupleIJS8_S9_EEENSB_IJS8_SA_EEENS0_18inequality_wrapperIZN2at6native12_GLOBAL__N_124unique_dim_cuda_templateIN3c104HalfEEESt5tupleIJNSF_6TensorESM_SM_EERKSM_lbbbEUlllE0_EEPmJS9_EEE10hipError_tPvRmT3_T4_T5_T6_T7_T9_mT8_P12ihipStream_tbDpT10_ENKUlT_T0_E_clISt17integral_constantIbLb0EES1C_EEDaS17_S18_EUlS17_E_NS1_11comp_targetILNS1_3genE2ELNS1_11target_archE906ELNS1_3gpuE6ELNS1_3repE0EEENS1_30default_config_static_selectorELNS0_4arch9wavefront6targetE1EEEvT1_.has_indirect_call, 0
	.section	.AMDGPU.csdata,"",@progbits
; Kernel info:
; codeLenInByte = 0
; TotalNumSgprs: 6
; NumVgprs: 0
; NumAgprs: 0
; TotalNumVgprs: 0
; ScratchSize: 0
; MemoryBound: 0
; FloatMode: 240
; IeeeMode: 1
; LDSByteSize: 0 bytes/workgroup (compile time only)
; SGPRBlocks: 0
; VGPRBlocks: 0
; NumSGPRsForWavesPerEU: 6
; NumVGPRsForWavesPerEU: 1
; AccumOffset: 4
; Occupancy: 8
; WaveLimiterHint : 0
; COMPUTE_PGM_RSRC2:SCRATCH_EN: 0
; COMPUTE_PGM_RSRC2:USER_SGPR: 2
; COMPUTE_PGM_RSRC2:TRAP_HANDLER: 0
; COMPUTE_PGM_RSRC2:TGID_X_EN: 1
; COMPUTE_PGM_RSRC2:TGID_Y_EN: 0
; COMPUTE_PGM_RSRC2:TGID_Z_EN: 0
; COMPUTE_PGM_RSRC2:TIDIG_COMP_CNT: 0
; COMPUTE_PGM_RSRC3_GFX90A:ACCUM_OFFSET: 0
; COMPUTE_PGM_RSRC3_GFX90A:TG_SPLIT: 0
	.section	.text._ZN7rocprim17ROCPRIM_400000_NS6detail17trampoline_kernelINS0_14default_configENS1_25partition_config_selectorILNS1_17partition_subalgoE9EllbEEZZNS1_14partition_implILS5_9ELb0ES3_jPlS8_PNS0_10empty_typeENS0_5tupleIJS8_S9_EEENSB_IJS8_SA_EEENS0_18inequality_wrapperIZN2at6native12_GLOBAL__N_124unique_dim_cuda_templateIN3c104HalfEEESt5tupleIJNSF_6TensorESM_SM_EERKSM_lbbbEUlllE0_EEPmJS9_EEE10hipError_tPvRmT3_T4_T5_T6_T7_T9_mT8_P12ihipStream_tbDpT10_ENKUlT_T0_E_clISt17integral_constantIbLb0EES1C_EEDaS17_S18_EUlS17_E_NS1_11comp_targetILNS1_3genE10ELNS1_11target_archE1200ELNS1_3gpuE4ELNS1_3repE0EEENS1_30default_config_static_selectorELNS0_4arch9wavefront6targetE1EEEvT1_,"axG",@progbits,_ZN7rocprim17ROCPRIM_400000_NS6detail17trampoline_kernelINS0_14default_configENS1_25partition_config_selectorILNS1_17partition_subalgoE9EllbEEZZNS1_14partition_implILS5_9ELb0ES3_jPlS8_PNS0_10empty_typeENS0_5tupleIJS8_S9_EEENSB_IJS8_SA_EEENS0_18inequality_wrapperIZN2at6native12_GLOBAL__N_124unique_dim_cuda_templateIN3c104HalfEEESt5tupleIJNSF_6TensorESM_SM_EERKSM_lbbbEUlllE0_EEPmJS9_EEE10hipError_tPvRmT3_T4_T5_T6_T7_T9_mT8_P12ihipStream_tbDpT10_ENKUlT_T0_E_clISt17integral_constantIbLb0EES1C_EEDaS17_S18_EUlS17_E_NS1_11comp_targetILNS1_3genE10ELNS1_11target_archE1200ELNS1_3gpuE4ELNS1_3repE0EEENS1_30default_config_static_selectorELNS0_4arch9wavefront6targetE1EEEvT1_,comdat
	.globl	_ZN7rocprim17ROCPRIM_400000_NS6detail17trampoline_kernelINS0_14default_configENS1_25partition_config_selectorILNS1_17partition_subalgoE9EllbEEZZNS1_14partition_implILS5_9ELb0ES3_jPlS8_PNS0_10empty_typeENS0_5tupleIJS8_S9_EEENSB_IJS8_SA_EEENS0_18inequality_wrapperIZN2at6native12_GLOBAL__N_124unique_dim_cuda_templateIN3c104HalfEEESt5tupleIJNSF_6TensorESM_SM_EERKSM_lbbbEUlllE0_EEPmJS9_EEE10hipError_tPvRmT3_T4_T5_T6_T7_T9_mT8_P12ihipStream_tbDpT10_ENKUlT_T0_E_clISt17integral_constantIbLb0EES1C_EEDaS17_S18_EUlS17_E_NS1_11comp_targetILNS1_3genE10ELNS1_11target_archE1200ELNS1_3gpuE4ELNS1_3repE0EEENS1_30default_config_static_selectorELNS0_4arch9wavefront6targetE1EEEvT1_ ; -- Begin function _ZN7rocprim17ROCPRIM_400000_NS6detail17trampoline_kernelINS0_14default_configENS1_25partition_config_selectorILNS1_17partition_subalgoE9EllbEEZZNS1_14partition_implILS5_9ELb0ES3_jPlS8_PNS0_10empty_typeENS0_5tupleIJS8_S9_EEENSB_IJS8_SA_EEENS0_18inequality_wrapperIZN2at6native12_GLOBAL__N_124unique_dim_cuda_templateIN3c104HalfEEESt5tupleIJNSF_6TensorESM_SM_EERKSM_lbbbEUlllE0_EEPmJS9_EEE10hipError_tPvRmT3_T4_T5_T6_T7_T9_mT8_P12ihipStream_tbDpT10_ENKUlT_T0_E_clISt17integral_constantIbLb0EES1C_EEDaS17_S18_EUlS17_E_NS1_11comp_targetILNS1_3genE10ELNS1_11target_archE1200ELNS1_3gpuE4ELNS1_3repE0EEENS1_30default_config_static_selectorELNS0_4arch9wavefront6targetE1EEEvT1_
	.p2align	8
	.type	_ZN7rocprim17ROCPRIM_400000_NS6detail17trampoline_kernelINS0_14default_configENS1_25partition_config_selectorILNS1_17partition_subalgoE9EllbEEZZNS1_14partition_implILS5_9ELb0ES3_jPlS8_PNS0_10empty_typeENS0_5tupleIJS8_S9_EEENSB_IJS8_SA_EEENS0_18inequality_wrapperIZN2at6native12_GLOBAL__N_124unique_dim_cuda_templateIN3c104HalfEEESt5tupleIJNSF_6TensorESM_SM_EERKSM_lbbbEUlllE0_EEPmJS9_EEE10hipError_tPvRmT3_T4_T5_T6_T7_T9_mT8_P12ihipStream_tbDpT10_ENKUlT_T0_E_clISt17integral_constantIbLb0EES1C_EEDaS17_S18_EUlS17_E_NS1_11comp_targetILNS1_3genE10ELNS1_11target_archE1200ELNS1_3gpuE4ELNS1_3repE0EEENS1_30default_config_static_selectorELNS0_4arch9wavefront6targetE1EEEvT1_,@function
_ZN7rocprim17ROCPRIM_400000_NS6detail17trampoline_kernelINS0_14default_configENS1_25partition_config_selectorILNS1_17partition_subalgoE9EllbEEZZNS1_14partition_implILS5_9ELb0ES3_jPlS8_PNS0_10empty_typeENS0_5tupleIJS8_S9_EEENSB_IJS8_SA_EEENS0_18inequality_wrapperIZN2at6native12_GLOBAL__N_124unique_dim_cuda_templateIN3c104HalfEEESt5tupleIJNSF_6TensorESM_SM_EERKSM_lbbbEUlllE0_EEPmJS9_EEE10hipError_tPvRmT3_T4_T5_T6_T7_T9_mT8_P12ihipStream_tbDpT10_ENKUlT_T0_E_clISt17integral_constantIbLb0EES1C_EEDaS17_S18_EUlS17_E_NS1_11comp_targetILNS1_3genE10ELNS1_11target_archE1200ELNS1_3gpuE4ELNS1_3repE0EEENS1_30default_config_static_selectorELNS0_4arch9wavefront6targetE1EEEvT1_: ; @_ZN7rocprim17ROCPRIM_400000_NS6detail17trampoline_kernelINS0_14default_configENS1_25partition_config_selectorILNS1_17partition_subalgoE9EllbEEZZNS1_14partition_implILS5_9ELb0ES3_jPlS8_PNS0_10empty_typeENS0_5tupleIJS8_S9_EEENSB_IJS8_SA_EEENS0_18inequality_wrapperIZN2at6native12_GLOBAL__N_124unique_dim_cuda_templateIN3c104HalfEEESt5tupleIJNSF_6TensorESM_SM_EERKSM_lbbbEUlllE0_EEPmJS9_EEE10hipError_tPvRmT3_T4_T5_T6_T7_T9_mT8_P12ihipStream_tbDpT10_ENKUlT_T0_E_clISt17integral_constantIbLb0EES1C_EEDaS17_S18_EUlS17_E_NS1_11comp_targetILNS1_3genE10ELNS1_11target_archE1200ELNS1_3gpuE4ELNS1_3repE0EEENS1_30default_config_static_selectorELNS0_4arch9wavefront6targetE1EEEvT1_
; %bb.0:
	.section	.rodata,"a",@progbits
	.p2align	6, 0x0
	.amdhsa_kernel _ZN7rocprim17ROCPRIM_400000_NS6detail17trampoline_kernelINS0_14default_configENS1_25partition_config_selectorILNS1_17partition_subalgoE9EllbEEZZNS1_14partition_implILS5_9ELb0ES3_jPlS8_PNS0_10empty_typeENS0_5tupleIJS8_S9_EEENSB_IJS8_SA_EEENS0_18inequality_wrapperIZN2at6native12_GLOBAL__N_124unique_dim_cuda_templateIN3c104HalfEEESt5tupleIJNSF_6TensorESM_SM_EERKSM_lbbbEUlllE0_EEPmJS9_EEE10hipError_tPvRmT3_T4_T5_T6_T7_T9_mT8_P12ihipStream_tbDpT10_ENKUlT_T0_E_clISt17integral_constantIbLb0EES1C_EEDaS17_S18_EUlS17_E_NS1_11comp_targetILNS1_3genE10ELNS1_11target_archE1200ELNS1_3gpuE4ELNS1_3repE0EEENS1_30default_config_static_selectorELNS0_4arch9wavefront6targetE1EEEvT1_
		.amdhsa_group_segment_fixed_size 0
		.amdhsa_private_segment_fixed_size 0
		.amdhsa_kernarg_size 120
		.amdhsa_user_sgpr_count 2
		.amdhsa_user_sgpr_dispatch_ptr 0
		.amdhsa_user_sgpr_queue_ptr 0
		.amdhsa_user_sgpr_kernarg_segment_ptr 1
		.amdhsa_user_sgpr_dispatch_id 0
		.amdhsa_user_sgpr_kernarg_preload_length 0
		.amdhsa_user_sgpr_kernarg_preload_offset 0
		.amdhsa_user_sgpr_private_segment_size 0
		.amdhsa_uses_dynamic_stack 0
		.amdhsa_enable_private_segment 0
		.amdhsa_system_sgpr_workgroup_id_x 1
		.amdhsa_system_sgpr_workgroup_id_y 0
		.amdhsa_system_sgpr_workgroup_id_z 0
		.amdhsa_system_sgpr_workgroup_info 0
		.amdhsa_system_vgpr_workitem_id 0
		.amdhsa_next_free_vgpr 1
		.amdhsa_next_free_sgpr 0
		.amdhsa_accum_offset 4
		.amdhsa_reserve_vcc 0
		.amdhsa_float_round_mode_32 0
		.amdhsa_float_round_mode_16_64 0
		.amdhsa_float_denorm_mode_32 3
		.amdhsa_float_denorm_mode_16_64 3
		.amdhsa_dx10_clamp 1
		.amdhsa_ieee_mode 1
		.amdhsa_fp16_overflow 0
		.amdhsa_tg_split 0
		.amdhsa_exception_fp_ieee_invalid_op 0
		.amdhsa_exception_fp_denorm_src 0
		.amdhsa_exception_fp_ieee_div_zero 0
		.amdhsa_exception_fp_ieee_overflow 0
		.amdhsa_exception_fp_ieee_underflow 0
		.amdhsa_exception_fp_ieee_inexact 0
		.amdhsa_exception_int_div_zero 0
	.end_amdhsa_kernel
	.section	.text._ZN7rocprim17ROCPRIM_400000_NS6detail17trampoline_kernelINS0_14default_configENS1_25partition_config_selectorILNS1_17partition_subalgoE9EllbEEZZNS1_14partition_implILS5_9ELb0ES3_jPlS8_PNS0_10empty_typeENS0_5tupleIJS8_S9_EEENSB_IJS8_SA_EEENS0_18inequality_wrapperIZN2at6native12_GLOBAL__N_124unique_dim_cuda_templateIN3c104HalfEEESt5tupleIJNSF_6TensorESM_SM_EERKSM_lbbbEUlllE0_EEPmJS9_EEE10hipError_tPvRmT3_T4_T5_T6_T7_T9_mT8_P12ihipStream_tbDpT10_ENKUlT_T0_E_clISt17integral_constantIbLb0EES1C_EEDaS17_S18_EUlS17_E_NS1_11comp_targetILNS1_3genE10ELNS1_11target_archE1200ELNS1_3gpuE4ELNS1_3repE0EEENS1_30default_config_static_selectorELNS0_4arch9wavefront6targetE1EEEvT1_,"axG",@progbits,_ZN7rocprim17ROCPRIM_400000_NS6detail17trampoline_kernelINS0_14default_configENS1_25partition_config_selectorILNS1_17partition_subalgoE9EllbEEZZNS1_14partition_implILS5_9ELb0ES3_jPlS8_PNS0_10empty_typeENS0_5tupleIJS8_S9_EEENSB_IJS8_SA_EEENS0_18inequality_wrapperIZN2at6native12_GLOBAL__N_124unique_dim_cuda_templateIN3c104HalfEEESt5tupleIJNSF_6TensorESM_SM_EERKSM_lbbbEUlllE0_EEPmJS9_EEE10hipError_tPvRmT3_T4_T5_T6_T7_T9_mT8_P12ihipStream_tbDpT10_ENKUlT_T0_E_clISt17integral_constantIbLb0EES1C_EEDaS17_S18_EUlS17_E_NS1_11comp_targetILNS1_3genE10ELNS1_11target_archE1200ELNS1_3gpuE4ELNS1_3repE0EEENS1_30default_config_static_selectorELNS0_4arch9wavefront6targetE1EEEvT1_,comdat
.Lfunc_end1334:
	.size	_ZN7rocprim17ROCPRIM_400000_NS6detail17trampoline_kernelINS0_14default_configENS1_25partition_config_selectorILNS1_17partition_subalgoE9EllbEEZZNS1_14partition_implILS5_9ELb0ES3_jPlS8_PNS0_10empty_typeENS0_5tupleIJS8_S9_EEENSB_IJS8_SA_EEENS0_18inequality_wrapperIZN2at6native12_GLOBAL__N_124unique_dim_cuda_templateIN3c104HalfEEESt5tupleIJNSF_6TensorESM_SM_EERKSM_lbbbEUlllE0_EEPmJS9_EEE10hipError_tPvRmT3_T4_T5_T6_T7_T9_mT8_P12ihipStream_tbDpT10_ENKUlT_T0_E_clISt17integral_constantIbLb0EES1C_EEDaS17_S18_EUlS17_E_NS1_11comp_targetILNS1_3genE10ELNS1_11target_archE1200ELNS1_3gpuE4ELNS1_3repE0EEENS1_30default_config_static_selectorELNS0_4arch9wavefront6targetE1EEEvT1_, .Lfunc_end1334-_ZN7rocprim17ROCPRIM_400000_NS6detail17trampoline_kernelINS0_14default_configENS1_25partition_config_selectorILNS1_17partition_subalgoE9EllbEEZZNS1_14partition_implILS5_9ELb0ES3_jPlS8_PNS0_10empty_typeENS0_5tupleIJS8_S9_EEENSB_IJS8_SA_EEENS0_18inequality_wrapperIZN2at6native12_GLOBAL__N_124unique_dim_cuda_templateIN3c104HalfEEESt5tupleIJNSF_6TensorESM_SM_EERKSM_lbbbEUlllE0_EEPmJS9_EEE10hipError_tPvRmT3_T4_T5_T6_T7_T9_mT8_P12ihipStream_tbDpT10_ENKUlT_T0_E_clISt17integral_constantIbLb0EES1C_EEDaS17_S18_EUlS17_E_NS1_11comp_targetILNS1_3genE10ELNS1_11target_archE1200ELNS1_3gpuE4ELNS1_3repE0EEENS1_30default_config_static_selectorELNS0_4arch9wavefront6targetE1EEEvT1_
                                        ; -- End function
	.set _ZN7rocprim17ROCPRIM_400000_NS6detail17trampoline_kernelINS0_14default_configENS1_25partition_config_selectorILNS1_17partition_subalgoE9EllbEEZZNS1_14partition_implILS5_9ELb0ES3_jPlS8_PNS0_10empty_typeENS0_5tupleIJS8_S9_EEENSB_IJS8_SA_EEENS0_18inequality_wrapperIZN2at6native12_GLOBAL__N_124unique_dim_cuda_templateIN3c104HalfEEESt5tupleIJNSF_6TensorESM_SM_EERKSM_lbbbEUlllE0_EEPmJS9_EEE10hipError_tPvRmT3_T4_T5_T6_T7_T9_mT8_P12ihipStream_tbDpT10_ENKUlT_T0_E_clISt17integral_constantIbLb0EES1C_EEDaS17_S18_EUlS17_E_NS1_11comp_targetILNS1_3genE10ELNS1_11target_archE1200ELNS1_3gpuE4ELNS1_3repE0EEENS1_30default_config_static_selectorELNS0_4arch9wavefront6targetE1EEEvT1_.num_vgpr, 0
	.set _ZN7rocprim17ROCPRIM_400000_NS6detail17trampoline_kernelINS0_14default_configENS1_25partition_config_selectorILNS1_17partition_subalgoE9EllbEEZZNS1_14partition_implILS5_9ELb0ES3_jPlS8_PNS0_10empty_typeENS0_5tupleIJS8_S9_EEENSB_IJS8_SA_EEENS0_18inequality_wrapperIZN2at6native12_GLOBAL__N_124unique_dim_cuda_templateIN3c104HalfEEESt5tupleIJNSF_6TensorESM_SM_EERKSM_lbbbEUlllE0_EEPmJS9_EEE10hipError_tPvRmT3_T4_T5_T6_T7_T9_mT8_P12ihipStream_tbDpT10_ENKUlT_T0_E_clISt17integral_constantIbLb0EES1C_EEDaS17_S18_EUlS17_E_NS1_11comp_targetILNS1_3genE10ELNS1_11target_archE1200ELNS1_3gpuE4ELNS1_3repE0EEENS1_30default_config_static_selectorELNS0_4arch9wavefront6targetE1EEEvT1_.num_agpr, 0
	.set _ZN7rocprim17ROCPRIM_400000_NS6detail17trampoline_kernelINS0_14default_configENS1_25partition_config_selectorILNS1_17partition_subalgoE9EllbEEZZNS1_14partition_implILS5_9ELb0ES3_jPlS8_PNS0_10empty_typeENS0_5tupleIJS8_S9_EEENSB_IJS8_SA_EEENS0_18inequality_wrapperIZN2at6native12_GLOBAL__N_124unique_dim_cuda_templateIN3c104HalfEEESt5tupleIJNSF_6TensorESM_SM_EERKSM_lbbbEUlllE0_EEPmJS9_EEE10hipError_tPvRmT3_T4_T5_T6_T7_T9_mT8_P12ihipStream_tbDpT10_ENKUlT_T0_E_clISt17integral_constantIbLb0EES1C_EEDaS17_S18_EUlS17_E_NS1_11comp_targetILNS1_3genE10ELNS1_11target_archE1200ELNS1_3gpuE4ELNS1_3repE0EEENS1_30default_config_static_selectorELNS0_4arch9wavefront6targetE1EEEvT1_.numbered_sgpr, 0
	.set _ZN7rocprim17ROCPRIM_400000_NS6detail17trampoline_kernelINS0_14default_configENS1_25partition_config_selectorILNS1_17partition_subalgoE9EllbEEZZNS1_14partition_implILS5_9ELb0ES3_jPlS8_PNS0_10empty_typeENS0_5tupleIJS8_S9_EEENSB_IJS8_SA_EEENS0_18inequality_wrapperIZN2at6native12_GLOBAL__N_124unique_dim_cuda_templateIN3c104HalfEEESt5tupleIJNSF_6TensorESM_SM_EERKSM_lbbbEUlllE0_EEPmJS9_EEE10hipError_tPvRmT3_T4_T5_T6_T7_T9_mT8_P12ihipStream_tbDpT10_ENKUlT_T0_E_clISt17integral_constantIbLb0EES1C_EEDaS17_S18_EUlS17_E_NS1_11comp_targetILNS1_3genE10ELNS1_11target_archE1200ELNS1_3gpuE4ELNS1_3repE0EEENS1_30default_config_static_selectorELNS0_4arch9wavefront6targetE1EEEvT1_.num_named_barrier, 0
	.set _ZN7rocprim17ROCPRIM_400000_NS6detail17trampoline_kernelINS0_14default_configENS1_25partition_config_selectorILNS1_17partition_subalgoE9EllbEEZZNS1_14partition_implILS5_9ELb0ES3_jPlS8_PNS0_10empty_typeENS0_5tupleIJS8_S9_EEENSB_IJS8_SA_EEENS0_18inequality_wrapperIZN2at6native12_GLOBAL__N_124unique_dim_cuda_templateIN3c104HalfEEESt5tupleIJNSF_6TensorESM_SM_EERKSM_lbbbEUlllE0_EEPmJS9_EEE10hipError_tPvRmT3_T4_T5_T6_T7_T9_mT8_P12ihipStream_tbDpT10_ENKUlT_T0_E_clISt17integral_constantIbLb0EES1C_EEDaS17_S18_EUlS17_E_NS1_11comp_targetILNS1_3genE10ELNS1_11target_archE1200ELNS1_3gpuE4ELNS1_3repE0EEENS1_30default_config_static_selectorELNS0_4arch9wavefront6targetE1EEEvT1_.private_seg_size, 0
	.set _ZN7rocprim17ROCPRIM_400000_NS6detail17trampoline_kernelINS0_14default_configENS1_25partition_config_selectorILNS1_17partition_subalgoE9EllbEEZZNS1_14partition_implILS5_9ELb0ES3_jPlS8_PNS0_10empty_typeENS0_5tupleIJS8_S9_EEENSB_IJS8_SA_EEENS0_18inequality_wrapperIZN2at6native12_GLOBAL__N_124unique_dim_cuda_templateIN3c104HalfEEESt5tupleIJNSF_6TensorESM_SM_EERKSM_lbbbEUlllE0_EEPmJS9_EEE10hipError_tPvRmT3_T4_T5_T6_T7_T9_mT8_P12ihipStream_tbDpT10_ENKUlT_T0_E_clISt17integral_constantIbLb0EES1C_EEDaS17_S18_EUlS17_E_NS1_11comp_targetILNS1_3genE10ELNS1_11target_archE1200ELNS1_3gpuE4ELNS1_3repE0EEENS1_30default_config_static_selectorELNS0_4arch9wavefront6targetE1EEEvT1_.uses_vcc, 0
	.set _ZN7rocprim17ROCPRIM_400000_NS6detail17trampoline_kernelINS0_14default_configENS1_25partition_config_selectorILNS1_17partition_subalgoE9EllbEEZZNS1_14partition_implILS5_9ELb0ES3_jPlS8_PNS0_10empty_typeENS0_5tupleIJS8_S9_EEENSB_IJS8_SA_EEENS0_18inequality_wrapperIZN2at6native12_GLOBAL__N_124unique_dim_cuda_templateIN3c104HalfEEESt5tupleIJNSF_6TensorESM_SM_EERKSM_lbbbEUlllE0_EEPmJS9_EEE10hipError_tPvRmT3_T4_T5_T6_T7_T9_mT8_P12ihipStream_tbDpT10_ENKUlT_T0_E_clISt17integral_constantIbLb0EES1C_EEDaS17_S18_EUlS17_E_NS1_11comp_targetILNS1_3genE10ELNS1_11target_archE1200ELNS1_3gpuE4ELNS1_3repE0EEENS1_30default_config_static_selectorELNS0_4arch9wavefront6targetE1EEEvT1_.uses_flat_scratch, 0
	.set _ZN7rocprim17ROCPRIM_400000_NS6detail17trampoline_kernelINS0_14default_configENS1_25partition_config_selectorILNS1_17partition_subalgoE9EllbEEZZNS1_14partition_implILS5_9ELb0ES3_jPlS8_PNS0_10empty_typeENS0_5tupleIJS8_S9_EEENSB_IJS8_SA_EEENS0_18inequality_wrapperIZN2at6native12_GLOBAL__N_124unique_dim_cuda_templateIN3c104HalfEEESt5tupleIJNSF_6TensorESM_SM_EERKSM_lbbbEUlllE0_EEPmJS9_EEE10hipError_tPvRmT3_T4_T5_T6_T7_T9_mT8_P12ihipStream_tbDpT10_ENKUlT_T0_E_clISt17integral_constantIbLb0EES1C_EEDaS17_S18_EUlS17_E_NS1_11comp_targetILNS1_3genE10ELNS1_11target_archE1200ELNS1_3gpuE4ELNS1_3repE0EEENS1_30default_config_static_selectorELNS0_4arch9wavefront6targetE1EEEvT1_.has_dyn_sized_stack, 0
	.set _ZN7rocprim17ROCPRIM_400000_NS6detail17trampoline_kernelINS0_14default_configENS1_25partition_config_selectorILNS1_17partition_subalgoE9EllbEEZZNS1_14partition_implILS5_9ELb0ES3_jPlS8_PNS0_10empty_typeENS0_5tupleIJS8_S9_EEENSB_IJS8_SA_EEENS0_18inequality_wrapperIZN2at6native12_GLOBAL__N_124unique_dim_cuda_templateIN3c104HalfEEESt5tupleIJNSF_6TensorESM_SM_EERKSM_lbbbEUlllE0_EEPmJS9_EEE10hipError_tPvRmT3_T4_T5_T6_T7_T9_mT8_P12ihipStream_tbDpT10_ENKUlT_T0_E_clISt17integral_constantIbLb0EES1C_EEDaS17_S18_EUlS17_E_NS1_11comp_targetILNS1_3genE10ELNS1_11target_archE1200ELNS1_3gpuE4ELNS1_3repE0EEENS1_30default_config_static_selectorELNS0_4arch9wavefront6targetE1EEEvT1_.has_recursion, 0
	.set _ZN7rocprim17ROCPRIM_400000_NS6detail17trampoline_kernelINS0_14default_configENS1_25partition_config_selectorILNS1_17partition_subalgoE9EllbEEZZNS1_14partition_implILS5_9ELb0ES3_jPlS8_PNS0_10empty_typeENS0_5tupleIJS8_S9_EEENSB_IJS8_SA_EEENS0_18inequality_wrapperIZN2at6native12_GLOBAL__N_124unique_dim_cuda_templateIN3c104HalfEEESt5tupleIJNSF_6TensorESM_SM_EERKSM_lbbbEUlllE0_EEPmJS9_EEE10hipError_tPvRmT3_T4_T5_T6_T7_T9_mT8_P12ihipStream_tbDpT10_ENKUlT_T0_E_clISt17integral_constantIbLb0EES1C_EEDaS17_S18_EUlS17_E_NS1_11comp_targetILNS1_3genE10ELNS1_11target_archE1200ELNS1_3gpuE4ELNS1_3repE0EEENS1_30default_config_static_selectorELNS0_4arch9wavefront6targetE1EEEvT1_.has_indirect_call, 0
	.section	.AMDGPU.csdata,"",@progbits
; Kernel info:
; codeLenInByte = 0
; TotalNumSgprs: 6
; NumVgprs: 0
; NumAgprs: 0
; TotalNumVgprs: 0
; ScratchSize: 0
; MemoryBound: 0
; FloatMode: 240
; IeeeMode: 1
; LDSByteSize: 0 bytes/workgroup (compile time only)
; SGPRBlocks: 0
; VGPRBlocks: 0
; NumSGPRsForWavesPerEU: 6
; NumVGPRsForWavesPerEU: 1
; AccumOffset: 4
; Occupancy: 8
; WaveLimiterHint : 0
; COMPUTE_PGM_RSRC2:SCRATCH_EN: 0
; COMPUTE_PGM_RSRC2:USER_SGPR: 2
; COMPUTE_PGM_RSRC2:TRAP_HANDLER: 0
; COMPUTE_PGM_RSRC2:TGID_X_EN: 1
; COMPUTE_PGM_RSRC2:TGID_Y_EN: 0
; COMPUTE_PGM_RSRC2:TGID_Z_EN: 0
; COMPUTE_PGM_RSRC2:TIDIG_COMP_CNT: 0
; COMPUTE_PGM_RSRC3_GFX90A:ACCUM_OFFSET: 0
; COMPUTE_PGM_RSRC3_GFX90A:TG_SPLIT: 0
	.section	.text._ZN7rocprim17ROCPRIM_400000_NS6detail17trampoline_kernelINS0_14default_configENS1_25partition_config_selectorILNS1_17partition_subalgoE9EllbEEZZNS1_14partition_implILS5_9ELb0ES3_jPlS8_PNS0_10empty_typeENS0_5tupleIJS8_S9_EEENSB_IJS8_SA_EEENS0_18inequality_wrapperIZN2at6native12_GLOBAL__N_124unique_dim_cuda_templateIN3c104HalfEEESt5tupleIJNSF_6TensorESM_SM_EERKSM_lbbbEUlllE0_EEPmJS9_EEE10hipError_tPvRmT3_T4_T5_T6_T7_T9_mT8_P12ihipStream_tbDpT10_ENKUlT_T0_E_clISt17integral_constantIbLb0EES1C_EEDaS17_S18_EUlS17_E_NS1_11comp_targetILNS1_3genE9ELNS1_11target_archE1100ELNS1_3gpuE3ELNS1_3repE0EEENS1_30default_config_static_selectorELNS0_4arch9wavefront6targetE1EEEvT1_,"axG",@progbits,_ZN7rocprim17ROCPRIM_400000_NS6detail17trampoline_kernelINS0_14default_configENS1_25partition_config_selectorILNS1_17partition_subalgoE9EllbEEZZNS1_14partition_implILS5_9ELb0ES3_jPlS8_PNS0_10empty_typeENS0_5tupleIJS8_S9_EEENSB_IJS8_SA_EEENS0_18inequality_wrapperIZN2at6native12_GLOBAL__N_124unique_dim_cuda_templateIN3c104HalfEEESt5tupleIJNSF_6TensorESM_SM_EERKSM_lbbbEUlllE0_EEPmJS9_EEE10hipError_tPvRmT3_T4_T5_T6_T7_T9_mT8_P12ihipStream_tbDpT10_ENKUlT_T0_E_clISt17integral_constantIbLb0EES1C_EEDaS17_S18_EUlS17_E_NS1_11comp_targetILNS1_3genE9ELNS1_11target_archE1100ELNS1_3gpuE3ELNS1_3repE0EEENS1_30default_config_static_selectorELNS0_4arch9wavefront6targetE1EEEvT1_,comdat
	.globl	_ZN7rocprim17ROCPRIM_400000_NS6detail17trampoline_kernelINS0_14default_configENS1_25partition_config_selectorILNS1_17partition_subalgoE9EllbEEZZNS1_14partition_implILS5_9ELb0ES3_jPlS8_PNS0_10empty_typeENS0_5tupleIJS8_S9_EEENSB_IJS8_SA_EEENS0_18inequality_wrapperIZN2at6native12_GLOBAL__N_124unique_dim_cuda_templateIN3c104HalfEEESt5tupleIJNSF_6TensorESM_SM_EERKSM_lbbbEUlllE0_EEPmJS9_EEE10hipError_tPvRmT3_T4_T5_T6_T7_T9_mT8_P12ihipStream_tbDpT10_ENKUlT_T0_E_clISt17integral_constantIbLb0EES1C_EEDaS17_S18_EUlS17_E_NS1_11comp_targetILNS1_3genE9ELNS1_11target_archE1100ELNS1_3gpuE3ELNS1_3repE0EEENS1_30default_config_static_selectorELNS0_4arch9wavefront6targetE1EEEvT1_ ; -- Begin function _ZN7rocprim17ROCPRIM_400000_NS6detail17trampoline_kernelINS0_14default_configENS1_25partition_config_selectorILNS1_17partition_subalgoE9EllbEEZZNS1_14partition_implILS5_9ELb0ES3_jPlS8_PNS0_10empty_typeENS0_5tupleIJS8_S9_EEENSB_IJS8_SA_EEENS0_18inequality_wrapperIZN2at6native12_GLOBAL__N_124unique_dim_cuda_templateIN3c104HalfEEESt5tupleIJNSF_6TensorESM_SM_EERKSM_lbbbEUlllE0_EEPmJS9_EEE10hipError_tPvRmT3_T4_T5_T6_T7_T9_mT8_P12ihipStream_tbDpT10_ENKUlT_T0_E_clISt17integral_constantIbLb0EES1C_EEDaS17_S18_EUlS17_E_NS1_11comp_targetILNS1_3genE9ELNS1_11target_archE1100ELNS1_3gpuE3ELNS1_3repE0EEENS1_30default_config_static_selectorELNS0_4arch9wavefront6targetE1EEEvT1_
	.p2align	8
	.type	_ZN7rocprim17ROCPRIM_400000_NS6detail17trampoline_kernelINS0_14default_configENS1_25partition_config_selectorILNS1_17partition_subalgoE9EllbEEZZNS1_14partition_implILS5_9ELb0ES3_jPlS8_PNS0_10empty_typeENS0_5tupleIJS8_S9_EEENSB_IJS8_SA_EEENS0_18inequality_wrapperIZN2at6native12_GLOBAL__N_124unique_dim_cuda_templateIN3c104HalfEEESt5tupleIJNSF_6TensorESM_SM_EERKSM_lbbbEUlllE0_EEPmJS9_EEE10hipError_tPvRmT3_T4_T5_T6_T7_T9_mT8_P12ihipStream_tbDpT10_ENKUlT_T0_E_clISt17integral_constantIbLb0EES1C_EEDaS17_S18_EUlS17_E_NS1_11comp_targetILNS1_3genE9ELNS1_11target_archE1100ELNS1_3gpuE3ELNS1_3repE0EEENS1_30default_config_static_selectorELNS0_4arch9wavefront6targetE1EEEvT1_,@function
_ZN7rocprim17ROCPRIM_400000_NS6detail17trampoline_kernelINS0_14default_configENS1_25partition_config_selectorILNS1_17partition_subalgoE9EllbEEZZNS1_14partition_implILS5_9ELb0ES3_jPlS8_PNS0_10empty_typeENS0_5tupleIJS8_S9_EEENSB_IJS8_SA_EEENS0_18inequality_wrapperIZN2at6native12_GLOBAL__N_124unique_dim_cuda_templateIN3c104HalfEEESt5tupleIJNSF_6TensorESM_SM_EERKSM_lbbbEUlllE0_EEPmJS9_EEE10hipError_tPvRmT3_T4_T5_T6_T7_T9_mT8_P12ihipStream_tbDpT10_ENKUlT_T0_E_clISt17integral_constantIbLb0EES1C_EEDaS17_S18_EUlS17_E_NS1_11comp_targetILNS1_3genE9ELNS1_11target_archE1100ELNS1_3gpuE3ELNS1_3repE0EEENS1_30default_config_static_selectorELNS0_4arch9wavefront6targetE1EEEvT1_: ; @_ZN7rocprim17ROCPRIM_400000_NS6detail17trampoline_kernelINS0_14default_configENS1_25partition_config_selectorILNS1_17partition_subalgoE9EllbEEZZNS1_14partition_implILS5_9ELb0ES3_jPlS8_PNS0_10empty_typeENS0_5tupleIJS8_S9_EEENSB_IJS8_SA_EEENS0_18inequality_wrapperIZN2at6native12_GLOBAL__N_124unique_dim_cuda_templateIN3c104HalfEEESt5tupleIJNSF_6TensorESM_SM_EERKSM_lbbbEUlllE0_EEPmJS9_EEE10hipError_tPvRmT3_T4_T5_T6_T7_T9_mT8_P12ihipStream_tbDpT10_ENKUlT_T0_E_clISt17integral_constantIbLb0EES1C_EEDaS17_S18_EUlS17_E_NS1_11comp_targetILNS1_3genE9ELNS1_11target_archE1100ELNS1_3gpuE3ELNS1_3repE0EEENS1_30default_config_static_selectorELNS0_4arch9wavefront6targetE1EEEvT1_
; %bb.0:
	.section	.rodata,"a",@progbits
	.p2align	6, 0x0
	.amdhsa_kernel _ZN7rocprim17ROCPRIM_400000_NS6detail17trampoline_kernelINS0_14default_configENS1_25partition_config_selectorILNS1_17partition_subalgoE9EllbEEZZNS1_14partition_implILS5_9ELb0ES3_jPlS8_PNS0_10empty_typeENS0_5tupleIJS8_S9_EEENSB_IJS8_SA_EEENS0_18inequality_wrapperIZN2at6native12_GLOBAL__N_124unique_dim_cuda_templateIN3c104HalfEEESt5tupleIJNSF_6TensorESM_SM_EERKSM_lbbbEUlllE0_EEPmJS9_EEE10hipError_tPvRmT3_T4_T5_T6_T7_T9_mT8_P12ihipStream_tbDpT10_ENKUlT_T0_E_clISt17integral_constantIbLb0EES1C_EEDaS17_S18_EUlS17_E_NS1_11comp_targetILNS1_3genE9ELNS1_11target_archE1100ELNS1_3gpuE3ELNS1_3repE0EEENS1_30default_config_static_selectorELNS0_4arch9wavefront6targetE1EEEvT1_
		.amdhsa_group_segment_fixed_size 0
		.amdhsa_private_segment_fixed_size 0
		.amdhsa_kernarg_size 120
		.amdhsa_user_sgpr_count 2
		.amdhsa_user_sgpr_dispatch_ptr 0
		.amdhsa_user_sgpr_queue_ptr 0
		.amdhsa_user_sgpr_kernarg_segment_ptr 1
		.amdhsa_user_sgpr_dispatch_id 0
		.amdhsa_user_sgpr_kernarg_preload_length 0
		.amdhsa_user_sgpr_kernarg_preload_offset 0
		.amdhsa_user_sgpr_private_segment_size 0
		.amdhsa_uses_dynamic_stack 0
		.amdhsa_enable_private_segment 0
		.amdhsa_system_sgpr_workgroup_id_x 1
		.amdhsa_system_sgpr_workgroup_id_y 0
		.amdhsa_system_sgpr_workgroup_id_z 0
		.amdhsa_system_sgpr_workgroup_info 0
		.amdhsa_system_vgpr_workitem_id 0
		.amdhsa_next_free_vgpr 1
		.amdhsa_next_free_sgpr 0
		.amdhsa_accum_offset 4
		.amdhsa_reserve_vcc 0
		.amdhsa_float_round_mode_32 0
		.amdhsa_float_round_mode_16_64 0
		.amdhsa_float_denorm_mode_32 3
		.amdhsa_float_denorm_mode_16_64 3
		.amdhsa_dx10_clamp 1
		.amdhsa_ieee_mode 1
		.amdhsa_fp16_overflow 0
		.amdhsa_tg_split 0
		.amdhsa_exception_fp_ieee_invalid_op 0
		.amdhsa_exception_fp_denorm_src 0
		.amdhsa_exception_fp_ieee_div_zero 0
		.amdhsa_exception_fp_ieee_overflow 0
		.amdhsa_exception_fp_ieee_underflow 0
		.amdhsa_exception_fp_ieee_inexact 0
		.amdhsa_exception_int_div_zero 0
	.end_amdhsa_kernel
	.section	.text._ZN7rocprim17ROCPRIM_400000_NS6detail17trampoline_kernelINS0_14default_configENS1_25partition_config_selectorILNS1_17partition_subalgoE9EllbEEZZNS1_14partition_implILS5_9ELb0ES3_jPlS8_PNS0_10empty_typeENS0_5tupleIJS8_S9_EEENSB_IJS8_SA_EEENS0_18inequality_wrapperIZN2at6native12_GLOBAL__N_124unique_dim_cuda_templateIN3c104HalfEEESt5tupleIJNSF_6TensorESM_SM_EERKSM_lbbbEUlllE0_EEPmJS9_EEE10hipError_tPvRmT3_T4_T5_T6_T7_T9_mT8_P12ihipStream_tbDpT10_ENKUlT_T0_E_clISt17integral_constantIbLb0EES1C_EEDaS17_S18_EUlS17_E_NS1_11comp_targetILNS1_3genE9ELNS1_11target_archE1100ELNS1_3gpuE3ELNS1_3repE0EEENS1_30default_config_static_selectorELNS0_4arch9wavefront6targetE1EEEvT1_,"axG",@progbits,_ZN7rocprim17ROCPRIM_400000_NS6detail17trampoline_kernelINS0_14default_configENS1_25partition_config_selectorILNS1_17partition_subalgoE9EllbEEZZNS1_14partition_implILS5_9ELb0ES3_jPlS8_PNS0_10empty_typeENS0_5tupleIJS8_S9_EEENSB_IJS8_SA_EEENS0_18inequality_wrapperIZN2at6native12_GLOBAL__N_124unique_dim_cuda_templateIN3c104HalfEEESt5tupleIJNSF_6TensorESM_SM_EERKSM_lbbbEUlllE0_EEPmJS9_EEE10hipError_tPvRmT3_T4_T5_T6_T7_T9_mT8_P12ihipStream_tbDpT10_ENKUlT_T0_E_clISt17integral_constantIbLb0EES1C_EEDaS17_S18_EUlS17_E_NS1_11comp_targetILNS1_3genE9ELNS1_11target_archE1100ELNS1_3gpuE3ELNS1_3repE0EEENS1_30default_config_static_selectorELNS0_4arch9wavefront6targetE1EEEvT1_,comdat
.Lfunc_end1335:
	.size	_ZN7rocprim17ROCPRIM_400000_NS6detail17trampoline_kernelINS0_14default_configENS1_25partition_config_selectorILNS1_17partition_subalgoE9EllbEEZZNS1_14partition_implILS5_9ELb0ES3_jPlS8_PNS0_10empty_typeENS0_5tupleIJS8_S9_EEENSB_IJS8_SA_EEENS0_18inequality_wrapperIZN2at6native12_GLOBAL__N_124unique_dim_cuda_templateIN3c104HalfEEESt5tupleIJNSF_6TensorESM_SM_EERKSM_lbbbEUlllE0_EEPmJS9_EEE10hipError_tPvRmT3_T4_T5_T6_T7_T9_mT8_P12ihipStream_tbDpT10_ENKUlT_T0_E_clISt17integral_constantIbLb0EES1C_EEDaS17_S18_EUlS17_E_NS1_11comp_targetILNS1_3genE9ELNS1_11target_archE1100ELNS1_3gpuE3ELNS1_3repE0EEENS1_30default_config_static_selectorELNS0_4arch9wavefront6targetE1EEEvT1_, .Lfunc_end1335-_ZN7rocprim17ROCPRIM_400000_NS6detail17trampoline_kernelINS0_14default_configENS1_25partition_config_selectorILNS1_17partition_subalgoE9EllbEEZZNS1_14partition_implILS5_9ELb0ES3_jPlS8_PNS0_10empty_typeENS0_5tupleIJS8_S9_EEENSB_IJS8_SA_EEENS0_18inequality_wrapperIZN2at6native12_GLOBAL__N_124unique_dim_cuda_templateIN3c104HalfEEESt5tupleIJNSF_6TensorESM_SM_EERKSM_lbbbEUlllE0_EEPmJS9_EEE10hipError_tPvRmT3_T4_T5_T6_T7_T9_mT8_P12ihipStream_tbDpT10_ENKUlT_T0_E_clISt17integral_constantIbLb0EES1C_EEDaS17_S18_EUlS17_E_NS1_11comp_targetILNS1_3genE9ELNS1_11target_archE1100ELNS1_3gpuE3ELNS1_3repE0EEENS1_30default_config_static_selectorELNS0_4arch9wavefront6targetE1EEEvT1_
                                        ; -- End function
	.set _ZN7rocprim17ROCPRIM_400000_NS6detail17trampoline_kernelINS0_14default_configENS1_25partition_config_selectorILNS1_17partition_subalgoE9EllbEEZZNS1_14partition_implILS5_9ELb0ES3_jPlS8_PNS0_10empty_typeENS0_5tupleIJS8_S9_EEENSB_IJS8_SA_EEENS0_18inequality_wrapperIZN2at6native12_GLOBAL__N_124unique_dim_cuda_templateIN3c104HalfEEESt5tupleIJNSF_6TensorESM_SM_EERKSM_lbbbEUlllE0_EEPmJS9_EEE10hipError_tPvRmT3_T4_T5_T6_T7_T9_mT8_P12ihipStream_tbDpT10_ENKUlT_T0_E_clISt17integral_constantIbLb0EES1C_EEDaS17_S18_EUlS17_E_NS1_11comp_targetILNS1_3genE9ELNS1_11target_archE1100ELNS1_3gpuE3ELNS1_3repE0EEENS1_30default_config_static_selectorELNS0_4arch9wavefront6targetE1EEEvT1_.num_vgpr, 0
	.set _ZN7rocprim17ROCPRIM_400000_NS6detail17trampoline_kernelINS0_14default_configENS1_25partition_config_selectorILNS1_17partition_subalgoE9EllbEEZZNS1_14partition_implILS5_9ELb0ES3_jPlS8_PNS0_10empty_typeENS0_5tupleIJS8_S9_EEENSB_IJS8_SA_EEENS0_18inequality_wrapperIZN2at6native12_GLOBAL__N_124unique_dim_cuda_templateIN3c104HalfEEESt5tupleIJNSF_6TensorESM_SM_EERKSM_lbbbEUlllE0_EEPmJS9_EEE10hipError_tPvRmT3_T4_T5_T6_T7_T9_mT8_P12ihipStream_tbDpT10_ENKUlT_T0_E_clISt17integral_constantIbLb0EES1C_EEDaS17_S18_EUlS17_E_NS1_11comp_targetILNS1_3genE9ELNS1_11target_archE1100ELNS1_3gpuE3ELNS1_3repE0EEENS1_30default_config_static_selectorELNS0_4arch9wavefront6targetE1EEEvT1_.num_agpr, 0
	.set _ZN7rocprim17ROCPRIM_400000_NS6detail17trampoline_kernelINS0_14default_configENS1_25partition_config_selectorILNS1_17partition_subalgoE9EllbEEZZNS1_14partition_implILS5_9ELb0ES3_jPlS8_PNS0_10empty_typeENS0_5tupleIJS8_S9_EEENSB_IJS8_SA_EEENS0_18inequality_wrapperIZN2at6native12_GLOBAL__N_124unique_dim_cuda_templateIN3c104HalfEEESt5tupleIJNSF_6TensorESM_SM_EERKSM_lbbbEUlllE0_EEPmJS9_EEE10hipError_tPvRmT3_T4_T5_T6_T7_T9_mT8_P12ihipStream_tbDpT10_ENKUlT_T0_E_clISt17integral_constantIbLb0EES1C_EEDaS17_S18_EUlS17_E_NS1_11comp_targetILNS1_3genE9ELNS1_11target_archE1100ELNS1_3gpuE3ELNS1_3repE0EEENS1_30default_config_static_selectorELNS0_4arch9wavefront6targetE1EEEvT1_.numbered_sgpr, 0
	.set _ZN7rocprim17ROCPRIM_400000_NS6detail17trampoline_kernelINS0_14default_configENS1_25partition_config_selectorILNS1_17partition_subalgoE9EllbEEZZNS1_14partition_implILS5_9ELb0ES3_jPlS8_PNS0_10empty_typeENS0_5tupleIJS8_S9_EEENSB_IJS8_SA_EEENS0_18inequality_wrapperIZN2at6native12_GLOBAL__N_124unique_dim_cuda_templateIN3c104HalfEEESt5tupleIJNSF_6TensorESM_SM_EERKSM_lbbbEUlllE0_EEPmJS9_EEE10hipError_tPvRmT3_T4_T5_T6_T7_T9_mT8_P12ihipStream_tbDpT10_ENKUlT_T0_E_clISt17integral_constantIbLb0EES1C_EEDaS17_S18_EUlS17_E_NS1_11comp_targetILNS1_3genE9ELNS1_11target_archE1100ELNS1_3gpuE3ELNS1_3repE0EEENS1_30default_config_static_selectorELNS0_4arch9wavefront6targetE1EEEvT1_.num_named_barrier, 0
	.set _ZN7rocprim17ROCPRIM_400000_NS6detail17trampoline_kernelINS0_14default_configENS1_25partition_config_selectorILNS1_17partition_subalgoE9EllbEEZZNS1_14partition_implILS5_9ELb0ES3_jPlS8_PNS0_10empty_typeENS0_5tupleIJS8_S9_EEENSB_IJS8_SA_EEENS0_18inequality_wrapperIZN2at6native12_GLOBAL__N_124unique_dim_cuda_templateIN3c104HalfEEESt5tupleIJNSF_6TensorESM_SM_EERKSM_lbbbEUlllE0_EEPmJS9_EEE10hipError_tPvRmT3_T4_T5_T6_T7_T9_mT8_P12ihipStream_tbDpT10_ENKUlT_T0_E_clISt17integral_constantIbLb0EES1C_EEDaS17_S18_EUlS17_E_NS1_11comp_targetILNS1_3genE9ELNS1_11target_archE1100ELNS1_3gpuE3ELNS1_3repE0EEENS1_30default_config_static_selectorELNS0_4arch9wavefront6targetE1EEEvT1_.private_seg_size, 0
	.set _ZN7rocprim17ROCPRIM_400000_NS6detail17trampoline_kernelINS0_14default_configENS1_25partition_config_selectorILNS1_17partition_subalgoE9EllbEEZZNS1_14partition_implILS5_9ELb0ES3_jPlS8_PNS0_10empty_typeENS0_5tupleIJS8_S9_EEENSB_IJS8_SA_EEENS0_18inequality_wrapperIZN2at6native12_GLOBAL__N_124unique_dim_cuda_templateIN3c104HalfEEESt5tupleIJNSF_6TensorESM_SM_EERKSM_lbbbEUlllE0_EEPmJS9_EEE10hipError_tPvRmT3_T4_T5_T6_T7_T9_mT8_P12ihipStream_tbDpT10_ENKUlT_T0_E_clISt17integral_constantIbLb0EES1C_EEDaS17_S18_EUlS17_E_NS1_11comp_targetILNS1_3genE9ELNS1_11target_archE1100ELNS1_3gpuE3ELNS1_3repE0EEENS1_30default_config_static_selectorELNS0_4arch9wavefront6targetE1EEEvT1_.uses_vcc, 0
	.set _ZN7rocprim17ROCPRIM_400000_NS6detail17trampoline_kernelINS0_14default_configENS1_25partition_config_selectorILNS1_17partition_subalgoE9EllbEEZZNS1_14partition_implILS5_9ELb0ES3_jPlS8_PNS0_10empty_typeENS0_5tupleIJS8_S9_EEENSB_IJS8_SA_EEENS0_18inequality_wrapperIZN2at6native12_GLOBAL__N_124unique_dim_cuda_templateIN3c104HalfEEESt5tupleIJNSF_6TensorESM_SM_EERKSM_lbbbEUlllE0_EEPmJS9_EEE10hipError_tPvRmT3_T4_T5_T6_T7_T9_mT8_P12ihipStream_tbDpT10_ENKUlT_T0_E_clISt17integral_constantIbLb0EES1C_EEDaS17_S18_EUlS17_E_NS1_11comp_targetILNS1_3genE9ELNS1_11target_archE1100ELNS1_3gpuE3ELNS1_3repE0EEENS1_30default_config_static_selectorELNS0_4arch9wavefront6targetE1EEEvT1_.uses_flat_scratch, 0
	.set _ZN7rocprim17ROCPRIM_400000_NS6detail17trampoline_kernelINS0_14default_configENS1_25partition_config_selectorILNS1_17partition_subalgoE9EllbEEZZNS1_14partition_implILS5_9ELb0ES3_jPlS8_PNS0_10empty_typeENS0_5tupleIJS8_S9_EEENSB_IJS8_SA_EEENS0_18inequality_wrapperIZN2at6native12_GLOBAL__N_124unique_dim_cuda_templateIN3c104HalfEEESt5tupleIJNSF_6TensorESM_SM_EERKSM_lbbbEUlllE0_EEPmJS9_EEE10hipError_tPvRmT3_T4_T5_T6_T7_T9_mT8_P12ihipStream_tbDpT10_ENKUlT_T0_E_clISt17integral_constantIbLb0EES1C_EEDaS17_S18_EUlS17_E_NS1_11comp_targetILNS1_3genE9ELNS1_11target_archE1100ELNS1_3gpuE3ELNS1_3repE0EEENS1_30default_config_static_selectorELNS0_4arch9wavefront6targetE1EEEvT1_.has_dyn_sized_stack, 0
	.set _ZN7rocprim17ROCPRIM_400000_NS6detail17trampoline_kernelINS0_14default_configENS1_25partition_config_selectorILNS1_17partition_subalgoE9EllbEEZZNS1_14partition_implILS5_9ELb0ES3_jPlS8_PNS0_10empty_typeENS0_5tupleIJS8_S9_EEENSB_IJS8_SA_EEENS0_18inequality_wrapperIZN2at6native12_GLOBAL__N_124unique_dim_cuda_templateIN3c104HalfEEESt5tupleIJNSF_6TensorESM_SM_EERKSM_lbbbEUlllE0_EEPmJS9_EEE10hipError_tPvRmT3_T4_T5_T6_T7_T9_mT8_P12ihipStream_tbDpT10_ENKUlT_T0_E_clISt17integral_constantIbLb0EES1C_EEDaS17_S18_EUlS17_E_NS1_11comp_targetILNS1_3genE9ELNS1_11target_archE1100ELNS1_3gpuE3ELNS1_3repE0EEENS1_30default_config_static_selectorELNS0_4arch9wavefront6targetE1EEEvT1_.has_recursion, 0
	.set _ZN7rocprim17ROCPRIM_400000_NS6detail17trampoline_kernelINS0_14default_configENS1_25partition_config_selectorILNS1_17partition_subalgoE9EllbEEZZNS1_14partition_implILS5_9ELb0ES3_jPlS8_PNS0_10empty_typeENS0_5tupleIJS8_S9_EEENSB_IJS8_SA_EEENS0_18inequality_wrapperIZN2at6native12_GLOBAL__N_124unique_dim_cuda_templateIN3c104HalfEEESt5tupleIJNSF_6TensorESM_SM_EERKSM_lbbbEUlllE0_EEPmJS9_EEE10hipError_tPvRmT3_T4_T5_T6_T7_T9_mT8_P12ihipStream_tbDpT10_ENKUlT_T0_E_clISt17integral_constantIbLb0EES1C_EEDaS17_S18_EUlS17_E_NS1_11comp_targetILNS1_3genE9ELNS1_11target_archE1100ELNS1_3gpuE3ELNS1_3repE0EEENS1_30default_config_static_selectorELNS0_4arch9wavefront6targetE1EEEvT1_.has_indirect_call, 0
	.section	.AMDGPU.csdata,"",@progbits
; Kernel info:
; codeLenInByte = 0
; TotalNumSgprs: 6
; NumVgprs: 0
; NumAgprs: 0
; TotalNumVgprs: 0
; ScratchSize: 0
; MemoryBound: 0
; FloatMode: 240
; IeeeMode: 1
; LDSByteSize: 0 bytes/workgroup (compile time only)
; SGPRBlocks: 0
; VGPRBlocks: 0
; NumSGPRsForWavesPerEU: 6
; NumVGPRsForWavesPerEU: 1
; AccumOffset: 4
; Occupancy: 8
; WaveLimiterHint : 0
; COMPUTE_PGM_RSRC2:SCRATCH_EN: 0
; COMPUTE_PGM_RSRC2:USER_SGPR: 2
; COMPUTE_PGM_RSRC2:TRAP_HANDLER: 0
; COMPUTE_PGM_RSRC2:TGID_X_EN: 1
; COMPUTE_PGM_RSRC2:TGID_Y_EN: 0
; COMPUTE_PGM_RSRC2:TGID_Z_EN: 0
; COMPUTE_PGM_RSRC2:TIDIG_COMP_CNT: 0
; COMPUTE_PGM_RSRC3_GFX90A:ACCUM_OFFSET: 0
; COMPUTE_PGM_RSRC3_GFX90A:TG_SPLIT: 0
	.section	.text._ZN7rocprim17ROCPRIM_400000_NS6detail17trampoline_kernelINS0_14default_configENS1_25partition_config_selectorILNS1_17partition_subalgoE9EllbEEZZNS1_14partition_implILS5_9ELb0ES3_jPlS8_PNS0_10empty_typeENS0_5tupleIJS8_S9_EEENSB_IJS8_SA_EEENS0_18inequality_wrapperIZN2at6native12_GLOBAL__N_124unique_dim_cuda_templateIN3c104HalfEEESt5tupleIJNSF_6TensorESM_SM_EERKSM_lbbbEUlllE0_EEPmJS9_EEE10hipError_tPvRmT3_T4_T5_T6_T7_T9_mT8_P12ihipStream_tbDpT10_ENKUlT_T0_E_clISt17integral_constantIbLb0EES1C_EEDaS17_S18_EUlS17_E_NS1_11comp_targetILNS1_3genE8ELNS1_11target_archE1030ELNS1_3gpuE2ELNS1_3repE0EEENS1_30default_config_static_selectorELNS0_4arch9wavefront6targetE1EEEvT1_,"axG",@progbits,_ZN7rocprim17ROCPRIM_400000_NS6detail17trampoline_kernelINS0_14default_configENS1_25partition_config_selectorILNS1_17partition_subalgoE9EllbEEZZNS1_14partition_implILS5_9ELb0ES3_jPlS8_PNS0_10empty_typeENS0_5tupleIJS8_S9_EEENSB_IJS8_SA_EEENS0_18inequality_wrapperIZN2at6native12_GLOBAL__N_124unique_dim_cuda_templateIN3c104HalfEEESt5tupleIJNSF_6TensorESM_SM_EERKSM_lbbbEUlllE0_EEPmJS9_EEE10hipError_tPvRmT3_T4_T5_T6_T7_T9_mT8_P12ihipStream_tbDpT10_ENKUlT_T0_E_clISt17integral_constantIbLb0EES1C_EEDaS17_S18_EUlS17_E_NS1_11comp_targetILNS1_3genE8ELNS1_11target_archE1030ELNS1_3gpuE2ELNS1_3repE0EEENS1_30default_config_static_selectorELNS0_4arch9wavefront6targetE1EEEvT1_,comdat
	.globl	_ZN7rocprim17ROCPRIM_400000_NS6detail17trampoline_kernelINS0_14default_configENS1_25partition_config_selectorILNS1_17partition_subalgoE9EllbEEZZNS1_14partition_implILS5_9ELb0ES3_jPlS8_PNS0_10empty_typeENS0_5tupleIJS8_S9_EEENSB_IJS8_SA_EEENS0_18inequality_wrapperIZN2at6native12_GLOBAL__N_124unique_dim_cuda_templateIN3c104HalfEEESt5tupleIJNSF_6TensorESM_SM_EERKSM_lbbbEUlllE0_EEPmJS9_EEE10hipError_tPvRmT3_T4_T5_T6_T7_T9_mT8_P12ihipStream_tbDpT10_ENKUlT_T0_E_clISt17integral_constantIbLb0EES1C_EEDaS17_S18_EUlS17_E_NS1_11comp_targetILNS1_3genE8ELNS1_11target_archE1030ELNS1_3gpuE2ELNS1_3repE0EEENS1_30default_config_static_selectorELNS0_4arch9wavefront6targetE1EEEvT1_ ; -- Begin function _ZN7rocprim17ROCPRIM_400000_NS6detail17trampoline_kernelINS0_14default_configENS1_25partition_config_selectorILNS1_17partition_subalgoE9EllbEEZZNS1_14partition_implILS5_9ELb0ES3_jPlS8_PNS0_10empty_typeENS0_5tupleIJS8_S9_EEENSB_IJS8_SA_EEENS0_18inequality_wrapperIZN2at6native12_GLOBAL__N_124unique_dim_cuda_templateIN3c104HalfEEESt5tupleIJNSF_6TensorESM_SM_EERKSM_lbbbEUlllE0_EEPmJS9_EEE10hipError_tPvRmT3_T4_T5_T6_T7_T9_mT8_P12ihipStream_tbDpT10_ENKUlT_T0_E_clISt17integral_constantIbLb0EES1C_EEDaS17_S18_EUlS17_E_NS1_11comp_targetILNS1_3genE8ELNS1_11target_archE1030ELNS1_3gpuE2ELNS1_3repE0EEENS1_30default_config_static_selectorELNS0_4arch9wavefront6targetE1EEEvT1_
	.p2align	8
	.type	_ZN7rocprim17ROCPRIM_400000_NS6detail17trampoline_kernelINS0_14default_configENS1_25partition_config_selectorILNS1_17partition_subalgoE9EllbEEZZNS1_14partition_implILS5_9ELb0ES3_jPlS8_PNS0_10empty_typeENS0_5tupleIJS8_S9_EEENSB_IJS8_SA_EEENS0_18inequality_wrapperIZN2at6native12_GLOBAL__N_124unique_dim_cuda_templateIN3c104HalfEEESt5tupleIJNSF_6TensorESM_SM_EERKSM_lbbbEUlllE0_EEPmJS9_EEE10hipError_tPvRmT3_T4_T5_T6_T7_T9_mT8_P12ihipStream_tbDpT10_ENKUlT_T0_E_clISt17integral_constantIbLb0EES1C_EEDaS17_S18_EUlS17_E_NS1_11comp_targetILNS1_3genE8ELNS1_11target_archE1030ELNS1_3gpuE2ELNS1_3repE0EEENS1_30default_config_static_selectorELNS0_4arch9wavefront6targetE1EEEvT1_,@function
_ZN7rocprim17ROCPRIM_400000_NS6detail17trampoline_kernelINS0_14default_configENS1_25partition_config_selectorILNS1_17partition_subalgoE9EllbEEZZNS1_14partition_implILS5_9ELb0ES3_jPlS8_PNS0_10empty_typeENS0_5tupleIJS8_S9_EEENSB_IJS8_SA_EEENS0_18inequality_wrapperIZN2at6native12_GLOBAL__N_124unique_dim_cuda_templateIN3c104HalfEEESt5tupleIJNSF_6TensorESM_SM_EERKSM_lbbbEUlllE0_EEPmJS9_EEE10hipError_tPvRmT3_T4_T5_T6_T7_T9_mT8_P12ihipStream_tbDpT10_ENKUlT_T0_E_clISt17integral_constantIbLb0EES1C_EEDaS17_S18_EUlS17_E_NS1_11comp_targetILNS1_3genE8ELNS1_11target_archE1030ELNS1_3gpuE2ELNS1_3repE0EEENS1_30default_config_static_selectorELNS0_4arch9wavefront6targetE1EEEvT1_: ; @_ZN7rocprim17ROCPRIM_400000_NS6detail17trampoline_kernelINS0_14default_configENS1_25partition_config_selectorILNS1_17partition_subalgoE9EllbEEZZNS1_14partition_implILS5_9ELb0ES3_jPlS8_PNS0_10empty_typeENS0_5tupleIJS8_S9_EEENSB_IJS8_SA_EEENS0_18inequality_wrapperIZN2at6native12_GLOBAL__N_124unique_dim_cuda_templateIN3c104HalfEEESt5tupleIJNSF_6TensorESM_SM_EERKSM_lbbbEUlllE0_EEPmJS9_EEE10hipError_tPvRmT3_T4_T5_T6_T7_T9_mT8_P12ihipStream_tbDpT10_ENKUlT_T0_E_clISt17integral_constantIbLb0EES1C_EEDaS17_S18_EUlS17_E_NS1_11comp_targetILNS1_3genE8ELNS1_11target_archE1030ELNS1_3gpuE2ELNS1_3repE0EEENS1_30default_config_static_selectorELNS0_4arch9wavefront6targetE1EEEvT1_
; %bb.0:
	.section	.rodata,"a",@progbits
	.p2align	6, 0x0
	.amdhsa_kernel _ZN7rocprim17ROCPRIM_400000_NS6detail17trampoline_kernelINS0_14default_configENS1_25partition_config_selectorILNS1_17partition_subalgoE9EllbEEZZNS1_14partition_implILS5_9ELb0ES3_jPlS8_PNS0_10empty_typeENS0_5tupleIJS8_S9_EEENSB_IJS8_SA_EEENS0_18inequality_wrapperIZN2at6native12_GLOBAL__N_124unique_dim_cuda_templateIN3c104HalfEEESt5tupleIJNSF_6TensorESM_SM_EERKSM_lbbbEUlllE0_EEPmJS9_EEE10hipError_tPvRmT3_T4_T5_T6_T7_T9_mT8_P12ihipStream_tbDpT10_ENKUlT_T0_E_clISt17integral_constantIbLb0EES1C_EEDaS17_S18_EUlS17_E_NS1_11comp_targetILNS1_3genE8ELNS1_11target_archE1030ELNS1_3gpuE2ELNS1_3repE0EEENS1_30default_config_static_selectorELNS0_4arch9wavefront6targetE1EEEvT1_
		.amdhsa_group_segment_fixed_size 0
		.amdhsa_private_segment_fixed_size 0
		.amdhsa_kernarg_size 120
		.amdhsa_user_sgpr_count 2
		.amdhsa_user_sgpr_dispatch_ptr 0
		.amdhsa_user_sgpr_queue_ptr 0
		.amdhsa_user_sgpr_kernarg_segment_ptr 1
		.amdhsa_user_sgpr_dispatch_id 0
		.amdhsa_user_sgpr_kernarg_preload_length 0
		.amdhsa_user_sgpr_kernarg_preload_offset 0
		.amdhsa_user_sgpr_private_segment_size 0
		.amdhsa_uses_dynamic_stack 0
		.amdhsa_enable_private_segment 0
		.amdhsa_system_sgpr_workgroup_id_x 1
		.amdhsa_system_sgpr_workgroup_id_y 0
		.amdhsa_system_sgpr_workgroup_id_z 0
		.amdhsa_system_sgpr_workgroup_info 0
		.amdhsa_system_vgpr_workitem_id 0
		.amdhsa_next_free_vgpr 1
		.amdhsa_next_free_sgpr 0
		.amdhsa_accum_offset 4
		.amdhsa_reserve_vcc 0
		.amdhsa_float_round_mode_32 0
		.amdhsa_float_round_mode_16_64 0
		.amdhsa_float_denorm_mode_32 3
		.amdhsa_float_denorm_mode_16_64 3
		.amdhsa_dx10_clamp 1
		.amdhsa_ieee_mode 1
		.amdhsa_fp16_overflow 0
		.amdhsa_tg_split 0
		.amdhsa_exception_fp_ieee_invalid_op 0
		.amdhsa_exception_fp_denorm_src 0
		.amdhsa_exception_fp_ieee_div_zero 0
		.amdhsa_exception_fp_ieee_overflow 0
		.amdhsa_exception_fp_ieee_underflow 0
		.amdhsa_exception_fp_ieee_inexact 0
		.amdhsa_exception_int_div_zero 0
	.end_amdhsa_kernel
	.section	.text._ZN7rocprim17ROCPRIM_400000_NS6detail17trampoline_kernelINS0_14default_configENS1_25partition_config_selectorILNS1_17partition_subalgoE9EllbEEZZNS1_14partition_implILS5_9ELb0ES3_jPlS8_PNS0_10empty_typeENS0_5tupleIJS8_S9_EEENSB_IJS8_SA_EEENS0_18inequality_wrapperIZN2at6native12_GLOBAL__N_124unique_dim_cuda_templateIN3c104HalfEEESt5tupleIJNSF_6TensorESM_SM_EERKSM_lbbbEUlllE0_EEPmJS9_EEE10hipError_tPvRmT3_T4_T5_T6_T7_T9_mT8_P12ihipStream_tbDpT10_ENKUlT_T0_E_clISt17integral_constantIbLb0EES1C_EEDaS17_S18_EUlS17_E_NS1_11comp_targetILNS1_3genE8ELNS1_11target_archE1030ELNS1_3gpuE2ELNS1_3repE0EEENS1_30default_config_static_selectorELNS0_4arch9wavefront6targetE1EEEvT1_,"axG",@progbits,_ZN7rocprim17ROCPRIM_400000_NS6detail17trampoline_kernelINS0_14default_configENS1_25partition_config_selectorILNS1_17partition_subalgoE9EllbEEZZNS1_14partition_implILS5_9ELb0ES3_jPlS8_PNS0_10empty_typeENS0_5tupleIJS8_S9_EEENSB_IJS8_SA_EEENS0_18inequality_wrapperIZN2at6native12_GLOBAL__N_124unique_dim_cuda_templateIN3c104HalfEEESt5tupleIJNSF_6TensorESM_SM_EERKSM_lbbbEUlllE0_EEPmJS9_EEE10hipError_tPvRmT3_T4_T5_T6_T7_T9_mT8_P12ihipStream_tbDpT10_ENKUlT_T0_E_clISt17integral_constantIbLb0EES1C_EEDaS17_S18_EUlS17_E_NS1_11comp_targetILNS1_3genE8ELNS1_11target_archE1030ELNS1_3gpuE2ELNS1_3repE0EEENS1_30default_config_static_selectorELNS0_4arch9wavefront6targetE1EEEvT1_,comdat
.Lfunc_end1336:
	.size	_ZN7rocprim17ROCPRIM_400000_NS6detail17trampoline_kernelINS0_14default_configENS1_25partition_config_selectorILNS1_17partition_subalgoE9EllbEEZZNS1_14partition_implILS5_9ELb0ES3_jPlS8_PNS0_10empty_typeENS0_5tupleIJS8_S9_EEENSB_IJS8_SA_EEENS0_18inequality_wrapperIZN2at6native12_GLOBAL__N_124unique_dim_cuda_templateIN3c104HalfEEESt5tupleIJNSF_6TensorESM_SM_EERKSM_lbbbEUlllE0_EEPmJS9_EEE10hipError_tPvRmT3_T4_T5_T6_T7_T9_mT8_P12ihipStream_tbDpT10_ENKUlT_T0_E_clISt17integral_constantIbLb0EES1C_EEDaS17_S18_EUlS17_E_NS1_11comp_targetILNS1_3genE8ELNS1_11target_archE1030ELNS1_3gpuE2ELNS1_3repE0EEENS1_30default_config_static_selectorELNS0_4arch9wavefront6targetE1EEEvT1_, .Lfunc_end1336-_ZN7rocprim17ROCPRIM_400000_NS6detail17trampoline_kernelINS0_14default_configENS1_25partition_config_selectorILNS1_17partition_subalgoE9EllbEEZZNS1_14partition_implILS5_9ELb0ES3_jPlS8_PNS0_10empty_typeENS0_5tupleIJS8_S9_EEENSB_IJS8_SA_EEENS0_18inequality_wrapperIZN2at6native12_GLOBAL__N_124unique_dim_cuda_templateIN3c104HalfEEESt5tupleIJNSF_6TensorESM_SM_EERKSM_lbbbEUlllE0_EEPmJS9_EEE10hipError_tPvRmT3_T4_T5_T6_T7_T9_mT8_P12ihipStream_tbDpT10_ENKUlT_T0_E_clISt17integral_constantIbLb0EES1C_EEDaS17_S18_EUlS17_E_NS1_11comp_targetILNS1_3genE8ELNS1_11target_archE1030ELNS1_3gpuE2ELNS1_3repE0EEENS1_30default_config_static_selectorELNS0_4arch9wavefront6targetE1EEEvT1_
                                        ; -- End function
	.set _ZN7rocprim17ROCPRIM_400000_NS6detail17trampoline_kernelINS0_14default_configENS1_25partition_config_selectorILNS1_17partition_subalgoE9EllbEEZZNS1_14partition_implILS5_9ELb0ES3_jPlS8_PNS0_10empty_typeENS0_5tupleIJS8_S9_EEENSB_IJS8_SA_EEENS0_18inequality_wrapperIZN2at6native12_GLOBAL__N_124unique_dim_cuda_templateIN3c104HalfEEESt5tupleIJNSF_6TensorESM_SM_EERKSM_lbbbEUlllE0_EEPmJS9_EEE10hipError_tPvRmT3_T4_T5_T6_T7_T9_mT8_P12ihipStream_tbDpT10_ENKUlT_T0_E_clISt17integral_constantIbLb0EES1C_EEDaS17_S18_EUlS17_E_NS1_11comp_targetILNS1_3genE8ELNS1_11target_archE1030ELNS1_3gpuE2ELNS1_3repE0EEENS1_30default_config_static_selectorELNS0_4arch9wavefront6targetE1EEEvT1_.num_vgpr, 0
	.set _ZN7rocprim17ROCPRIM_400000_NS6detail17trampoline_kernelINS0_14default_configENS1_25partition_config_selectorILNS1_17partition_subalgoE9EllbEEZZNS1_14partition_implILS5_9ELb0ES3_jPlS8_PNS0_10empty_typeENS0_5tupleIJS8_S9_EEENSB_IJS8_SA_EEENS0_18inequality_wrapperIZN2at6native12_GLOBAL__N_124unique_dim_cuda_templateIN3c104HalfEEESt5tupleIJNSF_6TensorESM_SM_EERKSM_lbbbEUlllE0_EEPmJS9_EEE10hipError_tPvRmT3_T4_T5_T6_T7_T9_mT8_P12ihipStream_tbDpT10_ENKUlT_T0_E_clISt17integral_constantIbLb0EES1C_EEDaS17_S18_EUlS17_E_NS1_11comp_targetILNS1_3genE8ELNS1_11target_archE1030ELNS1_3gpuE2ELNS1_3repE0EEENS1_30default_config_static_selectorELNS0_4arch9wavefront6targetE1EEEvT1_.num_agpr, 0
	.set _ZN7rocprim17ROCPRIM_400000_NS6detail17trampoline_kernelINS0_14default_configENS1_25partition_config_selectorILNS1_17partition_subalgoE9EllbEEZZNS1_14partition_implILS5_9ELb0ES3_jPlS8_PNS0_10empty_typeENS0_5tupleIJS8_S9_EEENSB_IJS8_SA_EEENS0_18inequality_wrapperIZN2at6native12_GLOBAL__N_124unique_dim_cuda_templateIN3c104HalfEEESt5tupleIJNSF_6TensorESM_SM_EERKSM_lbbbEUlllE0_EEPmJS9_EEE10hipError_tPvRmT3_T4_T5_T6_T7_T9_mT8_P12ihipStream_tbDpT10_ENKUlT_T0_E_clISt17integral_constantIbLb0EES1C_EEDaS17_S18_EUlS17_E_NS1_11comp_targetILNS1_3genE8ELNS1_11target_archE1030ELNS1_3gpuE2ELNS1_3repE0EEENS1_30default_config_static_selectorELNS0_4arch9wavefront6targetE1EEEvT1_.numbered_sgpr, 0
	.set _ZN7rocprim17ROCPRIM_400000_NS6detail17trampoline_kernelINS0_14default_configENS1_25partition_config_selectorILNS1_17partition_subalgoE9EllbEEZZNS1_14partition_implILS5_9ELb0ES3_jPlS8_PNS0_10empty_typeENS0_5tupleIJS8_S9_EEENSB_IJS8_SA_EEENS0_18inequality_wrapperIZN2at6native12_GLOBAL__N_124unique_dim_cuda_templateIN3c104HalfEEESt5tupleIJNSF_6TensorESM_SM_EERKSM_lbbbEUlllE0_EEPmJS9_EEE10hipError_tPvRmT3_T4_T5_T6_T7_T9_mT8_P12ihipStream_tbDpT10_ENKUlT_T0_E_clISt17integral_constantIbLb0EES1C_EEDaS17_S18_EUlS17_E_NS1_11comp_targetILNS1_3genE8ELNS1_11target_archE1030ELNS1_3gpuE2ELNS1_3repE0EEENS1_30default_config_static_selectorELNS0_4arch9wavefront6targetE1EEEvT1_.num_named_barrier, 0
	.set _ZN7rocprim17ROCPRIM_400000_NS6detail17trampoline_kernelINS0_14default_configENS1_25partition_config_selectorILNS1_17partition_subalgoE9EllbEEZZNS1_14partition_implILS5_9ELb0ES3_jPlS8_PNS0_10empty_typeENS0_5tupleIJS8_S9_EEENSB_IJS8_SA_EEENS0_18inequality_wrapperIZN2at6native12_GLOBAL__N_124unique_dim_cuda_templateIN3c104HalfEEESt5tupleIJNSF_6TensorESM_SM_EERKSM_lbbbEUlllE0_EEPmJS9_EEE10hipError_tPvRmT3_T4_T5_T6_T7_T9_mT8_P12ihipStream_tbDpT10_ENKUlT_T0_E_clISt17integral_constantIbLb0EES1C_EEDaS17_S18_EUlS17_E_NS1_11comp_targetILNS1_3genE8ELNS1_11target_archE1030ELNS1_3gpuE2ELNS1_3repE0EEENS1_30default_config_static_selectorELNS0_4arch9wavefront6targetE1EEEvT1_.private_seg_size, 0
	.set _ZN7rocprim17ROCPRIM_400000_NS6detail17trampoline_kernelINS0_14default_configENS1_25partition_config_selectorILNS1_17partition_subalgoE9EllbEEZZNS1_14partition_implILS5_9ELb0ES3_jPlS8_PNS0_10empty_typeENS0_5tupleIJS8_S9_EEENSB_IJS8_SA_EEENS0_18inequality_wrapperIZN2at6native12_GLOBAL__N_124unique_dim_cuda_templateIN3c104HalfEEESt5tupleIJNSF_6TensorESM_SM_EERKSM_lbbbEUlllE0_EEPmJS9_EEE10hipError_tPvRmT3_T4_T5_T6_T7_T9_mT8_P12ihipStream_tbDpT10_ENKUlT_T0_E_clISt17integral_constantIbLb0EES1C_EEDaS17_S18_EUlS17_E_NS1_11comp_targetILNS1_3genE8ELNS1_11target_archE1030ELNS1_3gpuE2ELNS1_3repE0EEENS1_30default_config_static_selectorELNS0_4arch9wavefront6targetE1EEEvT1_.uses_vcc, 0
	.set _ZN7rocprim17ROCPRIM_400000_NS6detail17trampoline_kernelINS0_14default_configENS1_25partition_config_selectorILNS1_17partition_subalgoE9EllbEEZZNS1_14partition_implILS5_9ELb0ES3_jPlS8_PNS0_10empty_typeENS0_5tupleIJS8_S9_EEENSB_IJS8_SA_EEENS0_18inequality_wrapperIZN2at6native12_GLOBAL__N_124unique_dim_cuda_templateIN3c104HalfEEESt5tupleIJNSF_6TensorESM_SM_EERKSM_lbbbEUlllE0_EEPmJS9_EEE10hipError_tPvRmT3_T4_T5_T6_T7_T9_mT8_P12ihipStream_tbDpT10_ENKUlT_T0_E_clISt17integral_constantIbLb0EES1C_EEDaS17_S18_EUlS17_E_NS1_11comp_targetILNS1_3genE8ELNS1_11target_archE1030ELNS1_3gpuE2ELNS1_3repE0EEENS1_30default_config_static_selectorELNS0_4arch9wavefront6targetE1EEEvT1_.uses_flat_scratch, 0
	.set _ZN7rocprim17ROCPRIM_400000_NS6detail17trampoline_kernelINS0_14default_configENS1_25partition_config_selectorILNS1_17partition_subalgoE9EllbEEZZNS1_14partition_implILS5_9ELb0ES3_jPlS8_PNS0_10empty_typeENS0_5tupleIJS8_S9_EEENSB_IJS8_SA_EEENS0_18inequality_wrapperIZN2at6native12_GLOBAL__N_124unique_dim_cuda_templateIN3c104HalfEEESt5tupleIJNSF_6TensorESM_SM_EERKSM_lbbbEUlllE0_EEPmJS9_EEE10hipError_tPvRmT3_T4_T5_T6_T7_T9_mT8_P12ihipStream_tbDpT10_ENKUlT_T0_E_clISt17integral_constantIbLb0EES1C_EEDaS17_S18_EUlS17_E_NS1_11comp_targetILNS1_3genE8ELNS1_11target_archE1030ELNS1_3gpuE2ELNS1_3repE0EEENS1_30default_config_static_selectorELNS0_4arch9wavefront6targetE1EEEvT1_.has_dyn_sized_stack, 0
	.set _ZN7rocprim17ROCPRIM_400000_NS6detail17trampoline_kernelINS0_14default_configENS1_25partition_config_selectorILNS1_17partition_subalgoE9EllbEEZZNS1_14partition_implILS5_9ELb0ES3_jPlS8_PNS0_10empty_typeENS0_5tupleIJS8_S9_EEENSB_IJS8_SA_EEENS0_18inequality_wrapperIZN2at6native12_GLOBAL__N_124unique_dim_cuda_templateIN3c104HalfEEESt5tupleIJNSF_6TensorESM_SM_EERKSM_lbbbEUlllE0_EEPmJS9_EEE10hipError_tPvRmT3_T4_T5_T6_T7_T9_mT8_P12ihipStream_tbDpT10_ENKUlT_T0_E_clISt17integral_constantIbLb0EES1C_EEDaS17_S18_EUlS17_E_NS1_11comp_targetILNS1_3genE8ELNS1_11target_archE1030ELNS1_3gpuE2ELNS1_3repE0EEENS1_30default_config_static_selectorELNS0_4arch9wavefront6targetE1EEEvT1_.has_recursion, 0
	.set _ZN7rocprim17ROCPRIM_400000_NS6detail17trampoline_kernelINS0_14default_configENS1_25partition_config_selectorILNS1_17partition_subalgoE9EllbEEZZNS1_14partition_implILS5_9ELb0ES3_jPlS8_PNS0_10empty_typeENS0_5tupleIJS8_S9_EEENSB_IJS8_SA_EEENS0_18inequality_wrapperIZN2at6native12_GLOBAL__N_124unique_dim_cuda_templateIN3c104HalfEEESt5tupleIJNSF_6TensorESM_SM_EERKSM_lbbbEUlllE0_EEPmJS9_EEE10hipError_tPvRmT3_T4_T5_T6_T7_T9_mT8_P12ihipStream_tbDpT10_ENKUlT_T0_E_clISt17integral_constantIbLb0EES1C_EEDaS17_S18_EUlS17_E_NS1_11comp_targetILNS1_3genE8ELNS1_11target_archE1030ELNS1_3gpuE2ELNS1_3repE0EEENS1_30default_config_static_selectorELNS0_4arch9wavefront6targetE1EEEvT1_.has_indirect_call, 0
	.section	.AMDGPU.csdata,"",@progbits
; Kernel info:
; codeLenInByte = 0
; TotalNumSgprs: 6
; NumVgprs: 0
; NumAgprs: 0
; TotalNumVgprs: 0
; ScratchSize: 0
; MemoryBound: 0
; FloatMode: 240
; IeeeMode: 1
; LDSByteSize: 0 bytes/workgroup (compile time only)
; SGPRBlocks: 0
; VGPRBlocks: 0
; NumSGPRsForWavesPerEU: 6
; NumVGPRsForWavesPerEU: 1
; AccumOffset: 4
; Occupancy: 8
; WaveLimiterHint : 0
; COMPUTE_PGM_RSRC2:SCRATCH_EN: 0
; COMPUTE_PGM_RSRC2:USER_SGPR: 2
; COMPUTE_PGM_RSRC2:TRAP_HANDLER: 0
; COMPUTE_PGM_RSRC2:TGID_X_EN: 1
; COMPUTE_PGM_RSRC2:TGID_Y_EN: 0
; COMPUTE_PGM_RSRC2:TGID_Z_EN: 0
; COMPUTE_PGM_RSRC2:TIDIG_COMP_CNT: 0
; COMPUTE_PGM_RSRC3_GFX90A:ACCUM_OFFSET: 0
; COMPUTE_PGM_RSRC3_GFX90A:TG_SPLIT: 0
	.section	.text._ZN7rocprim17ROCPRIM_400000_NS6detail17trampoline_kernelINS0_14default_configENS1_25partition_config_selectorILNS1_17partition_subalgoE9EllbEEZZNS1_14partition_implILS5_9ELb0ES3_jPlS8_PNS0_10empty_typeENS0_5tupleIJS8_S9_EEENSB_IJS8_SA_EEENS0_18inequality_wrapperIZN2at6native12_GLOBAL__N_124unique_dim_cuda_templateIN3c104HalfEEESt5tupleIJNSF_6TensorESM_SM_EERKSM_lbbbEUlllE0_EEPmJS9_EEE10hipError_tPvRmT3_T4_T5_T6_T7_T9_mT8_P12ihipStream_tbDpT10_ENKUlT_T0_E_clISt17integral_constantIbLb1EES1C_EEDaS17_S18_EUlS17_E_NS1_11comp_targetILNS1_3genE0ELNS1_11target_archE4294967295ELNS1_3gpuE0ELNS1_3repE0EEENS1_30default_config_static_selectorELNS0_4arch9wavefront6targetE1EEEvT1_,"axG",@progbits,_ZN7rocprim17ROCPRIM_400000_NS6detail17trampoline_kernelINS0_14default_configENS1_25partition_config_selectorILNS1_17partition_subalgoE9EllbEEZZNS1_14partition_implILS5_9ELb0ES3_jPlS8_PNS0_10empty_typeENS0_5tupleIJS8_S9_EEENSB_IJS8_SA_EEENS0_18inequality_wrapperIZN2at6native12_GLOBAL__N_124unique_dim_cuda_templateIN3c104HalfEEESt5tupleIJNSF_6TensorESM_SM_EERKSM_lbbbEUlllE0_EEPmJS9_EEE10hipError_tPvRmT3_T4_T5_T6_T7_T9_mT8_P12ihipStream_tbDpT10_ENKUlT_T0_E_clISt17integral_constantIbLb1EES1C_EEDaS17_S18_EUlS17_E_NS1_11comp_targetILNS1_3genE0ELNS1_11target_archE4294967295ELNS1_3gpuE0ELNS1_3repE0EEENS1_30default_config_static_selectorELNS0_4arch9wavefront6targetE1EEEvT1_,comdat
	.globl	_ZN7rocprim17ROCPRIM_400000_NS6detail17trampoline_kernelINS0_14default_configENS1_25partition_config_selectorILNS1_17partition_subalgoE9EllbEEZZNS1_14partition_implILS5_9ELb0ES3_jPlS8_PNS0_10empty_typeENS0_5tupleIJS8_S9_EEENSB_IJS8_SA_EEENS0_18inequality_wrapperIZN2at6native12_GLOBAL__N_124unique_dim_cuda_templateIN3c104HalfEEESt5tupleIJNSF_6TensorESM_SM_EERKSM_lbbbEUlllE0_EEPmJS9_EEE10hipError_tPvRmT3_T4_T5_T6_T7_T9_mT8_P12ihipStream_tbDpT10_ENKUlT_T0_E_clISt17integral_constantIbLb1EES1C_EEDaS17_S18_EUlS17_E_NS1_11comp_targetILNS1_3genE0ELNS1_11target_archE4294967295ELNS1_3gpuE0ELNS1_3repE0EEENS1_30default_config_static_selectorELNS0_4arch9wavefront6targetE1EEEvT1_ ; -- Begin function _ZN7rocprim17ROCPRIM_400000_NS6detail17trampoline_kernelINS0_14default_configENS1_25partition_config_selectorILNS1_17partition_subalgoE9EllbEEZZNS1_14partition_implILS5_9ELb0ES3_jPlS8_PNS0_10empty_typeENS0_5tupleIJS8_S9_EEENSB_IJS8_SA_EEENS0_18inequality_wrapperIZN2at6native12_GLOBAL__N_124unique_dim_cuda_templateIN3c104HalfEEESt5tupleIJNSF_6TensorESM_SM_EERKSM_lbbbEUlllE0_EEPmJS9_EEE10hipError_tPvRmT3_T4_T5_T6_T7_T9_mT8_P12ihipStream_tbDpT10_ENKUlT_T0_E_clISt17integral_constantIbLb1EES1C_EEDaS17_S18_EUlS17_E_NS1_11comp_targetILNS1_3genE0ELNS1_11target_archE4294967295ELNS1_3gpuE0ELNS1_3repE0EEENS1_30default_config_static_selectorELNS0_4arch9wavefront6targetE1EEEvT1_
	.p2align	8
	.type	_ZN7rocprim17ROCPRIM_400000_NS6detail17trampoline_kernelINS0_14default_configENS1_25partition_config_selectorILNS1_17partition_subalgoE9EllbEEZZNS1_14partition_implILS5_9ELb0ES3_jPlS8_PNS0_10empty_typeENS0_5tupleIJS8_S9_EEENSB_IJS8_SA_EEENS0_18inequality_wrapperIZN2at6native12_GLOBAL__N_124unique_dim_cuda_templateIN3c104HalfEEESt5tupleIJNSF_6TensorESM_SM_EERKSM_lbbbEUlllE0_EEPmJS9_EEE10hipError_tPvRmT3_T4_T5_T6_T7_T9_mT8_P12ihipStream_tbDpT10_ENKUlT_T0_E_clISt17integral_constantIbLb1EES1C_EEDaS17_S18_EUlS17_E_NS1_11comp_targetILNS1_3genE0ELNS1_11target_archE4294967295ELNS1_3gpuE0ELNS1_3repE0EEENS1_30default_config_static_selectorELNS0_4arch9wavefront6targetE1EEEvT1_,@function
_ZN7rocprim17ROCPRIM_400000_NS6detail17trampoline_kernelINS0_14default_configENS1_25partition_config_selectorILNS1_17partition_subalgoE9EllbEEZZNS1_14partition_implILS5_9ELb0ES3_jPlS8_PNS0_10empty_typeENS0_5tupleIJS8_S9_EEENSB_IJS8_SA_EEENS0_18inequality_wrapperIZN2at6native12_GLOBAL__N_124unique_dim_cuda_templateIN3c104HalfEEESt5tupleIJNSF_6TensorESM_SM_EERKSM_lbbbEUlllE0_EEPmJS9_EEE10hipError_tPvRmT3_T4_T5_T6_T7_T9_mT8_P12ihipStream_tbDpT10_ENKUlT_T0_E_clISt17integral_constantIbLb1EES1C_EEDaS17_S18_EUlS17_E_NS1_11comp_targetILNS1_3genE0ELNS1_11target_archE4294967295ELNS1_3gpuE0ELNS1_3repE0EEENS1_30default_config_static_selectorELNS0_4arch9wavefront6targetE1EEEvT1_: ; @_ZN7rocprim17ROCPRIM_400000_NS6detail17trampoline_kernelINS0_14default_configENS1_25partition_config_selectorILNS1_17partition_subalgoE9EllbEEZZNS1_14partition_implILS5_9ELb0ES3_jPlS8_PNS0_10empty_typeENS0_5tupleIJS8_S9_EEENSB_IJS8_SA_EEENS0_18inequality_wrapperIZN2at6native12_GLOBAL__N_124unique_dim_cuda_templateIN3c104HalfEEESt5tupleIJNSF_6TensorESM_SM_EERKSM_lbbbEUlllE0_EEPmJS9_EEE10hipError_tPvRmT3_T4_T5_T6_T7_T9_mT8_P12ihipStream_tbDpT10_ENKUlT_T0_E_clISt17integral_constantIbLb1EES1C_EEDaS17_S18_EUlS17_E_NS1_11comp_targetILNS1_3genE0ELNS1_11target_archE4294967295ELNS1_3gpuE0ELNS1_3repE0EEENS1_30default_config_static_selectorELNS0_4arch9wavefront6targetE1EEEvT1_
; %bb.0:
	s_endpgm
	.section	.rodata,"a",@progbits
	.p2align	6, 0x0
	.amdhsa_kernel _ZN7rocprim17ROCPRIM_400000_NS6detail17trampoline_kernelINS0_14default_configENS1_25partition_config_selectorILNS1_17partition_subalgoE9EllbEEZZNS1_14partition_implILS5_9ELb0ES3_jPlS8_PNS0_10empty_typeENS0_5tupleIJS8_S9_EEENSB_IJS8_SA_EEENS0_18inequality_wrapperIZN2at6native12_GLOBAL__N_124unique_dim_cuda_templateIN3c104HalfEEESt5tupleIJNSF_6TensorESM_SM_EERKSM_lbbbEUlllE0_EEPmJS9_EEE10hipError_tPvRmT3_T4_T5_T6_T7_T9_mT8_P12ihipStream_tbDpT10_ENKUlT_T0_E_clISt17integral_constantIbLb1EES1C_EEDaS17_S18_EUlS17_E_NS1_11comp_targetILNS1_3genE0ELNS1_11target_archE4294967295ELNS1_3gpuE0ELNS1_3repE0EEENS1_30default_config_static_selectorELNS0_4arch9wavefront6targetE1EEEvT1_
		.amdhsa_group_segment_fixed_size 0
		.amdhsa_private_segment_fixed_size 0
		.amdhsa_kernarg_size 136
		.amdhsa_user_sgpr_count 2
		.amdhsa_user_sgpr_dispatch_ptr 0
		.amdhsa_user_sgpr_queue_ptr 0
		.amdhsa_user_sgpr_kernarg_segment_ptr 1
		.amdhsa_user_sgpr_dispatch_id 0
		.amdhsa_user_sgpr_kernarg_preload_length 0
		.amdhsa_user_sgpr_kernarg_preload_offset 0
		.amdhsa_user_sgpr_private_segment_size 0
		.amdhsa_uses_dynamic_stack 0
		.amdhsa_enable_private_segment 0
		.amdhsa_system_sgpr_workgroup_id_x 1
		.amdhsa_system_sgpr_workgroup_id_y 0
		.amdhsa_system_sgpr_workgroup_id_z 0
		.amdhsa_system_sgpr_workgroup_info 0
		.amdhsa_system_vgpr_workitem_id 0
		.amdhsa_next_free_vgpr 1
		.amdhsa_next_free_sgpr 0
		.amdhsa_accum_offset 4
		.amdhsa_reserve_vcc 0
		.amdhsa_float_round_mode_32 0
		.amdhsa_float_round_mode_16_64 0
		.amdhsa_float_denorm_mode_32 3
		.amdhsa_float_denorm_mode_16_64 3
		.amdhsa_dx10_clamp 1
		.amdhsa_ieee_mode 1
		.amdhsa_fp16_overflow 0
		.amdhsa_tg_split 0
		.amdhsa_exception_fp_ieee_invalid_op 0
		.amdhsa_exception_fp_denorm_src 0
		.amdhsa_exception_fp_ieee_div_zero 0
		.amdhsa_exception_fp_ieee_overflow 0
		.amdhsa_exception_fp_ieee_underflow 0
		.amdhsa_exception_fp_ieee_inexact 0
		.amdhsa_exception_int_div_zero 0
	.end_amdhsa_kernel
	.section	.text._ZN7rocprim17ROCPRIM_400000_NS6detail17trampoline_kernelINS0_14default_configENS1_25partition_config_selectorILNS1_17partition_subalgoE9EllbEEZZNS1_14partition_implILS5_9ELb0ES3_jPlS8_PNS0_10empty_typeENS0_5tupleIJS8_S9_EEENSB_IJS8_SA_EEENS0_18inequality_wrapperIZN2at6native12_GLOBAL__N_124unique_dim_cuda_templateIN3c104HalfEEESt5tupleIJNSF_6TensorESM_SM_EERKSM_lbbbEUlllE0_EEPmJS9_EEE10hipError_tPvRmT3_T4_T5_T6_T7_T9_mT8_P12ihipStream_tbDpT10_ENKUlT_T0_E_clISt17integral_constantIbLb1EES1C_EEDaS17_S18_EUlS17_E_NS1_11comp_targetILNS1_3genE0ELNS1_11target_archE4294967295ELNS1_3gpuE0ELNS1_3repE0EEENS1_30default_config_static_selectorELNS0_4arch9wavefront6targetE1EEEvT1_,"axG",@progbits,_ZN7rocprim17ROCPRIM_400000_NS6detail17trampoline_kernelINS0_14default_configENS1_25partition_config_selectorILNS1_17partition_subalgoE9EllbEEZZNS1_14partition_implILS5_9ELb0ES3_jPlS8_PNS0_10empty_typeENS0_5tupleIJS8_S9_EEENSB_IJS8_SA_EEENS0_18inequality_wrapperIZN2at6native12_GLOBAL__N_124unique_dim_cuda_templateIN3c104HalfEEESt5tupleIJNSF_6TensorESM_SM_EERKSM_lbbbEUlllE0_EEPmJS9_EEE10hipError_tPvRmT3_T4_T5_T6_T7_T9_mT8_P12ihipStream_tbDpT10_ENKUlT_T0_E_clISt17integral_constantIbLb1EES1C_EEDaS17_S18_EUlS17_E_NS1_11comp_targetILNS1_3genE0ELNS1_11target_archE4294967295ELNS1_3gpuE0ELNS1_3repE0EEENS1_30default_config_static_selectorELNS0_4arch9wavefront6targetE1EEEvT1_,comdat
.Lfunc_end1337:
	.size	_ZN7rocprim17ROCPRIM_400000_NS6detail17trampoline_kernelINS0_14default_configENS1_25partition_config_selectorILNS1_17partition_subalgoE9EllbEEZZNS1_14partition_implILS5_9ELb0ES3_jPlS8_PNS0_10empty_typeENS0_5tupleIJS8_S9_EEENSB_IJS8_SA_EEENS0_18inequality_wrapperIZN2at6native12_GLOBAL__N_124unique_dim_cuda_templateIN3c104HalfEEESt5tupleIJNSF_6TensorESM_SM_EERKSM_lbbbEUlllE0_EEPmJS9_EEE10hipError_tPvRmT3_T4_T5_T6_T7_T9_mT8_P12ihipStream_tbDpT10_ENKUlT_T0_E_clISt17integral_constantIbLb1EES1C_EEDaS17_S18_EUlS17_E_NS1_11comp_targetILNS1_3genE0ELNS1_11target_archE4294967295ELNS1_3gpuE0ELNS1_3repE0EEENS1_30default_config_static_selectorELNS0_4arch9wavefront6targetE1EEEvT1_, .Lfunc_end1337-_ZN7rocprim17ROCPRIM_400000_NS6detail17trampoline_kernelINS0_14default_configENS1_25partition_config_selectorILNS1_17partition_subalgoE9EllbEEZZNS1_14partition_implILS5_9ELb0ES3_jPlS8_PNS0_10empty_typeENS0_5tupleIJS8_S9_EEENSB_IJS8_SA_EEENS0_18inequality_wrapperIZN2at6native12_GLOBAL__N_124unique_dim_cuda_templateIN3c104HalfEEESt5tupleIJNSF_6TensorESM_SM_EERKSM_lbbbEUlllE0_EEPmJS9_EEE10hipError_tPvRmT3_T4_T5_T6_T7_T9_mT8_P12ihipStream_tbDpT10_ENKUlT_T0_E_clISt17integral_constantIbLb1EES1C_EEDaS17_S18_EUlS17_E_NS1_11comp_targetILNS1_3genE0ELNS1_11target_archE4294967295ELNS1_3gpuE0ELNS1_3repE0EEENS1_30default_config_static_selectorELNS0_4arch9wavefront6targetE1EEEvT1_
                                        ; -- End function
	.set _ZN7rocprim17ROCPRIM_400000_NS6detail17trampoline_kernelINS0_14default_configENS1_25partition_config_selectorILNS1_17partition_subalgoE9EllbEEZZNS1_14partition_implILS5_9ELb0ES3_jPlS8_PNS0_10empty_typeENS0_5tupleIJS8_S9_EEENSB_IJS8_SA_EEENS0_18inequality_wrapperIZN2at6native12_GLOBAL__N_124unique_dim_cuda_templateIN3c104HalfEEESt5tupleIJNSF_6TensorESM_SM_EERKSM_lbbbEUlllE0_EEPmJS9_EEE10hipError_tPvRmT3_T4_T5_T6_T7_T9_mT8_P12ihipStream_tbDpT10_ENKUlT_T0_E_clISt17integral_constantIbLb1EES1C_EEDaS17_S18_EUlS17_E_NS1_11comp_targetILNS1_3genE0ELNS1_11target_archE4294967295ELNS1_3gpuE0ELNS1_3repE0EEENS1_30default_config_static_selectorELNS0_4arch9wavefront6targetE1EEEvT1_.num_vgpr, 0
	.set _ZN7rocprim17ROCPRIM_400000_NS6detail17trampoline_kernelINS0_14default_configENS1_25partition_config_selectorILNS1_17partition_subalgoE9EllbEEZZNS1_14partition_implILS5_9ELb0ES3_jPlS8_PNS0_10empty_typeENS0_5tupleIJS8_S9_EEENSB_IJS8_SA_EEENS0_18inequality_wrapperIZN2at6native12_GLOBAL__N_124unique_dim_cuda_templateIN3c104HalfEEESt5tupleIJNSF_6TensorESM_SM_EERKSM_lbbbEUlllE0_EEPmJS9_EEE10hipError_tPvRmT3_T4_T5_T6_T7_T9_mT8_P12ihipStream_tbDpT10_ENKUlT_T0_E_clISt17integral_constantIbLb1EES1C_EEDaS17_S18_EUlS17_E_NS1_11comp_targetILNS1_3genE0ELNS1_11target_archE4294967295ELNS1_3gpuE0ELNS1_3repE0EEENS1_30default_config_static_selectorELNS0_4arch9wavefront6targetE1EEEvT1_.num_agpr, 0
	.set _ZN7rocprim17ROCPRIM_400000_NS6detail17trampoline_kernelINS0_14default_configENS1_25partition_config_selectorILNS1_17partition_subalgoE9EllbEEZZNS1_14partition_implILS5_9ELb0ES3_jPlS8_PNS0_10empty_typeENS0_5tupleIJS8_S9_EEENSB_IJS8_SA_EEENS0_18inequality_wrapperIZN2at6native12_GLOBAL__N_124unique_dim_cuda_templateIN3c104HalfEEESt5tupleIJNSF_6TensorESM_SM_EERKSM_lbbbEUlllE0_EEPmJS9_EEE10hipError_tPvRmT3_T4_T5_T6_T7_T9_mT8_P12ihipStream_tbDpT10_ENKUlT_T0_E_clISt17integral_constantIbLb1EES1C_EEDaS17_S18_EUlS17_E_NS1_11comp_targetILNS1_3genE0ELNS1_11target_archE4294967295ELNS1_3gpuE0ELNS1_3repE0EEENS1_30default_config_static_selectorELNS0_4arch9wavefront6targetE1EEEvT1_.numbered_sgpr, 0
	.set _ZN7rocprim17ROCPRIM_400000_NS6detail17trampoline_kernelINS0_14default_configENS1_25partition_config_selectorILNS1_17partition_subalgoE9EllbEEZZNS1_14partition_implILS5_9ELb0ES3_jPlS8_PNS0_10empty_typeENS0_5tupleIJS8_S9_EEENSB_IJS8_SA_EEENS0_18inequality_wrapperIZN2at6native12_GLOBAL__N_124unique_dim_cuda_templateIN3c104HalfEEESt5tupleIJNSF_6TensorESM_SM_EERKSM_lbbbEUlllE0_EEPmJS9_EEE10hipError_tPvRmT3_T4_T5_T6_T7_T9_mT8_P12ihipStream_tbDpT10_ENKUlT_T0_E_clISt17integral_constantIbLb1EES1C_EEDaS17_S18_EUlS17_E_NS1_11comp_targetILNS1_3genE0ELNS1_11target_archE4294967295ELNS1_3gpuE0ELNS1_3repE0EEENS1_30default_config_static_selectorELNS0_4arch9wavefront6targetE1EEEvT1_.num_named_barrier, 0
	.set _ZN7rocprim17ROCPRIM_400000_NS6detail17trampoline_kernelINS0_14default_configENS1_25partition_config_selectorILNS1_17partition_subalgoE9EllbEEZZNS1_14partition_implILS5_9ELb0ES3_jPlS8_PNS0_10empty_typeENS0_5tupleIJS8_S9_EEENSB_IJS8_SA_EEENS0_18inequality_wrapperIZN2at6native12_GLOBAL__N_124unique_dim_cuda_templateIN3c104HalfEEESt5tupleIJNSF_6TensorESM_SM_EERKSM_lbbbEUlllE0_EEPmJS9_EEE10hipError_tPvRmT3_T4_T5_T6_T7_T9_mT8_P12ihipStream_tbDpT10_ENKUlT_T0_E_clISt17integral_constantIbLb1EES1C_EEDaS17_S18_EUlS17_E_NS1_11comp_targetILNS1_3genE0ELNS1_11target_archE4294967295ELNS1_3gpuE0ELNS1_3repE0EEENS1_30default_config_static_selectorELNS0_4arch9wavefront6targetE1EEEvT1_.private_seg_size, 0
	.set _ZN7rocprim17ROCPRIM_400000_NS6detail17trampoline_kernelINS0_14default_configENS1_25partition_config_selectorILNS1_17partition_subalgoE9EllbEEZZNS1_14partition_implILS5_9ELb0ES3_jPlS8_PNS0_10empty_typeENS0_5tupleIJS8_S9_EEENSB_IJS8_SA_EEENS0_18inequality_wrapperIZN2at6native12_GLOBAL__N_124unique_dim_cuda_templateIN3c104HalfEEESt5tupleIJNSF_6TensorESM_SM_EERKSM_lbbbEUlllE0_EEPmJS9_EEE10hipError_tPvRmT3_T4_T5_T6_T7_T9_mT8_P12ihipStream_tbDpT10_ENKUlT_T0_E_clISt17integral_constantIbLb1EES1C_EEDaS17_S18_EUlS17_E_NS1_11comp_targetILNS1_3genE0ELNS1_11target_archE4294967295ELNS1_3gpuE0ELNS1_3repE0EEENS1_30default_config_static_selectorELNS0_4arch9wavefront6targetE1EEEvT1_.uses_vcc, 0
	.set _ZN7rocprim17ROCPRIM_400000_NS6detail17trampoline_kernelINS0_14default_configENS1_25partition_config_selectorILNS1_17partition_subalgoE9EllbEEZZNS1_14partition_implILS5_9ELb0ES3_jPlS8_PNS0_10empty_typeENS0_5tupleIJS8_S9_EEENSB_IJS8_SA_EEENS0_18inequality_wrapperIZN2at6native12_GLOBAL__N_124unique_dim_cuda_templateIN3c104HalfEEESt5tupleIJNSF_6TensorESM_SM_EERKSM_lbbbEUlllE0_EEPmJS9_EEE10hipError_tPvRmT3_T4_T5_T6_T7_T9_mT8_P12ihipStream_tbDpT10_ENKUlT_T0_E_clISt17integral_constantIbLb1EES1C_EEDaS17_S18_EUlS17_E_NS1_11comp_targetILNS1_3genE0ELNS1_11target_archE4294967295ELNS1_3gpuE0ELNS1_3repE0EEENS1_30default_config_static_selectorELNS0_4arch9wavefront6targetE1EEEvT1_.uses_flat_scratch, 0
	.set _ZN7rocprim17ROCPRIM_400000_NS6detail17trampoline_kernelINS0_14default_configENS1_25partition_config_selectorILNS1_17partition_subalgoE9EllbEEZZNS1_14partition_implILS5_9ELb0ES3_jPlS8_PNS0_10empty_typeENS0_5tupleIJS8_S9_EEENSB_IJS8_SA_EEENS0_18inequality_wrapperIZN2at6native12_GLOBAL__N_124unique_dim_cuda_templateIN3c104HalfEEESt5tupleIJNSF_6TensorESM_SM_EERKSM_lbbbEUlllE0_EEPmJS9_EEE10hipError_tPvRmT3_T4_T5_T6_T7_T9_mT8_P12ihipStream_tbDpT10_ENKUlT_T0_E_clISt17integral_constantIbLb1EES1C_EEDaS17_S18_EUlS17_E_NS1_11comp_targetILNS1_3genE0ELNS1_11target_archE4294967295ELNS1_3gpuE0ELNS1_3repE0EEENS1_30default_config_static_selectorELNS0_4arch9wavefront6targetE1EEEvT1_.has_dyn_sized_stack, 0
	.set _ZN7rocprim17ROCPRIM_400000_NS6detail17trampoline_kernelINS0_14default_configENS1_25partition_config_selectorILNS1_17partition_subalgoE9EllbEEZZNS1_14partition_implILS5_9ELb0ES3_jPlS8_PNS0_10empty_typeENS0_5tupleIJS8_S9_EEENSB_IJS8_SA_EEENS0_18inequality_wrapperIZN2at6native12_GLOBAL__N_124unique_dim_cuda_templateIN3c104HalfEEESt5tupleIJNSF_6TensorESM_SM_EERKSM_lbbbEUlllE0_EEPmJS9_EEE10hipError_tPvRmT3_T4_T5_T6_T7_T9_mT8_P12ihipStream_tbDpT10_ENKUlT_T0_E_clISt17integral_constantIbLb1EES1C_EEDaS17_S18_EUlS17_E_NS1_11comp_targetILNS1_3genE0ELNS1_11target_archE4294967295ELNS1_3gpuE0ELNS1_3repE0EEENS1_30default_config_static_selectorELNS0_4arch9wavefront6targetE1EEEvT1_.has_recursion, 0
	.set _ZN7rocprim17ROCPRIM_400000_NS6detail17trampoline_kernelINS0_14default_configENS1_25partition_config_selectorILNS1_17partition_subalgoE9EllbEEZZNS1_14partition_implILS5_9ELb0ES3_jPlS8_PNS0_10empty_typeENS0_5tupleIJS8_S9_EEENSB_IJS8_SA_EEENS0_18inequality_wrapperIZN2at6native12_GLOBAL__N_124unique_dim_cuda_templateIN3c104HalfEEESt5tupleIJNSF_6TensorESM_SM_EERKSM_lbbbEUlllE0_EEPmJS9_EEE10hipError_tPvRmT3_T4_T5_T6_T7_T9_mT8_P12ihipStream_tbDpT10_ENKUlT_T0_E_clISt17integral_constantIbLb1EES1C_EEDaS17_S18_EUlS17_E_NS1_11comp_targetILNS1_3genE0ELNS1_11target_archE4294967295ELNS1_3gpuE0ELNS1_3repE0EEENS1_30default_config_static_selectorELNS0_4arch9wavefront6targetE1EEEvT1_.has_indirect_call, 0
	.section	.AMDGPU.csdata,"",@progbits
; Kernel info:
; codeLenInByte = 4
; TotalNumSgprs: 6
; NumVgprs: 0
; NumAgprs: 0
; TotalNumVgprs: 0
; ScratchSize: 0
; MemoryBound: 0
; FloatMode: 240
; IeeeMode: 1
; LDSByteSize: 0 bytes/workgroup (compile time only)
; SGPRBlocks: 0
; VGPRBlocks: 0
; NumSGPRsForWavesPerEU: 6
; NumVGPRsForWavesPerEU: 1
; AccumOffset: 4
; Occupancy: 8
; WaveLimiterHint : 0
; COMPUTE_PGM_RSRC2:SCRATCH_EN: 0
; COMPUTE_PGM_RSRC2:USER_SGPR: 2
; COMPUTE_PGM_RSRC2:TRAP_HANDLER: 0
; COMPUTE_PGM_RSRC2:TGID_X_EN: 1
; COMPUTE_PGM_RSRC2:TGID_Y_EN: 0
; COMPUTE_PGM_RSRC2:TGID_Z_EN: 0
; COMPUTE_PGM_RSRC2:TIDIG_COMP_CNT: 0
; COMPUTE_PGM_RSRC3_GFX90A:ACCUM_OFFSET: 0
; COMPUTE_PGM_RSRC3_GFX90A:TG_SPLIT: 0
	.section	.text._ZN7rocprim17ROCPRIM_400000_NS6detail17trampoline_kernelINS0_14default_configENS1_25partition_config_selectorILNS1_17partition_subalgoE9EllbEEZZNS1_14partition_implILS5_9ELb0ES3_jPlS8_PNS0_10empty_typeENS0_5tupleIJS8_S9_EEENSB_IJS8_SA_EEENS0_18inequality_wrapperIZN2at6native12_GLOBAL__N_124unique_dim_cuda_templateIN3c104HalfEEESt5tupleIJNSF_6TensorESM_SM_EERKSM_lbbbEUlllE0_EEPmJS9_EEE10hipError_tPvRmT3_T4_T5_T6_T7_T9_mT8_P12ihipStream_tbDpT10_ENKUlT_T0_E_clISt17integral_constantIbLb1EES1C_EEDaS17_S18_EUlS17_E_NS1_11comp_targetILNS1_3genE5ELNS1_11target_archE942ELNS1_3gpuE9ELNS1_3repE0EEENS1_30default_config_static_selectorELNS0_4arch9wavefront6targetE1EEEvT1_,"axG",@progbits,_ZN7rocprim17ROCPRIM_400000_NS6detail17trampoline_kernelINS0_14default_configENS1_25partition_config_selectorILNS1_17partition_subalgoE9EllbEEZZNS1_14partition_implILS5_9ELb0ES3_jPlS8_PNS0_10empty_typeENS0_5tupleIJS8_S9_EEENSB_IJS8_SA_EEENS0_18inequality_wrapperIZN2at6native12_GLOBAL__N_124unique_dim_cuda_templateIN3c104HalfEEESt5tupleIJNSF_6TensorESM_SM_EERKSM_lbbbEUlllE0_EEPmJS9_EEE10hipError_tPvRmT3_T4_T5_T6_T7_T9_mT8_P12ihipStream_tbDpT10_ENKUlT_T0_E_clISt17integral_constantIbLb1EES1C_EEDaS17_S18_EUlS17_E_NS1_11comp_targetILNS1_3genE5ELNS1_11target_archE942ELNS1_3gpuE9ELNS1_3repE0EEENS1_30default_config_static_selectorELNS0_4arch9wavefront6targetE1EEEvT1_,comdat
	.globl	_ZN7rocprim17ROCPRIM_400000_NS6detail17trampoline_kernelINS0_14default_configENS1_25partition_config_selectorILNS1_17partition_subalgoE9EllbEEZZNS1_14partition_implILS5_9ELb0ES3_jPlS8_PNS0_10empty_typeENS0_5tupleIJS8_S9_EEENSB_IJS8_SA_EEENS0_18inequality_wrapperIZN2at6native12_GLOBAL__N_124unique_dim_cuda_templateIN3c104HalfEEESt5tupleIJNSF_6TensorESM_SM_EERKSM_lbbbEUlllE0_EEPmJS9_EEE10hipError_tPvRmT3_T4_T5_T6_T7_T9_mT8_P12ihipStream_tbDpT10_ENKUlT_T0_E_clISt17integral_constantIbLb1EES1C_EEDaS17_S18_EUlS17_E_NS1_11comp_targetILNS1_3genE5ELNS1_11target_archE942ELNS1_3gpuE9ELNS1_3repE0EEENS1_30default_config_static_selectorELNS0_4arch9wavefront6targetE1EEEvT1_ ; -- Begin function _ZN7rocprim17ROCPRIM_400000_NS6detail17trampoline_kernelINS0_14default_configENS1_25partition_config_selectorILNS1_17partition_subalgoE9EllbEEZZNS1_14partition_implILS5_9ELb0ES3_jPlS8_PNS0_10empty_typeENS0_5tupleIJS8_S9_EEENSB_IJS8_SA_EEENS0_18inequality_wrapperIZN2at6native12_GLOBAL__N_124unique_dim_cuda_templateIN3c104HalfEEESt5tupleIJNSF_6TensorESM_SM_EERKSM_lbbbEUlllE0_EEPmJS9_EEE10hipError_tPvRmT3_T4_T5_T6_T7_T9_mT8_P12ihipStream_tbDpT10_ENKUlT_T0_E_clISt17integral_constantIbLb1EES1C_EEDaS17_S18_EUlS17_E_NS1_11comp_targetILNS1_3genE5ELNS1_11target_archE942ELNS1_3gpuE9ELNS1_3repE0EEENS1_30default_config_static_selectorELNS0_4arch9wavefront6targetE1EEEvT1_
	.p2align	8
	.type	_ZN7rocprim17ROCPRIM_400000_NS6detail17trampoline_kernelINS0_14default_configENS1_25partition_config_selectorILNS1_17partition_subalgoE9EllbEEZZNS1_14partition_implILS5_9ELb0ES3_jPlS8_PNS0_10empty_typeENS0_5tupleIJS8_S9_EEENSB_IJS8_SA_EEENS0_18inequality_wrapperIZN2at6native12_GLOBAL__N_124unique_dim_cuda_templateIN3c104HalfEEESt5tupleIJNSF_6TensorESM_SM_EERKSM_lbbbEUlllE0_EEPmJS9_EEE10hipError_tPvRmT3_T4_T5_T6_T7_T9_mT8_P12ihipStream_tbDpT10_ENKUlT_T0_E_clISt17integral_constantIbLb1EES1C_EEDaS17_S18_EUlS17_E_NS1_11comp_targetILNS1_3genE5ELNS1_11target_archE942ELNS1_3gpuE9ELNS1_3repE0EEENS1_30default_config_static_selectorELNS0_4arch9wavefront6targetE1EEEvT1_,@function
_ZN7rocprim17ROCPRIM_400000_NS6detail17trampoline_kernelINS0_14default_configENS1_25partition_config_selectorILNS1_17partition_subalgoE9EllbEEZZNS1_14partition_implILS5_9ELb0ES3_jPlS8_PNS0_10empty_typeENS0_5tupleIJS8_S9_EEENSB_IJS8_SA_EEENS0_18inequality_wrapperIZN2at6native12_GLOBAL__N_124unique_dim_cuda_templateIN3c104HalfEEESt5tupleIJNSF_6TensorESM_SM_EERKSM_lbbbEUlllE0_EEPmJS9_EEE10hipError_tPvRmT3_T4_T5_T6_T7_T9_mT8_P12ihipStream_tbDpT10_ENKUlT_T0_E_clISt17integral_constantIbLb1EES1C_EEDaS17_S18_EUlS17_E_NS1_11comp_targetILNS1_3genE5ELNS1_11target_archE942ELNS1_3gpuE9ELNS1_3repE0EEENS1_30default_config_static_selectorELNS0_4arch9wavefront6targetE1EEEvT1_: ; @_ZN7rocprim17ROCPRIM_400000_NS6detail17trampoline_kernelINS0_14default_configENS1_25partition_config_selectorILNS1_17partition_subalgoE9EllbEEZZNS1_14partition_implILS5_9ELb0ES3_jPlS8_PNS0_10empty_typeENS0_5tupleIJS8_S9_EEENSB_IJS8_SA_EEENS0_18inequality_wrapperIZN2at6native12_GLOBAL__N_124unique_dim_cuda_templateIN3c104HalfEEESt5tupleIJNSF_6TensorESM_SM_EERKSM_lbbbEUlllE0_EEPmJS9_EEE10hipError_tPvRmT3_T4_T5_T6_T7_T9_mT8_P12ihipStream_tbDpT10_ENKUlT_T0_E_clISt17integral_constantIbLb1EES1C_EEDaS17_S18_EUlS17_E_NS1_11comp_targetILNS1_3genE5ELNS1_11target_archE942ELNS1_3gpuE9ELNS1_3repE0EEENS1_30default_config_static_selectorELNS0_4arch9wavefront6targetE1EEEvT1_
; %bb.0:
	.section	.rodata,"a",@progbits
	.p2align	6, 0x0
	.amdhsa_kernel _ZN7rocprim17ROCPRIM_400000_NS6detail17trampoline_kernelINS0_14default_configENS1_25partition_config_selectorILNS1_17partition_subalgoE9EllbEEZZNS1_14partition_implILS5_9ELb0ES3_jPlS8_PNS0_10empty_typeENS0_5tupleIJS8_S9_EEENSB_IJS8_SA_EEENS0_18inequality_wrapperIZN2at6native12_GLOBAL__N_124unique_dim_cuda_templateIN3c104HalfEEESt5tupleIJNSF_6TensorESM_SM_EERKSM_lbbbEUlllE0_EEPmJS9_EEE10hipError_tPvRmT3_T4_T5_T6_T7_T9_mT8_P12ihipStream_tbDpT10_ENKUlT_T0_E_clISt17integral_constantIbLb1EES1C_EEDaS17_S18_EUlS17_E_NS1_11comp_targetILNS1_3genE5ELNS1_11target_archE942ELNS1_3gpuE9ELNS1_3repE0EEENS1_30default_config_static_selectorELNS0_4arch9wavefront6targetE1EEEvT1_
		.amdhsa_group_segment_fixed_size 0
		.amdhsa_private_segment_fixed_size 0
		.amdhsa_kernarg_size 136
		.amdhsa_user_sgpr_count 2
		.amdhsa_user_sgpr_dispatch_ptr 0
		.amdhsa_user_sgpr_queue_ptr 0
		.amdhsa_user_sgpr_kernarg_segment_ptr 1
		.amdhsa_user_sgpr_dispatch_id 0
		.amdhsa_user_sgpr_kernarg_preload_length 0
		.amdhsa_user_sgpr_kernarg_preload_offset 0
		.amdhsa_user_sgpr_private_segment_size 0
		.amdhsa_uses_dynamic_stack 0
		.amdhsa_enable_private_segment 0
		.amdhsa_system_sgpr_workgroup_id_x 1
		.amdhsa_system_sgpr_workgroup_id_y 0
		.amdhsa_system_sgpr_workgroup_id_z 0
		.amdhsa_system_sgpr_workgroup_info 0
		.amdhsa_system_vgpr_workitem_id 0
		.amdhsa_next_free_vgpr 1
		.amdhsa_next_free_sgpr 0
		.amdhsa_accum_offset 4
		.amdhsa_reserve_vcc 0
		.amdhsa_float_round_mode_32 0
		.amdhsa_float_round_mode_16_64 0
		.amdhsa_float_denorm_mode_32 3
		.amdhsa_float_denorm_mode_16_64 3
		.amdhsa_dx10_clamp 1
		.amdhsa_ieee_mode 1
		.amdhsa_fp16_overflow 0
		.amdhsa_tg_split 0
		.amdhsa_exception_fp_ieee_invalid_op 0
		.amdhsa_exception_fp_denorm_src 0
		.amdhsa_exception_fp_ieee_div_zero 0
		.amdhsa_exception_fp_ieee_overflow 0
		.amdhsa_exception_fp_ieee_underflow 0
		.amdhsa_exception_fp_ieee_inexact 0
		.amdhsa_exception_int_div_zero 0
	.end_amdhsa_kernel
	.section	.text._ZN7rocprim17ROCPRIM_400000_NS6detail17trampoline_kernelINS0_14default_configENS1_25partition_config_selectorILNS1_17partition_subalgoE9EllbEEZZNS1_14partition_implILS5_9ELb0ES3_jPlS8_PNS0_10empty_typeENS0_5tupleIJS8_S9_EEENSB_IJS8_SA_EEENS0_18inequality_wrapperIZN2at6native12_GLOBAL__N_124unique_dim_cuda_templateIN3c104HalfEEESt5tupleIJNSF_6TensorESM_SM_EERKSM_lbbbEUlllE0_EEPmJS9_EEE10hipError_tPvRmT3_T4_T5_T6_T7_T9_mT8_P12ihipStream_tbDpT10_ENKUlT_T0_E_clISt17integral_constantIbLb1EES1C_EEDaS17_S18_EUlS17_E_NS1_11comp_targetILNS1_3genE5ELNS1_11target_archE942ELNS1_3gpuE9ELNS1_3repE0EEENS1_30default_config_static_selectorELNS0_4arch9wavefront6targetE1EEEvT1_,"axG",@progbits,_ZN7rocprim17ROCPRIM_400000_NS6detail17trampoline_kernelINS0_14default_configENS1_25partition_config_selectorILNS1_17partition_subalgoE9EllbEEZZNS1_14partition_implILS5_9ELb0ES3_jPlS8_PNS0_10empty_typeENS0_5tupleIJS8_S9_EEENSB_IJS8_SA_EEENS0_18inequality_wrapperIZN2at6native12_GLOBAL__N_124unique_dim_cuda_templateIN3c104HalfEEESt5tupleIJNSF_6TensorESM_SM_EERKSM_lbbbEUlllE0_EEPmJS9_EEE10hipError_tPvRmT3_T4_T5_T6_T7_T9_mT8_P12ihipStream_tbDpT10_ENKUlT_T0_E_clISt17integral_constantIbLb1EES1C_EEDaS17_S18_EUlS17_E_NS1_11comp_targetILNS1_3genE5ELNS1_11target_archE942ELNS1_3gpuE9ELNS1_3repE0EEENS1_30default_config_static_selectorELNS0_4arch9wavefront6targetE1EEEvT1_,comdat
.Lfunc_end1338:
	.size	_ZN7rocprim17ROCPRIM_400000_NS6detail17trampoline_kernelINS0_14default_configENS1_25partition_config_selectorILNS1_17partition_subalgoE9EllbEEZZNS1_14partition_implILS5_9ELb0ES3_jPlS8_PNS0_10empty_typeENS0_5tupleIJS8_S9_EEENSB_IJS8_SA_EEENS0_18inequality_wrapperIZN2at6native12_GLOBAL__N_124unique_dim_cuda_templateIN3c104HalfEEESt5tupleIJNSF_6TensorESM_SM_EERKSM_lbbbEUlllE0_EEPmJS9_EEE10hipError_tPvRmT3_T4_T5_T6_T7_T9_mT8_P12ihipStream_tbDpT10_ENKUlT_T0_E_clISt17integral_constantIbLb1EES1C_EEDaS17_S18_EUlS17_E_NS1_11comp_targetILNS1_3genE5ELNS1_11target_archE942ELNS1_3gpuE9ELNS1_3repE0EEENS1_30default_config_static_selectorELNS0_4arch9wavefront6targetE1EEEvT1_, .Lfunc_end1338-_ZN7rocprim17ROCPRIM_400000_NS6detail17trampoline_kernelINS0_14default_configENS1_25partition_config_selectorILNS1_17partition_subalgoE9EllbEEZZNS1_14partition_implILS5_9ELb0ES3_jPlS8_PNS0_10empty_typeENS0_5tupleIJS8_S9_EEENSB_IJS8_SA_EEENS0_18inequality_wrapperIZN2at6native12_GLOBAL__N_124unique_dim_cuda_templateIN3c104HalfEEESt5tupleIJNSF_6TensorESM_SM_EERKSM_lbbbEUlllE0_EEPmJS9_EEE10hipError_tPvRmT3_T4_T5_T6_T7_T9_mT8_P12ihipStream_tbDpT10_ENKUlT_T0_E_clISt17integral_constantIbLb1EES1C_EEDaS17_S18_EUlS17_E_NS1_11comp_targetILNS1_3genE5ELNS1_11target_archE942ELNS1_3gpuE9ELNS1_3repE0EEENS1_30default_config_static_selectorELNS0_4arch9wavefront6targetE1EEEvT1_
                                        ; -- End function
	.set _ZN7rocprim17ROCPRIM_400000_NS6detail17trampoline_kernelINS0_14default_configENS1_25partition_config_selectorILNS1_17partition_subalgoE9EllbEEZZNS1_14partition_implILS5_9ELb0ES3_jPlS8_PNS0_10empty_typeENS0_5tupleIJS8_S9_EEENSB_IJS8_SA_EEENS0_18inequality_wrapperIZN2at6native12_GLOBAL__N_124unique_dim_cuda_templateIN3c104HalfEEESt5tupleIJNSF_6TensorESM_SM_EERKSM_lbbbEUlllE0_EEPmJS9_EEE10hipError_tPvRmT3_T4_T5_T6_T7_T9_mT8_P12ihipStream_tbDpT10_ENKUlT_T0_E_clISt17integral_constantIbLb1EES1C_EEDaS17_S18_EUlS17_E_NS1_11comp_targetILNS1_3genE5ELNS1_11target_archE942ELNS1_3gpuE9ELNS1_3repE0EEENS1_30default_config_static_selectorELNS0_4arch9wavefront6targetE1EEEvT1_.num_vgpr, 0
	.set _ZN7rocprim17ROCPRIM_400000_NS6detail17trampoline_kernelINS0_14default_configENS1_25partition_config_selectorILNS1_17partition_subalgoE9EllbEEZZNS1_14partition_implILS5_9ELb0ES3_jPlS8_PNS0_10empty_typeENS0_5tupleIJS8_S9_EEENSB_IJS8_SA_EEENS0_18inequality_wrapperIZN2at6native12_GLOBAL__N_124unique_dim_cuda_templateIN3c104HalfEEESt5tupleIJNSF_6TensorESM_SM_EERKSM_lbbbEUlllE0_EEPmJS9_EEE10hipError_tPvRmT3_T4_T5_T6_T7_T9_mT8_P12ihipStream_tbDpT10_ENKUlT_T0_E_clISt17integral_constantIbLb1EES1C_EEDaS17_S18_EUlS17_E_NS1_11comp_targetILNS1_3genE5ELNS1_11target_archE942ELNS1_3gpuE9ELNS1_3repE0EEENS1_30default_config_static_selectorELNS0_4arch9wavefront6targetE1EEEvT1_.num_agpr, 0
	.set _ZN7rocprim17ROCPRIM_400000_NS6detail17trampoline_kernelINS0_14default_configENS1_25partition_config_selectorILNS1_17partition_subalgoE9EllbEEZZNS1_14partition_implILS5_9ELb0ES3_jPlS8_PNS0_10empty_typeENS0_5tupleIJS8_S9_EEENSB_IJS8_SA_EEENS0_18inequality_wrapperIZN2at6native12_GLOBAL__N_124unique_dim_cuda_templateIN3c104HalfEEESt5tupleIJNSF_6TensorESM_SM_EERKSM_lbbbEUlllE0_EEPmJS9_EEE10hipError_tPvRmT3_T4_T5_T6_T7_T9_mT8_P12ihipStream_tbDpT10_ENKUlT_T0_E_clISt17integral_constantIbLb1EES1C_EEDaS17_S18_EUlS17_E_NS1_11comp_targetILNS1_3genE5ELNS1_11target_archE942ELNS1_3gpuE9ELNS1_3repE0EEENS1_30default_config_static_selectorELNS0_4arch9wavefront6targetE1EEEvT1_.numbered_sgpr, 0
	.set _ZN7rocprim17ROCPRIM_400000_NS6detail17trampoline_kernelINS0_14default_configENS1_25partition_config_selectorILNS1_17partition_subalgoE9EllbEEZZNS1_14partition_implILS5_9ELb0ES3_jPlS8_PNS0_10empty_typeENS0_5tupleIJS8_S9_EEENSB_IJS8_SA_EEENS0_18inequality_wrapperIZN2at6native12_GLOBAL__N_124unique_dim_cuda_templateIN3c104HalfEEESt5tupleIJNSF_6TensorESM_SM_EERKSM_lbbbEUlllE0_EEPmJS9_EEE10hipError_tPvRmT3_T4_T5_T6_T7_T9_mT8_P12ihipStream_tbDpT10_ENKUlT_T0_E_clISt17integral_constantIbLb1EES1C_EEDaS17_S18_EUlS17_E_NS1_11comp_targetILNS1_3genE5ELNS1_11target_archE942ELNS1_3gpuE9ELNS1_3repE0EEENS1_30default_config_static_selectorELNS0_4arch9wavefront6targetE1EEEvT1_.num_named_barrier, 0
	.set _ZN7rocprim17ROCPRIM_400000_NS6detail17trampoline_kernelINS0_14default_configENS1_25partition_config_selectorILNS1_17partition_subalgoE9EllbEEZZNS1_14partition_implILS5_9ELb0ES3_jPlS8_PNS0_10empty_typeENS0_5tupleIJS8_S9_EEENSB_IJS8_SA_EEENS0_18inequality_wrapperIZN2at6native12_GLOBAL__N_124unique_dim_cuda_templateIN3c104HalfEEESt5tupleIJNSF_6TensorESM_SM_EERKSM_lbbbEUlllE0_EEPmJS9_EEE10hipError_tPvRmT3_T4_T5_T6_T7_T9_mT8_P12ihipStream_tbDpT10_ENKUlT_T0_E_clISt17integral_constantIbLb1EES1C_EEDaS17_S18_EUlS17_E_NS1_11comp_targetILNS1_3genE5ELNS1_11target_archE942ELNS1_3gpuE9ELNS1_3repE0EEENS1_30default_config_static_selectorELNS0_4arch9wavefront6targetE1EEEvT1_.private_seg_size, 0
	.set _ZN7rocprim17ROCPRIM_400000_NS6detail17trampoline_kernelINS0_14default_configENS1_25partition_config_selectorILNS1_17partition_subalgoE9EllbEEZZNS1_14partition_implILS5_9ELb0ES3_jPlS8_PNS0_10empty_typeENS0_5tupleIJS8_S9_EEENSB_IJS8_SA_EEENS0_18inequality_wrapperIZN2at6native12_GLOBAL__N_124unique_dim_cuda_templateIN3c104HalfEEESt5tupleIJNSF_6TensorESM_SM_EERKSM_lbbbEUlllE0_EEPmJS9_EEE10hipError_tPvRmT3_T4_T5_T6_T7_T9_mT8_P12ihipStream_tbDpT10_ENKUlT_T0_E_clISt17integral_constantIbLb1EES1C_EEDaS17_S18_EUlS17_E_NS1_11comp_targetILNS1_3genE5ELNS1_11target_archE942ELNS1_3gpuE9ELNS1_3repE0EEENS1_30default_config_static_selectorELNS0_4arch9wavefront6targetE1EEEvT1_.uses_vcc, 0
	.set _ZN7rocprim17ROCPRIM_400000_NS6detail17trampoline_kernelINS0_14default_configENS1_25partition_config_selectorILNS1_17partition_subalgoE9EllbEEZZNS1_14partition_implILS5_9ELb0ES3_jPlS8_PNS0_10empty_typeENS0_5tupleIJS8_S9_EEENSB_IJS8_SA_EEENS0_18inequality_wrapperIZN2at6native12_GLOBAL__N_124unique_dim_cuda_templateIN3c104HalfEEESt5tupleIJNSF_6TensorESM_SM_EERKSM_lbbbEUlllE0_EEPmJS9_EEE10hipError_tPvRmT3_T4_T5_T6_T7_T9_mT8_P12ihipStream_tbDpT10_ENKUlT_T0_E_clISt17integral_constantIbLb1EES1C_EEDaS17_S18_EUlS17_E_NS1_11comp_targetILNS1_3genE5ELNS1_11target_archE942ELNS1_3gpuE9ELNS1_3repE0EEENS1_30default_config_static_selectorELNS0_4arch9wavefront6targetE1EEEvT1_.uses_flat_scratch, 0
	.set _ZN7rocprim17ROCPRIM_400000_NS6detail17trampoline_kernelINS0_14default_configENS1_25partition_config_selectorILNS1_17partition_subalgoE9EllbEEZZNS1_14partition_implILS5_9ELb0ES3_jPlS8_PNS0_10empty_typeENS0_5tupleIJS8_S9_EEENSB_IJS8_SA_EEENS0_18inequality_wrapperIZN2at6native12_GLOBAL__N_124unique_dim_cuda_templateIN3c104HalfEEESt5tupleIJNSF_6TensorESM_SM_EERKSM_lbbbEUlllE0_EEPmJS9_EEE10hipError_tPvRmT3_T4_T5_T6_T7_T9_mT8_P12ihipStream_tbDpT10_ENKUlT_T0_E_clISt17integral_constantIbLb1EES1C_EEDaS17_S18_EUlS17_E_NS1_11comp_targetILNS1_3genE5ELNS1_11target_archE942ELNS1_3gpuE9ELNS1_3repE0EEENS1_30default_config_static_selectorELNS0_4arch9wavefront6targetE1EEEvT1_.has_dyn_sized_stack, 0
	.set _ZN7rocprim17ROCPRIM_400000_NS6detail17trampoline_kernelINS0_14default_configENS1_25partition_config_selectorILNS1_17partition_subalgoE9EllbEEZZNS1_14partition_implILS5_9ELb0ES3_jPlS8_PNS0_10empty_typeENS0_5tupleIJS8_S9_EEENSB_IJS8_SA_EEENS0_18inequality_wrapperIZN2at6native12_GLOBAL__N_124unique_dim_cuda_templateIN3c104HalfEEESt5tupleIJNSF_6TensorESM_SM_EERKSM_lbbbEUlllE0_EEPmJS9_EEE10hipError_tPvRmT3_T4_T5_T6_T7_T9_mT8_P12ihipStream_tbDpT10_ENKUlT_T0_E_clISt17integral_constantIbLb1EES1C_EEDaS17_S18_EUlS17_E_NS1_11comp_targetILNS1_3genE5ELNS1_11target_archE942ELNS1_3gpuE9ELNS1_3repE0EEENS1_30default_config_static_selectorELNS0_4arch9wavefront6targetE1EEEvT1_.has_recursion, 0
	.set _ZN7rocprim17ROCPRIM_400000_NS6detail17trampoline_kernelINS0_14default_configENS1_25partition_config_selectorILNS1_17partition_subalgoE9EllbEEZZNS1_14partition_implILS5_9ELb0ES3_jPlS8_PNS0_10empty_typeENS0_5tupleIJS8_S9_EEENSB_IJS8_SA_EEENS0_18inequality_wrapperIZN2at6native12_GLOBAL__N_124unique_dim_cuda_templateIN3c104HalfEEESt5tupleIJNSF_6TensorESM_SM_EERKSM_lbbbEUlllE0_EEPmJS9_EEE10hipError_tPvRmT3_T4_T5_T6_T7_T9_mT8_P12ihipStream_tbDpT10_ENKUlT_T0_E_clISt17integral_constantIbLb1EES1C_EEDaS17_S18_EUlS17_E_NS1_11comp_targetILNS1_3genE5ELNS1_11target_archE942ELNS1_3gpuE9ELNS1_3repE0EEENS1_30default_config_static_selectorELNS0_4arch9wavefront6targetE1EEEvT1_.has_indirect_call, 0
	.section	.AMDGPU.csdata,"",@progbits
; Kernel info:
; codeLenInByte = 0
; TotalNumSgprs: 6
; NumVgprs: 0
; NumAgprs: 0
; TotalNumVgprs: 0
; ScratchSize: 0
; MemoryBound: 0
; FloatMode: 240
; IeeeMode: 1
; LDSByteSize: 0 bytes/workgroup (compile time only)
; SGPRBlocks: 0
; VGPRBlocks: 0
; NumSGPRsForWavesPerEU: 6
; NumVGPRsForWavesPerEU: 1
; AccumOffset: 4
; Occupancy: 8
; WaveLimiterHint : 0
; COMPUTE_PGM_RSRC2:SCRATCH_EN: 0
; COMPUTE_PGM_RSRC2:USER_SGPR: 2
; COMPUTE_PGM_RSRC2:TRAP_HANDLER: 0
; COMPUTE_PGM_RSRC2:TGID_X_EN: 1
; COMPUTE_PGM_RSRC2:TGID_Y_EN: 0
; COMPUTE_PGM_RSRC2:TGID_Z_EN: 0
; COMPUTE_PGM_RSRC2:TIDIG_COMP_CNT: 0
; COMPUTE_PGM_RSRC3_GFX90A:ACCUM_OFFSET: 0
; COMPUTE_PGM_RSRC3_GFX90A:TG_SPLIT: 0
	.section	.text._ZN7rocprim17ROCPRIM_400000_NS6detail17trampoline_kernelINS0_14default_configENS1_25partition_config_selectorILNS1_17partition_subalgoE9EllbEEZZNS1_14partition_implILS5_9ELb0ES3_jPlS8_PNS0_10empty_typeENS0_5tupleIJS8_S9_EEENSB_IJS8_SA_EEENS0_18inequality_wrapperIZN2at6native12_GLOBAL__N_124unique_dim_cuda_templateIN3c104HalfEEESt5tupleIJNSF_6TensorESM_SM_EERKSM_lbbbEUlllE0_EEPmJS9_EEE10hipError_tPvRmT3_T4_T5_T6_T7_T9_mT8_P12ihipStream_tbDpT10_ENKUlT_T0_E_clISt17integral_constantIbLb1EES1C_EEDaS17_S18_EUlS17_E_NS1_11comp_targetILNS1_3genE4ELNS1_11target_archE910ELNS1_3gpuE8ELNS1_3repE0EEENS1_30default_config_static_selectorELNS0_4arch9wavefront6targetE1EEEvT1_,"axG",@progbits,_ZN7rocprim17ROCPRIM_400000_NS6detail17trampoline_kernelINS0_14default_configENS1_25partition_config_selectorILNS1_17partition_subalgoE9EllbEEZZNS1_14partition_implILS5_9ELb0ES3_jPlS8_PNS0_10empty_typeENS0_5tupleIJS8_S9_EEENSB_IJS8_SA_EEENS0_18inequality_wrapperIZN2at6native12_GLOBAL__N_124unique_dim_cuda_templateIN3c104HalfEEESt5tupleIJNSF_6TensorESM_SM_EERKSM_lbbbEUlllE0_EEPmJS9_EEE10hipError_tPvRmT3_T4_T5_T6_T7_T9_mT8_P12ihipStream_tbDpT10_ENKUlT_T0_E_clISt17integral_constantIbLb1EES1C_EEDaS17_S18_EUlS17_E_NS1_11comp_targetILNS1_3genE4ELNS1_11target_archE910ELNS1_3gpuE8ELNS1_3repE0EEENS1_30default_config_static_selectorELNS0_4arch9wavefront6targetE1EEEvT1_,comdat
	.globl	_ZN7rocprim17ROCPRIM_400000_NS6detail17trampoline_kernelINS0_14default_configENS1_25partition_config_selectorILNS1_17partition_subalgoE9EllbEEZZNS1_14partition_implILS5_9ELb0ES3_jPlS8_PNS0_10empty_typeENS0_5tupleIJS8_S9_EEENSB_IJS8_SA_EEENS0_18inequality_wrapperIZN2at6native12_GLOBAL__N_124unique_dim_cuda_templateIN3c104HalfEEESt5tupleIJNSF_6TensorESM_SM_EERKSM_lbbbEUlllE0_EEPmJS9_EEE10hipError_tPvRmT3_T4_T5_T6_T7_T9_mT8_P12ihipStream_tbDpT10_ENKUlT_T0_E_clISt17integral_constantIbLb1EES1C_EEDaS17_S18_EUlS17_E_NS1_11comp_targetILNS1_3genE4ELNS1_11target_archE910ELNS1_3gpuE8ELNS1_3repE0EEENS1_30default_config_static_selectorELNS0_4arch9wavefront6targetE1EEEvT1_ ; -- Begin function _ZN7rocprim17ROCPRIM_400000_NS6detail17trampoline_kernelINS0_14default_configENS1_25partition_config_selectorILNS1_17partition_subalgoE9EllbEEZZNS1_14partition_implILS5_9ELb0ES3_jPlS8_PNS0_10empty_typeENS0_5tupleIJS8_S9_EEENSB_IJS8_SA_EEENS0_18inequality_wrapperIZN2at6native12_GLOBAL__N_124unique_dim_cuda_templateIN3c104HalfEEESt5tupleIJNSF_6TensorESM_SM_EERKSM_lbbbEUlllE0_EEPmJS9_EEE10hipError_tPvRmT3_T4_T5_T6_T7_T9_mT8_P12ihipStream_tbDpT10_ENKUlT_T0_E_clISt17integral_constantIbLb1EES1C_EEDaS17_S18_EUlS17_E_NS1_11comp_targetILNS1_3genE4ELNS1_11target_archE910ELNS1_3gpuE8ELNS1_3repE0EEENS1_30default_config_static_selectorELNS0_4arch9wavefront6targetE1EEEvT1_
	.p2align	8
	.type	_ZN7rocprim17ROCPRIM_400000_NS6detail17trampoline_kernelINS0_14default_configENS1_25partition_config_selectorILNS1_17partition_subalgoE9EllbEEZZNS1_14partition_implILS5_9ELb0ES3_jPlS8_PNS0_10empty_typeENS0_5tupleIJS8_S9_EEENSB_IJS8_SA_EEENS0_18inequality_wrapperIZN2at6native12_GLOBAL__N_124unique_dim_cuda_templateIN3c104HalfEEESt5tupleIJNSF_6TensorESM_SM_EERKSM_lbbbEUlllE0_EEPmJS9_EEE10hipError_tPvRmT3_T4_T5_T6_T7_T9_mT8_P12ihipStream_tbDpT10_ENKUlT_T0_E_clISt17integral_constantIbLb1EES1C_EEDaS17_S18_EUlS17_E_NS1_11comp_targetILNS1_3genE4ELNS1_11target_archE910ELNS1_3gpuE8ELNS1_3repE0EEENS1_30default_config_static_selectorELNS0_4arch9wavefront6targetE1EEEvT1_,@function
_ZN7rocprim17ROCPRIM_400000_NS6detail17trampoline_kernelINS0_14default_configENS1_25partition_config_selectorILNS1_17partition_subalgoE9EllbEEZZNS1_14partition_implILS5_9ELb0ES3_jPlS8_PNS0_10empty_typeENS0_5tupleIJS8_S9_EEENSB_IJS8_SA_EEENS0_18inequality_wrapperIZN2at6native12_GLOBAL__N_124unique_dim_cuda_templateIN3c104HalfEEESt5tupleIJNSF_6TensorESM_SM_EERKSM_lbbbEUlllE0_EEPmJS9_EEE10hipError_tPvRmT3_T4_T5_T6_T7_T9_mT8_P12ihipStream_tbDpT10_ENKUlT_T0_E_clISt17integral_constantIbLb1EES1C_EEDaS17_S18_EUlS17_E_NS1_11comp_targetILNS1_3genE4ELNS1_11target_archE910ELNS1_3gpuE8ELNS1_3repE0EEENS1_30default_config_static_selectorELNS0_4arch9wavefront6targetE1EEEvT1_: ; @_ZN7rocprim17ROCPRIM_400000_NS6detail17trampoline_kernelINS0_14default_configENS1_25partition_config_selectorILNS1_17partition_subalgoE9EllbEEZZNS1_14partition_implILS5_9ELb0ES3_jPlS8_PNS0_10empty_typeENS0_5tupleIJS8_S9_EEENSB_IJS8_SA_EEENS0_18inequality_wrapperIZN2at6native12_GLOBAL__N_124unique_dim_cuda_templateIN3c104HalfEEESt5tupleIJNSF_6TensorESM_SM_EERKSM_lbbbEUlllE0_EEPmJS9_EEE10hipError_tPvRmT3_T4_T5_T6_T7_T9_mT8_P12ihipStream_tbDpT10_ENKUlT_T0_E_clISt17integral_constantIbLb1EES1C_EEDaS17_S18_EUlS17_E_NS1_11comp_targetILNS1_3genE4ELNS1_11target_archE910ELNS1_3gpuE8ELNS1_3repE0EEENS1_30default_config_static_selectorELNS0_4arch9wavefront6targetE1EEEvT1_
; %bb.0:
	.section	.rodata,"a",@progbits
	.p2align	6, 0x0
	.amdhsa_kernel _ZN7rocprim17ROCPRIM_400000_NS6detail17trampoline_kernelINS0_14default_configENS1_25partition_config_selectorILNS1_17partition_subalgoE9EllbEEZZNS1_14partition_implILS5_9ELb0ES3_jPlS8_PNS0_10empty_typeENS0_5tupleIJS8_S9_EEENSB_IJS8_SA_EEENS0_18inequality_wrapperIZN2at6native12_GLOBAL__N_124unique_dim_cuda_templateIN3c104HalfEEESt5tupleIJNSF_6TensorESM_SM_EERKSM_lbbbEUlllE0_EEPmJS9_EEE10hipError_tPvRmT3_T4_T5_T6_T7_T9_mT8_P12ihipStream_tbDpT10_ENKUlT_T0_E_clISt17integral_constantIbLb1EES1C_EEDaS17_S18_EUlS17_E_NS1_11comp_targetILNS1_3genE4ELNS1_11target_archE910ELNS1_3gpuE8ELNS1_3repE0EEENS1_30default_config_static_selectorELNS0_4arch9wavefront6targetE1EEEvT1_
		.amdhsa_group_segment_fixed_size 0
		.amdhsa_private_segment_fixed_size 0
		.amdhsa_kernarg_size 136
		.amdhsa_user_sgpr_count 2
		.amdhsa_user_sgpr_dispatch_ptr 0
		.amdhsa_user_sgpr_queue_ptr 0
		.amdhsa_user_sgpr_kernarg_segment_ptr 1
		.amdhsa_user_sgpr_dispatch_id 0
		.amdhsa_user_sgpr_kernarg_preload_length 0
		.amdhsa_user_sgpr_kernarg_preload_offset 0
		.amdhsa_user_sgpr_private_segment_size 0
		.amdhsa_uses_dynamic_stack 0
		.amdhsa_enable_private_segment 0
		.amdhsa_system_sgpr_workgroup_id_x 1
		.amdhsa_system_sgpr_workgroup_id_y 0
		.amdhsa_system_sgpr_workgroup_id_z 0
		.amdhsa_system_sgpr_workgroup_info 0
		.amdhsa_system_vgpr_workitem_id 0
		.amdhsa_next_free_vgpr 1
		.amdhsa_next_free_sgpr 0
		.amdhsa_accum_offset 4
		.amdhsa_reserve_vcc 0
		.amdhsa_float_round_mode_32 0
		.amdhsa_float_round_mode_16_64 0
		.amdhsa_float_denorm_mode_32 3
		.amdhsa_float_denorm_mode_16_64 3
		.amdhsa_dx10_clamp 1
		.amdhsa_ieee_mode 1
		.amdhsa_fp16_overflow 0
		.amdhsa_tg_split 0
		.amdhsa_exception_fp_ieee_invalid_op 0
		.amdhsa_exception_fp_denorm_src 0
		.amdhsa_exception_fp_ieee_div_zero 0
		.amdhsa_exception_fp_ieee_overflow 0
		.amdhsa_exception_fp_ieee_underflow 0
		.amdhsa_exception_fp_ieee_inexact 0
		.amdhsa_exception_int_div_zero 0
	.end_amdhsa_kernel
	.section	.text._ZN7rocprim17ROCPRIM_400000_NS6detail17trampoline_kernelINS0_14default_configENS1_25partition_config_selectorILNS1_17partition_subalgoE9EllbEEZZNS1_14partition_implILS5_9ELb0ES3_jPlS8_PNS0_10empty_typeENS0_5tupleIJS8_S9_EEENSB_IJS8_SA_EEENS0_18inequality_wrapperIZN2at6native12_GLOBAL__N_124unique_dim_cuda_templateIN3c104HalfEEESt5tupleIJNSF_6TensorESM_SM_EERKSM_lbbbEUlllE0_EEPmJS9_EEE10hipError_tPvRmT3_T4_T5_T6_T7_T9_mT8_P12ihipStream_tbDpT10_ENKUlT_T0_E_clISt17integral_constantIbLb1EES1C_EEDaS17_S18_EUlS17_E_NS1_11comp_targetILNS1_3genE4ELNS1_11target_archE910ELNS1_3gpuE8ELNS1_3repE0EEENS1_30default_config_static_selectorELNS0_4arch9wavefront6targetE1EEEvT1_,"axG",@progbits,_ZN7rocprim17ROCPRIM_400000_NS6detail17trampoline_kernelINS0_14default_configENS1_25partition_config_selectorILNS1_17partition_subalgoE9EllbEEZZNS1_14partition_implILS5_9ELb0ES3_jPlS8_PNS0_10empty_typeENS0_5tupleIJS8_S9_EEENSB_IJS8_SA_EEENS0_18inequality_wrapperIZN2at6native12_GLOBAL__N_124unique_dim_cuda_templateIN3c104HalfEEESt5tupleIJNSF_6TensorESM_SM_EERKSM_lbbbEUlllE0_EEPmJS9_EEE10hipError_tPvRmT3_T4_T5_T6_T7_T9_mT8_P12ihipStream_tbDpT10_ENKUlT_T0_E_clISt17integral_constantIbLb1EES1C_EEDaS17_S18_EUlS17_E_NS1_11comp_targetILNS1_3genE4ELNS1_11target_archE910ELNS1_3gpuE8ELNS1_3repE0EEENS1_30default_config_static_selectorELNS0_4arch9wavefront6targetE1EEEvT1_,comdat
.Lfunc_end1339:
	.size	_ZN7rocprim17ROCPRIM_400000_NS6detail17trampoline_kernelINS0_14default_configENS1_25partition_config_selectorILNS1_17partition_subalgoE9EllbEEZZNS1_14partition_implILS5_9ELb0ES3_jPlS8_PNS0_10empty_typeENS0_5tupleIJS8_S9_EEENSB_IJS8_SA_EEENS0_18inequality_wrapperIZN2at6native12_GLOBAL__N_124unique_dim_cuda_templateIN3c104HalfEEESt5tupleIJNSF_6TensorESM_SM_EERKSM_lbbbEUlllE0_EEPmJS9_EEE10hipError_tPvRmT3_T4_T5_T6_T7_T9_mT8_P12ihipStream_tbDpT10_ENKUlT_T0_E_clISt17integral_constantIbLb1EES1C_EEDaS17_S18_EUlS17_E_NS1_11comp_targetILNS1_3genE4ELNS1_11target_archE910ELNS1_3gpuE8ELNS1_3repE0EEENS1_30default_config_static_selectorELNS0_4arch9wavefront6targetE1EEEvT1_, .Lfunc_end1339-_ZN7rocprim17ROCPRIM_400000_NS6detail17trampoline_kernelINS0_14default_configENS1_25partition_config_selectorILNS1_17partition_subalgoE9EllbEEZZNS1_14partition_implILS5_9ELb0ES3_jPlS8_PNS0_10empty_typeENS0_5tupleIJS8_S9_EEENSB_IJS8_SA_EEENS0_18inequality_wrapperIZN2at6native12_GLOBAL__N_124unique_dim_cuda_templateIN3c104HalfEEESt5tupleIJNSF_6TensorESM_SM_EERKSM_lbbbEUlllE0_EEPmJS9_EEE10hipError_tPvRmT3_T4_T5_T6_T7_T9_mT8_P12ihipStream_tbDpT10_ENKUlT_T0_E_clISt17integral_constantIbLb1EES1C_EEDaS17_S18_EUlS17_E_NS1_11comp_targetILNS1_3genE4ELNS1_11target_archE910ELNS1_3gpuE8ELNS1_3repE0EEENS1_30default_config_static_selectorELNS0_4arch9wavefront6targetE1EEEvT1_
                                        ; -- End function
	.set _ZN7rocprim17ROCPRIM_400000_NS6detail17trampoline_kernelINS0_14default_configENS1_25partition_config_selectorILNS1_17partition_subalgoE9EllbEEZZNS1_14partition_implILS5_9ELb0ES3_jPlS8_PNS0_10empty_typeENS0_5tupleIJS8_S9_EEENSB_IJS8_SA_EEENS0_18inequality_wrapperIZN2at6native12_GLOBAL__N_124unique_dim_cuda_templateIN3c104HalfEEESt5tupleIJNSF_6TensorESM_SM_EERKSM_lbbbEUlllE0_EEPmJS9_EEE10hipError_tPvRmT3_T4_T5_T6_T7_T9_mT8_P12ihipStream_tbDpT10_ENKUlT_T0_E_clISt17integral_constantIbLb1EES1C_EEDaS17_S18_EUlS17_E_NS1_11comp_targetILNS1_3genE4ELNS1_11target_archE910ELNS1_3gpuE8ELNS1_3repE0EEENS1_30default_config_static_selectorELNS0_4arch9wavefront6targetE1EEEvT1_.num_vgpr, 0
	.set _ZN7rocprim17ROCPRIM_400000_NS6detail17trampoline_kernelINS0_14default_configENS1_25partition_config_selectorILNS1_17partition_subalgoE9EllbEEZZNS1_14partition_implILS5_9ELb0ES3_jPlS8_PNS0_10empty_typeENS0_5tupleIJS8_S9_EEENSB_IJS8_SA_EEENS0_18inequality_wrapperIZN2at6native12_GLOBAL__N_124unique_dim_cuda_templateIN3c104HalfEEESt5tupleIJNSF_6TensorESM_SM_EERKSM_lbbbEUlllE0_EEPmJS9_EEE10hipError_tPvRmT3_T4_T5_T6_T7_T9_mT8_P12ihipStream_tbDpT10_ENKUlT_T0_E_clISt17integral_constantIbLb1EES1C_EEDaS17_S18_EUlS17_E_NS1_11comp_targetILNS1_3genE4ELNS1_11target_archE910ELNS1_3gpuE8ELNS1_3repE0EEENS1_30default_config_static_selectorELNS0_4arch9wavefront6targetE1EEEvT1_.num_agpr, 0
	.set _ZN7rocprim17ROCPRIM_400000_NS6detail17trampoline_kernelINS0_14default_configENS1_25partition_config_selectorILNS1_17partition_subalgoE9EllbEEZZNS1_14partition_implILS5_9ELb0ES3_jPlS8_PNS0_10empty_typeENS0_5tupleIJS8_S9_EEENSB_IJS8_SA_EEENS0_18inequality_wrapperIZN2at6native12_GLOBAL__N_124unique_dim_cuda_templateIN3c104HalfEEESt5tupleIJNSF_6TensorESM_SM_EERKSM_lbbbEUlllE0_EEPmJS9_EEE10hipError_tPvRmT3_T4_T5_T6_T7_T9_mT8_P12ihipStream_tbDpT10_ENKUlT_T0_E_clISt17integral_constantIbLb1EES1C_EEDaS17_S18_EUlS17_E_NS1_11comp_targetILNS1_3genE4ELNS1_11target_archE910ELNS1_3gpuE8ELNS1_3repE0EEENS1_30default_config_static_selectorELNS0_4arch9wavefront6targetE1EEEvT1_.numbered_sgpr, 0
	.set _ZN7rocprim17ROCPRIM_400000_NS6detail17trampoline_kernelINS0_14default_configENS1_25partition_config_selectorILNS1_17partition_subalgoE9EllbEEZZNS1_14partition_implILS5_9ELb0ES3_jPlS8_PNS0_10empty_typeENS0_5tupleIJS8_S9_EEENSB_IJS8_SA_EEENS0_18inequality_wrapperIZN2at6native12_GLOBAL__N_124unique_dim_cuda_templateIN3c104HalfEEESt5tupleIJNSF_6TensorESM_SM_EERKSM_lbbbEUlllE0_EEPmJS9_EEE10hipError_tPvRmT3_T4_T5_T6_T7_T9_mT8_P12ihipStream_tbDpT10_ENKUlT_T0_E_clISt17integral_constantIbLb1EES1C_EEDaS17_S18_EUlS17_E_NS1_11comp_targetILNS1_3genE4ELNS1_11target_archE910ELNS1_3gpuE8ELNS1_3repE0EEENS1_30default_config_static_selectorELNS0_4arch9wavefront6targetE1EEEvT1_.num_named_barrier, 0
	.set _ZN7rocprim17ROCPRIM_400000_NS6detail17trampoline_kernelINS0_14default_configENS1_25partition_config_selectorILNS1_17partition_subalgoE9EllbEEZZNS1_14partition_implILS5_9ELb0ES3_jPlS8_PNS0_10empty_typeENS0_5tupleIJS8_S9_EEENSB_IJS8_SA_EEENS0_18inequality_wrapperIZN2at6native12_GLOBAL__N_124unique_dim_cuda_templateIN3c104HalfEEESt5tupleIJNSF_6TensorESM_SM_EERKSM_lbbbEUlllE0_EEPmJS9_EEE10hipError_tPvRmT3_T4_T5_T6_T7_T9_mT8_P12ihipStream_tbDpT10_ENKUlT_T0_E_clISt17integral_constantIbLb1EES1C_EEDaS17_S18_EUlS17_E_NS1_11comp_targetILNS1_3genE4ELNS1_11target_archE910ELNS1_3gpuE8ELNS1_3repE0EEENS1_30default_config_static_selectorELNS0_4arch9wavefront6targetE1EEEvT1_.private_seg_size, 0
	.set _ZN7rocprim17ROCPRIM_400000_NS6detail17trampoline_kernelINS0_14default_configENS1_25partition_config_selectorILNS1_17partition_subalgoE9EllbEEZZNS1_14partition_implILS5_9ELb0ES3_jPlS8_PNS0_10empty_typeENS0_5tupleIJS8_S9_EEENSB_IJS8_SA_EEENS0_18inequality_wrapperIZN2at6native12_GLOBAL__N_124unique_dim_cuda_templateIN3c104HalfEEESt5tupleIJNSF_6TensorESM_SM_EERKSM_lbbbEUlllE0_EEPmJS9_EEE10hipError_tPvRmT3_T4_T5_T6_T7_T9_mT8_P12ihipStream_tbDpT10_ENKUlT_T0_E_clISt17integral_constantIbLb1EES1C_EEDaS17_S18_EUlS17_E_NS1_11comp_targetILNS1_3genE4ELNS1_11target_archE910ELNS1_3gpuE8ELNS1_3repE0EEENS1_30default_config_static_selectorELNS0_4arch9wavefront6targetE1EEEvT1_.uses_vcc, 0
	.set _ZN7rocprim17ROCPRIM_400000_NS6detail17trampoline_kernelINS0_14default_configENS1_25partition_config_selectorILNS1_17partition_subalgoE9EllbEEZZNS1_14partition_implILS5_9ELb0ES3_jPlS8_PNS0_10empty_typeENS0_5tupleIJS8_S9_EEENSB_IJS8_SA_EEENS0_18inequality_wrapperIZN2at6native12_GLOBAL__N_124unique_dim_cuda_templateIN3c104HalfEEESt5tupleIJNSF_6TensorESM_SM_EERKSM_lbbbEUlllE0_EEPmJS9_EEE10hipError_tPvRmT3_T4_T5_T6_T7_T9_mT8_P12ihipStream_tbDpT10_ENKUlT_T0_E_clISt17integral_constantIbLb1EES1C_EEDaS17_S18_EUlS17_E_NS1_11comp_targetILNS1_3genE4ELNS1_11target_archE910ELNS1_3gpuE8ELNS1_3repE0EEENS1_30default_config_static_selectorELNS0_4arch9wavefront6targetE1EEEvT1_.uses_flat_scratch, 0
	.set _ZN7rocprim17ROCPRIM_400000_NS6detail17trampoline_kernelINS0_14default_configENS1_25partition_config_selectorILNS1_17partition_subalgoE9EllbEEZZNS1_14partition_implILS5_9ELb0ES3_jPlS8_PNS0_10empty_typeENS0_5tupleIJS8_S9_EEENSB_IJS8_SA_EEENS0_18inequality_wrapperIZN2at6native12_GLOBAL__N_124unique_dim_cuda_templateIN3c104HalfEEESt5tupleIJNSF_6TensorESM_SM_EERKSM_lbbbEUlllE0_EEPmJS9_EEE10hipError_tPvRmT3_T4_T5_T6_T7_T9_mT8_P12ihipStream_tbDpT10_ENKUlT_T0_E_clISt17integral_constantIbLb1EES1C_EEDaS17_S18_EUlS17_E_NS1_11comp_targetILNS1_3genE4ELNS1_11target_archE910ELNS1_3gpuE8ELNS1_3repE0EEENS1_30default_config_static_selectorELNS0_4arch9wavefront6targetE1EEEvT1_.has_dyn_sized_stack, 0
	.set _ZN7rocprim17ROCPRIM_400000_NS6detail17trampoline_kernelINS0_14default_configENS1_25partition_config_selectorILNS1_17partition_subalgoE9EllbEEZZNS1_14partition_implILS5_9ELb0ES3_jPlS8_PNS0_10empty_typeENS0_5tupleIJS8_S9_EEENSB_IJS8_SA_EEENS0_18inequality_wrapperIZN2at6native12_GLOBAL__N_124unique_dim_cuda_templateIN3c104HalfEEESt5tupleIJNSF_6TensorESM_SM_EERKSM_lbbbEUlllE0_EEPmJS9_EEE10hipError_tPvRmT3_T4_T5_T6_T7_T9_mT8_P12ihipStream_tbDpT10_ENKUlT_T0_E_clISt17integral_constantIbLb1EES1C_EEDaS17_S18_EUlS17_E_NS1_11comp_targetILNS1_3genE4ELNS1_11target_archE910ELNS1_3gpuE8ELNS1_3repE0EEENS1_30default_config_static_selectorELNS0_4arch9wavefront6targetE1EEEvT1_.has_recursion, 0
	.set _ZN7rocprim17ROCPRIM_400000_NS6detail17trampoline_kernelINS0_14default_configENS1_25partition_config_selectorILNS1_17partition_subalgoE9EllbEEZZNS1_14partition_implILS5_9ELb0ES3_jPlS8_PNS0_10empty_typeENS0_5tupleIJS8_S9_EEENSB_IJS8_SA_EEENS0_18inequality_wrapperIZN2at6native12_GLOBAL__N_124unique_dim_cuda_templateIN3c104HalfEEESt5tupleIJNSF_6TensorESM_SM_EERKSM_lbbbEUlllE0_EEPmJS9_EEE10hipError_tPvRmT3_T4_T5_T6_T7_T9_mT8_P12ihipStream_tbDpT10_ENKUlT_T0_E_clISt17integral_constantIbLb1EES1C_EEDaS17_S18_EUlS17_E_NS1_11comp_targetILNS1_3genE4ELNS1_11target_archE910ELNS1_3gpuE8ELNS1_3repE0EEENS1_30default_config_static_selectorELNS0_4arch9wavefront6targetE1EEEvT1_.has_indirect_call, 0
	.section	.AMDGPU.csdata,"",@progbits
; Kernel info:
; codeLenInByte = 0
; TotalNumSgprs: 6
; NumVgprs: 0
; NumAgprs: 0
; TotalNumVgprs: 0
; ScratchSize: 0
; MemoryBound: 0
; FloatMode: 240
; IeeeMode: 1
; LDSByteSize: 0 bytes/workgroup (compile time only)
; SGPRBlocks: 0
; VGPRBlocks: 0
; NumSGPRsForWavesPerEU: 6
; NumVGPRsForWavesPerEU: 1
; AccumOffset: 4
; Occupancy: 8
; WaveLimiterHint : 0
; COMPUTE_PGM_RSRC2:SCRATCH_EN: 0
; COMPUTE_PGM_RSRC2:USER_SGPR: 2
; COMPUTE_PGM_RSRC2:TRAP_HANDLER: 0
; COMPUTE_PGM_RSRC2:TGID_X_EN: 1
; COMPUTE_PGM_RSRC2:TGID_Y_EN: 0
; COMPUTE_PGM_RSRC2:TGID_Z_EN: 0
; COMPUTE_PGM_RSRC2:TIDIG_COMP_CNT: 0
; COMPUTE_PGM_RSRC3_GFX90A:ACCUM_OFFSET: 0
; COMPUTE_PGM_RSRC3_GFX90A:TG_SPLIT: 0
	.section	.text._ZN7rocprim17ROCPRIM_400000_NS6detail17trampoline_kernelINS0_14default_configENS1_25partition_config_selectorILNS1_17partition_subalgoE9EllbEEZZNS1_14partition_implILS5_9ELb0ES3_jPlS8_PNS0_10empty_typeENS0_5tupleIJS8_S9_EEENSB_IJS8_SA_EEENS0_18inequality_wrapperIZN2at6native12_GLOBAL__N_124unique_dim_cuda_templateIN3c104HalfEEESt5tupleIJNSF_6TensorESM_SM_EERKSM_lbbbEUlllE0_EEPmJS9_EEE10hipError_tPvRmT3_T4_T5_T6_T7_T9_mT8_P12ihipStream_tbDpT10_ENKUlT_T0_E_clISt17integral_constantIbLb1EES1C_EEDaS17_S18_EUlS17_E_NS1_11comp_targetILNS1_3genE3ELNS1_11target_archE908ELNS1_3gpuE7ELNS1_3repE0EEENS1_30default_config_static_selectorELNS0_4arch9wavefront6targetE1EEEvT1_,"axG",@progbits,_ZN7rocprim17ROCPRIM_400000_NS6detail17trampoline_kernelINS0_14default_configENS1_25partition_config_selectorILNS1_17partition_subalgoE9EllbEEZZNS1_14partition_implILS5_9ELb0ES3_jPlS8_PNS0_10empty_typeENS0_5tupleIJS8_S9_EEENSB_IJS8_SA_EEENS0_18inequality_wrapperIZN2at6native12_GLOBAL__N_124unique_dim_cuda_templateIN3c104HalfEEESt5tupleIJNSF_6TensorESM_SM_EERKSM_lbbbEUlllE0_EEPmJS9_EEE10hipError_tPvRmT3_T4_T5_T6_T7_T9_mT8_P12ihipStream_tbDpT10_ENKUlT_T0_E_clISt17integral_constantIbLb1EES1C_EEDaS17_S18_EUlS17_E_NS1_11comp_targetILNS1_3genE3ELNS1_11target_archE908ELNS1_3gpuE7ELNS1_3repE0EEENS1_30default_config_static_selectorELNS0_4arch9wavefront6targetE1EEEvT1_,comdat
	.globl	_ZN7rocprim17ROCPRIM_400000_NS6detail17trampoline_kernelINS0_14default_configENS1_25partition_config_selectorILNS1_17partition_subalgoE9EllbEEZZNS1_14partition_implILS5_9ELb0ES3_jPlS8_PNS0_10empty_typeENS0_5tupleIJS8_S9_EEENSB_IJS8_SA_EEENS0_18inequality_wrapperIZN2at6native12_GLOBAL__N_124unique_dim_cuda_templateIN3c104HalfEEESt5tupleIJNSF_6TensorESM_SM_EERKSM_lbbbEUlllE0_EEPmJS9_EEE10hipError_tPvRmT3_T4_T5_T6_T7_T9_mT8_P12ihipStream_tbDpT10_ENKUlT_T0_E_clISt17integral_constantIbLb1EES1C_EEDaS17_S18_EUlS17_E_NS1_11comp_targetILNS1_3genE3ELNS1_11target_archE908ELNS1_3gpuE7ELNS1_3repE0EEENS1_30default_config_static_selectorELNS0_4arch9wavefront6targetE1EEEvT1_ ; -- Begin function _ZN7rocprim17ROCPRIM_400000_NS6detail17trampoline_kernelINS0_14default_configENS1_25partition_config_selectorILNS1_17partition_subalgoE9EllbEEZZNS1_14partition_implILS5_9ELb0ES3_jPlS8_PNS0_10empty_typeENS0_5tupleIJS8_S9_EEENSB_IJS8_SA_EEENS0_18inequality_wrapperIZN2at6native12_GLOBAL__N_124unique_dim_cuda_templateIN3c104HalfEEESt5tupleIJNSF_6TensorESM_SM_EERKSM_lbbbEUlllE0_EEPmJS9_EEE10hipError_tPvRmT3_T4_T5_T6_T7_T9_mT8_P12ihipStream_tbDpT10_ENKUlT_T0_E_clISt17integral_constantIbLb1EES1C_EEDaS17_S18_EUlS17_E_NS1_11comp_targetILNS1_3genE3ELNS1_11target_archE908ELNS1_3gpuE7ELNS1_3repE0EEENS1_30default_config_static_selectorELNS0_4arch9wavefront6targetE1EEEvT1_
	.p2align	8
	.type	_ZN7rocprim17ROCPRIM_400000_NS6detail17trampoline_kernelINS0_14default_configENS1_25partition_config_selectorILNS1_17partition_subalgoE9EllbEEZZNS1_14partition_implILS5_9ELb0ES3_jPlS8_PNS0_10empty_typeENS0_5tupleIJS8_S9_EEENSB_IJS8_SA_EEENS0_18inequality_wrapperIZN2at6native12_GLOBAL__N_124unique_dim_cuda_templateIN3c104HalfEEESt5tupleIJNSF_6TensorESM_SM_EERKSM_lbbbEUlllE0_EEPmJS9_EEE10hipError_tPvRmT3_T4_T5_T6_T7_T9_mT8_P12ihipStream_tbDpT10_ENKUlT_T0_E_clISt17integral_constantIbLb1EES1C_EEDaS17_S18_EUlS17_E_NS1_11comp_targetILNS1_3genE3ELNS1_11target_archE908ELNS1_3gpuE7ELNS1_3repE0EEENS1_30default_config_static_selectorELNS0_4arch9wavefront6targetE1EEEvT1_,@function
_ZN7rocprim17ROCPRIM_400000_NS6detail17trampoline_kernelINS0_14default_configENS1_25partition_config_selectorILNS1_17partition_subalgoE9EllbEEZZNS1_14partition_implILS5_9ELb0ES3_jPlS8_PNS0_10empty_typeENS0_5tupleIJS8_S9_EEENSB_IJS8_SA_EEENS0_18inequality_wrapperIZN2at6native12_GLOBAL__N_124unique_dim_cuda_templateIN3c104HalfEEESt5tupleIJNSF_6TensorESM_SM_EERKSM_lbbbEUlllE0_EEPmJS9_EEE10hipError_tPvRmT3_T4_T5_T6_T7_T9_mT8_P12ihipStream_tbDpT10_ENKUlT_T0_E_clISt17integral_constantIbLb1EES1C_EEDaS17_S18_EUlS17_E_NS1_11comp_targetILNS1_3genE3ELNS1_11target_archE908ELNS1_3gpuE7ELNS1_3repE0EEENS1_30default_config_static_selectorELNS0_4arch9wavefront6targetE1EEEvT1_: ; @_ZN7rocprim17ROCPRIM_400000_NS6detail17trampoline_kernelINS0_14default_configENS1_25partition_config_selectorILNS1_17partition_subalgoE9EllbEEZZNS1_14partition_implILS5_9ELb0ES3_jPlS8_PNS0_10empty_typeENS0_5tupleIJS8_S9_EEENSB_IJS8_SA_EEENS0_18inequality_wrapperIZN2at6native12_GLOBAL__N_124unique_dim_cuda_templateIN3c104HalfEEESt5tupleIJNSF_6TensorESM_SM_EERKSM_lbbbEUlllE0_EEPmJS9_EEE10hipError_tPvRmT3_T4_T5_T6_T7_T9_mT8_P12ihipStream_tbDpT10_ENKUlT_T0_E_clISt17integral_constantIbLb1EES1C_EEDaS17_S18_EUlS17_E_NS1_11comp_targetILNS1_3genE3ELNS1_11target_archE908ELNS1_3gpuE7ELNS1_3repE0EEENS1_30default_config_static_selectorELNS0_4arch9wavefront6targetE1EEEvT1_
; %bb.0:
	.section	.rodata,"a",@progbits
	.p2align	6, 0x0
	.amdhsa_kernel _ZN7rocprim17ROCPRIM_400000_NS6detail17trampoline_kernelINS0_14default_configENS1_25partition_config_selectorILNS1_17partition_subalgoE9EllbEEZZNS1_14partition_implILS5_9ELb0ES3_jPlS8_PNS0_10empty_typeENS0_5tupleIJS8_S9_EEENSB_IJS8_SA_EEENS0_18inequality_wrapperIZN2at6native12_GLOBAL__N_124unique_dim_cuda_templateIN3c104HalfEEESt5tupleIJNSF_6TensorESM_SM_EERKSM_lbbbEUlllE0_EEPmJS9_EEE10hipError_tPvRmT3_T4_T5_T6_T7_T9_mT8_P12ihipStream_tbDpT10_ENKUlT_T0_E_clISt17integral_constantIbLb1EES1C_EEDaS17_S18_EUlS17_E_NS1_11comp_targetILNS1_3genE3ELNS1_11target_archE908ELNS1_3gpuE7ELNS1_3repE0EEENS1_30default_config_static_selectorELNS0_4arch9wavefront6targetE1EEEvT1_
		.amdhsa_group_segment_fixed_size 0
		.amdhsa_private_segment_fixed_size 0
		.amdhsa_kernarg_size 136
		.amdhsa_user_sgpr_count 2
		.amdhsa_user_sgpr_dispatch_ptr 0
		.amdhsa_user_sgpr_queue_ptr 0
		.amdhsa_user_sgpr_kernarg_segment_ptr 1
		.amdhsa_user_sgpr_dispatch_id 0
		.amdhsa_user_sgpr_kernarg_preload_length 0
		.amdhsa_user_sgpr_kernarg_preload_offset 0
		.amdhsa_user_sgpr_private_segment_size 0
		.amdhsa_uses_dynamic_stack 0
		.amdhsa_enable_private_segment 0
		.amdhsa_system_sgpr_workgroup_id_x 1
		.amdhsa_system_sgpr_workgroup_id_y 0
		.amdhsa_system_sgpr_workgroup_id_z 0
		.amdhsa_system_sgpr_workgroup_info 0
		.amdhsa_system_vgpr_workitem_id 0
		.amdhsa_next_free_vgpr 1
		.amdhsa_next_free_sgpr 0
		.amdhsa_accum_offset 4
		.amdhsa_reserve_vcc 0
		.amdhsa_float_round_mode_32 0
		.amdhsa_float_round_mode_16_64 0
		.amdhsa_float_denorm_mode_32 3
		.amdhsa_float_denorm_mode_16_64 3
		.amdhsa_dx10_clamp 1
		.amdhsa_ieee_mode 1
		.amdhsa_fp16_overflow 0
		.amdhsa_tg_split 0
		.amdhsa_exception_fp_ieee_invalid_op 0
		.amdhsa_exception_fp_denorm_src 0
		.amdhsa_exception_fp_ieee_div_zero 0
		.amdhsa_exception_fp_ieee_overflow 0
		.amdhsa_exception_fp_ieee_underflow 0
		.amdhsa_exception_fp_ieee_inexact 0
		.amdhsa_exception_int_div_zero 0
	.end_amdhsa_kernel
	.section	.text._ZN7rocprim17ROCPRIM_400000_NS6detail17trampoline_kernelINS0_14default_configENS1_25partition_config_selectorILNS1_17partition_subalgoE9EllbEEZZNS1_14partition_implILS5_9ELb0ES3_jPlS8_PNS0_10empty_typeENS0_5tupleIJS8_S9_EEENSB_IJS8_SA_EEENS0_18inequality_wrapperIZN2at6native12_GLOBAL__N_124unique_dim_cuda_templateIN3c104HalfEEESt5tupleIJNSF_6TensorESM_SM_EERKSM_lbbbEUlllE0_EEPmJS9_EEE10hipError_tPvRmT3_T4_T5_T6_T7_T9_mT8_P12ihipStream_tbDpT10_ENKUlT_T0_E_clISt17integral_constantIbLb1EES1C_EEDaS17_S18_EUlS17_E_NS1_11comp_targetILNS1_3genE3ELNS1_11target_archE908ELNS1_3gpuE7ELNS1_3repE0EEENS1_30default_config_static_selectorELNS0_4arch9wavefront6targetE1EEEvT1_,"axG",@progbits,_ZN7rocprim17ROCPRIM_400000_NS6detail17trampoline_kernelINS0_14default_configENS1_25partition_config_selectorILNS1_17partition_subalgoE9EllbEEZZNS1_14partition_implILS5_9ELb0ES3_jPlS8_PNS0_10empty_typeENS0_5tupleIJS8_S9_EEENSB_IJS8_SA_EEENS0_18inequality_wrapperIZN2at6native12_GLOBAL__N_124unique_dim_cuda_templateIN3c104HalfEEESt5tupleIJNSF_6TensorESM_SM_EERKSM_lbbbEUlllE0_EEPmJS9_EEE10hipError_tPvRmT3_T4_T5_T6_T7_T9_mT8_P12ihipStream_tbDpT10_ENKUlT_T0_E_clISt17integral_constantIbLb1EES1C_EEDaS17_S18_EUlS17_E_NS1_11comp_targetILNS1_3genE3ELNS1_11target_archE908ELNS1_3gpuE7ELNS1_3repE0EEENS1_30default_config_static_selectorELNS0_4arch9wavefront6targetE1EEEvT1_,comdat
.Lfunc_end1340:
	.size	_ZN7rocprim17ROCPRIM_400000_NS6detail17trampoline_kernelINS0_14default_configENS1_25partition_config_selectorILNS1_17partition_subalgoE9EllbEEZZNS1_14partition_implILS5_9ELb0ES3_jPlS8_PNS0_10empty_typeENS0_5tupleIJS8_S9_EEENSB_IJS8_SA_EEENS0_18inequality_wrapperIZN2at6native12_GLOBAL__N_124unique_dim_cuda_templateIN3c104HalfEEESt5tupleIJNSF_6TensorESM_SM_EERKSM_lbbbEUlllE0_EEPmJS9_EEE10hipError_tPvRmT3_T4_T5_T6_T7_T9_mT8_P12ihipStream_tbDpT10_ENKUlT_T0_E_clISt17integral_constantIbLb1EES1C_EEDaS17_S18_EUlS17_E_NS1_11comp_targetILNS1_3genE3ELNS1_11target_archE908ELNS1_3gpuE7ELNS1_3repE0EEENS1_30default_config_static_selectorELNS0_4arch9wavefront6targetE1EEEvT1_, .Lfunc_end1340-_ZN7rocprim17ROCPRIM_400000_NS6detail17trampoline_kernelINS0_14default_configENS1_25partition_config_selectorILNS1_17partition_subalgoE9EllbEEZZNS1_14partition_implILS5_9ELb0ES3_jPlS8_PNS0_10empty_typeENS0_5tupleIJS8_S9_EEENSB_IJS8_SA_EEENS0_18inequality_wrapperIZN2at6native12_GLOBAL__N_124unique_dim_cuda_templateIN3c104HalfEEESt5tupleIJNSF_6TensorESM_SM_EERKSM_lbbbEUlllE0_EEPmJS9_EEE10hipError_tPvRmT3_T4_T5_T6_T7_T9_mT8_P12ihipStream_tbDpT10_ENKUlT_T0_E_clISt17integral_constantIbLb1EES1C_EEDaS17_S18_EUlS17_E_NS1_11comp_targetILNS1_3genE3ELNS1_11target_archE908ELNS1_3gpuE7ELNS1_3repE0EEENS1_30default_config_static_selectorELNS0_4arch9wavefront6targetE1EEEvT1_
                                        ; -- End function
	.set _ZN7rocprim17ROCPRIM_400000_NS6detail17trampoline_kernelINS0_14default_configENS1_25partition_config_selectorILNS1_17partition_subalgoE9EllbEEZZNS1_14partition_implILS5_9ELb0ES3_jPlS8_PNS0_10empty_typeENS0_5tupleIJS8_S9_EEENSB_IJS8_SA_EEENS0_18inequality_wrapperIZN2at6native12_GLOBAL__N_124unique_dim_cuda_templateIN3c104HalfEEESt5tupleIJNSF_6TensorESM_SM_EERKSM_lbbbEUlllE0_EEPmJS9_EEE10hipError_tPvRmT3_T4_T5_T6_T7_T9_mT8_P12ihipStream_tbDpT10_ENKUlT_T0_E_clISt17integral_constantIbLb1EES1C_EEDaS17_S18_EUlS17_E_NS1_11comp_targetILNS1_3genE3ELNS1_11target_archE908ELNS1_3gpuE7ELNS1_3repE0EEENS1_30default_config_static_selectorELNS0_4arch9wavefront6targetE1EEEvT1_.num_vgpr, 0
	.set _ZN7rocprim17ROCPRIM_400000_NS6detail17trampoline_kernelINS0_14default_configENS1_25partition_config_selectorILNS1_17partition_subalgoE9EllbEEZZNS1_14partition_implILS5_9ELb0ES3_jPlS8_PNS0_10empty_typeENS0_5tupleIJS8_S9_EEENSB_IJS8_SA_EEENS0_18inequality_wrapperIZN2at6native12_GLOBAL__N_124unique_dim_cuda_templateIN3c104HalfEEESt5tupleIJNSF_6TensorESM_SM_EERKSM_lbbbEUlllE0_EEPmJS9_EEE10hipError_tPvRmT3_T4_T5_T6_T7_T9_mT8_P12ihipStream_tbDpT10_ENKUlT_T0_E_clISt17integral_constantIbLb1EES1C_EEDaS17_S18_EUlS17_E_NS1_11comp_targetILNS1_3genE3ELNS1_11target_archE908ELNS1_3gpuE7ELNS1_3repE0EEENS1_30default_config_static_selectorELNS0_4arch9wavefront6targetE1EEEvT1_.num_agpr, 0
	.set _ZN7rocprim17ROCPRIM_400000_NS6detail17trampoline_kernelINS0_14default_configENS1_25partition_config_selectorILNS1_17partition_subalgoE9EllbEEZZNS1_14partition_implILS5_9ELb0ES3_jPlS8_PNS0_10empty_typeENS0_5tupleIJS8_S9_EEENSB_IJS8_SA_EEENS0_18inequality_wrapperIZN2at6native12_GLOBAL__N_124unique_dim_cuda_templateIN3c104HalfEEESt5tupleIJNSF_6TensorESM_SM_EERKSM_lbbbEUlllE0_EEPmJS9_EEE10hipError_tPvRmT3_T4_T5_T6_T7_T9_mT8_P12ihipStream_tbDpT10_ENKUlT_T0_E_clISt17integral_constantIbLb1EES1C_EEDaS17_S18_EUlS17_E_NS1_11comp_targetILNS1_3genE3ELNS1_11target_archE908ELNS1_3gpuE7ELNS1_3repE0EEENS1_30default_config_static_selectorELNS0_4arch9wavefront6targetE1EEEvT1_.numbered_sgpr, 0
	.set _ZN7rocprim17ROCPRIM_400000_NS6detail17trampoline_kernelINS0_14default_configENS1_25partition_config_selectorILNS1_17partition_subalgoE9EllbEEZZNS1_14partition_implILS5_9ELb0ES3_jPlS8_PNS0_10empty_typeENS0_5tupleIJS8_S9_EEENSB_IJS8_SA_EEENS0_18inequality_wrapperIZN2at6native12_GLOBAL__N_124unique_dim_cuda_templateIN3c104HalfEEESt5tupleIJNSF_6TensorESM_SM_EERKSM_lbbbEUlllE0_EEPmJS9_EEE10hipError_tPvRmT3_T4_T5_T6_T7_T9_mT8_P12ihipStream_tbDpT10_ENKUlT_T0_E_clISt17integral_constantIbLb1EES1C_EEDaS17_S18_EUlS17_E_NS1_11comp_targetILNS1_3genE3ELNS1_11target_archE908ELNS1_3gpuE7ELNS1_3repE0EEENS1_30default_config_static_selectorELNS0_4arch9wavefront6targetE1EEEvT1_.num_named_barrier, 0
	.set _ZN7rocprim17ROCPRIM_400000_NS6detail17trampoline_kernelINS0_14default_configENS1_25partition_config_selectorILNS1_17partition_subalgoE9EllbEEZZNS1_14partition_implILS5_9ELb0ES3_jPlS8_PNS0_10empty_typeENS0_5tupleIJS8_S9_EEENSB_IJS8_SA_EEENS0_18inequality_wrapperIZN2at6native12_GLOBAL__N_124unique_dim_cuda_templateIN3c104HalfEEESt5tupleIJNSF_6TensorESM_SM_EERKSM_lbbbEUlllE0_EEPmJS9_EEE10hipError_tPvRmT3_T4_T5_T6_T7_T9_mT8_P12ihipStream_tbDpT10_ENKUlT_T0_E_clISt17integral_constantIbLb1EES1C_EEDaS17_S18_EUlS17_E_NS1_11comp_targetILNS1_3genE3ELNS1_11target_archE908ELNS1_3gpuE7ELNS1_3repE0EEENS1_30default_config_static_selectorELNS0_4arch9wavefront6targetE1EEEvT1_.private_seg_size, 0
	.set _ZN7rocprim17ROCPRIM_400000_NS6detail17trampoline_kernelINS0_14default_configENS1_25partition_config_selectorILNS1_17partition_subalgoE9EllbEEZZNS1_14partition_implILS5_9ELb0ES3_jPlS8_PNS0_10empty_typeENS0_5tupleIJS8_S9_EEENSB_IJS8_SA_EEENS0_18inequality_wrapperIZN2at6native12_GLOBAL__N_124unique_dim_cuda_templateIN3c104HalfEEESt5tupleIJNSF_6TensorESM_SM_EERKSM_lbbbEUlllE0_EEPmJS9_EEE10hipError_tPvRmT3_T4_T5_T6_T7_T9_mT8_P12ihipStream_tbDpT10_ENKUlT_T0_E_clISt17integral_constantIbLb1EES1C_EEDaS17_S18_EUlS17_E_NS1_11comp_targetILNS1_3genE3ELNS1_11target_archE908ELNS1_3gpuE7ELNS1_3repE0EEENS1_30default_config_static_selectorELNS0_4arch9wavefront6targetE1EEEvT1_.uses_vcc, 0
	.set _ZN7rocprim17ROCPRIM_400000_NS6detail17trampoline_kernelINS0_14default_configENS1_25partition_config_selectorILNS1_17partition_subalgoE9EllbEEZZNS1_14partition_implILS5_9ELb0ES3_jPlS8_PNS0_10empty_typeENS0_5tupleIJS8_S9_EEENSB_IJS8_SA_EEENS0_18inequality_wrapperIZN2at6native12_GLOBAL__N_124unique_dim_cuda_templateIN3c104HalfEEESt5tupleIJNSF_6TensorESM_SM_EERKSM_lbbbEUlllE0_EEPmJS9_EEE10hipError_tPvRmT3_T4_T5_T6_T7_T9_mT8_P12ihipStream_tbDpT10_ENKUlT_T0_E_clISt17integral_constantIbLb1EES1C_EEDaS17_S18_EUlS17_E_NS1_11comp_targetILNS1_3genE3ELNS1_11target_archE908ELNS1_3gpuE7ELNS1_3repE0EEENS1_30default_config_static_selectorELNS0_4arch9wavefront6targetE1EEEvT1_.uses_flat_scratch, 0
	.set _ZN7rocprim17ROCPRIM_400000_NS6detail17trampoline_kernelINS0_14default_configENS1_25partition_config_selectorILNS1_17partition_subalgoE9EllbEEZZNS1_14partition_implILS5_9ELb0ES3_jPlS8_PNS0_10empty_typeENS0_5tupleIJS8_S9_EEENSB_IJS8_SA_EEENS0_18inequality_wrapperIZN2at6native12_GLOBAL__N_124unique_dim_cuda_templateIN3c104HalfEEESt5tupleIJNSF_6TensorESM_SM_EERKSM_lbbbEUlllE0_EEPmJS9_EEE10hipError_tPvRmT3_T4_T5_T6_T7_T9_mT8_P12ihipStream_tbDpT10_ENKUlT_T0_E_clISt17integral_constantIbLb1EES1C_EEDaS17_S18_EUlS17_E_NS1_11comp_targetILNS1_3genE3ELNS1_11target_archE908ELNS1_3gpuE7ELNS1_3repE0EEENS1_30default_config_static_selectorELNS0_4arch9wavefront6targetE1EEEvT1_.has_dyn_sized_stack, 0
	.set _ZN7rocprim17ROCPRIM_400000_NS6detail17trampoline_kernelINS0_14default_configENS1_25partition_config_selectorILNS1_17partition_subalgoE9EllbEEZZNS1_14partition_implILS5_9ELb0ES3_jPlS8_PNS0_10empty_typeENS0_5tupleIJS8_S9_EEENSB_IJS8_SA_EEENS0_18inequality_wrapperIZN2at6native12_GLOBAL__N_124unique_dim_cuda_templateIN3c104HalfEEESt5tupleIJNSF_6TensorESM_SM_EERKSM_lbbbEUlllE0_EEPmJS9_EEE10hipError_tPvRmT3_T4_T5_T6_T7_T9_mT8_P12ihipStream_tbDpT10_ENKUlT_T0_E_clISt17integral_constantIbLb1EES1C_EEDaS17_S18_EUlS17_E_NS1_11comp_targetILNS1_3genE3ELNS1_11target_archE908ELNS1_3gpuE7ELNS1_3repE0EEENS1_30default_config_static_selectorELNS0_4arch9wavefront6targetE1EEEvT1_.has_recursion, 0
	.set _ZN7rocprim17ROCPRIM_400000_NS6detail17trampoline_kernelINS0_14default_configENS1_25partition_config_selectorILNS1_17partition_subalgoE9EllbEEZZNS1_14partition_implILS5_9ELb0ES3_jPlS8_PNS0_10empty_typeENS0_5tupleIJS8_S9_EEENSB_IJS8_SA_EEENS0_18inequality_wrapperIZN2at6native12_GLOBAL__N_124unique_dim_cuda_templateIN3c104HalfEEESt5tupleIJNSF_6TensorESM_SM_EERKSM_lbbbEUlllE0_EEPmJS9_EEE10hipError_tPvRmT3_T4_T5_T6_T7_T9_mT8_P12ihipStream_tbDpT10_ENKUlT_T0_E_clISt17integral_constantIbLb1EES1C_EEDaS17_S18_EUlS17_E_NS1_11comp_targetILNS1_3genE3ELNS1_11target_archE908ELNS1_3gpuE7ELNS1_3repE0EEENS1_30default_config_static_selectorELNS0_4arch9wavefront6targetE1EEEvT1_.has_indirect_call, 0
	.section	.AMDGPU.csdata,"",@progbits
; Kernel info:
; codeLenInByte = 0
; TotalNumSgprs: 6
; NumVgprs: 0
; NumAgprs: 0
; TotalNumVgprs: 0
; ScratchSize: 0
; MemoryBound: 0
; FloatMode: 240
; IeeeMode: 1
; LDSByteSize: 0 bytes/workgroup (compile time only)
; SGPRBlocks: 0
; VGPRBlocks: 0
; NumSGPRsForWavesPerEU: 6
; NumVGPRsForWavesPerEU: 1
; AccumOffset: 4
; Occupancy: 8
; WaveLimiterHint : 0
; COMPUTE_PGM_RSRC2:SCRATCH_EN: 0
; COMPUTE_PGM_RSRC2:USER_SGPR: 2
; COMPUTE_PGM_RSRC2:TRAP_HANDLER: 0
; COMPUTE_PGM_RSRC2:TGID_X_EN: 1
; COMPUTE_PGM_RSRC2:TGID_Y_EN: 0
; COMPUTE_PGM_RSRC2:TGID_Z_EN: 0
; COMPUTE_PGM_RSRC2:TIDIG_COMP_CNT: 0
; COMPUTE_PGM_RSRC3_GFX90A:ACCUM_OFFSET: 0
; COMPUTE_PGM_RSRC3_GFX90A:TG_SPLIT: 0
	.section	.text._ZN7rocprim17ROCPRIM_400000_NS6detail17trampoline_kernelINS0_14default_configENS1_25partition_config_selectorILNS1_17partition_subalgoE9EllbEEZZNS1_14partition_implILS5_9ELb0ES3_jPlS8_PNS0_10empty_typeENS0_5tupleIJS8_S9_EEENSB_IJS8_SA_EEENS0_18inequality_wrapperIZN2at6native12_GLOBAL__N_124unique_dim_cuda_templateIN3c104HalfEEESt5tupleIJNSF_6TensorESM_SM_EERKSM_lbbbEUlllE0_EEPmJS9_EEE10hipError_tPvRmT3_T4_T5_T6_T7_T9_mT8_P12ihipStream_tbDpT10_ENKUlT_T0_E_clISt17integral_constantIbLb1EES1C_EEDaS17_S18_EUlS17_E_NS1_11comp_targetILNS1_3genE2ELNS1_11target_archE906ELNS1_3gpuE6ELNS1_3repE0EEENS1_30default_config_static_selectorELNS0_4arch9wavefront6targetE1EEEvT1_,"axG",@progbits,_ZN7rocprim17ROCPRIM_400000_NS6detail17trampoline_kernelINS0_14default_configENS1_25partition_config_selectorILNS1_17partition_subalgoE9EllbEEZZNS1_14partition_implILS5_9ELb0ES3_jPlS8_PNS0_10empty_typeENS0_5tupleIJS8_S9_EEENSB_IJS8_SA_EEENS0_18inequality_wrapperIZN2at6native12_GLOBAL__N_124unique_dim_cuda_templateIN3c104HalfEEESt5tupleIJNSF_6TensorESM_SM_EERKSM_lbbbEUlllE0_EEPmJS9_EEE10hipError_tPvRmT3_T4_T5_T6_T7_T9_mT8_P12ihipStream_tbDpT10_ENKUlT_T0_E_clISt17integral_constantIbLb1EES1C_EEDaS17_S18_EUlS17_E_NS1_11comp_targetILNS1_3genE2ELNS1_11target_archE906ELNS1_3gpuE6ELNS1_3repE0EEENS1_30default_config_static_selectorELNS0_4arch9wavefront6targetE1EEEvT1_,comdat
	.globl	_ZN7rocprim17ROCPRIM_400000_NS6detail17trampoline_kernelINS0_14default_configENS1_25partition_config_selectorILNS1_17partition_subalgoE9EllbEEZZNS1_14partition_implILS5_9ELb0ES3_jPlS8_PNS0_10empty_typeENS0_5tupleIJS8_S9_EEENSB_IJS8_SA_EEENS0_18inequality_wrapperIZN2at6native12_GLOBAL__N_124unique_dim_cuda_templateIN3c104HalfEEESt5tupleIJNSF_6TensorESM_SM_EERKSM_lbbbEUlllE0_EEPmJS9_EEE10hipError_tPvRmT3_T4_T5_T6_T7_T9_mT8_P12ihipStream_tbDpT10_ENKUlT_T0_E_clISt17integral_constantIbLb1EES1C_EEDaS17_S18_EUlS17_E_NS1_11comp_targetILNS1_3genE2ELNS1_11target_archE906ELNS1_3gpuE6ELNS1_3repE0EEENS1_30default_config_static_selectorELNS0_4arch9wavefront6targetE1EEEvT1_ ; -- Begin function _ZN7rocprim17ROCPRIM_400000_NS6detail17trampoline_kernelINS0_14default_configENS1_25partition_config_selectorILNS1_17partition_subalgoE9EllbEEZZNS1_14partition_implILS5_9ELb0ES3_jPlS8_PNS0_10empty_typeENS0_5tupleIJS8_S9_EEENSB_IJS8_SA_EEENS0_18inequality_wrapperIZN2at6native12_GLOBAL__N_124unique_dim_cuda_templateIN3c104HalfEEESt5tupleIJNSF_6TensorESM_SM_EERKSM_lbbbEUlllE0_EEPmJS9_EEE10hipError_tPvRmT3_T4_T5_T6_T7_T9_mT8_P12ihipStream_tbDpT10_ENKUlT_T0_E_clISt17integral_constantIbLb1EES1C_EEDaS17_S18_EUlS17_E_NS1_11comp_targetILNS1_3genE2ELNS1_11target_archE906ELNS1_3gpuE6ELNS1_3repE0EEENS1_30default_config_static_selectorELNS0_4arch9wavefront6targetE1EEEvT1_
	.p2align	8
	.type	_ZN7rocprim17ROCPRIM_400000_NS6detail17trampoline_kernelINS0_14default_configENS1_25partition_config_selectorILNS1_17partition_subalgoE9EllbEEZZNS1_14partition_implILS5_9ELb0ES3_jPlS8_PNS0_10empty_typeENS0_5tupleIJS8_S9_EEENSB_IJS8_SA_EEENS0_18inequality_wrapperIZN2at6native12_GLOBAL__N_124unique_dim_cuda_templateIN3c104HalfEEESt5tupleIJNSF_6TensorESM_SM_EERKSM_lbbbEUlllE0_EEPmJS9_EEE10hipError_tPvRmT3_T4_T5_T6_T7_T9_mT8_P12ihipStream_tbDpT10_ENKUlT_T0_E_clISt17integral_constantIbLb1EES1C_EEDaS17_S18_EUlS17_E_NS1_11comp_targetILNS1_3genE2ELNS1_11target_archE906ELNS1_3gpuE6ELNS1_3repE0EEENS1_30default_config_static_selectorELNS0_4arch9wavefront6targetE1EEEvT1_,@function
_ZN7rocprim17ROCPRIM_400000_NS6detail17trampoline_kernelINS0_14default_configENS1_25partition_config_selectorILNS1_17partition_subalgoE9EllbEEZZNS1_14partition_implILS5_9ELb0ES3_jPlS8_PNS0_10empty_typeENS0_5tupleIJS8_S9_EEENSB_IJS8_SA_EEENS0_18inequality_wrapperIZN2at6native12_GLOBAL__N_124unique_dim_cuda_templateIN3c104HalfEEESt5tupleIJNSF_6TensorESM_SM_EERKSM_lbbbEUlllE0_EEPmJS9_EEE10hipError_tPvRmT3_T4_T5_T6_T7_T9_mT8_P12ihipStream_tbDpT10_ENKUlT_T0_E_clISt17integral_constantIbLb1EES1C_EEDaS17_S18_EUlS17_E_NS1_11comp_targetILNS1_3genE2ELNS1_11target_archE906ELNS1_3gpuE6ELNS1_3repE0EEENS1_30default_config_static_selectorELNS0_4arch9wavefront6targetE1EEEvT1_: ; @_ZN7rocprim17ROCPRIM_400000_NS6detail17trampoline_kernelINS0_14default_configENS1_25partition_config_selectorILNS1_17partition_subalgoE9EllbEEZZNS1_14partition_implILS5_9ELb0ES3_jPlS8_PNS0_10empty_typeENS0_5tupleIJS8_S9_EEENSB_IJS8_SA_EEENS0_18inequality_wrapperIZN2at6native12_GLOBAL__N_124unique_dim_cuda_templateIN3c104HalfEEESt5tupleIJNSF_6TensorESM_SM_EERKSM_lbbbEUlllE0_EEPmJS9_EEE10hipError_tPvRmT3_T4_T5_T6_T7_T9_mT8_P12ihipStream_tbDpT10_ENKUlT_T0_E_clISt17integral_constantIbLb1EES1C_EEDaS17_S18_EUlS17_E_NS1_11comp_targetILNS1_3genE2ELNS1_11target_archE906ELNS1_3gpuE6ELNS1_3repE0EEENS1_30default_config_static_selectorELNS0_4arch9wavefront6targetE1EEEvT1_
; %bb.0:
	.section	.rodata,"a",@progbits
	.p2align	6, 0x0
	.amdhsa_kernel _ZN7rocprim17ROCPRIM_400000_NS6detail17trampoline_kernelINS0_14default_configENS1_25partition_config_selectorILNS1_17partition_subalgoE9EllbEEZZNS1_14partition_implILS5_9ELb0ES3_jPlS8_PNS0_10empty_typeENS0_5tupleIJS8_S9_EEENSB_IJS8_SA_EEENS0_18inequality_wrapperIZN2at6native12_GLOBAL__N_124unique_dim_cuda_templateIN3c104HalfEEESt5tupleIJNSF_6TensorESM_SM_EERKSM_lbbbEUlllE0_EEPmJS9_EEE10hipError_tPvRmT3_T4_T5_T6_T7_T9_mT8_P12ihipStream_tbDpT10_ENKUlT_T0_E_clISt17integral_constantIbLb1EES1C_EEDaS17_S18_EUlS17_E_NS1_11comp_targetILNS1_3genE2ELNS1_11target_archE906ELNS1_3gpuE6ELNS1_3repE0EEENS1_30default_config_static_selectorELNS0_4arch9wavefront6targetE1EEEvT1_
		.amdhsa_group_segment_fixed_size 0
		.amdhsa_private_segment_fixed_size 0
		.amdhsa_kernarg_size 136
		.amdhsa_user_sgpr_count 2
		.amdhsa_user_sgpr_dispatch_ptr 0
		.amdhsa_user_sgpr_queue_ptr 0
		.amdhsa_user_sgpr_kernarg_segment_ptr 1
		.amdhsa_user_sgpr_dispatch_id 0
		.amdhsa_user_sgpr_kernarg_preload_length 0
		.amdhsa_user_sgpr_kernarg_preload_offset 0
		.amdhsa_user_sgpr_private_segment_size 0
		.amdhsa_uses_dynamic_stack 0
		.amdhsa_enable_private_segment 0
		.amdhsa_system_sgpr_workgroup_id_x 1
		.amdhsa_system_sgpr_workgroup_id_y 0
		.amdhsa_system_sgpr_workgroup_id_z 0
		.amdhsa_system_sgpr_workgroup_info 0
		.amdhsa_system_vgpr_workitem_id 0
		.amdhsa_next_free_vgpr 1
		.amdhsa_next_free_sgpr 0
		.amdhsa_accum_offset 4
		.amdhsa_reserve_vcc 0
		.amdhsa_float_round_mode_32 0
		.amdhsa_float_round_mode_16_64 0
		.amdhsa_float_denorm_mode_32 3
		.amdhsa_float_denorm_mode_16_64 3
		.amdhsa_dx10_clamp 1
		.amdhsa_ieee_mode 1
		.amdhsa_fp16_overflow 0
		.amdhsa_tg_split 0
		.amdhsa_exception_fp_ieee_invalid_op 0
		.amdhsa_exception_fp_denorm_src 0
		.amdhsa_exception_fp_ieee_div_zero 0
		.amdhsa_exception_fp_ieee_overflow 0
		.amdhsa_exception_fp_ieee_underflow 0
		.amdhsa_exception_fp_ieee_inexact 0
		.amdhsa_exception_int_div_zero 0
	.end_amdhsa_kernel
	.section	.text._ZN7rocprim17ROCPRIM_400000_NS6detail17trampoline_kernelINS0_14default_configENS1_25partition_config_selectorILNS1_17partition_subalgoE9EllbEEZZNS1_14partition_implILS5_9ELb0ES3_jPlS8_PNS0_10empty_typeENS0_5tupleIJS8_S9_EEENSB_IJS8_SA_EEENS0_18inequality_wrapperIZN2at6native12_GLOBAL__N_124unique_dim_cuda_templateIN3c104HalfEEESt5tupleIJNSF_6TensorESM_SM_EERKSM_lbbbEUlllE0_EEPmJS9_EEE10hipError_tPvRmT3_T4_T5_T6_T7_T9_mT8_P12ihipStream_tbDpT10_ENKUlT_T0_E_clISt17integral_constantIbLb1EES1C_EEDaS17_S18_EUlS17_E_NS1_11comp_targetILNS1_3genE2ELNS1_11target_archE906ELNS1_3gpuE6ELNS1_3repE0EEENS1_30default_config_static_selectorELNS0_4arch9wavefront6targetE1EEEvT1_,"axG",@progbits,_ZN7rocprim17ROCPRIM_400000_NS6detail17trampoline_kernelINS0_14default_configENS1_25partition_config_selectorILNS1_17partition_subalgoE9EllbEEZZNS1_14partition_implILS5_9ELb0ES3_jPlS8_PNS0_10empty_typeENS0_5tupleIJS8_S9_EEENSB_IJS8_SA_EEENS0_18inequality_wrapperIZN2at6native12_GLOBAL__N_124unique_dim_cuda_templateIN3c104HalfEEESt5tupleIJNSF_6TensorESM_SM_EERKSM_lbbbEUlllE0_EEPmJS9_EEE10hipError_tPvRmT3_T4_T5_T6_T7_T9_mT8_P12ihipStream_tbDpT10_ENKUlT_T0_E_clISt17integral_constantIbLb1EES1C_EEDaS17_S18_EUlS17_E_NS1_11comp_targetILNS1_3genE2ELNS1_11target_archE906ELNS1_3gpuE6ELNS1_3repE0EEENS1_30default_config_static_selectorELNS0_4arch9wavefront6targetE1EEEvT1_,comdat
.Lfunc_end1341:
	.size	_ZN7rocprim17ROCPRIM_400000_NS6detail17trampoline_kernelINS0_14default_configENS1_25partition_config_selectorILNS1_17partition_subalgoE9EllbEEZZNS1_14partition_implILS5_9ELb0ES3_jPlS8_PNS0_10empty_typeENS0_5tupleIJS8_S9_EEENSB_IJS8_SA_EEENS0_18inequality_wrapperIZN2at6native12_GLOBAL__N_124unique_dim_cuda_templateIN3c104HalfEEESt5tupleIJNSF_6TensorESM_SM_EERKSM_lbbbEUlllE0_EEPmJS9_EEE10hipError_tPvRmT3_T4_T5_T6_T7_T9_mT8_P12ihipStream_tbDpT10_ENKUlT_T0_E_clISt17integral_constantIbLb1EES1C_EEDaS17_S18_EUlS17_E_NS1_11comp_targetILNS1_3genE2ELNS1_11target_archE906ELNS1_3gpuE6ELNS1_3repE0EEENS1_30default_config_static_selectorELNS0_4arch9wavefront6targetE1EEEvT1_, .Lfunc_end1341-_ZN7rocprim17ROCPRIM_400000_NS6detail17trampoline_kernelINS0_14default_configENS1_25partition_config_selectorILNS1_17partition_subalgoE9EllbEEZZNS1_14partition_implILS5_9ELb0ES3_jPlS8_PNS0_10empty_typeENS0_5tupleIJS8_S9_EEENSB_IJS8_SA_EEENS0_18inequality_wrapperIZN2at6native12_GLOBAL__N_124unique_dim_cuda_templateIN3c104HalfEEESt5tupleIJNSF_6TensorESM_SM_EERKSM_lbbbEUlllE0_EEPmJS9_EEE10hipError_tPvRmT3_T4_T5_T6_T7_T9_mT8_P12ihipStream_tbDpT10_ENKUlT_T0_E_clISt17integral_constantIbLb1EES1C_EEDaS17_S18_EUlS17_E_NS1_11comp_targetILNS1_3genE2ELNS1_11target_archE906ELNS1_3gpuE6ELNS1_3repE0EEENS1_30default_config_static_selectorELNS0_4arch9wavefront6targetE1EEEvT1_
                                        ; -- End function
	.set _ZN7rocprim17ROCPRIM_400000_NS6detail17trampoline_kernelINS0_14default_configENS1_25partition_config_selectorILNS1_17partition_subalgoE9EllbEEZZNS1_14partition_implILS5_9ELb0ES3_jPlS8_PNS0_10empty_typeENS0_5tupleIJS8_S9_EEENSB_IJS8_SA_EEENS0_18inequality_wrapperIZN2at6native12_GLOBAL__N_124unique_dim_cuda_templateIN3c104HalfEEESt5tupleIJNSF_6TensorESM_SM_EERKSM_lbbbEUlllE0_EEPmJS9_EEE10hipError_tPvRmT3_T4_T5_T6_T7_T9_mT8_P12ihipStream_tbDpT10_ENKUlT_T0_E_clISt17integral_constantIbLb1EES1C_EEDaS17_S18_EUlS17_E_NS1_11comp_targetILNS1_3genE2ELNS1_11target_archE906ELNS1_3gpuE6ELNS1_3repE0EEENS1_30default_config_static_selectorELNS0_4arch9wavefront6targetE1EEEvT1_.num_vgpr, 0
	.set _ZN7rocprim17ROCPRIM_400000_NS6detail17trampoline_kernelINS0_14default_configENS1_25partition_config_selectorILNS1_17partition_subalgoE9EllbEEZZNS1_14partition_implILS5_9ELb0ES3_jPlS8_PNS0_10empty_typeENS0_5tupleIJS8_S9_EEENSB_IJS8_SA_EEENS0_18inequality_wrapperIZN2at6native12_GLOBAL__N_124unique_dim_cuda_templateIN3c104HalfEEESt5tupleIJNSF_6TensorESM_SM_EERKSM_lbbbEUlllE0_EEPmJS9_EEE10hipError_tPvRmT3_T4_T5_T6_T7_T9_mT8_P12ihipStream_tbDpT10_ENKUlT_T0_E_clISt17integral_constantIbLb1EES1C_EEDaS17_S18_EUlS17_E_NS1_11comp_targetILNS1_3genE2ELNS1_11target_archE906ELNS1_3gpuE6ELNS1_3repE0EEENS1_30default_config_static_selectorELNS0_4arch9wavefront6targetE1EEEvT1_.num_agpr, 0
	.set _ZN7rocprim17ROCPRIM_400000_NS6detail17trampoline_kernelINS0_14default_configENS1_25partition_config_selectorILNS1_17partition_subalgoE9EllbEEZZNS1_14partition_implILS5_9ELb0ES3_jPlS8_PNS0_10empty_typeENS0_5tupleIJS8_S9_EEENSB_IJS8_SA_EEENS0_18inequality_wrapperIZN2at6native12_GLOBAL__N_124unique_dim_cuda_templateIN3c104HalfEEESt5tupleIJNSF_6TensorESM_SM_EERKSM_lbbbEUlllE0_EEPmJS9_EEE10hipError_tPvRmT3_T4_T5_T6_T7_T9_mT8_P12ihipStream_tbDpT10_ENKUlT_T0_E_clISt17integral_constantIbLb1EES1C_EEDaS17_S18_EUlS17_E_NS1_11comp_targetILNS1_3genE2ELNS1_11target_archE906ELNS1_3gpuE6ELNS1_3repE0EEENS1_30default_config_static_selectorELNS0_4arch9wavefront6targetE1EEEvT1_.numbered_sgpr, 0
	.set _ZN7rocprim17ROCPRIM_400000_NS6detail17trampoline_kernelINS0_14default_configENS1_25partition_config_selectorILNS1_17partition_subalgoE9EllbEEZZNS1_14partition_implILS5_9ELb0ES3_jPlS8_PNS0_10empty_typeENS0_5tupleIJS8_S9_EEENSB_IJS8_SA_EEENS0_18inequality_wrapperIZN2at6native12_GLOBAL__N_124unique_dim_cuda_templateIN3c104HalfEEESt5tupleIJNSF_6TensorESM_SM_EERKSM_lbbbEUlllE0_EEPmJS9_EEE10hipError_tPvRmT3_T4_T5_T6_T7_T9_mT8_P12ihipStream_tbDpT10_ENKUlT_T0_E_clISt17integral_constantIbLb1EES1C_EEDaS17_S18_EUlS17_E_NS1_11comp_targetILNS1_3genE2ELNS1_11target_archE906ELNS1_3gpuE6ELNS1_3repE0EEENS1_30default_config_static_selectorELNS0_4arch9wavefront6targetE1EEEvT1_.num_named_barrier, 0
	.set _ZN7rocprim17ROCPRIM_400000_NS6detail17trampoline_kernelINS0_14default_configENS1_25partition_config_selectorILNS1_17partition_subalgoE9EllbEEZZNS1_14partition_implILS5_9ELb0ES3_jPlS8_PNS0_10empty_typeENS0_5tupleIJS8_S9_EEENSB_IJS8_SA_EEENS0_18inequality_wrapperIZN2at6native12_GLOBAL__N_124unique_dim_cuda_templateIN3c104HalfEEESt5tupleIJNSF_6TensorESM_SM_EERKSM_lbbbEUlllE0_EEPmJS9_EEE10hipError_tPvRmT3_T4_T5_T6_T7_T9_mT8_P12ihipStream_tbDpT10_ENKUlT_T0_E_clISt17integral_constantIbLb1EES1C_EEDaS17_S18_EUlS17_E_NS1_11comp_targetILNS1_3genE2ELNS1_11target_archE906ELNS1_3gpuE6ELNS1_3repE0EEENS1_30default_config_static_selectorELNS0_4arch9wavefront6targetE1EEEvT1_.private_seg_size, 0
	.set _ZN7rocprim17ROCPRIM_400000_NS6detail17trampoline_kernelINS0_14default_configENS1_25partition_config_selectorILNS1_17partition_subalgoE9EllbEEZZNS1_14partition_implILS5_9ELb0ES3_jPlS8_PNS0_10empty_typeENS0_5tupleIJS8_S9_EEENSB_IJS8_SA_EEENS0_18inequality_wrapperIZN2at6native12_GLOBAL__N_124unique_dim_cuda_templateIN3c104HalfEEESt5tupleIJNSF_6TensorESM_SM_EERKSM_lbbbEUlllE0_EEPmJS9_EEE10hipError_tPvRmT3_T4_T5_T6_T7_T9_mT8_P12ihipStream_tbDpT10_ENKUlT_T0_E_clISt17integral_constantIbLb1EES1C_EEDaS17_S18_EUlS17_E_NS1_11comp_targetILNS1_3genE2ELNS1_11target_archE906ELNS1_3gpuE6ELNS1_3repE0EEENS1_30default_config_static_selectorELNS0_4arch9wavefront6targetE1EEEvT1_.uses_vcc, 0
	.set _ZN7rocprim17ROCPRIM_400000_NS6detail17trampoline_kernelINS0_14default_configENS1_25partition_config_selectorILNS1_17partition_subalgoE9EllbEEZZNS1_14partition_implILS5_9ELb0ES3_jPlS8_PNS0_10empty_typeENS0_5tupleIJS8_S9_EEENSB_IJS8_SA_EEENS0_18inequality_wrapperIZN2at6native12_GLOBAL__N_124unique_dim_cuda_templateIN3c104HalfEEESt5tupleIJNSF_6TensorESM_SM_EERKSM_lbbbEUlllE0_EEPmJS9_EEE10hipError_tPvRmT3_T4_T5_T6_T7_T9_mT8_P12ihipStream_tbDpT10_ENKUlT_T0_E_clISt17integral_constantIbLb1EES1C_EEDaS17_S18_EUlS17_E_NS1_11comp_targetILNS1_3genE2ELNS1_11target_archE906ELNS1_3gpuE6ELNS1_3repE0EEENS1_30default_config_static_selectorELNS0_4arch9wavefront6targetE1EEEvT1_.uses_flat_scratch, 0
	.set _ZN7rocprim17ROCPRIM_400000_NS6detail17trampoline_kernelINS0_14default_configENS1_25partition_config_selectorILNS1_17partition_subalgoE9EllbEEZZNS1_14partition_implILS5_9ELb0ES3_jPlS8_PNS0_10empty_typeENS0_5tupleIJS8_S9_EEENSB_IJS8_SA_EEENS0_18inequality_wrapperIZN2at6native12_GLOBAL__N_124unique_dim_cuda_templateIN3c104HalfEEESt5tupleIJNSF_6TensorESM_SM_EERKSM_lbbbEUlllE0_EEPmJS9_EEE10hipError_tPvRmT3_T4_T5_T6_T7_T9_mT8_P12ihipStream_tbDpT10_ENKUlT_T0_E_clISt17integral_constantIbLb1EES1C_EEDaS17_S18_EUlS17_E_NS1_11comp_targetILNS1_3genE2ELNS1_11target_archE906ELNS1_3gpuE6ELNS1_3repE0EEENS1_30default_config_static_selectorELNS0_4arch9wavefront6targetE1EEEvT1_.has_dyn_sized_stack, 0
	.set _ZN7rocprim17ROCPRIM_400000_NS6detail17trampoline_kernelINS0_14default_configENS1_25partition_config_selectorILNS1_17partition_subalgoE9EllbEEZZNS1_14partition_implILS5_9ELb0ES3_jPlS8_PNS0_10empty_typeENS0_5tupleIJS8_S9_EEENSB_IJS8_SA_EEENS0_18inequality_wrapperIZN2at6native12_GLOBAL__N_124unique_dim_cuda_templateIN3c104HalfEEESt5tupleIJNSF_6TensorESM_SM_EERKSM_lbbbEUlllE0_EEPmJS9_EEE10hipError_tPvRmT3_T4_T5_T6_T7_T9_mT8_P12ihipStream_tbDpT10_ENKUlT_T0_E_clISt17integral_constantIbLb1EES1C_EEDaS17_S18_EUlS17_E_NS1_11comp_targetILNS1_3genE2ELNS1_11target_archE906ELNS1_3gpuE6ELNS1_3repE0EEENS1_30default_config_static_selectorELNS0_4arch9wavefront6targetE1EEEvT1_.has_recursion, 0
	.set _ZN7rocprim17ROCPRIM_400000_NS6detail17trampoline_kernelINS0_14default_configENS1_25partition_config_selectorILNS1_17partition_subalgoE9EllbEEZZNS1_14partition_implILS5_9ELb0ES3_jPlS8_PNS0_10empty_typeENS0_5tupleIJS8_S9_EEENSB_IJS8_SA_EEENS0_18inequality_wrapperIZN2at6native12_GLOBAL__N_124unique_dim_cuda_templateIN3c104HalfEEESt5tupleIJNSF_6TensorESM_SM_EERKSM_lbbbEUlllE0_EEPmJS9_EEE10hipError_tPvRmT3_T4_T5_T6_T7_T9_mT8_P12ihipStream_tbDpT10_ENKUlT_T0_E_clISt17integral_constantIbLb1EES1C_EEDaS17_S18_EUlS17_E_NS1_11comp_targetILNS1_3genE2ELNS1_11target_archE906ELNS1_3gpuE6ELNS1_3repE0EEENS1_30default_config_static_selectorELNS0_4arch9wavefront6targetE1EEEvT1_.has_indirect_call, 0
	.section	.AMDGPU.csdata,"",@progbits
; Kernel info:
; codeLenInByte = 0
; TotalNumSgprs: 6
; NumVgprs: 0
; NumAgprs: 0
; TotalNumVgprs: 0
; ScratchSize: 0
; MemoryBound: 0
; FloatMode: 240
; IeeeMode: 1
; LDSByteSize: 0 bytes/workgroup (compile time only)
; SGPRBlocks: 0
; VGPRBlocks: 0
; NumSGPRsForWavesPerEU: 6
; NumVGPRsForWavesPerEU: 1
; AccumOffset: 4
; Occupancy: 8
; WaveLimiterHint : 0
; COMPUTE_PGM_RSRC2:SCRATCH_EN: 0
; COMPUTE_PGM_RSRC2:USER_SGPR: 2
; COMPUTE_PGM_RSRC2:TRAP_HANDLER: 0
; COMPUTE_PGM_RSRC2:TGID_X_EN: 1
; COMPUTE_PGM_RSRC2:TGID_Y_EN: 0
; COMPUTE_PGM_RSRC2:TGID_Z_EN: 0
; COMPUTE_PGM_RSRC2:TIDIG_COMP_CNT: 0
; COMPUTE_PGM_RSRC3_GFX90A:ACCUM_OFFSET: 0
; COMPUTE_PGM_RSRC3_GFX90A:TG_SPLIT: 0
	.section	.text._ZN7rocprim17ROCPRIM_400000_NS6detail17trampoline_kernelINS0_14default_configENS1_25partition_config_selectorILNS1_17partition_subalgoE9EllbEEZZNS1_14partition_implILS5_9ELb0ES3_jPlS8_PNS0_10empty_typeENS0_5tupleIJS8_S9_EEENSB_IJS8_SA_EEENS0_18inequality_wrapperIZN2at6native12_GLOBAL__N_124unique_dim_cuda_templateIN3c104HalfEEESt5tupleIJNSF_6TensorESM_SM_EERKSM_lbbbEUlllE0_EEPmJS9_EEE10hipError_tPvRmT3_T4_T5_T6_T7_T9_mT8_P12ihipStream_tbDpT10_ENKUlT_T0_E_clISt17integral_constantIbLb1EES1C_EEDaS17_S18_EUlS17_E_NS1_11comp_targetILNS1_3genE10ELNS1_11target_archE1200ELNS1_3gpuE4ELNS1_3repE0EEENS1_30default_config_static_selectorELNS0_4arch9wavefront6targetE1EEEvT1_,"axG",@progbits,_ZN7rocprim17ROCPRIM_400000_NS6detail17trampoline_kernelINS0_14default_configENS1_25partition_config_selectorILNS1_17partition_subalgoE9EllbEEZZNS1_14partition_implILS5_9ELb0ES3_jPlS8_PNS0_10empty_typeENS0_5tupleIJS8_S9_EEENSB_IJS8_SA_EEENS0_18inequality_wrapperIZN2at6native12_GLOBAL__N_124unique_dim_cuda_templateIN3c104HalfEEESt5tupleIJNSF_6TensorESM_SM_EERKSM_lbbbEUlllE0_EEPmJS9_EEE10hipError_tPvRmT3_T4_T5_T6_T7_T9_mT8_P12ihipStream_tbDpT10_ENKUlT_T0_E_clISt17integral_constantIbLb1EES1C_EEDaS17_S18_EUlS17_E_NS1_11comp_targetILNS1_3genE10ELNS1_11target_archE1200ELNS1_3gpuE4ELNS1_3repE0EEENS1_30default_config_static_selectorELNS0_4arch9wavefront6targetE1EEEvT1_,comdat
	.globl	_ZN7rocprim17ROCPRIM_400000_NS6detail17trampoline_kernelINS0_14default_configENS1_25partition_config_selectorILNS1_17partition_subalgoE9EllbEEZZNS1_14partition_implILS5_9ELb0ES3_jPlS8_PNS0_10empty_typeENS0_5tupleIJS8_S9_EEENSB_IJS8_SA_EEENS0_18inequality_wrapperIZN2at6native12_GLOBAL__N_124unique_dim_cuda_templateIN3c104HalfEEESt5tupleIJNSF_6TensorESM_SM_EERKSM_lbbbEUlllE0_EEPmJS9_EEE10hipError_tPvRmT3_T4_T5_T6_T7_T9_mT8_P12ihipStream_tbDpT10_ENKUlT_T0_E_clISt17integral_constantIbLb1EES1C_EEDaS17_S18_EUlS17_E_NS1_11comp_targetILNS1_3genE10ELNS1_11target_archE1200ELNS1_3gpuE4ELNS1_3repE0EEENS1_30default_config_static_selectorELNS0_4arch9wavefront6targetE1EEEvT1_ ; -- Begin function _ZN7rocprim17ROCPRIM_400000_NS6detail17trampoline_kernelINS0_14default_configENS1_25partition_config_selectorILNS1_17partition_subalgoE9EllbEEZZNS1_14partition_implILS5_9ELb0ES3_jPlS8_PNS0_10empty_typeENS0_5tupleIJS8_S9_EEENSB_IJS8_SA_EEENS0_18inequality_wrapperIZN2at6native12_GLOBAL__N_124unique_dim_cuda_templateIN3c104HalfEEESt5tupleIJNSF_6TensorESM_SM_EERKSM_lbbbEUlllE0_EEPmJS9_EEE10hipError_tPvRmT3_T4_T5_T6_T7_T9_mT8_P12ihipStream_tbDpT10_ENKUlT_T0_E_clISt17integral_constantIbLb1EES1C_EEDaS17_S18_EUlS17_E_NS1_11comp_targetILNS1_3genE10ELNS1_11target_archE1200ELNS1_3gpuE4ELNS1_3repE0EEENS1_30default_config_static_selectorELNS0_4arch9wavefront6targetE1EEEvT1_
	.p2align	8
	.type	_ZN7rocprim17ROCPRIM_400000_NS6detail17trampoline_kernelINS0_14default_configENS1_25partition_config_selectorILNS1_17partition_subalgoE9EllbEEZZNS1_14partition_implILS5_9ELb0ES3_jPlS8_PNS0_10empty_typeENS0_5tupleIJS8_S9_EEENSB_IJS8_SA_EEENS0_18inequality_wrapperIZN2at6native12_GLOBAL__N_124unique_dim_cuda_templateIN3c104HalfEEESt5tupleIJNSF_6TensorESM_SM_EERKSM_lbbbEUlllE0_EEPmJS9_EEE10hipError_tPvRmT3_T4_T5_T6_T7_T9_mT8_P12ihipStream_tbDpT10_ENKUlT_T0_E_clISt17integral_constantIbLb1EES1C_EEDaS17_S18_EUlS17_E_NS1_11comp_targetILNS1_3genE10ELNS1_11target_archE1200ELNS1_3gpuE4ELNS1_3repE0EEENS1_30default_config_static_selectorELNS0_4arch9wavefront6targetE1EEEvT1_,@function
_ZN7rocprim17ROCPRIM_400000_NS6detail17trampoline_kernelINS0_14default_configENS1_25partition_config_selectorILNS1_17partition_subalgoE9EllbEEZZNS1_14partition_implILS5_9ELb0ES3_jPlS8_PNS0_10empty_typeENS0_5tupleIJS8_S9_EEENSB_IJS8_SA_EEENS0_18inequality_wrapperIZN2at6native12_GLOBAL__N_124unique_dim_cuda_templateIN3c104HalfEEESt5tupleIJNSF_6TensorESM_SM_EERKSM_lbbbEUlllE0_EEPmJS9_EEE10hipError_tPvRmT3_T4_T5_T6_T7_T9_mT8_P12ihipStream_tbDpT10_ENKUlT_T0_E_clISt17integral_constantIbLb1EES1C_EEDaS17_S18_EUlS17_E_NS1_11comp_targetILNS1_3genE10ELNS1_11target_archE1200ELNS1_3gpuE4ELNS1_3repE0EEENS1_30default_config_static_selectorELNS0_4arch9wavefront6targetE1EEEvT1_: ; @_ZN7rocprim17ROCPRIM_400000_NS6detail17trampoline_kernelINS0_14default_configENS1_25partition_config_selectorILNS1_17partition_subalgoE9EllbEEZZNS1_14partition_implILS5_9ELb0ES3_jPlS8_PNS0_10empty_typeENS0_5tupleIJS8_S9_EEENSB_IJS8_SA_EEENS0_18inequality_wrapperIZN2at6native12_GLOBAL__N_124unique_dim_cuda_templateIN3c104HalfEEESt5tupleIJNSF_6TensorESM_SM_EERKSM_lbbbEUlllE0_EEPmJS9_EEE10hipError_tPvRmT3_T4_T5_T6_T7_T9_mT8_P12ihipStream_tbDpT10_ENKUlT_T0_E_clISt17integral_constantIbLb1EES1C_EEDaS17_S18_EUlS17_E_NS1_11comp_targetILNS1_3genE10ELNS1_11target_archE1200ELNS1_3gpuE4ELNS1_3repE0EEENS1_30default_config_static_selectorELNS0_4arch9wavefront6targetE1EEEvT1_
; %bb.0:
	.section	.rodata,"a",@progbits
	.p2align	6, 0x0
	.amdhsa_kernel _ZN7rocprim17ROCPRIM_400000_NS6detail17trampoline_kernelINS0_14default_configENS1_25partition_config_selectorILNS1_17partition_subalgoE9EllbEEZZNS1_14partition_implILS5_9ELb0ES3_jPlS8_PNS0_10empty_typeENS0_5tupleIJS8_S9_EEENSB_IJS8_SA_EEENS0_18inequality_wrapperIZN2at6native12_GLOBAL__N_124unique_dim_cuda_templateIN3c104HalfEEESt5tupleIJNSF_6TensorESM_SM_EERKSM_lbbbEUlllE0_EEPmJS9_EEE10hipError_tPvRmT3_T4_T5_T6_T7_T9_mT8_P12ihipStream_tbDpT10_ENKUlT_T0_E_clISt17integral_constantIbLb1EES1C_EEDaS17_S18_EUlS17_E_NS1_11comp_targetILNS1_3genE10ELNS1_11target_archE1200ELNS1_3gpuE4ELNS1_3repE0EEENS1_30default_config_static_selectorELNS0_4arch9wavefront6targetE1EEEvT1_
		.amdhsa_group_segment_fixed_size 0
		.amdhsa_private_segment_fixed_size 0
		.amdhsa_kernarg_size 136
		.amdhsa_user_sgpr_count 2
		.amdhsa_user_sgpr_dispatch_ptr 0
		.amdhsa_user_sgpr_queue_ptr 0
		.amdhsa_user_sgpr_kernarg_segment_ptr 1
		.amdhsa_user_sgpr_dispatch_id 0
		.amdhsa_user_sgpr_kernarg_preload_length 0
		.amdhsa_user_sgpr_kernarg_preload_offset 0
		.amdhsa_user_sgpr_private_segment_size 0
		.amdhsa_uses_dynamic_stack 0
		.amdhsa_enable_private_segment 0
		.amdhsa_system_sgpr_workgroup_id_x 1
		.amdhsa_system_sgpr_workgroup_id_y 0
		.amdhsa_system_sgpr_workgroup_id_z 0
		.amdhsa_system_sgpr_workgroup_info 0
		.amdhsa_system_vgpr_workitem_id 0
		.amdhsa_next_free_vgpr 1
		.amdhsa_next_free_sgpr 0
		.amdhsa_accum_offset 4
		.amdhsa_reserve_vcc 0
		.amdhsa_float_round_mode_32 0
		.amdhsa_float_round_mode_16_64 0
		.amdhsa_float_denorm_mode_32 3
		.amdhsa_float_denorm_mode_16_64 3
		.amdhsa_dx10_clamp 1
		.amdhsa_ieee_mode 1
		.amdhsa_fp16_overflow 0
		.amdhsa_tg_split 0
		.amdhsa_exception_fp_ieee_invalid_op 0
		.amdhsa_exception_fp_denorm_src 0
		.amdhsa_exception_fp_ieee_div_zero 0
		.amdhsa_exception_fp_ieee_overflow 0
		.amdhsa_exception_fp_ieee_underflow 0
		.amdhsa_exception_fp_ieee_inexact 0
		.amdhsa_exception_int_div_zero 0
	.end_amdhsa_kernel
	.section	.text._ZN7rocprim17ROCPRIM_400000_NS6detail17trampoline_kernelINS0_14default_configENS1_25partition_config_selectorILNS1_17partition_subalgoE9EllbEEZZNS1_14partition_implILS5_9ELb0ES3_jPlS8_PNS0_10empty_typeENS0_5tupleIJS8_S9_EEENSB_IJS8_SA_EEENS0_18inequality_wrapperIZN2at6native12_GLOBAL__N_124unique_dim_cuda_templateIN3c104HalfEEESt5tupleIJNSF_6TensorESM_SM_EERKSM_lbbbEUlllE0_EEPmJS9_EEE10hipError_tPvRmT3_T4_T5_T6_T7_T9_mT8_P12ihipStream_tbDpT10_ENKUlT_T0_E_clISt17integral_constantIbLb1EES1C_EEDaS17_S18_EUlS17_E_NS1_11comp_targetILNS1_3genE10ELNS1_11target_archE1200ELNS1_3gpuE4ELNS1_3repE0EEENS1_30default_config_static_selectorELNS0_4arch9wavefront6targetE1EEEvT1_,"axG",@progbits,_ZN7rocprim17ROCPRIM_400000_NS6detail17trampoline_kernelINS0_14default_configENS1_25partition_config_selectorILNS1_17partition_subalgoE9EllbEEZZNS1_14partition_implILS5_9ELb0ES3_jPlS8_PNS0_10empty_typeENS0_5tupleIJS8_S9_EEENSB_IJS8_SA_EEENS0_18inequality_wrapperIZN2at6native12_GLOBAL__N_124unique_dim_cuda_templateIN3c104HalfEEESt5tupleIJNSF_6TensorESM_SM_EERKSM_lbbbEUlllE0_EEPmJS9_EEE10hipError_tPvRmT3_T4_T5_T6_T7_T9_mT8_P12ihipStream_tbDpT10_ENKUlT_T0_E_clISt17integral_constantIbLb1EES1C_EEDaS17_S18_EUlS17_E_NS1_11comp_targetILNS1_3genE10ELNS1_11target_archE1200ELNS1_3gpuE4ELNS1_3repE0EEENS1_30default_config_static_selectorELNS0_4arch9wavefront6targetE1EEEvT1_,comdat
.Lfunc_end1342:
	.size	_ZN7rocprim17ROCPRIM_400000_NS6detail17trampoline_kernelINS0_14default_configENS1_25partition_config_selectorILNS1_17partition_subalgoE9EllbEEZZNS1_14partition_implILS5_9ELb0ES3_jPlS8_PNS0_10empty_typeENS0_5tupleIJS8_S9_EEENSB_IJS8_SA_EEENS0_18inequality_wrapperIZN2at6native12_GLOBAL__N_124unique_dim_cuda_templateIN3c104HalfEEESt5tupleIJNSF_6TensorESM_SM_EERKSM_lbbbEUlllE0_EEPmJS9_EEE10hipError_tPvRmT3_T4_T5_T6_T7_T9_mT8_P12ihipStream_tbDpT10_ENKUlT_T0_E_clISt17integral_constantIbLb1EES1C_EEDaS17_S18_EUlS17_E_NS1_11comp_targetILNS1_3genE10ELNS1_11target_archE1200ELNS1_3gpuE4ELNS1_3repE0EEENS1_30default_config_static_selectorELNS0_4arch9wavefront6targetE1EEEvT1_, .Lfunc_end1342-_ZN7rocprim17ROCPRIM_400000_NS6detail17trampoline_kernelINS0_14default_configENS1_25partition_config_selectorILNS1_17partition_subalgoE9EllbEEZZNS1_14partition_implILS5_9ELb0ES3_jPlS8_PNS0_10empty_typeENS0_5tupleIJS8_S9_EEENSB_IJS8_SA_EEENS0_18inequality_wrapperIZN2at6native12_GLOBAL__N_124unique_dim_cuda_templateIN3c104HalfEEESt5tupleIJNSF_6TensorESM_SM_EERKSM_lbbbEUlllE0_EEPmJS9_EEE10hipError_tPvRmT3_T4_T5_T6_T7_T9_mT8_P12ihipStream_tbDpT10_ENKUlT_T0_E_clISt17integral_constantIbLb1EES1C_EEDaS17_S18_EUlS17_E_NS1_11comp_targetILNS1_3genE10ELNS1_11target_archE1200ELNS1_3gpuE4ELNS1_3repE0EEENS1_30default_config_static_selectorELNS0_4arch9wavefront6targetE1EEEvT1_
                                        ; -- End function
	.set _ZN7rocprim17ROCPRIM_400000_NS6detail17trampoline_kernelINS0_14default_configENS1_25partition_config_selectorILNS1_17partition_subalgoE9EllbEEZZNS1_14partition_implILS5_9ELb0ES3_jPlS8_PNS0_10empty_typeENS0_5tupleIJS8_S9_EEENSB_IJS8_SA_EEENS0_18inequality_wrapperIZN2at6native12_GLOBAL__N_124unique_dim_cuda_templateIN3c104HalfEEESt5tupleIJNSF_6TensorESM_SM_EERKSM_lbbbEUlllE0_EEPmJS9_EEE10hipError_tPvRmT3_T4_T5_T6_T7_T9_mT8_P12ihipStream_tbDpT10_ENKUlT_T0_E_clISt17integral_constantIbLb1EES1C_EEDaS17_S18_EUlS17_E_NS1_11comp_targetILNS1_3genE10ELNS1_11target_archE1200ELNS1_3gpuE4ELNS1_3repE0EEENS1_30default_config_static_selectorELNS0_4arch9wavefront6targetE1EEEvT1_.num_vgpr, 0
	.set _ZN7rocprim17ROCPRIM_400000_NS6detail17trampoline_kernelINS0_14default_configENS1_25partition_config_selectorILNS1_17partition_subalgoE9EllbEEZZNS1_14partition_implILS5_9ELb0ES3_jPlS8_PNS0_10empty_typeENS0_5tupleIJS8_S9_EEENSB_IJS8_SA_EEENS0_18inequality_wrapperIZN2at6native12_GLOBAL__N_124unique_dim_cuda_templateIN3c104HalfEEESt5tupleIJNSF_6TensorESM_SM_EERKSM_lbbbEUlllE0_EEPmJS9_EEE10hipError_tPvRmT3_T4_T5_T6_T7_T9_mT8_P12ihipStream_tbDpT10_ENKUlT_T0_E_clISt17integral_constantIbLb1EES1C_EEDaS17_S18_EUlS17_E_NS1_11comp_targetILNS1_3genE10ELNS1_11target_archE1200ELNS1_3gpuE4ELNS1_3repE0EEENS1_30default_config_static_selectorELNS0_4arch9wavefront6targetE1EEEvT1_.num_agpr, 0
	.set _ZN7rocprim17ROCPRIM_400000_NS6detail17trampoline_kernelINS0_14default_configENS1_25partition_config_selectorILNS1_17partition_subalgoE9EllbEEZZNS1_14partition_implILS5_9ELb0ES3_jPlS8_PNS0_10empty_typeENS0_5tupleIJS8_S9_EEENSB_IJS8_SA_EEENS0_18inequality_wrapperIZN2at6native12_GLOBAL__N_124unique_dim_cuda_templateIN3c104HalfEEESt5tupleIJNSF_6TensorESM_SM_EERKSM_lbbbEUlllE0_EEPmJS9_EEE10hipError_tPvRmT3_T4_T5_T6_T7_T9_mT8_P12ihipStream_tbDpT10_ENKUlT_T0_E_clISt17integral_constantIbLb1EES1C_EEDaS17_S18_EUlS17_E_NS1_11comp_targetILNS1_3genE10ELNS1_11target_archE1200ELNS1_3gpuE4ELNS1_3repE0EEENS1_30default_config_static_selectorELNS0_4arch9wavefront6targetE1EEEvT1_.numbered_sgpr, 0
	.set _ZN7rocprim17ROCPRIM_400000_NS6detail17trampoline_kernelINS0_14default_configENS1_25partition_config_selectorILNS1_17partition_subalgoE9EllbEEZZNS1_14partition_implILS5_9ELb0ES3_jPlS8_PNS0_10empty_typeENS0_5tupleIJS8_S9_EEENSB_IJS8_SA_EEENS0_18inequality_wrapperIZN2at6native12_GLOBAL__N_124unique_dim_cuda_templateIN3c104HalfEEESt5tupleIJNSF_6TensorESM_SM_EERKSM_lbbbEUlllE0_EEPmJS9_EEE10hipError_tPvRmT3_T4_T5_T6_T7_T9_mT8_P12ihipStream_tbDpT10_ENKUlT_T0_E_clISt17integral_constantIbLb1EES1C_EEDaS17_S18_EUlS17_E_NS1_11comp_targetILNS1_3genE10ELNS1_11target_archE1200ELNS1_3gpuE4ELNS1_3repE0EEENS1_30default_config_static_selectorELNS0_4arch9wavefront6targetE1EEEvT1_.num_named_barrier, 0
	.set _ZN7rocprim17ROCPRIM_400000_NS6detail17trampoline_kernelINS0_14default_configENS1_25partition_config_selectorILNS1_17partition_subalgoE9EllbEEZZNS1_14partition_implILS5_9ELb0ES3_jPlS8_PNS0_10empty_typeENS0_5tupleIJS8_S9_EEENSB_IJS8_SA_EEENS0_18inequality_wrapperIZN2at6native12_GLOBAL__N_124unique_dim_cuda_templateIN3c104HalfEEESt5tupleIJNSF_6TensorESM_SM_EERKSM_lbbbEUlllE0_EEPmJS9_EEE10hipError_tPvRmT3_T4_T5_T6_T7_T9_mT8_P12ihipStream_tbDpT10_ENKUlT_T0_E_clISt17integral_constantIbLb1EES1C_EEDaS17_S18_EUlS17_E_NS1_11comp_targetILNS1_3genE10ELNS1_11target_archE1200ELNS1_3gpuE4ELNS1_3repE0EEENS1_30default_config_static_selectorELNS0_4arch9wavefront6targetE1EEEvT1_.private_seg_size, 0
	.set _ZN7rocprim17ROCPRIM_400000_NS6detail17trampoline_kernelINS0_14default_configENS1_25partition_config_selectorILNS1_17partition_subalgoE9EllbEEZZNS1_14partition_implILS5_9ELb0ES3_jPlS8_PNS0_10empty_typeENS0_5tupleIJS8_S9_EEENSB_IJS8_SA_EEENS0_18inequality_wrapperIZN2at6native12_GLOBAL__N_124unique_dim_cuda_templateIN3c104HalfEEESt5tupleIJNSF_6TensorESM_SM_EERKSM_lbbbEUlllE0_EEPmJS9_EEE10hipError_tPvRmT3_T4_T5_T6_T7_T9_mT8_P12ihipStream_tbDpT10_ENKUlT_T0_E_clISt17integral_constantIbLb1EES1C_EEDaS17_S18_EUlS17_E_NS1_11comp_targetILNS1_3genE10ELNS1_11target_archE1200ELNS1_3gpuE4ELNS1_3repE0EEENS1_30default_config_static_selectorELNS0_4arch9wavefront6targetE1EEEvT1_.uses_vcc, 0
	.set _ZN7rocprim17ROCPRIM_400000_NS6detail17trampoline_kernelINS0_14default_configENS1_25partition_config_selectorILNS1_17partition_subalgoE9EllbEEZZNS1_14partition_implILS5_9ELb0ES3_jPlS8_PNS0_10empty_typeENS0_5tupleIJS8_S9_EEENSB_IJS8_SA_EEENS0_18inequality_wrapperIZN2at6native12_GLOBAL__N_124unique_dim_cuda_templateIN3c104HalfEEESt5tupleIJNSF_6TensorESM_SM_EERKSM_lbbbEUlllE0_EEPmJS9_EEE10hipError_tPvRmT3_T4_T5_T6_T7_T9_mT8_P12ihipStream_tbDpT10_ENKUlT_T0_E_clISt17integral_constantIbLb1EES1C_EEDaS17_S18_EUlS17_E_NS1_11comp_targetILNS1_3genE10ELNS1_11target_archE1200ELNS1_3gpuE4ELNS1_3repE0EEENS1_30default_config_static_selectorELNS0_4arch9wavefront6targetE1EEEvT1_.uses_flat_scratch, 0
	.set _ZN7rocprim17ROCPRIM_400000_NS6detail17trampoline_kernelINS0_14default_configENS1_25partition_config_selectorILNS1_17partition_subalgoE9EllbEEZZNS1_14partition_implILS5_9ELb0ES3_jPlS8_PNS0_10empty_typeENS0_5tupleIJS8_S9_EEENSB_IJS8_SA_EEENS0_18inequality_wrapperIZN2at6native12_GLOBAL__N_124unique_dim_cuda_templateIN3c104HalfEEESt5tupleIJNSF_6TensorESM_SM_EERKSM_lbbbEUlllE0_EEPmJS9_EEE10hipError_tPvRmT3_T4_T5_T6_T7_T9_mT8_P12ihipStream_tbDpT10_ENKUlT_T0_E_clISt17integral_constantIbLb1EES1C_EEDaS17_S18_EUlS17_E_NS1_11comp_targetILNS1_3genE10ELNS1_11target_archE1200ELNS1_3gpuE4ELNS1_3repE0EEENS1_30default_config_static_selectorELNS0_4arch9wavefront6targetE1EEEvT1_.has_dyn_sized_stack, 0
	.set _ZN7rocprim17ROCPRIM_400000_NS6detail17trampoline_kernelINS0_14default_configENS1_25partition_config_selectorILNS1_17partition_subalgoE9EllbEEZZNS1_14partition_implILS5_9ELb0ES3_jPlS8_PNS0_10empty_typeENS0_5tupleIJS8_S9_EEENSB_IJS8_SA_EEENS0_18inequality_wrapperIZN2at6native12_GLOBAL__N_124unique_dim_cuda_templateIN3c104HalfEEESt5tupleIJNSF_6TensorESM_SM_EERKSM_lbbbEUlllE0_EEPmJS9_EEE10hipError_tPvRmT3_T4_T5_T6_T7_T9_mT8_P12ihipStream_tbDpT10_ENKUlT_T0_E_clISt17integral_constantIbLb1EES1C_EEDaS17_S18_EUlS17_E_NS1_11comp_targetILNS1_3genE10ELNS1_11target_archE1200ELNS1_3gpuE4ELNS1_3repE0EEENS1_30default_config_static_selectorELNS0_4arch9wavefront6targetE1EEEvT1_.has_recursion, 0
	.set _ZN7rocprim17ROCPRIM_400000_NS6detail17trampoline_kernelINS0_14default_configENS1_25partition_config_selectorILNS1_17partition_subalgoE9EllbEEZZNS1_14partition_implILS5_9ELb0ES3_jPlS8_PNS0_10empty_typeENS0_5tupleIJS8_S9_EEENSB_IJS8_SA_EEENS0_18inequality_wrapperIZN2at6native12_GLOBAL__N_124unique_dim_cuda_templateIN3c104HalfEEESt5tupleIJNSF_6TensorESM_SM_EERKSM_lbbbEUlllE0_EEPmJS9_EEE10hipError_tPvRmT3_T4_T5_T6_T7_T9_mT8_P12ihipStream_tbDpT10_ENKUlT_T0_E_clISt17integral_constantIbLb1EES1C_EEDaS17_S18_EUlS17_E_NS1_11comp_targetILNS1_3genE10ELNS1_11target_archE1200ELNS1_3gpuE4ELNS1_3repE0EEENS1_30default_config_static_selectorELNS0_4arch9wavefront6targetE1EEEvT1_.has_indirect_call, 0
	.section	.AMDGPU.csdata,"",@progbits
; Kernel info:
; codeLenInByte = 0
; TotalNumSgprs: 6
; NumVgprs: 0
; NumAgprs: 0
; TotalNumVgprs: 0
; ScratchSize: 0
; MemoryBound: 0
; FloatMode: 240
; IeeeMode: 1
; LDSByteSize: 0 bytes/workgroup (compile time only)
; SGPRBlocks: 0
; VGPRBlocks: 0
; NumSGPRsForWavesPerEU: 6
; NumVGPRsForWavesPerEU: 1
; AccumOffset: 4
; Occupancy: 8
; WaveLimiterHint : 0
; COMPUTE_PGM_RSRC2:SCRATCH_EN: 0
; COMPUTE_PGM_RSRC2:USER_SGPR: 2
; COMPUTE_PGM_RSRC2:TRAP_HANDLER: 0
; COMPUTE_PGM_RSRC2:TGID_X_EN: 1
; COMPUTE_PGM_RSRC2:TGID_Y_EN: 0
; COMPUTE_PGM_RSRC2:TGID_Z_EN: 0
; COMPUTE_PGM_RSRC2:TIDIG_COMP_CNT: 0
; COMPUTE_PGM_RSRC3_GFX90A:ACCUM_OFFSET: 0
; COMPUTE_PGM_RSRC3_GFX90A:TG_SPLIT: 0
	.section	.text._ZN7rocprim17ROCPRIM_400000_NS6detail17trampoline_kernelINS0_14default_configENS1_25partition_config_selectorILNS1_17partition_subalgoE9EllbEEZZNS1_14partition_implILS5_9ELb0ES3_jPlS8_PNS0_10empty_typeENS0_5tupleIJS8_S9_EEENSB_IJS8_SA_EEENS0_18inequality_wrapperIZN2at6native12_GLOBAL__N_124unique_dim_cuda_templateIN3c104HalfEEESt5tupleIJNSF_6TensorESM_SM_EERKSM_lbbbEUlllE0_EEPmJS9_EEE10hipError_tPvRmT3_T4_T5_T6_T7_T9_mT8_P12ihipStream_tbDpT10_ENKUlT_T0_E_clISt17integral_constantIbLb1EES1C_EEDaS17_S18_EUlS17_E_NS1_11comp_targetILNS1_3genE9ELNS1_11target_archE1100ELNS1_3gpuE3ELNS1_3repE0EEENS1_30default_config_static_selectorELNS0_4arch9wavefront6targetE1EEEvT1_,"axG",@progbits,_ZN7rocprim17ROCPRIM_400000_NS6detail17trampoline_kernelINS0_14default_configENS1_25partition_config_selectorILNS1_17partition_subalgoE9EllbEEZZNS1_14partition_implILS5_9ELb0ES3_jPlS8_PNS0_10empty_typeENS0_5tupleIJS8_S9_EEENSB_IJS8_SA_EEENS0_18inequality_wrapperIZN2at6native12_GLOBAL__N_124unique_dim_cuda_templateIN3c104HalfEEESt5tupleIJNSF_6TensorESM_SM_EERKSM_lbbbEUlllE0_EEPmJS9_EEE10hipError_tPvRmT3_T4_T5_T6_T7_T9_mT8_P12ihipStream_tbDpT10_ENKUlT_T0_E_clISt17integral_constantIbLb1EES1C_EEDaS17_S18_EUlS17_E_NS1_11comp_targetILNS1_3genE9ELNS1_11target_archE1100ELNS1_3gpuE3ELNS1_3repE0EEENS1_30default_config_static_selectorELNS0_4arch9wavefront6targetE1EEEvT1_,comdat
	.globl	_ZN7rocprim17ROCPRIM_400000_NS6detail17trampoline_kernelINS0_14default_configENS1_25partition_config_selectorILNS1_17partition_subalgoE9EllbEEZZNS1_14partition_implILS5_9ELb0ES3_jPlS8_PNS0_10empty_typeENS0_5tupleIJS8_S9_EEENSB_IJS8_SA_EEENS0_18inequality_wrapperIZN2at6native12_GLOBAL__N_124unique_dim_cuda_templateIN3c104HalfEEESt5tupleIJNSF_6TensorESM_SM_EERKSM_lbbbEUlllE0_EEPmJS9_EEE10hipError_tPvRmT3_T4_T5_T6_T7_T9_mT8_P12ihipStream_tbDpT10_ENKUlT_T0_E_clISt17integral_constantIbLb1EES1C_EEDaS17_S18_EUlS17_E_NS1_11comp_targetILNS1_3genE9ELNS1_11target_archE1100ELNS1_3gpuE3ELNS1_3repE0EEENS1_30default_config_static_selectorELNS0_4arch9wavefront6targetE1EEEvT1_ ; -- Begin function _ZN7rocprim17ROCPRIM_400000_NS6detail17trampoline_kernelINS0_14default_configENS1_25partition_config_selectorILNS1_17partition_subalgoE9EllbEEZZNS1_14partition_implILS5_9ELb0ES3_jPlS8_PNS0_10empty_typeENS0_5tupleIJS8_S9_EEENSB_IJS8_SA_EEENS0_18inequality_wrapperIZN2at6native12_GLOBAL__N_124unique_dim_cuda_templateIN3c104HalfEEESt5tupleIJNSF_6TensorESM_SM_EERKSM_lbbbEUlllE0_EEPmJS9_EEE10hipError_tPvRmT3_T4_T5_T6_T7_T9_mT8_P12ihipStream_tbDpT10_ENKUlT_T0_E_clISt17integral_constantIbLb1EES1C_EEDaS17_S18_EUlS17_E_NS1_11comp_targetILNS1_3genE9ELNS1_11target_archE1100ELNS1_3gpuE3ELNS1_3repE0EEENS1_30default_config_static_selectorELNS0_4arch9wavefront6targetE1EEEvT1_
	.p2align	8
	.type	_ZN7rocprim17ROCPRIM_400000_NS6detail17trampoline_kernelINS0_14default_configENS1_25partition_config_selectorILNS1_17partition_subalgoE9EllbEEZZNS1_14partition_implILS5_9ELb0ES3_jPlS8_PNS0_10empty_typeENS0_5tupleIJS8_S9_EEENSB_IJS8_SA_EEENS0_18inequality_wrapperIZN2at6native12_GLOBAL__N_124unique_dim_cuda_templateIN3c104HalfEEESt5tupleIJNSF_6TensorESM_SM_EERKSM_lbbbEUlllE0_EEPmJS9_EEE10hipError_tPvRmT3_T4_T5_T6_T7_T9_mT8_P12ihipStream_tbDpT10_ENKUlT_T0_E_clISt17integral_constantIbLb1EES1C_EEDaS17_S18_EUlS17_E_NS1_11comp_targetILNS1_3genE9ELNS1_11target_archE1100ELNS1_3gpuE3ELNS1_3repE0EEENS1_30default_config_static_selectorELNS0_4arch9wavefront6targetE1EEEvT1_,@function
_ZN7rocprim17ROCPRIM_400000_NS6detail17trampoline_kernelINS0_14default_configENS1_25partition_config_selectorILNS1_17partition_subalgoE9EllbEEZZNS1_14partition_implILS5_9ELb0ES3_jPlS8_PNS0_10empty_typeENS0_5tupleIJS8_S9_EEENSB_IJS8_SA_EEENS0_18inequality_wrapperIZN2at6native12_GLOBAL__N_124unique_dim_cuda_templateIN3c104HalfEEESt5tupleIJNSF_6TensorESM_SM_EERKSM_lbbbEUlllE0_EEPmJS9_EEE10hipError_tPvRmT3_T4_T5_T6_T7_T9_mT8_P12ihipStream_tbDpT10_ENKUlT_T0_E_clISt17integral_constantIbLb1EES1C_EEDaS17_S18_EUlS17_E_NS1_11comp_targetILNS1_3genE9ELNS1_11target_archE1100ELNS1_3gpuE3ELNS1_3repE0EEENS1_30default_config_static_selectorELNS0_4arch9wavefront6targetE1EEEvT1_: ; @_ZN7rocprim17ROCPRIM_400000_NS6detail17trampoline_kernelINS0_14default_configENS1_25partition_config_selectorILNS1_17partition_subalgoE9EllbEEZZNS1_14partition_implILS5_9ELb0ES3_jPlS8_PNS0_10empty_typeENS0_5tupleIJS8_S9_EEENSB_IJS8_SA_EEENS0_18inequality_wrapperIZN2at6native12_GLOBAL__N_124unique_dim_cuda_templateIN3c104HalfEEESt5tupleIJNSF_6TensorESM_SM_EERKSM_lbbbEUlllE0_EEPmJS9_EEE10hipError_tPvRmT3_T4_T5_T6_T7_T9_mT8_P12ihipStream_tbDpT10_ENKUlT_T0_E_clISt17integral_constantIbLb1EES1C_EEDaS17_S18_EUlS17_E_NS1_11comp_targetILNS1_3genE9ELNS1_11target_archE1100ELNS1_3gpuE3ELNS1_3repE0EEENS1_30default_config_static_selectorELNS0_4arch9wavefront6targetE1EEEvT1_
; %bb.0:
	.section	.rodata,"a",@progbits
	.p2align	6, 0x0
	.amdhsa_kernel _ZN7rocprim17ROCPRIM_400000_NS6detail17trampoline_kernelINS0_14default_configENS1_25partition_config_selectorILNS1_17partition_subalgoE9EllbEEZZNS1_14partition_implILS5_9ELb0ES3_jPlS8_PNS0_10empty_typeENS0_5tupleIJS8_S9_EEENSB_IJS8_SA_EEENS0_18inequality_wrapperIZN2at6native12_GLOBAL__N_124unique_dim_cuda_templateIN3c104HalfEEESt5tupleIJNSF_6TensorESM_SM_EERKSM_lbbbEUlllE0_EEPmJS9_EEE10hipError_tPvRmT3_T4_T5_T6_T7_T9_mT8_P12ihipStream_tbDpT10_ENKUlT_T0_E_clISt17integral_constantIbLb1EES1C_EEDaS17_S18_EUlS17_E_NS1_11comp_targetILNS1_3genE9ELNS1_11target_archE1100ELNS1_3gpuE3ELNS1_3repE0EEENS1_30default_config_static_selectorELNS0_4arch9wavefront6targetE1EEEvT1_
		.amdhsa_group_segment_fixed_size 0
		.amdhsa_private_segment_fixed_size 0
		.amdhsa_kernarg_size 136
		.amdhsa_user_sgpr_count 2
		.amdhsa_user_sgpr_dispatch_ptr 0
		.amdhsa_user_sgpr_queue_ptr 0
		.amdhsa_user_sgpr_kernarg_segment_ptr 1
		.amdhsa_user_sgpr_dispatch_id 0
		.amdhsa_user_sgpr_kernarg_preload_length 0
		.amdhsa_user_sgpr_kernarg_preload_offset 0
		.amdhsa_user_sgpr_private_segment_size 0
		.amdhsa_uses_dynamic_stack 0
		.amdhsa_enable_private_segment 0
		.amdhsa_system_sgpr_workgroup_id_x 1
		.amdhsa_system_sgpr_workgroup_id_y 0
		.amdhsa_system_sgpr_workgroup_id_z 0
		.amdhsa_system_sgpr_workgroup_info 0
		.amdhsa_system_vgpr_workitem_id 0
		.amdhsa_next_free_vgpr 1
		.amdhsa_next_free_sgpr 0
		.amdhsa_accum_offset 4
		.amdhsa_reserve_vcc 0
		.amdhsa_float_round_mode_32 0
		.amdhsa_float_round_mode_16_64 0
		.amdhsa_float_denorm_mode_32 3
		.amdhsa_float_denorm_mode_16_64 3
		.amdhsa_dx10_clamp 1
		.amdhsa_ieee_mode 1
		.amdhsa_fp16_overflow 0
		.amdhsa_tg_split 0
		.amdhsa_exception_fp_ieee_invalid_op 0
		.amdhsa_exception_fp_denorm_src 0
		.amdhsa_exception_fp_ieee_div_zero 0
		.amdhsa_exception_fp_ieee_overflow 0
		.amdhsa_exception_fp_ieee_underflow 0
		.amdhsa_exception_fp_ieee_inexact 0
		.amdhsa_exception_int_div_zero 0
	.end_amdhsa_kernel
	.section	.text._ZN7rocprim17ROCPRIM_400000_NS6detail17trampoline_kernelINS0_14default_configENS1_25partition_config_selectorILNS1_17partition_subalgoE9EllbEEZZNS1_14partition_implILS5_9ELb0ES3_jPlS8_PNS0_10empty_typeENS0_5tupleIJS8_S9_EEENSB_IJS8_SA_EEENS0_18inequality_wrapperIZN2at6native12_GLOBAL__N_124unique_dim_cuda_templateIN3c104HalfEEESt5tupleIJNSF_6TensorESM_SM_EERKSM_lbbbEUlllE0_EEPmJS9_EEE10hipError_tPvRmT3_T4_T5_T6_T7_T9_mT8_P12ihipStream_tbDpT10_ENKUlT_T0_E_clISt17integral_constantIbLb1EES1C_EEDaS17_S18_EUlS17_E_NS1_11comp_targetILNS1_3genE9ELNS1_11target_archE1100ELNS1_3gpuE3ELNS1_3repE0EEENS1_30default_config_static_selectorELNS0_4arch9wavefront6targetE1EEEvT1_,"axG",@progbits,_ZN7rocprim17ROCPRIM_400000_NS6detail17trampoline_kernelINS0_14default_configENS1_25partition_config_selectorILNS1_17partition_subalgoE9EllbEEZZNS1_14partition_implILS5_9ELb0ES3_jPlS8_PNS0_10empty_typeENS0_5tupleIJS8_S9_EEENSB_IJS8_SA_EEENS0_18inequality_wrapperIZN2at6native12_GLOBAL__N_124unique_dim_cuda_templateIN3c104HalfEEESt5tupleIJNSF_6TensorESM_SM_EERKSM_lbbbEUlllE0_EEPmJS9_EEE10hipError_tPvRmT3_T4_T5_T6_T7_T9_mT8_P12ihipStream_tbDpT10_ENKUlT_T0_E_clISt17integral_constantIbLb1EES1C_EEDaS17_S18_EUlS17_E_NS1_11comp_targetILNS1_3genE9ELNS1_11target_archE1100ELNS1_3gpuE3ELNS1_3repE0EEENS1_30default_config_static_selectorELNS0_4arch9wavefront6targetE1EEEvT1_,comdat
.Lfunc_end1343:
	.size	_ZN7rocprim17ROCPRIM_400000_NS6detail17trampoline_kernelINS0_14default_configENS1_25partition_config_selectorILNS1_17partition_subalgoE9EllbEEZZNS1_14partition_implILS5_9ELb0ES3_jPlS8_PNS0_10empty_typeENS0_5tupleIJS8_S9_EEENSB_IJS8_SA_EEENS0_18inequality_wrapperIZN2at6native12_GLOBAL__N_124unique_dim_cuda_templateIN3c104HalfEEESt5tupleIJNSF_6TensorESM_SM_EERKSM_lbbbEUlllE0_EEPmJS9_EEE10hipError_tPvRmT3_T4_T5_T6_T7_T9_mT8_P12ihipStream_tbDpT10_ENKUlT_T0_E_clISt17integral_constantIbLb1EES1C_EEDaS17_S18_EUlS17_E_NS1_11comp_targetILNS1_3genE9ELNS1_11target_archE1100ELNS1_3gpuE3ELNS1_3repE0EEENS1_30default_config_static_selectorELNS0_4arch9wavefront6targetE1EEEvT1_, .Lfunc_end1343-_ZN7rocprim17ROCPRIM_400000_NS6detail17trampoline_kernelINS0_14default_configENS1_25partition_config_selectorILNS1_17partition_subalgoE9EllbEEZZNS1_14partition_implILS5_9ELb0ES3_jPlS8_PNS0_10empty_typeENS0_5tupleIJS8_S9_EEENSB_IJS8_SA_EEENS0_18inequality_wrapperIZN2at6native12_GLOBAL__N_124unique_dim_cuda_templateIN3c104HalfEEESt5tupleIJNSF_6TensorESM_SM_EERKSM_lbbbEUlllE0_EEPmJS9_EEE10hipError_tPvRmT3_T4_T5_T6_T7_T9_mT8_P12ihipStream_tbDpT10_ENKUlT_T0_E_clISt17integral_constantIbLb1EES1C_EEDaS17_S18_EUlS17_E_NS1_11comp_targetILNS1_3genE9ELNS1_11target_archE1100ELNS1_3gpuE3ELNS1_3repE0EEENS1_30default_config_static_selectorELNS0_4arch9wavefront6targetE1EEEvT1_
                                        ; -- End function
	.set _ZN7rocprim17ROCPRIM_400000_NS6detail17trampoline_kernelINS0_14default_configENS1_25partition_config_selectorILNS1_17partition_subalgoE9EllbEEZZNS1_14partition_implILS5_9ELb0ES3_jPlS8_PNS0_10empty_typeENS0_5tupleIJS8_S9_EEENSB_IJS8_SA_EEENS0_18inequality_wrapperIZN2at6native12_GLOBAL__N_124unique_dim_cuda_templateIN3c104HalfEEESt5tupleIJNSF_6TensorESM_SM_EERKSM_lbbbEUlllE0_EEPmJS9_EEE10hipError_tPvRmT3_T4_T5_T6_T7_T9_mT8_P12ihipStream_tbDpT10_ENKUlT_T0_E_clISt17integral_constantIbLb1EES1C_EEDaS17_S18_EUlS17_E_NS1_11comp_targetILNS1_3genE9ELNS1_11target_archE1100ELNS1_3gpuE3ELNS1_3repE0EEENS1_30default_config_static_selectorELNS0_4arch9wavefront6targetE1EEEvT1_.num_vgpr, 0
	.set _ZN7rocprim17ROCPRIM_400000_NS6detail17trampoline_kernelINS0_14default_configENS1_25partition_config_selectorILNS1_17partition_subalgoE9EllbEEZZNS1_14partition_implILS5_9ELb0ES3_jPlS8_PNS0_10empty_typeENS0_5tupleIJS8_S9_EEENSB_IJS8_SA_EEENS0_18inequality_wrapperIZN2at6native12_GLOBAL__N_124unique_dim_cuda_templateIN3c104HalfEEESt5tupleIJNSF_6TensorESM_SM_EERKSM_lbbbEUlllE0_EEPmJS9_EEE10hipError_tPvRmT3_T4_T5_T6_T7_T9_mT8_P12ihipStream_tbDpT10_ENKUlT_T0_E_clISt17integral_constantIbLb1EES1C_EEDaS17_S18_EUlS17_E_NS1_11comp_targetILNS1_3genE9ELNS1_11target_archE1100ELNS1_3gpuE3ELNS1_3repE0EEENS1_30default_config_static_selectorELNS0_4arch9wavefront6targetE1EEEvT1_.num_agpr, 0
	.set _ZN7rocprim17ROCPRIM_400000_NS6detail17trampoline_kernelINS0_14default_configENS1_25partition_config_selectorILNS1_17partition_subalgoE9EllbEEZZNS1_14partition_implILS5_9ELb0ES3_jPlS8_PNS0_10empty_typeENS0_5tupleIJS8_S9_EEENSB_IJS8_SA_EEENS0_18inequality_wrapperIZN2at6native12_GLOBAL__N_124unique_dim_cuda_templateIN3c104HalfEEESt5tupleIJNSF_6TensorESM_SM_EERKSM_lbbbEUlllE0_EEPmJS9_EEE10hipError_tPvRmT3_T4_T5_T6_T7_T9_mT8_P12ihipStream_tbDpT10_ENKUlT_T0_E_clISt17integral_constantIbLb1EES1C_EEDaS17_S18_EUlS17_E_NS1_11comp_targetILNS1_3genE9ELNS1_11target_archE1100ELNS1_3gpuE3ELNS1_3repE0EEENS1_30default_config_static_selectorELNS0_4arch9wavefront6targetE1EEEvT1_.numbered_sgpr, 0
	.set _ZN7rocprim17ROCPRIM_400000_NS6detail17trampoline_kernelINS0_14default_configENS1_25partition_config_selectorILNS1_17partition_subalgoE9EllbEEZZNS1_14partition_implILS5_9ELb0ES3_jPlS8_PNS0_10empty_typeENS0_5tupleIJS8_S9_EEENSB_IJS8_SA_EEENS0_18inequality_wrapperIZN2at6native12_GLOBAL__N_124unique_dim_cuda_templateIN3c104HalfEEESt5tupleIJNSF_6TensorESM_SM_EERKSM_lbbbEUlllE0_EEPmJS9_EEE10hipError_tPvRmT3_T4_T5_T6_T7_T9_mT8_P12ihipStream_tbDpT10_ENKUlT_T0_E_clISt17integral_constantIbLb1EES1C_EEDaS17_S18_EUlS17_E_NS1_11comp_targetILNS1_3genE9ELNS1_11target_archE1100ELNS1_3gpuE3ELNS1_3repE0EEENS1_30default_config_static_selectorELNS0_4arch9wavefront6targetE1EEEvT1_.num_named_barrier, 0
	.set _ZN7rocprim17ROCPRIM_400000_NS6detail17trampoline_kernelINS0_14default_configENS1_25partition_config_selectorILNS1_17partition_subalgoE9EllbEEZZNS1_14partition_implILS5_9ELb0ES3_jPlS8_PNS0_10empty_typeENS0_5tupleIJS8_S9_EEENSB_IJS8_SA_EEENS0_18inequality_wrapperIZN2at6native12_GLOBAL__N_124unique_dim_cuda_templateIN3c104HalfEEESt5tupleIJNSF_6TensorESM_SM_EERKSM_lbbbEUlllE0_EEPmJS9_EEE10hipError_tPvRmT3_T4_T5_T6_T7_T9_mT8_P12ihipStream_tbDpT10_ENKUlT_T0_E_clISt17integral_constantIbLb1EES1C_EEDaS17_S18_EUlS17_E_NS1_11comp_targetILNS1_3genE9ELNS1_11target_archE1100ELNS1_3gpuE3ELNS1_3repE0EEENS1_30default_config_static_selectorELNS0_4arch9wavefront6targetE1EEEvT1_.private_seg_size, 0
	.set _ZN7rocprim17ROCPRIM_400000_NS6detail17trampoline_kernelINS0_14default_configENS1_25partition_config_selectorILNS1_17partition_subalgoE9EllbEEZZNS1_14partition_implILS5_9ELb0ES3_jPlS8_PNS0_10empty_typeENS0_5tupleIJS8_S9_EEENSB_IJS8_SA_EEENS0_18inequality_wrapperIZN2at6native12_GLOBAL__N_124unique_dim_cuda_templateIN3c104HalfEEESt5tupleIJNSF_6TensorESM_SM_EERKSM_lbbbEUlllE0_EEPmJS9_EEE10hipError_tPvRmT3_T4_T5_T6_T7_T9_mT8_P12ihipStream_tbDpT10_ENKUlT_T0_E_clISt17integral_constantIbLb1EES1C_EEDaS17_S18_EUlS17_E_NS1_11comp_targetILNS1_3genE9ELNS1_11target_archE1100ELNS1_3gpuE3ELNS1_3repE0EEENS1_30default_config_static_selectorELNS0_4arch9wavefront6targetE1EEEvT1_.uses_vcc, 0
	.set _ZN7rocprim17ROCPRIM_400000_NS6detail17trampoline_kernelINS0_14default_configENS1_25partition_config_selectorILNS1_17partition_subalgoE9EllbEEZZNS1_14partition_implILS5_9ELb0ES3_jPlS8_PNS0_10empty_typeENS0_5tupleIJS8_S9_EEENSB_IJS8_SA_EEENS0_18inequality_wrapperIZN2at6native12_GLOBAL__N_124unique_dim_cuda_templateIN3c104HalfEEESt5tupleIJNSF_6TensorESM_SM_EERKSM_lbbbEUlllE0_EEPmJS9_EEE10hipError_tPvRmT3_T4_T5_T6_T7_T9_mT8_P12ihipStream_tbDpT10_ENKUlT_T0_E_clISt17integral_constantIbLb1EES1C_EEDaS17_S18_EUlS17_E_NS1_11comp_targetILNS1_3genE9ELNS1_11target_archE1100ELNS1_3gpuE3ELNS1_3repE0EEENS1_30default_config_static_selectorELNS0_4arch9wavefront6targetE1EEEvT1_.uses_flat_scratch, 0
	.set _ZN7rocprim17ROCPRIM_400000_NS6detail17trampoline_kernelINS0_14default_configENS1_25partition_config_selectorILNS1_17partition_subalgoE9EllbEEZZNS1_14partition_implILS5_9ELb0ES3_jPlS8_PNS0_10empty_typeENS0_5tupleIJS8_S9_EEENSB_IJS8_SA_EEENS0_18inequality_wrapperIZN2at6native12_GLOBAL__N_124unique_dim_cuda_templateIN3c104HalfEEESt5tupleIJNSF_6TensorESM_SM_EERKSM_lbbbEUlllE0_EEPmJS9_EEE10hipError_tPvRmT3_T4_T5_T6_T7_T9_mT8_P12ihipStream_tbDpT10_ENKUlT_T0_E_clISt17integral_constantIbLb1EES1C_EEDaS17_S18_EUlS17_E_NS1_11comp_targetILNS1_3genE9ELNS1_11target_archE1100ELNS1_3gpuE3ELNS1_3repE0EEENS1_30default_config_static_selectorELNS0_4arch9wavefront6targetE1EEEvT1_.has_dyn_sized_stack, 0
	.set _ZN7rocprim17ROCPRIM_400000_NS6detail17trampoline_kernelINS0_14default_configENS1_25partition_config_selectorILNS1_17partition_subalgoE9EllbEEZZNS1_14partition_implILS5_9ELb0ES3_jPlS8_PNS0_10empty_typeENS0_5tupleIJS8_S9_EEENSB_IJS8_SA_EEENS0_18inequality_wrapperIZN2at6native12_GLOBAL__N_124unique_dim_cuda_templateIN3c104HalfEEESt5tupleIJNSF_6TensorESM_SM_EERKSM_lbbbEUlllE0_EEPmJS9_EEE10hipError_tPvRmT3_T4_T5_T6_T7_T9_mT8_P12ihipStream_tbDpT10_ENKUlT_T0_E_clISt17integral_constantIbLb1EES1C_EEDaS17_S18_EUlS17_E_NS1_11comp_targetILNS1_3genE9ELNS1_11target_archE1100ELNS1_3gpuE3ELNS1_3repE0EEENS1_30default_config_static_selectorELNS0_4arch9wavefront6targetE1EEEvT1_.has_recursion, 0
	.set _ZN7rocprim17ROCPRIM_400000_NS6detail17trampoline_kernelINS0_14default_configENS1_25partition_config_selectorILNS1_17partition_subalgoE9EllbEEZZNS1_14partition_implILS5_9ELb0ES3_jPlS8_PNS0_10empty_typeENS0_5tupleIJS8_S9_EEENSB_IJS8_SA_EEENS0_18inequality_wrapperIZN2at6native12_GLOBAL__N_124unique_dim_cuda_templateIN3c104HalfEEESt5tupleIJNSF_6TensorESM_SM_EERKSM_lbbbEUlllE0_EEPmJS9_EEE10hipError_tPvRmT3_T4_T5_T6_T7_T9_mT8_P12ihipStream_tbDpT10_ENKUlT_T0_E_clISt17integral_constantIbLb1EES1C_EEDaS17_S18_EUlS17_E_NS1_11comp_targetILNS1_3genE9ELNS1_11target_archE1100ELNS1_3gpuE3ELNS1_3repE0EEENS1_30default_config_static_selectorELNS0_4arch9wavefront6targetE1EEEvT1_.has_indirect_call, 0
	.section	.AMDGPU.csdata,"",@progbits
; Kernel info:
; codeLenInByte = 0
; TotalNumSgprs: 6
; NumVgprs: 0
; NumAgprs: 0
; TotalNumVgprs: 0
; ScratchSize: 0
; MemoryBound: 0
; FloatMode: 240
; IeeeMode: 1
; LDSByteSize: 0 bytes/workgroup (compile time only)
; SGPRBlocks: 0
; VGPRBlocks: 0
; NumSGPRsForWavesPerEU: 6
; NumVGPRsForWavesPerEU: 1
; AccumOffset: 4
; Occupancy: 8
; WaveLimiterHint : 0
; COMPUTE_PGM_RSRC2:SCRATCH_EN: 0
; COMPUTE_PGM_RSRC2:USER_SGPR: 2
; COMPUTE_PGM_RSRC2:TRAP_HANDLER: 0
; COMPUTE_PGM_RSRC2:TGID_X_EN: 1
; COMPUTE_PGM_RSRC2:TGID_Y_EN: 0
; COMPUTE_PGM_RSRC2:TGID_Z_EN: 0
; COMPUTE_PGM_RSRC2:TIDIG_COMP_CNT: 0
; COMPUTE_PGM_RSRC3_GFX90A:ACCUM_OFFSET: 0
; COMPUTE_PGM_RSRC3_GFX90A:TG_SPLIT: 0
	.section	.text._ZN7rocprim17ROCPRIM_400000_NS6detail17trampoline_kernelINS0_14default_configENS1_25partition_config_selectorILNS1_17partition_subalgoE9EllbEEZZNS1_14partition_implILS5_9ELb0ES3_jPlS8_PNS0_10empty_typeENS0_5tupleIJS8_S9_EEENSB_IJS8_SA_EEENS0_18inequality_wrapperIZN2at6native12_GLOBAL__N_124unique_dim_cuda_templateIN3c104HalfEEESt5tupleIJNSF_6TensorESM_SM_EERKSM_lbbbEUlllE0_EEPmJS9_EEE10hipError_tPvRmT3_T4_T5_T6_T7_T9_mT8_P12ihipStream_tbDpT10_ENKUlT_T0_E_clISt17integral_constantIbLb1EES1C_EEDaS17_S18_EUlS17_E_NS1_11comp_targetILNS1_3genE8ELNS1_11target_archE1030ELNS1_3gpuE2ELNS1_3repE0EEENS1_30default_config_static_selectorELNS0_4arch9wavefront6targetE1EEEvT1_,"axG",@progbits,_ZN7rocprim17ROCPRIM_400000_NS6detail17trampoline_kernelINS0_14default_configENS1_25partition_config_selectorILNS1_17partition_subalgoE9EllbEEZZNS1_14partition_implILS5_9ELb0ES3_jPlS8_PNS0_10empty_typeENS0_5tupleIJS8_S9_EEENSB_IJS8_SA_EEENS0_18inequality_wrapperIZN2at6native12_GLOBAL__N_124unique_dim_cuda_templateIN3c104HalfEEESt5tupleIJNSF_6TensorESM_SM_EERKSM_lbbbEUlllE0_EEPmJS9_EEE10hipError_tPvRmT3_T4_T5_T6_T7_T9_mT8_P12ihipStream_tbDpT10_ENKUlT_T0_E_clISt17integral_constantIbLb1EES1C_EEDaS17_S18_EUlS17_E_NS1_11comp_targetILNS1_3genE8ELNS1_11target_archE1030ELNS1_3gpuE2ELNS1_3repE0EEENS1_30default_config_static_selectorELNS0_4arch9wavefront6targetE1EEEvT1_,comdat
	.globl	_ZN7rocprim17ROCPRIM_400000_NS6detail17trampoline_kernelINS0_14default_configENS1_25partition_config_selectorILNS1_17partition_subalgoE9EllbEEZZNS1_14partition_implILS5_9ELb0ES3_jPlS8_PNS0_10empty_typeENS0_5tupleIJS8_S9_EEENSB_IJS8_SA_EEENS0_18inequality_wrapperIZN2at6native12_GLOBAL__N_124unique_dim_cuda_templateIN3c104HalfEEESt5tupleIJNSF_6TensorESM_SM_EERKSM_lbbbEUlllE0_EEPmJS9_EEE10hipError_tPvRmT3_T4_T5_T6_T7_T9_mT8_P12ihipStream_tbDpT10_ENKUlT_T0_E_clISt17integral_constantIbLb1EES1C_EEDaS17_S18_EUlS17_E_NS1_11comp_targetILNS1_3genE8ELNS1_11target_archE1030ELNS1_3gpuE2ELNS1_3repE0EEENS1_30default_config_static_selectorELNS0_4arch9wavefront6targetE1EEEvT1_ ; -- Begin function _ZN7rocprim17ROCPRIM_400000_NS6detail17trampoline_kernelINS0_14default_configENS1_25partition_config_selectorILNS1_17partition_subalgoE9EllbEEZZNS1_14partition_implILS5_9ELb0ES3_jPlS8_PNS0_10empty_typeENS0_5tupleIJS8_S9_EEENSB_IJS8_SA_EEENS0_18inequality_wrapperIZN2at6native12_GLOBAL__N_124unique_dim_cuda_templateIN3c104HalfEEESt5tupleIJNSF_6TensorESM_SM_EERKSM_lbbbEUlllE0_EEPmJS9_EEE10hipError_tPvRmT3_T4_T5_T6_T7_T9_mT8_P12ihipStream_tbDpT10_ENKUlT_T0_E_clISt17integral_constantIbLb1EES1C_EEDaS17_S18_EUlS17_E_NS1_11comp_targetILNS1_3genE8ELNS1_11target_archE1030ELNS1_3gpuE2ELNS1_3repE0EEENS1_30default_config_static_selectorELNS0_4arch9wavefront6targetE1EEEvT1_
	.p2align	8
	.type	_ZN7rocprim17ROCPRIM_400000_NS6detail17trampoline_kernelINS0_14default_configENS1_25partition_config_selectorILNS1_17partition_subalgoE9EllbEEZZNS1_14partition_implILS5_9ELb0ES3_jPlS8_PNS0_10empty_typeENS0_5tupleIJS8_S9_EEENSB_IJS8_SA_EEENS0_18inequality_wrapperIZN2at6native12_GLOBAL__N_124unique_dim_cuda_templateIN3c104HalfEEESt5tupleIJNSF_6TensorESM_SM_EERKSM_lbbbEUlllE0_EEPmJS9_EEE10hipError_tPvRmT3_T4_T5_T6_T7_T9_mT8_P12ihipStream_tbDpT10_ENKUlT_T0_E_clISt17integral_constantIbLb1EES1C_EEDaS17_S18_EUlS17_E_NS1_11comp_targetILNS1_3genE8ELNS1_11target_archE1030ELNS1_3gpuE2ELNS1_3repE0EEENS1_30default_config_static_selectorELNS0_4arch9wavefront6targetE1EEEvT1_,@function
_ZN7rocprim17ROCPRIM_400000_NS6detail17trampoline_kernelINS0_14default_configENS1_25partition_config_selectorILNS1_17partition_subalgoE9EllbEEZZNS1_14partition_implILS5_9ELb0ES3_jPlS8_PNS0_10empty_typeENS0_5tupleIJS8_S9_EEENSB_IJS8_SA_EEENS0_18inequality_wrapperIZN2at6native12_GLOBAL__N_124unique_dim_cuda_templateIN3c104HalfEEESt5tupleIJNSF_6TensorESM_SM_EERKSM_lbbbEUlllE0_EEPmJS9_EEE10hipError_tPvRmT3_T4_T5_T6_T7_T9_mT8_P12ihipStream_tbDpT10_ENKUlT_T0_E_clISt17integral_constantIbLb1EES1C_EEDaS17_S18_EUlS17_E_NS1_11comp_targetILNS1_3genE8ELNS1_11target_archE1030ELNS1_3gpuE2ELNS1_3repE0EEENS1_30default_config_static_selectorELNS0_4arch9wavefront6targetE1EEEvT1_: ; @_ZN7rocprim17ROCPRIM_400000_NS6detail17trampoline_kernelINS0_14default_configENS1_25partition_config_selectorILNS1_17partition_subalgoE9EllbEEZZNS1_14partition_implILS5_9ELb0ES3_jPlS8_PNS0_10empty_typeENS0_5tupleIJS8_S9_EEENSB_IJS8_SA_EEENS0_18inequality_wrapperIZN2at6native12_GLOBAL__N_124unique_dim_cuda_templateIN3c104HalfEEESt5tupleIJNSF_6TensorESM_SM_EERKSM_lbbbEUlllE0_EEPmJS9_EEE10hipError_tPvRmT3_T4_T5_T6_T7_T9_mT8_P12ihipStream_tbDpT10_ENKUlT_T0_E_clISt17integral_constantIbLb1EES1C_EEDaS17_S18_EUlS17_E_NS1_11comp_targetILNS1_3genE8ELNS1_11target_archE1030ELNS1_3gpuE2ELNS1_3repE0EEENS1_30default_config_static_selectorELNS0_4arch9wavefront6targetE1EEEvT1_
; %bb.0:
	.section	.rodata,"a",@progbits
	.p2align	6, 0x0
	.amdhsa_kernel _ZN7rocprim17ROCPRIM_400000_NS6detail17trampoline_kernelINS0_14default_configENS1_25partition_config_selectorILNS1_17partition_subalgoE9EllbEEZZNS1_14partition_implILS5_9ELb0ES3_jPlS8_PNS0_10empty_typeENS0_5tupleIJS8_S9_EEENSB_IJS8_SA_EEENS0_18inequality_wrapperIZN2at6native12_GLOBAL__N_124unique_dim_cuda_templateIN3c104HalfEEESt5tupleIJNSF_6TensorESM_SM_EERKSM_lbbbEUlllE0_EEPmJS9_EEE10hipError_tPvRmT3_T4_T5_T6_T7_T9_mT8_P12ihipStream_tbDpT10_ENKUlT_T0_E_clISt17integral_constantIbLb1EES1C_EEDaS17_S18_EUlS17_E_NS1_11comp_targetILNS1_3genE8ELNS1_11target_archE1030ELNS1_3gpuE2ELNS1_3repE0EEENS1_30default_config_static_selectorELNS0_4arch9wavefront6targetE1EEEvT1_
		.amdhsa_group_segment_fixed_size 0
		.amdhsa_private_segment_fixed_size 0
		.amdhsa_kernarg_size 136
		.amdhsa_user_sgpr_count 2
		.amdhsa_user_sgpr_dispatch_ptr 0
		.amdhsa_user_sgpr_queue_ptr 0
		.amdhsa_user_sgpr_kernarg_segment_ptr 1
		.amdhsa_user_sgpr_dispatch_id 0
		.amdhsa_user_sgpr_kernarg_preload_length 0
		.amdhsa_user_sgpr_kernarg_preload_offset 0
		.amdhsa_user_sgpr_private_segment_size 0
		.amdhsa_uses_dynamic_stack 0
		.amdhsa_enable_private_segment 0
		.amdhsa_system_sgpr_workgroup_id_x 1
		.amdhsa_system_sgpr_workgroup_id_y 0
		.amdhsa_system_sgpr_workgroup_id_z 0
		.amdhsa_system_sgpr_workgroup_info 0
		.amdhsa_system_vgpr_workitem_id 0
		.amdhsa_next_free_vgpr 1
		.amdhsa_next_free_sgpr 0
		.amdhsa_accum_offset 4
		.amdhsa_reserve_vcc 0
		.amdhsa_float_round_mode_32 0
		.amdhsa_float_round_mode_16_64 0
		.amdhsa_float_denorm_mode_32 3
		.amdhsa_float_denorm_mode_16_64 3
		.amdhsa_dx10_clamp 1
		.amdhsa_ieee_mode 1
		.amdhsa_fp16_overflow 0
		.amdhsa_tg_split 0
		.amdhsa_exception_fp_ieee_invalid_op 0
		.amdhsa_exception_fp_denorm_src 0
		.amdhsa_exception_fp_ieee_div_zero 0
		.amdhsa_exception_fp_ieee_overflow 0
		.amdhsa_exception_fp_ieee_underflow 0
		.amdhsa_exception_fp_ieee_inexact 0
		.amdhsa_exception_int_div_zero 0
	.end_amdhsa_kernel
	.section	.text._ZN7rocprim17ROCPRIM_400000_NS6detail17trampoline_kernelINS0_14default_configENS1_25partition_config_selectorILNS1_17partition_subalgoE9EllbEEZZNS1_14partition_implILS5_9ELb0ES3_jPlS8_PNS0_10empty_typeENS0_5tupleIJS8_S9_EEENSB_IJS8_SA_EEENS0_18inequality_wrapperIZN2at6native12_GLOBAL__N_124unique_dim_cuda_templateIN3c104HalfEEESt5tupleIJNSF_6TensorESM_SM_EERKSM_lbbbEUlllE0_EEPmJS9_EEE10hipError_tPvRmT3_T4_T5_T6_T7_T9_mT8_P12ihipStream_tbDpT10_ENKUlT_T0_E_clISt17integral_constantIbLb1EES1C_EEDaS17_S18_EUlS17_E_NS1_11comp_targetILNS1_3genE8ELNS1_11target_archE1030ELNS1_3gpuE2ELNS1_3repE0EEENS1_30default_config_static_selectorELNS0_4arch9wavefront6targetE1EEEvT1_,"axG",@progbits,_ZN7rocprim17ROCPRIM_400000_NS6detail17trampoline_kernelINS0_14default_configENS1_25partition_config_selectorILNS1_17partition_subalgoE9EllbEEZZNS1_14partition_implILS5_9ELb0ES3_jPlS8_PNS0_10empty_typeENS0_5tupleIJS8_S9_EEENSB_IJS8_SA_EEENS0_18inequality_wrapperIZN2at6native12_GLOBAL__N_124unique_dim_cuda_templateIN3c104HalfEEESt5tupleIJNSF_6TensorESM_SM_EERKSM_lbbbEUlllE0_EEPmJS9_EEE10hipError_tPvRmT3_T4_T5_T6_T7_T9_mT8_P12ihipStream_tbDpT10_ENKUlT_T0_E_clISt17integral_constantIbLb1EES1C_EEDaS17_S18_EUlS17_E_NS1_11comp_targetILNS1_3genE8ELNS1_11target_archE1030ELNS1_3gpuE2ELNS1_3repE0EEENS1_30default_config_static_selectorELNS0_4arch9wavefront6targetE1EEEvT1_,comdat
.Lfunc_end1344:
	.size	_ZN7rocprim17ROCPRIM_400000_NS6detail17trampoline_kernelINS0_14default_configENS1_25partition_config_selectorILNS1_17partition_subalgoE9EllbEEZZNS1_14partition_implILS5_9ELb0ES3_jPlS8_PNS0_10empty_typeENS0_5tupleIJS8_S9_EEENSB_IJS8_SA_EEENS0_18inequality_wrapperIZN2at6native12_GLOBAL__N_124unique_dim_cuda_templateIN3c104HalfEEESt5tupleIJNSF_6TensorESM_SM_EERKSM_lbbbEUlllE0_EEPmJS9_EEE10hipError_tPvRmT3_T4_T5_T6_T7_T9_mT8_P12ihipStream_tbDpT10_ENKUlT_T0_E_clISt17integral_constantIbLb1EES1C_EEDaS17_S18_EUlS17_E_NS1_11comp_targetILNS1_3genE8ELNS1_11target_archE1030ELNS1_3gpuE2ELNS1_3repE0EEENS1_30default_config_static_selectorELNS0_4arch9wavefront6targetE1EEEvT1_, .Lfunc_end1344-_ZN7rocprim17ROCPRIM_400000_NS6detail17trampoline_kernelINS0_14default_configENS1_25partition_config_selectorILNS1_17partition_subalgoE9EllbEEZZNS1_14partition_implILS5_9ELb0ES3_jPlS8_PNS0_10empty_typeENS0_5tupleIJS8_S9_EEENSB_IJS8_SA_EEENS0_18inequality_wrapperIZN2at6native12_GLOBAL__N_124unique_dim_cuda_templateIN3c104HalfEEESt5tupleIJNSF_6TensorESM_SM_EERKSM_lbbbEUlllE0_EEPmJS9_EEE10hipError_tPvRmT3_T4_T5_T6_T7_T9_mT8_P12ihipStream_tbDpT10_ENKUlT_T0_E_clISt17integral_constantIbLb1EES1C_EEDaS17_S18_EUlS17_E_NS1_11comp_targetILNS1_3genE8ELNS1_11target_archE1030ELNS1_3gpuE2ELNS1_3repE0EEENS1_30default_config_static_selectorELNS0_4arch9wavefront6targetE1EEEvT1_
                                        ; -- End function
	.set _ZN7rocprim17ROCPRIM_400000_NS6detail17trampoline_kernelINS0_14default_configENS1_25partition_config_selectorILNS1_17partition_subalgoE9EllbEEZZNS1_14partition_implILS5_9ELb0ES3_jPlS8_PNS0_10empty_typeENS0_5tupleIJS8_S9_EEENSB_IJS8_SA_EEENS0_18inequality_wrapperIZN2at6native12_GLOBAL__N_124unique_dim_cuda_templateIN3c104HalfEEESt5tupleIJNSF_6TensorESM_SM_EERKSM_lbbbEUlllE0_EEPmJS9_EEE10hipError_tPvRmT3_T4_T5_T6_T7_T9_mT8_P12ihipStream_tbDpT10_ENKUlT_T0_E_clISt17integral_constantIbLb1EES1C_EEDaS17_S18_EUlS17_E_NS1_11comp_targetILNS1_3genE8ELNS1_11target_archE1030ELNS1_3gpuE2ELNS1_3repE0EEENS1_30default_config_static_selectorELNS0_4arch9wavefront6targetE1EEEvT1_.num_vgpr, 0
	.set _ZN7rocprim17ROCPRIM_400000_NS6detail17trampoline_kernelINS0_14default_configENS1_25partition_config_selectorILNS1_17partition_subalgoE9EllbEEZZNS1_14partition_implILS5_9ELb0ES3_jPlS8_PNS0_10empty_typeENS0_5tupleIJS8_S9_EEENSB_IJS8_SA_EEENS0_18inequality_wrapperIZN2at6native12_GLOBAL__N_124unique_dim_cuda_templateIN3c104HalfEEESt5tupleIJNSF_6TensorESM_SM_EERKSM_lbbbEUlllE0_EEPmJS9_EEE10hipError_tPvRmT3_T4_T5_T6_T7_T9_mT8_P12ihipStream_tbDpT10_ENKUlT_T0_E_clISt17integral_constantIbLb1EES1C_EEDaS17_S18_EUlS17_E_NS1_11comp_targetILNS1_3genE8ELNS1_11target_archE1030ELNS1_3gpuE2ELNS1_3repE0EEENS1_30default_config_static_selectorELNS0_4arch9wavefront6targetE1EEEvT1_.num_agpr, 0
	.set _ZN7rocprim17ROCPRIM_400000_NS6detail17trampoline_kernelINS0_14default_configENS1_25partition_config_selectorILNS1_17partition_subalgoE9EllbEEZZNS1_14partition_implILS5_9ELb0ES3_jPlS8_PNS0_10empty_typeENS0_5tupleIJS8_S9_EEENSB_IJS8_SA_EEENS0_18inequality_wrapperIZN2at6native12_GLOBAL__N_124unique_dim_cuda_templateIN3c104HalfEEESt5tupleIJNSF_6TensorESM_SM_EERKSM_lbbbEUlllE0_EEPmJS9_EEE10hipError_tPvRmT3_T4_T5_T6_T7_T9_mT8_P12ihipStream_tbDpT10_ENKUlT_T0_E_clISt17integral_constantIbLb1EES1C_EEDaS17_S18_EUlS17_E_NS1_11comp_targetILNS1_3genE8ELNS1_11target_archE1030ELNS1_3gpuE2ELNS1_3repE0EEENS1_30default_config_static_selectorELNS0_4arch9wavefront6targetE1EEEvT1_.numbered_sgpr, 0
	.set _ZN7rocprim17ROCPRIM_400000_NS6detail17trampoline_kernelINS0_14default_configENS1_25partition_config_selectorILNS1_17partition_subalgoE9EllbEEZZNS1_14partition_implILS5_9ELb0ES3_jPlS8_PNS0_10empty_typeENS0_5tupleIJS8_S9_EEENSB_IJS8_SA_EEENS0_18inequality_wrapperIZN2at6native12_GLOBAL__N_124unique_dim_cuda_templateIN3c104HalfEEESt5tupleIJNSF_6TensorESM_SM_EERKSM_lbbbEUlllE0_EEPmJS9_EEE10hipError_tPvRmT3_T4_T5_T6_T7_T9_mT8_P12ihipStream_tbDpT10_ENKUlT_T0_E_clISt17integral_constantIbLb1EES1C_EEDaS17_S18_EUlS17_E_NS1_11comp_targetILNS1_3genE8ELNS1_11target_archE1030ELNS1_3gpuE2ELNS1_3repE0EEENS1_30default_config_static_selectorELNS0_4arch9wavefront6targetE1EEEvT1_.num_named_barrier, 0
	.set _ZN7rocprim17ROCPRIM_400000_NS6detail17trampoline_kernelINS0_14default_configENS1_25partition_config_selectorILNS1_17partition_subalgoE9EllbEEZZNS1_14partition_implILS5_9ELb0ES3_jPlS8_PNS0_10empty_typeENS0_5tupleIJS8_S9_EEENSB_IJS8_SA_EEENS0_18inequality_wrapperIZN2at6native12_GLOBAL__N_124unique_dim_cuda_templateIN3c104HalfEEESt5tupleIJNSF_6TensorESM_SM_EERKSM_lbbbEUlllE0_EEPmJS9_EEE10hipError_tPvRmT3_T4_T5_T6_T7_T9_mT8_P12ihipStream_tbDpT10_ENKUlT_T0_E_clISt17integral_constantIbLb1EES1C_EEDaS17_S18_EUlS17_E_NS1_11comp_targetILNS1_3genE8ELNS1_11target_archE1030ELNS1_3gpuE2ELNS1_3repE0EEENS1_30default_config_static_selectorELNS0_4arch9wavefront6targetE1EEEvT1_.private_seg_size, 0
	.set _ZN7rocprim17ROCPRIM_400000_NS6detail17trampoline_kernelINS0_14default_configENS1_25partition_config_selectorILNS1_17partition_subalgoE9EllbEEZZNS1_14partition_implILS5_9ELb0ES3_jPlS8_PNS0_10empty_typeENS0_5tupleIJS8_S9_EEENSB_IJS8_SA_EEENS0_18inequality_wrapperIZN2at6native12_GLOBAL__N_124unique_dim_cuda_templateIN3c104HalfEEESt5tupleIJNSF_6TensorESM_SM_EERKSM_lbbbEUlllE0_EEPmJS9_EEE10hipError_tPvRmT3_T4_T5_T6_T7_T9_mT8_P12ihipStream_tbDpT10_ENKUlT_T0_E_clISt17integral_constantIbLb1EES1C_EEDaS17_S18_EUlS17_E_NS1_11comp_targetILNS1_3genE8ELNS1_11target_archE1030ELNS1_3gpuE2ELNS1_3repE0EEENS1_30default_config_static_selectorELNS0_4arch9wavefront6targetE1EEEvT1_.uses_vcc, 0
	.set _ZN7rocprim17ROCPRIM_400000_NS6detail17trampoline_kernelINS0_14default_configENS1_25partition_config_selectorILNS1_17partition_subalgoE9EllbEEZZNS1_14partition_implILS5_9ELb0ES3_jPlS8_PNS0_10empty_typeENS0_5tupleIJS8_S9_EEENSB_IJS8_SA_EEENS0_18inequality_wrapperIZN2at6native12_GLOBAL__N_124unique_dim_cuda_templateIN3c104HalfEEESt5tupleIJNSF_6TensorESM_SM_EERKSM_lbbbEUlllE0_EEPmJS9_EEE10hipError_tPvRmT3_T4_T5_T6_T7_T9_mT8_P12ihipStream_tbDpT10_ENKUlT_T0_E_clISt17integral_constantIbLb1EES1C_EEDaS17_S18_EUlS17_E_NS1_11comp_targetILNS1_3genE8ELNS1_11target_archE1030ELNS1_3gpuE2ELNS1_3repE0EEENS1_30default_config_static_selectorELNS0_4arch9wavefront6targetE1EEEvT1_.uses_flat_scratch, 0
	.set _ZN7rocprim17ROCPRIM_400000_NS6detail17trampoline_kernelINS0_14default_configENS1_25partition_config_selectorILNS1_17partition_subalgoE9EllbEEZZNS1_14partition_implILS5_9ELb0ES3_jPlS8_PNS0_10empty_typeENS0_5tupleIJS8_S9_EEENSB_IJS8_SA_EEENS0_18inequality_wrapperIZN2at6native12_GLOBAL__N_124unique_dim_cuda_templateIN3c104HalfEEESt5tupleIJNSF_6TensorESM_SM_EERKSM_lbbbEUlllE0_EEPmJS9_EEE10hipError_tPvRmT3_T4_T5_T6_T7_T9_mT8_P12ihipStream_tbDpT10_ENKUlT_T0_E_clISt17integral_constantIbLb1EES1C_EEDaS17_S18_EUlS17_E_NS1_11comp_targetILNS1_3genE8ELNS1_11target_archE1030ELNS1_3gpuE2ELNS1_3repE0EEENS1_30default_config_static_selectorELNS0_4arch9wavefront6targetE1EEEvT1_.has_dyn_sized_stack, 0
	.set _ZN7rocprim17ROCPRIM_400000_NS6detail17trampoline_kernelINS0_14default_configENS1_25partition_config_selectorILNS1_17partition_subalgoE9EllbEEZZNS1_14partition_implILS5_9ELb0ES3_jPlS8_PNS0_10empty_typeENS0_5tupleIJS8_S9_EEENSB_IJS8_SA_EEENS0_18inequality_wrapperIZN2at6native12_GLOBAL__N_124unique_dim_cuda_templateIN3c104HalfEEESt5tupleIJNSF_6TensorESM_SM_EERKSM_lbbbEUlllE0_EEPmJS9_EEE10hipError_tPvRmT3_T4_T5_T6_T7_T9_mT8_P12ihipStream_tbDpT10_ENKUlT_T0_E_clISt17integral_constantIbLb1EES1C_EEDaS17_S18_EUlS17_E_NS1_11comp_targetILNS1_3genE8ELNS1_11target_archE1030ELNS1_3gpuE2ELNS1_3repE0EEENS1_30default_config_static_selectorELNS0_4arch9wavefront6targetE1EEEvT1_.has_recursion, 0
	.set _ZN7rocprim17ROCPRIM_400000_NS6detail17trampoline_kernelINS0_14default_configENS1_25partition_config_selectorILNS1_17partition_subalgoE9EllbEEZZNS1_14partition_implILS5_9ELb0ES3_jPlS8_PNS0_10empty_typeENS0_5tupleIJS8_S9_EEENSB_IJS8_SA_EEENS0_18inequality_wrapperIZN2at6native12_GLOBAL__N_124unique_dim_cuda_templateIN3c104HalfEEESt5tupleIJNSF_6TensorESM_SM_EERKSM_lbbbEUlllE0_EEPmJS9_EEE10hipError_tPvRmT3_T4_T5_T6_T7_T9_mT8_P12ihipStream_tbDpT10_ENKUlT_T0_E_clISt17integral_constantIbLb1EES1C_EEDaS17_S18_EUlS17_E_NS1_11comp_targetILNS1_3genE8ELNS1_11target_archE1030ELNS1_3gpuE2ELNS1_3repE0EEENS1_30default_config_static_selectorELNS0_4arch9wavefront6targetE1EEEvT1_.has_indirect_call, 0
	.section	.AMDGPU.csdata,"",@progbits
; Kernel info:
; codeLenInByte = 0
; TotalNumSgprs: 6
; NumVgprs: 0
; NumAgprs: 0
; TotalNumVgprs: 0
; ScratchSize: 0
; MemoryBound: 0
; FloatMode: 240
; IeeeMode: 1
; LDSByteSize: 0 bytes/workgroup (compile time only)
; SGPRBlocks: 0
; VGPRBlocks: 0
; NumSGPRsForWavesPerEU: 6
; NumVGPRsForWavesPerEU: 1
; AccumOffset: 4
; Occupancy: 8
; WaveLimiterHint : 0
; COMPUTE_PGM_RSRC2:SCRATCH_EN: 0
; COMPUTE_PGM_RSRC2:USER_SGPR: 2
; COMPUTE_PGM_RSRC2:TRAP_HANDLER: 0
; COMPUTE_PGM_RSRC2:TGID_X_EN: 1
; COMPUTE_PGM_RSRC2:TGID_Y_EN: 0
; COMPUTE_PGM_RSRC2:TGID_Z_EN: 0
; COMPUTE_PGM_RSRC2:TIDIG_COMP_CNT: 0
; COMPUTE_PGM_RSRC3_GFX90A:ACCUM_OFFSET: 0
; COMPUTE_PGM_RSRC3_GFX90A:TG_SPLIT: 0
	.section	.text._ZN7rocprim17ROCPRIM_400000_NS6detail17trampoline_kernelINS0_14default_configENS1_25partition_config_selectorILNS1_17partition_subalgoE9EllbEEZZNS1_14partition_implILS5_9ELb0ES3_jPlS8_PNS0_10empty_typeENS0_5tupleIJS8_S9_EEENSB_IJS8_SA_EEENS0_18inequality_wrapperIZN2at6native12_GLOBAL__N_124unique_dim_cuda_templateIN3c104HalfEEESt5tupleIJNSF_6TensorESM_SM_EERKSM_lbbbEUlllE0_EEPmJS9_EEE10hipError_tPvRmT3_T4_T5_T6_T7_T9_mT8_P12ihipStream_tbDpT10_ENKUlT_T0_E_clISt17integral_constantIbLb1EES1B_IbLb0EEEEDaS17_S18_EUlS17_E_NS1_11comp_targetILNS1_3genE0ELNS1_11target_archE4294967295ELNS1_3gpuE0ELNS1_3repE0EEENS1_30default_config_static_selectorELNS0_4arch9wavefront6targetE1EEEvT1_,"axG",@progbits,_ZN7rocprim17ROCPRIM_400000_NS6detail17trampoline_kernelINS0_14default_configENS1_25partition_config_selectorILNS1_17partition_subalgoE9EllbEEZZNS1_14partition_implILS5_9ELb0ES3_jPlS8_PNS0_10empty_typeENS0_5tupleIJS8_S9_EEENSB_IJS8_SA_EEENS0_18inequality_wrapperIZN2at6native12_GLOBAL__N_124unique_dim_cuda_templateIN3c104HalfEEESt5tupleIJNSF_6TensorESM_SM_EERKSM_lbbbEUlllE0_EEPmJS9_EEE10hipError_tPvRmT3_T4_T5_T6_T7_T9_mT8_P12ihipStream_tbDpT10_ENKUlT_T0_E_clISt17integral_constantIbLb1EES1B_IbLb0EEEEDaS17_S18_EUlS17_E_NS1_11comp_targetILNS1_3genE0ELNS1_11target_archE4294967295ELNS1_3gpuE0ELNS1_3repE0EEENS1_30default_config_static_selectorELNS0_4arch9wavefront6targetE1EEEvT1_,comdat
	.globl	_ZN7rocprim17ROCPRIM_400000_NS6detail17trampoline_kernelINS0_14default_configENS1_25partition_config_selectorILNS1_17partition_subalgoE9EllbEEZZNS1_14partition_implILS5_9ELb0ES3_jPlS8_PNS0_10empty_typeENS0_5tupleIJS8_S9_EEENSB_IJS8_SA_EEENS0_18inequality_wrapperIZN2at6native12_GLOBAL__N_124unique_dim_cuda_templateIN3c104HalfEEESt5tupleIJNSF_6TensorESM_SM_EERKSM_lbbbEUlllE0_EEPmJS9_EEE10hipError_tPvRmT3_T4_T5_T6_T7_T9_mT8_P12ihipStream_tbDpT10_ENKUlT_T0_E_clISt17integral_constantIbLb1EES1B_IbLb0EEEEDaS17_S18_EUlS17_E_NS1_11comp_targetILNS1_3genE0ELNS1_11target_archE4294967295ELNS1_3gpuE0ELNS1_3repE0EEENS1_30default_config_static_selectorELNS0_4arch9wavefront6targetE1EEEvT1_ ; -- Begin function _ZN7rocprim17ROCPRIM_400000_NS6detail17trampoline_kernelINS0_14default_configENS1_25partition_config_selectorILNS1_17partition_subalgoE9EllbEEZZNS1_14partition_implILS5_9ELb0ES3_jPlS8_PNS0_10empty_typeENS0_5tupleIJS8_S9_EEENSB_IJS8_SA_EEENS0_18inequality_wrapperIZN2at6native12_GLOBAL__N_124unique_dim_cuda_templateIN3c104HalfEEESt5tupleIJNSF_6TensorESM_SM_EERKSM_lbbbEUlllE0_EEPmJS9_EEE10hipError_tPvRmT3_T4_T5_T6_T7_T9_mT8_P12ihipStream_tbDpT10_ENKUlT_T0_E_clISt17integral_constantIbLb1EES1B_IbLb0EEEEDaS17_S18_EUlS17_E_NS1_11comp_targetILNS1_3genE0ELNS1_11target_archE4294967295ELNS1_3gpuE0ELNS1_3repE0EEENS1_30default_config_static_selectorELNS0_4arch9wavefront6targetE1EEEvT1_
	.p2align	8
	.type	_ZN7rocprim17ROCPRIM_400000_NS6detail17trampoline_kernelINS0_14default_configENS1_25partition_config_selectorILNS1_17partition_subalgoE9EllbEEZZNS1_14partition_implILS5_9ELb0ES3_jPlS8_PNS0_10empty_typeENS0_5tupleIJS8_S9_EEENSB_IJS8_SA_EEENS0_18inequality_wrapperIZN2at6native12_GLOBAL__N_124unique_dim_cuda_templateIN3c104HalfEEESt5tupleIJNSF_6TensorESM_SM_EERKSM_lbbbEUlllE0_EEPmJS9_EEE10hipError_tPvRmT3_T4_T5_T6_T7_T9_mT8_P12ihipStream_tbDpT10_ENKUlT_T0_E_clISt17integral_constantIbLb1EES1B_IbLb0EEEEDaS17_S18_EUlS17_E_NS1_11comp_targetILNS1_3genE0ELNS1_11target_archE4294967295ELNS1_3gpuE0ELNS1_3repE0EEENS1_30default_config_static_selectorELNS0_4arch9wavefront6targetE1EEEvT1_,@function
_ZN7rocprim17ROCPRIM_400000_NS6detail17trampoline_kernelINS0_14default_configENS1_25partition_config_selectorILNS1_17partition_subalgoE9EllbEEZZNS1_14partition_implILS5_9ELb0ES3_jPlS8_PNS0_10empty_typeENS0_5tupleIJS8_S9_EEENSB_IJS8_SA_EEENS0_18inequality_wrapperIZN2at6native12_GLOBAL__N_124unique_dim_cuda_templateIN3c104HalfEEESt5tupleIJNSF_6TensorESM_SM_EERKSM_lbbbEUlllE0_EEPmJS9_EEE10hipError_tPvRmT3_T4_T5_T6_T7_T9_mT8_P12ihipStream_tbDpT10_ENKUlT_T0_E_clISt17integral_constantIbLb1EES1B_IbLb0EEEEDaS17_S18_EUlS17_E_NS1_11comp_targetILNS1_3genE0ELNS1_11target_archE4294967295ELNS1_3gpuE0ELNS1_3repE0EEENS1_30default_config_static_selectorELNS0_4arch9wavefront6targetE1EEEvT1_: ; @_ZN7rocprim17ROCPRIM_400000_NS6detail17trampoline_kernelINS0_14default_configENS1_25partition_config_selectorILNS1_17partition_subalgoE9EllbEEZZNS1_14partition_implILS5_9ELb0ES3_jPlS8_PNS0_10empty_typeENS0_5tupleIJS8_S9_EEENSB_IJS8_SA_EEENS0_18inequality_wrapperIZN2at6native12_GLOBAL__N_124unique_dim_cuda_templateIN3c104HalfEEESt5tupleIJNSF_6TensorESM_SM_EERKSM_lbbbEUlllE0_EEPmJS9_EEE10hipError_tPvRmT3_T4_T5_T6_T7_T9_mT8_P12ihipStream_tbDpT10_ENKUlT_T0_E_clISt17integral_constantIbLb1EES1B_IbLb0EEEEDaS17_S18_EUlS17_E_NS1_11comp_targetILNS1_3genE0ELNS1_11target_archE4294967295ELNS1_3gpuE0ELNS1_3repE0EEENS1_30default_config_static_selectorELNS0_4arch9wavefront6targetE1EEEvT1_
; %bb.0:
	s_endpgm
	.section	.rodata,"a",@progbits
	.p2align	6, 0x0
	.amdhsa_kernel _ZN7rocprim17ROCPRIM_400000_NS6detail17trampoline_kernelINS0_14default_configENS1_25partition_config_selectorILNS1_17partition_subalgoE9EllbEEZZNS1_14partition_implILS5_9ELb0ES3_jPlS8_PNS0_10empty_typeENS0_5tupleIJS8_S9_EEENSB_IJS8_SA_EEENS0_18inequality_wrapperIZN2at6native12_GLOBAL__N_124unique_dim_cuda_templateIN3c104HalfEEESt5tupleIJNSF_6TensorESM_SM_EERKSM_lbbbEUlllE0_EEPmJS9_EEE10hipError_tPvRmT3_T4_T5_T6_T7_T9_mT8_P12ihipStream_tbDpT10_ENKUlT_T0_E_clISt17integral_constantIbLb1EES1B_IbLb0EEEEDaS17_S18_EUlS17_E_NS1_11comp_targetILNS1_3genE0ELNS1_11target_archE4294967295ELNS1_3gpuE0ELNS1_3repE0EEENS1_30default_config_static_selectorELNS0_4arch9wavefront6targetE1EEEvT1_
		.amdhsa_group_segment_fixed_size 0
		.amdhsa_private_segment_fixed_size 0
		.amdhsa_kernarg_size 120
		.amdhsa_user_sgpr_count 2
		.amdhsa_user_sgpr_dispatch_ptr 0
		.amdhsa_user_sgpr_queue_ptr 0
		.amdhsa_user_sgpr_kernarg_segment_ptr 1
		.amdhsa_user_sgpr_dispatch_id 0
		.amdhsa_user_sgpr_kernarg_preload_length 0
		.amdhsa_user_sgpr_kernarg_preload_offset 0
		.amdhsa_user_sgpr_private_segment_size 0
		.amdhsa_uses_dynamic_stack 0
		.amdhsa_enable_private_segment 0
		.amdhsa_system_sgpr_workgroup_id_x 1
		.amdhsa_system_sgpr_workgroup_id_y 0
		.amdhsa_system_sgpr_workgroup_id_z 0
		.amdhsa_system_sgpr_workgroup_info 0
		.amdhsa_system_vgpr_workitem_id 0
		.amdhsa_next_free_vgpr 1
		.amdhsa_next_free_sgpr 0
		.amdhsa_accum_offset 4
		.amdhsa_reserve_vcc 0
		.amdhsa_float_round_mode_32 0
		.amdhsa_float_round_mode_16_64 0
		.amdhsa_float_denorm_mode_32 3
		.amdhsa_float_denorm_mode_16_64 3
		.amdhsa_dx10_clamp 1
		.amdhsa_ieee_mode 1
		.amdhsa_fp16_overflow 0
		.amdhsa_tg_split 0
		.amdhsa_exception_fp_ieee_invalid_op 0
		.amdhsa_exception_fp_denorm_src 0
		.amdhsa_exception_fp_ieee_div_zero 0
		.amdhsa_exception_fp_ieee_overflow 0
		.amdhsa_exception_fp_ieee_underflow 0
		.amdhsa_exception_fp_ieee_inexact 0
		.amdhsa_exception_int_div_zero 0
	.end_amdhsa_kernel
	.section	.text._ZN7rocprim17ROCPRIM_400000_NS6detail17trampoline_kernelINS0_14default_configENS1_25partition_config_selectorILNS1_17partition_subalgoE9EllbEEZZNS1_14partition_implILS5_9ELb0ES3_jPlS8_PNS0_10empty_typeENS0_5tupleIJS8_S9_EEENSB_IJS8_SA_EEENS0_18inequality_wrapperIZN2at6native12_GLOBAL__N_124unique_dim_cuda_templateIN3c104HalfEEESt5tupleIJNSF_6TensorESM_SM_EERKSM_lbbbEUlllE0_EEPmJS9_EEE10hipError_tPvRmT3_T4_T5_T6_T7_T9_mT8_P12ihipStream_tbDpT10_ENKUlT_T0_E_clISt17integral_constantIbLb1EES1B_IbLb0EEEEDaS17_S18_EUlS17_E_NS1_11comp_targetILNS1_3genE0ELNS1_11target_archE4294967295ELNS1_3gpuE0ELNS1_3repE0EEENS1_30default_config_static_selectorELNS0_4arch9wavefront6targetE1EEEvT1_,"axG",@progbits,_ZN7rocprim17ROCPRIM_400000_NS6detail17trampoline_kernelINS0_14default_configENS1_25partition_config_selectorILNS1_17partition_subalgoE9EllbEEZZNS1_14partition_implILS5_9ELb0ES3_jPlS8_PNS0_10empty_typeENS0_5tupleIJS8_S9_EEENSB_IJS8_SA_EEENS0_18inequality_wrapperIZN2at6native12_GLOBAL__N_124unique_dim_cuda_templateIN3c104HalfEEESt5tupleIJNSF_6TensorESM_SM_EERKSM_lbbbEUlllE0_EEPmJS9_EEE10hipError_tPvRmT3_T4_T5_T6_T7_T9_mT8_P12ihipStream_tbDpT10_ENKUlT_T0_E_clISt17integral_constantIbLb1EES1B_IbLb0EEEEDaS17_S18_EUlS17_E_NS1_11comp_targetILNS1_3genE0ELNS1_11target_archE4294967295ELNS1_3gpuE0ELNS1_3repE0EEENS1_30default_config_static_selectorELNS0_4arch9wavefront6targetE1EEEvT1_,comdat
.Lfunc_end1345:
	.size	_ZN7rocprim17ROCPRIM_400000_NS6detail17trampoline_kernelINS0_14default_configENS1_25partition_config_selectorILNS1_17partition_subalgoE9EllbEEZZNS1_14partition_implILS5_9ELb0ES3_jPlS8_PNS0_10empty_typeENS0_5tupleIJS8_S9_EEENSB_IJS8_SA_EEENS0_18inequality_wrapperIZN2at6native12_GLOBAL__N_124unique_dim_cuda_templateIN3c104HalfEEESt5tupleIJNSF_6TensorESM_SM_EERKSM_lbbbEUlllE0_EEPmJS9_EEE10hipError_tPvRmT3_T4_T5_T6_T7_T9_mT8_P12ihipStream_tbDpT10_ENKUlT_T0_E_clISt17integral_constantIbLb1EES1B_IbLb0EEEEDaS17_S18_EUlS17_E_NS1_11comp_targetILNS1_3genE0ELNS1_11target_archE4294967295ELNS1_3gpuE0ELNS1_3repE0EEENS1_30default_config_static_selectorELNS0_4arch9wavefront6targetE1EEEvT1_, .Lfunc_end1345-_ZN7rocprim17ROCPRIM_400000_NS6detail17trampoline_kernelINS0_14default_configENS1_25partition_config_selectorILNS1_17partition_subalgoE9EllbEEZZNS1_14partition_implILS5_9ELb0ES3_jPlS8_PNS0_10empty_typeENS0_5tupleIJS8_S9_EEENSB_IJS8_SA_EEENS0_18inequality_wrapperIZN2at6native12_GLOBAL__N_124unique_dim_cuda_templateIN3c104HalfEEESt5tupleIJNSF_6TensorESM_SM_EERKSM_lbbbEUlllE0_EEPmJS9_EEE10hipError_tPvRmT3_T4_T5_T6_T7_T9_mT8_P12ihipStream_tbDpT10_ENKUlT_T0_E_clISt17integral_constantIbLb1EES1B_IbLb0EEEEDaS17_S18_EUlS17_E_NS1_11comp_targetILNS1_3genE0ELNS1_11target_archE4294967295ELNS1_3gpuE0ELNS1_3repE0EEENS1_30default_config_static_selectorELNS0_4arch9wavefront6targetE1EEEvT1_
                                        ; -- End function
	.set _ZN7rocprim17ROCPRIM_400000_NS6detail17trampoline_kernelINS0_14default_configENS1_25partition_config_selectorILNS1_17partition_subalgoE9EllbEEZZNS1_14partition_implILS5_9ELb0ES3_jPlS8_PNS0_10empty_typeENS0_5tupleIJS8_S9_EEENSB_IJS8_SA_EEENS0_18inequality_wrapperIZN2at6native12_GLOBAL__N_124unique_dim_cuda_templateIN3c104HalfEEESt5tupleIJNSF_6TensorESM_SM_EERKSM_lbbbEUlllE0_EEPmJS9_EEE10hipError_tPvRmT3_T4_T5_T6_T7_T9_mT8_P12ihipStream_tbDpT10_ENKUlT_T0_E_clISt17integral_constantIbLb1EES1B_IbLb0EEEEDaS17_S18_EUlS17_E_NS1_11comp_targetILNS1_3genE0ELNS1_11target_archE4294967295ELNS1_3gpuE0ELNS1_3repE0EEENS1_30default_config_static_selectorELNS0_4arch9wavefront6targetE1EEEvT1_.num_vgpr, 0
	.set _ZN7rocprim17ROCPRIM_400000_NS6detail17trampoline_kernelINS0_14default_configENS1_25partition_config_selectorILNS1_17partition_subalgoE9EllbEEZZNS1_14partition_implILS5_9ELb0ES3_jPlS8_PNS0_10empty_typeENS0_5tupleIJS8_S9_EEENSB_IJS8_SA_EEENS0_18inequality_wrapperIZN2at6native12_GLOBAL__N_124unique_dim_cuda_templateIN3c104HalfEEESt5tupleIJNSF_6TensorESM_SM_EERKSM_lbbbEUlllE0_EEPmJS9_EEE10hipError_tPvRmT3_T4_T5_T6_T7_T9_mT8_P12ihipStream_tbDpT10_ENKUlT_T0_E_clISt17integral_constantIbLb1EES1B_IbLb0EEEEDaS17_S18_EUlS17_E_NS1_11comp_targetILNS1_3genE0ELNS1_11target_archE4294967295ELNS1_3gpuE0ELNS1_3repE0EEENS1_30default_config_static_selectorELNS0_4arch9wavefront6targetE1EEEvT1_.num_agpr, 0
	.set _ZN7rocprim17ROCPRIM_400000_NS6detail17trampoline_kernelINS0_14default_configENS1_25partition_config_selectorILNS1_17partition_subalgoE9EllbEEZZNS1_14partition_implILS5_9ELb0ES3_jPlS8_PNS0_10empty_typeENS0_5tupleIJS8_S9_EEENSB_IJS8_SA_EEENS0_18inequality_wrapperIZN2at6native12_GLOBAL__N_124unique_dim_cuda_templateIN3c104HalfEEESt5tupleIJNSF_6TensorESM_SM_EERKSM_lbbbEUlllE0_EEPmJS9_EEE10hipError_tPvRmT3_T4_T5_T6_T7_T9_mT8_P12ihipStream_tbDpT10_ENKUlT_T0_E_clISt17integral_constantIbLb1EES1B_IbLb0EEEEDaS17_S18_EUlS17_E_NS1_11comp_targetILNS1_3genE0ELNS1_11target_archE4294967295ELNS1_3gpuE0ELNS1_3repE0EEENS1_30default_config_static_selectorELNS0_4arch9wavefront6targetE1EEEvT1_.numbered_sgpr, 0
	.set _ZN7rocprim17ROCPRIM_400000_NS6detail17trampoline_kernelINS0_14default_configENS1_25partition_config_selectorILNS1_17partition_subalgoE9EllbEEZZNS1_14partition_implILS5_9ELb0ES3_jPlS8_PNS0_10empty_typeENS0_5tupleIJS8_S9_EEENSB_IJS8_SA_EEENS0_18inequality_wrapperIZN2at6native12_GLOBAL__N_124unique_dim_cuda_templateIN3c104HalfEEESt5tupleIJNSF_6TensorESM_SM_EERKSM_lbbbEUlllE0_EEPmJS9_EEE10hipError_tPvRmT3_T4_T5_T6_T7_T9_mT8_P12ihipStream_tbDpT10_ENKUlT_T0_E_clISt17integral_constantIbLb1EES1B_IbLb0EEEEDaS17_S18_EUlS17_E_NS1_11comp_targetILNS1_3genE0ELNS1_11target_archE4294967295ELNS1_3gpuE0ELNS1_3repE0EEENS1_30default_config_static_selectorELNS0_4arch9wavefront6targetE1EEEvT1_.num_named_barrier, 0
	.set _ZN7rocprim17ROCPRIM_400000_NS6detail17trampoline_kernelINS0_14default_configENS1_25partition_config_selectorILNS1_17partition_subalgoE9EllbEEZZNS1_14partition_implILS5_9ELb0ES3_jPlS8_PNS0_10empty_typeENS0_5tupleIJS8_S9_EEENSB_IJS8_SA_EEENS0_18inequality_wrapperIZN2at6native12_GLOBAL__N_124unique_dim_cuda_templateIN3c104HalfEEESt5tupleIJNSF_6TensorESM_SM_EERKSM_lbbbEUlllE0_EEPmJS9_EEE10hipError_tPvRmT3_T4_T5_T6_T7_T9_mT8_P12ihipStream_tbDpT10_ENKUlT_T0_E_clISt17integral_constantIbLb1EES1B_IbLb0EEEEDaS17_S18_EUlS17_E_NS1_11comp_targetILNS1_3genE0ELNS1_11target_archE4294967295ELNS1_3gpuE0ELNS1_3repE0EEENS1_30default_config_static_selectorELNS0_4arch9wavefront6targetE1EEEvT1_.private_seg_size, 0
	.set _ZN7rocprim17ROCPRIM_400000_NS6detail17trampoline_kernelINS0_14default_configENS1_25partition_config_selectorILNS1_17partition_subalgoE9EllbEEZZNS1_14partition_implILS5_9ELb0ES3_jPlS8_PNS0_10empty_typeENS0_5tupleIJS8_S9_EEENSB_IJS8_SA_EEENS0_18inequality_wrapperIZN2at6native12_GLOBAL__N_124unique_dim_cuda_templateIN3c104HalfEEESt5tupleIJNSF_6TensorESM_SM_EERKSM_lbbbEUlllE0_EEPmJS9_EEE10hipError_tPvRmT3_T4_T5_T6_T7_T9_mT8_P12ihipStream_tbDpT10_ENKUlT_T0_E_clISt17integral_constantIbLb1EES1B_IbLb0EEEEDaS17_S18_EUlS17_E_NS1_11comp_targetILNS1_3genE0ELNS1_11target_archE4294967295ELNS1_3gpuE0ELNS1_3repE0EEENS1_30default_config_static_selectorELNS0_4arch9wavefront6targetE1EEEvT1_.uses_vcc, 0
	.set _ZN7rocprim17ROCPRIM_400000_NS6detail17trampoline_kernelINS0_14default_configENS1_25partition_config_selectorILNS1_17partition_subalgoE9EllbEEZZNS1_14partition_implILS5_9ELb0ES3_jPlS8_PNS0_10empty_typeENS0_5tupleIJS8_S9_EEENSB_IJS8_SA_EEENS0_18inequality_wrapperIZN2at6native12_GLOBAL__N_124unique_dim_cuda_templateIN3c104HalfEEESt5tupleIJNSF_6TensorESM_SM_EERKSM_lbbbEUlllE0_EEPmJS9_EEE10hipError_tPvRmT3_T4_T5_T6_T7_T9_mT8_P12ihipStream_tbDpT10_ENKUlT_T0_E_clISt17integral_constantIbLb1EES1B_IbLb0EEEEDaS17_S18_EUlS17_E_NS1_11comp_targetILNS1_3genE0ELNS1_11target_archE4294967295ELNS1_3gpuE0ELNS1_3repE0EEENS1_30default_config_static_selectorELNS0_4arch9wavefront6targetE1EEEvT1_.uses_flat_scratch, 0
	.set _ZN7rocprim17ROCPRIM_400000_NS6detail17trampoline_kernelINS0_14default_configENS1_25partition_config_selectorILNS1_17partition_subalgoE9EllbEEZZNS1_14partition_implILS5_9ELb0ES3_jPlS8_PNS0_10empty_typeENS0_5tupleIJS8_S9_EEENSB_IJS8_SA_EEENS0_18inequality_wrapperIZN2at6native12_GLOBAL__N_124unique_dim_cuda_templateIN3c104HalfEEESt5tupleIJNSF_6TensorESM_SM_EERKSM_lbbbEUlllE0_EEPmJS9_EEE10hipError_tPvRmT3_T4_T5_T6_T7_T9_mT8_P12ihipStream_tbDpT10_ENKUlT_T0_E_clISt17integral_constantIbLb1EES1B_IbLb0EEEEDaS17_S18_EUlS17_E_NS1_11comp_targetILNS1_3genE0ELNS1_11target_archE4294967295ELNS1_3gpuE0ELNS1_3repE0EEENS1_30default_config_static_selectorELNS0_4arch9wavefront6targetE1EEEvT1_.has_dyn_sized_stack, 0
	.set _ZN7rocprim17ROCPRIM_400000_NS6detail17trampoline_kernelINS0_14default_configENS1_25partition_config_selectorILNS1_17partition_subalgoE9EllbEEZZNS1_14partition_implILS5_9ELb0ES3_jPlS8_PNS0_10empty_typeENS0_5tupleIJS8_S9_EEENSB_IJS8_SA_EEENS0_18inequality_wrapperIZN2at6native12_GLOBAL__N_124unique_dim_cuda_templateIN3c104HalfEEESt5tupleIJNSF_6TensorESM_SM_EERKSM_lbbbEUlllE0_EEPmJS9_EEE10hipError_tPvRmT3_T4_T5_T6_T7_T9_mT8_P12ihipStream_tbDpT10_ENKUlT_T0_E_clISt17integral_constantIbLb1EES1B_IbLb0EEEEDaS17_S18_EUlS17_E_NS1_11comp_targetILNS1_3genE0ELNS1_11target_archE4294967295ELNS1_3gpuE0ELNS1_3repE0EEENS1_30default_config_static_selectorELNS0_4arch9wavefront6targetE1EEEvT1_.has_recursion, 0
	.set _ZN7rocprim17ROCPRIM_400000_NS6detail17trampoline_kernelINS0_14default_configENS1_25partition_config_selectorILNS1_17partition_subalgoE9EllbEEZZNS1_14partition_implILS5_9ELb0ES3_jPlS8_PNS0_10empty_typeENS0_5tupleIJS8_S9_EEENSB_IJS8_SA_EEENS0_18inequality_wrapperIZN2at6native12_GLOBAL__N_124unique_dim_cuda_templateIN3c104HalfEEESt5tupleIJNSF_6TensorESM_SM_EERKSM_lbbbEUlllE0_EEPmJS9_EEE10hipError_tPvRmT3_T4_T5_T6_T7_T9_mT8_P12ihipStream_tbDpT10_ENKUlT_T0_E_clISt17integral_constantIbLb1EES1B_IbLb0EEEEDaS17_S18_EUlS17_E_NS1_11comp_targetILNS1_3genE0ELNS1_11target_archE4294967295ELNS1_3gpuE0ELNS1_3repE0EEENS1_30default_config_static_selectorELNS0_4arch9wavefront6targetE1EEEvT1_.has_indirect_call, 0
	.section	.AMDGPU.csdata,"",@progbits
; Kernel info:
; codeLenInByte = 4
; TotalNumSgprs: 6
; NumVgprs: 0
; NumAgprs: 0
; TotalNumVgprs: 0
; ScratchSize: 0
; MemoryBound: 0
; FloatMode: 240
; IeeeMode: 1
; LDSByteSize: 0 bytes/workgroup (compile time only)
; SGPRBlocks: 0
; VGPRBlocks: 0
; NumSGPRsForWavesPerEU: 6
; NumVGPRsForWavesPerEU: 1
; AccumOffset: 4
; Occupancy: 8
; WaveLimiterHint : 0
; COMPUTE_PGM_RSRC2:SCRATCH_EN: 0
; COMPUTE_PGM_RSRC2:USER_SGPR: 2
; COMPUTE_PGM_RSRC2:TRAP_HANDLER: 0
; COMPUTE_PGM_RSRC2:TGID_X_EN: 1
; COMPUTE_PGM_RSRC2:TGID_Y_EN: 0
; COMPUTE_PGM_RSRC2:TGID_Z_EN: 0
; COMPUTE_PGM_RSRC2:TIDIG_COMP_CNT: 0
; COMPUTE_PGM_RSRC3_GFX90A:ACCUM_OFFSET: 0
; COMPUTE_PGM_RSRC3_GFX90A:TG_SPLIT: 0
	.section	.text._ZN7rocprim17ROCPRIM_400000_NS6detail17trampoline_kernelINS0_14default_configENS1_25partition_config_selectorILNS1_17partition_subalgoE9EllbEEZZNS1_14partition_implILS5_9ELb0ES3_jPlS8_PNS0_10empty_typeENS0_5tupleIJS8_S9_EEENSB_IJS8_SA_EEENS0_18inequality_wrapperIZN2at6native12_GLOBAL__N_124unique_dim_cuda_templateIN3c104HalfEEESt5tupleIJNSF_6TensorESM_SM_EERKSM_lbbbEUlllE0_EEPmJS9_EEE10hipError_tPvRmT3_T4_T5_T6_T7_T9_mT8_P12ihipStream_tbDpT10_ENKUlT_T0_E_clISt17integral_constantIbLb1EES1B_IbLb0EEEEDaS17_S18_EUlS17_E_NS1_11comp_targetILNS1_3genE5ELNS1_11target_archE942ELNS1_3gpuE9ELNS1_3repE0EEENS1_30default_config_static_selectorELNS0_4arch9wavefront6targetE1EEEvT1_,"axG",@progbits,_ZN7rocprim17ROCPRIM_400000_NS6detail17trampoline_kernelINS0_14default_configENS1_25partition_config_selectorILNS1_17partition_subalgoE9EllbEEZZNS1_14partition_implILS5_9ELb0ES3_jPlS8_PNS0_10empty_typeENS0_5tupleIJS8_S9_EEENSB_IJS8_SA_EEENS0_18inequality_wrapperIZN2at6native12_GLOBAL__N_124unique_dim_cuda_templateIN3c104HalfEEESt5tupleIJNSF_6TensorESM_SM_EERKSM_lbbbEUlllE0_EEPmJS9_EEE10hipError_tPvRmT3_T4_T5_T6_T7_T9_mT8_P12ihipStream_tbDpT10_ENKUlT_T0_E_clISt17integral_constantIbLb1EES1B_IbLb0EEEEDaS17_S18_EUlS17_E_NS1_11comp_targetILNS1_3genE5ELNS1_11target_archE942ELNS1_3gpuE9ELNS1_3repE0EEENS1_30default_config_static_selectorELNS0_4arch9wavefront6targetE1EEEvT1_,comdat
	.globl	_ZN7rocprim17ROCPRIM_400000_NS6detail17trampoline_kernelINS0_14default_configENS1_25partition_config_selectorILNS1_17partition_subalgoE9EllbEEZZNS1_14partition_implILS5_9ELb0ES3_jPlS8_PNS0_10empty_typeENS0_5tupleIJS8_S9_EEENSB_IJS8_SA_EEENS0_18inequality_wrapperIZN2at6native12_GLOBAL__N_124unique_dim_cuda_templateIN3c104HalfEEESt5tupleIJNSF_6TensorESM_SM_EERKSM_lbbbEUlllE0_EEPmJS9_EEE10hipError_tPvRmT3_T4_T5_T6_T7_T9_mT8_P12ihipStream_tbDpT10_ENKUlT_T0_E_clISt17integral_constantIbLb1EES1B_IbLb0EEEEDaS17_S18_EUlS17_E_NS1_11comp_targetILNS1_3genE5ELNS1_11target_archE942ELNS1_3gpuE9ELNS1_3repE0EEENS1_30default_config_static_selectorELNS0_4arch9wavefront6targetE1EEEvT1_ ; -- Begin function _ZN7rocprim17ROCPRIM_400000_NS6detail17trampoline_kernelINS0_14default_configENS1_25partition_config_selectorILNS1_17partition_subalgoE9EllbEEZZNS1_14partition_implILS5_9ELb0ES3_jPlS8_PNS0_10empty_typeENS0_5tupleIJS8_S9_EEENSB_IJS8_SA_EEENS0_18inequality_wrapperIZN2at6native12_GLOBAL__N_124unique_dim_cuda_templateIN3c104HalfEEESt5tupleIJNSF_6TensorESM_SM_EERKSM_lbbbEUlllE0_EEPmJS9_EEE10hipError_tPvRmT3_T4_T5_T6_T7_T9_mT8_P12ihipStream_tbDpT10_ENKUlT_T0_E_clISt17integral_constantIbLb1EES1B_IbLb0EEEEDaS17_S18_EUlS17_E_NS1_11comp_targetILNS1_3genE5ELNS1_11target_archE942ELNS1_3gpuE9ELNS1_3repE0EEENS1_30default_config_static_selectorELNS0_4arch9wavefront6targetE1EEEvT1_
	.p2align	8
	.type	_ZN7rocprim17ROCPRIM_400000_NS6detail17trampoline_kernelINS0_14default_configENS1_25partition_config_selectorILNS1_17partition_subalgoE9EllbEEZZNS1_14partition_implILS5_9ELb0ES3_jPlS8_PNS0_10empty_typeENS0_5tupleIJS8_S9_EEENSB_IJS8_SA_EEENS0_18inequality_wrapperIZN2at6native12_GLOBAL__N_124unique_dim_cuda_templateIN3c104HalfEEESt5tupleIJNSF_6TensorESM_SM_EERKSM_lbbbEUlllE0_EEPmJS9_EEE10hipError_tPvRmT3_T4_T5_T6_T7_T9_mT8_P12ihipStream_tbDpT10_ENKUlT_T0_E_clISt17integral_constantIbLb1EES1B_IbLb0EEEEDaS17_S18_EUlS17_E_NS1_11comp_targetILNS1_3genE5ELNS1_11target_archE942ELNS1_3gpuE9ELNS1_3repE0EEENS1_30default_config_static_selectorELNS0_4arch9wavefront6targetE1EEEvT1_,@function
_ZN7rocprim17ROCPRIM_400000_NS6detail17trampoline_kernelINS0_14default_configENS1_25partition_config_selectorILNS1_17partition_subalgoE9EllbEEZZNS1_14partition_implILS5_9ELb0ES3_jPlS8_PNS0_10empty_typeENS0_5tupleIJS8_S9_EEENSB_IJS8_SA_EEENS0_18inequality_wrapperIZN2at6native12_GLOBAL__N_124unique_dim_cuda_templateIN3c104HalfEEESt5tupleIJNSF_6TensorESM_SM_EERKSM_lbbbEUlllE0_EEPmJS9_EEE10hipError_tPvRmT3_T4_T5_T6_T7_T9_mT8_P12ihipStream_tbDpT10_ENKUlT_T0_E_clISt17integral_constantIbLb1EES1B_IbLb0EEEEDaS17_S18_EUlS17_E_NS1_11comp_targetILNS1_3genE5ELNS1_11target_archE942ELNS1_3gpuE9ELNS1_3repE0EEENS1_30default_config_static_selectorELNS0_4arch9wavefront6targetE1EEEvT1_: ; @_ZN7rocprim17ROCPRIM_400000_NS6detail17trampoline_kernelINS0_14default_configENS1_25partition_config_selectorILNS1_17partition_subalgoE9EllbEEZZNS1_14partition_implILS5_9ELb0ES3_jPlS8_PNS0_10empty_typeENS0_5tupleIJS8_S9_EEENSB_IJS8_SA_EEENS0_18inequality_wrapperIZN2at6native12_GLOBAL__N_124unique_dim_cuda_templateIN3c104HalfEEESt5tupleIJNSF_6TensorESM_SM_EERKSM_lbbbEUlllE0_EEPmJS9_EEE10hipError_tPvRmT3_T4_T5_T6_T7_T9_mT8_P12ihipStream_tbDpT10_ENKUlT_T0_E_clISt17integral_constantIbLb1EES1B_IbLb0EEEEDaS17_S18_EUlS17_E_NS1_11comp_targetILNS1_3genE5ELNS1_11target_archE942ELNS1_3gpuE9ELNS1_3repE0EEENS1_30default_config_static_selectorELNS0_4arch9wavefront6targetE1EEEvT1_
; %bb.0:
	.section	.rodata,"a",@progbits
	.p2align	6, 0x0
	.amdhsa_kernel _ZN7rocprim17ROCPRIM_400000_NS6detail17trampoline_kernelINS0_14default_configENS1_25partition_config_selectorILNS1_17partition_subalgoE9EllbEEZZNS1_14partition_implILS5_9ELb0ES3_jPlS8_PNS0_10empty_typeENS0_5tupleIJS8_S9_EEENSB_IJS8_SA_EEENS0_18inequality_wrapperIZN2at6native12_GLOBAL__N_124unique_dim_cuda_templateIN3c104HalfEEESt5tupleIJNSF_6TensorESM_SM_EERKSM_lbbbEUlllE0_EEPmJS9_EEE10hipError_tPvRmT3_T4_T5_T6_T7_T9_mT8_P12ihipStream_tbDpT10_ENKUlT_T0_E_clISt17integral_constantIbLb1EES1B_IbLb0EEEEDaS17_S18_EUlS17_E_NS1_11comp_targetILNS1_3genE5ELNS1_11target_archE942ELNS1_3gpuE9ELNS1_3repE0EEENS1_30default_config_static_selectorELNS0_4arch9wavefront6targetE1EEEvT1_
		.amdhsa_group_segment_fixed_size 0
		.amdhsa_private_segment_fixed_size 0
		.amdhsa_kernarg_size 120
		.amdhsa_user_sgpr_count 2
		.amdhsa_user_sgpr_dispatch_ptr 0
		.amdhsa_user_sgpr_queue_ptr 0
		.amdhsa_user_sgpr_kernarg_segment_ptr 1
		.amdhsa_user_sgpr_dispatch_id 0
		.amdhsa_user_sgpr_kernarg_preload_length 0
		.amdhsa_user_sgpr_kernarg_preload_offset 0
		.amdhsa_user_sgpr_private_segment_size 0
		.amdhsa_uses_dynamic_stack 0
		.amdhsa_enable_private_segment 0
		.amdhsa_system_sgpr_workgroup_id_x 1
		.amdhsa_system_sgpr_workgroup_id_y 0
		.amdhsa_system_sgpr_workgroup_id_z 0
		.amdhsa_system_sgpr_workgroup_info 0
		.amdhsa_system_vgpr_workitem_id 0
		.amdhsa_next_free_vgpr 1
		.amdhsa_next_free_sgpr 0
		.amdhsa_accum_offset 4
		.amdhsa_reserve_vcc 0
		.amdhsa_float_round_mode_32 0
		.amdhsa_float_round_mode_16_64 0
		.amdhsa_float_denorm_mode_32 3
		.amdhsa_float_denorm_mode_16_64 3
		.amdhsa_dx10_clamp 1
		.amdhsa_ieee_mode 1
		.amdhsa_fp16_overflow 0
		.amdhsa_tg_split 0
		.amdhsa_exception_fp_ieee_invalid_op 0
		.amdhsa_exception_fp_denorm_src 0
		.amdhsa_exception_fp_ieee_div_zero 0
		.amdhsa_exception_fp_ieee_overflow 0
		.amdhsa_exception_fp_ieee_underflow 0
		.amdhsa_exception_fp_ieee_inexact 0
		.amdhsa_exception_int_div_zero 0
	.end_amdhsa_kernel
	.section	.text._ZN7rocprim17ROCPRIM_400000_NS6detail17trampoline_kernelINS0_14default_configENS1_25partition_config_selectorILNS1_17partition_subalgoE9EllbEEZZNS1_14partition_implILS5_9ELb0ES3_jPlS8_PNS0_10empty_typeENS0_5tupleIJS8_S9_EEENSB_IJS8_SA_EEENS0_18inequality_wrapperIZN2at6native12_GLOBAL__N_124unique_dim_cuda_templateIN3c104HalfEEESt5tupleIJNSF_6TensorESM_SM_EERKSM_lbbbEUlllE0_EEPmJS9_EEE10hipError_tPvRmT3_T4_T5_T6_T7_T9_mT8_P12ihipStream_tbDpT10_ENKUlT_T0_E_clISt17integral_constantIbLb1EES1B_IbLb0EEEEDaS17_S18_EUlS17_E_NS1_11comp_targetILNS1_3genE5ELNS1_11target_archE942ELNS1_3gpuE9ELNS1_3repE0EEENS1_30default_config_static_selectorELNS0_4arch9wavefront6targetE1EEEvT1_,"axG",@progbits,_ZN7rocprim17ROCPRIM_400000_NS6detail17trampoline_kernelINS0_14default_configENS1_25partition_config_selectorILNS1_17partition_subalgoE9EllbEEZZNS1_14partition_implILS5_9ELb0ES3_jPlS8_PNS0_10empty_typeENS0_5tupleIJS8_S9_EEENSB_IJS8_SA_EEENS0_18inequality_wrapperIZN2at6native12_GLOBAL__N_124unique_dim_cuda_templateIN3c104HalfEEESt5tupleIJNSF_6TensorESM_SM_EERKSM_lbbbEUlllE0_EEPmJS9_EEE10hipError_tPvRmT3_T4_T5_T6_T7_T9_mT8_P12ihipStream_tbDpT10_ENKUlT_T0_E_clISt17integral_constantIbLb1EES1B_IbLb0EEEEDaS17_S18_EUlS17_E_NS1_11comp_targetILNS1_3genE5ELNS1_11target_archE942ELNS1_3gpuE9ELNS1_3repE0EEENS1_30default_config_static_selectorELNS0_4arch9wavefront6targetE1EEEvT1_,comdat
.Lfunc_end1346:
	.size	_ZN7rocprim17ROCPRIM_400000_NS6detail17trampoline_kernelINS0_14default_configENS1_25partition_config_selectorILNS1_17partition_subalgoE9EllbEEZZNS1_14partition_implILS5_9ELb0ES3_jPlS8_PNS0_10empty_typeENS0_5tupleIJS8_S9_EEENSB_IJS8_SA_EEENS0_18inequality_wrapperIZN2at6native12_GLOBAL__N_124unique_dim_cuda_templateIN3c104HalfEEESt5tupleIJNSF_6TensorESM_SM_EERKSM_lbbbEUlllE0_EEPmJS9_EEE10hipError_tPvRmT3_T4_T5_T6_T7_T9_mT8_P12ihipStream_tbDpT10_ENKUlT_T0_E_clISt17integral_constantIbLb1EES1B_IbLb0EEEEDaS17_S18_EUlS17_E_NS1_11comp_targetILNS1_3genE5ELNS1_11target_archE942ELNS1_3gpuE9ELNS1_3repE0EEENS1_30default_config_static_selectorELNS0_4arch9wavefront6targetE1EEEvT1_, .Lfunc_end1346-_ZN7rocprim17ROCPRIM_400000_NS6detail17trampoline_kernelINS0_14default_configENS1_25partition_config_selectorILNS1_17partition_subalgoE9EllbEEZZNS1_14partition_implILS5_9ELb0ES3_jPlS8_PNS0_10empty_typeENS0_5tupleIJS8_S9_EEENSB_IJS8_SA_EEENS0_18inequality_wrapperIZN2at6native12_GLOBAL__N_124unique_dim_cuda_templateIN3c104HalfEEESt5tupleIJNSF_6TensorESM_SM_EERKSM_lbbbEUlllE0_EEPmJS9_EEE10hipError_tPvRmT3_T4_T5_T6_T7_T9_mT8_P12ihipStream_tbDpT10_ENKUlT_T0_E_clISt17integral_constantIbLb1EES1B_IbLb0EEEEDaS17_S18_EUlS17_E_NS1_11comp_targetILNS1_3genE5ELNS1_11target_archE942ELNS1_3gpuE9ELNS1_3repE0EEENS1_30default_config_static_selectorELNS0_4arch9wavefront6targetE1EEEvT1_
                                        ; -- End function
	.set _ZN7rocprim17ROCPRIM_400000_NS6detail17trampoline_kernelINS0_14default_configENS1_25partition_config_selectorILNS1_17partition_subalgoE9EllbEEZZNS1_14partition_implILS5_9ELb0ES3_jPlS8_PNS0_10empty_typeENS0_5tupleIJS8_S9_EEENSB_IJS8_SA_EEENS0_18inequality_wrapperIZN2at6native12_GLOBAL__N_124unique_dim_cuda_templateIN3c104HalfEEESt5tupleIJNSF_6TensorESM_SM_EERKSM_lbbbEUlllE0_EEPmJS9_EEE10hipError_tPvRmT3_T4_T5_T6_T7_T9_mT8_P12ihipStream_tbDpT10_ENKUlT_T0_E_clISt17integral_constantIbLb1EES1B_IbLb0EEEEDaS17_S18_EUlS17_E_NS1_11comp_targetILNS1_3genE5ELNS1_11target_archE942ELNS1_3gpuE9ELNS1_3repE0EEENS1_30default_config_static_selectorELNS0_4arch9wavefront6targetE1EEEvT1_.num_vgpr, 0
	.set _ZN7rocprim17ROCPRIM_400000_NS6detail17trampoline_kernelINS0_14default_configENS1_25partition_config_selectorILNS1_17partition_subalgoE9EllbEEZZNS1_14partition_implILS5_9ELb0ES3_jPlS8_PNS0_10empty_typeENS0_5tupleIJS8_S9_EEENSB_IJS8_SA_EEENS0_18inequality_wrapperIZN2at6native12_GLOBAL__N_124unique_dim_cuda_templateIN3c104HalfEEESt5tupleIJNSF_6TensorESM_SM_EERKSM_lbbbEUlllE0_EEPmJS9_EEE10hipError_tPvRmT3_T4_T5_T6_T7_T9_mT8_P12ihipStream_tbDpT10_ENKUlT_T0_E_clISt17integral_constantIbLb1EES1B_IbLb0EEEEDaS17_S18_EUlS17_E_NS1_11comp_targetILNS1_3genE5ELNS1_11target_archE942ELNS1_3gpuE9ELNS1_3repE0EEENS1_30default_config_static_selectorELNS0_4arch9wavefront6targetE1EEEvT1_.num_agpr, 0
	.set _ZN7rocprim17ROCPRIM_400000_NS6detail17trampoline_kernelINS0_14default_configENS1_25partition_config_selectorILNS1_17partition_subalgoE9EllbEEZZNS1_14partition_implILS5_9ELb0ES3_jPlS8_PNS0_10empty_typeENS0_5tupleIJS8_S9_EEENSB_IJS8_SA_EEENS0_18inequality_wrapperIZN2at6native12_GLOBAL__N_124unique_dim_cuda_templateIN3c104HalfEEESt5tupleIJNSF_6TensorESM_SM_EERKSM_lbbbEUlllE0_EEPmJS9_EEE10hipError_tPvRmT3_T4_T5_T6_T7_T9_mT8_P12ihipStream_tbDpT10_ENKUlT_T0_E_clISt17integral_constantIbLb1EES1B_IbLb0EEEEDaS17_S18_EUlS17_E_NS1_11comp_targetILNS1_3genE5ELNS1_11target_archE942ELNS1_3gpuE9ELNS1_3repE0EEENS1_30default_config_static_selectorELNS0_4arch9wavefront6targetE1EEEvT1_.numbered_sgpr, 0
	.set _ZN7rocprim17ROCPRIM_400000_NS6detail17trampoline_kernelINS0_14default_configENS1_25partition_config_selectorILNS1_17partition_subalgoE9EllbEEZZNS1_14partition_implILS5_9ELb0ES3_jPlS8_PNS0_10empty_typeENS0_5tupleIJS8_S9_EEENSB_IJS8_SA_EEENS0_18inequality_wrapperIZN2at6native12_GLOBAL__N_124unique_dim_cuda_templateIN3c104HalfEEESt5tupleIJNSF_6TensorESM_SM_EERKSM_lbbbEUlllE0_EEPmJS9_EEE10hipError_tPvRmT3_T4_T5_T6_T7_T9_mT8_P12ihipStream_tbDpT10_ENKUlT_T0_E_clISt17integral_constantIbLb1EES1B_IbLb0EEEEDaS17_S18_EUlS17_E_NS1_11comp_targetILNS1_3genE5ELNS1_11target_archE942ELNS1_3gpuE9ELNS1_3repE0EEENS1_30default_config_static_selectorELNS0_4arch9wavefront6targetE1EEEvT1_.num_named_barrier, 0
	.set _ZN7rocprim17ROCPRIM_400000_NS6detail17trampoline_kernelINS0_14default_configENS1_25partition_config_selectorILNS1_17partition_subalgoE9EllbEEZZNS1_14partition_implILS5_9ELb0ES3_jPlS8_PNS0_10empty_typeENS0_5tupleIJS8_S9_EEENSB_IJS8_SA_EEENS0_18inequality_wrapperIZN2at6native12_GLOBAL__N_124unique_dim_cuda_templateIN3c104HalfEEESt5tupleIJNSF_6TensorESM_SM_EERKSM_lbbbEUlllE0_EEPmJS9_EEE10hipError_tPvRmT3_T4_T5_T6_T7_T9_mT8_P12ihipStream_tbDpT10_ENKUlT_T0_E_clISt17integral_constantIbLb1EES1B_IbLb0EEEEDaS17_S18_EUlS17_E_NS1_11comp_targetILNS1_3genE5ELNS1_11target_archE942ELNS1_3gpuE9ELNS1_3repE0EEENS1_30default_config_static_selectorELNS0_4arch9wavefront6targetE1EEEvT1_.private_seg_size, 0
	.set _ZN7rocprim17ROCPRIM_400000_NS6detail17trampoline_kernelINS0_14default_configENS1_25partition_config_selectorILNS1_17partition_subalgoE9EllbEEZZNS1_14partition_implILS5_9ELb0ES3_jPlS8_PNS0_10empty_typeENS0_5tupleIJS8_S9_EEENSB_IJS8_SA_EEENS0_18inequality_wrapperIZN2at6native12_GLOBAL__N_124unique_dim_cuda_templateIN3c104HalfEEESt5tupleIJNSF_6TensorESM_SM_EERKSM_lbbbEUlllE0_EEPmJS9_EEE10hipError_tPvRmT3_T4_T5_T6_T7_T9_mT8_P12ihipStream_tbDpT10_ENKUlT_T0_E_clISt17integral_constantIbLb1EES1B_IbLb0EEEEDaS17_S18_EUlS17_E_NS1_11comp_targetILNS1_3genE5ELNS1_11target_archE942ELNS1_3gpuE9ELNS1_3repE0EEENS1_30default_config_static_selectorELNS0_4arch9wavefront6targetE1EEEvT1_.uses_vcc, 0
	.set _ZN7rocprim17ROCPRIM_400000_NS6detail17trampoline_kernelINS0_14default_configENS1_25partition_config_selectorILNS1_17partition_subalgoE9EllbEEZZNS1_14partition_implILS5_9ELb0ES3_jPlS8_PNS0_10empty_typeENS0_5tupleIJS8_S9_EEENSB_IJS8_SA_EEENS0_18inequality_wrapperIZN2at6native12_GLOBAL__N_124unique_dim_cuda_templateIN3c104HalfEEESt5tupleIJNSF_6TensorESM_SM_EERKSM_lbbbEUlllE0_EEPmJS9_EEE10hipError_tPvRmT3_T4_T5_T6_T7_T9_mT8_P12ihipStream_tbDpT10_ENKUlT_T0_E_clISt17integral_constantIbLb1EES1B_IbLb0EEEEDaS17_S18_EUlS17_E_NS1_11comp_targetILNS1_3genE5ELNS1_11target_archE942ELNS1_3gpuE9ELNS1_3repE0EEENS1_30default_config_static_selectorELNS0_4arch9wavefront6targetE1EEEvT1_.uses_flat_scratch, 0
	.set _ZN7rocprim17ROCPRIM_400000_NS6detail17trampoline_kernelINS0_14default_configENS1_25partition_config_selectorILNS1_17partition_subalgoE9EllbEEZZNS1_14partition_implILS5_9ELb0ES3_jPlS8_PNS0_10empty_typeENS0_5tupleIJS8_S9_EEENSB_IJS8_SA_EEENS0_18inequality_wrapperIZN2at6native12_GLOBAL__N_124unique_dim_cuda_templateIN3c104HalfEEESt5tupleIJNSF_6TensorESM_SM_EERKSM_lbbbEUlllE0_EEPmJS9_EEE10hipError_tPvRmT3_T4_T5_T6_T7_T9_mT8_P12ihipStream_tbDpT10_ENKUlT_T0_E_clISt17integral_constantIbLb1EES1B_IbLb0EEEEDaS17_S18_EUlS17_E_NS1_11comp_targetILNS1_3genE5ELNS1_11target_archE942ELNS1_3gpuE9ELNS1_3repE0EEENS1_30default_config_static_selectorELNS0_4arch9wavefront6targetE1EEEvT1_.has_dyn_sized_stack, 0
	.set _ZN7rocprim17ROCPRIM_400000_NS6detail17trampoline_kernelINS0_14default_configENS1_25partition_config_selectorILNS1_17partition_subalgoE9EllbEEZZNS1_14partition_implILS5_9ELb0ES3_jPlS8_PNS0_10empty_typeENS0_5tupleIJS8_S9_EEENSB_IJS8_SA_EEENS0_18inequality_wrapperIZN2at6native12_GLOBAL__N_124unique_dim_cuda_templateIN3c104HalfEEESt5tupleIJNSF_6TensorESM_SM_EERKSM_lbbbEUlllE0_EEPmJS9_EEE10hipError_tPvRmT3_T4_T5_T6_T7_T9_mT8_P12ihipStream_tbDpT10_ENKUlT_T0_E_clISt17integral_constantIbLb1EES1B_IbLb0EEEEDaS17_S18_EUlS17_E_NS1_11comp_targetILNS1_3genE5ELNS1_11target_archE942ELNS1_3gpuE9ELNS1_3repE0EEENS1_30default_config_static_selectorELNS0_4arch9wavefront6targetE1EEEvT1_.has_recursion, 0
	.set _ZN7rocprim17ROCPRIM_400000_NS6detail17trampoline_kernelINS0_14default_configENS1_25partition_config_selectorILNS1_17partition_subalgoE9EllbEEZZNS1_14partition_implILS5_9ELb0ES3_jPlS8_PNS0_10empty_typeENS0_5tupleIJS8_S9_EEENSB_IJS8_SA_EEENS0_18inequality_wrapperIZN2at6native12_GLOBAL__N_124unique_dim_cuda_templateIN3c104HalfEEESt5tupleIJNSF_6TensorESM_SM_EERKSM_lbbbEUlllE0_EEPmJS9_EEE10hipError_tPvRmT3_T4_T5_T6_T7_T9_mT8_P12ihipStream_tbDpT10_ENKUlT_T0_E_clISt17integral_constantIbLb1EES1B_IbLb0EEEEDaS17_S18_EUlS17_E_NS1_11comp_targetILNS1_3genE5ELNS1_11target_archE942ELNS1_3gpuE9ELNS1_3repE0EEENS1_30default_config_static_selectorELNS0_4arch9wavefront6targetE1EEEvT1_.has_indirect_call, 0
	.section	.AMDGPU.csdata,"",@progbits
; Kernel info:
; codeLenInByte = 0
; TotalNumSgprs: 6
; NumVgprs: 0
; NumAgprs: 0
; TotalNumVgprs: 0
; ScratchSize: 0
; MemoryBound: 0
; FloatMode: 240
; IeeeMode: 1
; LDSByteSize: 0 bytes/workgroup (compile time only)
; SGPRBlocks: 0
; VGPRBlocks: 0
; NumSGPRsForWavesPerEU: 6
; NumVGPRsForWavesPerEU: 1
; AccumOffset: 4
; Occupancy: 8
; WaveLimiterHint : 0
; COMPUTE_PGM_RSRC2:SCRATCH_EN: 0
; COMPUTE_PGM_RSRC2:USER_SGPR: 2
; COMPUTE_PGM_RSRC2:TRAP_HANDLER: 0
; COMPUTE_PGM_RSRC2:TGID_X_EN: 1
; COMPUTE_PGM_RSRC2:TGID_Y_EN: 0
; COMPUTE_PGM_RSRC2:TGID_Z_EN: 0
; COMPUTE_PGM_RSRC2:TIDIG_COMP_CNT: 0
; COMPUTE_PGM_RSRC3_GFX90A:ACCUM_OFFSET: 0
; COMPUTE_PGM_RSRC3_GFX90A:TG_SPLIT: 0
	.section	.text._ZN7rocprim17ROCPRIM_400000_NS6detail17trampoline_kernelINS0_14default_configENS1_25partition_config_selectorILNS1_17partition_subalgoE9EllbEEZZNS1_14partition_implILS5_9ELb0ES3_jPlS8_PNS0_10empty_typeENS0_5tupleIJS8_S9_EEENSB_IJS8_SA_EEENS0_18inequality_wrapperIZN2at6native12_GLOBAL__N_124unique_dim_cuda_templateIN3c104HalfEEESt5tupleIJNSF_6TensorESM_SM_EERKSM_lbbbEUlllE0_EEPmJS9_EEE10hipError_tPvRmT3_T4_T5_T6_T7_T9_mT8_P12ihipStream_tbDpT10_ENKUlT_T0_E_clISt17integral_constantIbLb1EES1B_IbLb0EEEEDaS17_S18_EUlS17_E_NS1_11comp_targetILNS1_3genE4ELNS1_11target_archE910ELNS1_3gpuE8ELNS1_3repE0EEENS1_30default_config_static_selectorELNS0_4arch9wavefront6targetE1EEEvT1_,"axG",@progbits,_ZN7rocprim17ROCPRIM_400000_NS6detail17trampoline_kernelINS0_14default_configENS1_25partition_config_selectorILNS1_17partition_subalgoE9EllbEEZZNS1_14partition_implILS5_9ELb0ES3_jPlS8_PNS0_10empty_typeENS0_5tupleIJS8_S9_EEENSB_IJS8_SA_EEENS0_18inequality_wrapperIZN2at6native12_GLOBAL__N_124unique_dim_cuda_templateIN3c104HalfEEESt5tupleIJNSF_6TensorESM_SM_EERKSM_lbbbEUlllE0_EEPmJS9_EEE10hipError_tPvRmT3_T4_T5_T6_T7_T9_mT8_P12ihipStream_tbDpT10_ENKUlT_T0_E_clISt17integral_constantIbLb1EES1B_IbLb0EEEEDaS17_S18_EUlS17_E_NS1_11comp_targetILNS1_3genE4ELNS1_11target_archE910ELNS1_3gpuE8ELNS1_3repE0EEENS1_30default_config_static_selectorELNS0_4arch9wavefront6targetE1EEEvT1_,comdat
	.globl	_ZN7rocprim17ROCPRIM_400000_NS6detail17trampoline_kernelINS0_14default_configENS1_25partition_config_selectorILNS1_17partition_subalgoE9EllbEEZZNS1_14partition_implILS5_9ELb0ES3_jPlS8_PNS0_10empty_typeENS0_5tupleIJS8_S9_EEENSB_IJS8_SA_EEENS0_18inequality_wrapperIZN2at6native12_GLOBAL__N_124unique_dim_cuda_templateIN3c104HalfEEESt5tupleIJNSF_6TensorESM_SM_EERKSM_lbbbEUlllE0_EEPmJS9_EEE10hipError_tPvRmT3_T4_T5_T6_T7_T9_mT8_P12ihipStream_tbDpT10_ENKUlT_T0_E_clISt17integral_constantIbLb1EES1B_IbLb0EEEEDaS17_S18_EUlS17_E_NS1_11comp_targetILNS1_3genE4ELNS1_11target_archE910ELNS1_3gpuE8ELNS1_3repE0EEENS1_30default_config_static_selectorELNS0_4arch9wavefront6targetE1EEEvT1_ ; -- Begin function _ZN7rocprim17ROCPRIM_400000_NS6detail17trampoline_kernelINS0_14default_configENS1_25partition_config_selectorILNS1_17partition_subalgoE9EllbEEZZNS1_14partition_implILS5_9ELb0ES3_jPlS8_PNS0_10empty_typeENS0_5tupleIJS8_S9_EEENSB_IJS8_SA_EEENS0_18inequality_wrapperIZN2at6native12_GLOBAL__N_124unique_dim_cuda_templateIN3c104HalfEEESt5tupleIJNSF_6TensorESM_SM_EERKSM_lbbbEUlllE0_EEPmJS9_EEE10hipError_tPvRmT3_T4_T5_T6_T7_T9_mT8_P12ihipStream_tbDpT10_ENKUlT_T0_E_clISt17integral_constantIbLb1EES1B_IbLb0EEEEDaS17_S18_EUlS17_E_NS1_11comp_targetILNS1_3genE4ELNS1_11target_archE910ELNS1_3gpuE8ELNS1_3repE0EEENS1_30default_config_static_selectorELNS0_4arch9wavefront6targetE1EEEvT1_
	.p2align	8
	.type	_ZN7rocprim17ROCPRIM_400000_NS6detail17trampoline_kernelINS0_14default_configENS1_25partition_config_selectorILNS1_17partition_subalgoE9EllbEEZZNS1_14partition_implILS5_9ELb0ES3_jPlS8_PNS0_10empty_typeENS0_5tupleIJS8_S9_EEENSB_IJS8_SA_EEENS0_18inequality_wrapperIZN2at6native12_GLOBAL__N_124unique_dim_cuda_templateIN3c104HalfEEESt5tupleIJNSF_6TensorESM_SM_EERKSM_lbbbEUlllE0_EEPmJS9_EEE10hipError_tPvRmT3_T4_T5_T6_T7_T9_mT8_P12ihipStream_tbDpT10_ENKUlT_T0_E_clISt17integral_constantIbLb1EES1B_IbLb0EEEEDaS17_S18_EUlS17_E_NS1_11comp_targetILNS1_3genE4ELNS1_11target_archE910ELNS1_3gpuE8ELNS1_3repE0EEENS1_30default_config_static_selectorELNS0_4arch9wavefront6targetE1EEEvT1_,@function
_ZN7rocprim17ROCPRIM_400000_NS6detail17trampoline_kernelINS0_14default_configENS1_25partition_config_selectorILNS1_17partition_subalgoE9EllbEEZZNS1_14partition_implILS5_9ELb0ES3_jPlS8_PNS0_10empty_typeENS0_5tupleIJS8_S9_EEENSB_IJS8_SA_EEENS0_18inequality_wrapperIZN2at6native12_GLOBAL__N_124unique_dim_cuda_templateIN3c104HalfEEESt5tupleIJNSF_6TensorESM_SM_EERKSM_lbbbEUlllE0_EEPmJS9_EEE10hipError_tPvRmT3_T4_T5_T6_T7_T9_mT8_P12ihipStream_tbDpT10_ENKUlT_T0_E_clISt17integral_constantIbLb1EES1B_IbLb0EEEEDaS17_S18_EUlS17_E_NS1_11comp_targetILNS1_3genE4ELNS1_11target_archE910ELNS1_3gpuE8ELNS1_3repE0EEENS1_30default_config_static_selectorELNS0_4arch9wavefront6targetE1EEEvT1_: ; @_ZN7rocprim17ROCPRIM_400000_NS6detail17trampoline_kernelINS0_14default_configENS1_25partition_config_selectorILNS1_17partition_subalgoE9EllbEEZZNS1_14partition_implILS5_9ELb0ES3_jPlS8_PNS0_10empty_typeENS0_5tupleIJS8_S9_EEENSB_IJS8_SA_EEENS0_18inequality_wrapperIZN2at6native12_GLOBAL__N_124unique_dim_cuda_templateIN3c104HalfEEESt5tupleIJNSF_6TensorESM_SM_EERKSM_lbbbEUlllE0_EEPmJS9_EEE10hipError_tPvRmT3_T4_T5_T6_T7_T9_mT8_P12ihipStream_tbDpT10_ENKUlT_T0_E_clISt17integral_constantIbLb1EES1B_IbLb0EEEEDaS17_S18_EUlS17_E_NS1_11comp_targetILNS1_3genE4ELNS1_11target_archE910ELNS1_3gpuE8ELNS1_3repE0EEENS1_30default_config_static_selectorELNS0_4arch9wavefront6targetE1EEEvT1_
; %bb.0:
	.section	.rodata,"a",@progbits
	.p2align	6, 0x0
	.amdhsa_kernel _ZN7rocprim17ROCPRIM_400000_NS6detail17trampoline_kernelINS0_14default_configENS1_25partition_config_selectorILNS1_17partition_subalgoE9EllbEEZZNS1_14partition_implILS5_9ELb0ES3_jPlS8_PNS0_10empty_typeENS0_5tupleIJS8_S9_EEENSB_IJS8_SA_EEENS0_18inequality_wrapperIZN2at6native12_GLOBAL__N_124unique_dim_cuda_templateIN3c104HalfEEESt5tupleIJNSF_6TensorESM_SM_EERKSM_lbbbEUlllE0_EEPmJS9_EEE10hipError_tPvRmT3_T4_T5_T6_T7_T9_mT8_P12ihipStream_tbDpT10_ENKUlT_T0_E_clISt17integral_constantIbLb1EES1B_IbLb0EEEEDaS17_S18_EUlS17_E_NS1_11comp_targetILNS1_3genE4ELNS1_11target_archE910ELNS1_3gpuE8ELNS1_3repE0EEENS1_30default_config_static_selectorELNS0_4arch9wavefront6targetE1EEEvT1_
		.amdhsa_group_segment_fixed_size 0
		.amdhsa_private_segment_fixed_size 0
		.amdhsa_kernarg_size 120
		.amdhsa_user_sgpr_count 2
		.amdhsa_user_sgpr_dispatch_ptr 0
		.amdhsa_user_sgpr_queue_ptr 0
		.amdhsa_user_sgpr_kernarg_segment_ptr 1
		.amdhsa_user_sgpr_dispatch_id 0
		.amdhsa_user_sgpr_kernarg_preload_length 0
		.amdhsa_user_sgpr_kernarg_preload_offset 0
		.amdhsa_user_sgpr_private_segment_size 0
		.amdhsa_uses_dynamic_stack 0
		.amdhsa_enable_private_segment 0
		.amdhsa_system_sgpr_workgroup_id_x 1
		.amdhsa_system_sgpr_workgroup_id_y 0
		.amdhsa_system_sgpr_workgroup_id_z 0
		.amdhsa_system_sgpr_workgroup_info 0
		.amdhsa_system_vgpr_workitem_id 0
		.amdhsa_next_free_vgpr 1
		.amdhsa_next_free_sgpr 0
		.amdhsa_accum_offset 4
		.amdhsa_reserve_vcc 0
		.amdhsa_float_round_mode_32 0
		.amdhsa_float_round_mode_16_64 0
		.amdhsa_float_denorm_mode_32 3
		.amdhsa_float_denorm_mode_16_64 3
		.amdhsa_dx10_clamp 1
		.amdhsa_ieee_mode 1
		.amdhsa_fp16_overflow 0
		.amdhsa_tg_split 0
		.amdhsa_exception_fp_ieee_invalid_op 0
		.amdhsa_exception_fp_denorm_src 0
		.amdhsa_exception_fp_ieee_div_zero 0
		.amdhsa_exception_fp_ieee_overflow 0
		.amdhsa_exception_fp_ieee_underflow 0
		.amdhsa_exception_fp_ieee_inexact 0
		.amdhsa_exception_int_div_zero 0
	.end_amdhsa_kernel
	.section	.text._ZN7rocprim17ROCPRIM_400000_NS6detail17trampoline_kernelINS0_14default_configENS1_25partition_config_selectorILNS1_17partition_subalgoE9EllbEEZZNS1_14partition_implILS5_9ELb0ES3_jPlS8_PNS0_10empty_typeENS0_5tupleIJS8_S9_EEENSB_IJS8_SA_EEENS0_18inequality_wrapperIZN2at6native12_GLOBAL__N_124unique_dim_cuda_templateIN3c104HalfEEESt5tupleIJNSF_6TensorESM_SM_EERKSM_lbbbEUlllE0_EEPmJS9_EEE10hipError_tPvRmT3_T4_T5_T6_T7_T9_mT8_P12ihipStream_tbDpT10_ENKUlT_T0_E_clISt17integral_constantIbLb1EES1B_IbLb0EEEEDaS17_S18_EUlS17_E_NS1_11comp_targetILNS1_3genE4ELNS1_11target_archE910ELNS1_3gpuE8ELNS1_3repE0EEENS1_30default_config_static_selectorELNS0_4arch9wavefront6targetE1EEEvT1_,"axG",@progbits,_ZN7rocprim17ROCPRIM_400000_NS6detail17trampoline_kernelINS0_14default_configENS1_25partition_config_selectorILNS1_17partition_subalgoE9EllbEEZZNS1_14partition_implILS5_9ELb0ES3_jPlS8_PNS0_10empty_typeENS0_5tupleIJS8_S9_EEENSB_IJS8_SA_EEENS0_18inequality_wrapperIZN2at6native12_GLOBAL__N_124unique_dim_cuda_templateIN3c104HalfEEESt5tupleIJNSF_6TensorESM_SM_EERKSM_lbbbEUlllE0_EEPmJS9_EEE10hipError_tPvRmT3_T4_T5_T6_T7_T9_mT8_P12ihipStream_tbDpT10_ENKUlT_T0_E_clISt17integral_constantIbLb1EES1B_IbLb0EEEEDaS17_S18_EUlS17_E_NS1_11comp_targetILNS1_3genE4ELNS1_11target_archE910ELNS1_3gpuE8ELNS1_3repE0EEENS1_30default_config_static_selectorELNS0_4arch9wavefront6targetE1EEEvT1_,comdat
.Lfunc_end1347:
	.size	_ZN7rocprim17ROCPRIM_400000_NS6detail17trampoline_kernelINS0_14default_configENS1_25partition_config_selectorILNS1_17partition_subalgoE9EllbEEZZNS1_14partition_implILS5_9ELb0ES3_jPlS8_PNS0_10empty_typeENS0_5tupleIJS8_S9_EEENSB_IJS8_SA_EEENS0_18inequality_wrapperIZN2at6native12_GLOBAL__N_124unique_dim_cuda_templateIN3c104HalfEEESt5tupleIJNSF_6TensorESM_SM_EERKSM_lbbbEUlllE0_EEPmJS9_EEE10hipError_tPvRmT3_T4_T5_T6_T7_T9_mT8_P12ihipStream_tbDpT10_ENKUlT_T0_E_clISt17integral_constantIbLb1EES1B_IbLb0EEEEDaS17_S18_EUlS17_E_NS1_11comp_targetILNS1_3genE4ELNS1_11target_archE910ELNS1_3gpuE8ELNS1_3repE0EEENS1_30default_config_static_selectorELNS0_4arch9wavefront6targetE1EEEvT1_, .Lfunc_end1347-_ZN7rocprim17ROCPRIM_400000_NS6detail17trampoline_kernelINS0_14default_configENS1_25partition_config_selectorILNS1_17partition_subalgoE9EllbEEZZNS1_14partition_implILS5_9ELb0ES3_jPlS8_PNS0_10empty_typeENS0_5tupleIJS8_S9_EEENSB_IJS8_SA_EEENS0_18inequality_wrapperIZN2at6native12_GLOBAL__N_124unique_dim_cuda_templateIN3c104HalfEEESt5tupleIJNSF_6TensorESM_SM_EERKSM_lbbbEUlllE0_EEPmJS9_EEE10hipError_tPvRmT3_T4_T5_T6_T7_T9_mT8_P12ihipStream_tbDpT10_ENKUlT_T0_E_clISt17integral_constantIbLb1EES1B_IbLb0EEEEDaS17_S18_EUlS17_E_NS1_11comp_targetILNS1_3genE4ELNS1_11target_archE910ELNS1_3gpuE8ELNS1_3repE0EEENS1_30default_config_static_selectorELNS0_4arch9wavefront6targetE1EEEvT1_
                                        ; -- End function
	.set _ZN7rocprim17ROCPRIM_400000_NS6detail17trampoline_kernelINS0_14default_configENS1_25partition_config_selectorILNS1_17partition_subalgoE9EllbEEZZNS1_14partition_implILS5_9ELb0ES3_jPlS8_PNS0_10empty_typeENS0_5tupleIJS8_S9_EEENSB_IJS8_SA_EEENS0_18inequality_wrapperIZN2at6native12_GLOBAL__N_124unique_dim_cuda_templateIN3c104HalfEEESt5tupleIJNSF_6TensorESM_SM_EERKSM_lbbbEUlllE0_EEPmJS9_EEE10hipError_tPvRmT3_T4_T5_T6_T7_T9_mT8_P12ihipStream_tbDpT10_ENKUlT_T0_E_clISt17integral_constantIbLb1EES1B_IbLb0EEEEDaS17_S18_EUlS17_E_NS1_11comp_targetILNS1_3genE4ELNS1_11target_archE910ELNS1_3gpuE8ELNS1_3repE0EEENS1_30default_config_static_selectorELNS0_4arch9wavefront6targetE1EEEvT1_.num_vgpr, 0
	.set _ZN7rocprim17ROCPRIM_400000_NS6detail17trampoline_kernelINS0_14default_configENS1_25partition_config_selectorILNS1_17partition_subalgoE9EllbEEZZNS1_14partition_implILS5_9ELb0ES3_jPlS8_PNS0_10empty_typeENS0_5tupleIJS8_S9_EEENSB_IJS8_SA_EEENS0_18inequality_wrapperIZN2at6native12_GLOBAL__N_124unique_dim_cuda_templateIN3c104HalfEEESt5tupleIJNSF_6TensorESM_SM_EERKSM_lbbbEUlllE0_EEPmJS9_EEE10hipError_tPvRmT3_T4_T5_T6_T7_T9_mT8_P12ihipStream_tbDpT10_ENKUlT_T0_E_clISt17integral_constantIbLb1EES1B_IbLb0EEEEDaS17_S18_EUlS17_E_NS1_11comp_targetILNS1_3genE4ELNS1_11target_archE910ELNS1_3gpuE8ELNS1_3repE0EEENS1_30default_config_static_selectorELNS0_4arch9wavefront6targetE1EEEvT1_.num_agpr, 0
	.set _ZN7rocprim17ROCPRIM_400000_NS6detail17trampoline_kernelINS0_14default_configENS1_25partition_config_selectorILNS1_17partition_subalgoE9EllbEEZZNS1_14partition_implILS5_9ELb0ES3_jPlS8_PNS0_10empty_typeENS0_5tupleIJS8_S9_EEENSB_IJS8_SA_EEENS0_18inequality_wrapperIZN2at6native12_GLOBAL__N_124unique_dim_cuda_templateIN3c104HalfEEESt5tupleIJNSF_6TensorESM_SM_EERKSM_lbbbEUlllE0_EEPmJS9_EEE10hipError_tPvRmT3_T4_T5_T6_T7_T9_mT8_P12ihipStream_tbDpT10_ENKUlT_T0_E_clISt17integral_constantIbLb1EES1B_IbLb0EEEEDaS17_S18_EUlS17_E_NS1_11comp_targetILNS1_3genE4ELNS1_11target_archE910ELNS1_3gpuE8ELNS1_3repE0EEENS1_30default_config_static_selectorELNS0_4arch9wavefront6targetE1EEEvT1_.numbered_sgpr, 0
	.set _ZN7rocprim17ROCPRIM_400000_NS6detail17trampoline_kernelINS0_14default_configENS1_25partition_config_selectorILNS1_17partition_subalgoE9EllbEEZZNS1_14partition_implILS5_9ELb0ES3_jPlS8_PNS0_10empty_typeENS0_5tupleIJS8_S9_EEENSB_IJS8_SA_EEENS0_18inequality_wrapperIZN2at6native12_GLOBAL__N_124unique_dim_cuda_templateIN3c104HalfEEESt5tupleIJNSF_6TensorESM_SM_EERKSM_lbbbEUlllE0_EEPmJS9_EEE10hipError_tPvRmT3_T4_T5_T6_T7_T9_mT8_P12ihipStream_tbDpT10_ENKUlT_T0_E_clISt17integral_constantIbLb1EES1B_IbLb0EEEEDaS17_S18_EUlS17_E_NS1_11comp_targetILNS1_3genE4ELNS1_11target_archE910ELNS1_3gpuE8ELNS1_3repE0EEENS1_30default_config_static_selectorELNS0_4arch9wavefront6targetE1EEEvT1_.num_named_barrier, 0
	.set _ZN7rocprim17ROCPRIM_400000_NS6detail17trampoline_kernelINS0_14default_configENS1_25partition_config_selectorILNS1_17partition_subalgoE9EllbEEZZNS1_14partition_implILS5_9ELb0ES3_jPlS8_PNS0_10empty_typeENS0_5tupleIJS8_S9_EEENSB_IJS8_SA_EEENS0_18inequality_wrapperIZN2at6native12_GLOBAL__N_124unique_dim_cuda_templateIN3c104HalfEEESt5tupleIJNSF_6TensorESM_SM_EERKSM_lbbbEUlllE0_EEPmJS9_EEE10hipError_tPvRmT3_T4_T5_T6_T7_T9_mT8_P12ihipStream_tbDpT10_ENKUlT_T0_E_clISt17integral_constantIbLb1EES1B_IbLb0EEEEDaS17_S18_EUlS17_E_NS1_11comp_targetILNS1_3genE4ELNS1_11target_archE910ELNS1_3gpuE8ELNS1_3repE0EEENS1_30default_config_static_selectorELNS0_4arch9wavefront6targetE1EEEvT1_.private_seg_size, 0
	.set _ZN7rocprim17ROCPRIM_400000_NS6detail17trampoline_kernelINS0_14default_configENS1_25partition_config_selectorILNS1_17partition_subalgoE9EllbEEZZNS1_14partition_implILS5_9ELb0ES3_jPlS8_PNS0_10empty_typeENS0_5tupleIJS8_S9_EEENSB_IJS8_SA_EEENS0_18inequality_wrapperIZN2at6native12_GLOBAL__N_124unique_dim_cuda_templateIN3c104HalfEEESt5tupleIJNSF_6TensorESM_SM_EERKSM_lbbbEUlllE0_EEPmJS9_EEE10hipError_tPvRmT3_T4_T5_T6_T7_T9_mT8_P12ihipStream_tbDpT10_ENKUlT_T0_E_clISt17integral_constantIbLb1EES1B_IbLb0EEEEDaS17_S18_EUlS17_E_NS1_11comp_targetILNS1_3genE4ELNS1_11target_archE910ELNS1_3gpuE8ELNS1_3repE0EEENS1_30default_config_static_selectorELNS0_4arch9wavefront6targetE1EEEvT1_.uses_vcc, 0
	.set _ZN7rocprim17ROCPRIM_400000_NS6detail17trampoline_kernelINS0_14default_configENS1_25partition_config_selectorILNS1_17partition_subalgoE9EllbEEZZNS1_14partition_implILS5_9ELb0ES3_jPlS8_PNS0_10empty_typeENS0_5tupleIJS8_S9_EEENSB_IJS8_SA_EEENS0_18inequality_wrapperIZN2at6native12_GLOBAL__N_124unique_dim_cuda_templateIN3c104HalfEEESt5tupleIJNSF_6TensorESM_SM_EERKSM_lbbbEUlllE0_EEPmJS9_EEE10hipError_tPvRmT3_T4_T5_T6_T7_T9_mT8_P12ihipStream_tbDpT10_ENKUlT_T0_E_clISt17integral_constantIbLb1EES1B_IbLb0EEEEDaS17_S18_EUlS17_E_NS1_11comp_targetILNS1_3genE4ELNS1_11target_archE910ELNS1_3gpuE8ELNS1_3repE0EEENS1_30default_config_static_selectorELNS0_4arch9wavefront6targetE1EEEvT1_.uses_flat_scratch, 0
	.set _ZN7rocprim17ROCPRIM_400000_NS6detail17trampoline_kernelINS0_14default_configENS1_25partition_config_selectorILNS1_17partition_subalgoE9EllbEEZZNS1_14partition_implILS5_9ELb0ES3_jPlS8_PNS0_10empty_typeENS0_5tupleIJS8_S9_EEENSB_IJS8_SA_EEENS0_18inequality_wrapperIZN2at6native12_GLOBAL__N_124unique_dim_cuda_templateIN3c104HalfEEESt5tupleIJNSF_6TensorESM_SM_EERKSM_lbbbEUlllE0_EEPmJS9_EEE10hipError_tPvRmT3_T4_T5_T6_T7_T9_mT8_P12ihipStream_tbDpT10_ENKUlT_T0_E_clISt17integral_constantIbLb1EES1B_IbLb0EEEEDaS17_S18_EUlS17_E_NS1_11comp_targetILNS1_3genE4ELNS1_11target_archE910ELNS1_3gpuE8ELNS1_3repE0EEENS1_30default_config_static_selectorELNS0_4arch9wavefront6targetE1EEEvT1_.has_dyn_sized_stack, 0
	.set _ZN7rocprim17ROCPRIM_400000_NS6detail17trampoline_kernelINS0_14default_configENS1_25partition_config_selectorILNS1_17partition_subalgoE9EllbEEZZNS1_14partition_implILS5_9ELb0ES3_jPlS8_PNS0_10empty_typeENS0_5tupleIJS8_S9_EEENSB_IJS8_SA_EEENS0_18inequality_wrapperIZN2at6native12_GLOBAL__N_124unique_dim_cuda_templateIN3c104HalfEEESt5tupleIJNSF_6TensorESM_SM_EERKSM_lbbbEUlllE0_EEPmJS9_EEE10hipError_tPvRmT3_T4_T5_T6_T7_T9_mT8_P12ihipStream_tbDpT10_ENKUlT_T0_E_clISt17integral_constantIbLb1EES1B_IbLb0EEEEDaS17_S18_EUlS17_E_NS1_11comp_targetILNS1_3genE4ELNS1_11target_archE910ELNS1_3gpuE8ELNS1_3repE0EEENS1_30default_config_static_selectorELNS0_4arch9wavefront6targetE1EEEvT1_.has_recursion, 0
	.set _ZN7rocprim17ROCPRIM_400000_NS6detail17trampoline_kernelINS0_14default_configENS1_25partition_config_selectorILNS1_17partition_subalgoE9EllbEEZZNS1_14partition_implILS5_9ELb0ES3_jPlS8_PNS0_10empty_typeENS0_5tupleIJS8_S9_EEENSB_IJS8_SA_EEENS0_18inequality_wrapperIZN2at6native12_GLOBAL__N_124unique_dim_cuda_templateIN3c104HalfEEESt5tupleIJNSF_6TensorESM_SM_EERKSM_lbbbEUlllE0_EEPmJS9_EEE10hipError_tPvRmT3_T4_T5_T6_T7_T9_mT8_P12ihipStream_tbDpT10_ENKUlT_T0_E_clISt17integral_constantIbLb1EES1B_IbLb0EEEEDaS17_S18_EUlS17_E_NS1_11comp_targetILNS1_3genE4ELNS1_11target_archE910ELNS1_3gpuE8ELNS1_3repE0EEENS1_30default_config_static_selectorELNS0_4arch9wavefront6targetE1EEEvT1_.has_indirect_call, 0
	.section	.AMDGPU.csdata,"",@progbits
; Kernel info:
; codeLenInByte = 0
; TotalNumSgprs: 6
; NumVgprs: 0
; NumAgprs: 0
; TotalNumVgprs: 0
; ScratchSize: 0
; MemoryBound: 0
; FloatMode: 240
; IeeeMode: 1
; LDSByteSize: 0 bytes/workgroup (compile time only)
; SGPRBlocks: 0
; VGPRBlocks: 0
; NumSGPRsForWavesPerEU: 6
; NumVGPRsForWavesPerEU: 1
; AccumOffset: 4
; Occupancy: 8
; WaveLimiterHint : 0
; COMPUTE_PGM_RSRC2:SCRATCH_EN: 0
; COMPUTE_PGM_RSRC2:USER_SGPR: 2
; COMPUTE_PGM_RSRC2:TRAP_HANDLER: 0
; COMPUTE_PGM_RSRC2:TGID_X_EN: 1
; COMPUTE_PGM_RSRC2:TGID_Y_EN: 0
; COMPUTE_PGM_RSRC2:TGID_Z_EN: 0
; COMPUTE_PGM_RSRC2:TIDIG_COMP_CNT: 0
; COMPUTE_PGM_RSRC3_GFX90A:ACCUM_OFFSET: 0
; COMPUTE_PGM_RSRC3_GFX90A:TG_SPLIT: 0
	.section	.text._ZN7rocprim17ROCPRIM_400000_NS6detail17trampoline_kernelINS0_14default_configENS1_25partition_config_selectorILNS1_17partition_subalgoE9EllbEEZZNS1_14partition_implILS5_9ELb0ES3_jPlS8_PNS0_10empty_typeENS0_5tupleIJS8_S9_EEENSB_IJS8_SA_EEENS0_18inequality_wrapperIZN2at6native12_GLOBAL__N_124unique_dim_cuda_templateIN3c104HalfEEESt5tupleIJNSF_6TensorESM_SM_EERKSM_lbbbEUlllE0_EEPmJS9_EEE10hipError_tPvRmT3_T4_T5_T6_T7_T9_mT8_P12ihipStream_tbDpT10_ENKUlT_T0_E_clISt17integral_constantIbLb1EES1B_IbLb0EEEEDaS17_S18_EUlS17_E_NS1_11comp_targetILNS1_3genE3ELNS1_11target_archE908ELNS1_3gpuE7ELNS1_3repE0EEENS1_30default_config_static_selectorELNS0_4arch9wavefront6targetE1EEEvT1_,"axG",@progbits,_ZN7rocprim17ROCPRIM_400000_NS6detail17trampoline_kernelINS0_14default_configENS1_25partition_config_selectorILNS1_17partition_subalgoE9EllbEEZZNS1_14partition_implILS5_9ELb0ES3_jPlS8_PNS0_10empty_typeENS0_5tupleIJS8_S9_EEENSB_IJS8_SA_EEENS0_18inequality_wrapperIZN2at6native12_GLOBAL__N_124unique_dim_cuda_templateIN3c104HalfEEESt5tupleIJNSF_6TensorESM_SM_EERKSM_lbbbEUlllE0_EEPmJS9_EEE10hipError_tPvRmT3_T4_T5_T6_T7_T9_mT8_P12ihipStream_tbDpT10_ENKUlT_T0_E_clISt17integral_constantIbLb1EES1B_IbLb0EEEEDaS17_S18_EUlS17_E_NS1_11comp_targetILNS1_3genE3ELNS1_11target_archE908ELNS1_3gpuE7ELNS1_3repE0EEENS1_30default_config_static_selectorELNS0_4arch9wavefront6targetE1EEEvT1_,comdat
	.globl	_ZN7rocprim17ROCPRIM_400000_NS6detail17trampoline_kernelINS0_14default_configENS1_25partition_config_selectorILNS1_17partition_subalgoE9EllbEEZZNS1_14partition_implILS5_9ELb0ES3_jPlS8_PNS0_10empty_typeENS0_5tupleIJS8_S9_EEENSB_IJS8_SA_EEENS0_18inequality_wrapperIZN2at6native12_GLOBAL__N_124unique_dim_cuda_templateIN3c104HalfEEESt5tupleIJNSF_6TensorESM_SM_EERKSM_lbbbEUlllE0_EEPmJS9_EEE10hipError_tPvRmT3_T4_T5_T6_T7_T9_mT8_P12ihipStream_tbDpT10_ENKUlT_T0_E_clISt17integral_constantIbLb1EES1B_IbLb0EEEEDaS17_S18_EUlS17_E_NS1_11comp_targetILNS1_3genE3ELNS1_11target_archE908ELNS1_3gpuE7ELNS1_3repE0EEENS1_30default_config_static_selectorELNS0_4arch9wavefront6targetE1EEEvT1_ ; -- Begin function _ZN7rocprim17ROCPRIM_400000_NS6detail17trampoline_kernelINS0_14default_configENS1_25partition_config_selectorILNS1_17partition_subalgoE9EllbEEZZNS1_14partition_implILS5_9ELb0ES3_jPlS8_PNS0_10empty_typeENS0_5tupleIJS8_S9_EEENSB_IJS8_SA_EEENS0_18inequality_wrapperIZN2at6native12_GLOBAL__N_124unique_dim_cuda_templateIN3c104HalfEEESt5tupleIJNSF_6TensorESM_SM_EERKSM_lbbbEUlllE0_EEPmJS9_EEE10hipError_tPvRmT3_T4_T5_T6_T7_T9_mT8_P12ihipStream_tbDpT10_ENKUlT_T0_E_clISt17integral_constantIbLb1EES1B_IbLb0EEEEDaS17_S18_EUlS17_E_NS1_11comp_targetILNS1_3genE3ELNS1_11target_archE908ELNS1_3gpuE7ELNS1_3repE0EEENS1_30default_config_static_selectorELNS0_4arch9wavefront6targetE1EEEvT1_
	.p2align	8
	.type	_ZN7rocprim17ROCPRIM_400000_NS6detail17trampoline_kernelINS0_14default_configENS1_25partition_config_selectorILNS1_17partition_subalgoE9EllbEEZZNS1_14partition_implILS5_9ELb0ES3_jPlS8_PNS0_10empty_typeENS0_5tupleIJS8_S9_EEENSB_IJS8_SA_EEENS0_18inequality_wrapperIZN2at6native12_GLOBAL__N_124unique_dim_cuda_templateIN3c104HalfEEESt5tupleIJNSF_6TensorESM_SM_EERKSM_lbbbEUlllE0_EEPmJS9_EEE10hipError_tPvRmT3_T4_T5_T6_T7_T9_mT8_P12ihipStream_tbDpT10_ENKUlT_T0_E_clISt17integral_constantIbLb1EES1B_IbLb0EEEEDaS17_S18_EUlS17_E_NS1_11comp_targetILNS1_3genE3ELNS1_11target_archE908ELNS1_3gpuE7ELNS1_3repE0EEENS1_30default_config_static_selectorELNS0_4arch9wavefront6targetE1EEEvT1_,@function
_ZN7rocprim17ROCPRIM_400000_NS6detail17trampoline_kernelINS0_14default_configENS1_25partition_config_selectorILNS1_17partition_subalgoE9EllbEEZZNS1_14partition_implILS5_9ELb0ES3_jPlS8_PNS0_10empty_typeENS0_5tupleIJS8_S9_EEENSB_IJS8_SA_EEENS0_18inequality_wrapperIZN2at6native12_GLOBAL__N_124unique_dim_cuda_templateIN3c104HalfEEESt5tupleIJNSF_6TensorESM_SM_EERKSM_lbbbEUlllE0_EEPmJS9_EEE10hipError_tPvRmT3_T4_T5_T6_T7_T9_mT8_P12ihipStream_tbDpT10_ENKUlT_T0_E_clISt17integral_constantIbLb1EES1B_IbLb0EEEEDaS17_S18_EUlS17_E_NS1_11comp_targetILNS1_3genE3ELNS1_11target_archE908ELNS1_3gpuE7ELNS1_3repE0EEENS1_30default_config_static_selectorELNS0_4arch9wavefront6targetE1EEEvT1_: ; @_ZN7rocprim17ROCPRIM_400000_NS6detail17trampoline_kernelINS0_14default_configENS1_25partition_config_selectorILNS1_17partition_subalgoE9EllbEEZZNS1_14partition_implILS5_9ELb0ES3_jPlS8_PNS0_10empty_typeENS0_5tupleIJS8_S9_EEENSB_IJS8_SA_EEENS0_18inequality_wrapperIZN2at6native12_GLOBAL__N_124unique_dim_cuda_templateIN3c104HalfEEESt5tupleIJNSF_6TensorESM_SM_EERKSM_lbbbEUlllE0_EEPmJS9_EEE10hipError_tPvRmT3_T4_T5_T6_T7_T9_mT8_P12ihipStream_tbDpT10_ENKUlT_T0_E_clISt17integral_constantIbLb1EES1B_IbLb0EEEEDaS17_S18_EUlS17_E_NS1_11comp_targetILNS1_3genE3ELNS1_11target_archE908ELNS1_3gpuE7ELNS1_3repE0EEENS1_30default_config_static_selectorELNS0_4arch9wavefront6targetE1EEEvT1_
; %bb.0:
	.section	.rodata,"a",@progbits
	.p2align	6, 0x0
	.amdhsa_kernel _ZN7rocprim17ROCPRIM_400000_NS6detail17trampoline_kernelINS0_14default_configENS1_25partition_config_selectorILNS1_17partition_subalgoE9EllbEEZZNS1_14partition_implILS5_9ELb0ES3_jPlS8_PNS0_10empty_typeENS0_5tupleIJS8_S9_EEENSB_IJS8_SA_EEENS0_18inequality_wrapperIZN2at6native12_GLOBAL__N_124unique_dim_cuda_templateIN3c104HalfEEESt5tupleIJNSF_6TensorESM_SM_EERKSM_lbbbEUlllE0_EEPmJS9_EEE10hipError_tPvRmT3_T4_T5_T6_T7_T9_mT8_P12ihipStream_tbDpT10_ENKUlT_T0_E_clISt17integral_constantIbLb1EES1B_IbLb0EEEEDaS17_S18_EUlS17_E_NS1_11comp_targetILNS1_3genE3ELNS1_11target_archE908ELNS1_3gpuE7ELNS1_3repE0EEENS1_30default_config_static_selectorELNS0_4arch9wavefront6targetE1EEEvT1_
		.amdhsa_group_segment_fixed_size 0
		.amdhsa_private_segment_fixed_size 0
		.amdhsa_kernarg_size 120
		.amdhsa_user_sgpr_count 2
		.amdhsa_user_sgpr_dispatch_ptr 0
		.amdhsa_user_sgpr_queue_ptr 0
		.amdhsa_user_sgpr_kernarg_segment_ptr 1
		.amdhsa_user_sgpr_dispatch_id 0
		.amdhsa_user_sgpr_kernarg_preload_length 0
		.amdhsa_user_sgpr_kernarg_preload_offset 0
		.amdhsa_user_sgpr_private_segment_size 0
		.amdhsa_uses_dynamic_stack 0
		.amdhsa_enable_private_segment 0
		.amdhsa_system_sgpr_workgroup_id_x 1
		.amdhsa_system_sgpr_workgroup_id_y 0
		.amdhsa_system_sgpr_workgroup_id_z 0
		.amdhsa_system_sgpr_workgroup_info 0
		.amdhsa_system_vgpr_workitem_id 0
		.amdhsa_next_free_vgpr 1
		.amdhsa_next_free_sgpr 0
		.amdhsa_accum_offset 4
		.amdhsa_reserve_vcc 0
		.amdhsa_float_round_mode_32 0
		.amdhsa_float_round_mode_16_64 0
		.amdhsa_float_denorm_mode_32 3
		.amdhsa_float_denorm_mode_16_64 3
		.amdhsa_dx10_clamp 1
		.amdhsa_ieee_mode 1
		.amdhsa_fp16_overflow 0
		.amdhsa_tg_split 0
		.amdhsa_exception_fp_ieee_invalid_op 0
		.amdhsa_exception_fp_denorm_src 0
		.amdhsa_exception_fp_ieee_div_zero 0
		.amdhsa_exception_fp_ieee_overflow 0
		.amdhsa_exception_fp_ieee_underflow 0
		.amdhsa_exception_fp_ieee_inexact 0
		.amdhsa_exception_int_div_zero 0
	.end_amdhsa_kernel
	.section	.text._ZN7rocprim17ROCPRIM_400000_NS6detail17trampoline_kernelINS0_14default_configENS1_25partition_config_selectorILNS1_17partition_subalgoE9EllbEEZZNS1_14partition_implILS5_9ELb0ES3_jPlS8_PNS0_10empty_typeENS0_5tupleIJS8_S9_EEENSB_IJS8_SA_EEENS0_18inequality_wrapperIZN2at6native12_GLOBAL__N_124unique_dim_cuda_templateIN3c104HalfEEESt5tupleIJNSF_6TensorESM_SM_EERKSM_lbbbEUlllE0_EEPmJS9_EEE10hipError_tPvRmT3_T4_T5_T6_T7_T9_mT8_P12ihipStream_tbDpT10_ENKUlT_T0_E_clISt17integral_constantIbLb1EES1B_IbLb0EEEEDaS17_S18_EUlS17_E_NS1_11comp_targetILNS1_3genE3ELNS1_11target_archE908ELNS1_3gpuE7ELNS1_3repE0EEENS1_30default_config_static_selectorELNS0_4arch9wavefront6targetE1EEEvT1_,"axG",@progbits,_ZN7rocprim17ROCPRIM_400000_NS6detail17trampoline_kernelINS0_14default_configENS1_25partition_config_selectorILNS1_17partition_subalgoE9EllbEEZZNS1_14partition_implILS5_9ELb0ES3_jPlS8_PNS0_10empty_typeENS0_5tupleIJS8_S9_EEENSB_IJS8_SA_EEENS0_18inequality_wrapperIZN2at6native12_GLOBAL__N_124unique_dim_cuda_templateIN3c104HalfEEESt5tupleIJNSF_6TensorESM_SM_EERKSM_lbbbEUlllE0_EEPmJS9_EEE10hipError_tPvRmT3_T4_T5_T6_T7_T9_mT8_P12ihipStream_tbDpT10_ENKUlT_T0_E_clISt17integral_constantIbLb1EES1B_IbLb0EEEEDaS17_S18_EUlS17_E_NS1_11comp_targetILNS1_3genE3ELNS1_11target_archE908ELNS1_3gpuE7ELNS1_3repE0EEENS1_30default_config_static_selectorELNS0_4arch9wavefront6targetE1EEEvT1_,comdat
.Lfunc_end1348:
	.size	_ZN7rocprim17ROCPRIM_400000_NS6detail17trampoline_kernelINS0_14default_configENS1_25partition_config_selectorILNS1_17partition_subalgoE9EllbEEZZNS1_14partition_implILS5_9ELb0ES3_jPlS8_PNS0_10empty_typeENS0_5tupleIJS8_S9_EEENSB_IJS8_SA_EEENS0_18inequality_wrapperIZN2at6native12_GLOBAL__N_124unique_dim_cuda_templateIN3c104HalfEEESt5tupleIJNSF_6TensorESM_SM_EERKSM_lbbbEUlllE0_EEPmJS9_EEE10hipError_tPvRmT3_T4_T5_T6_T7_T9_mT8_P12ihipStream_tbDpT10_ENKUlT_T0_E_clISt17integral_constantIbLb1EES1B_IbLb0EEEEDaS17_S18_EUlS17_E_NS1_11comp_targetILNS1_3genE3ELNS1_11target_archE908ELNS1_3gpuE7ELNS1_3repE0EEENS1_30default_config_static_selectorELNS0_4arch9wavefront6targetE1EEEvT1_, .Lfunc_end1348-_ZN7rocprim17ROCPRIM_400000_NS6detail17trampoline_kernelINS0_14default_configENS1_25partition_config_selectorILNS1_17partition_subalgoE9EllbEEZZNS1_14partition_implILS5_9ELb0ES3_jPlS8_PNS0_10empty_typeENS0_5tupleIJS8_S9_EEENSB_IJS8_SA_EEENS0_18inequality_wrapperIZN2at6native12_GLOBAL__N_124unique_dim_cuda_templateIN3c104HalfEEESt5tupleIJNSF_6TensorESM_SM_EERKSM_lbbbEUlllE0_EEPmJS9_EEE10hipError_tPvRmT3_T4_T5_T6_T7_T9_mT8_P12ihipStream_tbDpT10_ENKUlT_T0_E_clISt17integral_constantIbLb1EES1B_IbLb0EEEEDaS17_S18_EUlS17_E_NS1_11comp_targetILNS1_3genE3ELNS1_11target_archE908ELNS1_3gpuE7ELNS1_3repE0EEENS1_30default_config_static_selectorELNS0_4arch9wavefront6targetE1EEEvT1_
                                        ; -- End function
	.set _ZN7rocprim17ROCPRIM_400000_NS6detail17trampoline_kernelINS0_14default_configENS1_25partition_config_selectorILNS1_17partition_subalgoE9EllbEEZZNS1_14partition_implILS5_9ELb0ES3_jPlS8_PNS0_10empty_typeENS0_5tupleIJS8_S9_EEENSB_IJS8_SA_EEENS0_18inequality_wrapperIZN2at6native12_GLOBAL__N_124unique_dim_cuda_templateIN3c104HalfEEESt5tupleIJNSF_6TensorESM_SM_EERKSM_lbbbEUlllE0_EEPmJS9_EEE10hipError_tPvRmT3_T4_T5_T6_T7_T9_mT8_P12ihipStream_tbDpT10_ENKUlT_T0_E_clISt17integral_constantIbLb1EES1B_IbLb0EEEEDaS17_S18_EUlS17_E_NS1_11comp_targetILNS1_3genE3ELNS1_11target_archE908ELNS1_3gpuE7ELNS1_3repE0EEENS1_30default_config_static_selectorELNS0_4arch9wavefront6targetE1EEEvT1_.num_vgpr, 0
	.set _ZN7rocprim17ROCPRIM_400000_NS6detail17trampoline_kernelINS0_14default_configENS1_25partition_config_selectorILNS1_17partition_subalgoE9EllbEEZZNS1_14partition_implILS5_9ELb0ES3_jPlS8_PNS0_10empty_typeENS0_5tupleIJS8_S9_EEENSB_IJS8_SA_EEENS0_18inequality_wrapperIZN2at6native12_GLOBAL__N_124unique_dim_cuda_templateIN3c104HalfEEESt5tupleIJNSF_6TensorESM_SM_EERKSM_lbbbEUlllE0_EEPmJS9_EEE10hipError_tPvRmT3_T4_T5_T6_T7_T9_mT8_P12ihipStream_tbDpT10_ENKUlT_T0_E_clISt17integral_constantIbLb1EES1B_IbLb0EEEEDaS17_S18_EUlS17_E_NS1_11comp_targetILNS1_3genE3ELNS1_11target_archE908ELNS1_3gpuE7ELNS1_3repE0EEENS1_30default_config_static_selectorELNS0_4arch9wavefront6targetE1EEEvT1_.num_agpr, 0
	.set _ZN7rocprim17ROCPRIM_400000_NS6detail17trampoline_kernelINS0_14default_configENS1_25partition_config_selectorILNS1_17partition_subalgoE9EllbEEZZNS1_14partition_implILS5_9ELb0ES3_jPlS8_PNS0_10empty_typeENS0_5tupleIJS8_S9_EEENSB_IJS8_SA_EEENS0_18inequality_wrapperIZN2at6native12_GLOBAL__N_124unique_dim_cuda_templateIN3c104HalfEEESt5tupleIJNSF_6TensorESM_SM_EERKSM_lbbbEUlllE0_EEPmJS9_EEE10hipError_tPvRmT3_T4_T5_T6_T7_T9_mT8_P12ihipStream_tbDpT10_ENKUlT_T0_E_clISt17integral_constantIbLb1EES1B_IbLb0EEEEDaS17_S18_EUlS17_E_NS1_11comp_targetILNS1_3genE3ELNS1_11target_archE908ELNS1_3gpuE7ELNS1_3repE0EEENS1_30default_config_static_selectorELNS0_4arch9wavefront6targetE1EEEvT1_.numbered_sgpr, 0
	.set _ZN7rocprim17ROCPRIM_400000_NS6detail17trampoline_kernelINS0_14default_configENS1_25partition_config_selectorILNS1_17partition_subalgoE9EllbEEZZNS1_14partition_implILS5_9ELb0ES3_jPlS8_PNS0_10empty_typeENS0_5tupleIJS8_S9_EEENSB_IJS8_SA_EEENS0_18inequality_wrapperIZN2at6native12_GLOBAL__N_124unique_dim_cuda_templateIN3c104HalfEEESt5tupleIJNSF_6TensorESM_SM_EERKSM_lbbbEUlllE0_EEPmJS9_EEE10hipError_tPvRmT3_T4_T5_T6_T7_T9_mT8_P12ihipStream_tbDpT10_ENKUlT_T0_E_clISt17integral_constantIbLb1EES1B_IbLb0EEEEDaS17_S18_EUlS17_E_NS1_11comp_targetILNS1_3genE3ELNS1_11target_archE908ELNS1_3gpuE7ELNS1_3repE0EEENS1_30default_config_static_selectorELNS0_4arch9wavefront6targetE1EEEvT1_.num_named_barrier, 0
	.set _ZN7rocprim17ROCPRIM_400000_NS6detail17trampoline_kernelINS0_14default_configENS1_25partition_config_selectorILNS1_17partition_subalgoE9EllbEEZZNS1_14partition_implILS5_9ELb0ES3_jPlS8_PNS0_10empty_typeENS0_5tupleIJS8_S9_EEENSB_IJS8_SA_EEENS0_18inequality_wrapperIZN2at6native12_GLOBAL__N_124unique_dim_cuda_templateIN3c104HalfEEESt5tupleIJNSF_6TensorESM_SM_EERKSM_lbbbEUlllE0_EEPmJS9_EEE10hipError_tPvRmT3_T4_T5_T6_T7_T9_mT8_P12ihipStream_tbDpT10_ENKUlT_T0_E_clISt17integral_constantIbLb1EES1B_IbLb0EEEEDaS17_S18_EUlS17_E_NS1_11comp_targetILNS1_3genE3ELNS1_11target_archE908ELNS1_3gpuE7ELNS1_3repE0EEENS1_30default_config_static_selectorELNS0_4arch9wavefront6targetE1EEEvT1_.private_seg_size, 0
	.set _ZN7rocprim17ROCPRIM_400000_NS6detail17trampoline_kernelINS0_14default_configENS1_25partition_config_selectorILNS1_17partition_subalgoE9EllbEEZZNS1_14partition_implILS5_9ELb0ES3_jPlS8_PNS0_10empty_typeENS0_5tupleIJS8_S9_EEENSB_IJS8_SA_EEENS0_18inequality_wrapperIZN2at6native12_GLOBAL__N_124unique_dim_cuda_templateIN3c104HalfEEESt5tupleIJNSF_6TensorESM_SM_EERKSM_lbbbEUlllE0_EEPmJS9_EEE10hipError_tPvRmT3_T4_T5_T6_T7_T9_mT8_P12ihipStream_tbDpT10_ENKUlT_T0_E_clISt17integral_constantIbLb1EES1B_IbLb0EEEEDaS17_S18_EUlS17_E_NS1_11comp_targetILNS1_3genE3ELNS1_11target_archE908ELNS1_3gpuE7ELNS1_3repE0EEENS1_30default_config_static_selectorELNS0_4arch9wavefront6targetE1EEEvT1_.uses_vcc, 0
	.set _ZN7rocprim17ROCPRIM_400000_NS6detail17trampoline_kernelINS0_14default_configENS1_25partition_config_selectorILNS1_17partition_subalgoE9EllbEEZZNS1_14partition_implILS5_9ELb0ES3_jPlS8_PNS0_10empty_typeENS0_5tupleIJS8_S9_EEENSB_IJS8_SA_EEENS0_18inequality_wrapperIZN2at6native12_GLOBAL__N_124unique_dim_cuda_templateIN3c104HalfEEESt5tupleIJNSF_6TensorESM_SM_EERKSM_lbbbEUlllE0_EEPmJS9_EEE10hipError_tPvRmT3_T4_T5_T6_T7_T9_mT8_P12ihipStream_tbDpT10_ENKUlT_T0_E_clISt17integral_constantIbLb1EES1B_IbLb0EEEEDaS17_S18_EUlS17_E_NS1_11comp_targetILNS1_3genE3ELNS1_11target_archE908ELNS1_3gpuE7ELNS1_3repE0EEENS1_30default_config_static_selectorELNS0_4arch9wavefront6targetE1EEEvT1_.uses_flat_scratch, 0
	.set _ZN7rocprim17ROCPRIM_400000_NS6detail17trampoline_kernelINS0_14default_configENS1_25partition_config_selectorILNS1_17partition_subalgoE9EllbEEZZNS1_14partition_implILS5_9ELb0ES3_jPlS8_PNS0_10empty_typeENS0_5tupleIJS8_S9_EEENSB_IJS8_SA_EEENS0_18inequality_wrapperIZN2at6native12_GLOBAL__N_124unique_dim_cuda_templateIN3c104HalfEEESt5tupleIJNSF_6TensorESM_SM_EERKSM_lbbbEUlllE0_EEPmJS9_EEE10hipError_tPvRmT3_T4_T5_T6_T7_T9_mT8_P12ihipStream_tbDpT10_ENKUlT_T0_E_clISt17integral_constantIbLb1EES1B_IbLb0EEEEDaS17_S18_EUlS17_E_NS1_11comp_targetILNS1_3genE3ELNS1_11target_archE908ELNS1_3gpuE7ELNS1_3repE0EEENS1_30default_config_static_selectorELNS0_4arch9wavefront6targetE1EEEvT1_.has_dyn_sized_stack, 0
	.set _ZN7rocprim17ROCPRIM_400000_NS6detail17trampoline_kernelINS0_14default_configENS1_25partition_config_selectorILNS1_17partition_subalgoE9EllbEEZZNS1_14partition_implILS5_9ELb0ES3_jPlS8_PNS0_10empty_typeENS0_5tupleIJS8_S9_EEENSB_IJS8_SA_EEENS0_18inequality_wrapperIZN2at6native12_GLOBAL__N_124unique_dim_cuda_templateIN3c104HalfEEESt5tupleIJNSF_6TensorESM_SM_EERKSM_lbbbEUlllE0_EEPmJS9_EEE10hipError_tPvRmT3_T4_T5_T6_T7_T9_mT8_P12ihipStream_tbDpT10_ENKUlT_T0_E_clISt17integral_constantIbLb1EES1B_IbLb0EEEEDaS17_S18_EUlS17_E_NS1_11comp_targetILNS1_3genE3ELNS1_11target_archE908ELNS1_3gpuE7ELNS1_3repE0EEENS1_30default_config_static_selectorELNS0_4arch9wavefront6targetE1EEEvT1_.has_recursion, 0
	.set _ZN7rocprim17ROCPRIM_400000_NS6detail17trampoline_kernelINS0_14default_configENS1_25partition_config_selectorILNS1_17partition_subalgoE9EllbEEZZNS1_14partition_implILS5_9ELb0ES3_jPlS8_PNS0_10empty_typeENS0_5tupleIJS8_S9_EEENSB_IJS8_SA_EEENS0_18inequality_wrapperIZN2at6native12_GLOBAL__N_124unique_dim_cuda_templateIN3c104HalfEEESt5tupleIJNSF_6TensorESM_SM_EERKSM_lbbbEUlllE0_EEPmJS9_EEE10hipError_tPvRmT3_T4_T5_T6_T7_T9_mT8_P12ihipStream_tbDpT10_ENKUlT_T0_E_clISt17integral_constantIbLb1EES1B_IbLb0EEEEDaS17_S18_EUlS17_E_NS1_11comp_targetILNS1_3genE3ELNS1_11target_archE908ELNS1_3gpuE7ELNS1_3repE0EEENS1_30default_config_static_selectorELNS0_4arch9wavefront6targetE1EEEvT1_.has_indirect_call, 0
	.section	.AMDGPU.csdata,"",@progbits
; Kernel info:
; codeLenInByte = 0
; TotalNumSgprs: 6
; NumVgprs: 0
; NumAgprs: 0
; TotalNumVgprs: 0
; ScratchSize: 0
; MemoryBound: 0
; FloatMode: 240
; IeeeMode: 1
; LDSByteSize: 0 bytes/workgroup (compile time only)
; SGPRBlocks: 0
; VGPRBlocks: 0
; NumSGPRsForWavesPerEU: 6
; NumVGPRsForWavesPerEU: 1
; AccumOffset: 4
; Occupancy: 8
; WaveLimiterHint : 0
; COMPUTE_PGM_RSRC2:SCRATCH_EN: 0
; COMPUTE_PGM_RSRC2:USER_SGPR: 2
; COMPUTE_PGM_RSRC2:TRAP_HANDLER: 0
; COMPUTE_PGM_RSRC2:TGID_X_EN: 1
; COMPUTE_PGM_RSRC2:TGID_Y_EN: 0
; COMPUTE_PGM_RSRC2:TGID_Z_EN: 0
; COMPUTE_PGM_RSRC2:TIDIG_COMP_CNT: 0
; COMPUTE_PGM_RSRC3_GFX90A:ACCUM_OFFSET: 0
; COMPUTE_PGM_RSRC3_GFX90A:TG_SPLIT: 0
	.section	.text._ZN7rocprim17ROCPRIM_400000_NS6detail17trampoline_kernelINS0_14default_configENS1_25partition_config_selectorILNS1_17partition_subalgoE9EllbEEZZNS1_14partition_implILS5_9ELb0ES3_jPlS8_PNS0_10empty_typeENS0_5tupleIJS8_S9_EEENSB_IJS8_SA_EEENS0_18inequality_wrapperIZN2at6native12_GLOBAL__N_124unique_dim_cuda_templateIN3c104HalfEEESt5tupleIJNSF_6TensorESM_SM_EERKSM_lbbbEUlllE0_EEPmJS9_EEE10hipError_tPvRmT3_T4_T5_T6_T7_T9_mT8_P12ihipStream_tbDpT10_ENKUlT_T0_E_clISt17integral_constantIbLb1EES1B_IbLb0EEEEDaS17_S18_EUlS17_E_NS1_11comp_targetILNS1_3genE2ELNS1_11target_archE906ELNS1_3gpuE6ELNS1_3repE0EEENS1_30default_config_static_selectorELNS0_4arch9wavefront6targetE1EEEvT1_,"axG",@progbits,_ZN7rocprim17ROCPRIM_400000_NS6detail17trampoline_kernelINS0_14default_configENS1_25partition_config_selectorILNS1_17partition_subalgoE9EllbEEZZNS1_14partition_implILS5_9ELb0ES3_jPlS8_PNS0_10empty_typeENS0_5tupleIJS8_S9_EEENSB_IJS8_SA_EEENS0_18inequality_wrapperIZN2at6native12_GLOBAL__N_124unique_dim_cuda_templateIN3c104HalfEEESt5tupleIJNSF_6TensorESM_SM_EERKSM_lbbbEUlllE0_EEPmJS9_EEE10hipError_tPvRmT3_T4_T5_T6_T7_T9_mT8_P12ihipStream_tbDpT10_ENKUlT_T0_E_clISt17integral_constantIbLb1EES1B_IbLb0EEEEDaS17_S18_EUlS17_E_NS1_11comp_targetILNS1_3genE2ELNS1_11target_archE906ELNS1_3gpuE6ELNS1_3repE0EEENS1_30default_config_static_selectorELNS0_4arch9wavefront6targetE1EEEvT1_,comdat
	.globl	_ZN7rocprim17ROCPRIM_400000_NS6detail17trampoline_kernelINS0_14default_configENS1_25partition_config_selectorILNS1_17partition_subalgoE9EllbEEZZNS1_14partition_implILS5_9ELb0ES3_jPlS8_PNS0_10empty_typeENS0_5tupleIJS8_S9_EEENSB_IJS8_SA_EEENS0_18inequality_wrapperIZN2at6native12_GLOBAL__N_124unique_dim_cuda_templateIN3c104HalfEEESt5tupleIJNSF_6TensorESM_SM_EERKSM_lbbbEUlllE0_EEPmJS9_EEE10hipError_tPvRmT3_T4_T5_T6_T7_T9_mT8_P12ihipStream_tbDpT10_ENKUlT_T0_E_clISt17integral_constantIbLb1EES1B_IbLb0EEEEDaS17_S18_EUlS17_E_NS1_11comp_targetILNS1_3genE2ELNS1_11target_archE906ELNS1_3gpuE6ELNS1_3repE0EEENS1_30default_config_static_selectorELNS0_4arch9wavefront6targetE1EEEvT1_ ; -- Begin function _ZN7rocprim17ROCPRIM_400000_NS6detail17trampoline_kernelINS0_14default_configENS1_25partition_config_selectorILNS1_17partition_subalgoE9EllbEEZZNS1_14partition_implILS5_9ELb0ES3_jPlS8_PNS0_10empty_typeENS0_5tupleIJS8_S9_EEENSB_IJS8_SA_EEENS0_18inequality_wrapperIZN2at6native12_GLOBAL__N_124unique_dim_cuda_templateIN3c104HalfEEESt5tupleIJNSF_6TensorESM_SM_EERKSM_lbbbEUlllE0_EEPmJS9_EEE10hipError_tPvRmT3_T4_T5_T6_T7_T9_mT8_P12ihipStream_tbDpT10_ENKUlT_T0_E_clISt17integral_constantIbLb1EES1B_IbLb0EEEEDaS17_S18_EUlS17_E_NS1_11comp_targetILNS1_3genE2ELNS1_11target_archE906ELNS1_3gpuE6ELNS1_3repE0EEENS1_30default_config_static_selectorELNS0_4arch9wavefront6targetE1EEEvT1_
	.p2align	8
	.type	_ZN7rocprim17ROCPRIM_400000_NS6detail17trampoline_kernelINS0_14default_configENS1_25partition_config_selectorILNS1_17partition_subalgoE9EllbEEZZNS1_14partition_implILS5_9ELb0ES3_jPlS8_PNS0_10empty_typeENS0_5tupleIJS8_S9_EEENSB_IJS8_SA_EEENS0_18inequality_wrapperIZN2at6native12_GLOBAL__N_124unique_dim_cuda_templateIN3c104HalfEEESt5tupleIJNSF_6TensorESM_SM_EERKSM_lbbbEUlllE0_EEPmJS9_EEE10hipError_tPvRmT3_T4_T5_T6_T7_T9_mT8_P12ihipStream_tbDpT10_ENKUlT_T0_E_clISt17integral_constantIbLb1EES1B_IbLb0EEEEDaS17_S18_EUlS17_E_NS1_11comp_targetILNS1_3genE2ELNS1_11target_archE906ELNS1_3gpuE6ELNS1_3repE0EEENS1_30default_config_static_selectorELNS0_4arch9wavefront6targetE1EEEvT1_,@function
_ZN7rocprim17ROCPRIM_400000_NS6detail17trampoline_kernelINS0_14default_configENS1_25partition_config_selectorILNS1_17partition_subalgoE9EllbEEZZNS1_14partition_implILS5_9ELb0ES3_jPlS8_PNS0_10empty_typeENS0_5tupleIJS8_S9_EEENSB_IJS8_SA_EEENS0_18inequality_wrapperIZN2at6native12_GLOBAL__N_124unique_dim_cuda_templateIN3c104HalfEEESt5tupleIJNSF_6TensorESM_SM_EERKSM_lbbbEUlllE0_EEPmJS9_EEE10hipError_tPvRmT3_T4_T5_T6_T7_T9_mT8_P12ihipStream_tbDpT10_ENKUlT_T0_E_clISt17integral_constantIbLb1EES1B_IbLb0EEEEDaS17_S18_EUlS17_E_NS1_11comp_targetILNS1_3genE2ELNS1_11target_archE906ELNS1_3gpuE6ELNS1_3repE0EEENS1_30default_config_static_selectorELNS0_4arch9wavefront6targetE1EEEvT1_: ; @_ZN7rocprim17ROCPRIM_400000_NS6detail17trampoline_kernelINS0_14default_configENS1_25partition_config_selectorILNS1_17partition_subalgoE9EllbEEZZNS1_14partition_implILS5_9ELb0ES3_jPlS8_PNS0_10empty_typeENS0_5tupleIJS8_S9_EEENSB_IJS8_SA_EEENS0_18inequality_wrapperIZN2at6native12_GLOBAL__N_124unique_dim_cuda_templateIN3c104HalfEEESt5tupleIJNSF_6TensorESM_SM_EERKSM_lbbbEUlllE0_EEPmJS9_EEE10hipError_tPvRmT3_T4_T5_T6_T7_T9_mT8_P12ihipStream_tbDpT10_ENKUlT_T0_E_clISt17integral_constantIbLb1EES1B_IbLb0EEEEDaS17_S18_EUlS17_E_NS1_11comp_targetILNS1_3genE2ELNS1_11target_archE906ELNS1_3gpuE6ELNS1_3repE0EEENS1_30default_config_static_selectorELNS0_4arch9wavefront6targetE1EEEvT1_
; %bb.0:
	.section	.rodata,"a",@progbits
	.p2align	6, 0x0
	.amdhsa_kernel _ZN7rocprim17ROCPRIM_400000_NS6detail17trampoline_kernelINS0_14default_configENS1_25partition_config_selectorILNS1_17partition_subalgoE9EllbEEZZNS1_14partition_implILS5_9ELb0ES3_jPlS8_PNS0_10empty_typeENS0_5tupleIJS8_S9_EEENSB_IJS8_SA_EEENS0_18inequality_wrapperIZN2at6native12_GLOBAL__N_124unique_dim_cuda_templateIN3c104HalfEEESt5tupleIJNSF_6TensorESM_SM_EERKSM_lbbbEUlllE0_EEPmJS9_EEE10hipError_tPvRmT3_T4_T5_T6_T7_T9_mT8_P12ihipStream_tbDpT10_ENKUlT_T0_E_clISt17integral_constantIbLb1EES1B_IbLb0EEEEDaS17_S18_EUlS17_E_NS1_11comp_targetILNS1_3genE2ELNS1_11target_archE906ELNS1_3gpuE6ELNS1_3repE0EEENS1_30default_config_static_selectorELNS0_4arch9wavefront6targetE1EEEvT1_
		.amdhsa_group_segment_fixed_size 0
		.amdhsa_private_segment_fixed_size 0
		.amdhsa_kernarg_size 120
		.amdhsa_user_sgpr_count 2
		.amdhsa_user_sgpr_dispatch_ptr 0
		.amdhsa_user_sgpr_queue_ptr 0
		.amdhsa_user_sgpr_kernarg_segment_ptr 1
		.amdhsa_user_sgpr_dispatch_id 0
		.amdhsa_user_sgpr_kernarg_preload_length 0
		.amdhsa_user_sgpr_kernarg_preload_offset 0
		.amdhsa_user_sgpr_private_segment_size 0
		.amdhsa_uses_dynamic_stack 0
		.amdhsa_enable_private_segment 0
		.amdhsa_system_sgpr_workgroup_id_x 1
		.amdhsa_system_sgpr_workgroup_id_y 0
		.amdhsa_system_sgpr_workgroup_id_z 0
		.amdhsa_system_sgpr_workgroup_info 0
		.amdhsa_system_vgpr_workitem_id 0
		.amdhsa_next_free_vgpr 1
		.amdhsa_next_free_sgpr 0
		.amdhsa_accum_offset 4
		.amdhsa_reserve_vcc 0
		.amdhsa_float_round_mode_32 0
		.amdhsa_float_round_mode_16_64 0
		.amdhsa_float_denorm_mode_32 3
		.amdhsa_float_denorm_mode_16_64 3
		.amdhsa_dx10_clamp 1
		.amdhsa_ieee_mode 1
		.amdhsa_fp16_overflow 0
		.amdhsa_tg_split 0
		.amdhsa_exception_fp_ieee_invalid_op 0
		.amdhsa_exception_fp_denorm_src 0
		.amdhsa_exception_fp_ieee_div_zero 0
		.amdhsa_exception_fp_ieee_overflow 0
		.amdhsa_exception_fp_ieee_underflow 0
		.amdhsa_exception_fp_ieee_inexact 0
		.amdhsa_exception_int_div_zero 0
	.end_amdhsa_kernel
	.section	.text._ZN7rocprim17ROCPRIM_400000_NS6detail17trampoline_kernelINS0_14default_configENS1_25partition_config_selectorILNS1_17partition_subalgoE9EllbEEZZNS1_14partition_implILS5_9ELb0ES3_jPlS8_PNS0_10empty_typeENS0_5tupleIJS8_S9_EEENSB_IJS8_SA_EEENS0_18inequality_wrapperIZN2at6native12_GLOBAL__N_124unique_dim_cuda_templateIN3c104HalfEEESt5tupleIJNSF_6TensorESM_SM_EERKSM_lbbbEUlllE0_EEPmJS9_EEE10hipError_tPvRmT3_T4_T5_T6_T7_T9_mT8_P12ihipStream_tbDpT10_ENKUlT_T0_E_clISt17integral_constantIbLb1EES1B_IbLb0EEEEDaS17_S18_EUlS17_E_NS1_11comp_targetILNS1_3genE2ELNS1_11target_archE906ELNS1_3gpuE6ELNS1_3repE0EEENS1_30default_config_static_selectorELNS0_4arch9wavefront6targetE1EEEvT1_,"axG",@progbits,_ZN7rocprim17ROCPRIM_400000_NS6detail17trampoline_kernelINS0_14default_configENS1_25partition_config_selectorILNS1_17partition_subalgoE9EllbEEZZNS1_14partition_implILS5_9ELb0ES3_jPlS8_PNS0_10empty_typeENS0_5tupleIJS8_S9_EEENSB_IJS8_SA_EEENS0_18inequality_wrapperIZN2at6native12_GLOBAL__N_124unique_dim_cuda_templateIN3c104HalfEEESt5tupleIJNSF_6TensorESM_SM_EERKSM_lbbbEUlllE0_EEPmJS9_EEE10hipError_tPvRmT3_T4_T5_T6_T7_T9_mT8_P12ihipStream_tbDpT10_ENKUlT_T0_E_clISt17integral_constantIbLb1EES1B_IbLb0EEEEDaS17_S18_EUlS17_E_NS1_11comp_targetILNS1_3genE2ELNS1_11target_archE906ELNS1_3gpuE6ELNS1_3repE0EEENS1_30default_config_static_selectorELNS0_4arch9wavefront6targetE1EEEvT1_,comdat
.Lfunc_end1349:
	.size	_ZN7rocprim17ROCPRIM_400000_NS6detail17trampoline_kernelINS0_14default_configENS1_25partition_config_selectorILNS1_17partition_subalgoE9EllbEEZZNS1_14partition_implILS5_9ELb0ES3_jPlS8_PNS0_10empty_typeENS0_5tupleIJS8_S9_EEENSB_IJS8_SA_EEENS0_18inequality_wrapperIZN2at6native12_GLOBAL__N_124unique_dim_cuda_templateIN3c104HalfEEESt5tupleIJNSF_6TensorESM_SM_EERKSM_lbbbEUlllE0_EEPmJS9_EEE10hipError_tPvRmT3_T4_T5_T6_T7_T9_mT8_P12ihipStream_tbDpT10_ENKUlT_T0_E_clISt17integral_constantIbLb1EES1B_IbLb0EEEEDaS17_S18_EUlS17_E_NS1_11comp_targetILNS1_3genE2ELNS1_11target_archE906ELNS1_3gpuE6ELNS1_3repE0EEENS1_30default_config_static_selectorELNS0_4arch9wavefront6targetE1EEEvT1_, .Lfunc_end1349-_ZN7rocprim17ROCPRIM_400000_NS6detail17trampoline_kernelINS0_14default_configENS1_25partition_config_selectorILNS1_17partition_subalgoE9EllbEEZZNS1_14partition_implILS5_9ELb0ES3_jPlS8_PNS0_10empty_typeENS0_5tupleIJS8_S9_EEENSB_IJS8_SA_EEENS0_18inequality_wrapperIZN2at6native12_GLOBAL__N_124unique_dim_cuda_templateIN3c104HalfEEESt5tupleIJNSF_6TensorESM_SM_EERKSM_lbbbEUlllE0_EEPmJS9_EEE10hipError_tPvRmT3_T4_T5_T6_T7_T9_mT8_P12ihipStream_tbDpT10_ENKUlT_T0_E_clISt17integral_constantIbLb1EES1B_IbLb0EEEEDaS17_S18_EUlS17_E_NS1_11comp_targetILNS1_3genE2ELNS1_11target_archE906ELNS1_3gpuE6ELNS1_3repE0EEENS1_30default_config_static_selectorELNS0_4arch9wavefront6targetE1EEEvT1_
                                        ; -- End function
	.set _ZN7rocprim17ROCPRIM_400000_NS6detail17trampoline_kernelINS0_14default_configENS1_25partition_config_selectorILNS1_17partition_subalgoE9EllbEEZZNS1_14partition_implILS5_9ELb0ES3_jPlS8_PNS0_10empty_typeENS0_5tupleIJS8_S9_EEENSB_IJS8_SA_EEENS0_18inequality_wrapperIZN2at6native12_GLOBAL__N_124unique_dim_cuda_templateIN3c104HalfEEESt5tupleIJNSF_6TensorESM_SM_EERKSM_lbbbEUlllE0_EEPmJS9_EEE10hipError_tPvRmT3_T4_T5_T6_T7_T9_mT8_P12ihipStream_tbDpT10_ENKUlT_T0_E_clISt17integral_constantIbLb1EES1B_IbLb0EEEEDaS17_S18_EUlS17_E_NS1_11comp_targetILNS1_3genE2ELNS1_11target_archE906ELNS1_3gpuE6ELNS1_3repE0EEENS1_30default_config_static_selectorELNS0_4arch9wavefront6targetE1EEEvT1_.num_vgpr, 0
	.set _ZN7rocprim17ROCPRIM_400000_NS6detail17trampoline_kernelINS0_14default_configENS1_25partition_config_selectorILNS1_17partition_subalgoE9EllbEEZZNS1_14partition_implILS5_9ELb0ES3_jPlS8_PNS0_10empty_typeENS0_5tupleIJS8_S9_EEENSB_IJS8_SA_EEENS0_18inequality_wrapperIZN2at6native12_GLOBAL__N_124unique_dim_cuda_templateIN3c104HalfEEESt5tupleIJNSF_6TensorESM_SM_EERKSM_lbbbEUlllE0_EEPmJS9_EEE10hipError_tPvRmT3_T4_T5_T6_T7_T9_mT8_P12ihipStream_tbDpT10_ENKUlT_T0_E_clISt17integral_constantIbLb1EES1B_IbLb0EEEEDaS17_S18_EUlS17_E_NS1_11comp_targetILNS1_3genE2ELNS1_11target_archE906ELNS1_3gpuE6ELNS1_3repE0EEENS1_30default_config_static_selectorELNS0_4arch9wavefront6targetE1EEEvT1_.num_agpr, 0
	.set _ZN7rocprim17ROCPRIM_400000_NS6detail17trampoline_kernelINS0_14default_configENS1_25partition_config_selectorILNS1_17partition_subalgoE9EllbEEZZNS1_14partition_implILS5_9ELb0ES3_jPlS8_PNS0_10empty_typeENS0_5tupleIJS8_S9_EEENSB_IJS8_SA_EEENS0_18inequality_wrapperIZN2at6native12_GLOBAL__N_124unique_dim_cuda_templateIN3c104HalfEEESt5tupleIJNSF_6TensorESM_SM_EERKSM_lbbbEUlllE0_EEPmJS9_EEE10hipError_tPvRmT3_T4_T5_T6_T7_T9_mT8_P12ihipStream_tbDpT10_ENKUlT_T0_E_clISt17integral_constantIbLb1EES1B_IbLb0EEEEDaS17_S18_EUlS17_E_NS1_11comp_targetILNS1_3genE2ELNS1_11target_archE906ELNS1_3gpuE6ELNS1_3repE0EEENS1_30default_config_static_selectorELNS0_4arch9wavefront6targetE1EEEvT1_.numbered_sgpr, 0
	.set _ZN7rocprim17ROCPRIM_400000_NS6detail17trampoline_kernelINS0_14default_configENS1_25partition_config_selectorILNS1_17partition_subalgoE9EllbEEZZNS1_14partition_implILS5_9ELb0ES3_jPlS8_PNS0_10empty_typeENS0_5tupleIJS8_S9_EEENSB_IJS8_SA_EEENS0_18inequality_wrapperIZN2at6native12_GLOBAL__N_124unique_dim_cuda_templateIN3c104HalfEEESt5tupleIJNSF_6TensorESM_SM_EERKSM_lbbbEUlllE0_EEPmJS9_EEE10hipError_tPvRmT3_T4_T5_T6_T7_T9_mT8_P12ihipStream_tbDpT10_ENKUlT_T0_E_clISt17integral_constantIbLb1EES1B_IbLb0EEEEDaS17_S18_EUlS17_E_NS1_11comp_targetILNS1_3genE2ELNS1_11target_archE906ELNS1_3gpuE6ELNS1_3repE0EEENS1_30default_config_static_selectorELNS0_4arch9wavefront6targetE1EEEvT1_.num_named_barrier, 0
	.set _ZN7rocprim17ROCPRIM_400000_NS6detail17trampoline_kernelINS0_14default_configENS1_25partition_config_selectorILNS1_17partition_subalgoE9EllbEEZZNS1_14partition_implILS5_9ELb0ES3_jPlS8_PNS0_10empty_typeENS0_5tupleIJS8_S9_EEENSB_IJS8_SA_EEENS0_18inequality_wrapperIZN2at6native12_GLOBAL__N_124unique_dim_cuda_templateIN3c104HalfEEESt5tupleIJNSF_6TensorESM_SM_EERKSM_lbbbEUlllE0_EEPmJS9_EEE10hipError_tPvRmT3_T4_T5_T6_T7_T9_mT8_P12ihipStream_tbDpT10_ENKUlT_T0_E_clISt17integral_constantIbLb1EES1B_IbLb0EEEEDaS17_S18_EUlS17_E_NS1_11comp_targetILNS1_3genE2ELNS1_11target_archE906ELNS1_3gpuE6ELNS1_3repE0EEENS1_30default_config_static_selectorELNS0_4arch9wavefront6targetE1EEEvT1_.private_seg_size, 0
	.set _ZN7rocprim17ROCPRIM_400000_NS6detail17trampoline_kernelINS0_14default_configENS1_25partition_config_selectorILNS1_17partition_subalgoE9EllbEEZZNS1_14partition_implILS5_9ELb0ES3_jPlS8_PNS0_10empty_typeENS0_5tupleIJS8_S9_EEENSB_IJS8_SA_EEENS0_18inequality_wrapperIZN2at6native12_GLOBAL__N_124unique_dim_cuda_templateIN3c104HalfEEESt5tupleIJNSF_6TensorESM_SM_EERKSM_lbbbEUlllE0_EEPmJS9_EEE10hipError_tPvRmT3_T4_T5_T6_T7_T9_mT8_P12ihipStream_tbDpT10_ENKUlT_T0_E_clISt17integral_constantIbLb1EES1B_IbLb0EEEEDaS17_S18_EUlS17_E_NS1_11comp_targetILNS1_3genE2ELNS1_11target_archE906ELNS1_3gpuE6ELNS1_3repE0EEENS1_30default_config_static_selectorELNS0_4arch9wavefront6targetE1EEEvT1_.uses_vcc, 0
	.set _ZN7rocprim17ROCPRIM_400000_NS6detail17trampoline_kernelINS0_14default_configENS1_25partition_config_selectorILNS1_17partition_subalgoE9EllbEEZZNS1_14partition_implILS5_9ELb0ES3_jPlS8_PNS0_10empty_typeENS0_5tupleIJS8_S9_EEENSB_IJS8_SA_EEENS0_18inequality_wrapperIZN2at6native12_GLOBAL__N_124unique_dim_cuda_templateIN3c104HalfEEESt5tupleIJNSF_6TensorESM_SM_EERKSM_lbbbEUlllE0_EEPmJS9_EEE10hipError_tPvRmT3_T4_T5_T6_T7_T9_mT8_P12ihipStream_tbDpT10_ENKUlT_T0_E_clISt17integral_constantIbLb1EES1B_IbLb0EEEEDaS17_S18_EUlS17_E_NS1_11comp_targetILNS1_3genE2ELNS1_11target_archE906ELNS1_3gpuE6ELNS1_3repE0EEENS1_30default_config_static_selectorELNS0_4arch9wavefront6targetE1EEEvT1_.uses_flat_scratch, 0
	.set _ZN7rocprim17ROCPRIM_400000_NS6detail17trampoline_kernelINS0_14default_configENS1_25partition_config_selectorILNS1_17partition_subalgoE9EllbEEZZNS1_14partition_implILS5_9ELb0ES3_jPlS8_PNS0_10empty_typeENS0_5tupleIJS8_S9_EEENSB_IJS8_SA_EEENS0_18inequality_wrapperIZN2at6native12_GLOBAL__N_124unique_dim_cuda_templateIN3c104HalfEEESt5tupleIJNSF_6TensorESM_SM_EERKSM_lbbbEUlllE0_EEPmJS9_EEE10hipError_tPvRmT3_T4_T5_T6_T7_T9_mT8_P12ihipStream_tbDpT10_ENKUlT_T0_E_clISt17integral_constantIbLb1EES1B_IbLb0EEEEDaS17_S18_EUlS17_E_NS1_11comp_targetILNS1_3genE2ELNS1_11target_archE906ELNS1_3gpuE6ELNS1_3repE0EEENS1_30default_config_static_selectorELNS0_4arch9wavefront6targetE1EEEvT1_.has_dyn_sized_stack, 0
	.set _ZN7rocprim17ROCPRIM_400000_NS6detail17trampoline_kernelINS0_14default_configENS1_25partition_config_selectorILNS1_17partition_subalgoE9EllbEEZZNS1_14partition_implILS5_9ELb0ES3_jPlS8_PNS0_10empty_typeENS0_5tupleIJS8_S9_EEENSB_IJS8_SA_EEENS0_18inequality_wrapperIZN2at6native12_GLOBAL__N_124unique_dim_cuda_templateIN3c104HalfEEESt5tupleIJNSF_6TensorESM_SM_EERKSM_lbbbEUlllE0_EEPmJS9_EEE10hipError_tPvRmT3_T4_T5_T6_T7_T9_mT8_P12ihipStream_tbDpT10_ENKUlT_T0_E_clISt17integral_constantIbLb1EES1B_IbLb0EEEEDaS17_S18_EUlS17_E_NS1_11comp_targetILNS1_3genE2ELNS1_11target_archE906ELNS1_3gpuE6ELNS1_3repE0EEENS1_30default_config_static_selectorELNS0_4arch9wavefront6targetE1EEEvT1_.has_recursion, 0
	.set _ZN7rocprim17ROCPRIM_400000_NS6detail17trampoline_kernelINS0_14default_configENS1_25partition_config_selectorILNS1_17partition_subalgoE9EllbEEZZNS1_14partition_implILS5_9ELb0ES3_jPlS8_PNS0_10empty_typeENS0_5tupleIJS8_S9_EEENSB_IJS8_SA_EEENS0_18inequality_wrapperIZN2at6native12_GLOBAL__N_124unique_dim_cuda_templateIN3c104HalfEEESt5tupleIJNSF_6TensorESM_SM_EERKSM_lbbbEUlllE0_EEPmJS9_EEE10hipError_tPvRmT3_T4_T5_T6_T7_T9_mT8_P12ihipStream_tbDpT10_ENKUlT_T0_E_clISt17integral_constantIbLb1EES1B_IbLb0EEEEDaS17_S18_EUlS17_E_NS1_11comp_targetILNS1_3genE2ELNS1_11target_archE906ELNS1_3gpuE6ELNS1_3repE0EEENS1_30default_config_static_selectorELNS0_4arch9wavefront6targetE1EEEvT1_.has_indirect_call, 0
	.section	.AMDGPU.csdata,"",@progbits
; Kernel info:
; codeLenInByte = 0
; TotalNumSgprs: 6
; NumVgprs: 0
; NumAgprs: 0
; TotalNumVgprs: 0
; ScratchSize: 0
; MemoryBound: 0
; FloatMode: 240
; IeeeMode: 1
; LDSByteSize: 0 bytes/workgroup (compile time only)
; SGPRBlocks: 0
; VGPRBlocks: 0
; NumSGPRsForWavesPerEU: 6
; NumVGPRsForWavesPerEU: 1
; AccumOffset: 4
; Occupancy: 8
; WaveLimiterHint : 0
; COMPUTE_PGM_RSRC2:SCRATCH_EN: 0
; COMPUTE_PGM_RSRC2:USER_SGPR: 2
; COMPUTE_PGM_RSRC2:TRAP_HANDLER: 0
; COMPUTE_PGM_RSRC2:TGID_X_EN: 1
; COMPUTE_PGM_RSRC2:TGID_Y_EN: 0
; COMPUTE_PGM_RSRC2:TGID_Z_EN: 0
; COMPUTE_PGM_RSRC2:TIDIG_COMP_CNT: 0
; COMPUTE_PGM_RSRC3_GFX90A:ACCUM_OFFSET: 0
; COMPUTE_PGM_RSRC3_GFX90A:TG_SPLIT: 0
	.section	.text._ZN7rocprim17ROCPRIM_400000_NS6detail17trampoline_kernelINS0_14default_configENS1_25partition_config_selectorILNS1_17partition_subalgoE9EllbEEZZNS1_14partition_implILS5_9ELb0ES3_jPlS8_PNS0_10empty_typeENS0_5tupleIJS8_S9_EEENSB_IJS8_SA_EEENS0_18inequality_wrapperIZN2at6native12_GLOBAL__N_124unique_dim_cuda_templateIN3c104HalfEEESt5tupleIJNSF_6TensorESM_SM_EERKSM_lbbbEUlllE0_EEPmJS9_EEE10hipError_tPvRmT3_T4_T5_T6_T7_T9_mT8_P12ihipStream_tbDpT10_ENKUlT_T0_E_clISt17integral_constantIbLb1EES1B_IbLb0EEEEDaS17_S18_EUlS17_E_NS1_11comp_targetILNS1_3genE10ELNS1_11target_archE1200ELNS1_3gpuE4ELNS1_3repE0EEENS1_30default_config_static_selectorELNS0_4arch9wavefront6targetE1EEEvT1_,"axG",@progbits,_ZN7rocprim17ROCPRIM_400000_NS6detail17trampoline_kernelINS0_14default_configENS1_25partition_config_selectorILNS1_17partition_subalgoE9EllbEEZZNS1_14partition_implILS5_9ELb0ES3_jPlS8_PNS0_10empty_typeENS0_5tupleIJS8_S9_EEENSB_IJS8_SA_EEENS0_18inequality_wrapperIZN2at6native12_GLOBAL__N_124unique_dim_cuda_templateIN3c104HalfEEESt5tupleIJNSF_6TensorESM_SM_EERKSM_lbbbEUlllE0_EEPmJS9_EEE10hipError_tPvRmT3_T4_T5_T6_T7_T9_mT8_P12ihipStream_tbDpT10_ENKUlT_T0_E_clISt17integral_constantIbLb1EES1B_IbLb0EEEEDaS17_S18_EUlS17_E_NS1_11comp_targetILNS1_3genE10ELNS1_11target_archE1200ELNS1_3gpuE4ELNS1_3repE0EEENS1_30default_config_static_selectorELNS0_4arch9wavefront6targetE1EEEvT1_,comdat
	.globl	_ZN7rocprim17ROCPRIM_400000_NS6detail17trampoline_kernelINS0_14default_configENS1_25partition_config_selectorILNS1_17partition_subalgoE9EllbEEZZNS1_14partition_implILS5_9ELb0ES3_jPlS8_PNS0_10empty_typeENS0_5tupleIJS8_S9_EEENSB_IJS8_SA_EEENS0_18inequality_wrapperIZN2at6native12_GLOBAL__N_124unique_dim_cuda_templateIN3c104HalfEEESt5tupleIJNSF_6TensorESM_SM_EERKSM_lbbbEUlllE0_EEPmJS9_EEE10hipError_tPvRmT3_T4_T5_T6_T7_T9_mT8_P12ihipStream_tbDpT10_ENKUlT_T0_E_clISt17integral_constantIbLb1EES1B_IbLb0EEEEDaS17_S18_EUlS17_E_NS1_11comp_targetILNS1_3genE10ELNS1_11target_archE1200ELNS1_3gpuE4ELNS1_3repE0EEENS1_30default_config_static_selectorELNS0_4arch9wavefront6targetE1EEEvT1_ ; -- Begin function _ZN7rocprim17ROCPRIM_400000_NS6detail17trampoline_kernelINS0_14default_configENS1_25partition_config_selectorILNS1_17partition_subalgoE9EllbEEZZNS1_14partition_implILS5_9ELb0ES3_jPlS8_PNS0_10empty_typeENS0_5tupleIJS8_S9_EEENSB_IJS8_SA_EEENS0_18inequality_wrapperIZN2at6native12_GLOBAL__N_124unique_dim_cuda_templateIN3c104HalfEEESt5tupleIJNSF_6TensorESM_SM_EERKSM_lbbbEUlllE0_EEPmJS9_EEE10hipError_tPvRmT3_T4_T5_T6_T7_T9_mT8_P12ihipStream_tbDpT10_ENKUlT_T0_E_clISt17integral_constantIbLb1EES1B_IbLb0EEEEDaS17_S18_EUlS17_E_NS1_11comp_targetILNS1_3genE10ELNS1_11target_archE1200ELNS1_3gpuE4ELNS1_3repE0EEENS1_30default_config_static_selectorELNS0_4arch9wavefront6targetE1EEEvT1_
	.p2align	8
	.type	_ZN7rocprim17ROCPRIM_400000_NS6detail17trampoline_kernelINS0_14default_configENS1_25partition_config_selectorILNS1_17partition_subalgoE9EllbEEZZNS1_14partition_implILS5_9ELb0ES3_jPlS8_PNS0_10empty_typeENS0_5tupleIJS8_S9_EEENSB_IJS8_SA_EEENS0_18inequality_wrapperIZN2at6native12_GLOBAL__N_124unique_dim_cuda_templateIN3c104HalfEEESt5tupleIJNSF_6TensorESM_SM_EERKSM_lbbbEUlllE0_EEPmJS9_EEE10hipError_tPvRmT3_T4_T5_T6_T7_T9_mT8_P12ihipStream_tbDpT10_ENKUlT_T0_E_clISt17integral_constantIbLb1EES1B_IbLb0EEEEDaS17_S18_EUlS17_E_NS1_11comp_targetILNS1_3genE10ELNS1_11target_archE1200ELNS1_3gpuE4ELNS1_3repE0EEENS1_30default_config_static_selectorELNS0_4arch9wavefront6targetE1EEEvT1_,@function
_ZN7rocprim17ROCPRIM_400000_NS6detail17trampoline_kernelINS0_14default_configENS1_25partition_config_selectorILNS1_17partition_subalgoE9EllbEEZZNS1_14partition_implILS5_9ELb0ES3_jPlS8_PNS0_10empty_typeENS0_5tupleIJS8_S9_EEENSB_IJS8_SA_EEENS0_18inequality_wrapperIZN2at6native12_GLOBAL__N_124unique_dim_cuda_templateIN3c104HalfEEESt5tupleIJNSF_6TensorESM_SM_EERKSM_lbbbEUlllE0_EEPmJS9_EEE10hipError_tPvRmT3_T4_T5_T6_T7_T9_mT8_P12ihipStream_tbDpT10_ENKUlT_T0_E_clISt17integral_constantIbLb1EES1B_IbLb0EEEEDaS17_S18_EUlS17_E_NS1_11comp_targetILNS1_3genE10ELNS1_11target_archE1200ELNS1_3gpuE4ELNS1_3repE0EEENS1_30default_config_static_selectorELNS0_4arch9wavefront6targetE1EEEvT1_: ; @_ZN7rocprim17ROCPRIM_400000_NS6detail17trampoline_kernelINS0_14default_configENS1_25partition_config_selectorILNS1_17partition_subalgoE9EllbEEZZNS1_14partition_implILS5_9ELb0ES3_jPlS8_PNS0_10empty_typeENS0_5tupleIJS8_S9_EEENSB_IJS8_SA_EEENS0_18inequality_wrapperIZN2at6native12_GLOBAL__N_124unique_dim_cuda_templateIN3c104HalfEEESt5tupleIJNSF_6TensorESM_SM_EERKSM_lbbbEUlllE0_EEPmJS9_EEE10hipError_tPvRmT3_T4_T5_T6_T7_T9_mT8_P12ihipStream_tbDpT10_ENKUlT_T0_E_clISt17integral_constantIbLb1EES1B_IbLb0EEEEDaS17_S18_EUlS17_E_NS1_11comp_targetILNS1_3genE10ELNS1_11target_archE1200ELNS1_3gpuE4ELNS1_3repE0EEENS1_30default_config_static_selectorELNS0_4arch9wavefront6targetE1EEEvT1_
; %bb.0:
	.section	.rodata,"a",@progbits
	.p2align	6, 0x0
	.amdhsa_kernel _ZN7rocprim17ROCPRIM_400000_NS6detail17trampoline_kernelINS0_14default_configENS1_25partition_config_selectorILNS1_17partition_subalgoE9EllbEEZZNS1_14partition_implILS5_9ELb0ES3_jPlS8_PNS0_10empty_typeENS0_5tupleIJS8_S9_EEENSB_IJS8_SA_EEENS0_18inequality_wrapperIZN2at6native12_GLOBAL__N_124unique_dim_cuda_templateIN3c104HalfEEESt5tupleIJNSF_6TensorESM_SM_EERKSM_lbbbEUlllE0_EEPmJS9_EEE10hipError_tPvRmT3_T4_T5_T6_T7_T9_mT8_P12ihipStream_tbDpT10_ENKUlT_T0_E_clISt17integral_constantIbLb1EES1B_IbLb0EEEEDaS17_S18_EUlS17_E_NS1_11comp_targetILNS1_3genE10ELNS1_11target_archE1200ELNS1_3gpuE4ELNS1_3repE0EEENS1_30default_config_static_selectorELNS0_4arch9wavefront6targetE1EEEvT1_
		.amdhsa_group_segment_fixed_size 0
		.amdhsa_private_segment_fixed_size 0
		.amdhsa_kernarg_size 120
		.amdhsa_user_sgpr_count 2
		.amdhsa_user_sgpr_dispatch_ptr 0
		.amdhsa_user_sgpr_queue_ptr 0
		.amdhsa_user_sgpr_kernarg_segment_ptr 1
		.amdhsa_user_sgpr_dispatch_id 0
		.amdhsa_user_sgpr_kernarg_preload_length 0
		.amdhsa_user_sgpr_kernarg_preload_offset 0
		.amdhsa_user_sgpr_private_segment_size 0
		.amdhsa_uses_dynamic_stack 0
		.amdhsa_enable_private_segment 0
		.amdhsa_system_sgpr_workgroup_id_x 1
		.amdhsa_system_sgpr_workgroup_id_y 0
		.amdhsa_system_sgpr_workgroup_id_z 0
		.amdhsa_system_sgpr_workgroup_info 0
		.amdhsa_system_vgpr_workitem_id 0
		.amdhsa_next_free_vgpr 1
		.amdhsa_next_free_sgpr 0
		.amdhsa_accum_offset 4
		.amdhsa_reserve_vcc 0
		.amdhsa_float_round_mode_32 0
		.amdhsa_float_round_mode_16_64 0
		.amdhsa_float_denorm_mode_32 3
		.amdhsa_float_denorm_mode_16_64 3
		.amdhsa_dx10_clamp 1
		.amdhsa_ieee_mode 1
		.amdhsa_fp16_overflow 0
		.amdhsa_tg_split 0
		.amdhsa_exception_fp_ieee_invalid_op 0
		.amdhsa_exception_fp_denorm_src 0
		.amdhsa_exception_fp_ieee_div_zero 0
		.amdhsa_exception_fp_ieee_overflow 0
		.amdhsa_exception_fp_ieee_underflow 0
		.amdhsa_exception_fp_ieee_inexact 0
		.amdhsa_exception_int_div_zero 0
	.end_amdhsa_kernel
	.section	.text._ZN7rocprim17ROCPRIM_400000_NS6detail17trampoline_kernelINS0_14default_configENS1_25partition_config_selectorILNS1_17partition_subalgoE9EllbEEZZNS1_14partition_implILS5_9ELb0ES3_jPlS8_PNS0_10empty_typeENS0_5tupleIJS8_S9_EEENSB_IJS8_SA_EEENS0_18inequality_wrapperIZN2at6native12_GLOBAL__N_124unique_dim_cuda_templateIN3c104HalfEEESt5tupleIJNSF_6TensorESM_SM_EERKSM_lbbbEUlllE0_EEPmJS9_EEE10hipError_tPvRmT3_T4_T5_T6_T7_T9_mT8_P12ihipStream_tbDpT10_ENKUlT_T0_E_clISt17integral_constantIbLb1EES1B_IbLb0EEEEDaS17_S18_EUlS17_E_NS1_11comp_targetILNS1_3genE10ELNS1_11target_archE1200ELNS1_3gpuE4ELNS1_3repE0EEENS1_30default_config_static_selectorELNS0_4arch9wavefront6targetE1EEEvT1_,"axG",@progbits,_ZN7rocprim17ROCPRIM_400000_NS6detail17trampoline_kernelINS0_14default_configENS1_25partition_config_selectorILNS1_17partition_subalgoE9EllbEEZZNS1_14partition_implILS5_9ELb0ES3_jPlS8_PNS0_10empty_typeENS0_5tupleIJS8_S9_EEENSB_IJS8_SA_EEENS0_18inequality_wrapperIZN2at6native12_GLOBAL__N_124unique_dim_cuda_templateIN3c104HalfEEESt5tupleIJNSF_6TensorESM_SM_EERKSM_lbbbEUlllE0_EEPmJS9_EEE10hipError_tPvRmT3_T4_T5_T6_T7_T9_mT8_P12ihipStream_tbDpT10_ENKUlT_T0_E_clISt17integral_constantIbLb1EES1B_IbLb0EEEEDaS17_S18_EUlS17_E_NS1_11comp_targetILNS1_3genE10ELNS1_11target_archE1200ELNS1_3gpuE4ELNS1_3repE0EEENS1_30default_config_static_selectorELNS0_4arch9wavefront6targetE1EEEvT1_,comdat
.Lfunc_end1350:
	.size	_ZN7rocprim17ROCPRIM_400000_NS6detail17trampoline_kernelINS0_14default_configENS1_25partition_config_selectorILNS1_17partition_subalgoE9EllbEEZZNS1_14partition_implILS5_9ELb0ES3_jPlS8_PNS0_10empty_typeENS0_5tupleIJS8_S9_EEENSB_IJS8_SA_EEENS0_18inequality_wrapperIZN2at6native12_GLOBAL__N_124unique_dim_cuda_templateIN3c104HalfEEESt5tupleIJNSF_6TensorESM_SM_EERKSM_lbbbEUlllE0_EEPmJS9_EEE10hipError_tPvRmT3_T4_T5_T6_T7_T9_mT8_P12ihipStream_tbDpT10_ENKUlT_T0_E_clISt17integral_constantIbLb1EES1B_IbLb0EEEEDaS17_S18_EUlS17_E_NS1_11comp_targetILNS1_3genE10ELNS1_11target_archE1200ELNS1_3gpuE4ELNS1_3repE0EEENS1_30default_config_static_selectorELNS0_4arch9wavefront6targetE1EEEvT1_, .Lfunc_end1350-_ZN7rocprim17ROCPRIM_400000_NS6detail17trampoline_kernelINS0_14default_configENS1_25partition_config_selectorILNS1_17partition_subalgoE9EllbEEZZNS1_14partition_implILS5_9ELb0ES3_jPlS8_PNS0_10empty_typeENS0_5tupleIJS8_S9_EEENSB_IJS8_SA_EEENS0_18inequality_wrapperIZN2at6native12_GLOBAL__N_124unique_dim_cuda_templateIN3c104HalfEEESt5tupleIJNSF_6TensorESM_SM_EERKSM_lbbbEUlllE0_EEPmJS9_EEE10hipError_tPvRmT3_T4_T5_T6_T7_T9_mT8_P12ihipStream_tbDpT10_ENKUlT_T0_E_clISt17integral_constantIbLb1EES1B_IbLb0EEEEDaS17_S18_EUlS17_E_NS1_11comp_targetILNS1_3genE10ELNS1_11target_archE1200ELNS1_3gpuE4ELNS1_3repE0EEENS1_30default_config_static_selectorELNS0_4arch9wavefront6targetE1EEEvT1_
                                        ; -- End function
	.set _ZN7rocprim17ROCPRIM_400000_NS6detail17trampoline_kernelINS0_14default_configENS1_25partition_config_selectorILNS1_17partition_subalgoE9EllbEEZZNS1_14partition_implILS5_9ELb0ES3_jPlS8_PNS0_10empty_typeENS0_5tupleIJS8_S9_EEENSB_IJS8_SA_EEENS0_18inequality_wrapperIZN2at6native12_GLOBAL__N_124unique_dim_cuda_templateIN3c104HalfEEESt5tupleIJNSF_6TensorESM_SM_EERKSM_lbbbEUlllE0_EEPmJS9_EEE10hipError_tPvRmT3_T4_T5_T6_T7_T9_mT8_P12ihipStream_tbDpT10_ENKUlT_T0_E_clISt17integral_constantIbLb1EES1B_IbLb0EEEEDaS17_S18_EUlS17_E_NS1_11comp_targetILNS1_3genE10ELNS1_11target_archE1200ELNS1_3gpuE4ELNS1_3repE0EEENS1_30default_config_static_selectorELNS0_4arch9wavefront6targetE1EEEvT1_.num_vgpr, 0
	.set _ZN7rocprim17ROCPRIM_400000_NS6detail17trampoline_kernelINS0_14default_configENS1_25partition_config_selectorILNS1_17partition_subalgoE9EllbEEZZNS1_14partition_implILS5_9ELb0ES3_jPlS8_PNS0_10empty_typeENS0_5tupleIJS8_S9_EEENSB_IJS8_SA_EEENS0_18inequality_wrapperIZN2at6native12_GLOBAL__N_124unique_dim_cuda_templateIN3c104HalfEEESt5tupleIJNSF_6TensorESM_SM_EERKSM_lbbbEUlllE0_EEPmJS9_EEE10hipError_tPvRmT3_T4_T5_T6_T7_T9_mT8_P12ihipStream_tbDpT10_ENKUlT_T0_E_clISt17integral_constantIbLb1EES1B_IbLb0EEEEDaS17_S18_EUlS17_E_NS1_11comp_targetILNS1_3genE10ELNS1_11target_archE1200ELNS1_3gpuE4ELNS1_3repE0EEENS1_30default_config_static_selectorELNS0_4arch9wavefront6targetE1EEEvT1_.num_agpr, 0
	.set _ZN7rocprim17ROCPRIM_400000_NS6detail17trampoline_kernelINS0_14default_configENS1_25partition_config_selectorILNS1_17partition_subalgoE9EllbEEZZNS1_14partition_implILS5_9ELb0ES3_jPlS8_PNS0_10empty_typeENS0_5tupleIJS8_S9_EEENSB_IJS8_SA_EEENS0_18inequality_wrapperIZN2at6native12_GLOBAL__N_124unique_dim_cuda_templateIN3c104HalfEEESt5tupleIJNSF_6TensorESM_SM_EERKSM_lbbbEUlllE0_EEPmJS9_EEE10hipError_tPvRmT3_T4_T5_T6_T7_T9_mT8_P12ihipStream_tbDpT10_ENKUlT_T0_E_clISt17integral_constantIbLb1EES1B_IbLb0EEEEDaS17_S18_EUlS17_E_NS1_11comp_targetILNS1_3genE10ELNS1_11target_archE1200ELNS1_3gpuE4ELNS1_3repE0EEENS1_30default_config_static_selectorELNS0_4arch9wavefront6targetE1EEEvT1_.numbered_sgpr, 0
	.set _ZN7rocprim17ROCPRIM_400000_NS6detail17trampoline_kernelINS0_14default_configENS1_25partition_config_selectorILNS1_17partition_subalgoE9EllbEEZZNS1_14partition_implILS5_9ELb0ES3_jPlS8_PNS0_10empty_typeENS0_5tupleIJS8_S9_EEENSB_IJS8_SA_EEENS0_18inequality_wrapperIZN2at6native12_GLOBAL__N_124unique_dim_cuda_templateIN3c104HalfEEESt5tupleIJNSF_6TensorESM_SM_EERKSM_lbbbEUlllE0_EEPmJS9_EEE10hipError_tPvRmT3_T4_T5_T6_T7_T9_mT8_P12ihipStream_tbDpT10_ENKUlT_T0_E_clISt17integral_constantIbLb1EES1B_IbLb0EEEEDaS17_S18_EUlS17_E_NS1_11comp_targetILNS1_3genE10ELNS1_11target_archE1200ELNS1_3gpuE4ELNS1_3repE0EEENS1_30default_config_static_selectorELNS0_4arch9wavefront6targetE1EEEvT1_.num_named_barrier, 0
	.set _ZN7rocprim17ROCPRIM_400000_NS6detail17trampoline_kernelINS0_14default_configENS1_25partition_config_selectorILNS1_17partition_subalgoE9EllbEEZZNS1_14partition_implILS5_9ELb0ES3_jPlS8_PNS0_10empty_typeENS0_5tupleIJS8_S9_EEENSB_IJS8_SA_EEENS0_18inequality_wrapperIZN2at6native12_GLOBAL__N_124unique_dim_cuda_templateIN3c104HalfEEESt5tupleIJNSF_6TensorESM_SM_EERKSM_lbbbEUlllE0_EEPmJS9_EEE10hipError_tPvRmT3_T4_T5_T6_T7_T9_mT8_P12ihipStream_tbDpT10_ENKUlT_T0_E_clISt17integral_constantIbLb1EES1B_IbLb0EEEEDaS17_S18_EUlS17_E_NS1_11comp_targetILNS1_3genE10ELNS1_11target_archE1200ELNS1_3gpuE4ELNS1_3repE0EEENS1_30default_config_static_selectorELNS0_4arch9wavefront6targetE1EEEvT1_.private_seg_size, 0
	.set _ZN7rocprim17ROCPRIM_400000_NS6detail17trampoline_kernelINS0_14default_configENS1_25partition_config_selectorILNS1_17partition_subalgoE9EllbEEZZNS1_14partition_implILS5_9ELb0ES3_jPlS8_PNS0_10empty_typeENS0_5tupleIJS8_S9_EEENSB_IJS8_SA_EEENS0_18inequality_wrapperIZN2at6native12_GLOBAL__N_124unique_dim_cuda_templateIN3c104HalfEEESt5tupleIJNSF_6TensorESM_SM_EERKSM_lbbbEUlllE0_EEPmJS9_EEE10hipError_tPvRmT3_T4_T5_T6_T7_T9_mT8_P12ihipStream_tbDpT10_ENKUlT_T0_E_clISt17integral_constantIbLb1EES1B_IbLb0EEEEDaS17_S18_EUlS17_E_NS1_11comp_targetILNS1_3genE10ELNS1_11target_archE1200ELNS1_3gpuE4ELNS1_3repE0EEENS1_30default_config_static_selectorELNS0_4arch9wavefront6targetE1EEEvT1_.uses_vcc, 0
	.set _ZN7rocprim17ROCPRIM_400000_NS6detail17trampoline_kernelINS0_14default_configENS1_25partition_config_selectorILNS1_17partition_subalgoE9EllbEEZZNS1_14partition_implILS5_9ELb0ES3_jPlS8_PNS0_10empty_typeENS0_5tupleIJS8_S9_EEENSB_IJS8_SA_EEENS0_18inequality_wrapperIZN2at6native12_GLOBAL__N_124unique_dim_cuda_templateIN3c104HalfEEESt5tupleIJNSF_6TensorESM_SM_EERKSM_lbbbEUlllE0_EEPmJS9_EEE10hipError_tPvRmT3_T4_T5_T6_T7_T9_mT8_P12ihipStream_tbDpT10_ENKUlT_T0_E_clISt17integral_constantIbLb1EES1B_IbLb0EEEEDaS17_S18_EUlS17_E_NS1_11comp_targetILNS1_3genE10ELNS1_11target_archE1200ELNS1_3gpuE4ELNS1_3repE0EEENS1_30default_config_static_selectorELNS0_4arch9wavefront6targetE1EEEvT1_.uses_flat_scratch, 0
	.set _ZN7rocprim17ROCPRIM_400000_NS6detail17trampoline_kernelINS0_14default_configENS1_25partition_config_selectorILNS1_17partition_subalgoE9EllbEEZZNS1_14partition_implILS5_9ELb0ES3_jPlS8_PNS0_10empty_typeENS0_5tupleIJS8_S9_EEENSB_IJS8_SA_EEENS0_18inequality_wrapperIZN2at6native12_GLOBAL__N_124unique_dim_cuda_templateIN3c104HalfEEESt5tupleIJNSF_6TensorESM_SM_EERKSM_lbbbEUlllE0_EEPmJS9_EEE10hipError_tPvRmT3_T4_T5_T6_T7_T9_mT8_P12ihipStream_tbDpT10_ENKUlT_T0_E_clISt17integral_constantIbLb1EES1B_IbLb0EEEEDaS17_S18_EUlS17_E_NS1_11comp_targetILNS1_3genE10ELNS1_11target_archE1200ELNS1_3gpuE4ELNS1_3repE0EEENS1_30default_config_static_selectorELNS0_4arch9wavefront6targetE1EEEvT1_.has_dyn_sized_stack, 0
	.set _ZN7rocprim17ROCPRIM_400000_NS6detail17trampoline_kernelINS0_14default_configENS1_25partition_config_selectorILNS1_17partition_subalgoE9EllbEEZZNS1_14partition_implILS5_9ELb0ES3_jPlS8_PNS0_10empty_typeENS0_5tupleIJS8_S9_EEENSB_IJS8_SA_EEENS0_18inequality_wrapperIZN2at6native12_GLOBAL__N_124unique_dim_cuda_templateIN3c104HalfEEESt5tupleIJNSF_6TensorESM_SM_EERKSM_lbbbEUlllE0_EEPmJS9_EEE10hipError_tPvRmT3_T4_T5_T6_T7_T9_mT8_P12ihipStream_tbDpT10_ENKUlT_T0_E_clISt17integral_constantIbLb1EES1B_IbLb0EEEEDaS17_S18_EUlS17_E_NS1_11comp_targetILNS1_3genE10ELNS1_11target_archE1200ELNS1_3gpuE4ELNS1_3repE0EEENS1_30default_config_static_selectorELNS0_4arch9wavefront6targetE1EEEvT1_.has_recursion, 0
	.set _ZN7rocprim17ROCPRIM_400000_NS6detail17trampoline_kernelINS0_14default_configENS1_25partition_config_selectorILNS1_17partition_subalgoE9EllbEEZZNS1_14partition_implILS5_9ELb0ES3_jPlS8_PNS0_10empty_typeENS0_5tupleIJS8_S9_EEENSB_IJS8_SA_EEENS0_18inequality_wrapperIZN2at6native12_GLOBAL__N_124unique_dim_cuda_templateIN3c104HalfEEESt5tupleIJNSF_6TensorESM_SM_EERKSM_lbbbEUlllE0_EEPmJS9_EEE10hipError_tPvRmT3_T4_T5_T6_T7_T9_mT8_P12ihipStream_tbDpT10_ENKUlT_T0_E_clISt17integral_constantIbLb1EES1B_IbLb0EEEEDaS17_S18_EUlS17_E_NS1_11comp_targetILNS1_3genE10ELNS1_11target_archE1200ELNS1_3gpuE4ELNS1_3repE0EEENS1_30default_config_static_selectorELNS0_4arch9wavefront6targetE1EEEvT1_.has_indirect_call, 0
	.section	.AMDGPU.csdata,"",@progbits
; Kernel info:
; codeLenInByte = 0
; TotalNumSgprs: 6
; NumVgprs: 0
; NumAgprs: 0
; TotalNumVgprs: 0
; ScratchSize: 0
; MemoryBound: 0
; FloatMode: 240
; IeeeMode: 1
; LDSByteSize: 0 bytes/workgroup (compile time only)
; SGPRBlocks: 0
; VGPRBlocks: 0
; NumSGPRsForWavesPerEU: 6
; NumVGPRsForWavesPerEU: 1
; AccumOffset: 4
; Occupancy: 8
; WaveLimiterHint : 0
; COMPUTE_PGM_RSRC2:SCRATCH_EN: 0
; COMPUTE_PGM_RSRC2:USER_SGPR: 2
; COMPUTE_PGM_RSRC2:TRAP_HANDLER: 0
; COMPUTE_PGM_RSRC2:TGID_X_EN: 1
; COMPUTE_PGM_RSRC2:TGID_Y_EN: 0
; COMPUTE_PGM_RSRC2:TGID_Z_EN: 0
; COMPUTE_PGM_RSRC2:TIDIG_COMP_CNT: 0
; COMPUTE_PGM_RSRC3_GFX90A:ACCUM_OFFSET: 0
; COMPUTE_PGM_RSRC3_GFX90A:TG_SPLIT: 0
	.section	.text._ZN7rocprim17ROCPRIM_400000_NS6detail17trampoline_kernelINS0_14default_configENS1_25partition_config_selectorILNS1_17partition_subalgoE9EllbEEZZNS1_14partition_implILS5_9ELb0ES3_jPlS8_PNS0_10empty_typeENS0_5tupleIJS8_S9_EEENSB_IJS8_SA_EEENS0_18inequality_wrapperIZN2at6native12_GLOBAL__N_124unique_dim_cuda_templateIN3c104HalfEEESt5tupleIJNSF_6TensorESM_SM_EERKSM_lbbbEUlllE0_EEPmJS9_EEE10hipError_tPvRmT3_T4_T5_T6_T7_T9_mT8_P12ihipStream_tbDpT10_ENKUlT_T0_E_clISt17integral_constantIbLb1EES1B_IbLb0EEEEDaS17_S18_EUlS17_E_NS1_11comp_targetILNS1_3genE9ELNS1_11target_archE1100ELNS1_3gpuE3ELNS1_3repE0EEENS1_30default_config_static_selectorELNS0_4arch9wavefront6targetE1EEEvT1_,"axG",@progbits,_ZN7rocprim17ROCPRIM_400000_NS6detail17trampoline_kernelINS0_14default_configENS1_25partition_config_selectorILNS1_17partition_subalgoE9EllbEEZZNS1_14partition_implILS5_9ELb0ES3_jPlS8_PNS0_10empty_typeENS0_5tupleIJS8_S9_EEENSB_IJS8_SA_EEENS0_18inequality_wrapperIZN2at6native12_GLOBAL__N_124unique_dim_cuda_templateIN3c104HalfEEESt5tupleIJNSF_6TensorESM_SM_EERKSM_lbbbEUlllE0_EEPmJS9_EEE10hipError_tPvRmT3_T4_T5_T6_T7_T9_mT8_P12ihipStream_tbDpT10_ENKUlT_T0_E_clISt17integral_constantIbLb1EES1B_IbLb0EEEEDaS17_S18_EUlS17_E_NS1_11comp_targetILNS1_3genE9ELNS1_11target_archE1100ELNS1_3gpuE3ELNS1_3repE0EEENS1_30default_config_static_selectorELNS0_4arch9wavefront6targetE1EEEvT1_,comdat
	.globl	_ZN7rocprim17ROCPRIM_400000_NS6detail17trampoline_kernelINS0_14default_configENS1_25partition_config_selectorILNS1_17partition_subalgoE9EllbEEZZNS1_14partition_implILS5_9ELb0ES3_jPlS8_PNS0_10empty_typeENS0_5tupleIJS8_S9_EEENSB_IJS8_SA_EEENS0_18inequality_wrapperIZN2at6native12_GLOBAL__N_124unique_dim_cuda_templateIN3c104HalfEEESt5tupleIJNSF_6TensorESM_SM_EERKSM_lbbbEUlllE0_EEPmJS9_EEE10hipError_tPvRmT3_T4_T5_T6_T7_T9_mT8_P12ihipStream_tbDpT10_ENKUlT_T0_E_clISt17integral_constantIbLb1EES1B_IbLb0EEEEDaS17_S18_EUlS17_E_NS1_11comp_targetILNS1_3genE9ELNS1_11target_archE1100ELNS1_3gpuE3ELNS1_3repE0EEENS1_30default_config_static_selectorELNS0_4arch9wavefront6targetE1EEEvT1_ ; -- Begin function _ZN7rocprim17ROCPRIM_400000_NS6detail17trampoline_kernelINS0_14default_configENS1_25partition_config_selectorILNS1_17partition_subalgoE9EllbEEZZNS1_14partition_implILS5_9ELb0ES3_jPlS8_PNS0_10empty_typeENS0_5tupleIJS8_S9_EEENSB_IJS8_SA_EEENS0_18inequality_wrapperIZN2at6native12_GLOBAL__N_124unique_dim_cuda_templateIN3c104HalfEEESt5tupleIJNSF_6TensorESM_SM_EERKSM_lbbbEUlllE0_EEPmJS9_EEE10hipError_tPvRmT3_T4_T5_T6_T7_T9_mT8_P12ihipStream_tbDpT10_ENKUlT_T0_E_clISt17integral_constantIbLb1EES1B_IbLb0EEEEDaS17_S18_EUlS17_E_NS1_11comp_targetILNS1_3genE9ELNS1_11target_archE1100ELNS1_3gpuE3ELNS1_3repE0EEENS1_30default_config_static_selectorELNS0_4arch9wavefront6targetE1EEEvT1_
	.p2align	8
	.type	_ZN7rocprim17ROCPRIM_400000_NS6detail17trampoline_kernelINS0_14default_configENS1_25partition_config_selectorILNS1_17partition_subalgoE9EllbEEZZNS1_14partition_implILS5_9ELb0ES3_jPlS8_PNS0_10empty_typeENS0_5tupleIJS8_S9_EEENSB_IJS8_SA_EEENS0_18inequality_wrapperIZN2at6native12_GLOBAL__N_124unique_dim_cuda_templateIN3c104HalfEEESt5tupleIJNSF_6TensorESM_SM_EERKSM_lbbbEUlllE0_EEPmJS9_EEE10hipError_tPvRmT3_T4_T5_T6_T7_T9_mT8_P12ihipStream_tbDpT10_ENKUlT_T0_E_clISt17integral_constantIbLb1EES1B_IbLb0EEEEDaS17_S18_EUlS17_E_NS1_11comp_targetILNS1_3genE9ELNS1_11target_archE1100ELNS1_3gpuE3ELNS1_3repE0EEENS1_30default_config_static_selectorELNS0_4arch9wavefront6targetE1EEEvT1_,@function
_ZN7rocprim17ROCPRIM_400000_NS6detail17trampoline_kernelINS0_14default_configENS1_25partition_config_selectorILNS1_17partition_subalgoE9EllbEEZZNS1_14partition_implILS5_9ELb0ES3_jPlS8_PNS0_10empty_typeENS0_5tupleIJS8_S9_EEENSB_IJS8_SA_EEENS0_18inequality_wrapperIZN2at6native12_GLOBAL__N_124unique_dim_cuda_templateIN3c104HalfEEESt5tupleIJNSF_6TensorESM_SM_EERKSM_lbbbEUlllE0_EEPmJS9_EEE10hipError_tPvRmT3_T4_T5_T6_T7_T9_mT8_P12ihipStream_tbDpT10_ENKUlT_T0_E_clISt17integral_constantIbLb1EES1B_IbLb0EEEEDaS17_S18_EUlS17_E_NS1_11comp_targetILNS1_3genE9ELNS1_11target_archE1100ELNS1_3gpuE3ELNS1_3repE0EEENS1_30default_config_static_selectorELNS0_4arch9wavefront6targetE1EEEvT1_: ; @_ZN7rocprim17ROCPRIM_400000_NS6detail17trampoline_kernelINS0_14default_configENS1_25partition_config_selectorILNS1_17partition_subalgoE9EllbEEZZNS1_14partition_implILS5_9ELb0ES3_jPlS8_PNS0_10empty_typeENS0_5tupleIJS8_S9_EEENSB_IJS8_SA_EEENS0_18inequality_wrapperIZN2at6native12_GLOBAL__N_124unique_dim_cuda_templateIN3c104HalfEEESt5tupleIJNSF_6TensorESM_SM_EERKSM_lbbbEUlllE0_EEPmJS9_EEE10hipError_tPvRmT3_T4_T5_T6_T7_T9_mT8_P12ihipStream_tbDpT10_ENKUlT_T0_E_clISt17integral_constantIbLb1EES1B_IbLb0EEEEDaS17_S18_EUlS17_E_NS1_11comp_targetILNS1_3genE9ELNS1_11target_archE1100ELNS1_3gpuE3ELNS1_3repE0EEENS1_30default_config_static_selectorELNS0_4arch9wavefront6targetE1EEEvT1_
; %bb.0:
	.section	.rodata,"a",@progbits
	.p2align	6, 0x0
	.amdhsa_kernel _ZN7rocprim17ROCPRIM_400000_NS6detail17trampoline_kernelINS0_14default_configENS1_25partition_config_selectorILNS1_17partition_subalgoE9EllbEEZZNS1_14partition_implILS5_9ELb0ES3_jPlS8_PNS0_10empty_typeENS0_5tupleIJS8_S9_EEENSB_IJS8_SA_EEENS0_18inequality_wrapperIZN2at6native12_GLOBAL__N_124unique_dim_cuda_templateIN3c104HalfEEESt5tupleIJNSF_6TensorESM_SM_EERKSM_lbbbEUlllE0_EEPmJS9_EEE10hipError_tPvRmT3_T4_T5_T6_T7_T9_mT8_P12ihipStream_tbDpT10_ENKUlT_T0_E_clISt17integral_constantIbLb1EES1B_IbLb0EEEEDaS17_S18_EUlS17_E_NS1_11comp_targetILNS1_3genE9ELNS1_11target_archE1100ELNS1_3gpuE3ELNS1_3repE0EEENS1_30default_config_static_selectorELNS0_4arch9wavefront6targetE1EEEvT1_
		.amdhsa_group_segment_fixed_size 0
		.amdhsa_private_segment_fixed_size 0
		.amdhsa_kernarg_size 120
		.amdhsa_user_sgpr_count 2
		.amdhsa_user_sgpr_dispatch_ptr 0
		.amdhsa_user_sgpr_queue_ptr 0
		.amdhsa_user_sgpr_kernarg_segment_ptr 1
		.amdhsa_user_sgpr_dispatch_id 0
		.amdhsa_user_sgpr_kernarg_preload_length 0
		.amdhsa_user_sgpr_kernarg_preload_offset 0
		.amdhsa_user_sgpr_private_segment_size 0
		.amdhsa_uses_dynamic_stack 0
		.amdhsa_enable_private_segment 0
		.amdhsa_system_sgpr_workgroup_id_x 1
		.amdhsa_system_sgpr_workgroup_id_y 0
		.amdhsa_system_sgpr_workgroup_id_z 0
		.amdhsa_system_sgpr_workgroup_info 0
		.amdhsa_system_vgpr_workitem_id 0
		.amdhsa_next_free_vgpr 1
		.amdhsa_next_free_sgpr 0
		.amdhsa_accum_offset 4
		.amdhsa_reserve_vcc 0
		.amdhsa_float_round_mode_32 0
		.amdhsa_float_round_mode_16_64 0
		.amdhsa_float_denorm_mode_32 3
		.amdhsa_float_denorm_mode_16_64 3
		.amdhsa_dx10_clamp 1
		.amdhsa_ieee_mode 1
		.amdhsa_fp16_overflow 0
		.amdhsa_tg_split 0
		.amdhsa_exception_fp_ieee_invalid_op 0
		.amdhsa_exception_fp_denorm_src 0
		.amdhsa_exception_fp_ieee_div_zero 0
		.amdhsa_exception_fp_ieee_overflow 0
		.amdhsa_exception_fp_ieee_underflow 0
		.amdhsa_exception_fp_ieee_inexact 0
		.amdhsa_exception_int_div_zero 0
	.end_amdhsa_kernel
	.section	.text._ZN7rocprim17ROCPRIM_400000_NS6detail17trampoline_kernelINS0_14default_configENS1_25partition_config_selectorILNS1_17partition_subalgoE9EllbEEZZNS1_14partition_implILS5_9ELb0ES3_jPlS8_PNS0_10empty_typeENS0_5tupleIJS8_S9_EEENSB_IJS8_SA_EEENS0_18inequality_wrapperIZN2at6native12_GLOBAL__N_124unique_dim_cuda_templateIN3c104HalfEEESt5tupleIJNSF_6TensorESM_SM_EERKSM_lbbbEUlllE0_EEPmJS9_EEE10hipError_tPvRmT3_T4_T5_T6_T7_T9_mT8_P12ihipStream_tbDpT10_ENKUlT_T0_E_clISt17integral_constantIbLb1EES1B_IbLb0EEEEDaS17_S18_EUlS17_E_NS1_11comp_targetILNS1_3genE9ELNS1_11target_archE1100ELNS1_3gpuE3ELNS1_3repE0EEENS1_30default_config_static_selectorELNS0_4arch9wavefront6targetE1EEEvT1_,"axG",@progbits,_ZN7rocprim17ROCPRIM_400000_NS6detail17trampoline_kernelINS0_14default_configENS1_25partition_config_selectorILNS1_17partition_subalgoE9EllbEEZZNS1_14partition_implILS5_9ELb0ES3_jPlS8_PNS0_10empty_typeENS0_5tupleIJS8_S9_EEENSB_IJS8_SA_EEENS0_18inequality_wrapperIZN2at6native12_GLOBAL__N_124unique_dim_cuda_templateIN3c104HalfEEESt5tupleIJNSF_6TensorESM_SM_EERKSM_lbbbEUlllE0_EEPmJS9_EEE10hipError_tPvRmT3_T4_T5_T6_T7_T9_mT8_P12ihipStream_tbDpT10_ENKUlT_T0_E_clISt17integral_constantIbLb1EES1B_IbLb0EEEEDaS17_S18_EUlS17_E_NS1_11comp_targetILNS1_3genE9ELNS1_11target_archE1100ELNS1_3gpuE3ELNS1_3repE0EEENS1_30default_config_static_selectorELNS0_4arch9wavefront6targetE1EEEvT1_,comdat
.Lfunc_end1351:
	.size	_ZN7rocprim17ROCPRIM_400000_NS6detail17trampoline_kernelINS0_14default_configENS1_25partition_config_selectorILNS1_17partition_subalgoE9EllbEEZZNS1_14partition_implILS5_9ELb0ES3_jPlS8_PNS0_10empty_typeENS0_5tupleIJS8_S9_EEENSB_IJS8_SA_EEENS0_18inequality_wrapperIZN2at6native12_GLOBAL__N_124unique_dim_cuda_templateIN3c104HalfEEESt5tupleIJNSF_6TensorESM_SM_EERKSM_lbbbEUlllE0_EEPmJS9_EEE10hipError_tPvRmT3_T4_T5_T6_T7_T9_mT8_P12ihipStream_tbDpT10_ENKUlT_T0_E_clISt17integral_constantIbLb1EES1B_IbLb0EEEEDaS17_S18_EUlS17_E_NS1_11comp_targetILNS1_3genE9ELNS1_11target_archE1100ELNS1_3gpuE3ELNS1_3repE0EEENS1_30default_config_static_selectorELNS0_4arch9wavefront6targetE1EEEvT1_, .Lfunc_end1351-_ZN7rocprim17ROCPRIM_400000_NS6detail17trampoline_kernelINS0_14default_configENS1_25partition_config_selectorILNS1_17partition_subalgoE9EllbEEZZNS1_14partition_implILS5_9ELb0ES3_jPlS8_PNS0_10empty_typeENS0_5tupleIJS8_S9_EEENSB_IJS8_SA_EEENS0_18inequality_wrapperIZN2at6native12_GLOBAL__N_124unique_dim_cuda_templateIN3c104HalfEEESt5tupleIJNSF_6TensorESM_SM_EERKSM_lbbbEUlllE0_EEPmJS9_EEE10hipError_tPvRmT3_T4_T5_T6_T7_T9_mT8_P12ihipStream_tbDpT10_ENKUlT_T0_E_clISt17integral_constantIbLb1EES1B_IbLb0EEEEDaS17_S18_EUlS17_E_NS1_11comp_targetILNS1_3genE9ELNS1_11target_archE1100ELNS1_3gpuE3ELNS1_3repE0EEENS1_30default_config_static_selectorELNS0_4arch9wavefront6targetE1EEEvT1_
                                        ; -- End function
	.set _ZN7rocprim17ROCPRIM_400000_NS6detail17trampoline_kernelINS0_14default_configENS1_25partition_config_selectorILNS1_17partition_subalgoE9EllbEEZZNS1_14partition_implILS5_9ELb0ES3_jPlS8_PNS0_10empty_typeENS0_5tupleIJS8_S9_EEENSB_IJS8_SA_EEENS0_18inequality_wrapperIZN2at6native12_GLOBAL__N_124unique_dim_cuda_templateIN3c104HalfEEESt5tupleIJNSF_6TensorESM_SM_EERKSM_lbbbEUlllE0_EEPmJS9_EEE10hipError_tPvRmT3_T4_T5_T6_T7_T9_mT8_P12ihipStream_tbDpT10_ENKUlT_T0_E_clISt17integral_constantIbLb1EES1B_IbLb0EEEEDaS17_S18_EUlS17_E_NS1_11comp_targetILNS1_3genE9ELNS1_11target_archE1100ELNS1_3gpuE3ELNS1_3repE0EEENS1_30default_config_static_selectorELNS0_4arch9wavefront6targetE1EEEvT1_.num_vgpr, 0
	.set _ZN7rocprim17ROCPRIM_400000_NS6detail17trampoline_kernelINS0_14default_configENS1_25partition_config_selectorILNS1_17partition_subalgoE9EllbEEZZNS1_14partition_implILS5_9ELb0ES3_jPlS8_PNS0_10empty_typeENS0_5tupleIJS8_S9_EEENSB_IJS8_SA_EEENS0_18inequality_wrapperIZN2at6native12_GLOBAL__N_124unique_dim_cuda_templateIN3c104HalfEEESt5tupleIJNSF_6TensorESM_SM_EERKSM_lbbbEUlllE0_EEPmJS9_EEE10hipError_tPvRmT3_T4_T5_T6_T7_T9_mT8_P12ihipStream_tbDpT10_ENKUlT_T0_E_clISt17integral_constantIbLb1EES1B_IbLb0EEEEDaS17_S18_EUlS17_E_NS1_11comp_targetILNS1_3genE9ELNS1_11target_archE1100ELNS1_3gpuE3ELNS1_3repE0EEENS1_30default_config_static_selectorELNS0_4arch9wavefront6targetE1EEEvT1_.num_agpr, 0
	.set _ZN7rocprim17ROCPRIM_400000_NS6detail17trampoline_kernelINS0_14default_configENS1_25partition_config_selectorILNS1_17partition_subalgoE9EllbEEZZNS1_14partition_implILS5_9ELb0ES3_jPlS8_PNS0_10empty_typeENS0_5tupleIJS8_S9_EEENSB_IJS8_SA_EEENS0_18inequality_wrapperIZN2at6native12_GLOBAL__N_124unique_dim_cuda_templateIN3c104HalfEEESt5tupleIJNSF_6TensorESM_SM_EERKSM_lbbbEUlllE0_EEPmJS9_EEE10hipError_tPvRmT3_T4_T5_T6_T7_T9_mT8_P12ihipStream_tbDpT10_ENKUlT_T0_E_clISt17integral_constantIbLb1EES1B_IbLb0EEEEDaS17_S18_EUlS17_E_NS1_11comp_targetILNS1_3genE9ELNS1_11target_archE1100ELNS1_3gpuE3ELNS1_3repE0EEENS1_30default_config_static_selectorELNS0_4arch9wavefront6targetE1EEEvT1_.numbered_sgpr, 0
	.set _ZN7rocprim17ROCPRIM_400000_NS6detail17trampoline_kernelINS0_14default_configENS1_25partition_config_selectorILNS1_17partition_subalgoE9EllbEEZZNS1_14partition_implILS5_9ELb0ES3_jPlS8_PNS0_10empty_typeENS0_5tupleIJS8_S9_EEENSB_IJS8_SA_EEENS0_18inequality_wrapperIZN2at6native12_GLOBAL__N_124unique_dim_cuda_templateIN3c104HalfEEESt5tupleIJNSF_6TensorESM_SM_EERKSM_lbbbEUlllE0_EEPmJS9_EEE10hipError_tPvRmT3_T4_T5_T6_T7_T9_mT8_P12ihipStream_tbDpT10_ENKUlT_T0_E_clISt17integral_constantIbLb1EES1B_IbLb0EEEEDaS17_S18_EUlS17_E_NS1_11comp_targetILNS1_3genE9ELNS1_11target_archE1100ELNS1_3gpuE3ELNS1_3repE0EEENS1_30default_config_static_selectorELNS0_4arch9wavefront6targetE1EEEvT1_.num_named_barrier, 0
	.set _ZN7rocprim17ROCPRIM_400000_NS6detail17trampoline_kernelINS0_14default_configENS1_25partition_config_selectorILNS1_17partition_subalgoE9EllbEEZZNS1_14partition_implILS5_9ELb0ES3_jPlS8_PNS0_10empty_typeENS0_5tupleIJS8_S9_EEENSB_IJS8_SA_EEENS0_18inequality_wrapperIZN2at6native12_GLOBAL__N_124unique_dim_cuda_templateIN3c104HalfEEESt5tupleIJNSF_6TensorESM_SM_EERKSM_lbbbEUlllE0_EEPmJS9_EEE10hipError_tPvRmT3_T4_T5_T6_T7_T9_mT8_P12ihipStream_tbDpT10_ENKUlT_T0_E_clISt17integral_constantIbLb1EES1B_IbLb0EEEEDaS17_S18_EUlS17_E_NS1_11comp_targetILNS1_3genE9ELNS1_11target_archE1100ELNS1_3gpuE3ELNS1_3repE0EEENS1_30default_config_static_selectorELNS0_4arch9wavefront6targetE1EEEvT1_.private_seg_size, 0
	.set _ZN7rocprim17ROCPRIM_400000_NS6detail17trampoline_kernelINS0_14default_configENS1_25partition_config_selectorILNS1_17partition_subalgoE9EllbEEZZNS1_14partition_implILS5_9ELb0ES3_jPlS8_PNS0_10empty_typeENS0_5tupleIJS8_S9_EEENSB_IJS8_SA_EEENS0_18inequality_wrapperIZN2at6native12_GLOBAL__N_124unique_dim_cuda_templateIN3c104HalfEEESt5tupleIJNSF_6TensorESM_SM_EERKSM_lbbbEUlllE0_EEPmJS9_EEE10hipError_tPvRmT3_T4_T5_T6_T7_T9_mT8_P12ihipStream_tbDpT10_ENKUlT_T0_E_clISt17integral_constantIbLb1EES1B_IbLb0EEEEDaS17_S18_EUlS17_E_NS1_11comp_targetILNS1_3genE9ELNS1_11target_archE1100ELNS1_3gpuE3ELNS1_3repE0EEENS1_30default_config_static_selectorELNS0_4arch9wavefront6targetE1EEEvT1_.uses_vcc, 0
	.set _ZN7rocprim17ROCPRIM_400000_NS6detail17trampoline_kernelINS0_14default_configENS1_25partition_config_selectorILNS1_17partition_subalgoE9EllbEEZZNS1_14partition_implILS5_9ELb0ES3_jPlS8_PNS0_10empty_typeENS0_5tupleIJS8_S9_EEENSB_IJS8_SA_EEENS0_18inequality_wrapperIZN2at6native12_GLOBAL__N_124unique_dim_cuda_templateIN3c104HalfEEESt5tupleIJNSF_6TensorESM_SM_EERKSM_lbbbEUlllE0_EEPmJS9_EEE10hipError_tPvRmT3_T4_T5_T6_T7_T9_mT8_P12ihipStream_tbDpT10_ENKUlT_T0_E_clISt17integral_constantIbLb1EES1B_IbLb0EEEEDaS17_S18_EUlS17_E_NS1_11comp_targetILNS1_3genE9ELNS1_11target_archE1100ELNS1_3gpuE3ELNS1_3repE0EEENS1_30default_config_static_selectorELNS0_4arch9wavefront6targetE1EEEvT1_.uses_flat_scratch, 0
	.set _ZN7rocprim17ROCPRIM_400000_NS6detail17trampoline_kernelINS0_14default_configENS1_25partition_config_selectorILNS1_17partition_subalgoE9EllbEEZZNS1_14partition_implILS5_9ELb0ES3_jPlS8_PNS0_10empty_typeENS0_5tupleIJS8_S9_EEENSB_IJS8_SA_EEENS0_18inequality_wrapperIZN2at6native12_GLOBAL__N_124unique_dim_cuda_templateIN3c104HalfEEESt5tupleIJNSF_6TensorESM_SM_EERKSM_lbbbEUlllE0_EEPmJS9_EEE10hipError_tPvRmT3_T4_T5_T6_T7_T9_mT8_P12ihipStream_tbDpT10_ENKUlT_T0_E_clISt17integral_constantIbLb1EES1B_IbLb0EEEEDaS17_S18_EUlS17_E_NS1_11comp_targetILNS1_3genE9ELNS1_11target_archE1100ELNS1_3gpuE3ELNS1_3repE0EEENS1_30default_config_static_selectorELNS0_4arch9wavefront6targetE1EEEvT1_.has_dyn_sized_stack, 0
	.set _ZN7rocprim17ROCPRIM_400000_NS6detail17trampoline_kernelINS0_14default_configENS1_25partition_config_selectorILNS1_17partition_subalgoE9EllbEEZZNS1_14partition_implILS5_9ELb0ES3_jPlS8_PNS0_10empty_typeENS0_5tupleIJS8_S9_EEENSB_IJS8_SA_EEENS0_18inequality_wrapperIZN2at6native12_GLOBAL__N_124unique_dim_cuda_templateIN3c104HalfEEESt5tupleIJNSF_6TensorESM_SM_EERKSM_lbbbEUlllE0_EEPmJS9_EEE10hipError_tPvRmT3_T4_T5_T6_T7_T9_mT8_P12ihipStream_tbDpT10_ENKUlT_T0_E_clISt17integral_constantIbLb1EES1B_IbLb0EEEEDaS17_S18_EUlS17_E_NS1_11comp_targetILNS1_3genE9ELNS1_11target_archE1100ELNS1_3gpuE3ELNS1_3repE0EEENS1_30default_config_static_selectorELNS0_4arch9wavefront6targetE1EEEvT1_.has_recursion, 0
	.set _ZN7rocprim17ROCPRIM_400000_NS6detail17trampoline_kernelINS0_14default_configENS1_25partition_config_selectorILNS1_17partition_subalgoE9EllbEEZZNS1_14partition_implILS5_9ELb0ES3_jPlS8_PNS0_10empty_typeENS0_5tupleIJS8_S9_EEENSB_IJS8_SA_EEENS0_18inequality_wrapperIZN2at6native12_GLOBAL__N_124unique_dim_cuda_templateIN3c104HalfEEESt5tupleIJNSF_6TensorESM_SM_EERKSM_lbbbEUlllE0_EEPmJS9_EEE10hipError_tPvRmT3_T4_T5_T6_T7_T9_mT8_P12ihipStream_tbDpT10_ENKUlT_T0_E_clISt17integral_constantIbLb1EES1B_IbLb0EEEEDaS17_S18_EUlS17_E_NS1_11comp_targetILNS1_3genE9ELNS1_11target_archE1100ELNS1_3gpuE3ELNS1_3repE0EEENS1_30default_config_static_selectorELNS0_4arch9wavefront6targetE1EEEvT1_.has_indirect_call, 0
	.section	.AMDGPU.csdata,"",@progbits
; Kernel info:
; codeLenInByte = 0
; TotalNumSgprs: 6
; NumVgprs: 0
; NumAgprs: 0
; TotalNumVgprs: 0
; ScratchSize: 0
; MemoryBound: 0
; FloatMode: 240
; IeeeMode: 1
; LDSByteSize: 0 bytes/workgroup (compile time only)
; SGPRBlocks: 0
; VGPRBlocks: 0
; NumSGPRsForWavesPerEU: 6
; NumVGPRsForWavesPerEU: 1
; AccumOffset: 4
; Occupancy: 8
; WaveLimiterHint : 0
; COMPUTE_PGM_RSRC2:SCRATCH_EN: 0
; COMPUTE_PGM_RSRC2:USER_SGPR: 2
; COMPUTE_PGM_RSRC2:TRAP_HANDLER: 0
; COMPUTE_PGM_RSRC2:TGID_X_EN: 1
; COMPUTE_PGM_RSRC2:TGID_Y_EN: 0
; COMPUTE_PGM_RSRC2:TGID_Z_EN: 0
; COMPUTE_PGM_RSRC2:TIDIG_COMP_CNT: 0
; COMPUTE_PGM_RSRC3_GFX90A:ACCUM_OFFSET: 0
; COMPUTE_PGM_RSRC3_GFX90A:TG_SPLIT: 0
	.section	.text._ZN7rocprim17ROCPRIM_400000_NS6detail17trampoline_kernelINS0_14default_configENS1_25partition_config_selectorILNS1_17partition_subalgoE9EllbEEZZNS1_14partition_implILS5_9ELb0ES3_jPlS8_PNS0_10empty_typeENS0_5tupleIJS8_S9_EEENSB_IJS8_SA_EEENS0_18inequality_wrapperIZN2at6native12_GLOBAL__N_124unique_dim_cuda_templateIN3c104HalfEEESt5tupleIJNSF_6TensorESM_SM_EERKSM_lbbbEUlllE0_EEPmJS9_EEE10hipError_tPvRmT3_T4_T5_T6_T7_T9_mT8_P12ihipStream_tbDpT10_ENKUlT_T0_E_clISt17integral_constantIbLb1EES1B_IbLb0EEEEDaS17_S18_EUlS17_E_NS1_11comp_targetILNS1_3genE8ELNS1_11target_archE1030ELNS1_3gpuE2ELNS1_3repE0EEENS1_30default_config_static_selectorELNS0_4arch9wavefront6targetE1EEEvT1_,"axG",@progbits,_ZN7rocprim17ROCPRIM_400000_NS6detail17trampoline_kernelINS0_14default_configENS1_25partition_config_selectorILNS1_17partition_subalgoE9EllbEEZZNS1_14partition_implILS5_9ELb0ES3_jPlS8_PNS0_10empty_typeENS0_5tupleIJS8_S9_EEENSB_IJS8_SA_EEENS0_18inequality_wrapperIZN2at6native12_GLOBAL__N_124unique_dim_cuda_templateIN3c104HalfEEESt5tupleIJNSF_6TensorESM_SM_EERKSM_lbbbEUlllE0_EEPmJS9_EEE10hipError_tPvRmT3_T4_T5_T6_T7_T9_mT8_P12ihipStream_tbDpT10_ENKUlT_T0_E_clISt17integral_constantIbLb1EES1B_IbLb0EEEEDaS17_S18_EUlS17_E_NS1_11comp_targetILNS1_3genE8ELNS1_11target_archE1030ELNS1_3gpuE2ELNS1_3repE0EEENS1_30default_config_static_selectorELNS0_4arch9wavefront6targetE1EEEvT1_,comdat
	.globl	_ZN7rocprim17ROCPRIM_400000_NS6detail17trampoline_kernelINS0_14default_configENS1_25partition_config_selectorILNS1_17partition_subalgoE9EllbEEZZNS1_14partition_implILS5_9ELb0ES3_jPlS8_PNS0_10empty_typeENS0_5tupleIJS8_S9_EEENSB_IJS8_SA_EEENS0_18inequality_wrapperIZN2at6native12_GLOBAL__N_124unique_dim_cuda_templateIN3c104HalfEEESt5tupleIJNSF_6TensorESM_SM_EERKSM_lbbbEUlllE0_EEPmJS9_EEE10hipError_tPvRmT3_T4_T5_T6_T7_T9_mT8_P12ihipStream_tbDpT10_ENKUlT_T0_E_clISt17integral_constantIbLb1EES1B_IbLb0EEEEDaS17_S18_EUlS17_E_NS1_11comp_targetILNS1_3genE8ELNS1_11target_archE1030ELNS1_3gpuE2ELNS1_3repE0EEENS1_30default_config_static_selectorELNS0_4arch9wavefront6targetE1EEEvT1_ ; -- Begin function _ZN7rocprim17ROCPRIM_400000_NS6detail17trampoline_kernelINS0_14default_configENS1_25partition_config_selectorILNS1_17partition_subalgoE9EllbEEZZNS1_14partition_implILS5_9ELb0ES3_jPlS8_PNS0_10empty_typeENS0_5tupleIJS8_S9_EEENSB_IJS8_SA_EEENS0_18inequality_wrapperIZN2at6native12_GLOBAL__N_124unique_dim_cuda_templateIN3c104HalfEEESt5tupleIJNSF_6TensorESM_SM_EERKSM_lbbbEUlllE0_EEPmJS9_EEE10hipError_tPvRmT3_T4_T5_T6_T7_T9_mT8_P12ihipStream_tbDpT10_ENKUlT_T0_E_clISt17integral_constantIbLb1EES1B_IbLb0EEEEDaS17_S18_EUlS17_E_NS1_11comp_targetILNS1_3genE8ELNS1_11target_archE1030ELNS1_3gpuE2ELNS1_3repE0EEENS1_30default_config_static_selectorELNS0_4arch9wavefront6targetE1EEEvT1_
	.p2align	8
	.type	_ZN7rocprim17ROCPRIM_400000_NS6detail17trampoline_kernelINS0_14default_configENS1_25partition_config_selectorILNS1_17partition_subalgoE9EllbEEZZNS1_14partition_implILS5_9ELb0ES3_jPlS8_PNS0_10empty_typeENS0_5tupleIJS8_S9_EEENSB_IJS8_SA_EEENS0_18inequality_wrapperIZN2at6native12_GLOBAL__N_124unique_dim_cuda_templateIN3c104HalfEEESt5tupleIJNSF_6TensorESM_SM_EERKSM_lbbbEUlllE0_EEPmJS9_EEE10hipError_tPvRmT3_T4_T5_T6_T7_T9_mT8_P12ihipStream_tbDpT10_ENKUlT_T0_E_clISt17integral_constantIbLb1EES1B_IbLb0EEEEDaS17_S18_EUlS17_E_NS1_11comp_targetILNS1_3genE8ELNS1_11target_archE1030ELNS1_3gpuE2ELNS1_3repE0EEENS1_30default_config_static_selectorELNS0_4arch9wavefront6targetE1EEEvT1_,@function
_ZN7rocprim17ROCPRIM_400000_NS6detail17trampoline_kernelINS0_14default_configENS1_25partition_config_selectorILNS1_17partition_subalgoE9EllbEEZZNS1_14partition_implILS5_9ELb0ES3_jPlS8_PNS0_10empty_typeENS0_5tupleIJS8_S9_EEENSB_IJS8_SA_EEENS0_18inequality_wrapperIZN2at6native12_GLOBAL__N_124unique_dim_cuda_templateIN3c104HalfEEESt5tupleIJNSF_6TensorESM_SM_EERKSM_lbbbEUlllE0_EEPmJS9_EEE10hipError_tPvRmT3_T4_T5_T6_T7_T9_mT8_P12ihipStream_tbDpT10_ENKUlT_T0_E_clISt17integral_constantIbLb1EES1B_IbLb0EEEEDaS17_S18_EUlS17_E_NS1_11comp_targetILNS1_3genE8ELNS1_11target_archE1030ELNS1_3gpuE2ELNS1_3repE0EEENS1_30default_config_static_selectorELNS0_4arch9wavefront6targetE1EEEvT1_: ; @_ZN7rocprim17ROCPRIM_400000_NS6detail17trampoline_kernelINS0_14default_configENS1_25partition_config_selectorILNS1_17partition_subalgoE9EllbEEZZNS1_14partition_implILS5_9ELb0ES3_jPlS8_PNS0_10empty_typeENS0_5tupleIJS8_S9_EEENSB_IJS8_SA_EEENS0_18inequality_wrapperIZN2at6native12_GLOBAL__N_124unique_dim_cuda_templateIN3c104HalfEEESt5tupleIJNSF_6TensorESM_SM_EERKSM_lbbbEUlllE0_EEPmJS9_EEE10hipError_tPvRmT3_T4_T5_T6_T7_T9_mT8_P12ihipStream_tbDpT10_ENKUlT_T0_E_clISt17integral_constantIbLb1EES1B_IbLb0EEEEDaS17_S18_EUlS17_E_NS1_11comp_targetILNS1_3genE8ELNS1_11target_archE1030ELNS1_3gpuE2ELNS1_3repE0EEENS1_30default_config_static_selectorELNS0_4arch9wavefront6targetE1EEEvT1_
; %bb.0:
	.section	.rodata,"a",@progbits
	.p2align	6, 0x0
	.amdhsa_kernel _ZN7rocprim17ROCPRIM_400000_NS6detail17trampoline_kernelINS0_14default_configENS1_25partition_config_selectorILNS1_17partition_subalgoE9EllbEEZZNS1_14partition_implILS5_9ELb0ES3_jPlS8_PNS0_10empty_typeENS0_5tupleIJS8_S9_EEENSB_IJS8_SA_EEENS0_18inequality_wrapperIZN2at6native12_GLOBAL__N_124unique_dim_cuda_templateIN3c104HalfEEESt5tupleIJNSF_6TensorESM_SM_EERKSM_lbbbEUlllE0_EEPmJS9_EEE10hipError_tPvRmT3_T4_T5_T6_T7_T9_mT8_P12ihipStream_tbDpT10_ENKUlT_T0_E_clISt17integral_constantIbLb1EES1B_IbLb0EEEEDaS17_S18_EUlS17_E_NS1_11comp_targetILNS1_3genE8ELNS1_11target_archE1030ELNS1_3gpuE2ELNS1_3repE0EEENS1_30default_config_static_selectorELNS0_4arch9wavefront6targetE1EEEvT1_
		.amdhsa_group_segment_fixed_size 0
		.amdhsa_private_segment_fixed_size 0
		.amdhsa_kernarg_size 120
		.amdhsa_user_sgpr_count 2
		.amdhsa_user_sgpr_dispatch_ptr 0
		.amdhsa_user_sgpr_queue_ptr 0
		.amdhsa_user_sgpr_kernarg_segment_ptr 1
		.amdhsa_user_sgpr_dispatch_id 0
		.amdhsa_user_sgpr_kernarg_preload_length 0
		.amdhsa_user_sgpr_kernarg_preload_offset 0
		.amdhsa_user_sgpr_private_segment_size 0
		.amdhsa_uses_dynamic_stack 0
		.amdhsa_enable_private_segment 0
		.amdhsa_system_sgpr_workgroup_id_x 1
		.amdhsa_system_sgpr_workgroup_id_y 0
		.amdhsa_system_sgpr_workgroup_id_z 0
		.amdhsa_system_sgpr_workgroup_info 0
		.amdhsa_system_vgpr_workitem_id 0
		.amdhsa_next_free_vgpr 1
		.amdhsa_next_free_sgpr 0
		.amdhsa_accum_offset 4
		.amdhsa_reserve_vcc 0
		.amdhsa_float_round_mode_32 0
		.amdhsa_float_round_mode_16_64 0
		.amdhsa_float_denorm_mode_32 3
		.amdhsa_float_denorm_mode_16_64 3
		.amdhsa_dx10_clamp 1
		.amdhsa_ieee_mode 1
		.amdhsa_fp16_overflow 0
		.amdhsa_tg_split 0
		.amdhsa_exception_fp_ieee_invalid_op 0
		.amdhsa_exception_fp_denorm_src 0
		.amdhsa_exception_fp_ieee_div_zero 0
		.amdhsa_exception_fp_ieee_overflow 0
		.amdhsa_exception_fp_ieee_underflow 0
		.amdhsa_exception_fp_ieee_inexact 0
		.amdhsa_exception_int_div_zero 0
	.end_amdhsa_kernel
	.section	.text._ZN7rocprim17ROCPRIM_400000_NS6detail17trampoline_kernelINS0_14default_configENS1_25partition_config_selectorILNS1_17partition_subalgoE9EllbEEZZNS1_14partition_implILS5_9ELb0ES3_jPlS8_PNS0_10empty_typeENS0_5tupleIJS8_S9_EEENSB_IJS8_SA_EEENS0_18inequality_wrapperIZN2at6native12_GLOBAL__N_124unique_dim_cuda_templateIN3c104HalfEEESt5tupleIJNSF_6TensorESM_SM_EERKSM_lbbbEUlllE0_EEPmJS9_EEE10hipError_tPvRmT3_T4_T5_T6_T7_T9_mT8_P12ihipStream_tbDpT10_ENKUlT_T0_E_clISt17integral_constantIbLb1EES1B_IbLb0EEEEDaS17_S18_EUlS17_E_NS1_11comp_targetILNS1_3genE8ELNS1_11target_archE1030ELNS1_3gpuE2ELNS1_3repE0EEENS1_30default_config_static_selectorELNS0_4arch9wavefront6targetE1EEEvT1_,"axG",@progbits,_ZN7rocprim17ROCPRIM_400000_NS6detail17trampoline_kernelINS0_14default_configENS1_25partition_config_selectorILNS1_17partition_subalgoE9EllbEEZZNS1_14partition_implILS5_9ELb0ES3_jPlS8_PNS0_10empty_typeENS0_5tupleIJS8_S9_EEENSB_IJS8_SA_EEENS0_18inequality_wrapperIZN2at6native12_GLOBAL__N_124unique_dim_cuda_templateIN3c104HalfEEESt5tupleIJNSF_6TensorESM_SM_EERKSM_lbbbEUlllE0_EEPmJS9_EEE10hipError_tPvRmT3_T4_T5_T6_T7_T9_mT8_P12ihipStream_tbDpT10_ENKUlT_T0_E_clISt17integral_constantIbLb1EES1B_IbLb0EEEEDaS17_S18_EUlS17_E_NS1_11comp_targetILNS1_3genE8ELNS1_11target_archE1030ELNS1_3gpuE2ELNS1_3repE0EEENS1_30default_config_static_selectorELNS0_4arch9wavefront6targetE1EEEvT1_,comdat
.Lfunc_end1352:
	.size	_ZN7rocprim17ROCPRIM_400000_NS6detail17trampoline_kernelINS0_14default_configENS1_25partition_config_selectorILNS1_17partition_subalgoE9EllbEEZZNS1_14partition_implILS5_9ELb0ES3_jPlS8_PNS0_10empty_typeENS0_5tupleIJS8_S9_EEENSB_IJS8_SA_EEENS0_18inequality_wrapperIZN2at6native12_GLOBAL__N_124unique_dim_cuda_templateIN3c104HalfEEESt5tupleIJNSF_6TensorESM_SM_EERKSM_lbbbEUlllE0_EEPmJS9_EEE10hipError_tPvRmT3_T4_T5_T6_T7_T9_mT8_P12ihipStream_tbDpT10_ENKUlT_T0_E_clISt17integral_constantIbLb1EES1B_IbLb0EEEEDaS17_S18_EUlS17_E_NS1_11comp_targetILNS1_3genE8ELNS1_11target_archE1030ELNS1_3gpuE2ELNS1_3repE0EEENS1_30default_config_static_selectorELNS0_4arch9wavefront6targetE1EEEvT1_, .Lfunc_end1352-_ZN7rocprim17ROCPRIM_400000_NS6detail17trampoline_kernelINS0_14default_configENS1_25partition_config_selectorILNS1_17partition_subalgoE9EllbEEZZNS1_14partition_implILS5_9ELb0ES3_jPlS8_PNS0_10empty_typeENS0_5tupleIJS8_S9_EEENSB_IJS8_SA_EEENS0_18inequality_wrapperIZN2at6native12_GLOBAL__N_124unique_dim_cuda_templateIN3c104HalfEEESt5tupleIJNSF_6TensorESM_SM_EERKSM_lbbbEUlllE0_EEPmJS9_EEE10hipError_tPvRmT3_T4_T5_T6_T7_T9_mT8_P12ihipStream_tbDpT10_ENKUlT_T0_E_clISt17integral_constantIbLb1EES1B_IbLb0EEEEDaS17_S18_EUlS17_E_NS1_11comp_targetILNS1_3genE8ELNS1_11target_archE1030ELNS1_3gpuE2ELNS1_3repE0EEENS1_30default_config_static_selectorELNS0_4arch9wavefront6targetE1EEEvT1_
                                        ; -- End function
	.set _ZN7rocprim17ROCPRIM_400000_NS6detail17trampoline_kernelINS0_14default_configENS1_25partition_config_selectorILNS1_17partition_subalgoE9EllbEEZZNS1_14partition_implILS5_9ELb0ES3_jPlS8_PNS0_10empty_typeENS0_5tupleIJS8_S9_EEENSB_IJS8_SA_EEENS0_18inequality_wrapperIZN2at6native12_GLOBAL__N_124unique_dim_cuda_templateIN3c104HalfEEESt5tupleIJNSF_6TensorESM_SM_EERKSM_lbbbEUlllE0_EEPmJS9_EEE10hipError_tPvRmT3_T4_T5_T6_T7_T9_mT8_P12ihipStream_tbDpT10_ENKUlT_T0_E_clISt17integral_constantIbLb1EES1B_IbLb0EEEEDaS17_S18_EUlS17_E_NS1_11comp_targetILNS1_3genE8ELNS1_11target_archE1030ELNS1_3gpuE2ELNS1_3repE0EEENS1_30default_config_static_selectorELNS0_4arch9wavefront6targetE1EEEvT1_.num_vgpr, 0
	.set _ZN7rocprim17ROCPRIM_400000_NS6detail17trampoline_kernelINS0_14default_configENS1_25partition_config_selectorILNS1_17partition_subalgoE9EllbEEZZNS1_14partition_implILS5_9ELb0ES3_jPlS8_PNS0_10empty_typeENS0_5tupleIJS8_S9_EEENSB_IJS8_SA_EEENS0_18inequality_wrapperIZN2at6native12_GLOBAL__N_124unique_dim_cuda_templateIN3c104HalfEEESt5tupleIJNSF_6TensorESM_SM_EERKSM_lbbbEUlllE0_EEPmJS9_EEE10hipError_tPvRmT3_T4_T5_T6_T7_T9_mT8_P12ihipStream_tbDpT10_ENKUlT_T0_E_clISt17integral_constantIbLb1EES1B_IbLb0EEEEDaS17_S18_EUlS17_E_NS1_11comp_targetILNS1_3genE8ELNS1_11target_archE1030ELNS1_3gpuE2ELNS1_3repE0EEENS1_30default_config_static_selectorELNS0_4arch9wavefront6targetE1EEEvT1_.num_agpr, 0
	.set _ZN7rocprim17ROCPRIM_400000_NS6detail17trampoline_kernelINS0_14default_configENS1_25partition_config_selectorILNS1_17partition_subalgoE9EllbEEZZNS1_14partition_implILS5_9ELb0ES3_jPlS8_PNS0_10empty_typeENS0_5tupleIJS8_S9_EEENSB_IJS8_SA_EEENS0_18inequality_wrapperIZN2at6native12_GLOBAL__N_124unique_dim_cuda_templateIN3c104HalfEEESt5tupleIJNSF_6TensorESM_SM_EERKSM_lbbbEUlllE0_EEPmJS9_EEE10hipError_tPvRmT3_T4_T5_T6_T7_T9_mT8_P12ihipStream_tbDpT10_ENKUlT_T0_E_clISt17integral_constantIbLb1EES1B_IbLb0EEEEDaS17_S18_EUlS17_E_NS1_11comp_targetILNS1_3genE8ELNS1_11target_archE1030ELNS1_3gpuE2ELNS1_3repE0EEENS1_30default_config_static_selectorELNS0_4arch9wavefront6targetE1EEEvT1_.numbered_sgpr, 0
	.set _ZN7rocprim17ROCPRIM_400000_NS6detail17trampoline_kernelINS0_14default_configENS1_25partition_config_selectorILNS1_17partition_subalgoE9EllbEEZZNS1_14partition_implILS5_9ELb0ES3_jPlS8_PNS0_10empty_typeENS0_5tupleIJS8_S9_EEENSB_IJS8_SA_EEENS0_18inequality_wrapperIZN2at6native12_GLOBAL__N_124unique_dim_cuda_templateIN3c104HalfEEESt5tupleIJNSF_6TensorESM_SM_EERKSM_lbbbEUlllE0_EEPmJS9_EEE10hipError_tPvRmT3_T4_T5_T6_T7_T9_mT8_P12ihipStream_tbDpT10_ENKUlT_T0_E_clISt17integral_constantIbLb1EES1B_IbLb0EEEEDaS17_S18_EUlS17_E_NS1_11comp_targetILNS1_3genE8ELNS1_11target_archE1030ELNS1_3gpuE2ELNS1_3repE0EEENS1_30default_config_static_selectorELNS0_4arch9wavefront6targetE1EEEvT1_.num_named_barrier, 0
	.set _ZN7rocprim17ROCPRIM_400000_NS6detail17trampoline_kernelINS0_14default_configENS1_25partition_config_selectorILNS1_17partition_subalgoE9EllbEEZZNS1_14partition_implILS5_9ELb0ES3_jPlS8_PNS0_10empty_typeENS0_5tupleIJS8_S9_EEENSB_IJS8_SA_EEENS0_18inequality_wrapperIZN2at6native12_GLOBAL__N_124unique_dim_cuda_templateIN3c104HalfEEESt5tupleIJNSF_6TensorESM_SM_EERKSM_lbbbEUlllE0_EEPmJS9_EEE10hipError_tPvRmT3_T4_T5_T6_T7_T9_mT8_P12ihipStream_tbDpT10_ENKUlT_T0_E_clISt17integral_constantIbLb1EES1B_IbLb0EEEEDaS17_S18_EUlS17_E_NS1_11comp_targetILNS1_3genE8ELNS1_11target_archE1030ELNS1_3gpuE2ELNS1_3repE0EEENS1_30default_config_static_selectorELNS0_4arch9wavefront6targetE1EEEvT1_.private_seg_size, 0
	.set _ZN7rocprim17ROCPRIM_400000_NS6detail17trampoline_kernelINS0_14default_configENS1_25partition_config_selectorILNS1_17partition_subalgoE9EllbEEZZNS1_14partition_implILS5_9ELb0ES3_jPlS8_PNS0_10empty_typeENS0_5tupleIJS8_S9_EEENSB_IJS8_SA_EEENS0_18inequality_wrapperIZN2at6native12_GLOBAL__N_124unique_dim_cuda_templateIN3c104HalfEEESt5tupleIJNSF_6TensorESM_SM_EERKSM_lbbbEUlllE0_EEPmJS9_EEE10hipError_tPvRmT3_T4_T5_T6_T7_T9_mT8_P12ihipStream_tbDpT10_ENKUlT_T0_E_clISt17integral_constantIbLb1EES1B_IbLb0EEEEDaS17_S18_EUlS17_E_NS1_11comp_targetILNS1_3genE8ELNS1_11target_archE1030ELNS1_3gpuE2ELNS1_3repE0EEENS1_30default_config_static_selectorELNS0_4arch9wavefront6targetE1EEEvT1_.uses_vcc, 0
	.set _ZN7rocprim17ROCPRIM_400000_NS6detail17trampoline_kernelINS0_14default_configENS1_25partition_config_selectorILNS1_17partition_subalgoE9EllbEEZZNS1_14partition_implILS5_9ELb0ES3_jPlS8_PNS0_10empty_typeENS0_5tupleIJS8_S9_EEENSB_IJS8_SA_EEENS0_18inequality_wrapperIZN2at6native12_GLOBAL__N_124unique_dim_cuda_templateIN3c104HalfEEESt5tupleIJNSF_6TensorESM_SM_EERKSM_lbbbEUlllE0_EEPmJS9_EEE10hipError_tPvRmT3_T4_T5_T6_T7_T9_mT8_P12ihipStream_tbDpT10_ENKUlT_T0_E_clISt17integral_constantIbLb1EES1B_IbLb0EEEEDaS17_S18_EUlS17_E_NS1_11comp_targetILNS1_3genE8ELNS1_11target_archE1030ELNS1_3gpuE2ELNS1_3repE0EEENS1_30default_config_static_selectorELNS0_4arch9wavefront6targetE1EEEvT1_.uses_flat_scratch, 0
	.set _ZN7rocprim17ROCPRIM_400000_NS6detail17trampoline_kernelINS0_14default_configENS1_25partition_config_selectorILNS1_17partition_subalgoE9EllbEEZZNS1_14partition_implILS5_9ELb0ES3_jPlS8_PNS0_10empty_typeENS0_5tupleIJS8_S9_EEENSB_IJS8_SA_EEENS0_18inequality_wrapperIZN2at6native12_GLOBAL__N_124unique_dim_cuda_templateIN3c104HalfEEESt5tupleIJNSF_6TensorESM_SM_EERKSM_lbbbEUlllE0_EEPmJS9_EEE10hipError_tPvRmT3_T4_T5_T6_T7_T9_mT8_P12ihipStream_tbDpT10_ENKUlT_T0_E_clISt17integral_constantIbLb1EES1B_IbLb0EEEEDaS17_S18_EUlS17_E_NS1_11comp_targetILNS1_3genE8ELNS1_11target_archE1030ELNS1_3gpuE2ELNS1_3repE0EEENS1_30default_config_static_selectorELNS0_4arch9wavefront6targetE1EEEvT1_.has_dyn_sized_stack, 0
	.set _ZN7rocprim17ROCPRIM_400000_NS6detail17trampoline_kernelINS0_14default_configENS1_25partition_config_selectorILNS1_17partition_subalgoE9EllbEEZZNS1_14partition_implILS5_9ELb0ES3_jPlS8_PNS0_10empty_typeENS0_5tupleIJS8_S9_EEENSB_IJS8_SA_EEENS0_18inequality_wrapperIZN2at6native12_GLOBAL__N_124unique_dim_cuda_templateIN3c104HalfEEESt5tupleIJNSF_6TensorESM_SM_EERKSM_lbbbEUlllE0_EEPmJS9_EEE10hipError_tPvRmT3_T4_T5_T6_T7_T9_mT8_P12ihipStream_tbDpT10_ENKUlT_T0_E_clISt17integral_constantIbLb1EES1B_IbLb0EEEEDaS17_S18_EUlS17_E_NS1_11comp_targetILNS1_3genE8ELNS1_11target_archE1030ELNS1_3gpuE2ELNS1_3repE0EEENS1_30default_config_static_selectorELNS0_4arch9wavefront6targetE1EEEvT1_.has_recursion, 0
	.set _ZN7rocprim17ROCPRIM_400000_NS6detail17trampoline_kernelINS0_14default_configENS1_25partition_config_selectorILNS1_17partition_subalgoE9EllbEEZZNS1_14partition_implILS5_9ELb0ES3_jPlS8_PNS0_10empty_typeENS0_5tupleIJS8_S9_EEENSB_IJS8_SA_EEENS0_18inequality_wrapperIZN2at6native12_GLOBAL__N_124unique_dim_cuda_templateIN3c104HalfEEESt5tupleIJNSF_6TensorESM_SM_EERKSM_lbbbEUlllE0_EEPmJS9_EEE10hipError_tPvRmT3_T4_T5_T6_T7_T9_mT8_P12ihipStream_tbDpT10_ENKUlT_T0_E_clISt17integral_constantIbLb1EES1B_IbLb0EEEEDaS17_S18_EUlS17_E_NS1_11comp_targetILNS1_3genE8ELNS1_11target_archE1030ELNS1_3gpuE2ELNS1_3repE0EEENS1_30default_config_static_selectorELNS0_4arch9wavefront6targetE1EEEvT1_.has_indirect_call, 0
	.section	.AMDGPU.csdata,"",@progbits
; Kernel info:
; codeLenInByte = 0
; TotalNumSgprs: 6
; NumVgprs: 0
; NumAgprs: 0
; TotalNumVgprs: 0
; ScratchSize: 0
; MemoryBound: 0
; FloatMode: 240
; IeeeMode: 1
; LDSByteSize: 0 bytes/workgroup (compile time only)
; SGPRBlocks: 0
; VGPRBlocks: 0
; NumSGPRsForWavesPerEU: 6
; NumVGPRsForWavesPerEU: 1
; AccumOffset: 4
; Occupancy: 8
; WaveLimiterHint : 0
; COMPUTE_PGM_RSRC2:SCRATCH_EN: 0
; COMPUTE_PGM_RSRC2:USER_SGPR: 2
; COMPUTE_PGM_RSRC2:TRAP_HANDLER: 0
; COMPUTE_PGM_RSRC2:TGID_X_EN: 1
; COMPUTE_PGM_RSRC2:TGID_Y_EN: 0
; COMPUTE_PGM_RSRC2:TGID_Z_EN: 0
; COMPUTE_PGM_RSRC2:TIDIG_COMP_CNT: 0
; COMPUTE_PGM_RSRC3_GFX90A:ACCUM_OFFSET: 0
; COMPUTE_PGM_RSRC3_GFX90A:TG_SPLIT: 0
	.section	.text._ZN7rocprim17ROCPRIM_400000_NS6detail17trampoline_kernelINS0_14default_configENS1_25partition_config_selectorILNS1_17partition_subalgoE9EllbEEZZNS1_14partition_implILS5_9ELb0ES3_jPlS8_PNS0_10empty_typeENS0_5tupleIJS8_S9_EEENSB_IJS8_SA_EEENS0_18inequality_wrapperIZN2at6native12_GLOBAL__N_124unique_dim_cuda_templateIN3c104HalfEEESt5tupleIJNSF_6TensorESM_SM_EERKSM_lbbbEUlllE0_EEPmJS9_EEE10hipError_tPvRmT3_T4_T5_T6_T7_T9_mT8_P12ihipStream_tbDpT10_ENKUlT_T0_E_clISt17integral_constantIbLb0EES1B_IbLb1EEEEDaS17_S18_EUlS17_E_NS1_11comp_targetILNS1_3genE0ELNS1_11target_archE4294967295ELNS1_3gpuE0ELNS1_3repE0EEENS1_30default_config_static_selectorELNS0_4arch9wavefront6targetE1EEEvT1_,"axG",@progbits,_ZN7rocprim17ROCPRIM_400000_NS6detail17trampoline_kernelINS0_14default_configENS1_25partition_config_selectorILNS1_17partition_subalgoE9EllbEEZZNS1_14partition_implILS5_9ELb0ES3_jPlS8_PNS0_10empty_typeENS0_5tupleIJS8_S9_EEENSB_IJS8_SA_EEENS0_18inequality_wrapperIZN2at6native12_GLOBAL__N_124unique_dim_cuda_templateIN3c104HalfEEESt5tupleIJNSF_6TensorESM_SM_EERKSM_lbbbEUlllE0_EEPmJS9_EEE10hipError_tPvRmT3_T4_T5_T6_T7_T9_mT8_P12ihipStream_tbDpT10_ENKUlT_T0_E_clISt17integral_constantIbLb0EES1B_IbLb1EEEEDaS17_S18_EUlS17_E_NS1_11comp_targetILNS1_3genE0ELNS1_11target_archE4294967295ELNS1_3gpuE0ELNS1_3repE0EEENS1_30default_config_static_selectorELNS0_4arch9wavefront6targetE1EEEvT1_,comdat
	.globl	_ZN7rocprim17ROCPRIM_400000_NS6detail17trampoline_kernelINS0_14default_configENS1_25partition_config_selectorILNS1_17partition_subalgoE9EllbEEZZNS1_14partition_implILS5_9ELb0ES3_jPlS8_PNS0_10empty_typeENS0_5tupleIJS8_S9_EEENSB_IJS8_SA_EEENS0_18inequality_wrapperIZN2at6native12_GLOBAL__N_124unique_dim_cuda_templateIN3c104HalfEEESt5tupleIJNSF_6TensorESM_SM_EERKSM_lbbbEUlllE0_EEPmJS9_EEE10hipError_tPvRmT3_T4_T5_T6_T7_T9_mT8_P12ihipStream_tbDpT10_ENKUlT_T0_E_clISt17integral_constantIbLb0EES1B_IbLb1EEEEDaS17_S18_EUlS17_E_NS1_11comp_targetILNS1_3genE0ELNS1_11target_archE4294967295ELNS1_3gpuE0ELNS1_3repE0EEENS1_30default_config_static_selectorELNS0_4arch9wavefront6targetE1EEEvT1_ ; -- Begin function _ZN7rocprim17ROCPRIM_400000_NS6detail17trampoline_kernelINS0_14default_configENS1_25partition_config_selectorILNS1_17partition_subalgoE9EllbEEZZNS1_14partition_implILS5_9ELb0ES3_jPlS8_PNS0_10empty_typeENS0_5tupleIJS8_S9_EEENSB_IJS8_SA_EEENS0_18inequality_wrapperIZN2at6native12_GLOBAL__N_124unique_dim_cuda_templateIN3c104HalfEEESt5tupleIJNSF_6TensorESM_SM_EERKSM_lbbbEUlllE0_EEPmJS9_EEE10hipError_tPvRmT3_T4_T5_T6_T7_T9_mT8_P12ihipStream_tbDpT10_ENKUlT_T0_E_clISt17integral_constantIbLb0EES1B_IbLb1EEEEDaS17_S18_EUlS17_E_NS1_11comp_targetILNS1_3genE0ELNS1_11target_archE4294967295ELNS1_3gpuE0ELNS1_3repE0EEENS1_30default_config_static_selectorELNS0_4arch9wavefront6targetE1EEEvT1_
	.p2align	8
	.type	_ZN7rocprim17ROCPRIM_400000_NS6detail17trampoline_kernelINS0_14default_configENS1_25partition_config_selectorILNS1_17partition_subalgoE9EllbEEZZNS1_14partition_implILS5_9ELb0ES3_jPlS8_PNS0_10empty_typeENS0_5tupleIJS8_S9_EEENSB_IJS8_SA_EEENS0_18inequality_wrapperIZN2at6native12_GLOBAL__N_124unique_dim_cuda_templateIN3c104HalfEEESt5tupleIJNSF_6TensorESM_SM_EERKSM_lbbbEUlllE0_EEPmJS9_EEE10hipError_tPvRmT3_T4_T5_T6_T7_T9_mT8_P12ihipStream_tbDpT10_ENKUlT_T0_E_clISt17integral_constantIbLb0EES1B_IbLb1EEEEDaS17_S18_EUlS17_E_NS1_11comp_targetILNS1_3genE0ELNS1_11target_archE4294967295ELNS1_3gpuE0ELNS1_3repE0EEENS1_30default_config_static_selectorELNS0_4arch9wavefront6targetE1EEEvT1_,@function
_ZN7rocprim17ROCPRIM_400000_NS6detail17trampoline_kernelINS0_14default_configENS1_25partition_config_selectorILNS1_17partition_subalgoE9EllbEEZZNS1_14partition_implILS5_9ELb0ES3_jPlS8_PNS0_10empty_typeENS0_5tupleIJS8_S9_EEENSB_IJS8_SA_EEENS0_18inequality_wrapperIZN2at6native12_GLOBAL__N_124unique_dim_cuda_templateIN3c104HalfEEESt5tupleIJNSF_6TensorESM_SM_EERKSM_lbbbEUlllE0_EEPmJS9_EEE10hipError_tPvRmT3_T4_T5_T6_T7_T9_mT8_P12ihipStream_tbDpT10_ENKUlT_T0_E_clISt17integral_constantIbLb0EES1B_IbLb1EEEEDaS17_S18_EUlS17_E_NS1_11comp_targetILNS1_3genE0ELNS1_11target_archE4294967295ELNS1_3gpuE0ELNS1_3repE0EEENS1_30default_config_static_selectorELNS0_4arch9wavefront6targetE1EEEvT1_: ; @_ZN7rocprim17ROCPRIM_400000_NS6detail17trampoline_kernelINS0_14default_configENS1_25partition_config_selectorILNS1_17partition_subalgoE9EllbEEZZNS1_14partition_implILS5_9ELb0ES3_jPlS8_PNS0_10empty_typeENS0_5tupleIJS8_S9_EEENSB_IJS8_SA_EEENS0_18inequality_wrapperIZN2at6native12_GLOBAL__N_124unique_dim_cuda_templateIN3c104HalfEEESt5tupleIJNSF_6TensorESM_SM_EERKSM_lbbbEUlllE0_EEPmJS9_EEE10hipError_tPvRmT3_T4_T5_T6_T7_T9_mT8_P12ihipStream_tbDpT10_ENKUlT_T0_E_clISt17integral_constantIbLb0EES1B_IbLb1EEEEDaS17_S18_EUlS17_E_NS1_11comp_targetILNS1_3genE0ELNS1_11target_archE4294967295ELNS1_3gpuE0ELNS1_3repE0EEENS1_30default_config_static_selectorELNS0_4arch9wavefront6targetE1EEEvT1_
; %bb.0:
	s_load_dwordx4 s[4:7], s[0:1], 0x8
	s_load_dwordx2 s[10:11], s[0:1], 0x18
	s_load_dwordx8 s[20:27], s[0:1], 0x40
	s_load_dwordx4 s[36:39], s[0:1], 0x60
	v_cmp_ne_u32_e64 s[2:3], 0, v0
	v_cmp_eq_u32_e64 s[18:19], 0, v0
	s_and_saveexec_b64 s[8:9], s[18:19]
	s_cbranch_execz .LBB1353_4
; %bb.1:
	s_mov_b64 s[14:15], exec
	v_mbcnt_lo_u32_b32 v1, s14, 0
	v_mbcnt_hi_u32_b32 v1, s15, v1
	v_cmp_eq_u32_e32 vcc, 0, v1
                                        ; implicit-def: $vgpr2
	s_and_saveexec_b64 s[12:13], vcc
	s_cbranch_execz .LBB1353_3
; %bb.2:
	s_load_dwordx2 s[16:17], s[0:1], 0x78
	s_bcnt1_i32_b64 s14, s[14:15]
	v_mov_b32_e32 v2, 0
	v_mov_b32_e32 v3, s14
	s_waitcnt lgkmcnt(0)
	global_atomic_add v2, v2, v3, s[16:17] sc0
.LBB1353_3:
	s_or_b64 exec, exec, s[12:13]
	s_waitcnt vmcnt(0)
	v_readfirstlane_b32 s12, v2
	v_mov_b32_e32 v2, 0
	s_nop 0
	v_add_u32_e32 v1, s12, v1
	ds_write_b32 v2, v1
.LBB1353_4:
	s_or_b64 exec, exec, s[8:9]
	v_mov_b32_e32 v3, 0
	s_load_dwordx4 s[28:31], s[0:1], 0x28
	s_load_dword s8, s[0:1], 0x70
	s_waitcnt lgkmcnt(0)
	s_barrier
	ds_read_b32 v1, v3
	s_waitcnt lgkmcnt(0)
	s_barrier
	global_load_dwordx2 v[4:5], v3, s[22:23]
	s_lshl_b64 s[12:13], s[6:7], 3
	s_mul_i32 s14, s8, 0x280
	s_add_u32 s16, s4, s12
	s_addc_u32 s17, s5, s13
	s_add_i32 s4, s14, s6
	s_sub_i32 s48, s24, s4
	s_add_i32 s15, s8, -1
	s_addk_i32 s48, 0x280
	s_add_u32 s4, s6, s14
	v_readfirstlane_b32 s33, v1
	s_addc_u32 s5, s7, 0
	v_mov_b64_e32 v[6:7], s[4:5]
	s_cmp_eq_u32 s33, s15
	s_mov_b32 s9, 0
	s_mul_i32 s8, s33, 0x280
	v_cmp_le_u64_e32 vcc, s[24:25], v[6:7]
	s_cselect_b64 s[24:25], -1, 0
	s_lshl_b64 s[14:15], s[8:9], 3
	s_and_b64 s[8:9], vcc, s[24:25]
	s_xor_b64 s[34:35], s[8:9], -1
	s_add_u32 s4, s16, s14
	s_mov_b64 s[0:1], -1
	v_lshlrev_b32_e32 v32, 3, v0
	s_addc_u32 s5, s17, s15
	s_and_b64 vcc, exec, s[34:35]
	s_waitcnt vmcnt(0)
	v_readfirstlane_b32 s22, v4
	v_readfirstlane_b32 s23, v5
	s_cbranch_vccz .LBB1353_6
; %bb.5:
	v_lshlrev_b32_e32 v2, 3, v0
	v_lshl_add_u64 v[4:5], s[4:5], 0, v[2:3]
	v_add_co_u32_e32 v4, vcc, 0x1000, v4
	global_load_dwordx2 v[6:7], v2, s[4:5] offset:3072
	s_nop 0
	v_addc_co_u32_e32 v5, vcc, 0, v5, vcc
	global_load_dwordx2 v[8:9], v2, s[4:5]
	global_load_dwordx2 v[10:11], v2, s[4:5] offset:1024
	global_load_dwordx2 v[12:13], v2, s[4:5] offset:2048
	global_load_dwordx2 v[14:15], v[4:5], off
	s_mov_b64 s[0:1], 0
	s_waitcnt vmcnt(2)
	ds_write2st64_b64 v2, v[8:9], v[10:11] offset1:2
	s_waitcnt vmcnt(1)
	ds_write2st64_b64 v2, v[12:13], v[6:7] offset0:4 offset1:6
	s_waitcnt vmcnt(0)
	ds_write_b64 v2, v[14:15] offset:4096
	s_waitcnt lgkmcnt(0)
	s_barrier
.LBB1353_6:
	s_andn2_b64 vcc, exec, s[0:1]
	v_cmp_gt_u32_e64 s[0:1], s48, v0
	s_cbranch_vccnz .LBB1353_18
; %bb.7:
	v_mov_b32_e32 v2, 0
	v_mov_b32_e32 v3, v2
	;; [unrolled: 1-line block ×10, first 2 shown]
	s_and_saveexec_b64 s[16:17], s[0:1]
	s_cbranch_execz .LBB1353_9
; %bb.8:
	v_lshlrev_b32_e32 v1, 3, v0
	global_load_dwordx2 v[4:5], v1, s[4:5]
	v_mov_b32_e32 v6, v2
	v_mov_b32_e32 v7, v2
	;; [unrolled: 1-line block ×8, first 2 shown]
	s_waitcnt vmcnt(0)
	v_mov_b64_e32 v[2:3], v[4:5]
	v_mov_b64_e32 v[4:5], v[6:7]
	;; [unrolled: 1-line block ×8, first 2 shown]
.LBB1353_9:
	s_or_b64 exec, exec, s[16:17]
	v_or_b32_e32 v1, 0x80, v0
	v_cmp_gt_u32_e32 vcc, s48, v1
	s_and_saveexec_b64 s[0:1], vcc
	s_cbranch_execz .LBB1353_11
; %bb.10:
	v_lshlrev_b32_e32 v1, 3, v0
	global_load_dwordx2 v[4:5], v1, s[4:5] offset:1024
.LBB1353_11:
	s_or_b64 exec, exec, s[0:1]
	v_or_b32_e32 v1, 0x100, v0
	v_cmp_gt_u32_e32 vcc, s48, v1
	s_and_saveexec_b64 s[0:1], vcc
	s_cbranch_execz .LBB1353_13
; %bb.12:
	v_lshlrev_b32_e32 v1, 3, v0
	global_load_dwordx2 v[6:7], v1, s[4:5] offset:2048
.LBB1353_13:
	;; [unrolled: 9-line block ×3, first 2 shown]
	s_or_b64 exec, exec, s[0:1]
	v_or_b32_e32 v1, 0x200, v0
	v_cmp_gt_u32_e32 vcc, s48, v1
	s_and_saveexec_b64 s[0:1], vcc
	s_cbranch_execz .LBB1353_17
; %bb.16:
	v_lshlrev_b32_e32 v1, 3, v1
	global_load_dwordx2 v[10:11], v1, s[4:5]
.LBB1353_17:
	s_or_b64 exec, exec, s[0:1]
	v_lshlrev_b32_e32 v1, 3, v0
	s_waitcnt vmcnt(0)
	ds_write2st64_b64 v1, v[2:3], v[4:5] offset1:2
	ds_write2st64_b64 v1, v[6:7], v[8:9] offset0:4 offset1:6
	ds_write_b64 v1, v[10:11] offset:4096
	s_waitcnt lgkmcnt(0)
	s_barrier
.LBB1353_18:
	v_mul_u32_u24_e32 v1, 5, v0
	v_lshlrev_b32_e32 v22, 3, v1
	ds_read2_b64 v[6:9], v22 offset1:1
	ds_read2_b64 v[2:5], v22 offset0:2 offset1:3
	ds_read_b64 v[12:13], v22 offset:32
	s_add_u32 s0, s10, s12
	s_addc_u32 s1, s11, s13
	s_add_u32 s0, s0, s14
	s_addc_u32 s1, s1, s15
	s_mov_b64 s[10:11], -1
	s_and_b64 vcc, exec, s[34:35]
	s_waitcnt lgkmcnt(0)
	s_barrier
	s_cbranch_vccz .LBB1353_20
; %bb.19:
	v_lshlrev_b32_e32 v10, 3, v0
	v_mov_b32_e32 v11, 0
	v_lshl_add_u64 v[14:15], s[0:1], 0, v[10:11]
	v_add_co_u32_e32 v14, vcc, 0x1000, v14
	global_load_dwordx2 v[16:17], v10, s[0:1] offset:3072
	s_nop 0
	v_addc_co_u32_e32 v15, vcc, 0, v15, vcc
	global_load_dwordx2 v[18:19], v10, s[0:1]
	global_load_dwordx2 v[20:21], v10, s[0:1] offset:1024
	global_load_dwordx2 v[24:25], v10, s[0:1] offset:2048
	global_load_dwordx2 v[26:27], v[14:15], off
	s_mov_b64 s[10:11], 0
	s_waitcnt vmcnt(2)
	ds_write2st64_b64 v10, v[18:19], v[20:21] offset1:2
	s_waitcnt vmcnt(1)
	ds_write2st64_b64 v10, v[24:25], v[16:17] offset0:4 offset1:6
	s_waitcnt vmcnt(0)
	ds_write_b64 v10, v[26:27] offset:4096
	s_waitcnt lgkmcnt(0)
	s_barrier
.LBB1353_20:
	s_andn2_b64 vcc, exec, s[10:11]
	s_cbranch_vccnz .LBB1353_32
; %bb.21:
	v_cmp_gt_u32_e32 vcc, s48, v0
                                        ; implicit-def: $vgpr10_vgpr11
	s_and_saveexec_b64 s[10:11], vcc
	s_cbranch_execz .LBB1353_23
; %bb.22:
	v_lshlrev_b32_e32 v10, 3, v0
	global_load_dwordx2 v[10:11], v10, s[0:1]
.LBB1353_23:
	s_or_b64 exec, exec, s[10:11]
	v_or_b32_e32 v14, 0x80, v0
	v_cmp_gt_u32_e32 vcc, s48, v14
                                        ; implicit-def: $vgpr14_vgpr15
	s_and_saveexec_b64 s[10:11], vcc
	s_cbranch_execz .LBB1353_25
; %bb.24:
	v_lshlrev_b32_e32 v14, 3, v0
	global_load_dwordx2 v[14:15], v14, s[0:1] offset:1024
.LBB1353_25:
	s_or_b64 exec, exec, s[10:11]
	v_or_b32_e32 v16, 0x100, v0
	v_cmp_gt_u32_e32 vcc, s48, v16
                                        ; implicit-def: $vgpr16_vgpr17
	s_and_saveexec_b64 s[10:11], vcc
	s_cbranch_execz .LBB1353_27
; %bb.26:
	v_lshlrev_b32_e32 v16, 3, v0
	global_load_dwordx2 v[16:17], v16, s[0:1] offset:2048
.LBB1353_27:
	s_or_b64 exec, exec, s[10:11]
	v_or_b32_e32 v18, 0x180, v0
	v_cmp_gt_u32_e32 vcc, s48, v18
                                        ; implicit-def: $vgpr18_vgpr19
	s_and_saveexec_b64 s[10:11], vcc
	s_cbranch_execz .LBB1353_29
; %bb.28:
	v_lshlrev_b32_e32 v18, 3, v0
	global_load_dwordx2 v[18:19], v18, s[0:1] offset:3072
.LBB1353_29:
	s_or_b64 exec, exec, s[10:11]
	v_or_b32_e32 v20, 0x200, v0
	v_cmp_gt_u32_e32 vcc, s48, v20
                                        ; implicit-def: $vgpr24_vgpr25
	s_and_saveexec_b64 s[10:11], vcc
	s_cbranch_execz .LBB1353_31
; %bb.30:
	v_lshlrev_b32_e32 v20, 3, v20
	global_load_dwordx2 v[24:25], v20, s[0:1]
.LBB1353_31:
	s_or_b64 exec, exec, s[10:11]
	v_lshlrev_b32_e32 v20, 5, v0
	v_sub_u32_e32 v20, v22, v20
	s_waitcnt vmcnt(0)
	ds_write2st64_b64 v20, v[10:11], v[14:15] offset1:2
	ds_write2st64_b64 v20, v[16:17], v[18:19] offset0:4 offset1:6
	ds_write_b64 v20, v[24:25] offset:4096
	s_waitcnt lgkmcnt(0)
	s_barrier
.LBB1353_32:
	ds_read_b64 v[10:11], v22 offset:32
	ds_read2_b64 v[52:55], v22 offset0:2 offset1:3
	ds_read2_b64 v[56:59], v22 offset1:1
	s_cmp_lg_u32 s33, 0
	s_cselect_b64 s[16:17], -1, 0
	s_cmp_lg_u64 s[6:7], 0
	s_cselect_b64 s[0:1], -1, 0
	s_or_b64 s[0:1], s[0:1], s[16:17]
	s_mov_b64 s[10:11], 0
	s_and_b64 vcc, exec, s[0:1]
	v_cmp_gt_i64_e64 s[6:7], s[26:27], 0
	s_waitcnt lgkmcnt(0)
	s_barrier
	s_cbranch_vccz .LBB1353_51
; %bb.33:
	v_mov_b32_e32 v18, 0
	global_load_dwordx2 v[14:15], v18, s[4:5] offset:-8
	v_cndmask_b32_e64 v16, 0, 1, s[6:7]
	v_lshlrev_b32_e32 v23, 3, v0
	s_mov_b64 s[0:1], 0
	s_and_b64 vcc, exec, s[34:35]
	v_cmp_ne_u32_e64 s[4:5], 1, v16
	ds_write_b64 v23, v[12:13]
	s_cbranch_vccz .LBB1353_53
; %bb.34:
	s_and_b64 vcc, exec, s[4:5]
	v_mov_b32_e32 v33, 0
	s_cbranch_vccnz .LBB1353_44
; %bb.35:
	v_mul_lo_u32 v18, v5, s26
	v_mul_lo_u32 v19, v4, s27
	v_mad_u64_u32 v[16:17], s[0:1], v4, s26, 0
	v_add3_u32 v17, v17, v19, v18
	v_mul_lo_u32 v20, v13, s26
	v_mul_lo_u32 v21, v12, s27
	v_mad_u64_u32 v[18:19], s[0:1], v12, s26, 0
	s_add_u32 s10, s26, -1
	v_lshl_add_u64 v[16:17], v[16:17], 1, s[36:37]
	v_add3_u32 v19, v19, v21, v20
	s_addc_u32 s11, s27, -1
	v_lshl_add_u64 v[18:19], v[18:19], 1, s[36:37]
	s_mov_b64 s[12:13], 0
	s_mov_b64 s[14:15], s[10:11]
	v_mov_b64_e32 v[20:21], v[16:17]
                                        ; implicit-def: $sgpr6_sgpr7
.LBB1353_36:                            ; =>This Inner Loop Header: Depth=1
	global_load_ushort v24, v[20:21], off
	global_load_ushort v25, v[18:19], off
	s_add_u32 s0, s14, -1
	s_addc_u32 s1, s15, -1
	s_cmp_eq_u64 s[14:15], 0
	s_mov_b64 s[14:15], s[0:1]
	s_cselect_b64 s[40:41], -1, 0
	v_lshl_add_u64 v[20:21], v[20:21], 0, 2
	v_lshl_add_u64 v[18:19], v[18:19], 0, 2
	s_waitcnt vmcnt(0)
	v_cmp_neq_f16_e64 s[0:1], v24, v25
	s_or_b64 s[0:1], s[0:1], s[40:41]
	s_and_b64 s[0:1], exec, s[0:1]
	v_cmp_eq_f16_e32 vcc, v24, v25
	s_or_b64 s[12:13], s[0:1], s[12:13]
	s_andn2_b64 s[0:1], s[6:7], exec
	s_and_b64 s[6:7], vcc, exec
	s_or_b64 s[6:7], s[0:1], s[6:7]
	s_andn2_b64 exec, exec, s[12:13]
	s_cbranch_execnz .LBB1353_36
; %bb.37:
	s_or_b64 exec, exec, s[12:13]
	v_mul_lo_u32 v20, v3, s26
	v_mul_lo_u32 v21, v2, s27
	v_mad_u64_u32 v[18:19], s[0:1], v2, s26, 0
	v_add3_u32 v19, v19, v21, v20
	v_lshl_add_u64 v[18:19], v[18:19], 1, s[36:37]
	s_mov_b64 s[14:15], 0
	s_mov_b64 s[40:41], s[10:11]
	v_mov_b64_e32 v[20:21], v[18:19]
                                        ; implicit-def: $sgpr12_sgpr13
.LBB1353_38:                            ; =>This Inner Loop Header: Depth=1
	global_load_ushort v24, v[20:21], off
	global_load_ushort v25, v[16:17], off
	s_add_u32 s0, s40, -1
	s_addc_u32 s1, s41, -1
	s_cmp_eq_u64 s[40:41], 0
	s_mov_b64 s[40:41], s[0:1]
	s_cselect_b64 s[42:43], -1, 0
	v_lshl_add_u64 v[20:21], v[20:21], 0, 2
	v_lshl_add_u64 v[16:17], v[16:17], 0, 2
	s_waitcnt vmcnt(0)
	v_cmp_neq_f16_e64 s[0:1], v24, v25
	s_or_b64 s[0:1], s[0:1], s[42:43]
	s_and_b64 s[0:1], exec, s[0:1]
	v_cmp_eq_f16_e32 vcc, v24, v25
	s_or_b64 s[14:15], s[0:1], s[14:15]
	s_andn2_b64 s[0:1], s[12:13], exec
	s_and_b64 s[12:13], vcc, exec
	s_or_b64 s[12:13], s[0:1], s[12:13]
	s_andn2_b64 exec, exec, s[14:15]
	s_cbranch_execnz .LBB1353_38
; %bb.39:
	s_or_b64 exec, exec, s[14:15]
	v_mul_lo_u32 v20, v9, s26
	v_mul_lo_u32 v21, v8, s27
	v_mad_u64_u32 v[16:17], s[0:1], v8, s26, 0
	v_add3_u32 v17, v17, v21, v20
	v_lshl_add_u64 v[16:17], v[16:17], 1, s[36:37]
	s_mov_b64 s[40:41], 0
	s_mov_b64 s[42:43], s[10:11]
	v_mov_b64_e32 v[20:21], v[16:17]
                                        ; implicit-def: $sgpr14_sgpr15
.LBB1353_40:                            ; =>This Inner Loop Header: Depth=1
	global_load_ushort v24, v[20:21], off
	global_load_ushort v25, v[18:19], off
	s_add_u32 s0, s42, -1
	s_addc_u32 s1, s43, -1
	s_cmp_eq_u64 s[42:43], 0
	s_mov_b64 s[42:43], s[0:1]
	s_cselect_b64 s[44:45], -1, 0
	v_lshl_add_u64 v[20:21], v[20:21], 0, 2
	v_lshl_add_u64 v[18:19], v[18:19], 0, 2
	s_waitcnt vmcnt(0)
	v_cmp_neq_f16_e64 s[0:1], v24, v25
	s_or_b64 s[0:1], s[0:1], s[44:45]
	s_and_b64 s[0:1], exec, s[0:1]
	v_cmp_eq_f16_e32 vcc, v24, v25
	s_or_b64 s[40:41], s[0:1], s[40:41]
	s_andn2_b64 s[0:1], s[14:15], exec
	s_and_b64 s[14:15], vcc, exec
	s_or_b64 s[14:15], s[0:1], s[14:15]
	s_andn2_b64 exec, exec, s[40:41]
	s_cbranch_execnz .LBB1353_40
; %bb.41:
	s_or_b64 exec, exec, s[40:41]
	v_mul_lo_u32 v20, v7, s26
	v_mul_lo_u32 v21, v6, s27
	v_mad_u64_u32 v[18:19], s[0:1], v6, s26, 0
	v_add3_u32 v19, v19, v21, v20
	v_lshl_add_u64 v[18:19], v[18:19], 1, s[36:37]
	s_mov_b64 s[42:43], 0
                                        ; implicit-def: $sgpr40_sgpr41
.LBB1353_42:                            ; =>This Inner Loop Header: Depth=1
	global_load_ushort v20, v[18:19], off
	global_load_ushort v21, v[16:17], off
	s_add_u32 s0, s10, -1
	s_addc_u32 s1, s11, -1
	s_cmp_eq_u64 s[10:11], 0
	s_mov_b64 s[10:11], s[0:1]
	s_cselect_b64 s[44:45], -1, 0
	v_lshl_add_u64 v[18:19], v[18:19], 0, 2
	v_lshl_add_u64 v[16:17], v[16:17], 0, 2
	s_waitcnt vmcnt(0)
	v_cmp_neq_f16_e64 s[0:1], v20, v21
	s_or_b64 s[0:1], s[0:1], s[44:45]
	s_and_b64 s[0:1], exec, s[0:1]
	v_cmp_eq_f16_e32 vcc, v20, v21
	s_or_b64 s[42:43], s[0:1], s[42:43]
	s_andn2_b64 s[0:1], s[40:41], exec
	s_and_b64 s[40:41], vcc, exec
	s_or_b64 s[40:41], s[0:1], s[40:41]
	s_andn2_b64 exec, exec, s[42:43]
	s_cbranch_execnz .LBB1353_42
; %bb.43:
	s_or_b64 exec, exec, s[42:43]
	s_xor_b64 s[0:1], s[6:7], -1
	v_cndmask_b32_e64 v33, 0, 1, s[0:1]
	s_xor_b64 s[0:1], s[12:13], -1
	v_cndmask_b32_e64 v16, 0, 1, s[0:1]
	v_lshlrev_b16_e32 v16, 8, v16
	v_mov_b32_e32 v17, 8
	s_xor_b64 s[6:7], s[14:15], -1
	v_lshrrev_b32_sdwa v16, v17, v16 dst_sel:BYTE_1 dst_unused:UNUSED_PAD src0_sel:DWORD src1_sel:DWORD
	v_cndmask_b32_e64 v17, 0, 1, s[6:7]
	s_xor_b64 s[0:1], s[40:41], -1
	v_or_b32_sdwa v18, v17, v16 dst_sel:WORD_1 dst_unused:UNUSED_PAD src0_sel:DWORD src1_sel:DWORD
.LBB1353_44:
	s_waitcnt vmcnt(0)
	v_mov_b64_e32 v[16:17], v[14:15]
	s_waitcnt lgkmcnt(0)
	s_barrier
	s_and_saveexec_b64 s[6:7], s[2:3]
; %bb.45:
	v_add_u32_e32 v16, -8, v23
	ds_read_b64 v[16:17], v16
; %bb.46:
	s_or_b64 exec, exec, s[6:7]
	v_cndmask_b32_e64 v19, 0, 1, s[0:1]
	v_lshrrev_b32_e32 v20, 16, v18
	s_mov_b32 s0, 0xc0c0304
	v_perm_b32 v20, v20, v18, s0
	v_lshlrev_b16_e32 v19, 8, v19
	s_movk_i32 s0, 0xff
	v_bitop3_b16 v18, v18, v19, s0 bitop3:0xec
	v_and_b32_e32 v21, 0xffff, v18
	s_mov_b64 s[6:7], 0
	s_and_b64 vcc, exec, s[4:5]
	s_mov_b64 s[0:1], 0
	s_cbranch_vccnz .LBB1353_50
; %bb.47:
	s_waitcnt lgkmcnt(0)
	v_mul_lo_u32 v18, v17, s26
	v_mul_lo_u32 v19, v16, s27
	v_mad_u64_u32 v[16:17], s[0:1], v16, s26, 0
	v_add3_u32 v17, v17, v19, v18
	v_mul_lo_u32 v24, v7, s26
	v_mul_lo_u32 v25, v6, s27
	v_mad_u64_u32 v[18:19], s[0:1], v6, s26, 0
	v_add3_u32 v19, v19, v25, v24
	s_add_u32 s14, s26, -1
	v_lshl_add_u64 v[16:17], v[16:17], 1, s[36:37]
	v_lshl_add_u64 v[18:19], v[18:19], 1, s[36:37]
	s_addc_u32 s15, s27, -1
	s_mov_b64 s[10:11], 0
                                        ; implicit-def: $sgpr12_sgpr13
.LBB1353_48:                            ; =>This Inner Loop Header: Depth=1
	global_load_ushort v24, v[16:17], off
	global_load_ushort v25, v[18:19], off
	s_add_u32 s0, s14, -1
	s_addc_u32 s1, s15, -1
	s_cmp_eq_u64 s[14:15], 0
	s_mov_b64 s[14:15], s[0:1]
	s_cselect_b64 s[40:41], -1, 0
	v_lshl_add_u64 v[16:17], v[16:17], 0, 2
	v_lshl_add_u64 v[18:19], v[18:19], 0, 2
	s_waitcnt vmcnt(0)
	v_cmp_neq_f16_e64 s[0:1], v24, v25
	s_or_b64 s[0:1], s[0:1], s[40:41]
	s_and_b64 s[0:1], exec, s[0:1]
	v_cmp_eq_f16_e32 vcc, v24, v25
	s_or_b64 s[10:11], s[0:1], s[10:11]
	s_andn2_b64 s[0:1], s[12:13], exec
	s_and_b64 s[12:13], vcc, exec
	s_or_b64 s[12:13], s[0:1], s[12:13]
	s_andn2_b64 exec, exec, s[10:11]
	s_cbranch_execnz .LBB1353_48
; %bb.49:
	s_or_b64 exec, exec, s[10:11]
	s_xor_b64 s[0:1], s[12:13], -1
.LBB1353_50:
	s_waitcnt lgkmcnt(0)
	v_lshl_or_b32 v17, v20, 16, v21
	s_and_b64 vcc, exec, s[6:7]
	s_cbranch_vccnz .LBB1353_54
	s_branch .LBB1353_87
.LBB1353_51:
                                        ; implicit-def: $sgpr0_sgpr1
                                        ; implicit-def: $vgpr33
                                        ; implicit-def: $vgpr17
	s_branch .LBB1353_88
.LBB1353_52:
                                        ; implicit-def: $vgpr16
                                        ; implicit-def: $vgpr35
                                        ; implicit-def: $vgpr34
                                        ; implicit-def: $vgpr14
	s_branch .LBB1353_141
.LBB1353_53:
                                        ; implicit-def: $sgpr0_sgpr1
                                        ; implicit-def: $vgpr33
                                        ; implicit-def: $vgpr17
	s_cbranch_execz .LBB1353_87
.LBB1353_54:
	v_add_u32_e32 v16, 4, v1
	v_cmp_gt_u32_e32 vcc, s48, v16
	s_mov_b64 s[10:11], 0
	s_mov_b64 s[6:7], 0
	s_and_saveexec_b64 s[12:13], vcc
	s_cbranch_execz .LBB1353_60
; %bb.55:
	s_and_b64 vcc, exec, s[4:5]
	s_mov_b64 s[0:1], 0
	s_cbranch_vccnz .LBB1353_59
; %bb.56:
	v_mul_lo_u32 v18, v5, s26
	v_mul_lo_u32 v19, v4, s27
	v_mad_u64_u32 v[16:17], s[0:1], v4, s26, 0
	v_add3_u32 v17, v17, v19, v18
	v_mul_lo_u32 v20, v13, s26
	v_mul_lo_u32 v21, v12, s27
	v_mad_u64_u32 v[18:19], s[0:1], v12, s26, 0
	v_add3_u32 v19, v19, v21, v20
	s_add_u32 s40, s26, -1
	v_lshl_add_u64 v[16:17], v[16:17], 1, s[36:37]
	v_lshl_add_u64 v[18:19], v[18:19], 1, s[36:37]
	s_addc_u32 s41, s27, -1
                                        ; implicit-def: $sgpr14_sgpr15
.LBB1353_57:                            ; =>This Inner Loop Header: Depth=1
	global_load_ushort v20, v[16:17], off
	global_load_ushort v21, v[18:19], off
	s_add_u32 s0, s40, -1
	s_addc_u32 s1, s41, -1
	s_cmp_eq_u64 s[40:41], 0
	s_mov_b64 s[40:41], s[0:1]
	s_cselect_b64 s[42:43], -1, 0
	v_lshl_add_u64 v[16:17], v[16:17], 0, 2
	v_lshl_add_u64 v[18:19], v[18:19], 0, 2
	s_waitcnt vmcnt(0)
	v_cmp_neq_f16_e64 s[0:1], v20, v21
	s_or_b64 s[0:1], s[0:1], s[42:43]
	s_and_b64 s[0:1], exec, s[0:1]
	v_cmp_eq_f16_e32 vcc, v20, v21
	s_or_b64 s[6:7], s[0:1], s[6:7]
	s_andn2_b64 s[0:1], s[14:15], exec
	s_and_b64 s[14:15], vcc, exec
	s_or_b64 s[14:15], s[0:1], s[14:15]
	s_andn2_b64 exec, exec, s[6:7]
	s_cbranch_execnz .LBB1353_57
; %bb.58:
	s_or_b64 exec, exec, s[6:7]
	s_xor_b64 s[0:1], s[14:15], -1
.LBB1353_59:
	s_and_b64 s[6:7], s[0:1], exec
.LBB1353_60:
	s_or_b64 exec, exec, s[12:13]
	v_add_u32_e32 v16, 3, v1
	v_cmp_gt_u32_e32 vcc, s48, v16
	s_and_saveexec_b64 s[12:13], vcc
	s_cbranch_execz .LBB1353_66
; %bb.61:
	s_and_b64 vcc, exec, s[4:5]
	s_mov_b64 s[0:1], 0
	s_cbranch_vccnz .LBB1353_65
; %bb.62:
	v_mul_lo_u32 v18, v3, s26
	v_mul_lo_u32 v19, v2, s27
	v_mad_u64_u32 v[16:17], s[0:1], v2, s26, 0
	v_add3_u32 v17, v17, v19, v18
	v_mul_lo_u32 v20, v5, s26
	v_mul_lo_u32 v21, v4, s27
	v_mad_u64_u32 v[18:19], s[0:1], v4, s26, 0
	v_add3_u32 v19, v19, v21, v20
	s_add_u32 s40, s26, -1
	v_lshl_add_u64 v[16:17], v[16:17], 1, s[36:37]
	v_lshl_add_u64 v[18:19], v[18:19], 1, s[36:37]
	s_addc_u32 s41, s27, -1
	s_mov_b64 s[10:11], 0
                                        ; implicit-def: $sgpr14_sgpr15
.LBB1353_63:                            ; =>This Inner Loop Header: Depth=1
	global_load_ushort v20, v[16:17], off
	global_load_ushort v21, v[18:19], off
	s_add_u32 s0, s40, -1
	s_addc_u32 s1, s41, -1
	s_cmp_eq_u64 s[40:41], 0
	s_mov_b64 s[40:41], s[0:1]
	s_cselect_b64 s[42:43], -1, 0
	v_lshl_add_u64 v[16:17], v[16:17], 0, 2
	v_lshl_add_u64 v[18:19], v[18:19], 0, 2
	s_waitcnt vmcnt(0)
	v_cmp_neq_f16_e64 s[0:1], v20, v21
	s_or_b64 s[0:1], s[0:1], s[42:43]
	s_and_b64 s[0:1], exec, s[0:1]
	v_cmp_eq_f16_e32 vcc, v20, v21
	s_or_b64 s[10:11], s[0:1], s[10:11]
	s_andn2_b64 s[0:1], s[14:15], exec
	s_and_b64 s[14:15], vcc, exec
	s_or_b64 s[14:15], s[0:1], s[14:15]
	s_andn2_b64 exec, exec, s[10:11]
	s_cbranch_execnz .LBB1353_63
; %bb.64:
	s_or_b64 exec, exec, s[10:11]
	s_xor_b64 s[0:1], s[14:15], -1
.LBB1353_65:
	s_and_b64 s[10:11], s[0:1], exec
.LBB1353_66:
	s_or_b64 exec, exec, s[12:13]
	v_add_u32_e32 v16, 2, v1
	v_cmp_gt_u32_e32 vcc, s48, v16
	s_mov_b64 s[12:13], 0
	s_mov_b64 s[14:15], 0
	s_and_saveexec_b64 s[40:41], vcc
	s_cbranch_execz .LBB1353_72
; %bb.67:
	s_and_b64 vcc, exec, s[4:5]
	s_mov_b64 s[0:1], 0
	s_cbranch_vccnz .LBB1353_71
; %bb.68:
	v_mul_lo_u32 v18, v9, s26
	v_mul_lo_u32 v19, v8, s27
	v_mad_u64_u32 v[16:17], s[0:1], v8, s26, 0
	v_add3_u32 v17, v17, v19, v18
	v_mul_lo_u32 v20, v3, s26
	v_mul_lo_u32 v21, v2, s27
	v_mad_u64_u32 v[18:19], s[0:1], v2, s26, 0
	v_add3_u32 v19, v19, v21, v20
	s_add_u32 s44, s26, -1
	v_lshl_add_u64 v[16:17], v[16:17], 1, s[36:37]
	v_lshl_add_u64 v[18:19], v[18:19], 1, s[36:37]
	s_addc_u32 s45, s27, -1
                                        ; implicit-def: $sgpr42_sgpr43
.LBB1353_69:                            ; =>This Inner Loop Header: Depth=1
	global_load_ushort v20, v[16:17], off
	global_load_ushort v21, v[18:19], off
	s_add_u32 s0, s44, -1
	s_addc_u32 s1, s45, -1
	s_cmp_eq_u64 s[44:45], 0
	s_mov_b64 s[44:45], s[0:1]
	s_cselect_b64 s[46:47], -1, 0
	v_lshl_add_u64 v[16:17], v[16:17], 0, 2
	v_lshl_add_u64 v[18:19], v[18:19], 0, 2
	s_waitcnt vmcnt(0)
	v_cmp_neq_f16_e64 s[0:1], v20, v21
	s_or_b64 s[0:1], s[0:1], s[46:47]
	s_and_b64 s[0:1], exec, s[0:1]
	v_cmp_eq_f16_e32 vcc, v20, v21
	s_or_b64 s[14:15], s[0:1], s[14:15]
	s_andn2_b64 s[0:1], s[42:43], exec
	s_and_b64 s[42:43], vcc, exec
	s_or_b64 s[42:43], s[0:1], s[42:43]
	s_andn2_b64 exec, exec, s[14:15]
	s_cbranch_execnz .LBB1353_69
; %bb.70:
	s_or_b64 exec, exec, s[14:15]
	s_xor_b64 s[0:1], s[42:43], -1
.LBB1353_71:
	s_and_b64 s[14:15], s[0:1], exec
.LBB1353_72:
	s_or_b64 exec, exec, s[40:41]
	v_add_u32_e32 v16, 1, v1
	v_cmp_gt_u32_e32 vcc, s48, v16
	s_and_saveexec_b64 s[40:41], vcc
	s_cbranch_execz .LBB1353_78
; %bb.73:
	s_and_b64 vcc, exec, s[4:5]
	s_mov_b64 s[0:1], 0
	s_cbranch_vccnz .LBB1353_77
; %bb.74:
	v_mul_lo_u32 v18, v7, s26
	v_mul_lo_u32 v19, v6, s27
	v_mad_u64_u32 v[16:17], s[0:1], v6, s26, 0
	v_add3_u32 v17, v17, v19, v18
	v_mul_lo_u32 v20, v9, s26
	v_mul_lo_u32 v21, v8, s27
	v_mad_u64_u32 v[18:19], s[0:1], v8, s26, 0
	v_add3_u32 v19, v19, v21, v20
	s_add_u32 s44, s26, -1
	v_lshl_add_u64 v[16:17], v[16:17], 1, s[36:37]
	v_lshl_add_u64 v[18:19], v[18:19], 1, s[36:37]
	s_addc_u32 s45, s27, -1
	s_mov_b64 s[12:13], 0
                                        ; implicit-def: $sgpr42_sgpr43
.LBB1353_75:                            ; =>This Inner Loop Header: Depth=1
	global_load_ushort v20, v[16:17], off
	global_load_ushort v21, v[18:19], off
	s_add_u32 s0, s44, -1
	s_addc_u32 s1, s45, -1
	s_cmp_eq_u64 s[44:45], 0
	s_mov_b64 s[44:45], s[0:1]
	s_cselect_b64 s[46:47], -1, 0
	v_lshl_add_u64 v[16:17], v[16:17], 0, 2
	v_lshl_add_u64 v[18:19], v[18:19], 0, 2
	s_waitcnt vmcnt(0)
	v_cmp_neq_f16_e64 s[0:1], v20, v21
	s_or_b64 s[0:1], s[0:1], s[46:47]
	s_and_b64 s[0:1], exec, s[0:1]
	v_cmp_eq_f16_e32 vcc, v20, v21
	s_or_b64 s[12:13], s[0:1], s[12:13]
	s_andn2_b64 s[0:1], s[42:43], exec
	s_and_b64 s[42:43], vcc, exec
	s_or_b64 s[42:43], s[0:1], s[42:43]
	s_andn2_b64 exec, exec, s[12:13]
	s_cbranch_execnz .LBB1353_75
; %bb.76:
	s_or_b64 exec, exec, s[12:13]
	s_xor_b64 s[0:1], s[42:43], -1
.LBB1353_77:
	s_and_b64 s[12:13], s[0:1], exec
.LBB1353_78:
	s_or_b64 exec, exec, s[40:41]
	s_waitcnt lgkmcnt(0)
	s_barrier
	s_and_saveexec_b64 s[0:1], s[2:3]
	s_cbranch_execz .LBB1353_80
; %bb.79:
	s_waitcnt vmcnt(0)
	v_add_u32_e32 v14, -8, v23
	ds_read_b64 v[14:15], v14
.LBB1353_80:
	s_or_b64 exec, exec, s[0:1]
	v_cndmask_b32_e64 v17, 0, 1, s[10:11]
	v_cndmask_b32_e64 v16, 0, 1, s[14:15]
	;; [unrolled: 1-line block ×3, first 2 shown]
	v_lshlrev_b16_e32 v17, 8, v17
	v_cmp_gt_u32_e32 vcc, s48, v1
	v_lshlrev_b16_e32 v18, 8, v18
	v_or_b32_sdwa v19, v16, v17 dst_sel:WORD_1 dst_unused:UNUSED_PAD src0_sel:DWORD src1_sel:DWORD
	s_mov_b64 s[0:1], 0
	s_and_saveexec_b64 s[10:11], vcc
	s_cbranch_execz .LBB1353_86
; %bb.81:
	s_and_b64 vcc, exec, s[4:5]
	s_cbranch_vccnz .LBB1353_85
; %bb.82:
	s_waitcnt vmcnt(0) lgkmcnt(0)
	v_mul_lo_u32 v16, v15, s26
	v_mul_lo_u32 v17, v14, s27
	v_mad_u64_u32 v[14:15], s[0:1], v14, s26, 0
	v_add3_u32 v15, v15, v17, v16
	v_mul_lo_u32 v20, v7, s26
	v_mul_lo_u32 v21, v6, s27
	v_mad_u64_u32 v[16:17], s[0:1], v6, s26, 0
	v_add3_u32 v17, v17, v21, v20
	s_add_u32 s14, s26, -1
	v_lshl_add_u64 v[14:15], v[14:15], 1, s[36:37]
	v_lshl_add_u64 v[16:17], v[16:17], 1, s[36:37]
	s_addc_u32 s15, s27, -1
	s_mov_b64 s[4:5], 0
                                        ; implicit-def: $sgpr12_sgpr13
.LBB1353_83:                            ; =>This Inner Loop Header: Depth=1
	global_load_ushort v20, v[14:15], off
	global_load_ushort v21, v[16:17], off
	s_add_u32 s0, s14, -1
	s_addc_u32 s1, s15, -1
	s_cmp_eq_u64 s[14:15], 0
	s_mov_b64 s[14:15], s[0:1]
	s_cselect_b64 s[40:41], -1, 0
	v_lshl_add_u64 v[14:15], v[14:15], 0, 2
	v_lshl_add_u64 v[16:17], v[16:17], 0, 2
	s_waitcnt vmcnt(0)
	v_cmp_neq_f16_e64 s[0:1], v20, v21
	s_or_b64 s[0:1], s[0:1], s[40:41]
	s_and_b64 s[0:1], exec, s[0:1]
	v_cmp_eq_f16_e32 vcc, v20, v21
	s_or_b64 s[4:5], s[0:1], s[4:5]
	s_andn2_b64 s[0:1], s[12:13], exec
	s_and_b64 s[12:13], vcc, exec
	s_or_b64 s[12:13], s[0:1], s[12:13]
	s_andn2_b64 exec, exec, s[4:5]
	s_cbranch_execnz .LBB1353_83
; %bb.84:
	s_or_b64 exec, exec, s[4:5]
	s_xor_b64 s[0:1], s[12:13], -1
.LBB1353_85:
	s_and_b64 s[0:1], s[0:1], exec
.LBB1353_86:
	s_or_b64 exec, exec, s[10:11]
	v_cndmask_b32_e64 v33, 0, 1, s[6:7]
	v_or_b32_e32 v17, v18, v19
.LBB1353_87:
	s_mov_b64 s[10:11], -1
	s_cbranch_execnz .LBB1353_52
.LBB1353_88:
	s_waitcnt vmcnt(0) lgkmcnt(0)
	v_lshlrev_b32_e32 v14, 5, v0
	v_sub_u32_e32 v22, v22, v14
	s_mov_b64 s[0:1], 0
	v_cmp_gt_i64_e64 s[6:7], s[26:27], 0
	s_and_b64 vcc, exec, s[34:35]
	ds_write_b64 v22, v[12:13]
	s_cbranch_vccz .LBB1353_99
; %bb.89:
	v_cndmask_b32_e64 v14, 0, 1, s[6:7]
	v_cmp_ne_u32_e64 s[4:5], 1, v14
	s_andn2_b64 vcc, exec, s[6:7]
	s_cbranch_vccnz .LBB1353_100
; %bb.90:
	v_mul_lo_u32 v16, v5, s26
	v_mul_lo_u32 v17, v4, s27
	v_mad_u64_u32 v[14:15], s[0:1], v4, s26, 0
	v_add3_u32 v15, v15, v17, v16
	v_mul_lo_u32 v18, v13, s26
	v_mul_lo_u32 v19, v12, s27
	v_mad_u64_u32 v[16:17], s[0:1], v12, s26, 0
	s_add_u32 s14, s26, -1
	v_lshl_add_u64 v[14:15], v[14:15], 1, s[36:37]
	v_add3_u32 v17, v17, v19, v18
	s_addc_u32 s15, s27, -1
	v_lshl_add_u64 v[16:17], v[16:17], 1, s[36:37]
	s_mov_b64 s[40:41], 0
	s_mov_b64 s[42:43], s[14:15]
	v_mov_b64_e32 v[18:19], v[14:15]
                                        ; implicit-def: $sgpr12_sgpr13
.LBB1353_91:                            ; =>This Inner Loop Header: Depth=1
	global_load_ushort v20, v[18:19], off
	global_load_ushort v21, v[16:17], off
	s_add_u32 s0, s42, -1
	s_addc_u32 s1, s43, -1
	s_cmp_eq_u64 s[42:43], 0
	s_mov_b64 s[42:43], s[0:1]
	s_cselect_b64 s[44:45], -1, 0
	v_lshl_add_u64 v[18:19], v[18:19], 0, 2
	v_lshl_add_u64 v[16:17], v[16:17], 0, 2
	s_waitcnt vmcnt(0)
	v_cmp_neq_f16_e64 s[0:1], v20, v21
	s_or_b64 s[0:1], s[0:1], s[44:45]
	s_and_b64 s[0:1], exec, s[0:1]
	v_cmp_eq_f16_e32 vcc, v20, v21
	s_or_b64 s[40:41], s[0:1], s[40:41]
	s_andn2_b64 s[0:1], s[12:13], exec
	s_and_b64 s[12:13], vcc, exec
	s_or_b64 s[12:13], s[0:1], s[12:13]
	s_andn2_b64 exec, exec, s[40:41]
	s_cbranch_execnz .LBB1353_91
; %bb.92:
	s_or_b64 exec, exec, s[40:41]
	v_mul_lo_u32 v18, v3, s26
	v_mul_lo_u32 v19, v2, s27
	v_mad_u64_u32 v[16:17], s[0:1], v2, s26, 0
	v_add3_u32 v17, v17, v19, v18
	v_lshl_add_u64 v[16:17], v[16:17], 1, s[36:37]
	s_mov_b64 s[42:43], 0
	s_mov_b64 s[44:45], s[14:15]
	v_mov_b64_e32 v[18:19], v[16:17]
                                        ; implicit-def: $sgpr40_sgpr41
.LBB1353_93:                            ; =>This Inner Loop Header: Depth=1
	global_load_ushort v20, v[18:19], off
	global_load_ushort v21, v[14:15], off
	s_add_u32 s0, s44, -1
	s_addc_u32 s1, s45, -1
	s_cmp_eq_u64 s[44:45], 0
	s_mov_b64 s[44:45], s[0:1]
	s_cselect_b64 s[46:47], -1, 0
	v_lshl_add_u64 v[18:19], v[18:19], 0, 2
	v_lshl_add_u64 v[14:15], v[14:15], 0, 2
	s_waitcnt vmcnt(0)
	v_cmp_neq_f16_e64 s[0:1], v20, v21
	s_or_b64 s[0:1], s[0:1], s[46:47]
	s_and_b64 s[0:1], exec, s[0:1]
	v_cmp_eq_f16_e32 vcc, v20, v21
	s_or_b64 s[42:43], s[0:1], s[42:43]
	s_andn2_b64 s[0:1], s[40:41], exec
	s_and_b64 s[40:41], vcc, exec
	s_or_b64 s[40:41], s[0:1], s[40:41]
	s_andn2_b64 exec, exec, s[42:43]
	s_cbranch_execnz .LBB1353_93
; %bb.94:
	s_or_b64 exec, exec, s[42:43]
	v_mul_lo_u32 v18, v9, s26
	v_mul_lo_u32 v19, v8, s27
	v_mad_u64_u32 v[14:15], s[0:1], v8, s26, 0
	v_add3_u32 v15, v15, v19, v18
	v_lshl_add_u64 v[14:15], v[14:15], 1, s[36:37]
	s_mov_b64 s[44:45], 0
	s_mov_b64 s[46:47], s[14:15]
	v_mov_b64_e32 v[18:19], v[14:15]
                                        ; implicit-def: $sgpr42_sgpr43
.LBB1353_95:                            ; =>This Inner Loop Header: Depth=1
	global_load_ushort v20, v[18:19], off
	global_load_ushort v21, v[16:17], off
	s_add_u32 s0, s46, -1
	s_addc_u32 s1, s47, -1
	s_cmp_eq_u64 s[46:47], 0
	s_mov_b64 s[46:47], s[0:1]
	s_cselect_b64 s[50:51], -1, 0
	v_lshl_add_u64 v[18:19], v[18:19], 0, 2
	v_lshl_add_u64 v[16:17], v[16:17], 0, 2
	s_waitcnt vmcnt(0)
	v_cmp_neq_f16_e64 s[0:1], v20, v21
	s_or_b64 s[0:1], s[0:1], s[50:51]
	s_and_b64 s[0:1], exec, s[0:1]
	v_cmp_eq_f16_e32 vcc, v20, v21
	s_or_b64 s[44:45], s[0:1], s[44:45]
	s_andn2_b64 s[0:1], s[42:43], exec
	s_and_b64 s[42:43], vcc, exec
	s_or_b64 s[42:43], s[0:1], s[42:43]
	s_andn2_b64 exec, exec, s[44:45]
	s_cbranch_execnz .LBB1353_95
; %bb.96:
	s_or_b64 exec, exec, s[44:45]
	v_mul_lo_u32 v18, v7, s26
	v_mul_lo_u32 v19, v6, s27
	v_mad_u64_u32 v[16:17], s[0:1], v6, s26, 0
	v_add3_u32 v17, v17, v19, v18
	v_lshl_add_u64 v[16:17], v[16:17], 1, s[36:37]
	s_mov_b64 s[46:47], 0
                                        ; implicit-def: $sgpr44_sgpr45
.LBB1353_97:                            ; =>This Inner Loop Header: Depth=1
	global_load_ushort v18, v[16:17], off
	global_load_ushort v19, v[14:15], off
	s_add_u32 s0, s14, -1
	s_addc_u32 s1, s15, -1
	s_cmp_eq_u64 s[14:15], 0
	s_mov_b64 s[14:15], s[0:1]
	s_cselect_b64 s[50:51], -1, 0
	v_lshl_add_u64 v[16:17], v[16:17], 0, 2
	v_lshl_add_u64 v[14:15], v[14:15], 0, 2
	s_waitcnt vmcnt(0)
	v_cmp_neq_f16_e64 s[0:1], v18, v19
	s_or_b64 s[0:1], s[0:1], s[50:51]
	s_and_b64 s[0:1], exec, s[0:1]
	v_cmp_eq_f16_e32 vcc, v18, v19
	s_or_b64 s[46:47], s[0:1], s[46:47]
	s_andn2_b64 s[0:1], s[44:45], exec
	s_and_b64 s[44:45], vcc, exec
	s_or_b64 s[44:45], s[0:1], s[44:45]
	s_andn2_b64 exec, exec, s[46:47]
	s_cbranch_execnz .LBB1353_97
; %bb.98:
	s_or_b64 exec, exec, s[46:47]
	s_xor_b64 s[0:1], s[12:13], -1
	v_cndmask_b32_e64 v33, 0, 1, s[0:1]
	s_xor_b64 s[0:1], s[40:41], -1
	v_cndmask_b32_e64 v14, 0, 1, s[0:1]
	v_lshlrev_b16_e32 v14, 8, v14
	v_mov_b32_e32 v15, 8
	s_xor_b64 s[12:13], s[42:43], -1
	v_lshrrev_b32_sdwa v14, v15, v14 dst_sel:BYTE_1 dst_unused:UNUSED_PAD src0_sel:DWORD src1_sel:DWORD
	v_cndmask_b32_e64 v15, 0, 1, s[12:13]
	s_xor_b64 s[0:1], s[44:45], -1
	v_or_b32_sdwa v14, v15, v14 dst_sel:WORD_1 dst_unused:UNUSED_PAD src0_sel:DWORD src1_sel:DWORD
	s_branch .LBB1353_101
.LBB1353_99:
                                        ; implicit-def: $sgpr0_sgpr1
                                        ; implicit-def: $vgpr33
                                        ; implicit-def: $vgpr17
                                        ; implicit-def: $vgpr16
                                        ; implicit-def: $vgpr35
                                        ; implicit-def: $vgpr34
                                        ; implicit-def: $vgpr14
	s_cbranch_execnz .LBB1353_108
	s_branch .LBB1353_141
.LBB1353_100:
	v_mov_b32_e32 v14, 0
	v_mov_b32_e32 v33, 0
.LBB1353_101:
	v_lshrrev_b32_e32 v34, 16, v14
	v_lshrrev_b32_e32 v14, 24, v14
	v_cndmask_b32_e64 v35, 0, 1, s[0:1]
	v_mov_b32_e32 v16, 1
	s_waitcnt lgkmcnt(0)
	s_barrier
                                        ; implicit-def: $sgpr0_sgpr1
                                        ; implicit-def: $vgpr17
	s_and_saveexec_b64 s[12:13], s[2:3]
	s_xor_b64 s[12:13], exec, s[12:13]
	s_cbranch_execz .LBB1353_107
; %bb.102:
	v_lshlrev_b16_e32 v15, 8, v14
	s_movk_i32 s0, 0xff
	v_bitop3_b16 v15, v34, v15, s0 bitop3:0xec
	v_lshlrev_b16_e32 v17, 8, v35
	v_lshlrev_b32_e32 v15, 16, v15
	v_or_b32_e32 v17, 1, v17
	v_or_b32_sdwa v15, v17, v15 dst_sel:DWORD dst_unused:UNUSED_PAD src0_sel:WORD_0 src1_sel:DWORD
	s_mov_b32 s42, 0x3020104
	s_and_b64 vcc, exec, s[4:5]
	s_mov_b64 s[0:1], 0
	s_cbranch_vccnz .LBB1353_106
; %bb.103:
	v_add_u32_e32 v17, -8, v22
	ds_read_b64 v[18:19], v17
	v_mul_lo_u32 v17, v7, s26
	v_mul_lo_u32 v23, v6, s27
	s_add_u32 s40, s26, -1
	s_addc_u32 s41, s27, -1
	s_waitcnt lgkmcnt(0)
	v_mul_lo_u32 v20, v19, s26
	v_mul_lo_u32 v21, v18, s27
	v_mad_u64_u32 v[18:19], s[0:1], v18, s26, 0
	v_add3_u32 v19, v19, v21, v20
	v_mad_u64_u32 v[20:21], s[0:1], v6, s26, 0
	v_add3_u32 v21, v21, v23, v17
	v_lshl_add_u64 v[18:19], v[18:19], 1, s[36:37]
	v_lshl_add_u64 v[20:21], v[20:21], 1, s[36:37]
	s_mov_b64 s[4:5], 0
                                        ; implicit-def: $sgpr14_sgpr15
.LBB1353_104:                           ; =>This Inner Loop Header: Depth=1
	global_load_ushort v17, v[18:19], off
	global_load_ushort v23, v[20:21], off
	s_add_u32 s0, s40, -1
	s_addc_u32 s1, s41, -1
	s_cmp_eq_u64 s[40:41], 0
	s_mov_b64 s[40:41], s[0:1]
	s_cselect_b64 s[44:45], -1, 0
	v_lshl_add_u64 v[18:19], v[18:19], 0, 2
	v_lshl_add_u64 v[20:21], v[20:21], 0, 2
	s_waitcnt vmcnt(0)
	v_cmp_neq_f16_e64 s[0:1], v17, v23
	s_or_b64 s[0:1], s[0:1], s[44:45]
	s_and_b64 s[0:1], exec, s[0:1]
	v_cmp_eq_f16_e32 vcc, v17, v23
	s_or_b64 s[4:5], s[0:1], s[4:5]
	s_andn2_b64 s[0:1], s[14:15], exec
	s_and_b64 s[14:15], vcc, exec
	s_or_b64 s[14:15], s[0:1], s[14:15]
	s_andn2_b64 exec, exec, s[4:5]
	s_cbranch_execnz .LBB1353_104
; %bb.105:
	s_or_b64 exec, exec, s[4:5]
	s_xor_b64 s[0:1], s[14:15], -1
.LBB1353_106:
	v_perm_b32 v17, v15, v15, s42
	s_or_b64 s[10:11], s[10:11], exec
.LBB1353_107:
	s_or_b64 exec, exec, s[12:13]
	s_branch .LBB1353_141
.LBB1353_108:
	v_add_u32_e32 v14, 4, v1
	v_cmp_gt_u32_e32 vcc, s48, v14
	s_mov_b64 s[4:5], 0
	s_mov_b64 s[12:13], 0
	s_and_saveexec_b64 s[14:15], vcc
	s_cbranch_execz .LBB1353_114
; %bb.109:
	s_andn2_b64 vcc, exec, s[6:7]
	s_mov_b64 s[0:1], 0
	s_cbranch_vccnz .LBB1353_113
; %bb.110:
	v_mul_lo_u32 v16, v5, s26
	v_mul_lo_u32 v17, v4, s27
	v_mad_u64_u32 v[14:15], s[0:1], v4, s26, 0
	v_add3_u32 v15, v15, v17, v16
	v_mul_lo_u32 v18, v13, s26
	v_mul_lo_u32 v19, v12, s27
	v_mad_u64_u32 v[16:17], s[0:1], v12, s26, 0
	v_add3_u32 v17, v17, v19, v18
	s_add_u32 s42, s26, -1
	v_lshl_add_u64 v[14:15], v[14:15], 1, s[36:37]
	v_lshl_add_u64 v[16:17], v[16:17], 1, s[36:37]
	s_addc_u32 s43, s27, -1
                                        ; implicit-def: $sgpr40_sgpr41
.LBB1353_111:                           ; =>This Inner Loop Header: Depth=1
	global_load_ushort v18, v[14:15], off
	global_load_ushort v19, v[16:17], off
	s_add_u32 s0, s42, -1
	s_addc_u32 s1, s43, -1
	s_cmp_eq_u64 s[42:43], 0
	s_mov_b64 s[42:43], s[0:1]
	s_cselect_b64 s[44:45], -1, 0
	v_lshl_add_u64 v[14:15], v[14:15], 0, 2
	v_lshl_add_u64 v[16:17], v[16:17], 0, 2
	s_waitcnt vmcnt(0)
	v_cmp_neq_f16_e64 s[0:1], v18, v19
	s_or_b64 s[0:1], s[0:1], s[44:45]
	s_and_b64 s[0:1], exec, s[0:1]
	v_cmp_eq_f16_e32 vcc, v18, v19
	s_or_b64 s[12:13], s[0:1], s[12:13]
	s_andn2_b64 s[0:1], s[40:41], exec
	s_and_b64 s[40:41], vcc, exec
	s_or_b64 s[40:41], s[0:1], s[40:41]
	s_andn2_b64 exec, exec, s[12:13]
	s_cbranch_execnz .LBB1353_111
; %bb.112:
	s_or_b64 exec, exec, s[12:13]
	s_xor_b64 s[0:1], s[40:41], -1
.LBB1353_113:
	s_and_b64 s[12:13], s[0:1], exec
.LBB1353_114:
	s_or_b64 exec, exec, s[14:15]
	v_add_u32_e32 v14, 3, v1
	v_cmp_gt_u32_e32 vcc, s48, v14
	s_and_saveexec_b64 s[14:15], vcc
	s_cbranch_execz .LBB1353_120
; %bb.115:
	s_andn2_b64 vcc, exec, s[6:7]
	s_mov_b64 s[0:1], 0
	s_cbranch_vccnz .LBB1353_119
; %bb.116:
	v_mul_lo_u32 v16, v3, s26
	v_mul_lo_u32 v17, v2, s27
	v_mad_u64_u32 v[14:15], s[0:1], v2, s26, 0
	v_add3_u32 v15, v15, v17, v16
	v_mul_lo_u32 v18, v5, s26
	v_mul_lo_u32 v19, v4, s27
	v_mad_u64_u32 v[16:17], s[0:1], v4, s26, 0
	v_add3_u32 v17, v17, v19, v18
	s_add_u32 s42, s26, -1
	v_lshl_add_u64 v[14:15], v[14:15], 1, s[36:37]
	v_lshl_add_u64 v[16:17], v[16:17], 1, s[36:37]
	s_addc_u32 s43, s27, -1
	s_mov_b64 s[4:5], 0
                                        ; implicit-def: $sgpr40_sgpr41
.LBB1353_117:                           ; =>This Inner Loop Header: Depth=1
	global_load_ushort v18, v[14:15], off
	global_load_ushort v19, v[16:17], off
	s_add_u32 s0, s42, -1
	s_addc_u32 s1, s43, -1
	s_cmp_eq_u64 s[42:43], 0
	s_mov_b64 s[42:43], s[0:1]
	s_cselect_b64 s[44:45], -1, 0
	v_lshl_add_u64 v[14:15], v[14:15], 0, 2
	v_lshl_add_u64 v[16:17], v[16:17], 0, 2
	s_waitcnt vmcnt(0)
	v_cmp_neq_f16_e64 s[0:1], v18, v19
	s_or_b64 s[0:1], s[0:1], s[44:45]
	s_and_b64 s[0:1], exec, s[0:1]
	v_cmp_eq_f16_e32 vcc, v18, v19
	s_or_b64 s[4:5], s[0:1], s[4:5]
	s_andn2_b64 s[0:1], s[40:41], exec
	s_and_b64 s[40:41], vcc, exec
	s_or_b64 s[40:41], s[0:1], s[40:41]
	s_andn2_b64 exec, exec, s[4:5]
	s_cbranch_execnz .LBB1353_117
; %bb.118:
	s_or_b64 exec, exec, s[4:5]
	s_xor_b64 s[0:1], s[40:41], -1
.LBB1353_119:
	s_and_b64 s[4:5], s[0:1], exec
.LBB1353_120:
	s_or_b64 exec, exec, s[14:15]
	v_add_u32_e32 v14, 2, v1
	v_cmp_gt_u32_e32 vcc, s48, v14
	s_mov_b64 s[14:15], 0
	s_mov_b64 s[40:41], 0
	s_and_saveexec_b64 s[42:43], vcc
	s_cbranch_execz .LBB1353_126
; %bb.121:
	s_andn2_b64 vcc, exec, s[6:7]
	s_mov_b64 s[0:1], 0
	s_cbranch_vccnz .LBB1353_125
; %bb.122:
	v_mul_lo_u32 v16, v9, s26
	v_mul_lo_u32 v17, v8, s27
	v_mad_u64_u32 v[14:15], s[0:1], v8, s26, 0
	v_add3_u32 v15, v15, v17, v16
	v_mul_lo_u32 v18, v3, s26
	v_mul_lo_u32 v19, v2, s27
	v_mad_u64_u32 v[16:17], s[0:1], v2, s26, 0
	v_add3_u32 v17, v17, v19, v18
	s_add_u32 s46, s26, -1
	v_lshl_add_u64 v[14:15], v[14:15], 1, s[36:37]
	v_lshl_add_u64 v[16:17], v[16:17], 1, s[36:37]
	s_addc_u32 s47, s27, -1
                                        ; implicit-def: $sgpr44_sgpr45
.LBB1353_123:                           ; =>This Inner Loop Header: Depth=1
	global_load_ushort v18, v[14:15], off
	global_load_ushort v19, v[16:17], off
	s_add_u32 s0, s46, -1
	s_addc_u32 s1, s47, -1
	s_cmp_eq_u64 s[46:47], 0
	s_mov_b64 s[46:47], s[0:1]
	s_cselect_b64 s[50:51], -1, 0
	v_lshl_add_u64 v[14:15], v[14:15], 0, 2
	v_lshl_add_u64 v[16:17], v[16:17], 0, 2
	s_waitcnt vmcnt(0)
	v_cmp_neq_f16_e64 s[0:1], v18, v19
	s_or_b64 s[0:1], s[0:1], s[50:51]
	s_and_b64 s[0:1], exec, s[0:1]
	v_cmp_eq_f16_e32 vcc, v18, v19
	s_or_b64 s[40:41], s[0:1], s[40:41]
	s_andn2_b64 s[0:1], s[44:45], exec
	s_and_b64 s[44:45], vcc, exec
	s_or_b64 s[44:45], s[0:1], s[44:45]
	s_andn2_b64 exec, exec, s[40:41]
	s_cbranch_execnz .LBB1353_123
; %bb.124:
	s_or_b64 exec, exec, s[40:41]
	s_xor_b64 s[0:1], s[44:45], -1
.LBB1353_125:
	s_and_b64 s[40:41], s[0:1], exec
.LBB1353_126:
	s_or_b64 exec, exec, s[42:43]
	v_add_u32_e32 v14, 1, v1
	v_cmp_gt_u32_e32 vcc, s48, v14
	s_and_saveexec_b64 s[42:43], vcc
	s_cbranch_execz .LBB1353_132
; %bb.127:
	s_andn2_b64 vcc, exec, s[6:7]
	s_mov_b64 s[0:1], 0
	s_cbranch_vccnz .LBB1353_131
; %bb.128:
	v_mul_lo_u32 v16, v7, s26
	v_mul_lo_u32 v17, v6, s27
	v_mad_u64_u32 v[14:15], s[0:1], v6, s26, 0
	v_add3_u32 v15, v15, v17, v16
	v_mul_lo_u32 v18, v9, s26
	v_mul_lo_u32 v19, v8, s27
	v_mad_u64_u32 v[16:17], s[0:1], v8, s26, 0
	v_add3_u32 v17, v17, v19, v18
	s_add_u32 s46, s26, -1
	v_lshl_add_u64 v[14:15], v[14:15], 1, s[36:37]
	v_lshl_add_u64 v[16:17], v[16:17], 1, s[36:37]
	s_addc_u32 s47, s27, -1
	s_mov_b64 s[14:15], 0
                                        ; implicit-def: $sgpr44_sgpr45
.LBB1353_129:                           ; =>This Inner Loop Header: Depth=1
	global_load_ushort v18, v[14:15], off
	global_load_ushort v19, v[16:17], off
	s_add_u32 s0, s46, -1
	s_addc_u32 s1, s47, -1
	s_cmp_eq_u64 s[46:47], 0
	s_mov_b64 s[46:47], s[0:1]
	s_cselect_b64 s[50:51], -1, 0
	v_lshl_add_u64 v[14:15], v[14:15], 0, 2
	v_lshl_add_u64 v[16:17], v[16:17], 0, 2
	s_waitcnt vmcnt(0)
	v_cmp_neq_f16_e64 s[0:1], v18, v19
	s_or_b64 s[0:1], s[0:1], s[50:51]
	s_and_b64 s[0:1], exec, s[0:1]
	v_cmp_eq_f16_e32 vcc, v18, v19
	s_or_b64 s[14:15], s[0:1], s[14:15]
	s_andn2_b64 s[0:1], s[44:45], exec
	s_and_b64 s[44:45], vcc, exec
	s_or_b64 s[44:45], s[0:1], s[44:45]
	s_andn2_b64 exec, exec, s[14:15]
	s_cbranch_execnz .LBB1353_129
; %bb.130:
	s_or_b64 exec, exec, s[14:15]
	s_xor_b64 s[0:1], s[44:45], -1
.LBB1353_131:
	s_and_b64 s[14:15], s[0:1], exec
.LBB1353_132:
	s_or_b64 exec, exec, s[42:43]
	v_cndmask_b32_e64 v33, 0, 1, s[12:13]
	v_cndmask_b32_e64 v34, 0, 1, s[40:41]
	;; [unrolled: 1-line block ×4, first 2 shown]
	v_mov_b32_e32 v16, 1
	s_waitcnt lgkmcnt(0)
	s_barrier
                                        ; implicit-def: $sgpr0_sgpr1
                                        ; implicit-def: $vgpr17
	s_and_saveexec_b64 s[4:5], s[2:3]
	s_cbranch_execz .LBB1353_140
; %bb.133:
	v_lshlrev_b16_e32 v15, 8, v35
	v_lshlrev_b16_e32 v17, 8, v14
	v_or_b32_e32 v15, 1, v15
	v_or_b32_sdwa v17, v34, v17 dst_sel:WORD_1 dst_unused:UNUSED_PAD src0_sel:DWORD src1_sel:DWORD
	v_cmp_gt_u32_e32 vcc, s48, v1
	v_or_b32_sdwa v15, v15, v17 dst_sel:DWORD dst_unused:UNUSED_PAD src0_sel:WORD_0 src1_sel:DWORD
	s_mov_b32 s40, 0x3020104
	s_mov_b64 s[0:1], 0
	s_and_saveexec_b64 s[2:3], vcc
	s_cbranch_execz .LBB1353_139
; %bb.134:
	s_andn2_b64 vcc, exec, s[6:7]
	s_cbranch_vccnz .LBB1353_138
; %bb.135:
	v_add_u32_e32 v17, -8, v22
	ds_read_b64 v[18:19], v17
	v_mul_lo_u32 v17, v7, s26
	v_mul_lo_u32 v22, v6, s27
	s_add_u32 s14, s26, -1
	s_addc_u32 s15, s27, -1
	s_waitcnt lgkmcnt(0)
	v_mul_lo_u32 v20, v19, s26
	v_mul_lo_u32 v21, v18, s27
	v_mad_u64_u32 v[18:19], s[0:1], v18, s26, 0
	v_add3_u32 v19, v19, v21, v20
	v_mad_u64_u32 v[20:21], s[0:1], v6, s26, 0
	v_add3_u32 v21, v21, v22, v17
	v_lshl_add_u64 v[18:19], v[18:19], 1, s[36:37]
	v_lshl_add_u64 v[20:21], v[20:21], 1, s[36:37]
	s_mov_b64 s[6:7], 0
                                        ; implicit-def: $sgpr12_sgpr13
.LBB1353_136:                           ; =>This Inner Loop Header: Depth=1
	global_load_ushort v17, v[18:19], off
	global_load_ushort v22, v[20:21], off
	s_add_u32 s0, s14, -1
	s_addc_u32 s1, s15, -1
	s_cmp_eq_u64 s[14:15], 0
	s_mov_b64 s[14:15], s[0:1]
	s_cselect_b64 s[26:27], -1, 0
	v_lshl_add_u64 v[18:19], v[18:19], 0, 2
	v_lshl_add_u64 v[20:21], v[20:21], 0, 2
	s_waitcnt vmcnt(0)
	v_cmp_neq_f16_e64 s[0:1], v17, v22
	s_or_b64 s[0:1], s[0:1], s[26:27]
	s_and_b64 s[0:1], exec, s[0:1]
	v_cmp_eq_f16_e32 vcc, v17, v22
	s_or_b64 s[6:7], s[0:1], s[6:7]
	s_andn2_b64 s[0:1], s[12:13], exec
	s_and_b64 s[12:13], vcc, exec
	s_or_b64 s[12:13], s[0:1], s[12:13]
	s_andn2_b64 exec, exec, s[6:7]
	s_cbranch_execnz .LBB1353_136
; %bb.137:
	s_or_b64 exec, exec, s[6:7]
	s_xor_b64 s[0:1], s[12:13], -1
.LBB1353_138:
	s_and_b64 s[0:1], s[0:1], exec
.LBB1353_139:
	s_or_b64 exec, exec, s[2:3]
	v_perm_b32 v17, v15, v15, s40
	s_or_b64 s[10:11], s[10:11], exec
.LBB1353_140:
	s_or_b64 exec, exec, s[4:5]
.LBB1353_141:
	s_and_saveexec_b64 s[2:3], s[10:11]
	s_cbranch_execz .LBB1353_143
; %bb.142:
	s_waitcnt vmcnt(0) lgkmcnt(0)
	v_lshrrev_b32_e32 v14, 24, v17
	v_lshrrev_b32_e32 v34, 16, v17
	;; [unrolled: 1-line block ×3, first 2 shown]
	v_cndmask_b32_e64 v16, 0, 1, s[0:1]
.LBB1353_143:
	s_or_b64 exec, exec, s[2:3]
	s_andn2_b64 vcc, exec, s[8:9]
	s_cbranch_vccnz .LBB1353_147
; %bb.144:
	s_mov_b32 s0, 0xc0c0004
	s_waitcnt vmcnt(0) lgkmcnt(0)
	v_perm_b32 v14, v34, v14, s0
	v_perm_b32 v15, v16, v35, s0
	v_lshlrev_b32_e32 v14, 16, v14
	v_or_b32_e32 v15, v15, v14
	v_cmp_gt_u32_e32 vcc, s48, v1
	v_add_u32_e32 v16, 1, v1
	s_mov_b32 s0, 0x40c0100
	v_cndmask_b32_e32 v14, v14, v15, vcc
	v_and_b32_e32 v14, 0xffff00ff, v14
	v_cmp_gt_u32_e32 vcc, s48, v16
	v_add_u32_e32 v16, 2, v1
	v_and_b32_e32 v33, 0xff, v33
	v_cndmask_b32_e32 v14, v14, v15, vcc
	v_lshrrev_b32_e32 v18, 24, v14
	v_perm_b32 v14, v18, v14, s0
	v_cmp_gt_u32_e32 vcc, s48, v16
	v_add_u32_e32 v16, 3, v1
	v_and_b32_e32 v17, 0xffff, v33
	v_cndmask_b32_e32 v14, v14, v15, vcc
	v_and_b32_e32 v14, 0xffffff, v14
	v_cmp_gt_u32_e32 vcc, s48, v16
	v_add_u32_e32 v1, 4, v1
	s_nop 0
	v_cndmask_b32_e32 v16, v14, v15, vcc
	v_lshrrev_b32_e32 v34, 16, v16
	v_lshrrev_b32_e32 v35, 8, v16
	v_lshrrev_b64 v[14:15], 24, v[16:17]
	v_cmp_le_u32_e32 vcc, s48, v1
	s_and_saveexec_b64 s[0:1], vcc
; %bb.145:
	v_mov_b32_e32 v33, 0
; %bb.146:
	s_or_b64 exec, exec, s[0:1]
.LBB1353_147:
	v_and_b32_e32 v1, 0xff, v16
	s_waitcnt vmcnt(0) lgkmcnt(0)
	v_and_b32_e32 v15, 0xff, v35
	v_and_b32_e32 v17, 0xff, v34
	;; [unrolled: 1-line block ×4, first 2 shown]
	v_add3_u32 v19, v15, v1, v17
	v_add3_u32 v37, v19, v29, v18
	v_mbcnt_lo_u32_b32 v18, -1, 0
	v_mbcnt_hi_u32_b32 v31, -1, v18
	v_and_b32_e32 v18, 15, v31
	v_cmp_eq_u32_e64 s[14:15], 0, v18
	v_cmp_lt_u32_e64 s[12:13], 1, v18
	v_cmp_lt_u32_e64 s[10:11], 3, v18
	;; [unrolled: 1-line block ×3, first 2 shown]
	v_and_b32_e32 v18, 16, v31
	v_cmp_eq_u32_e64 s[6:7], 0, v18
	v_or_b32_e32 v18, 63, v0
	v_cmp_lt_u32_e64 s[2:3], 31, v31
	v_lshrrev_b32_e32 v36, 6, v0
	v_cmp_eq_u32_e64 s[4:5], v0, v18
	s_and_b64 vcc, exec, s[16:17]
	s_barrier
	s_cbranch_vccz .LBB1353_169
; %bb.148:
	v_mov_b32_dpp v18, v37 row_shr:1 row_mask:0xf bank_mask:0xf
	v_cndmask_b32_e64 v18, v18, 0, s[14:15]
	v_add_u32_e32 v18, v18, v37
	s_nop 1
	v_mov_b32_dpp v19, v18 row_shr:2 row_mask:0xf bank_mask:0xf
	v_cndmask_b32_e64 v19, 0, v19, s[12:13]
	v_add_u32_e32 v18, v18, v19
	s_nop 1
	;; [unrolled: 4-line block ×4, first 2 shown]
	v_mov_b32_dpp v19, v18 row_bcast:15 row_mask:0xf bank_mask:0xf
	v_cndmask_b32_e64 v19, v19, 0, s[6:7]
	v_add_u32_e32 v18, v18, v19
	s_nop 1
	v_mov_b32_dpp v19, v18 row_bcast:31 row_mask:0xf bank_mask:0xf
	v_cndmask_b32_e64 v19, 0, v19, s[2:3]
	v_add_u32_e32 v18, v18, v19
	s_and_saveexec_b64 s[0:1], s[4:5]
; %bb.149:
	v_lshlrev_b32_e32 v19, 2, v36
	ds_write_b32 v19, v18
; %bb.150:
	s_or_b64 exec, exec, s[0:1]
	v_cmp_gt_u32_e32 vcc, 2, v0
	s_waitcnt lgkmcnt(0)
	s_barrier
	s_and_saveexec_b64 s[0:1], vcc
	s_cbranch_execz .LBB1353_152
; %bb.151:
	v_lshlrev_b32_e32 v19, 2, v0
	ds_read_b32 v20, v19
	v_bfe_i32 v21, v31, 0, 1
	s_waitcnt lgkmcnt(0)
	v_mov_b32_dpp v22, v20 row_shr:1 row_mask:0xf bank_mask:0xf
	v_and_b32_e32 v21, v21, v22
	v_add_u32_e32 v20, v21, v20
	ds_write_b32 v19, v20
.LBB1353_152:
	s_or_b64 exec, exec, s[0:1]
	v_cmp_gt_u32_e32 vcc, 64, v0
	v_cmp_lt_u32_e64 s[0:1], 63, v0
	s_waitcnt lgkmcnt(0)
	s_barrier
                                        ; implicit-def: $vgpr28
	s_and_saveexec_b64 s[16:17], s[0:1]
	s_cbranch_execz .LBB1353_154
; %bb.153:
	v_lshl_add_u32 v19, v36, 2, -4
	ds_read_b32 v28, v19
	s_waitcnt lgkmcnt(0)
	v_add_u32_e32 v18, v28, v18
.LBB1353_154:
	s_or_b64 exec, exec, s[16:17]
	v_subrev_co_u32_e64 v19, s[16:17], 1, v31
	v_and_b32_e32 v20, 64, v31
	v_cmp_lt_i32_e64 s[0:1], v19, v20
	s_nop 1
	v_cndmask_b32_e64 v19, v19, v31, s[0:1]
	v_lshlrev_b32_e32 v19, 2, v19
	ds_bpermute_b32 v30, v19, v18
	s_and_saveexec_b64 s[0:1], vcc
	s_cbranch_execz .LBB1353_174
; %bb.155:
	v_mov_b32_e32 v25, 0
	ds_read_b32 v18, v25 offset:4
	s_and_saveexec_b64 s[26:27], s[16:17]
	s_cbranch_execz .LBB1353_157
; %bb.156:
	s_add_i32 s36, s33, 64
	s_mov_b32 s37, 0
	s_lshl_b64 s[36:37], s[36:37], 3
	s_add_u32 s36, s38, s36
	v_mov_b32_e32 v19, 1
	s_addc_u32 s37, s39, s37
	s_waitcnt lgkmcnt(0)
	global_store_dwordx2 v25, v[18:19], s[36:37] sc1
.LBB1353_157:
	s_or_b64 exec, exec, s[26:27]
	v_xad_u32 v20, v31, -1, s33
	v_add_u32_e32 v24, 64, v20
	v_lshl_add_u64 v[26:27], v[24:25], 3, s[38:39]
	global_load_dwordx2 v[22:23], v[26:27], off sc1
	s_waitcnt vmcnt(0)
	v_cmp_eq_u16_sdwa s[36:37], v23, v25 src0_sel:BYTE_0 src1_sel:DWORD
	s_and_saveexec_b64 s[26:27], s[36:37]
	s_cbranch_execz .LBB1353_161
; %bb.158:
	s_mov_b64 s[36:37], 0
	v_mov_b32_e32 v19, 0
.LBB1353_159:                           ; =>This Inner Loop Header: Depth=1
	global_load_dwordx2 v[22:23], v[26:27], off sc1
	s_waitcnt vmcnt(0)
	v_cmp_ne_u16_sdwa s[40:41], v23, v19 src0_sel:BYTE_0 src1_sel:DWORD
	s_or_b64 s[36:37], s[40:41], s[36:37]
	s_andn2_b64 exec, exec, s[36:37]
	s_cbranch_execnz .LBB1353_159
; %bb.160:
	s_or_b64 exec, exec, s[36:37]
.LBB1353_161:
	s_or_b64 exec, exec, s[26:27]
	v_and_b32_e32 v39, 63, v31
	v_mov_b32_e32 v38, 2
	v_cmp_ne_u32_e32 vcc, 63, v39
	v_cmp_eq_u16_sdwa s[26:27], v23, v38 src0_sel:BYTE_0 src1_sel:DWORD
	v_lshlrev_b64 v[24:25], v31, -1
	v_addc_co_u32_e32 v26, vcc, 0, v31, vcc
	v_and_b32_e32 v19, s27, v25
	v_lshlrev_b32_e32 v40, 2, v26
	v_or_b32_e32 v19, 0x80000000, v19
	ds_bpermute_b32 v26, v40, v22
	v_and_b32_e32 v21, s26, v24
	v_ffbl_b32_e32 v19, v19
	v_add_u32_e32 v19, 32, v19
	v_ffbl_b32_e32 v21, v21
	v_min_u32_e32 v19, v21, v19
	v_cmp_lt_u32_e32 vcc, v39, v19
	v_add_u32_e32 v42, 2, v39
	v_add_u32_e32 v44, 4, v39
	s_waitcnt lgkmcnt(0)
	v_cndmask_b32_e32 v21, 0, v26, vcc
	v_cmp_gt_u32_e32 vcc, 62, v39
	v_add_u32_e32 v21, v21, v22
	v_add_u32_e32 v46, 8, v39
	v_cndmask_b32_e64 v22, 0, 2, vcc
	v_add_lshl_u32 v41, v22, v31, 2
	ds_bpermute_b32 v22, v41, v21
	v_cmp_le_u32_e32 vcc, v42, v19
	v_add_u32_e32 v48, 16, v39
	v_add_u32_e32 v50, 32, v39
	s_waitcnt lgkmcnt(0)
	v_cndmask_b32_e32 v22, 0, v22, vcc
	v_cmp_gt_u32_e32 vcc, 60, v39
	v_add_u32_e32 v21, v21, v22
	s_nop 0
	v_cndmask_b32_e64 v22, 0, 4, vcc
	v_add_lshl_u32 v43, v22, v31, 2
	ds_bpermute_b32 v22, v43, v21
	v_cmp_le_u32_e32 vcc, v44, v19
	s_waitcnt lgkmcnt(0)
	s_nop 0
	v_cndmask_b32_e32 v22, 0, v22, vcc
	v_cmp_gt_u32_e32 vcc, 56, v39
	v_add_u32_e32 v21, v21, v22
	s_nop 0
	v_cndmask_b32_e64 v22, 0, 8, vcc
	v_add_lshl_u32 v45, v22, v31, 2
	ds_bpermute_b32 v22, v45, v21
	v_cmp_le_u32_e32 vcc, v46, v19
	s_waitcnt lgkmcnt(0)
	s_nop 0
	;; [unrolled: 10-line block ×3, first 2 shown]
	v_cndmask_b32_e32 v22, 0, v22, vcc
	v_add_u32_e32 v21, v21, v22
	v_mov_b32_e32 v22, 0x80
	v_lshl_or_b32 v49, v31, 2, v22
	ds_bpermute_b32 v22, v49, v21
	v_cmp_le_u32_e32 vcc, v50, v19
	s_waitcnt lgkmcnt(0)
	s_nop 0
	v_cndmask_b32_e32 v19, 0, v22, vcc
	v_add_u32_e32 v22, v21, v19
	v_mov_b32_e32 v21, 0
	s_branch .LBB1353_164
.LBB1353_162:                           ;   in Loop: Header=BB1353_164 Depth=1
	s_or_b64 exec, exec, s[26:27]
	v_cmp_eq_u16_sdwa s[26:27], v23, v38 src0_sel:BYTE_0 src1_sel:DWORD
	ds_bpermute_b32 v51, v40, v22
	v_subrev_u32_e32 v20, 64, v20
	v_and_b32_e32 v26, s27, v25
	v_or_b32_e32 v26, 0x80000000, v26
	v_and_b32_e32 v27, s26, v24
	v_ffbl_b32_e32 v26, v26
	v_add_u32_e32 v26, 32, v26
	v_ffbl_b32_e32 v27, v27
	v_min_u32_e32 v26, v27, v26
	v_cmp_lt_u32_e32 vcc, v39, v26
	s_mov_b64 s[26:27], 0
	s_waitcnt lgkmcnt(0)
	v_cndmask_b32_e32 v27, 0, v51, vcc
	v_add_u32_e32 v22, v27, v22
	ds_bpermute_b32 v27, v41, v22
	v_cmp_le_u32_e32 vcc, v42, v26
	s_waitcnt lgkmcnt(0)
	s_nop 0
	v_cndmask_b32_e32 v27, 0, v27, vcc
	v_add_u32_e32 v22, v22, v27
	ds_bpermute_b32 v27, v43, v22
	v_cmp_le_u32_e32 vcc, v44, v26
	s_waitcnt lgkmcnt(0)
	s_nop 0
	;; [unrolled: 6-line block ×5, first 2 shown]
	v_cndmask_b32_e32 v26, 0, v27, vcc
	v_add3_u32 v22, v26, v19, v22
.LBB1353_163:                           ;   in Loop: Header=BB1353_164 Depth=1
	s_and_b64 vcc, exec, s[26:27]
	s_cbranch_vccnz .LBB1353_170
.LBB1353_164:                           ; =>This Loop Header: Depth=1
                                        ;     Child Loop BB1353_167 Depth 2
	v_cmp_ne_u16_sdwa s[26:27], v23, v38 src0_sel:BYTE_0 src1_sel:DWORD
	v_mov_b32_e32 v19, v22
	s_cmp_lg_u64 s[26:27], exec
	s_mov_b64 s[26:27], -1
                                        ; implicit-def: $vgpr22
                                        ; implicit-def: $vgpr23
	s_cbranch_scc1 .LBB1353_163
; %bb.165:                              ;   in Loop: Header=BB1353_164 Depth=1
	v_lshl_add_u64 v[26:27], v[20:21], 3, s[38:39]
	global_load_dwordx2 v[22:23], v[26:27], off sc1
	s_waitcnt vmcnt(0)
	v_cmp_eq_u16_sdwa s[36:37], v23, v21 src0_sel:BYTE_0 src1_sel:DWORD
	s_and_saveexec_b64 s[26:27], s[36:37]
	s_cbranch_execz .LBB1353_162
; %bb.166:                              ;   in Loop: Header=BB1353_164 Depth=1
	s_mov_b64 s[36:37], 0
.LBB1353_167:                           ;   Parent Loop BB1353_164 Depth=1
                                        ; =>  This Inner Loop Header: Depth=2
	global_load_dwordx2 v[22:23], v[26:27], off sc1
	s_waitcnt vmcnt(0)
	v_cmp_ne_u16_sdwa s[40:41], v23, v21 src0_sel:BYTE_0 src1_sel:DWORD
	s_or_b64 s[36:37], s[40:41], s[36:37]
	s_andn2_b64 exec, exec, s[36:37]
	s_cbranch_execnz .LBB1353_167
; %bb.168:                              ;   in Loop: Header=BB1353_164 Depth=1
	s_or_b64 exec, exec, s[36:37]
	s_branch .LBB1353_162
.LBB1353_169:
                                        ; implicit-def: $vgpr22
                                        ; implicit-def: $vgpr24
                                        ; implicit-def: $vgpr26
                                        ; implicit-def: $vgpr28
                                        ; implicit-def: $vgpr30
                                        ; implicit-def: $vgpr20
                                        ; implicit-def: $vgpr18
	s_cbranch_execnz .LBB1353_175
	s_branch .LBB1353_184
.LBB1353_170:
	s_and_saveexec_b64 s[26:27], s[16:17]
	s_cbranch_execz .LBB1353_172
; %bb.171:
	s_add_i32 s36, s33, 64
	s_mov_b32 s37, 0
	s_lshl_b64 s[36:37], s[36:37], 3
	s_add_u32 s36, s38, s36
	v_add_u32_e32 v20, v19, v18
	v_mov_b32_e32 v21, 2
	s_addc_u32 s37, s39, s37
	v_mov_b32_e32 v22, 0
	global_store_dwordx2 v22, v[20:21], s[36:37] sc1
	ds_write_b64 v22, v[18:19] offset:5120
.LBB1353_172:
	s_or_b64 exec, exec, s[26:27]
	s_and_b64 exec, exec, s[18:19]
; %bb.173:
	v_mov_b32_e32 v18, 0
	ds_write_b32 v18, v19 offset:4
.LBB1353_174:
	s_or_b64 exec, exec, s[0:1]
	v_mov_b32_e32 v18, 0
	s_waitcnt lgkmcnt(0)
	s_barrier
	ds_read_b32 v19, v18 offset:4
	v_cndmask_b32_e64 v20, v30, v28, s[16:17]
	v_cndmask_b32_e64 v20, v20, 0, s[18:19]
	s_waitcnt lgkmcnt(0)
	s_barrier
	v_add_u32_e32 v30, v19, v20
	ds_read_b64 v[18:19], v18 offset:5120
	v_add_u32_e32 v28, v30, v1
	v_add_u32_e32 v26, v28, v15
	v_add_u32_e32 v24, v26, v17
	v_add_u32_e32 v22, v24, v29
	s_waitcnt lgkmcnt(0)
	v_mov_b32_e32 v20, v19
	s_branch .LBB1353_184
.LBB1353_175:
	v_mov_b32_dpp v18, v37 row_shr:1 row_mask:0xf bank_mask:0xf
	v_cndmask_b32_e64 v18, v18, 0, s[14:15]
	v_add_u32_e32 v18, v18, v37
	s_nop 1
	v_mov_b32_dpp v19, v18 row_shr:2 row_mask:0xf bank_mask:0xf
	v_cndmask_b32_e64 v19, 0, v19, s[12:13]
	v_add_u32_e32 v18, v18, v19
	s_nop 1
	;; [unrolled: 4-line block ×4, first 2 shown]
	v_mov_b32_dpp v19, v18 row_bcast:15 row_mask:0xf bank_mask:0xf
	v_cndmask_b32_e64 v19, v19, 0, s[6:7]
	v_add_u32_e32 v18, v18, v19
	s_nop 1
	v_mov_b32_dpp v19, v18 row_bcast:31 row_mask:0xf bank_mask:0xf
	v_cndmask_b32_e64 v19, 0, v19, s[2:3]
	v_add_u32_e32 v18, v18, v19
	s_and_saveexec_b64 s[0:1], s[4:5]
; %bb.176:
	v_lshlrev_b32_e32 v19, 2, v36
	ds_write_b32 v19, v18
; %bb.177:
	s_or_b64 exec, exec, s[0:1]
	v_cmp_gt_u32_e32 vcc, 2, v0
	s_waitcnt lgkmcnt(0)
	s_barrier
	s_and_saveexec_b64 s[0:1], vcc
	s_cbranch_execz .LBB1353_179
; %bb.178:
	v_lshlrev_b32_e32 v19, 2, v0
	ds_read_b32 v20, v19
	v_bfe_i32 v21, v31, 0, 1
	s_waitcnt lgkmcnt(0)
	v_mov_b32_dpp v22, v20 row_shr:1 row_mask:0xf bank_mask:0xf
	v_and_b32_e32 v21, v21, v22
	v_add_u32_e32 v20, v21, v20
	ds_write_b32 v19, v20
.LBB1353_179:
	s_or_b64 exec, exec, s[0:1]
	v_cmp_lt_u32_e32 vcc, 63, v0
	v_mov_b32_e32 v19, 0
	v_mov_b32_e32 v20, 0
	s_waitcnt lgkmcnt(0)
	s_barrier
	s_and_saveexec_b64 s[0:1], vcc
; %bb.180:
	v_lshl_add_u32 v20, v36, 2, -4
	ds_read_b32 v20, v20
; %bb.181:
	s_or_b64 exec, exec, s[0:1]
	v_subrev_co_u32_e32 v21, vcc, 1, v31
	v_and_b32_e32 v22, 64, v31
	v_cmp_lt_i32_e64 s[0:1], v21, v22
	s_waitcnt lgkmcnt(0)
	v_add_u32_e32 v18, v20, v18
	v_cndmask_b32_e64 v21, v21, v31, s[0:1]
	v_lshlrev_b32_e32 v21, 2, v21
	ds_bpermute_b32 v21, v21, v18
	ds_read_b32 v18, v19 offset:4
	s_and_saveexec_b64 s[0:1], s[18:19]
	s_cbranch_execz .LBB1353_183
; %bb.182:
	v_mov_b32_e32 v22, 0
	v_mov_b32_e32 v19, 2
	s_waitcnt lgkmcnt(0)
	global_store_dwordx2 v22, v[18:19], s[38:39] offset:512 sc1
.LBB1353_183:
	s_or_b64 exec, exec, s[0:1]
	s_waitcnt lgkmcnt(1)
	v_cndmask_b32_e32 v19, v21, v20, vcc
	v_cndmask_b32_e64 v30, v19, 0, s[18:19]
	v_add_u32_e32 v28, v30, v1
	v_add_u32_e32 v26, v28, v15
	;; [unrolled: 1-line block ×4, first 2 shown]
	s_waitcnt lgkmcnt(0)
	s_barrier
	v_mov_b32_e32 v20, 0
.LBB1353_184:
	s_movk_i32 s0, 0x81
	v_cmp_gt_u32_e64 s[2:3], s0, v18
	v_add_u32_e32 v15, v20, v18
	v_and_b32_e32 v1, 1, v16
	s_mov_b64 s[6:7], -1
	s_and_b64 vcc, exec, s[2:3]
	v_cmp_lt_u32_e64 s[0:1], v30, v15
	v_cmp_eq_u32_e64 s[4:5], 1, v1
	s_cbranch_vccz .LBB1353_196
; %bb.185:
	s_or_b64 s[0:1], s[34:35], s[0:1]
	s_and_b64 s[4:5], s[0:1], s[4:5]
	s_and_saveexec_b64 s[0:1], s[4:5]
	s_cbranch_execz .LBB1353_187
; %bb.186:
	s_lshl_b64 s[4:5], s[22:23], 3
	s_add_u32 s4, s28, s4
	s_addc_u32 s5, s29, s5
	v_mov_b32_e32 v31, 0
	v_lshl_add_u64 v[16:17], v[30:31], 3, s[4:5]
	global_store_dwordx2 v[16:17], v[6:7], off
.LBB1353_187:
	s_or_b64 exec, exec, s[0:1]
	v_cmp_lt_u32_e32 vcc, v28, v15
	v_and_b32_e32 v16, 1, v35
	s_or_b64 s[0:1], s[34:35], vcc
	v_cmp_eq_u32_e32 vcc, 1, v16
	s_and_b64 s[4:5], s[0:1], vcc
	s_and_saveexec_b64 s[0:1], s[4:5]
	s_cbranch_execz .LBB1353_189
; %bb.188:
	s_lshl_b64 s[4:5], s[22:23], 3
	s_add_u32 s4, s28, s4
	s_addc_u32 s5, s29, s5
	v_mov_b32_e32 v29, 0
	v_lshl_add_u64 v[16:17], v[28:29], 3, s[4:5]
	global_store_dwordx2 v[16:17], v[8:9], off
.LBB1353_189:
	s_or_b64 exec, exec, s[0:1]
	v_cmp_lt_u32_e32 vcc, v26, v15
	v_and_b32_e32 v16, 1, v34
	s_or_b64 s[0:1], s[34:35], vcc
	v_cmp_eq_u32_e32 vcc, 1, v16
	s_and_b64 s[4:5], s[0:1], vcc
	s_and_saveexec_b64 s[0:1], s[4:5]
	s_cbranch_execz .LBB1353_191
; %bb.190:
	s_lshl_b64 s[4:5], s[22:23], 3
	s_add_u32 s4, s28, s4
	s_addc_u32 s5, s29, s5
	v_mov_b32_e32 v27, 0
	v_lshl_add_u64 v[16:17], v[26:27], 3, s[4:5]
	global_store_dwordx2 v[16:17], v[2:3], off
.LBB1353_191:
	s_or_b64 exec, exec, s[0:1]
	v_cmp_lt_u32_e32 vcc, v24, v15
	v_and_b32_e32 v16, 1, v14
	s_or_b64 s[0:1], s[34:35], vcc
	v_cmp_eq_u32_e32 vcc, 1, v16
	s_and_b64 s[4:5], s[0:1], vcc
	s_and_saveexec_b64 s[0:1], s[4:5]
	s_cbranch_execz .LBB1353_193
; %bb.192:
	s_lshl_b64 s[4:5], s[22:23], 3
	s_add_u32 s4, s28, s4
	s_addc_u32 s5, s29, s5
	v_mov_b32_e32 v25, 0
	v_lshl_add_u64 v[16:17], v[24:25], 3, s[4:5]
	global_store_dwordx2 v[16:17], v[4:5], off
.LBB1353_193:
	s_or_b64 exec, exec, s[0:1]
	v_cmp_lt_u32_e32 vcc, v22, v15
	v_and_b32_e32 v16, 1, v33
	s_or_b64 s[0:1], s[34:35], vcc
	v_cmp_eq_u32_e32 vcc, 1, v16
	s_and_b64 s[4:5], s[0:1], vcc
	s_and_saveexec_b64 s[0:1], s[4:5]
	s_cbranch_execz .LBB1353_195
; %bb.194:
	s_lshl_b64 s[4:5], s[22:23], 3
	s_add_u32 s4, s28, s4
	s_addc_u32 s5, s29, s5
	v_mov_b32_e32 v23, 0
	v_lshl_add_u64 v[16:17], v[22:23], 3, s[4:5]
	global_store_dwordx2 v[16:17], v[12:13], off
.LBB1353_195:
	s_or_b64 exec, exec, s[0:1]
	s_mov_b64 s[6:7], 0
.LBB1353_196:
	s_and_b64 vcc, exec, s[6:7]
	s_cbranch_vccz .LBB1353_210
; %bb.197:
	v_cmp_eq_u32_e32 vcc, 1, v1
	s_and_saveexec_b64 s[0:1], vcc
; %bb.198:
	v_sub_u32_e32 v16, v30, v20
	v_lshlrev_b32_e32 v16, 3, v16
	ds_write_b64 v16, v[6:7]
; %bb.199:
	s_or_b64 exec, exec, s[0:1]
	v_and_b32_e32 v6, 1, v35
	v_cmp_eq_u32_e32 vcc, 1, v6
	s_and_saveexec_b64 s[0:1], vcc
; %bb.200:
	v_sub_u32_e32 v6, v28, v20
	v_lshlrev_b32_e32 v6, 3, v6
	ds_write_b64 v6, v[8:9]
; %bb.201:
	s_or_b64 exec, exec, s[0:1]
	v_and_b32_e32 v6, 1, v34
	;; [unrolled: 9-line block ×4, first 2 shown]
	v_cmp_eq_u32_e32 vcc, 1, v2
	s_and_saveexec_b64 s[0:1], vcc
; %bb.206:
	v_sub_u32_e32 v2, v22, v20
	v_lshlrev_b32_e32 v2, 3, v2
	ds_write_b64 v2, v[12:13]
; %bb.207:
	s_or_b64 exec, exec, s[0:1]
	v_mov_b32_e32 v3, 0
	v_mov_b32_e32 v21, v3
	v_lshlrev_b64 v[4:5], 3, v[20:21]
	v_lshl_add_u64 v[4:5], s[28:29], 0, v[4:5]
	s_lshl_b64 s[0:1], s[22:23], 3
	v_lshl_add_u64 v[4:5], v[4:5], 0, s[0:1]
	v_lshlrev_b32_e32 v6, 3, v0
	s_mov_b64 s[0:1], 0
	v_mov_b32_e32 v2, v0
	s_waitcnt lgkmcnt(0)
	s_barrier
.LBB1353_208:                           ; =>This Inner Loop Header: Depth=1
	ds_read_b64 v[8:9], v6
	v_lshl_add_u64 v[12:13], v[2:3], 3, v[4:5]
	v_add_u32_e32 v2, 0x80, v2
	v_cmp_ge_u32_e32 vcc, v2, v18
	v_add_u32_e32 v6, 0x400, v6
	s_or_b64 s[0:1], vcc, s[0:1]
	s_waitcnt lgkmcnt(0)
	global_store_dwordx2 v[12:13], v[8:9], off
	s_andn2_b64 exec, exec, s[0:1]
	s_cbranch_execnz .LBB1353_208
; %bb.209:
	s_or_b64 exec, exec, s[0:1]
.LBB1353_210:
	s_mov_b64 s[0:1], -1
	s_and_b64 vcc, exec, s[2:3]
	s_barrier
	s_cbranch_vccnz .LBB1353_214
; %bb.211:
	s_and_b64 vcc, exec, s[0:1]
	s_cbranch_vccnz .LBB1353_225
.LBB1353_212:
	s_and_b64 s[0:1], s[18:19], s[24:25]
	s_and_saveexec_b64 s[2:3], s[0:1]
	s_cbranch_execnz .LBB1353_238
.LBB1353_213:
	s_endpgm
.LBB1353_214:
	v_cmp_lt_u32_e32 vcc, v30, v15
	s_or_b64 s[0:1], s[34:35], vcc
	v_cmp_eq_u32_e32 vcc, 1, v1
	s_and_b64 s[2:3], s[0:1], vcc
	s_and_saveexec_b64 s[0:1], s[2:3]
	s_cbranch_execz .LBB1353_216
; %bb.215:
	s_lshl_b64 s[2:3], s[22:23], 3
	s_add_u32 s2, s30, s2
	s_addc_u32 s3, s31, s3
	v_mov_b32_e32 v31, 0
	v_lshl_add_u64 v[2:3], v[30:31], 3, s[2:3]
	global_store_dwordx2 v[2:3], v[56:57], off
.LBB1353_216:
	s_or_b64 exec, exec, s[0:1]
	v_cmp_lt_u32_e32 vcc, v28, v15
	v_and_b32_e32 v2, 1, v35
	s_or_b64 s[0:1], s[34:35], vcc
	v_cmp_eq_u32_e32 vcc, 1, v2
	s_and_b64 s[2:3], s[0:1], vcc
	s_and_saveexec_b64 s[0:1], s[2:3]
	s_cbranch_execz .LBB1353_218
; %bb.217:
	s_lshl_b64 s[2:3], s[22:23], 3
	s_add_u32 s2, s30, s2
	s_addc_u32 s3, s31, s3
	v_mov_b32_e32 v29, 0
	v_lshl_add_u64 v[2:3], v[28:29], 3, s[2:3]
	global_store_dwordx2 v[2:3], v[58:59], off
.LBB1353_218:
	s_or_b64 exec, exec, s[0:1]
	v_cmp_lt_u32_e32 vcc, v26, v15
	v_and_b32_e32 v2, 1, v34
	;; [unrolled: 16-line block ×4, first 2 shown]
	s_or_b64 s[0:1], s[34:35], vcc
	v_cmp_eq_u32_e32 vcc, 1, v2
	s_and_b64 s[2:3], s[0:1], vcc
	s_and_saveexec_b64 s[0:1], s[2:3]
	s_cbranch_execz .LBB1353_224
; %bb.223:
	s_lshl_b64 s[2:3], s[22:23], 3
	s_add_u32 s2, s30, s2
	s_addc_u32 s3, s31, s3
	v_mov_b32_e32 v23, 0
	v_lshl_add_u64 v[2:3], v[22:23], 3, s[2:3]
	global_store_dwordx2 v[2:3], v[10:11], off
.LBB1353_224:
	s_or_b64 exec, exec, s[0:1]
	s_branch .LBB1353_212
.LBB1353_225:
	v_cmp_eq_u32_e32 vcc, 1, v1
	s_and_saveexec_b64 s[0:1], vcc
; %bb.226:
	v_sub_u32_e32 v1, v30, v20
	v_lshlrev_b32_e32 v1, 3, v1
	ds_write_b64 v1, v[56:57]
; %bb.227:
	s_or_b64 exec, exec, s[0:1]
	v_and_b32_e32 v1, 1, v35
	v_cmp_eq_u32_e32 vcc, 1, v1
	s_and_saveexec_b64 s[0:1], vcc
; %bb.228:
	v_sub_u32_e32 v1, v28, v20
	v_lshlrev_b32_e32 v1, 3, v1
	ds_write_b64 v1, v[58:59]
; %bb.229:
	s_or_b64 exec, exec, s[0:1]
	v_and_b32_e32 v1, 1, v34
	;; [unrolled: 9-line block ×4, first 2 shown]
	v_cmp_eq_u32_e32 vcc, 1, v1
	s_and_saveexec_b64 s[0:1], vcc
; %bb.234:
	v_sub_u32_e32 v1, v22, v20
	v_lshlrev_b32_e32 v1, 3, v1
	ds_write_b64 v1, v[10:11]
; %bb.235:
	s_or_b64 exec, exec, s[0:1]
	v_mov_b32_e32 v1, 0
	v_mov_b32_e32 v21, v1
	v_lshlrev_b64 v[2:3], 3, v[20:21]
	v_lshl_add_u64 v[2:3], s[30:31], 0, v[2:3]
	s_lshl_b64 s[0:1], s[22:23], 3
	v_lshl_add_u64 v[2:3], v[2:3], 0, s[0:1]
	s_mov_b64 s[0:1], 0
	s_waitcnt lgkmcnt(0)
	s_barrier
.LBB1353_236:                           ; =>This Inner Loop Header: Depth=1
	ds_read_b64 v[4:5], v32
	v_lshl_add_u64 v[6:7], v[0:1], 3, v[2:3]
	v_add_u32_e32 v0, 0x80, v0
	v_cmp_ge_u32_e32 vcc, v0, v18
	v_add_u32_e32 v32, 0x400, v32
	s_or_b64 s[0:1], vcc, s[0:1]
	s_waitcnt lgkmcnt(0)
	global_store_dwordx2 v[6:7], v[4:5], off
	s_andn2_b64 exec, exec, s[0:1]
	s_cbranch_execnz .LBB1353_236
; %bb.237:
	s_or_b64 exec, exec, s[0:1]
	s_and_b64 s[0:1], s[18:19], s[24:25]
	s_and_saveexec_b64 s[2:3], s[0:1]
	s_cbranch_execz .LBB1353_213
.LBB1353_238:
	v_mov_b32_e32 v19, 0
	v_lshl_add_u64 v[0:1], s[22:23], 0, v[18:19]
	v_mov_b32_e32 v21, v19
	v_lshl_add_u64 v[0:1], v[0:1], 0, v[20:21]
	global_store_dwordx2 v19, v[0:1], s[20:21]
	s_endpgm
	.section	.rodata,"a",@progbits
	.p2align	6, 0x0
	.amdhsa_kernel _ZN7rocprim17ROCPRIM_400000_NS6detail17trampoline_kernelINS0_14default_configENS1_25partition_config_selectorILNS1_17partition_subalgoE9EllbEEZZNS1_14partition_implILS5_9ELb0ES3_jPlS8_PNS0_10empty_typeENS0_5tupleIJS8_S9_EEENSB_IJS8_SA_EEENS0_18inequality_wrapperIZN2at6native12_GLOBAL__N_124unique_dim_cuda_templateIN3c104HalfEEESt5tupleIJNSF_6TensorESM_SM_EERKSM_lbbbEUlllE0_EEPmJS9_EEE10hipError_tPvRmT3_T4_T5_T6_T7_T9_mT8_P12ihipStream_tbDpT10_ENKUlT_T0_E_clISt17integral_constantIbLb0EES1B_IbLb1EEEEDaS17_S18_EUlS17_E_NS1_11comp_targetILNS1_3genE0ELNS1_11target_archE4294967295ELNS1_3gpuE0ELNS1_3repE0EEENS1_30default_config_static_selectorELNS0_4arch9wavefront6targetE1EEEvT1_
		.amdhsa_group_segment_fixed_size 5128
		.amdhsa_private_segment_fixed_size 0
		.amdhsa_kernarg_size 136
		.amdhsa_user_sgpr_count 2
		.amdhsa_user_sgpr_dispatch_ptr 0
		.amdhsa_user_sgpr_queue_ptr 0
		.amdhsa_user_sgpr_kernarg_segment_ptr 1
		.amdhsa_user_sgpr_dispatch_id 0
		.amdhsa_user_sgpr_kernarg_preload_length 0
		.amdhsa_user_sgpr_kernarg_preload_offset 0
		.amdhsa_user_sgpr_private_segment_size 0
		.amdhsa_uses_dynamic_stack 0
		.amdhsa_enable_private_segment 0
		.amdhsa_system_sgpr_workgroup_id_x 1
		.amdhsa_system_sgpr_workgroup_id_y 0
		.amdhsa_system_sgpr_workgroup_id_z 0
		.amdhsa_system_sgpr_workgroup_info 0
		.amdhsa_system_vgpr_workitem_id 0
		.amdhsa_next_free_vgpr 60
		.amdhsa_next_free_sgpr 52
		.amdhsa_accum_offset 60
		.amdhsa_reserve_vcc 1
		.amdhsa_float_round_mode_32 0
		.amdhsa_float_round_mode_16_64 0
		.amdhsa_float_denorm_mode_32 3
		.amdhsa_float_denorm_mode_16_64 3
		.amdhsa_dx10_clamp 1
		.amdhsa_ieee_mode 1
		.amdhsa_fp16_overflow 0
		.amdhsa_tg_split 0
		.amdhsa_exception_fp_ieee_invalid_op 0
		.amdhsa_exception_fp_denorm_src 0
		.amdhsa_exception_fp_ieee_div_zero 0
		.amdhsa_exception_fp_ieee_overflow 0
		.amdhsa_exception_fp_ieee_underflow 0
		.amdhsa_exception_fp_ieee_inexact 0
		.amdhsa_exception_int_div_zero 0
	.end_amdhsa_kernel
	.section	.text._ZN7rocprim17ROCPRIM_400000_NS6detail17trampoline_kernelINS0_14default_configENS1_25partition_config_selectorILNS1_17partition_subalgoE9EllbEEZZNS1_14partition_implILS5_9ELb0ES3_jPlS8_PNS0_10empty_typeENS0_5tupleIJS8_S9_EEENSB_IJS8_SA_EEENS0_18inequality_wrapperIZN2at6native12_GLOBAL__N_124unique_dim_cuda_templateIN3c104HalfEEESt5tupleIJNSF_6TensorESM_SM_EERKSM_lbbbEUlllE0_EEPmJS9_EEE10hipError_tPvRmT3_T4_T5_T6_T7_T9_mT8_P12ihipStream_tbDpT10_ENKUlT_T0_E_clISt17integral_constantIbLb0EES1B_IbLb1EEEEDaS17_S18_EUlS17_E_NS1_11comp_targetILNS1_3genE0ELNS1_11target_archE4294967295ELNS1_3gpuE0ELNS1_3repE0EEENS1_30default_config_static_selectorELNS0_4arch9wavefront6targetE1EEEvT1_,"axG",@progbits,_ZN7rocprim17ROCPRIM_400000_NS6detail17trampoline_kernelINS0_14default_configENS1_25partition_config_selectorILNS1_17partition_subalgoE9EllbEEZZNS1_14partition_implILS5_9ELb0ES3_jPlS8_PNS0_10empty_typeENS0_5tupleIJS8_S9_EEENSB_IJS8_SA_EEENS0_18inequality_wrapperIZN2at6native12_GLOBAL__N_124unique_dim_cuda_templateIN3c104HalfEEESt5tupleIJNSF_6TensorESM_SM_EERKSM_lbbbEUlllE0_EEPmJS9_EEE10hipError_tPvRmT3_T4_T5_T6_T7_T9_mT8_P12ihipStream_tbDpT10_ENKUlT_T0_E_clISt17integral_constantIbLb0EES1B_IbLb1EEEEDaS17_S18_EUlS17_E_NS1_11comp_targetILNS1_3genE0ELNS1_11target_archE4294967295ELNS1_3gpuE0ELNS1_3repE0EEENS1_30default_config_static_selectorELNS0_4arch9wavefront6targetE1EEEvT1_,comdat
.Lfunc_end1353:
	.size	_ZN7rocprim17ROCPRIM_400000_NS6detail17trampoline_kernelINS0_14default_configENS1_25partition_config_selectorILNS1_17partition_subalgoE9EllbEEZZNS1_14partition_implILS5_9ELb0ES3_jPlS8_PNS0_10empty_typeENS0_5tupleIJS8_S9_EEENSB_IJS8_SA_EEENS0_18inequality_wrapperIZN2at6native12_GLOBAL__N_124unique_dim_cuda_templateIN3c104HalfEEESt5tupleIJNSF_6TensorESM_SM_EERKSM_lbbbEUlllE0_EEPmJS9_EEE10hipError_tPvRmT3_T4_T5_T6_T7_T9_mT8_P12ihipStream_tbDpT10_ENKUlT_T0_E_clISt17integral_constantIbLb0EES1B_IbLb1EEEEDaS17_S18_EUlS17_E_NS1_11comp_targetILNS1_3genE0ELNS1_11target_archE4294967295ELNS1_3gpuE0ELNS1_3repE0EEENS1_30default_config_static_selectorELNS0_4arch9wavefront6targetE1EEEvT1_, .Lfunc_end1353-_ZN7rocprim17ROCPRIM_400000_NS6detail17trampoline_kernelINS0_14default_configENS1_25partition_config_selectorILNS1_17partition_subalgoE9EllbEEZZNS1_14partition_implILS5_9ELb0ES3_jPlS8_PNS0_10empty_typeENS0_5tupleIJS8_S9_EEENSB_IJS8_SA_EEENS0_18inequality_wrapperIZN2at6native12_GLOBAL__N_124unique_dim_cuda_templateIN3c104HalfEEESt5tupleIJNSF_6TensorESM_SM_EERKSM_lbbbEUlllE0_EEPmJS9_EEE10hipError_tPvRmT3_T4_T5_T6_T7_T9_mT8_P12ihipStream_tbDpT10_ENKUlT_T0_E_clISt17integral_constantIbLb0EES1B_IbLb1EEEEDaS17_S18_EUlS17_E_NS1_11comp_targetILNS1_3genE0ELNS1_11target_archE4294967295ELNS1_3gpuE0ELNS1_3repE0EEENS1_30default_config_static_selectorELNS0_4arch9wavefront6targetE1EEEvT1_
                                        ; -- End function
	.set _ZN7rocprim17ROCPRIM_400000_NS6detail17trampoline_kernelINS0_14default_configENS1_25partition_config_selectorILNS1_17partition_subalgoE9EllbEEZZNS1_14partition_implILS5_9ELb0ES3_jPlS8_PNS0_10empty_typeENS0_5tupleIJS8_S9_EEENSB_IJS8_SA_EEENS0_18inequality_wrapperIZN2at6native12_GLOBAL__N_124unique_dim_cuda_templateIN3c104HalfEEESt5tupleIJNSF_6TensorESM_SM_EERKSM_lbbbEUlllE0_EEPmJS9_EEE10hipError_tPvRmT3_T4_T5_T6_T7_T9_mT8_P12ihipStream_tbDpT10_ENKUlT_T0_E_clISt17integral_constantIbLb0EES1B_IbLb1EEEEDaS17_S18_EUlS17_E_NS1_11comp_targetILNS1_3genE0ELNS1_11target_archE4294967295ELNS1_3gpuE0ELNS1_3repE0EEENS1_30default_config_static_selectorELNS0_4arch9wavefront6targetE1EEEvT1_.num_vgpr, 60
	.set _ZN7rocprim17ROCPRIM_400000_NS6detail17trampoline_kernelINS0_14default_configENS1_25partition_config_selectorILNS1_17partition_subalgoE9EllbEEZZNS1_14partition_implILS5_9ELb0ES3_jPlS8_PNS0_10empty_typeENS0_5tupleIJS8_S9_EEENSB_IJS8_SA_EEENS0_18inequality_wrapperIZN2at6native12_GLOBAL__N_124unique_dim_cuda_templateIN3c104HalfEEESt5tupleIJNSF_6TensorESM_SM_EERKSM_lbbbEUlllE0_EEPmJS9_EEE10hipError_tPvRmT3_T4_T5_T6_T7_T9_mT8_P12ihipStream_tbDpT10_ENKUlT_T0_E_clISt17integral_constantIbLb0EES1B_IbLb1EEEEDaS17_S18_EUlS17_E_NS1_11comp_targetILNS1_3genE0ELNS1_11target_archE4294967295ELNS1_3gpuE0ELNS1_3repE0EEENS1_30default_config_static_selectorELNS0_4arch9wavefront6targetE1EEEvT1_.num_agpr, 0
	.set _ZN7rocprim17ROCPRIM_400000_NS6detail17trampoline_kernelINS0_14default_configENS1_25partition_config_selectorILNS1_17partition_subalgoE9EllbEEZZNS1_14partition_implILS5_9ELb0ES3_jPlS8_PNS0_10empty_typeENS0_5tupleIJS8_S9_EEENSB_IJS8_SA_EEENS0_18inequality_wrapperIZN2at6native12_GLOBAL__N_124unique_dim_cuda_templateIN3c104HalfEEESt5tupleIJNSF_6TensorESM_SM_EERKSM_lbbbEUlllE0_EEPmJS9_EEE10hipError_tPvRmT3_T4_T5_T6_T7_T9_mT8_P12ihipStream_tbDpT10_ENKUlT_T0_E_clISt17integral_constantIbLb0EES1B_IbLb1EEEEDaS17_S18_EUlS17_E_NS1_11comp_targetILNS1_3genE0ELNS1_11target_archE4294967295ELNS1_3gpuE0ELNS1_3repE0EEENS1_30default_config_static_selectorELNS0_4arch9wavefront6targetE1EEEvT1_.numbered_sgpr, 52
	.set _ZN7rocprim17ROCPRIM_400000_NS6detail17trampoline_kernelINS0_14default_configENS1_25partition_config_selectorILNS1_17partition_subalgoE9EllbEEZZNS1_14partition_implILS5_9ELb0ES3_jPlS8_PNS0_10empty_typeENS0_5tupleIJS8_S9_EEENSB_IJS8_SA_EEENS0_18inequality_wrapperIZN2at6native12_GLOBAL__N_124unique_dim_cuda_templateIN3c104HalfEEESt5tupleIJNSF_6TensorESM_SM_EERKSM_lbbbEUlllE0_EEPmJS9_EEE10hipError_tPvRmT3_T4_T5_T6_T7_T9_mT8_P12ihipStream_tbDpT10_ENKUlT_T0_E_clISt17integral_constantIbLb0EES1B_IbLb1EEEEDaS17_S18_EUlS17_E_NS1_11comp_targetILNS1_3genE0ELNS1_11target_archE4294967295ELNS1_3gpuE0ELNS1_3repE0EEENS1_30default_config_static_selectorELNS0_4arch9wavefront6targetE1EEEvT1_.num_named_barrier, 0
	.set _ZN7rocprim17ROCPRIM_400000_NS6detail17trampoline_kernelINS0_14default_configENS1_25partition_config_selectorILNS1_17partition_subalgoE9EllbEEZZNS1_14partition_implILS5_9ELb0ES3_jPlS8_PNS0_10empty_typeENS0_5tupleIJS8_S9_EEENSB_IJS8_SA_EEENS0_18inequality_wrapperIZN2at6native12_GLOBAL__N_124unique_dim_cuda_templateIN3c104HalfEEESt5tupleIJNSF_6TensorESM_SM_EERKSM_lbbbEUlllE0_EEPmJS9_EEE10hipError_tPvRmT3_T4_T5_T6_T7_T9_mT8_P12ihipStream_tbDpT10_ENKUlT_T0_E_clISt17integral_constantIbLb0EES1B_IbLb1EEEEDaS17_S18_EUlS17_E_NS1_11comp_targetILNS1_3genE0ELNS1_11target_archE4294967295ELNS1_3gpuE0ELNS1_3repE0EEENS1_30default_config_static_selectorELNS0_4arch9wavefront6targetE1EEEvT1_.private_seg_size, 0
	.set _ZN7rocprim17ROCPRIM_400000_NS6detail17trampoline_kernelINS0_14default_configENS1_25partition_config_selectorILNS1_17partition_subalgoE9EllbEEZZNS1_14partition_implILS5_9ELb0ES3_jPlS8_PNS0_10empty_typeENS0_5tupleIJS8_S9_EEENSB_IJS8_SA_EEENS0_18inequality_wrapperIZN2at6native12_GLOBAL__N_124unique_dim_cuda_templateIN3c104HalfEEESt5tupleIJNSF_6TensorESM_SM_EERKSM_lbbbEUlllE0_EEPmJS9_EEE10hipError_tPvRmT3_T4_T5_T6_T7_T9_mT8_P12ihipStream_tbDpT10_ENKUlT_T0_E_clISt17integral_constantIbLb0EES1B_IbLb1EEEEDaS17_S18_EUlS17_E_NS1_11comp_targetILNS1_3genE0ELNS1_11target_archE4294967295ELNS1_3gpuE0ELNS1_3repE0EEENS1_30default_config_static_selectorELNS0_4arch9wavefront6targetE1EEEvT1_.uses_vcc, 1
	.set _ZN7rocprim17ROCPRIM_400000_NS6detail17trampoline_kernelINS0_14default_configENS1_25partition_config_selectorILNS1_17partition_subalgoE9EllbEEZZNS1_14partition_implILS5_9ELb0ES3_jPlS8_PNS0_10empty_typeENS0_5tupleIJS8_S9_EEENSB_IJS8_SA_EEENS0_18inequality_wrapperIZN2at6native12_GLOBAL__N_124unique_dim_cuda_templateIN3c104HalfEEESt5tupleIJNSF_6TensorESM_SM_EERKSM_lbbbEUlllE0_EEPmJS9_EEE10hipError_tPvRmT3_T4_T5_T6_T7_T9_mT8_P12ihipStream_tbDpT10_ENKUlT_T0_E_clISt17integral_constantIbLb0EES1B_IbLb1EEEEDaS17_S18_EUlS17_E_NS1_11comp_targetILNS1_3genE0ELNS1_11target_archE4294967295ELNS1_3gpuE0ELNS1_3repE0EEENS1_30default_config_static_selectorELNS0_4arch9wavefront6targetE1EEEvT1_.uses_flat_scratch, 0
	.set _ZN7rocprim17ROCPRIM_400000_NS6detail17trampoline_kernelINS0_14default_configENS1_25partition_config_selectorILNS1_17partition_subalgoE9EllbEEZZNS1_14partition_implILS5_9ELb0ES3_jPlS8_PNS0_10empty_typeENS0_5tupleIJS8_S9_EEENSB_IJS8_SA_EEENS0_18inequality_wrapperIZN2at6native12_GLOBAL__N_124unique_dim_cuda_templateIN3c104HalfEEESt5tupleIJNSF_6TensorESM_SM_EERKSM_lbbbEUlllE0_EEPmJS9_EEE10hipError_tPvRmT3_T4_T5_T6_T7_T9_mT8_P12ihipStream_tbDpT10_ENKUlT_T0_E_clISt17integral_constantIbLb0EES1B_IbLb1EEEEDaS17_S18_EUlS17_E_NS1_11comp_targetILNS1_3genE0ELNS1_11target_archE4294967295ELNS1_3gpuE0ELNS1_3repE0EEENS1_30default_config_static_selectorELNS0_4arch9wavefront6targetE1EEEvT1_.has_dyn_sized_stack, 0
	.set _ZN7rocprim17ROCPRIM_400000_NS6detail17trampoline_kernelINS0_14default_configENS1_25partition_config_selectorILNS1_17partition_subalgoE9EllbEEZZNS1_14partition_implILS5_9ELb0ES3_jPlS8_PNS0_10empty_typeENS0_5tupleIJS8_S9_EEENSB_IJS8_SA_EEENS0_18inequality_wrapperIZN2at6native12_GLOBAL__N_124unique_dim_cuda_templateIN3c104HalfEEESt5tupleIJNSF_6TensorESM_SM_EERKSM_lbbbEUlllE0_EEPmJS9_EEE10hipError_tPvRmT3_T4_T5_T6_T7_T9_mT8_P12ihipStream_tbDpT10_ENKUlT_T0_E_clISt17integral_constantIbLb0EES1B_IbLb1EEEEDaS17_S18_EUlS17_E_NS1_11comp_targetILNS1_3genE0ELNS1_11target_archE4294967295ELNS1_3gpuE0ELNS1_3repE0EEENS1_30default_config_static_selectorELNS0_4arch9wavefront6targetE1EEEvT1_.has_recursion, 0
	.set _ZN7rocprim17ROCPRIM_400000_NS6detail17trampoline_kernelINS0_14default_configENS1_25partition_config_selectorILNS1_17partition_subalgoE9EllbEEZZNS1_14partition_implILS5_9ELb0ES3_jPlS8_PNS0_10empty_typeENS0_5tupleIJS8_S9_EEENSB_IJS8_SA_EEENS0_18inequality_wrapperIZN2at6native12_GLOBAL__N_124unique_dim_cuda_templateIN3c104HalfEEESt5tupleIJNSF_6TensorESM_SM_EERKSM_lbbbEUlllE0_EEPmJS9_EEE10hipError_tPvRmT3_T4_T5_T6_T7_T9_mT8_P12ihipStream_tbDpT10_ENKUlT_T0_E_clISt17integral_constantIbLb0EES1B_IbLb1EEEEDaS17_S18_EUlS17_E_NS1_11comp_targetILNS1_3genE0ELNS1_11target_archE4294967295ELNS1_3gpuE0ELNS1_3repE0EEENS1_30default_config_static_selectorELNS0_4arch9wavefront6targetE1EEEvT1_.has_indirect_call, 0
	.section	.AMDGPU.csdata,"",@progbits
; Kernel info:
; codeLenInByte = 9596
; TotalNumSgprs: 58
; NumVgprs: 60
; NumAgprs: 0
; TotalNumVgprs: 60
; ScratchSize: 0
; MemoryBound: 0
; FloatMode: 240
; IeeeMode: 1
; LDSByteSize: 5128 bytes/workgroup (compile time only)
; SGPRBlocks: 7
; VGPRBlocks: 7
; NumSGPRsForWavesPerEU: 58
; NumVGPRsForWavesPerEU: 60
; AccumOffset: 60
; Occupancy: 8
; WaveLimiterHint : 1
; COMPUTE_PGM_RSRC2:SCRATCH_EN: 0
; COMPUTE_PGM_RSRC2:USER_SGPR: 2
; COMPUTE_PGM_RSRC2:TRAP_HANDLER: 0
; COMPUTE_PGM_RSRC2:TGID_X_EN: 1
; COMPUTE_PGM_RSRC2:TGID_Y_EN: 0
; COMPUTE_PGM_RSRC2:TGID_Z_EN: 0
; COMPUTE_PGM_RSRC2:TIDIG_COMP_CNT: 0
; COMPUTE_PGM_RSRC3_GFX90A:ACCUM_OFFSET: 14
; COMPUTE_PGM_RSRC3_GFX90A:TG_SPLIT: 0
	.section	.text._ZN7rocprim17ROCPRIM_400000_NS6detail17trampoline_kernelINS0_14default_configENS1_25partition_config_selectorILNS1_17partition_subalgoE9EllbEEZZNS1_14partition_implILS5_9ELb0ES3_jPlS8_PNS0_10empty_typeENS0_5tupleIJS8_S9_EEENSB_IJS8_SA_EEENS0_18inequality_wrapperIZN2at6native12_GLOBAL__N_124unique_dim_cuda_templateIN3c104HalfEEESt5tupleIJNSF_6TensorESM_SM_EERKSM_lbbbEUlllE0_EEPmJS9_EEE10hipError_tPvRmT3_T4_T5_T6_T7_T9_mT8_P12ihipStream_tbDpT10_ENKUlT_T0_E_clISt17integral_constantIbLb0EES1B_IbLb1EEEEDaS17_S18_EUlS17_E_NS1_11comp_targetILNS1_3genE5ELNS1_11target_archE942ELNS1_3gpuE9ELNS1_3repE0EEENS1_30default_config_static_selectorELNS0_4arch9wavefront6targetE1EEEvT1_,"axG",@progbits,_ZN7rocprim17ROCPRIM_400000_NS6detail17trampoline_kernelINS0_14default_configENS1_25partition_config_selectorILNS1_17partition_subalgoE9EllbEEZZNS1_14partition_implILS5_9ELb0ES3_jPlS8_PNS0_10empty_typeENS0_5tupleIJS8_S9_EEENSB_IJS8_SA_EEENS0_18inequality_wrapperIZN2at6native12_GLOBAL__N_124unique_dim_cuda_templateIN3c104HalfEEESt5tupleIJNSF_6TensorESM_SM_EERKSM_lbbbEUlllE0_EEPmJS9_EEE10hipError_tPvRmT3_T4_T5_T6_T7_T9_mT8_P12ihipStream_tbDpT10_ENKUlT_T0_E_clISt17integral_constantIbLb0EES1B_IbLb1EEEEDaS17_S18_EUlS17_E_NS1_11comp_targetILNS1_3genE5ELNS1_11target_archE942ELNS1_3gpuE9ELNS1_3repE0EEENS1_30default_config_static_selectorELNS0_4arch9wavefront6targetE1EEEvT1_,comdat
	.globl	_ZN7rocprim17ROCPRIM_400000_NS6detail17trampoline_kernelINS0_14default_configENS1_25partition_config_selectorILNS1_17partition_subalgoE9EllbEEZZNS1_14partition_implILS5_9ELb0ES3_jPlS8_PNS0_10empty_typeENS0_5tupleIJS8_S9_EEENSB_IJS8_SA_EEENS0_18inequality_wrapperIZN2at6native12_GLOBAL__N_124unique_dim_cuda_templateIN3c104HalfEEESt5tupleIJNSF_6TensorESM_SM_EERKSM_lbbbEUlllE0_EEPmJS9_EEE10hipError_tPvRmT3_T4_T5_T6_T7_T9_mT8_P12ihipStream_tbDpT10_ENKUlT_T0_E_clISt17integral_constantIbLb0EES1B_IbLb1EEEEDaS17_S18_EUlS17_E_NS1_11comp_targetILNS1_3genE5ELNS1_11target_archE942ELNS1_3gpuE9ELNS1_3repE0EEENS1_30default_config_static_selectorELNS0_4arch9wavefront6targetE1EEEvT1_ ; -- Begin function _ZN7rocprim17ROCPRIM_400000_NS6detail17trampoline_kernelINS0_14default_configENS1_25partition_config_selectorILNS1_17partition_subalgoE9EllbEEZZNS1_14partition_implILS5_9ELb0ES3_jPlS8_PNS0_10empty_typeENS0_5tupleIJS8_S9_EEENSB_IJS8_SA_EEENS0_18inequality_wrapperIZN2at6native12_GLOBAL__N_124unique_dim_cuda_templateIN3c104HalfEEESt5tupleIJNSF_6TensorESM_SM_EERKSM_lbbbEUlllE0_EEPmJS9_EEE10hipError_tPvRmT3_T4_T5_T6_T7_T9_mT8_P12ihipStream_tbDpT10_ENKUlT_T0_E_clISt17integral_constantIbLb0EES1B_IbLb1EEEEDaS17_S18_EUlS17_E_NS1_11comp_targetILNS1_3genE5ELNS1_11target_archE942ELNS1_3gpuE9ELNS1_3repE0EEENS1_30default_config_static_selectorELNS0_4arch9wavefront6targetE1EEEvT1_
	.p2align	8
	.type	_ZN7rocprim17ROCPRIM_400000_NS6detail17trampoline_kernelINS0_14default_configENS1_25partition_config_selectorILNS1_17partition_subalgoE9EllbEEZZNS1_14partition_implILS5_9ELb0ES3_jPlS8_PNS0_10empty_typeENS0_5tupleIJS8_S9_EEENSB_IJS8_SA_EEENS0_18inequality_wrapperIZN2at6native12_GLOBAL__N_124unique_dim_cuda_templateIN3c104HalfEEESt5tupleIJNSF_6TensorESM_SM_EERKSM_lbbbEUlllE0_EEPmJS9_EEE10hipError_tPvRmT3_T4_T5_T6_T7_T9_mT8_P12ihipStream_tbDpT10_ENKUlT_T0_E_clISt17integral_constantIbLb0EES1B_IbLb1EEEEDaS17_S18_EUlS17_E_NS1_11comp_targetILNS1_3genE5ELNS1_11target_archE942ELNS1_3gpuE9ELNS1_3repE0EEENS1_30default_config_static_selectorELNS0_4arch9wavefront6targetE1EEEvT1_,@function
_ZN7rocprim17ROCPRIM_400000_NS6detail17trampoline_kernelINS0_14default_configENS1_25partition_config_selectorILNS1_17partition_subalgoE9EllbEEZZNS1_14partition_implILS5_9ELb0ES3_jPlS8_PNS0_10empty_typeENS0_5tupleIJS8_S9_EEENSB_IJS8_SA_EEENS0_18inequality_wrapperIZN2at6native12_GLOBAL__N_124unique_dim_cuda_templateIN3c104HalfEEESt5tupleIJNSF_6TensorESM_SM_EERKSM_lbbbEUlllE0_EEPmJS9_EEE10hipError_tPvRmT3_T4_T5_T6_T7_T9_mT8_P12ihipStream_tbDpT10_ENKUlT_T0_E_clISt17integral_constantIbLb0EES1B_IbLb1EEEEDaS17_S18_EUlS17_E_NS1_11comp_targetILNS1_3genE5ELNS1_11target_archE942ELNS1_3gpuE9ELNS1_3repE0EEENS1_30default_config_static_selectorELNS0_4arch9wavefront6targetE1EEEvT1_: ; @_ZN7rocprim17ROCPRIM_400000_NS6detail17trampoline_kernelINS0_14default_configENS1_25partition_config_selectorILNS1_17partition_subalgoE9EllbEEZZNS1_14partition_implILS5_9ELb0ES3_jPlS8_PNS0_10empty_typeENS0_5tupleIJS8_S9_EEENSB_IJS8_SA_EEENS0_18inequality_wrapperIZN2at6native12_GLOBAL__N_124unique_dim_cuda_templateIN3c104HalfEEESt5tupleIJNSF_6TensorESM_SM_EERKSM_lbbbEUlllE0_EEPmJS9_EEE10hipError_tPvRmT3_T4_T5_T6_T7_T9_mT8_P12ihipStream_tbDpT10_ENKUlT_T0_E_clISt17integral_constantIbLb0EES1B_IbLb1EEEEDaS17_S18_EUlS17_E_NS1_11comp_targetILNS1_3genE5ELNS1_11target_archE942ELNS1_3gpuE9ELNS1_3repE0EEENS1_30default_config_static_selectorELNS0_4arch9wavefront6targetE1EEEvT1_
; %bb.0:
	.section	.rodata,"a",@progbits
	.p2align	6, 0x0
	.amdhsa_kernel _ZN7rocprim17ROCPRIM_400000_NS6detail17trampoline_kernelINS0_14default_configENS1_25partition_config_selectorILNS1_17partition_subalgoE9EllbEEZZNS1_14partition_implILS5_9ELb0ES3_jPlS8_PNS0_10empty_typeENS0_5tupleIJS8_S9_EEENSB_IJS8_SA_EEENS0_18inequality_wrapperIZN2at6native12_GLOBAL__N_124unique_dim_cuda_templateIN3c104HalfEEESt5tupleIJNSF_6TensorESM_SM_EERKSM_lbbbEUlllE0_EEPmJS9_EEE10hipError_tPvRmT3_T4_T5_T6_T7_T9_mT8_P12ihipStream_tbDpT10_ENKUlT_T0_E_clISt17integral_constantIbLb0EES1B_IbLb1EEEEDaS17_S18_EUlS17_E_NS1_11comp_targetILNS1_3genE5ELNS1_11target_archE942ELNS1_3gpuE9ELNS1_3repE0EEENS1_30default_config_static_selectorELNS0_4arch9wavefront6targetE1EEEvT1_
		.amdhsa_group_segment_fixed_size 0
		.amdhsa_private_segment_fixed_size 0
		.amdhsa_kernarg_size 136
		.amdhsa_user_sgpr_count 2
		.amdhsa_user_sgpr_dispatch_ptr 0
		.amdhsa_user_sgpr_queue_ptr 0
		.amdhsa_user_sgpr_kernarg_segment_ptr 1
		.amdhsa_user_sgpr_dispatch_id 0
		.amdhsa_user_sgpr_kernarg_preload_length 0
		.amdhsa_user_sgpr_kernarg_preload_offset 0
		.amdhsa_user_sgpr_private_segment_size 0
		.amdhsa_uses_dynamic_stack 0
		.amdhsa_enable_private_segment 0
		.amdhsa_system_sgpr_workgroup_id_x 1
		.amdhsa_system_sgpr_workgroup_id_y 0
		.amdhsa_system_sgpr_workgroup_id_z 0
		.amdhsa_system_sgpr_workgroup_info 0
		.amdhsa_system_vgpr_workitem_id 0
		.amdhsa_next_free_vgpr 1
		.amdhsa_next_free_sgpr 0
		.amdhsa_accum_offset 4
		.amdhsa_reserve_vcc 0
		.amdhsa_float_round_mode_32 0
		.amdhsa_float_round_mode_16_64 0
		.amdhsa_float_denorm_mode_32 3
		.amdhsa_float_denorm_mode_16_64 3
		.amdhsa_dx10_clamp 1
		.amdhsa_ieee_mode 1
		.amdhsa_fp16_overflow 0
		.amdhsa_tg_split 0
		.amdhsa_exception_fp_ieee_invalid_op 0
		.amdhsa_exception_fp_denorm_src 0
		.amdhsa_exception_fp_ieee_div_zero 0
		.amdhsa_exception_fp_ieee_overflow 0
		.amdhsa_exception_fp_ieee_underflow 0
		.amdhsa_exception_fp_ieee_inexact 0
		.amdhsa_exception_int_div_zero 0
	.end_amdhsa_kernel
	.section	.text._ZN7rocprim17ROCPRIM_400000_NS6detail17trampoline_kernelINS0_14default_configENS1_25partition_config_selectorILNS1_17partition_subalgoE9EllbEEZZNS1_14partition_implILS5_9ELb0ES3_jPlS8_PNS0_10empty_typeENS0_5tupleIJS8_S9_EEENSB_IJS8_SA_EEENS0_18inequality_wrapperIZN2at6native12_GLOBAL__N_124unique_dim_cuda_templateIN3c104HalfEEESt5tupleIJNSF_6TensorESM_SM_EERKSM_lbbbEUlllE0_EEPmJS9_EEE10hipError_tPvRmT3_T4_T5_T6_T7_T9_mT8_P12ihipStream_tbDpT10_ENKUlT_T0_E_clISt17integral_constantIbLb0EES1B_IbLb1EEEEDaS17_S18_EUlS17_E_NS1_11comp_targetILNS1_3genE5ELNS1_11target_archE942ELNS1_3gpuE9ELNS1_3repE0EEENS1_30default_config_static_selectorELNS0_4arch9wavefront6targetE1EEEvT1_,"axG",@progbits,_ZN7rocprim17ROCPRIM_400000_NS6detail17trampoline_kernelINS0_14default_configENS1_25partition_config_selectorILNS1_17partition_subalgoE9EllbEEZZNS1_14partition_implILS5_9ELb0ES3_jPlS8_PNS0_10empty_typeENS0_5tupleIJS8_S9_EEENSB_IJS8_SA_EEENS0_18inequality_wrapperIZN2at6native12_GLOBAL__N_124unique_dim_cuda_templateIN3c104HalfEEESt5tupleIJNSF_6TensorESM_SM_EERKSM_lbbbEUlllE0_EEPmJS9_EEE10hipError_tPvRmT3_T4_T5_T6_T7_T9_mT8_P12ihipStream_tbDpT10_ENKUlT_T0_E_clISt17integral_constantIbLb0EES1B_IbLb1EEEEDaS17_S18_EUlS17_E_NS1_11comp_targetILNS1_3genE5ELNS1_11target_archE942ELNS1_3gpuE9ELNS1_3repE0EEENS1_30default_config_static_selectorELNS0_4arch9wavefront6targetE1EEEvT1_,comdat
.Lfunc_end1354:
	.size	_ZN7rocprim17ROCPRIM_400000_NS6detail17trampoline_kernelINS0_14default_configENS1_25partition_config_selectorILNS1_17partition_subalgoE9EllbEEZZNS1_14partition_implILS5_9ELb0ES3_jPlS8_PNS0_10empty_typeENS0_5tupleIJS8_S9_EEENSB_IJS8_SA_EEENS0_18inequality_wrapperIZN2at6native12_GLOBAL__N_124unique_dim_cuda_templateIN3c104HalfEEESt5tupleIJNSF_6TensorESM_SM_EERKSM_lbbbEUlllE0_EEPmJS9_EEE10hipError_tPvRmT3_T4_T5_T6_T7_T9_mT8_P12ihipStream_tbDpT10_ENKUlT_T0_E_clISt17integral_constantIbLb0EES1B_IbLb1EEEEDaS17_S18_EUlS17_E_NS1_11comp_targetILNS1_3genE5ELNS1_11target_archE942ELNS1_3gpuE9ELNS1_3repE0EEENS1_30default_config_static_selectorELNS0_4arch9wavefront6targetE1EEEvT1_, .Lfunc_end1354-_ZN7rocprim17ROCPRIM_400000_NS6detail17trampoline_kernelINS0_14default_configENS1_25partition_config_selectorILNS1_17partition_subalgoE9EllbEEZZNS1_14partition_implILS5_9ELb0ES3_jPlS8_PNS0_10empty_typeENS0_5tupleIJS8_S9_EEENSB_IJS8_SA_EEENS0_18inequality_wrapperIZN2at6native12_GLOBAL__N_124unique_dim_cuda_templateIN3c104HalfEEESt5tupleIJNSF_6TensorESM_SM_EERKSM_lbbbEUlllE0_EEPmJS9_EEE10hipError_tPvRmT3_T4_T5_T6_T7_T9_mT8_P12ihipStream_tbDpT10_ENKUlT_T0_E_clISt17integral_constantIbLb0EES1B_IbLb1EEEEDaS17_S18_EUlS17_E_NS1_11comp_targetILNS1_3genE5ELNS1_11target_archE942ELNS1_3gpuE9ELNS1_3repE0EEENS1_30default_config_static_selectorELNS0_4arch9wavefront6targetE1EEEvT1_
                                        ; -- End function
	.set _ZN7rocprim17ROCPRIM_400000_NS6detail17trampoline_kernelINS0_14default_configENS1_25partition_config_selectorILNS1_17partition_subalgoE9EllbEEZZNS1_14partition_implILS5_9ELb0ES3_jPlS8_PNS0_10empty_typeENS0_5tupleIJS8_S9_EEENSB_IJS8_SA_EEENS0_18inequality_wrapperIZN2at6native12_GLOBAL__N_124unique_dim_cuda_templateIN3c104HalfEEESt5tupleIJNSF_6TensorESM_SM_EERKSM_lbbbEUlllE0_EEPmJS9_EEE10hipError_tPvRmT3_T4_T5_T6_T7_T9_mT8_P12ihipStream_tbDpT10_ENKUlT_T0_E_clISt17integral_constantIbLb0EES1B_IbLb1EEEEDaS17_S18_EUlS17_E_NS1_11comp_targetILNS1_3genE5ELNS1_11target_archE942ELNS1_3gpuE9ELNS1_3repE0EEENS1_30default_config_static_selectorELNS0_4arch9wavefront6targetE1EEEvT1_.num_vgpr, 0
	.set _ZN7rocprim17ROCPRIM_400000_NS6detail17trampoline_kernelINS0_14default_configENS1_25partition_config_selectorILNS1_17partition_subalgoE9EllbEEZZNS1_14partition_implILS5_9ELb0ES3_jPlS8_PNS0_10empty_typeENS0_5tupleIJS8_S9_EEENSB_IJS8_SA_EEENS0_18inequality_wrapperIZN2at6native12_GLOBAL__N_124unique_dim_cuda_templateIN3c104HalfEEESt5tupleIJNSF_6TensorESM_SM_EERKSM_lbbbEUlllE0_EEPmJS9_EEE10hipError_tPvRmT3_T4_T5_T6_T7_T9_mT8_P12ihipStream_tbDpT10_ENKUlT_T0_E_clISt17integral_constantIbLb0EES1B_IbLb1EEEEDaS17_S18_EUlS17_E_NS1_11comp_targetILNS1_3genE5ELNS1_11target_archE942ELNS1_3gpuE9ELNS1_3repE0EEENS1_30default_config_static_selectorELNS0_4arch9wavefront6targetE1EEEvT1_.num_agpr, 0
	.set _ZN7rocprim17ROCPRIM_400000_NS6detail17trampoline_kernelINS0_14default_configENS1_25partition_config_selectorILNS1_17partition_subalgoE9EllbEEZZNS1_14partition_implILS5_9ELb0ES3_jPlS8_PNS0_10empty_typeENS0_5tupleIJS8_S9_EEENSB_IJS8_SA_EEENS0_18inequality_wrapperIZN2at6native12_GLOBAL__N_124unique_dim_cuda_templateIN3c104HalfEEESt5tupleIJNSF_6TensorESM_SM_EERKSM_lbbbEUlllE0_EEPmJS9_EEE10hipError_tPvRmT3_T4_T5_T6_T7_T9_mT8_P12ihipStream_tbDpT10_ENKUlT_T0_E_clISt17integral_constantIbLb0EES1B_IbLb1EEEEDaS17_S18_EUlS17_E_NS1_11comp_targetILNS1_3genE5ELNS1_11target_archE942ELNS1_3gpuE9ELNS1_3repE0EEENS1_30default_config_static_selectorELNS0_4arch9wavefront6targetE1EEEvT1_.numbered_sgpr, 0
	.set _ZN7rocprim17ROCPRIM_400000_NS6detail17trampoline_kernelINS0_14default_configENS1_25partition_config_selectorILNS1_17partition_subalgoE9EllbEEZZNS1_14partition_implILS5_9ELb0ES3_jPlS8_PNS0_10empty_typeENS0_5tupleIJS8_S9_EEENSB_IJS8_SA_EEENS0_18inequality_wrapperIZN2at6native12_GLOBAL__N_124unique_dim_cuda_templateIN3c104HalfEEESt5tupleIJNSF_6TensorESM_SM_EERKSM_lbbbEUlllE0_EEPmJS9_EEE10hipError_tPvRmT3_T4_T5_T6_T7_T9_mT8_P12ihipStream_tbDpT10_ENKUlT_T0_E_clISt17integral_constantIbLb0EES1B_IbLb1EEEEDaS17_S18_EUlS17_E_NS1_11comp_targetILNS1_3genE5ELNS1_11target_archE942ELNS1_3gpuE9ELNS1_3repE0EEENS1_30default_config_static_selectorELNS0_4arch9wavefront6targetE1EEEvT1_.num_named_barrier, 0
	.set _ZN7rocprim17ROCPRIM_400000_NS6detail17trampoline_kernelINS0_14default_configENS1_25partition_config_selectorILNS1_17partition_subalgoE9EllbEEZZNS1_14partition_implILS5_9ELb0ES3_jPlS8_PNS0_10empty_typeENS0_5tupleIJS8_S9_EEENSB_IJS8_SA_EEENS0_18inequality_wrapperIZN2at6native12_GLOBAL__N_124unique_dim_cuda_templateIN3c104HalfEEESt5tupleIJNSF_6TensorESM_SM_EERKSM_lbbbEUlllE0_EEPmJS9_EEE10hipError_tPvRmT3_T4_T5_T6_T7_T9_mT8_P12ihipStream_tbDpT10_ENKUlT_T0_E_clISt17integral_constantIbLb0EES1B_IbLb1EEEEDaS17_S18_EUlS17_E_NS1_11comp_targetILNS1_3genE5ELNS1_11target_archE942ELNS1_3gpuE9ELNS1_3repE0EEENS1_30default_config_static_selectorELNS0_4arch9wavefront6targetE1EEEvT1_.private_seg_size, 0
	.set _ZN7rocprim17ROCPRIM_400000_NS6detail17trampoline_kernelINS0_14default_configENS1_25partition_config_selectorILNS1_17partition_subalgoE9EllbEEZZNS1_14partition_implILS5_9ELb0ES3_jPlS8_PNS0_10empty_typeENS0_5tupleIJS8_S9_EEENSB_IJS8_SA_EEENS0_18inequality_wrapperIZN2at6native12_GLOBAL__N_124unique_dim_cuda_templateIN3c104HalfEEESt5tupleIJNSF_6TensorESM_SM_EERKSM_lbbbEUlllE0_EEPmJS9_EEE10hipError_tPvRmT3_T4_T5_T6_T7_T9_mT8_P12ihipStream_tbDpT10_ENKUlT_T0_E_clISt17integral_constantIbLb0EES1B_IbLb1EEEEDaS17_S18_EUlS17_E_NS1_11comp_targetILNS1_3genE5ELNS1_11target_archE942ELNS1_3gpuE9ELNS1_3repE0EEENS1_30default_config_static_selectorELNS0_4arch9wavefront6targetE1EEEvT1_.uses_vcc, 0
	.set _ZN7rocprim17ROCPRIM_400000_NS6detail17trampoline_kernelINS0_14default_configENS1_25partition_config_selectorILNS1_17partition_subalgoE9EllbEEZZNS1_14partition_implILS5_9ELb0ES3_jPlS8_PNS0_10empty_typeENS0_5tupleIJS8_S9_EEENSB_IJS8_SA_EEENS0_18inequality_wrapperIZN2at6native12_GLOBAL__N_124unique_dim_cuda_templateIN3c104HalfEEESt5tupleIJNSF_6TensorESM_SM_EERKSM_lbbbEUlllE0_EEPmJS9_EEE10hipError_tPvRmT3_T4_T5_T6_T7_T9_mT8_P12ihipStream_tbDpT10_ENKUlT_T0_E_clISt17integral_constantIbLb0EES1B_IbLb1EEEEDaS17_S18_EUlS17_E_NS1_11comp_targetILNS1_3genE5ELNS1_11target_archE942ELNS1_3gpuE9ELNS1_3repE0EEENS1_30default_config_static_selectorELNS0_4arch9wavefront6targetE1EEEvT1_.uses_flat_scratch, 0
	.set _ZN7rocprim17ROCPRIM_400000_NS6detail17trampoline_kernelINS0_14default_configENS1_25partition_config_selectorILNS1_17partition_subalgoE9EllbEEZZNS1_14partition_implILS5_9ELb0ES3_jPlS8_PNS0_10empty_typeENS0_5tupleIJS8_S9_EEENSB_IJS8_SA_EEENS0_18inequality_wrapperIZN2at6native12_GLOBAL__N_124unique_dim_cuda_templateIN3c104HalfEEESt5tupleIJNSF_6TensorESM_SM_EERKSM_lbbbEUlllE0_EEPmJS9_EEE10hipError_tPvRmT3_T4_T5_T6_T7_T9_mT8_P12ihipStream_tbDpT10_ENKUlT_T0_E_clISt17integral_constantIbLb0EES1B_IbLb1EEEEDaS17_S18_EUlS17_E_NS1_11comp_targetILNS1_3genE5ELNS1_11target_archE942ELNS1_3gpuE9ELNS1_3repE0EEENS1_30default_config_static_selectorELNS0_4arch9wavefront6targetE1EEEvT1_.has_dyn_sized_stack, 0
	.set _ZN7rocprim17ROCPRIM_400000_NS6detail17trampoline_kernelINS0_14default_configENS1_25partition_config_selectorILNS1_17partition_subalgoE9EllbEEZZNS1_14partition_implILS5_9ELb0ES3_jPlS8_PNS0_10empty_typeENS0_5tupleIJS8_S9_EEENSB_IJS8_SA_EEENS0_18inequality_wrapperIZN2at6native12_GLOBAL__N_124unique_dim_cuda_templateIN3c104HalfEEESt5tupleIJNSF_6TensorESM_SM_EERKSM_lbbbEUlllE0_EEPmJS9_EEE10hipError_tPvRmT3_T4_T5_T6_T7_T9_mT8_P12ihipStream_tbDpT10_ENKUlT_T0_E_clISt17integral_constantIbLb0EES1B_IbLb1EEEEDaS17_S18_EUlS17_E_NS1_11comp_targetILNS1_3genE5ELNS1_11target_archE942ELNS1_3gpuE9ELNS1_3repE0EEENS1_30default_config_static_selectorELNS0_4arch9wavefront6targetE1EEEvT1_.has_recursion, 0
	.set _ZN7rocprim17ROCPRIM_400000_NS6detail17trampoline_kernelINS0_14default_configENS1_25partition_config_selectorILNS1_17partition_subalgoE9EllbEEZZNS1_14partition_implILS5_9ELb0ES3_jPlS8_PNS0_10empty_typeENS0_5tupleIJS8_S9_EEENSB_IJS8_SA_EEENS0_18inequality_wrapperIZN2at6native12_GLOBAL__N_124unique_dim_cuda_templateIN3c104HalfEEESt5tupleIJNSF_6TensorESM_SM_EERKSM_lbbbEUlllE0_EEPmJS9_EEE10hipError_tPvRmT3_T4_T5_T6_T7_T9_mT8_P12ihipStream_tbDpT10_ENKUlT_T0_E_clISt17integral_constantIbLb0EES1B_IbLb1EEEEDaS17_S18_EUlS17_E_NS1_11comp_targetILNS1_3genE5ELNS1_11target_archE942ELNS1_3gpuE9ELNS1_3repE0EEENS1_30default_config_static_selectorELNS0_4arch9wavefront6targetE1EEEvT1_.has_indirect_call, 0
	.section	.AMDGPU.csdata,"",@progbits
; Kernel info:
; codeLenInByte = 0
; TotalNumSgprs: 6
; NumVgprs: 0
; NumAgprs: 0
; TotalNumVgprs: 0
; ScratchSize: 0
; MemoryBound: 0
; FloatMode: 240
; IeeeMode: 1
; LDSByteSize: 0 bytes/workgroup (compile time only)
; SGPRBlocks: 0
; VGPRBlocks: 0
; NumSGPRsForWavesPerEU: 6
; NumVGPRsForWavesPerEU: 1
; AccumOffset: 4
; Occupancy: 8
; WaveLimiterHint : 0
; COMPUTE_PGM_RSRC2:SCRATCH_EN: 0
; COMPUTE_PGM_RSRC2:USER_SGPR: 2
; COMPUTE_PGM_RSRC2:TRAP_HANDLER: 0
; COMPUTE_PGM_RSRC2:TGID_X_EN: 1
; COMPUTE_PGM_RSRC2:TGID_Y_EN: 0
; COMPUTE_PGM_RSRC2:TGID_Z_EN: 0
; COMPUTE_PGM_RSRC2:TIDIG_COMP_CNT: 0
; COMPUTE_PGM_RSRC3_GFX90A:ACCUM_OFFSET: 0
; COMPUTE_PGM_RSRC3_GFX90A:TG_SPLIT: 0
	.section	.text._ZN7rocprim17ROCPRIM_400000_NS6detail17trampoline_kernelINS0_14default_configENS1_25partition_config_selectorILNS1_17partition_subalgoE9EllbEEZZNS1_14partition_implILS5_9ELb0ES3_jPlS8_PNS0_10empty_typeENS0_5tupleIJS8_S9_EEENSB_IJS8_SA_EEENS0_18inequality_wrapperIZN2at6native12_GLOBAL__N_124unique_dim_cuda_templateIN3c104HalfEEESt5tupleIJNSF_6TensorESM_SM_EERKSM_lbbbEUlllE0_EEPmJS9_EEE10hipError_tPvRmT3_T4_T5_T6_T7_T9_mT8_P12ihipStream_tbDpT10_ENKUlT_T0_E_clISt17integral_constantIbLb0EES1B_IbLb1EEEEDaS17_S18_EUlS17_E_NS1_11comp_targetILNS1_3genE4ELNS1_11target_archE910ELNS1_3gpuE8ELNS1_3repE0EEENS1_30default_config_static_selectorELNS0_4arch9wavefront6targetE1EEEvT1_,"axG",@progbits,_ZN7rocprim17ROCPRIM_400000_NS6detail17trampoline_kernelINS0_14default_configENS1_25partition_config_selectorILNS1_17partition_subalgoE9EllbEEZZNS1_14partition_implILS5_9ELb0ES3_jPlS8_PNS0_10empty_typeENS0_5tupleIJS8_S9_EEENSB_IJS8_SA_EEENS0_18inequality_wrapperIZN2at6native12_GLOBAL__N_124unique_dim_cuda_templateIN3c104HalfEEESt5tupleIJNSF_6TensorESM_SM_EERKSM_lbbbEUlllE0_EEPmJS9_EEE10hipError_tPvRmT3_T4_T5_T6_T7_T9_mT8_P12ihipStream_tbDpT10_ENKUlT_T0_E_clISt17integral_constantIbLb0EES1B_IbLb1EEEEDaS17_S18_EUlS17_E_NS1_11comp_targetILNS1_3genE4ELNS1_11target_archE910ELNS1_3gpuE8ELNS1_3repE0EEENS1_30default_config_static_selectorELNS0_4arch9wavefront6targetE1EEEvT1_,comdat
	.globl	_ZN7rocprim17ROCPRIM_400000_NS6detail17trampoline_kernelINS0_14default_configENS1_25partition_config_selectorILNS1_17partition_subalgoE9EllbEEZZNS1_14partition_implILS5_9ELb0ES3_jPlS8_PNS0_10empty_typeENS0_5tupleIJS8_S9_EEENSB_IJS8_SA_EEENS0_18inequality_wrapperIZN2at6native12_GLOBAL__N_124unique_dim_cuda_templateIN3c104HalfEEESt5tupleIJNSF_6TensorESM_SM_EERKSM_lbbbEUlllE0_EEPmJS9_EEE10hipError_tPvRmT3_T4_T5_T6_T7_T9_mT8_P12ihipStream_tbDpT10_ENKUlT_T0_E_clISt17integral_constantIbLb0EES1B_IbLb1EEEEDaS17_S18_EUlS17_E_NS1_11comp_targetILNS1_3genE4ELNS1_11target_archE910ELNS1_3gpuE8ELNS1_3repE0EEENS1_30default_config_static_selectorELNS0_4arch9wavefront6targetE1EEEvT1_ ; -- Begin function _ZN7rocprim17ROCPRIM_400000_NS6detail17trampoline_kernelINS0_14default_configENS1_25partition_config_selectorILNS1_17partition_subalgoE9EllbEEZZNS1_14partition_implILS5_9ELb0ES3_jPlS8_PNS0_10empty_typeENS0_5tupleIJS8_S9_EEENSB_IJS8_SA_EEENS0_18inequality_wrapperIZN2at6native12_GLOBAL__N_124unique_dim_cuda_templateIN3c104HalfEEESt5tupleIJNSF_6TensorESM_SM_EERKSM_lbbbEUlllE0_EEPmJS9_EEE10hipError_tPvRmT3_T4_T5_T6_T7_T9_mT8_P12ihipStream_tbDpT10_ENKUlT_T0_E_clISt17integral_constantIbLb0EES1B_IbLb1EEEEDaS17_S18_EUlS17_E_NS1_11comp_targetILNS1_3genE4ELNS1_11target_archE910ELNS1_3gpuE8ELNS1_3repE0EEENS1_30default_config_static_selectorELNS0_4arch9wavefront6targetE1EEEvT1_
	.p2align	8
	.type	_ZN7rocprim17ROCPRIM_400000_NS6detail17trampoline_kernelINS0_14default_configENS1_25partition_config_selectorILNS1_17partition_subalgoE9EllbEEZZNS1_14partition_implILS5_9ELb0ES3_jPlS8_PNS0_10empty_typeENS0_5tupleIJS8_S9_EEENSB_IJS8_SA_EEENS0_18inequality_wrapperIZN2at6native12_GLOBAL__N_124unique_dim_cuda_templateIN3c104HalfEEESt5tupleIJNSF_6TensorESM_SM_EERKSM_lbbbEUlllE0_EEPmJS9_EEE10hipError_tPvRmT3_T4_T5_T6_T7_T9_mT8_P12ihipStream_tbDpT10_ENKUlT_T0_E_clISt17integral_constantIbLb0EES1B_IbLb1EEEEDaS17_S18_EUlS17_E_NS1_11comp_targetILNS1_3genE4ELNS1_11target_archE910ELNS1_3gpuE8ELNS1_3repE0EEENS1_30default_config_static_selectorELNS0_4arch9wavefront6targetE1EEEvT1_,@function
_ZN7rocprim17ROCPRIM_400000_NS6detail17trampoline_kernelINS0_14default_configENS1_25partition_config_selectorILNS1_17partition_subalgoE9EllbEEZZNS1_14partition_implILS5_9ELb0ES3_jPlS8_PNS0_10empty_typeENS0_5tupleIJS8_S9_EEENSB_IJS8_SA_EEENS0_18inequality_wrapperIZN2at6native12_GLOBAL__N_124unique_dim_cuda_templateIN3c104HalfEEESt5tupleIJNSF_6TensorESM_SM_EERKSM_lbbbEUlllE0_EEPmJS9_EEE10hipError_tPvRmT3_T4_T5_T6_T7_T9_mT8_P12ihipStream_tbDpT10_ENKUlT_T0_E_clISt17integral_constantIbLb0EES1B_IbLb1EEEEDaS17_S18_EUlS17_E_NS1_11comp_targetILNS1_3genE4ELNS1_11target_archE910ELNS1_3gpuE8ELNS1_3repE0EEENS1_30default_config_static_selectorELNS0_4arch9wavefront6targetE1EEEvT1_: ; @_ZN7rocprim17ROCPRIM_400000_NS6detail17trampoline_kernelINS0_14default_configENS1_25partition_config_selectorILNS1_17partition_subalgoE9EllbEEZZNS1_14partition_implILS5_9ELb0ES3_jPlS8_PNS0_10empty_typeENS0_5tupleIJS8_S9_EEENSB_IJS8_SA_EEENS0_18inequality_wrapperIZN2at6native12_GLOBAL__N_124unique_dim_cuda_templateIN3c104HalfEEESt5tupleIJNSF_6TensorESM_SM_EERKSM_lbbbEUlllE0_EEPmJS9_EEE10hipError_tPvRmT3_T4_T5_T6_T7_T9_mT8_P12ihipStream_tbDpT10_ENKUlT_T0_E_clISt17integral_constantIbLb0EES1B_IbLb1EEEEDaS17_S18_EUlS17_E_NS1_11comp_targetILNS1_3genE4ELNS1_11target_archE910ELNS1_3gpuE8ELNS1_3repE0EEENS1_30default_config_static_selectorELNS0_4arch9wavefront6targetE1EEEvT1_
; %bb.0:
	.section	.rodata,"a",@progbits
	.p2align	6, 0x0
	.amdhsa_kernel _ZN7rocprim17ROCPRIM_400000_NS6detail17trampoline_kernelINS0_14default_configENS1_25partition_config_selectorILNS1_17partition_subalgoE9EllbEEZZNS1_14partition_implILS5_9ELb0ES3_jPlS8_PNS0_10empty_typeENS0_5tupleIJS8_S9_EEENSB_IJS8_SA_EEENS0_18inequality_wrapperIZN2at6native12_GLOBAL__N_124unique_dim_cuda_templateIN3c104HalfEEESt5tupleIJNSF_6TensorESM_SM_EERKSM_lbbbEUlllE0_EEPmJS9_EEE10hipError_tPvRmT3_T4_T5_T6_T7_T9_mT8_P12ihipStream_tbDpT10_ENKUlT_T0_E_clISt17integral_constantIbLb0EES1B_IbLb1EEEEDaS17_S18_EUlS17_E_NS1_11comp_targetILNS1_3genE4ELNS1_11target_archE910ELNS1_3gpuE8ELNS1_3repE0EEENS1_30default_config_static_selectorELNS0_4arch9wavefront6targetE1EEEvT1_
		.amdhsa_group_segment_fixed_size 0
		.amdhsa_private_segment_fixed_size 0
		.amdhsa_kernarg_size 136
		.amdhsa_user_sgpr_count 2
		.amdhsa_user_sgpr_dispatch_ptr 0
		.amdhsa_user_sgpr_queue_ptr 0
		.amdhsa_user_sgpr_kernarg_segment_ptr 1
		.amdhsa_user_sgpr_dispatch_id 0
		.amdhsa_user_sgpr_kernarg_preload_length 0
		.amdhsa_user_sgpr_kernarg_preload_offset 0
		.amdhsa_user_sgpr_private_segment_size 0
		.amdhsa_uses_dynamic_stack 0
		.amdhsa_enable_private_segment 0
		.amdhsa_system_sgpr_workgroup_id_x 1
		.amdhsa_system_sgpr_workgroup_id_y 0
		.amdhsa_system_sgpr_workgroup_id_z 0
		.amdhsa_system_sgpr_workgroup_info 0
		.amdhsa_system_vgpr_workitem_id 0
		.amdhsa_next_free_vgpr 1
		.amdhsa_next_free_sgpr 0
		.amdhsa_accum_offset 4
		.amdhsa_reserve_vcc 0
		.amdhsa_float_round_mode_32 0
		.amdhsa_float_round_mode_16_64 0
		.amdhsa_float_denorm_mode_32 3
		.amdhsa_float_denorm_mode_16_64 3
		.amdhsa_dx10_clamp 1
		.amdhsa_ieee_mode 1
		.amdhsa_fp16_overflow 0
		.amdhsa_tg_split 0
		.amdhsa_exception_fp_ieee_invalid_op 0
		.amdhsa_exception_fp_denorm_src 0
		.amdhsa_exception_fp_ieee_div_zero 0
		.amdhsa_exception_fp_ieee_overflow 0
		.amdhsa_exception_fp_ieee_underflow 0
		.amdhsa_exception_fp_ieee_inexact 0
		.amdhsa_exception_int_div_zero 0
	.end_amdhsa_kernel
	.section	.text._ZN7rocprim17ROCPRIM_400000_NS6detail17trampoline_kernelINS0_14default_configENS1_25partition_config_selectorILNS1_17partition_subalgoE9EllbEEZZNS1_14partition_implILS5_9ELb0ES3_jPlS8_PNS0_10empty_typeENS0_5tupleIJS8_S9_EEENSB_IJS8_SA_EEENS0_18inequality_wrapperIZN2at6native12_GLOBAL__N_124unique_dim_cuda_templateIN3c104HalfEEESt5tupleIJNSF_6TensorESM_SM_EERKSM_lbbbEUlllE0_EEPmJS9_EEE10hipError_tPvRmT3_T4_T5_T6_T7_T9_mT8_P12ihipStream_tbDpT10_ENKUlT_T0_E_clISt17integral_constantIbLb0EES1B_IbLb1EEEEDaS17_S18_EUlS17_E_NS1_11comp_targetILNS1_3genE4ELNS1_11target_archE910ELNS1_3gpuE8ELNS1_3repE0EEENS1_30default_config_static_selectorELNS0_4arch9wavefront6targetE1EEEvT1_,"axG",@progbits,_ZN7rocprim17ROCPRIM_400000_NS6detail17trampoline_kernelINS0_14default_configENS1_25partition_config_selectorILNS1_17partition_subalgoE9EllbEEZZNS1_14partition_implILS5_9ELb0ES3_jPlS8_PNS0_10empty_typeENS0_5tupleIJS8_S9_EEENSB_IJS8_SA_EEENS0_18inequality_wrapperIZN2at6native12_GLOBAL__N_124unique_dim_cuda_templateIN3c104HalfEEESt5tupleIJNSF_6TensorESM_SM_EERKSM_lbbbEUlllE0_EEPmJS9_EEE10hipError_tPvRmT3_T4_T5_T6_T7_T9_mT8_P12ihipStream_tbDpT10_ENKUlT_T0_E_clISt17integral_constantIbLb0EES1B_IbLb1EEEEDaS17_S18_EUlS17_E_NS1_11comp_targetILNS1_3genE4ELNS1_11target_archE910ELNS1_3gpuE8ELNS1_3repE0EEENS1_30default_config_static_selectorELNS0_4arch9wavefront6targetE1EEEvT1_,comdat
.Lfunc_end1355:
	.size	_ZN7rocprim17ROCPRIM_400000_NS6detail17trampoline_kernelINS0_14default_configENS1_25partition_config_selectorILNS1_17partition_subalgoE9EllbEEZZNS1_14partition_implILS5_9ELb0ES3_jPlS8_PNS0_10empty_typeENS0_5tupleIJS8_S9_EEENSB_IJS8_SA_EEENS0_18inequality_wrapperIZN2at6native12_GLOBAL__N_124unique_dim_cuda_templateIN3c104HalfEEESt5tupleIJNSF_6TensorESM_SM_EERKSM_lbbbEUlllE0_EEPmJS9_EEE10hipError_tPvRmT3_T4_T5_T6_T7_T9_mT8_P12ihipStream_tbDpT10_ENKUlT_T0_E_clISt17integral_constantIbLb0EES1B_IbLb1EEEEDaS17_S18_EUlS17_E_NS1_11comp_targetILNS1_3genE4ELNS1_11target_archE910ELNS1_3gpuE8ELNS1_3repE0EEENS1_30default_config_static_selectorELNS0_4arch9wavefront6targetE1EEEvT1_, .Lfunc_end1355-_ZN7rocprim17ROCPRIM_400000_NS6detail17trampoline_kernelINS0_14default_configENS1_25partition_config_selectorILNS1_17partition_subalgoE9EllbEEZZNS1_14partition_implILS5_9ELb0ES3_jPlS8_PNS0_10empty_typeENS0_5tupleIJS8_S9_EEENSB_IJS8_SA_EEENS0_18inequality_wrapperIZN2at6native12_GLOBAL__N_124unique_dim_cuda_templateIN3c104HalfEEESt5tupleIJNSF_6TensorESM_SM_EERKSM_lbbbEUlllE0_EEPmJS9_EEE10hipError_tPvRmT3_T4_T5_T6_T7_T9_mT8_P12ihipStream_tbDpT10_ENKUlT_T0_E_clISt17integral_constantIbLb0EES1B_IbLb1EEEEDaS17_S18_EUlS17_E_NS1_11comp_targetILNS1_3genE4ELNS1_11target_archE910ELNS1_3gpuE8ELNS1_3repE0EEENS1_30default_config_static_selectorELNS0_4arch9wavefront6targetE1EEEvT1_
                                        ; -- End function
	.set _ZN7rocprim17ROCPRIM_400000_NS6detail17trampoline_kernelINS0_14default_configENS1_25partition_config_selectorILNS1_17partition_subalgoE9EllbEEZZNS1_14partition_implILS5_9ELb0ES3_jPlS8_PNS0_10empty_typeENS0_5tupleIJS8_S9_EEENSB_IJS8_SA_EEENS0_18inequality_wrapperIZN2at6native12_GLOBAL__N_124unique_dim_cuda_templateIN3c104HalfEEESt5tupleIJNSF_6TensorESM_SM_EERKSM_lbbbEUlllE0_EEPmJS9_EEE10hipError_tPvRmT3_T4_T5_T6_T7_T9_mT8_P12ihipStream_tbDpT10_ENKUlT_T0_E_clISt17integral_constantIbLb0EES1B_IbLb1EEEEDaS17_S18_EUlS17_E_NS1_11comp_targetILNS1_3genE4ELNS1_11target_archE910ELNS1_3gpuE8ELNS1_3repE0EEENS1_30default_config_static_selectorELNS0_4arch9wavefront6targetE1EEEvT1_.num_vgpr, 0
	.set _ZN7rocprim17ROCPRIM_400000_NS6detail17trampoline_kernelINS0_14default_configENS1_25partition_config_selectorILNS1_17partition_subalgoE9EllbEEZZNS1_14partition_implILS5_9ELb0ES3_jPlS8_PNS0_10empty_typeENS0_5tupleIJS8_S9_EEENSB_IJS8_SA_EEENS0_18inequality_wrapperIZN2at6native12_GLOBAL__N_124unique_dim_cuda_templateIN3c104HalfEEESt5tupleIJNSF_6TensorESM_SM_EERKSM_lbbbEUlllE0_EEPmJS9_EEE10hipError_tPvRmT3_T4_T5_T6_T7_T9_mT8_P12ihipStream_tbDpT10_ENKUlT_T0_E_clISt17integral_constantIbLb0EES1B_IbLb1EEEEDaS17_S18_EUlS17_E_NS1_11comp_targetILNS1_3genE4ELNS1_11target_archE910ELNS1_3gpuE8ELNS1_3repE0EEENS1_30default_config_static_selectorELNS0_4arch9wavefront6targetE1EEEvT1_.num_agpr, 0
	.set _ZN7rocprim17ROCPRIM_400000_NS6detail17trampoline_kernelINS0_14default_configENS1_25partition_config_selectorILNS1_17partition_subalgoE9EllbEEZZNS1_14partition_implILS5_9ELb0ES3_jPlS8_PNS0_10empty_typeENS0_5tupleIJS8_S9_EEENSB_IJS8_SA_EEENS0_18inequality_wrapperIZN2at6native12_GLOBAL__N_124unique_dim_cuda_templateIN3c104HalfEEESt5tupleIJNSF_6TensorESM_SM_EERKSM_lbbbEUlllE0_EEPmJS9_EEE10hipError_tPvRmT3_T4_T5_T6_T7_T9_mT8_P12ihipStream_tbDpT10_ENKUlT_T0_E_clISt17integral_constantIbLb0EES1B_IbLb1EEEEDaS17_S18_EUlS17_E_NS1_11comp_targetILNS1_3genE4ELNS1_11target_archE910ELNS1_3gpuE8ELNS1_3repE0EEENS1_30default_config_static_selectorELNS0_4arch9wavefront6targetE1EEEvT1_.numbered_sgpr, 0
	.set _ZN7rocprim17ROCPRIM_400000_NS6detail17trampoline_kernelINS0_14default_configENS1_25partition_config_selectorILNS1_17partition_subalgoE9EllbEEZZNS1_14partition_implILS5_9ELb0ES3_jPlS8_PNS0_10empty_typeENS0_5tupleIJS8_S9_EEENSB_IJS8_SA_EEENS0_18inequality_wrapperIZN2at6native12_GLOBAL__N_124unique_dim_cuda_templateIN3c104HalfEEESt5tupleIJNSF_6TensorESM_SM_EERKSM_lbbbEUlllE0_EEPmJS9_EEE10hipError_tPvRmT3_T4_T5_T6_T7_T9_mT8_P12ihipStream_tbDpT10_ENKUlT_T0_E_clISt17integral_constantIbLb0EES1B_IbLb1EEEEDaS17_S18_EUlS17_E_NS1_11comp_targetILNS1_3genE4ELNS1_11target_archE910ELNS1_3gpuE8ELNS1_3repE0EEENS1_30default_config_static_selectorELNS0_4arch9wavefront6targetE1EEEvT1_.num_named_barrier, 0
	.set _ZN7rocprim17ROCPRIM_400000_NS6detail17trampoline_kernelINS0_14default_configENS1_25partition_config_selectorILNS1_17partition_subalgoE9EllbEEZZNS1_14partition_implILS5_9ELb0ES3_jPlS8_PNS0_10empty_typeENS0_5tupleIJS8_S9_EEENSB_IJS8_SA_EEENS0_18inequality_wrapperIZN2at6native12_GLOBAL__N_124unique_dim_cuda_templateIN3c104HalfEEESt5tupleIJNSF_6TensorESM_SM_EERKSM_lbbbEUlllE0_EEPmJS9_EEE10hipError_tPvRmT3_T4_T5_T6_T7_T9_mT8_P12ihipStream_tbDpT10_ENKUlT_T0_E_clISt17integral_constantIbLb0EES1B_IbLb1EEEEDaS17_S18_EUlS17_E_NS1_11comp_targetILNS1_3genE4ELNS1_11target_archE910ELNS1_3gpuE8ELNS1_3repE0EEENS1_30default_config_static_selectorELNS0_4arch9wavefront6targetE1EEEvT1_.private_seg_size, 0
	.set _ZN7rocprim17ROCPRIM_400000_NS6detail17trampoline_kernelINS0_14default_configENS1_25partition_config_selectorILNS1_17partition_subalgoE9EllbEEZZNS1_14partition_implILS5_9ELb0ES3_jPlS8_PNS0_10empty_typeENS0_5tupleIJS8_S9_EEENSB_IJS8_SA_EEENS0_18inequality_wrapperIZN2at6native12_GLOBAL__N_124unique_dim_cuda_templateIN3c104HalfEEESt5tupleIJNSF_6TensorESM_SM_EERKSM_lbbbEUlllE0_EEPmJS9_EEE10hipError_tPvRmT3_T4_T5_T6_T7_T9_mT8_P12ihipStream_tbDpT10_ENKUlT_T0_E_clISt17integral_constantIbLb0EES1B_IbLb1EEEEDaS17_S18_EUlS17_E_NS1_11comp_targetILNS1_3genE4ELNS1_11target_archE910ELNS1_3gpuE8ELNS1_3repE0EEENS1_30default_config_static_selectorELNS0_4arch9wavefront6targetE1EEEvT1_.uses_vcc, 0
	.set _ZN7rocprim17ROCPRIM_400000_NS6detail17trampoline_kernelINS0_14default_configENS1_25partition_config_selectorILNS1_17partition_subalgoE9EllbEEZZNS1_14partition_implILS5_9ELb0ES3_jPlS8_PNS0_10empty_typeENS0_5tupleIJS8_S9_EEENSB_IJS8_SA_EEENS0_18inequality_wrapperIZN2at6native12_GLOBAL__N_124unique_dim_cuda_templateIN3c104HalfEEESt5tupleIJNSF_6TensorESM_SM_EERKSM_lbbbEUlllE0_EEPmJS9_EEE10hipError_tPvRmT3_T4_T5_T6_T7_T9_mT8_P12ihipStream_tbDpT10_ENKUlT_T0_E_clISt17integral_constantIbLb0EES1B_IbLb1EEEEDaS17_S18_EUlS17_E_NS1_11comp_targetILNS1_3genE4ELNS1_11target_archE910ELNS1_3gpuE8ELNS1_3repE0EEENS1_30default_config_static_selectorELNS0_4arch9wavefront6targetE1EEEvT1_.uses_flat_scratch, 0
	.set _ZN7rocprim17ROCPRIM_400000_NS6detail17trampoline_kernelINS0_14default_configENS1_25partition_config_selectorILNS1_17partition_subalgoE9EllbEEZZNS1_14partition_implILS5_9ELb0ES3_jPlS8_PNS0_10empty_typeENS0_5tupleIJS8_S9_EEENSB_IJS8_SA_EEENS0_18inequality_wrapperIZN2at6native12_GLOBAL__N_124unique_dim_cuda_templateIN3c104HalfEEESt5tupleIJNSF_6TensorESM_SM_EERKSM_lbbbEUlllE0_EEPmJS9_EEE10hipError_tPvRmT3_T4_T5_T6_T7_T9_mT8_P12ihipStream_tbDpT10_ENKUlT_T0_E_clISt17integral_constantIbLb0EES1B_IbLb1EEEEDaS17_S18_EUlS17_E_NS1_11comp_targetILNS1_3genE4ELNS1_11target_archE910ELNS1_3gpuE8ELNS1_3repE0EEENS1_30default_config_static_selectorELNS0_4arch9wavefront6targetE1EEEvT1_.has_dyn_sized_stack, 0
	.set _ZN7rocprim17ROCPRIM_400000_NS6detail17trampoline_kernelINS0_14default_configENS1_25partition_config_selectorILNS1_17partition_subalgoE9EllbEEZZNS1_14partition_implILS5_9ELb0ES3_jPlS8_PNS0_10empty_typeENS0_5tupleIJS8_S9_EEENSB_IJS8_SA_EEENS0_18inequality_wrapperIZN2at6native12_GLOBAL__N_124unique_dim_cuda_templateIN3c104HalfEEESt5tupleIJNSF_6TensorESM_SM_EERKSM_lbbbEUlllE0_EEPmJS9_EEE10hipError_tPvRmT3_T4_T5_T6_T7_T9_mT8_P12ihipStream_tbDpT10_ENKUlT_T0_E_clISt17integral_constantIbLb0EES1B_IbLb1EEEEDaS17_S18_EUlS17_E_NS1_11comp_targetILNS1_3genE4ELNS1_11target_archE910ELNS1_3gpuE8ELNS1_3repE0EEENS1_30default_config_static_selectorELNS0_4arch9wavefront6targetE1EEEvT1_.has_recursion, 0
	.set _ZN7rocprim17ROCPRIM_400000_NS6detail17trampoline_kernelINS0_14default_configENS1_25partition_config_selectorILNS1_17partition_subalgoE9EllbEEZZNS1_14partition_implILS5_9ELb0ES3_jPlS8_PNS0_10empty_typeENS0_5tupleIJS8_S9_EEENSB_IJS8_SA_EEENS0_18inequality_wrapperIZN2at6native12_GLOBAL__N_124unique_dim_cuda_templateIN3c104HalfEEESt5tupleIJNSF_6TensorESM_SM_EERKSM_lbbbEUlllE0_EEPmJS9_EEE10hipError_tPvRmT3_T4_T5_T6_T7_T9_mT8_P12ihipStream_tbDpT10_ENKUlT_T0_E_clISt17integral_constantIbLb0EES1B_IbLb1EEEEDaS17_S18_EUlS17_E_NS1_11comp_targetILNS1_3genE4ELNS1_11target_archE910ELNS1_3gpuE8ELNS1_3repE0EEENS1_30default_config_static_selectorELNS0_4arch9wavefront6targetE1EEEvT1_.has_indirect_call, 0
	.section	.AMDGPU.csdata,"",@progbits
; Kernel info:
; codeLenInByte = 0
; TotalNumSgprs: 6
; NumVgprs: 0
; NumAgprs: 0
; TotalNumVgprs: 0
; ScratchSize: 0
; MemoryBound: 0
; FloatMode: 240
; IeeeMode: 1
; LDSByteSize: 0 bytes/workgroup (compile time only)
; SGPRBlocks: 0
; VGPRBlocks: 0
; NumSGPRsForWavesPerEU: 6
; NumVGPRsForWavesPerEU: 1
; AccumOffset: 4
; Occupancy: 8
; WaveLimiterHint : 0
; COMPUTE_PGM_RSRC2:SCRATCH_EN: 0
; COMPUTE_PGM_RSRC2:USER_SGPR: 2
; COMPUTE_PGM_RSRC2:TRAP_HANDLER: 0
; COMPUTE_PGM_RSRC2:TGID_X_EN: 1
; COMPUTE_PGM_RSRC2:TGID_Y_EN: 0
; COMPUTE_PGM_RSRC2:TGID_Z_EN: 0
; COMPUTE_PGM_RSRC2:TIDIG_COMP_CNT: 0
; COMPUTE_PGM_RSRC3_GFX90A:ACCUM_OFFSET: 0
; COMPUTE_PGM_RSRC3_GFX90A:TG_SPLIT: 0
	.section	.text._ZN7rocprim17ROCPRIM_400000_NS6detail17trampoline_kernelINS0_14default_configENS1_25partition_config_selectorILNS1_17partition_subalgoE9EllbEEZZNS1_14partition_implILS5_9ELb0ES3_jPlS8_PNS0_10empty_typeENS0_5tupleIJS8_S9_EEENSB_IJS8_SA_EEENS0_18inequality_wrapperIZN2at6native12_GLOBAL__N_124unique_dim_cuda_templateIN3c104HalfEEESt5tupleIJNSF_6TensorESM_SM_EERKSM_lbbbEUlllE0_EEPmJS9_EEE10hipError_tPvRmT3_T4_T5_T6_T7_T9_mT8_P12ihipStream_tbDpT10_ENKUlT_T0_E_clISt17integral_constantIbLb0EES1B_IbLb1EEEEDaS17_S18_EUlS17_E_NS1_11comp_targetILNS1_3genE3ELNS1_11target_archE908ELNS1_3gpuE7ELNS1_3repE0EEENS1_30default_config_static_selectorELNS0_4arch9wavefront6targetE1EEEvT1_,"axG",@progbits,_ZN7rocprim17ROCPRIM_400000_NS6detail17trampoline_kernelINS0_14default_configENS1_25partition_config_selectorILNS1_17partition_subalgoE9EllbEEZZNS1_14partition_implILS5_9ELb0ES3_jPlS8_PNS0_10empty_typeENS0_5tupleIJS8_S9_EEENSB_IJS8_SA_EEENS0_18inequality_wrapperIZN2at6native12_GLOBAL__N_124unique_dim_cuda_templateIN3c104HalfEEESt5tupleIJNSF_6TensorESM_SM_EERKSM_lbbbEUlllE0_EEPmJS9_EEE10hipError_tPvRmT3_T4_T5_T6_T7_T9_mT8_P12ihipStream_tbDpT10_ENKUlT_T0_E_clISt17integral_constantIbLb0EES1B_IbLb1EEEEDaS17_S18_EUlS17_E_NS1_11comp_targetILNS1_3genE3ELNS1_11target_archE908ELNS1_3gpuE7ELNS1_3repE0EEENS1_30default_config_static_selectorELNS0_4arch9wavefront6targetE1EEEvT1_,comdat
	.globl	_ZN7rocprim17ROCPRIM_400000_NS6detail17trampoline_kernelINS0_14default_configENS1_25partition_config_selectorILNS1_17partition_subalgoE9EllbEEZZNS1_14partition_implILS5_9ELb0ES3_jPlS8_PNS0_10empty_typeENS0_5tupleIJS8_S9_EEENSB_IJS8_SA_EEENS0_18inequality_wrapperIZN2at6native12_GLOBAL__N_124unique_dim_cuda_templateIN3c104HalfEEESt5tupleIJNSF_6TensorESM_SM_EERKSM_lbbbEUlllE0_EEPmJS9_EEE10hipError_tPvRmT3_T4_T5_T6_T7_T9_mT8_P12ihipStream_tbDpT10_ENKUlT_T0_E_clISt17integral_constantIbLb0EES1B_IbLb1EEEEDaS17_S18_EUlS17_E_NS1_11comp_targetILNS1_3genE3ELNS1_11target_archE908ELNS1_3gpuE7ELNS1_3repE0EEENS1_30default_config_static_selectorELNS0_4arch9wavefront6targetE1EEEvT1_ ; -- Begin function _ZN7rocprim17ROCPRIM_400000_NS6detail17trampoline_kernelINS0_14default_configENS1_25partition_config_selectorILNS1_17partition_subalgoE9EllbEEZZNS1_14partition_implILS5_9ELb0ES3_jPlS8_PNS0_10empty_typeENS0_5tupleIJS8_S9_EEENSB_IJS8_SA_EEENS0_18inequality_wrapperIZN2at6native12_GLOBAL__N_124unique_dim_cuda_templateIN3c104HalfEEESt5tupleIJNSF_6TensorESM_SM_EERKSM_lbbbEUlllE0_EEPmJS9_EEE10hipError_tPvRmT3_T4_T5_T6_T7_T9_mT8_P12ihipStream_tbDpT10_ENKUlT_T0_E_clISt17integral_constantIbLb0EES1B_IbLb1EEEEDaS17_S18_EUlS17_E_NS1_11comp_targetILNS1_3genE3ELNS1_11target_archE908ELNS1_3gpuE7ELNS1_3repE0EEENS1_30default_config_static_selectorELNS0_4arch9wavefront6targetE1EEEvT1_
	.p2align	8
	.type	_ZN7rocprim17ROCPRIM_400000_NS6detail17trampoline_kernelINS0_14default_configENS1_25partition_config_selectorILNS1_17partition_subalgoE9EllbEEZZNS1_14partition_implILS5_9ELb0ES3_jPlS8_PNS0_10empty_typeENS0_5tupleIJS8_S9_EEENSB_IJS8_SA_EEENS0_18inequality_wrapperIZN2at6native12_GLOBAL__N_124unique_dim_cuda_templateIN3c104HalfEEESt5tupleIJNSF_6TensorESM_SM_EERKSM_lbbbEUlllE0_EEPmJS9_EEE10hipError_tPvRmT3_T4_T5_T6_T7_T9_mT8_P12ihipStream_tbDpT10_ENKUlT_T0_E_clISt17integral_constantIbLb0EES1B_IbLb1EEEEDaS17_S18_EUlS17_E_NS1_11comp_targetILNS1_3genE3ELNS1_11target_archE908ELNS1_3gpuE7ELNS1_3repE0EEENS1_30default_config_static_selectorELNS0_4arch9wavefront6targetE1EEEvT1_,@function
_ZN7rocprim17ROCPRIM_400000_NS6detail17trampoline_kernelINS0_14default_configENS1_25partition_config_selectorILNS1_17partition_subalgoE9EllbEEZZNS1_14partition_implILS5_9ELb0ES3_jPlS8_PNS0_10empty_typeENS0_5tupleIJS8_S9_EEENSB_IJS8_SA_EEENS0_18inequality_wrapperIZN2at6native12_GLOBAL__N_124unique_dim_cuda_templateIN3c104HalfEEESt5tupleIJNSF_6TensorESM_SM_EERKSM_lbbbEUlllE0_EEPmJS9_EEE10hipError_tPvRmT3_T4_T5_T6_T7_T9_mT8_P12ihipStream_tbDpT10_ENKUlT_T0_E_clISt17integral_constantIbLb0EES1B_IbLb1EEEEDaS17_S18_EUlS17_E_NS1_11comp_targetILNS1_3genE3ELNS1_11target_archE908ELNS1_3gpuE7ELNS1_3repE0EEENS1_30default_config_static_selectorELNS0_4arch9wavefront6targetE1EEEvT1_: ; @_ZN7rocprim17ROCPRIM_400000_NS6detail17trampoline_kernelINS0_14default_configENS1_25partition_config_selectorILNS1_17partition_subalgoE9EllbEEZZNS1_14partition_implILS5_9ELb0ES3_jPlS8_PNS0_10empty_typeENS0_5tupleIJS8_S9_EEENSB_IJS8_SA_EEENS0_18inequality_wrapperIZN2at6native12_GLOBAL__N_124unique_dim_cuda_templateIN3c104HalfEEESt5tupleIJNSF_6TensorESM_SM_EERKSM_lbbbEUlllE0_EEPmJS9_EEE10hipError_tPvRmT3_T4_T5_T6_T7_T9_mT8_P12ihipStream_tbDpT10_ENKUlT_T0_E_clISt17integral_constantIbLb0EES1B_IbLb1EEEEDaS17_S18_EUlS17_E_NS1_11comp_targetILNS1_3genE3ELNS1_11target_archE908ELNS1_3gpuE7ELNS1_3repE0EEENS1_30default_config_static_selectorELNS0_4arch9wavefront6targetE1EEEvT1_
; %bb.0:
	.section	.rodata,"a",@progbits
	.p2align	6, 0x0
	.amdhsa_kernel _ZN7rocprim17ROCPRIM_400000_NS6detail17trampoline_kernelINS0_14default_configENS1_25partition_config_selectorILNS1_17partition_subalgoE9EllbEEZZNS1_14partition_implILS5_9ELb0ES3_jPlS8_PNS0_10empty_typeENS0_5tupleIJS8_S9_EEENSB_IJS8_SA_EEENS0_18inequality_wrapperIZN2at6native12_GLOBAL__N_124unique_dim_cuda_templateIN3c104HalfEEESt5tupleIJNSF_6TensorESM_SM_EERKSM_lbbbEUlllE0_EEPmJS9_EEE10hipError_tPvRmT3_T4_T5_T6_T7_T9_mT8_P12ihipStream_tbDpT10_ENKUlT_T0_E_clISt17integral_constantIbLb0EES1B_IbLb1EEEEDaS17_S18_EUlS17_E_NS1_11comp_targetILNS1_3genE3ELNS1_11target_archE908ELNS1_3gpuE7ELNS1_3repE0EEENS1_30default_config_static_selectorELNS0_4arch9wavefront6targetE1EEEvT1_
		.amdhsa_group_segment_fixed_size 0
		.amdhsa_private_segment_fixed_size 0
		.amdhsa_kernarg_size 136
		.amdhsa_user_sgpr_count 2
		.amdhsa_user_sgpr_dispatch_ptr 0
		.amdhsa_user_sgpr_queue_ptr 0
		.amdhsa_user_sgpr_kernarg_segment_ptr 1
		.amdhsa_user_sgpr_dispatch_id 0
		.amdhsa_user_sgpr_kernarg_preload_length 0
		.amdhsa_user_sgpr_kernarg_preload_offset 0
		.amdhsa_user_sgpr_private_segment_size 0
		.amdhsa_uses_dynamic_stack 0
		.amdhsa_enable_private_segment 0
		.amdhsa_system_sgpr_workgroup_id_x 1
		.amdhsa_system_sgpr_workgroup_id_y 0
		.amdhsa_system_sgpr_workgroup_id_z 0
		.amdhsa_system_sgpr_workgroup_info 0
		.amdhsa_system_vgpr_workitem_id 0
		.amdhsa_next_free_vgpr 1
		.amdhsa_next_free_sgpr 0
		.amdhsa_accum_offset 4
		.amdhsa_reserve_vcc 0
		.amdhsa_float_round_mode_32 0
		.amdhsa_float_round_mode_16_64 0
		.amdhsa_float_denorm_mode_32 3
		.amdhsa_float_denorm_mode_16_64 3
		.amdhsa_dx10_clamp 1
		.amdhsa_ieee_mode 1
		.amdhsa_fp16_overflow 0
		.amdhsa_tg_split 0
		.amdhsa_exception_fp_ieee_invalid_op 0
		.amdhsa_exception_fp_denorm_src 0
		.amdhsa_exception_fp_ieee_div_zero 0
		.amdhsa_exception_fp_ieee_overflow 0
		.amdhsa_exception_fp_ieee_underflow 0
		.amdhsa_exception_fp_ieee_inexact 0
		.amdhsa_exception_int_div_zero 0
	.end_amdhsa_kernel
	.section	.text._ZN7rocprim17ROCPRIM_400000_NS6detail17trampoline_kernelINS0_14default_configENS1_25partition_config_selectorILNS1_17partition_subalgoE9EllbEEZZNS1_14partition_implILS5_9ELb0ES3_jPlS8_PNS0_10empty_typeENS0_5tupleIJS8_S9_EEENSB_IJS8_SA_EEENS0_18inequality_wrapperIZN2at6native12_GLOBAL__N_124unique_dim_cuda_templateIN3c104HalfEEESt5tupleIJNSF_6TensorESM_SM_EERKSM_lbbbEUlllE0_EEPmJS9_EEE10hipError_tPvRmT3_T4_T5_T6_T7_T9_mT8_P12ihipStream_tbDpT10_ENKUlT_T0_E_clISt17integral_constantIbLb0EES1B_IbLb1EEEEDaS17_S18_EUlS17_E_NS1_11comp_targetILNS1_3genE3ELNS1_11target_archE908ELNS1_3gpuE7ELNS1_3repE0EEENS1_30default_config_static_selectorELNS0_4arch9wavefront6targetE1EEEvT1_,"axG",@progbits,_ZN7rocprim17ROCPRIM_400000_NS6detail17trampoline_kernelINS0_14default_configENS1_25partition_config_selectorILNS1_17partition_subalgoE9EllbEEZZNS1_14partition_implILS5_9ELb0ES3_jPlS8_PNS0_10empty_typeENS0_5tupleIJS8_S9_EEENSB_IJS8_SA_EEENS0_18inequality_wrapperIZN2at6native12_GLOBAL__N_124unique_dim_cuda_templateIN3c104HalfEEESt5tupleIJNSF_6TensorESM_SM_EERKSM_lbbbEUlllE0_EEPmJS9_EEE10hipError_tPvRmT3_T4_T5_T6_T7_T9_mT8_P12ihipStream_tbDpT10_ENKUlT_T0_E_clISt17integral_constantIbLb0EES1B_IbLb1EEEEDaS17_S18_EUlS17_E_NS1_11comp_targetILNS1_3genE3ELNS1_11target_archE908ELNS1_3gpuE7ELNS1_3repE0EEENS1_30default_config_static_selectorELNS0_4arch9wavefront6targetE1EEEvT1_,comdat
.Lfunc_end1356:
	.size	_ZN7rocprim17ROCPRIM_400000_NS6detail17trampoline_kernelINS0_14default_configENS1_25partition_config_selectorILNS1_17partition_subalgoE9EllbEEZZNS1_14partition_implILS5_9ELb0ES3_jPlS8_PNS0_10empty_typeENS0_5tupleIJS8_S9_EEENSB_IJS8_SA_EEENS0_18inequality_wrapperIZN2at6native12_GLOBAL__N_124unique_dim_cuda_templateIN3c104HalfEEESt5tupleIJNSF_6TensorESM_SM_EERKSM_lbbbEUlllE0_EEPmJS9_EEE10hipError_tPvRmT3_T4_T5_T6_T7_T9_mT8_P12ihipStream_tbDpT10_ENKUlT_T0_E_clISt17integral_constantIbLb0EES1B_IbLb1EEEEDaS17_S18_EUlS17_E_NS1_11comp_targetILNS1_3genE3ELNS1_11target_archE908ELNS1_3gpuE7ELNS1_3repE0EEENS1_30default_config_static_selectorELNS0_4arch9wavefront6targetE1EEEvT1_, .Lfunc_end1356-_ZN7rocprim17ROCPRIM_400000_NS6detail17trampoline_kernelINS0_14default_configENS1_25partition_config_selectorILNS1_17partition_subalgoE9EllbEEZZNS1_14partition_implILS5_9ELb0ES3_jPlS8_PNS0_10empty_typeENS0_5tupleIJS8_S9_EEENSB_IJS8_SA_EEENS0_18inequality_wrapperIZN2at6native12_GLOBAL__N_124unique_dim_cuda_templateIN3c104HalfEEESt5tupleIJNSF_6TensorESM_SM_EERKSM_lbbbEUlllE0_EEPmJS9_EEE10hipError_tPvRmT3_T4_T5_T6_T7_T9_mT8_P12ihipStream_tbDpT10_ENKUlT_T0_E_clISt17integral_constantIbLb0EES1B_IbLb1EEEEDaS17_S18_EUlS17_E_NS1_11comp_targetILNS1_3genE3ELNS1_11target_archE908ELNS1_3gpuE7ELNS1_3repE0EEENS1_30default_config_static_selectorELNS0_4arch9wavefront6targetE1EEEvT1_
                                        ; -- End function
	.set _ZN7rocprim17ROCPRIM_400000_NS6detail17trampoline_kernelINS0_14default_configENS1_25partition_config_selectorILNS1_17partition_subalgoE9EllbEEZZNS1_14partition_implILS5_9ELb0ES3_jPlS8_PNS0_10empty_typeENS0_5tupleIJS8_S9_EEENSB_IJS8_SA_EEENS0_18inequality_wrapperIZN2at6native12_GLOBAL__N_124unique_dim_cuda_templateIN3c104HalfEEESt5tupleIJNSF_6TensorESM_SM_EERKSM_lbbbEUlllE0_EEPmJS9_EEE10hipError_tPvRmT3_T4_T5_T6_T7_T9_mT8_P12ihipStream_tbDpT10_ENKUlT_T0_E_clISt17integral_constantIbLb0EES1B_IbLb1EEEEDaS17_S18_EUlS17_E_NS1_11comp_targetILNS1_3genE3ELNS1_11target_archE908ELNS1_3gpuE7ELNS1_3repE0EEENS1_30default_config_static_selectorELNS0_4arch9wavefront6targetE1EEEvT1_.num_vgpr, 0
	.set _ZN7rocprim17ROCPRIM_400000_NS6detail17trampoline_kernelINS0_14default_configENS1_25partition_config_selectorILNS1_17partition_subalgoE9EllbEEZZNS1_14partition_implILS5_9ELb0ES3_jPlS8_PNS0_10empty_typeENS0_5tupleIJS8_S9_EEENSB_IJS8_SA_EEENS0_18inequality_wrapperIZN2at6native12_GLOBAL__N_124unique_dim_cuda_templateIN3c104HalfEEESt5tupleIJNSF_6TensorESM_SM_EERKSM_lbbbEUlllE0_EEPmJS9_EEE10hipError_tPvRmT3_T4_T5_T6_T7_T9_mT8_P12ihipStream_tbDpT10_ENKUlT_T0_E_clISt17integral_constantIbLb0EES1B_IbLb1EEEEDaS17_S18_EUlS17_E_NS1_11comp_targetILNS1_3genE3ELNS1_11target_archE908ELNS1_3gpuE7ELNS1_3repE0EEENS1_30default_config_static_selectorELNS0_4arch9wavefront6targetE1EEEvT1_.num_agpr, 0
	.set _ZN7rocprim17ROCPRIM_400000_NS6detail17trampoline_kernelINS0_14default_configENS1_25partition_config_selectorILNS1_17partition_subalgoE9EllbEEZZNS1_14partition_implILS5_9ELb0ES3_jPlS8_PNS0_10empty_typeENS0_5tupleIJS8_S9_EEENSB_IJS8_SA_EEENS0_18inequality_wrapperIZN2at6native12_GLOBAL__N_124unique_dim_cuda_templateIN3c104HalfEEESt5tupleIJNSF_6TensorESM_SM_EERKSM_lbbbEUlllE0_EEPmJS9_EEE10hipError_tPvRmT3_T4_T5_T6_T7_T9_mT8_P12ihipStream_tbDpT10_ENKUlT_T0_E_clISt17integral_constantIbLb0EES1B_IbLb1EEEEDaS17_S18_EUlS17_E_NS1_11comp_targetILNS1_3genE3ELNS1_11target_archE908ELNS1_3gpuE7ELNS1_3repE0EEENS1_30default_config_static_selectorELNS0_4arch9wavefront6targetE1EEEvT1_.numbered_sgpr, 0
	.set _ZN7rocprim17ROCPRIM_400000_NS6detail17trampoline_kernelINS0_14default_configENS1_25partition_config_selectorILNS1_17partition_subalgoE9EllbEEZZNS1_14partition_implILS5_9ELb0ES3_jPlS8_PNS0_10empty_typeENS0_5tupleIJS8_S9_EEENSB_IJS8_SA_EEENS0_18inequality_wrapperIZN2at6native12_GLOBAL__N_124unique_dim_cuda_templateIN3c104HalfEEESt5tupleIJNSF_6TensorESM_SM_EERKSM_lbbbEUlllE0_EEPmJS9_EEE10hipError_tPvRmT3_T4_T5_T6_T7_T9_mT8_P12ihipStream_tbDpT10_ENKUlT_T0_E_clISt17integral_constantIbLb0EES1B_IbLb1EEEEDaS17_S18_EUlS17_E_NS1_11comp_targetILNS1_3genE3ELNS1_11target_archE908ELNS1_3gpuE7ELNS1_3repE0EEENS1_30default_config_static_selectorELNS0_4arch9wavefront6targetE1EEEvT1_.num_named_barrier, 0
	.set _ZN7rocprim17ROCPRIM_400000_NS6detail17trampoline_kernelINS0_14default_configENS1_25partition_config_selectorILNS1_17partition_subalgoE9EllbEEZZNS1_14partition_implILS5_9ELb0ES3_jPlS8_PNS0_10empty_typeENS0_5tupleIJS8_S9_EEENSB_IJS8_SA_EEENS0_18inequality_wrapperIZN2at6native12_GLOBAL__N_124unique_dim_cuda_templateIN3c104HalfEEESt5tupleIJNSF_6TensorESM_SM_EERKSM_lbbbEUlllE0_EEPmJS9_EEE10hipError_tPvRmT3_T4_T5_T6_T7_T9_mT8_P12ihipStream_tbDpT10_ENKUlT_T0_E_clISt17integral_constantIbLb0EES1B_IbLb1EEEEDaS17_S18_EUlS17_E_NS1_11comp_targetILNS1_3genE3ELNS1_11target_archE908ELNS1_3gpuE7ELNS1_3repE0EEENS1_30default_config_static_selectorELNS0_4arch9wavefront6targetE1EEEvT1_.private_seg_size, 0
	.set _ZN7rocprim17ROCPRIM_400000_NS6detail17trampoline_kernelINS0_14default_configENS1_25partition_config_selectorILNS1_17partition_subalgoE9EllbEEZZNS1_14partition_implILS5_9ELb0ES3_jPlS8_PNS0_10empty_typeENS0_5tupleIJS8_S9_EEENSB_IJS8_SA_EEENS0_18inequality_wrapperIZN2at6native12_GLOBAL__N_124unique_dim_cuda_templateIN3c104HalfEEESt5tupleIJNSF_6TensorESM_SM_EERKSM_lbbbEUlllE0_EEPmJS9_EEE10hipError_tPvRmT3_T4_T5_T6_T7_T9_mT8_P12ihipStream_tbDpT10_ENKUlT_T0_E_clISt17integral_constantIbLb0EES1B_IbLb1EEEEDaS17_S18_EUlS17_E_NS1_11comp_targetILNS1_3genE3ELNS1_11target_archE908ELNS1_3gpuE7ELNS1_3repE0EEENS1_30default_config_static_selectorELNS0_4arch9wavefront6targetE1EEEvT1_.uses_vcc, 0
	.set _ZN7rocprim17ROCPRIM_400000_NS6detail17trampoline_kernelINS0_14default_configENS1_25partition_config_selectorILNS1_17partition_subalgoE9EllbEEZZNS1_14partition_implILS5_9ELb0ES3_jPlS8_PNS0_10empty_typeENS0_5tupleIJS8_S9_EEENSB_IJS8_SA_EEENS0_18inequality_wrapperIZN2at6native12_GLOBAL__N_124unique_dim_cuda_templateIN3c104HalfEEESt5tupleIJNSF_6TensorESM_SM_EERKSM_lbbbEUlllE0_EEPmJS9_EEE10hipError_tPvRmT3_T4_T5_T6_T7_T9_mT8_P12ihipStream_tbDpT10_ENKUlT_T0_E_clISt17integral_constantIbLb0EES1B_IbLb1EEEEDaS17_S18_EUlS17_E_NS1_11comp_targetILNS1_3genE3ELNS1_11target_archE908ELNS1_3gpuE7ELNS1_3repE0EEENS1_30default_config_static_selectorELNS0_4arch9wavefront6targetE1EEEvT1_.uses_flat_scratch, 0
	.set _ZN7rocprim17ROCPRIM_400000_NS6detail17trampoline_kernelINS0_14default_configENS1_25partition_config_selectorILNS1_17partition_subalgoE9EllbEEZZNS1_14partition_implILS5_9ELb0ES3_jPlS8_PNS0_10empty_typeENS0_5tupleIJS8_S9_EEENSB_IJS8_SA_EEENS0_18inequality_wrapperIZN2at6native12_GLOBAL__N_124unique_dim_cuda_templateIN3c104HalfEEESt5tupleIJNSF_6TensorESM_SM_EERKSM_lbbbEUlllE0_EEPmJS9_EEE10hipError_tPvRmT3_T4_T5_T6_T7_T9_mT8_P12ihipStream_tbDpT10_ENKUlT_T0_E_clISt17integral_constantIbLb0EES1B_IbLb1EEEEDaS17_S18_EUlS17_E_NS1_11comp_targetILNS1_3genE3ELNS1_11target_archE908ELNS1_3gpuE7ELNS1_3repE0EEENS1_30default_config_static_selectorELNS0_4arch9wavefront6targetE1EEEvT1_.has_dyn_sized_stack, 0
	.set _ZN7rocprim17ROCPRIM_400000_NS6detail17trampoline_kernelINS0_14default_configENS1_25partition_config_selectorILNS1_17partition_subalgoE9EllbEEZZNS1_14partition_implILS5_9ELb0ES3_jPlS8_PNS0_10empty_typeENS0_5tupleIJS8_S9_EEENSB_IJS8_SA_EEENS0_18inequality_wrapperIZN2at6native12_GLOBAL__N_124unique_dim_cuda_templateIN3c104HalfEEESt5tupleIJNSF_6TensorESM_SM_EERKSM_lbbbEUlllE0_EEPmJS9_EEE10hipError_tPvRmT3_T4_T5_T6_T7_T9_mT8_P12ihipStream_tbDpT10_ENKUlT_T0_E_clISt17integral_constantIbLb0EES1B_IbLb1EEEEDaS17_S18_EUlS17_E_NS1_11comp_targetILNS1_3genE3ELNS1_11target_archE908ELNS1_3gpuE7ELNS1_3repE0EEENS1_30default_config_static_selectorELNS0_4arch9wavefront6targetE1EEEvT1_.has_recursion, 0
	.set _ZN7rocprim17ROCPRIM_400000_NS6detail17trampoline_kernelINS0_14default_configENS1_25partition_config_selectorILNS1_17partition_subalgoE9EllbEEZZNS1_14partition_implILS5_9ELb0ES3_jPlS8_PNS0_10empty_typeENS0_5tupleIJS8_S9_EEENSB_IJS8_SA_EEENS0_18inequality_wrapperIZN2at6native12_GLOBAL__N_124unique_dim_cuda_templateIN3c104HalfEEESt5tupleIJNSF_6TensorESM_SM_EERKSM_lbbbEUlllE0_EEPmJS9_EEE10hipError_tPvRmT3_T4_T5_T6_T7_T9_mT8_P12ihipStream_tbDpT10_ENKUlT_T0_E_clISt17integral_constantIbLb0EES1B_IbLb1EEEEDaS17_S18_EUlS17_E_NS1_11comp_targetILNS1_3genE3ELNS1_11target_archE908ELNS1_3gpuE7ELNS1_3repE0EEENS1_30default_config_static_selectorELNS0_4arch9wavefront6targetE1EEEvT1_.has_indirect_call, 0
	.section	.AMDGPU.csdata,"",@progbits
; Kernel info:
; codeLenInByte = 0
; TotalNumSgprs: 6
; NumVgprs: 0
; NumAgprs: 0
; TotalNumVgprs: 0
; ScratchSize: 0
; MemoryBound: 0
; FloatMode: 240
; IeeeMode: 1
; LDSByteSize: 0 bytes/workgroup (compile time only)
; SGPRBlocks: 0
; VGPRBlocks: 0
; NumSGPRsForWavesPerEU: 6
; NumVGPRsForWavesPerEU: 1
; AccumOffset: 4
; Occupancy: 8
; WaveLimiterHint : 0
; COMPUTE_PGM_RSRC2:SCRATCH_EN: 0
; COMPUTE_PGM_RSRC2:USER_SGPR: 2
; COMPUTE_PGM_RSRC2:TRAP_HANDLER: 0
; COMPUTE_PGM_RSRC2:TGID_X_EN: 1
; COMPUTE_PGM_RSRC2:TGID_Y_EN: 0
; COMPUTE_PGM_RSRC2:TGID_Z_EN: 0
; COMPUTE_PGM_RSRC2:TIDIG_COMP_CNT: 0
; COMPUTE_PGM_RSRC3_GFX90A:ACCUM_OFFSET: 0
; COMPUTE_PGM_RSRC3_GFX90A:TG_SPLIT: 0
	.section	.text._ZN7rocprim17ROCPRIM_400000_NS6detail17trampoline_kernelINS0_14default_configENS1_25partition_config_selectorILNS1_17partition_subalgoE9EllbEEZZNS1_14partition_implILS5_9ELb0ES3_jPlS8_PNS0_10empty_typeENS0_5tupleIJS8_S9_EEENSB_IJS8_SA_EEENS0_18inequality_wrapperIZN2at6native12_GLOBAL__N_124unique_dim_cuda_templateIN3c104HalfEEESt5tupleIJNSF_6TensorESM_SM_EERKSM_lbbbEUlllE0_EEPmJS9_EEE10hipError_tPvRmT3_T4_T5_T6_T7_T9_mT8_P12ihipStream_tbDpT10_ENKUlT_T0_E_clISt17integral_constantIbLb0EES1B_IbLb1EEEEDaS17_S18_EUlS17_E_NS1_11comp_targetILNS1_3genE2ELNS1_11target_archE906ELNS1_3gpuE6ELNS1_3repE0EEENS1_30default_config_static_selectorELNS0_4arch9wavefront6targetE1EEEvT1_,"axG",@progbits,_ZN7rocprim17ROCPRIM_400000_NS6detail17trampoline_kernelINS0_14default_configENS1_25partition_config_selectorILNS1_17partition_subalgoE9EllbEEZZNS1_14partition_implILS5_9ELb0ES3_jPlS8_PNS0_10empty_typeENS0_5tupleIJS8_S9_EEENSB_IJS8_SA_EEENS0_18inequality_wrapperIZN2at6native12_GLOBAL__N_124unique_dim_cuda_templateIN3c104HalfEEESt5tupleIJNSF_6TensorESM_SM_EERKSM_lbbbEUlllE0_EEPmJS9_EEE10hipError_tPvRmT3_T4_T5_T6_T7_T9_mT8_P12ihipStream_tbDpT10_ENKUlT_T0_E_clISt17integral_constantIbLb0EES1B_IbLb1EEEEDaS17_S18_EUlS17_E_NS1_11comp_targetILNS1_3genE2ELNS1_11target_archE906ELNS1_3gpuE6ELNS1_3repE0EEENS1_30default_config_static_selectorELNS0_4arch9wavefront6targetE1EEEvT1_,comdat
	.globl	_ZN7rocprim17ROCPRIM_400000_NS6detail17trampoline_kernelINS0_14default_configENS1_25partition_config_selectorILNS1_17partition_subalgoE9EllbEEZZNS1_14partition_implILS5_9ELb0ES3_jPlS8_PNS0_10empty_typeENS0_5tupleIJS8_S9_EEENSB_IJS8_SA_EEENS0_18inequality_wrapperIZN2at6native12_GLOBAL__N_124unique_dim_cuda_templateIN3c104HalfEEESt5tupleIJNSF_6TensorESM_SM_EERKSM_lbbbEUlllE0_EEPmJS9_EEE10hipError_tPvRmT3_T4_T5_T6_T7_T9_mT8_P12ihipStream_tbDpT10_ENKUlT_T0_E_clISt17integral_constantIbLb0EES1B_IbLb1EEEEDaS17_S18_EUlS17_E_NS1_11comp_targetILNS1_3genE2ELNS1_11target_archE906ELNS1_3gpuE6ELNS1_3repE0EEENS1_30default_config_static_selectorELNS0_4arch9wavefront6targetE1EEEvT1_ ; -- Begin function _ZN7rocprim17ROCPRIM_400000_NS6detail17trampoline_kernelINS0_14default_configENS1_25partition_config_selectorILNS1_17partition_subalgoE9EllbEEZZNS1_14partition_implILS5_9ELb0ES3_jPlS8_PNS0_10empty_typeENS0_5tupleIJS8_S9_EEENSB_IJS8_SA_EEENS0_18inequality_wrapperIZN2at6native12_GLOBAL__N_124unique_dim_cuda_templateIN3c104HalfEEESt5tupleIJNSF_6TensorESM_SM_EERKSM_lbbbEUlllE0_EEPmJS9_EEE10hipError_tPvRmT3_T4_T5_T6_T7_T9_mT8_P12ihipStream_tbDpT10_ENKUlT_T0_E_clISt17integral_constantIbLb0EES1B_IbLb1EEEEDaS17_S18_EUlS17_E_NS1_11comp_targetILNS1_3genE2ELNS1_11target_archE906ELNS1_3gpuE6ELNS1_3repE0EEENS1_30default_config_static_selectorELNS0_4arch9wavefront6targetE1EEEvT1_
	.p2align	8
	.type	_ZN7rocprim17ROCPRIM_400000_NS6detail17trampoline_kernelINS0_14default_configENS1_25partition_config_selectorILNS1_17partition_subalgoE9EllbEEZZNS1_14partition_implILS5_9ELb0ES3_jPlS8_PNS0_10empty_typeENS0_5tupleIJS8_S9_EEENSB_IJS8_SA_EEENS0_18inequality_wrapperIZN2at6native12_GLOBAL__N_124unique_dim_cuda_templateIN3c104HalfEEESt5tupleIJNSF_6TensorESM_SM_EERKSM_lbbbEUlllE0_EEPmJS9_EEE10hipError_tPvRmT3_T4_T5_T6_T7_T9_mT8_P12ihipStream_tbDpT10_ENKUlT_T0_E_clISt17integral_constantIbLb0EES1B_IbLb1EEEEDaS17_S18_EUlS17_E_NS1_11comp_targetILNS1_3genE2ELNS1_11target_archE906ELNS1_3gpuE6ELNS1_3repE0EEENS1_30default_config_static_selectorELNS0_4arch9wavefront6targetE1EEEvT1_,@function
_ZN7rocprim17ROCPRIM_400000_NS6detail17trampoline_kernelINS0_14default_configENS1_25partition_config_selectorILNS1_17partition_subalgoE9EllbEEZZNS1_14partition_implILS5_9ELb0ES3_jPlS8_PNS0_10empty_typeENS0_5tupleIJS8_S9_EEENSB_IJS8_SA_EEENS0_18inequality_wrapperIZN2at6native12_GLOBAL__N_124unique_dim_cuda_templateIN3c104HalfEEESt5tupleIJNSF_6TensorESM_SM_EERKSM_lbbbEUlllE0_EEPmJS9_EEE10hipError_tPvRmT3_T4_T5_T6_T7_T9_mT8_P12ihipStream_tbDpT10_ENKUlT_T0_E_clISt17integral_constantIbLb0EES1B_IbLb1EEEEDaS17_S18_EUlS17_E_NS1_11comp_targetILNS1_3genE2ELNS1_11target_archE906ELNS1_3gpuE6ELNS1_3repE0EEENS1_30default_config_static_selectorELNS0_4arch9wavefront6targetE1EEEvT1_: ; @_ZN7rocprim17ROCPRIM_400000_NS6detail17trampoline_kernelINS0_14default_configENS1_25partition_config_selectorILNS1_17partition_subalgoE9EllbEEZZNS1_14partition_implILS5_9ELb0ES3_jPlS8_PNS0_10empty_typeENS0_5tupleIJS8_S9_EEENSB_IJS8_SA_EEENS0_18inequality_wrapperIZN2at6native12_GLOBAL__N_124unique_dim_cuda_templateIN3c104HalfEEESt5tupleIJNSF_6TensorESM_SM_EERKSM_lbbbEUlllE0_EEPmJS9_EEE10hipError_tPvRmT3_T4_T5_T6_T7_T9_mT8_P12ihipStream_tbDpT10_ENKUlT_T0_E_clISt17integral_constantIbLb0EES1B_IbLb1EEEEDaS17_S18_EUlS17_E_NS1_11comp_targetILNS1_3genE2ELNS1_11target_archE906ELNS1_3gpuE6ELNS1_3repE0EEENS1_30default_config_static_selectorELNS0_4arch9wavefront6targetE1EEEvT1_
; %bb.0:
	.section	.rodata,"a",@progbits
	.p2align	6, 0x0
	.amdhsa_kernel _ZN7rocprim17ROCPRIM_400000_NS6detail17trampoline_kernelINS0_14default_configENS1_25partition_config_selectorILNS1_17partition_subalgoE9EllbEEZZNS1_14partition_implILS5_9ELb0ES3_jPlS8_PNS0_10empty_typeENS0_5tupleIJS8_S9_EEENSB_IJS8_SA_EEENS0_18inequality_wrapperIZN2at6native12_GLOBAL__N_124unique_dim_cuda_templateIN3c104HalfEEESt5tupleIJNSF_6TensorESM_SM_EERKSM_lbbbEUlllE0_EEPmJS9_EEE10hipError_tPvRmT3_T4_T5_T6_T7_T9_mT8_P12ihipStream_tbDpT10_ENKUlT_T0_E_clISt17integral_constantIbLb0EES1B_IbLb1EEEEDaS17_S18_EUlS17_E_NS1_11comp_targetILNS1_3genE2ELNS1_11target_archE906ELNS1_3gpuE6ELNS1_3repE0EEENS1_30default_config_static_selectorELNS0_4arch9wavefront6targetE1EEEvT1_
		.amdhsa_group_segment_fixed_size 0
		.amdhsa_private_segment_fixed_size 0
		.amdhsa_kernarg_size 136
		.amdhsa_user_sgpr_count 2
		.amdhsa_user_sgpr_dispatch_ptr 0
		.amdhsa_user_sgpr_queue_ptr 0
		.amdhsa_user_sgpr_kernarg_segment_ptr 1
		.amdhsa_user_sgpr_dispatch_id 0
		.amdhsa_user_sgpr_kernarg_preload_length 0
		.amdhsa_user_sgpr_kernarg_preload_offset 0
		.amdhsa_user_sgpr_private_segment_size 0
		.amdhsa_uses_dynamic_stack 0
		.amdhsa_enable_private_segment 0
		.amdhsa_system_sgpr_workgroup_id_x 1
		.amdhsa_system_sgpr_workgroup_id_y 0
		.amdhsa_system_sgpr_workgroup_id_z 0
		.amdhsa_system_sgpr_workgroup_info 0
		.amdhsa_system_vgpr_workitem_id 0
		.amdhsa_next_free_vgpr 1
		.amdhsa_next_free_sgpr 0
		.amdhsa_accum_offset 4
		.amdhsa_reserve_vcc 0
		.amdhsa_float_round_mode_32 0
		.amdhsa_float_round_mode_16_64 0
		.amdhsa_float_denorm_mode_32 3
		.amdhsa_float_denorm_mode_16_64 3
		.amdhsa_dx10_clamp 1
		.amdhsa_ieee_mode 1
		.amdhsa_fp16_overflow 0
		.amdhsa_tg_split 0
		.amdhsa_exception_fp_ieee_invalid_op 0
		.amdhsa_exception_fp_denorm_src 0
		.amdhsa_exception_fp_ieee_div_zero 0
		.amdhsa_exception_fp_ieee_overflow 0
		.amdhsa_exception_fp_ieee_underflow 0
		.amdhsa_exception_fp_ieee_inexact 0
		.amdhsa_exception_int_div_zero 0
	.end_amdhsa_kernel
	.section	.text._ZN7rocprim17ROCPRIM_400000_NS6detail17trampoline_kernelINS0_14default_configENS1_25partition_config_selectorILNS1_17partition_subalgoE9EllbEEZZNS1_14partition_implILS5_9ELb0ES3_jPlS8_PNS0_10empty_typeENS0_5tupleIJS8_S9_EEENSB_IJS8_SA_EEENS0_18inequality_wrapperIZN2at6native12_GLOBAL__N_124unique_dim_cuda_templateIN3c104HalfEEESt5tupleIJNSF_6TensorESM_SM_EERKSM_lbbbEUlllE0_EEPmJS9_EEE10hipError_tPvRmT3_T4_T5_T6_T7_T9_mT8_P12ihipStream_tbDpT10_ENKUlT_T0_E_clISt17integral_constantIbLb0EES1B_IbLb1EEEEDaS17_S18_EUlS17_E_NS1_11comp_targetILNS1_3genE2ELNS1_11target_archE906ELNS1_3gpuE6ELNS1_3repE0EEENS1_30default_config_static_selectorELNS0_4arch9wavefront6targetE1EEEvT1_,"axG",@progbits,_ZN7rocprim17ROCPRIM_400000_NS6detail17trampoline_kernelINS0_14default_configENS1_25partition_config_selectorILNS1_17partition_subalgoE9EllbEEZZNS1_14partition_implILS5_9ELb0ES3_jPlS8_PNS0_10empty_typeENS0_5tupleIJS8_S9_EEENSB_IJS8_SA_EEENS0_18inequality_wrapperIZN2at6native12_GLOBAL__N_124unique_dim_cuda_templateIN3c104HalfEEESt5tupleIJNSF_6TensorESM_SM_EERKSM_lbbbEUlllE0_EEPmJS9_EEE10hipError_tPvRmT3_T4_T5_T6_T7_T9_mT8_P12ihipStream_tbDpT10_ENKUlT_T0_E_clISt17integral_constantIbLb0EES1B_IbLb1EEEEDaS17_S18_EUlS17_E_NS1_11comp_targetILNS1_3genE2ELNS1_11target_archE906ELNS1_3gpuE6ELNS1_3repE0EEENS1_30default_config_static_selectorELNS0_4arch9wavefront6targetE1EEEvT1_,comdat
.Lfunc_end1357:
	.size	_ZN7rocprim17ROCPRIM_400000_NS6detail17trampoline_kernelINS0_14default_configENS1_25partition_config_selectorILNS1_17partition_subalgoE9EllbEEZZNS1_14partition_implILS5_9ELb0ES3_jPlS8_PNS0_10empty_typeENS0_5tupleIJS8_S9_EEENSB_IJS8_SA_EEENS0_18inequality_wrapperIZN2at6native12_GLOBAL__N_124unique_dim_cuda_templateIN3c104HalfEEESt5tupleIJNSF_6TensorESM_SM_EERKSM_lbbbEUlllE0_EEPmJS9_EEE10hipError_tPvRmT3_T4_T5_T6_T7_T9_mT8_P12ihipStream_tbDpT10_ENKUlT_T0_E_clISt17integral_constantIbLb0EES1B_IbLb1EEEEDaS17_S18_EUlS17_E_NS1_11comp_targetILNS1_3genE2ELNS1_11target_archE906ELNS1_3gpuE6ELNS1_3repE0EEENS1_30default_config_static_selectorELNS0_4arch9wavefront6targetE1EEEvT1_, .Lfunc_end1357-_ZN7rocprim17ROCPRIM_400000_NS6detail17trampoline_kernelINS0_14default_configENS1_25partition_config_selectorILNS1_17partition_subalgoE9EllbEEZZNS1_14partition_implILS5_9ELb0ES3_jPlS8_PNS0_10empty_typeENS0_5tupleIJS8_S9_EEENSB_IJS8_SA_EEENS0_18inequality_wrapperIZN2at6native12_GLOBAL__N_124unique_dim_cuda_templateIN3c104HalfEEESt5tupleIJNSF_6TensorESM_SM_EERKSM_lbbbEUlllE0_EEPmJS9_EEE10hipError_tPvRmT3_T4_T5_T6_T7_T9_mT8_P12ihipStream_tbDpT10_ENKUlT_T0_E_clISt17integral_constantIbLb0EES1B_IbLb1EEEEDaS17_S18_EUlS17_E_NS1_11comp_targetILNS1_3genE2ELNS1_11target_archE906ELNS1_3gpuE6ELNS1_3repE0EEENS1_30default_config_static_selectorELNS0_4arch9wavefront6targetE1EEEvT1_
                                        ; -- End function
	.set _ZN7rocprim17ROCPRIM_400000_NS6detail17trampoline_kernelINS0_14default_configENS1_25partition_config_selectorILNS1_17partition_subalgoE9EllbEEZZNS1_14partition_implILS5_9ELb0ES3_jPlS8_PNS0_10empty_typeENS0_5tupleIJS8_S9_EEENSB_IJS8_SA_EEENS0_18inequality_wrapperIZN2at6native12_GLOBAL__N_124unique_dim_cuda_templateIN3c104HalfEEESt5tupleIJNSF_6TensorESM_SM_EERKSM_lbbbEUlllE0_EEPmJS9_EEE10hipError_tPvRmT3_T4_T5_T6_T7_T9_mT8_P12ihipStream_tbDpT10_ENKUlT_T0_E_clISt17integral_constantIbLb0EES1B_IbLb1EEEEDaS17_S18_EUlS17_E_NS1_11comp_targetILNS1_3genE2ELNS1_11target_archE906ELNS1_3gpuE6ELNS1_3repE0EEENS1_30default_config_static_selectorELNS0_4arch9wavefront6targetE1EEEvT1_.num_vgpr, 0
	.set _ZN7rocprim17ROCPRIM_400000_NS6detail17trampoline_kernelINS0_14default_configENS1_25partition_config_selectorILNS1_17partition_subalgoE9EllbEEZZNS1_14partition_implILS5_9ELb0ES3_jPlS8_PNS0_10empty_typeENS0_5tupleIJS8_S9_EEENSB_IJS8_SA_EEENS0_18inequality_wrapperIZN2at6native12_GLOBAL__N_124unique_dim_cuda_templateIN3c104HalfEEESt5tupleIJNSF_6TensorESM_SM_EERKSM_lbbbEUlllE0_EEPmJS9_EEE10hipError_tPvRmT3_T4_T5_T6_T7_T9_mT8_P12ihipStream_tbDpT10_ENKUlT_T0_E_clISt17integral_constantIbLb0EES1B_IbLb1EEEEDaS17_S18_EUlS17_E_NS1_11comp_targetILNS1_3genE2ELNS1_11target_archE906ELNS1_3gpuE6ELNS1_3repE0EEENS1_30default_config_static_selectorELNS0_4arch9wavefront6targetE1EEEvT1_.num_agpr, 0
	.set _ZN7rocprim17ROCPRIM_400000_NS6detail17trampoline_kernelINS0_14default_configENS1_25partition_config_selectorILNS1_17partition_subalgoE9EllbEEZZNS1_14partition_implILS5_9ELb0ES3_jPlS8_PNS0_10empty_typeENS0_5tupleIJS8_S9_EEENSB_IJS8_SA_EEENS0_18inequality_wrapperIZN2at6native12_GLOBAL__N_124unique_dim_cuda_templateIN3c104HalfEEESt5tupleIJNSF_6TensorESM_SM_EERKSM_lbbbEUlllE0_EEPmJS9_EEE10hipError_tPvRmT3_T4_T5_T6_T7_T9_mT8_P12ihipStream_tbDpT10_ENKUlT_T0_E_clISt17integral_constantIbLb0EES1B_IbLb1EEEEDaS17_S18_EUlS17_E_NS1_11comp_targetILNS1_3genE2ELNS1_11target_archE906ELNS1_3gpuE6ELNS1_3repE0EEENS1_30default_config_static_selectorELNS0_4arch9wavefront6targetE1EEEvT1_.numbered_sgpr, 0
	.set _ZN7rocprim17ROCPRIM_400000_NS6detail17trampoline_kernelINS0_14default_configENS1_25partition_config_selectorILNS1_17partition_subalgoE9EllbEEZZNS1_14partition_implILS5_9ELb0ES3_jPlS8_PNS0_10empty_typeENS0_5tupleIJS8_S9_EEENSB_IJS8_SA_EEENS0_18inequality_wrapperIZN2at6native12_GLOBAL__N_124unique_dim_cuda_templateIN3c104HalfEEESt5tupleIJNSF_6TensorESM_SM_EERKSM_lbbbEUlllE0_EEPmJS9_EEE10hipError_tPvRmT3_T4_T5_T6_T7_T9_mT8_P12ihipStream_tbDpT10_ENKUlT_T0_E_clISt17integral_constantIbLb0EES1B_IbLb1EEEEDaS17_S18_EUlS17_E_NS1_11comp_targetILNS1_3genE2ELNS1_11target_archE906ELNS1_3gpuE6ELNS1_3repE0EEENS1_30default_config_static_selectorELNS0_4arch9wavefront6targetE1EEEvT1_.num_named_barrier, 0
	.set _ZN7rocprim17ROCPRIM_400000_NS6detail17trampoline_kernelINS0_14default_configENS1_25partition_config_selectorILNS1_17partition_subalgoE9EllbEEZZNS1_14partition_implILS5_9ELb0ES3_jPlS8_PNS0_10empty_typeENS0_5tupleIJS8_S9_EEENSB_IJS8_SA_EEENS0_18inequality_wrapperIZN2at6native12_GLOBAL__N_124unique_dim_cuda_templateIN3c104HalfEEESt5tupleIJNSF_6TensorESM_SM_EERKSM_lbbbEUlllE0_EEPmJS9_EEE10hipError_tPvRmT3_T4_T5_T6_T7_T9_mT8_P12ihipStream_tbDpT10_ENKUlT_T0_E_clISt17integral_constantIbLb0EES1B_IbLb1EEEEDaS17_S18_EUlS17_E_NS1_11comp_targetILNS1_3genE2ELNS1_11target_archE906ELNS1_3gpuE6ELNS1_3repE0EEENS1_30default_config_static_selectorELNS0_4arch9wavefront6targetE1EEEvT1_.private_seg_size, 0
	.set _ZN7rocprim17ROCPRIM_400000_NS6detail17trampoline_kernelINS0_14default_configENS1_25partition_config_selectorILNS1_17partition_subalgoE9EllbEEZZNS1_14partition_implILS5_9ELb0ES3_jPlS8_PNS0_10empty_typeENS0_5tupleIJS8_S9_EEENSB_IJS8_SA_EEENS0_18inequality_wrapperIZN2at6native12_GLOBAL__N_124unique_dim_cuda_templateIN3c104HalfEEESt5tupleIJNSF_6TensorESM_SM_EERKSM_lbbbEUlllE0_EEPmJS9_EEE10hipError_tPvRmT3_T4_T5_T6_T7_T9_mT8_P12ihipStream_tbDpT10_ENKUlT_T0_E_clISt17integral_constantIbLb0EES1B_IbLb1EEEEDaS17_S18_EUlS17_E_NS1_11comp_targetILNS1_3genE2ELNS1_11target_archE906ELNS1_3gpuE6ELNS1_3repE0EEENS1_30default_config_static_selectorELNS0_4arch9wavefront6targetE1EEEvT1_.uses_vcc, 0
	.set _ZN7rocprim17ROCPRIM_400000_NS6detail17trampoline_kernelINS0_14default_configENS1_25partition_config_selectorILNS1_17partition_subalgoE9EllbEEZZNS1_14partition_implILS5_9ELb0ES3_jPlS8_PNS0_10empty_typeENS0_5tupleIJS8_S9_EEENSB_IJS8_SA_EEENS0_18inequality_wrapperIZN2at6native12_GLOBAL__N_124unique_dim_cuda_templateIN3c104HalfEEESt5tupleIJNSF_6TensorESM_SM_EERKSM_lbbbEUlllE0_EEPmJS9_EEE10hipError_tPvRmT3_T4_T5_T6_T7_T9_mT8_P12ihipStream_tbDpT10_ENKUlT_T0_E_clISt17integral_constantIbLb0EES1B_IbLb1EEEEDaS17_S18_EUlS17_E_NS1_11comp_targetILNS1_3genE2ELNS1_11target_archE906ELNS1_3gpuE6ELNS1_3repE0EEENS1_30default_config_static_selectorELNS0_4arch9wavefront6targetE1EEEvT1_.uses_flat_scratch, 0
	.set _ZN7rocprim17ROCPRIM_400000_NS6detail17trampoline_kernelINS0_14default_configENS1_25partition_config_selectorILNS1_17partition_subalgoE9EllbEEZZNS1_14partition_implILS5_9ELb0ES3_jPlS8_PNS0_10empty_typeENS0_5tupleIJS8_S9_EEENSB_IJS8_SA_EEENS0_18inequality_wrapperIZN2at6native12_GLOBAL__N_124unique_dim_cuda_templateIN3c104HalfEEESt5tupleIJNSF_6TensorESM_SM_EERKSM_lbbbEUlllE0_EEPmJS9_EEE10hipError_tPvRmT3_T4_T5_T6_T7_T9_mT8_P12ihipStream_tbDpT10_ENKUlT_T0_E_clISt17integral_constantIbLb0EES1B_IbLb1EEEEDaS17_S18_EUlS17_E_NS1_11comp_targetILNS1_3genE2ELNS1_11target_archE906ELNS1_3gpuE6ELNS1_3repE0EEENS1_30default_config_static_selectorELNS0_4arch9wavefront6targetE1EEEvT1_.has_dyn_sized_stack, 0
	.set _ZN7rocprim17ROCPRIM_400000_NS6detail17trampoline_kernelINS0_14default_configENS1_25partition_config_selectorILNS1_17partition_subalgoE9EllbEEZZNS1_14partition_implILS5_9ELb0ES3_jPlS8_PNS0_10empty_typeENS0_5tupleIJS8_S9_EEENSB_IJS8_SA_EEENS0_18inequality_wrapperIZN2at6native12_GLOBAL__N_124unique_dim_cuda_templateIN3c104HalfEEESt5tupleIJNSF_6TensorESM_SM_EERKSM_lbbbEUlllE0_EEPmJS9_EEE10hipError_tPvRmT3_T4_T5_T6_T7_T9_mT8_P12ihipStream_tbDpT10_ENKUlT_T0_E_clISt17integral_constantIbLb0EES1B_IbLb1EEEEDaS17_S18_EUlS17_E_NS1_11comp_targetILNS1_3genE2ELNS1_11target_archE906ELNS1_3gpuE6ELNS1_3repE0EEENS1_30default_config_static_selectorELNS0_4arch9wavefront6targetE1EEEvT1_.has_recursion, 0
	.set _ZN7rocprim17ROCPRIM_400000_NS6detail17trampoline_kernelINS0_14default_configENS1_25partition_config_selectorILNS1_17partition_subalgoE9EllbEEZZNS1_14partition_implILS5_9ELb0ES3_jPlS8_PNS0_10empty_typeENS0_5tupleIJS8_S9_EEENSB_IJS8_SA_EEENS0_18inequality_wrapperIZN2at6native12_GLOBAL__N_124unique_dim_cuda_templateIN3c104HalfEEESt5tupleIJNSF_6TensorESM_SM_EERKSM_lbbbEUlllE0_EEPmJS9_EEE10hipError_tPvRmT3_T4_T5_T6_T7_T9_mT8_P12ihipStream_tbDpT10_ENKUlT_T0_E_clISt17integral_constantIbLb0EES1B_IbLb1EEEEDaS17_S18_EUlS17_E_NS1_11comp_targetILNS1_3genE2ELNS1_11target_archE906ELNS1_3gpuE6ELNS1_3repE0EEENS1_30default_config_static_selectorELNS0_4arch9wavefront6targetE1EEEvT1_.has_indirect_call, 0
	.section	.AMDGPU.csdata,"",@progbits
; Kernel info:
; codeLenInByte = 0
; TotalNumSgprs: 6
; NumVgprs: 0
; NumAgprs: 0
; TotalNumVgprs: 0
; ScratchSize: 0
; MemoryBound: 0
; FloatMode: 240
; IeeeMode: 1
; LDSByteSize: 0 bytes/workgroup (compile time only)
; SGPRBlocks: 0
; VGPRBlocks: 0
; NumSGPRsForWavesPerEU: 6
; NumVGPRsForWavesPerEU: 1
; AccumOffset: 4
; Occupancy: 8
; WaveLimiterHint : 0
; COMPUTE_PGM_RSRC2:SCRATCH_EN: 0
; COMPUTE_PGM_RSRC2:USER_SGPR: 2
; COMPUTE_PGM_RSRC2:TRAP_HANDLER: 0
; COMPUTE_PGM_RSRC2:TGID_X_EN: 1
; COMPUTE_PGM_RSRC2:TGID_Y_EN: 0
; COMPUTE_PGM_RSRC2:TGID_Z_EN: 0
; COMPUTE_PGM_RSRC2:TIDIG_COMP_CNT: 0
; COMPUTE_PGM_RSRC3_GFX90A:ACCUM_OFFSET: 0
; COMPUTE_PGM_RSRC3_GFX90A:TG_SPLIT: 0
	.section	.text._ZN7rocprim17ROCPRIM_400000_NS6detail17trampoline_kernelINS0_14default_configENS1_25partition_config_selectorILNS1_17partition_subalgoE9EllbEEZZNS1_14partition_implILS5_9ELb0ES3_jPlS8_PNS0_10empty_typeENS0_5tupleIJS8_S9_EEENSB_IJS8_SA_EEENS0_18inequality_wrapperIZN2at6native12_GLOBAL__N_124unique_dim_cuda_templateIN3c104HalfEEESt5tupleIJNSF_6TensorESM_SM_EERKSM_lbbbEUlllE0_EEPmJS9_EEE10hipError_tPvRmT3_T4_T5_T6_T7_T9_mT8_P12ihipStream_tbDpT10_ENKUlT_T0_E_clISt17integral_constantIbLb0EES1B_IbLb1EEEEDaS17_S18_EUlS17_E_NS1_11comp_targetILNS1_3genE10ELNS1_11target_archE1200ELNS1_3gpuE4ELNS1_3repE0EEENS1_30default_config_static_selectorELNS0_4arch9wavefront6targetE1EEEvT1_,"axG",@progbits,_ZN7rocprim17ROCPRIM_400000_NS6detail17trampoline_kernelINS0_14default_configENS1_25partition_config_selectorILNS1_17partition_subalgoE9EllbEEZZNS1_14partition_implILS5_9ELb0ES3_jPlS8_PNS0_10empty_typeENS0_5tupleIJS8_S9_EEENSB_IJS8_SA_EEENS0_18inequality_wrapperIZN2at6native12_GLOBAL__N_124unique_dim_cuda_templateIN3c104HalfEEESt5tupleIJNSF_6TensorESM_SM_EERKSM_lbbbEUlllE0_EEPmJS9_EEE10hipError_tPvRmT3_T4_T5_T6_T7_T9_mT8_P12ihipStream_tbDpT10_ENKUlT_T0_E_clISt17integral_constantIbLb0EES1B_IbLb1EEEEDaS17_S18_EUlS17_E_NS1_11comp_targetILNS1_3genE10ELNS1_11target_archE1200ELNS1_3gpuE4ELNS1_3repE0EEENS1_30default_config_static_selectorELNS0_4arch9wavefront6targetE1EEEvT1_,comdat
	.globl	_ZN7rocprim17ROCPRIM_400000_NS6detail17trampoline_kernelINS0_14default_configENS1_25partition_config_selectorILNS1_17partition_subalgoE9EllbEEZZNS1_14partition_implILS5_9ELb0ES3_jPlS8_PNS0_10empty_typeENS0_5tupleIJS8_S9_EEENSB_IJS8_SA_EEENS0_18inequality_wrapperIZN2at6native12_GLOBAL__N_124unique_dim_cuda_templateIN3c104HalfEEESt5tupleIJNSF_6TensorESM_SM_EERKSM_lbbbEUlllE0_EEPmJS9_EEE10hipError_tPvRmT3_T4_T5_T6_T7_T9_mT8_P12ihipStream_tbDpT10_ENKUlT_T0_E_clISt17integral_constantIbLb0EES1B_IbLb1EEEEDaS17_S18_EUlS17_E_NS1_11comp_targetILNS1_3genE10ELNS1_11target_archE1200ELNS1_3gpuE4ELNS1_3repE0EEENS1_30default_config_static_selectorELNS0_4arch9wavefront6targetE1EEEvT1_ ; -- Begin function _ZN7rocprim17ROCPRIM_400000_NS6detail17trampoline_kernelINS0_14default_configENS1_25partition_config_selectorILNS1_17partition_subalgoE9EllbEEZZNS1_14partition_implILS5_9ELb0ES3_jPlS8_PNS0_10empty_typeENS0_5tupleIJS8_S9_EEENSB_IJS8_SA_EEENS0_18inequality_wrapperIZN2at6native12_GLOBAL__N_124unique_dim_cuda_templateIN3c104HalfEEESt5tupleIJNSF_6TensorESM_SM_EERKSM_lbbbEUlllE0_EEPmJS9_EEE10hipError_tPvRmT3_T4_T5_T6_T7_T9_mT8_P12ihipStream_tbDpT10_ENKUlT_T0_E_clISt17integral_constantIbLb0EES1B_IbLb1EEEEDaS17_S18_EUlS17_E_NS1_11comp_targetILNS1_3genE10ELNS1_11target_archE1200ELNS1_3gpuE4ELNS1_3repE0EEENS1_30default_config_static_selectorELNS0_4arch9wavefront6targetE1EEEvT1_
	.p2align	8
	.type	_ZN7rocprim17ROCPRIM_400000_NS6detail17trampoline_kernelINS0_14default_configENS1_25partition_config_selectorILNS1_17partition_subalgoE9EllbEEZZNS1_14partition_implILS5_9ELb0ES3_jPlS8_PNS0_10empty_typeENS0_5tupleIJS8_S9_EEENSB_IJS8_SA_EEENS0_18inequality_wrapperIZN2at6native12_GLOBAL__N_124unique_dim_cuda_templateIN3c104HalfEEESt5tupleIJNSF_6TensorESM_SM_EERKSM_lbbbEUlllE0_EEPmJS9_EEE10hipError_tPvRmT3_T4_T5_T6_T7_T9_mT8_P12ihipStream_tbDpT10_ENKUlT_T0_E_clISt17integral_constantIbLb0EES1B_IbLb1EEEEDaS17_S18_EUlS17_E_NS1_11comp_targetILNS1_3genE10ELNS1_11target_archE1200ELNS1_3gpuE4ELNS1_3repE0EEENS1_30default_config_static_selectorELNS0_4arch9wavefront6targetE1EEEvT1_,@function
_ZN7rocprim17ROCPRIM_400000_NS6detail17trampoline_kernelINS0_14default_configENS1_25partition_config_selectorILNS1_17partition_subalgoE9EllbEEZZNS1_14partition_implILS5_9ELb0ES3_jPlS8_PNS0_10empty_typeENS0_5tupleIJS8_S9_EEENSB_IJS8_SA_EEENS0_18inequality_wrapperIZN2at6native12_GLOBAL__N_124unique_dim_cuda_templateIN3c104HalfEEESt5tupleIJNSF_6TensorESM_SM_EERKSM_lbbbEUlllE0_EEPmJS9_EEE10hipError_tPvRmT3_T4_T5_T6_T7_T9_mT8_P12ihipStream_tbDpT10_ENKUlT_T0_E_clISt17integral_constantIbLb0EES1B_IbLb1EEEEDaS17_S18_EUlS17_E_NS1_11comp_targetILNS1_3genE10ELNS1_11target_archE1200ELNS1_3gpuE4ELNS1_3repE0EEENS1_30default_config_static_selectorELNS0_4arch9wavefront6targetE1EEEvT1_: ; @_ZN7rocprim17ROCPRIM_400000_NS6detail17trampoline_kernelINS0_14default_configENS1_25partition_config_selectorILNS1_17partition_subalgoE9EllbEEZZNS1_14partition_implILS5_9ELb0ES3_jPlS8_PNS0_10empty_typeENS0_5tupleIJS8_S9_EEENSB_IJS8_SA_EEENS0_18inequality_wrapperIZN2at6native12_GLOBAL__N_124unique_dim_cuda_templateIN3c104HalfEEESt5tupleIJNSF_6TensorESM_SM_EERKSM_lbbbEUlllE0_EEPmJS9_EEE10hipError_tPvRmT3_T4_T5_T6_T7_T9_mT8_P12ihipStream_tbDpT10_ENKUlT_T0_E_clISt17integral_constantIbLb0EES1B_IbLb1EEEEDaS17_S18_EUlS17_E_NS1_11comp_targetILNS1_3genE10ELNS1_11target_archE1200ELNS1_3gpuE4ELNS1_3repE0EEENS1_30default_config_static_selectorELNS0_4arch9wavefront6targetE1EEEvT1_
; %bb.0:
	.section	.rodata,"a",@progbits
	.p2align	6, 0x0
	.amdhsa_kernel _ZN7rocprim17ROCPRIM_400000_NS6detail17trampoline_kernelINS0_14default_configENS1_25partition_config_selectorILNS1_17partition_subalgoE9EllbEEZZNS1_14partition_implILS5_9ELb0ES3_jPlS8_PNS0_10empty_typeENS0_5tupleIJS8_S9_EEENSB_IJS8_SA_EEENS0_18inequality_wrapperIZN2at6native12_GLOBAL__N_124unique_dim_cuda_templateIN3c104HalfEEESt5tupleIJNSF_6TensorESM_SM_EERKSM_lbbbEUlllE0_EEPmJS9_EEE10hipError_tPvRmT3_T4_T5_T6_T7_T9_mT8_P12ihipStream_tbDpT10_ENKUlT_T0_E_clISt17integral_constantIbLb0EES1B_IbLb1EEEEDaS17_S18_EUlS17_E_NS1_11comp_targetILNS1_3genE10ELNS1_11target_archE1200ELNS1_3gpuE4ELNS1_3repE0EEENS1_30default_config_static_selectorELNS0_4arch9wavefront6targetE1EEEvT1_
		.amdhsa_group_segment_fixed_size 0
		.amdhsa_private_segment_fixed_size 0
		.amdhsa_kernarg_size 136
		.amdhsa_user_sgpr_count 2
		.amdhsa_user_sgpr_dispatch_ptr 0
		.amdhsa_user_sgpr_queue_ptr 0
		.amdhsa_user_sgpr_kernarg_segment_ptr 1
		.amdhsa_user_sgpr_dispatch_id 0
		.amdhsa_user_sgpr_kernarg_preload_length 0
		.amdhsa_user_sgpr_kernarg_preload_offset 0
		.amdhsa_user_sgpr_private_segment_size 0
		.amdhsa_uses_dynamic_stack 0
		.amdhsa_enable_private_segment 0
		.amdhsa_system_sgpr_workgroup_id_x 1
		.amdhsa_system_sgpr_workgroup_id_y 0
		.amdhsa_system_sgpr_workgroup_id_z 0
		.amdhsa_system_sgpr_workgroup_info 0
		.amdhsa_system_vgpr_workitem_id 0
		.amdhsa_next_free_vgpr 1
		.amdhsa_next_free_sgpr 0
		.amdhsa_accum_offset 4
		.amdhsa_reserve_vcc 0
		.amdhsa_float_round_mode_32 0
		.amdhsa_float_round_mode_16_64 0
		.amdhsa_float_denorm_mode_32 3
		.amdhsa_float_denorm_mode_16_64 3
		.amdhsa_dx10_clamp 1
		.amdhsa_ieee_mode 1
		.amdhsa_fp16_overflow 0
		.amdhsa_tg_split 0
		.amdhsa_exception_fp_ieee_invalid_op 0
		.amdhsa_exception_fp_denorm_src 0
		.amdhsa_exception_fp_ieee_div_zero 0
		.amdhsa_exception_fp_ieee_overflow 0
		.amdhsa_exception_fp_ieee_underflow 0
		.amdhsa_exception_fp_ieee_inexact 0
		.amdhsa_exception_int_div_zero 0
	.end_amdhsa_kernel
	.section	.text._ZN7rocprim17ROCPRIM_400000_NS6detail17trampoline_kernelINS0_14default_configENS1_25partition_config_selectorILNS1_17partition_subalgoE9EllbEEZZNS1_14partition_implILS5_9ELb0ES3_jPlS8_PNS0_10empty_typeENS0_5tupleIJS8_S9_EEENSB_IJS8_SA_EEENS0_18inequality_wrapperIZN2at6native12_GLOBAL__N_124unique_dim_cuda_templateIN3c104HalfEEESt5tupleIJNSF_6TensorESM_SM_EERKSM_lbbbEUlllE0_EEPmJS9_EEE10hipError_tPvRmT3_T4_T5_T6_T7_T9_mT8_P12ihipStream_tbDpT10_ENKUlT_T0_E_clISt17integral_constantIbLb0EES1B_IbLb1EEEEDaS17_S18_EUlS17_E_NS1_11comp_targetILNS1_3genE10ELNS1_11target_archE1200ELNS1_3gpuE4ELNS1_3repE0EEENS1_30default_config_static_selectorELNS0_4arch9wavefront6targetE1EEEvT1_,"axG",@progbits,_ZN7rocprim17ROCPRIM_400000_NS6detail17trampoline_kernelINS0_14default_configENS1_25partition_config_selectorILNS1_17partition_subalgoE9EllbEEZZNS1_14partition_implILS5_9ELb0ES3_jPlS8_PNS0_10empty_typeENS0_5tupleIJS8_S9_EEENSB_IJS8_SA_EEENS0_18inequality_wrapperIZN2at6native12_GLOBAL__N_124unique_dim_cuda_templateIN3c104HalfEEESt5tupleIJNSF_6TensorESM_SM_EERKSM_lbbbEUlllE0_EEPmJS9_EEE10hipError_tPvRmT3_T4_T5_T6_T7_T9_mT8_P12ihipStream_tbDpT10_ENKUlT_T0_E_clISt17integral_constantIbLb0EES1B_IbLb1EEEEDaS17_S18_EUlS17_E_NS1_11comp_targetILNS1_3genE10ELNS1_11target_archE1200ELNS1_3gpuE4ELNS1_3repE0EEENS1_30default_config_static_selectorELNS0_4arch9wavefront6targetE1EEEvT1_,comdat
.Lfunc_end1358:
	.size	_ZN7rocprim17ROCPRIM_400000_NS6detail17trampoline_kernelINS0_14default_configENS1_25partition_config_selectorILNS1_17partition_subalgoE9EllbEEZZNS1_14partition_implILS5_9ELb0ES3_jPlS8_PNS0_10empty_typeENS0_5tupleIJS8_S9_EEENSB_IJS8_SA_EEENS0_18inequality_wrapperIZN2at6native12_GLOBAL__N_124unique_dim_cuda_templateIN3c104HalfEEESt5tupleIJNSF_6TensorESM_SM_EERKSM_lbbbEUlllE0_EEPmJS9_EEE10hipError_tPvRmT3_T4_T5_T6_T7_T9_mT8_P12ihipStream_tbDpT10_ENKUlT_T0_E_clISt17integral_constantIbLb0EES1B_IbLb1EEEEDaS17_S18_EUlS17_E_NS1_11comp_targetILNS1_3genE10ELNS1_11target_archE1200ELNS1_3gpuE4ELNS1_3repE0EEENS1_30default_config_static_selectorELNS0_4arch9wavefront6targetE1EEEvT1_, .Lfunc_end1358-_ZN7rocprim17ROCPRIM_400000_NS6detail17trampoline_kernelINS0_14default_configENS1_25partition_config_selectorILNS1_17partition_subalgoE9EllbEEZZNS1_14partition_implILS5_9ELb0ES3_jPlS8_PNS0_10empty_typeENS0_5tupleIJS8_S9_EEENSB_IJS8_SA_EEENS0_18inequality_wrapperIZN2at6native12_GLOBAL__N_124unique_dim_cuda_templateIN3c104HalfEEESt5tupleIJNSF_6TensorESM_SM_EERKSM_lbbbEUlllE0_EEPmJS9_EEE10hipError_tPvRmT3_T4_T5_T6_T7_T9_mT8_P12ihipStream_tbDpT10_ENKUlT_T0_E_clISt17integral_constantIbLb0EES1B_IbLb1EEEEDaS17_S18_EUlS17_E_NS1_11comp_targetILNS1_3genE10ELNS1_11target_archE1200ELNS1_3gpuE4ELNS1_3repE0EEENS1_30default_config_static_selectorELNS0_4arch9wavefront6targetE1EEEvT1_
                                        ; -- End function
	.set _ZN7rocprim17ROCPRIM_400000_NS6detail17trampoline_kernelINS0_14default_configENS1_25partition_config_selectorILNS1_17partition_subalgoE9EllbEEZZNS1_14partition_implILS5_9ELb0ES3_jPlS8_PNS0_10empty_typeENS0_5tupleIJS8_S9_EEENSB_IJS8_SA_EEENS0_18inequality_wrapperIZN2at6native12_GLOBAL__N_124unique_dim_cuda_templateIN3c104HalfEEESt5tupleIJNSF_6TensorESM_SM_EERKSM_lbbbEUlllE0_EEPmJS9_EEE10hipError_tPvRmT3_T4_T5_T6_T7_T9_mT8_P12ihipStream_tbDpT10_ENKUlT_T0_E_clISt17integral_constantIbLb0EES1B_IbLb1EEEEDaS17_S18_EUlS17_E_NS1_11comp_targetILNS1_3genE10ELNS1_11target_archE1200ELNS1_3gpuE4ELNS1_3repE0EEENS1_30default_config_static_selectorELNS0_4arch9wavefront6targetE1EEEvT1_.num_vgpr, 0
	.set _ZN7rocprim17ROCPRIM_400000_NS6detail17trampoline_kernelINS0_14default_configENS1_25partition_config_selectorILNS1_17partition_subalgoE9EllbEEZZNS1_14partition_implILS5_9ELb0ES3_jPlS8_PNS0_10empty_typeENS0_5tupleIJS8_S9_EEENSB_IJS8_SA_EEENS0_18inequality_wrapperIZN2at6native12_GLOBAL__N_124unique_dim_cuda_templateIN3c104HalfEEESt5tupleIJNSF_6TensorESM_SM_EERKSM_lbbbEUlllE0_EEPmJS9_EEE10hipError_tPvRmT3_T4_T5_T6_T7_T9_mT8_P12ihipStream_tbDpT10_ENKUlT_T0_E_clISt17integral_constantIbLb0EES1B_IbLb1EEEEDaS17_S18_EUlS17_E_NS1_11comp_targetILNS1_3genE10ELNS1_11target_archE1200ELNS1_3gpuE4ELNS1_3repE0EEENS1_30default_config_static_selectorELNS0_4arch9wavefront6targetE1EEEvT1_.num_agpr, 0
	.set _ZN7rocprim17ROCPRIM_400000_NS6detail17trampoline_kernelINS0_14default_configENS1_25partition_config_selectorILNS1_17partition_subalgoE9EllbEEZZNS1_14partition_implILS5_9ELb0ES3_jPlS8_PNS0_10empty_typeENS0_5tupleIJS8_S9_EEENSB_IJS8_SA_EEENS0_18inequality_wrapperIZN2at6native12_GLOBAL__N_124unique_dim_cuda_templateIN3c104HalfEEESt5tupleIJNSF_6TensorESM_SM_EERKSM_lbbbEUlllE0_EEPmJS9_EEE10hipError_tPvRmT3_T4_T5_T6_T7_T9_mT8_P12ihipStream_tbDpT10_ENKUlT_T0_E_clISt17integral_constantIbLb0EES1B_IbLb1EEEEDaS17_S18_EUlS17_E_NS1_11comp_targetILNS1_3genE10ELNS1_11target_archE1200ELNS1_3gpuE4ELNS1_3repE0EEENS1_30default_config_static_selectorELNS0_4arch9wavefront6targetE1EEEvT1_.numbered_sgpr, 0
	.set _ZN7rocprim17ROCPRIM_400000_NS6detail17trampoline_kernelINS0_14default_configENS1_25partition_config_selectorILNS1_17partition_subalgoE9EllbEEZZNS1_14partition_implILS5_9ELb0ES3_jPlS8_PNS0_10empty_typeENS0_5tupleIJS8_S9_EEENSB_IJS8_SA_EEENS0_18inequality_wrapperIZN2at6native12_GLOBAL__N_124unique_dim_cuda_templateIN3c104HalfEEESt5tupleIJNSF_6TensorESM_SM_EERKSM_lbbbEUlllE0_EEPmJS9_EEE10hipError_tPvRmT3_T4_T5_T6_T7_T9_mT8_P12ihipStream_tbDpT10_ENKUlT_T0_E_clISt17integral_constantIbLb0EES1B_IbLb1EEEEDaS17_S18_EUlS17_E_NS1_11comp_targetILNS1_3genE10ELNS1_11target_archE1200ELNS1_3gpuE4ELNS1_3repE0EEENS1_30default_config_static_selectorELNS0_4arch9wavefront6targetE1EEEvT1_.num_named_barrier, 0
	.set _ZN7rocprim17ROCPRIM_400000_NS6detail17trampoline_kernelINS0_14default_configENS1_25partition_config_selectorILNS1_17partition_subalgoE9EllbEEZZNS1_14partition_implILS5_9ELb0ES3_jPlS8_PNS0_10empty_typeENS0_5tupleIJS8_S9_EEENSB_IJS8_SA_EEENS0_18inequality_wrapperIZN2at6native12_GLOBAL__N_124unique_dim_cuda_templateIN3c104HalfEEESt5tupleIJNSF_6TensorESM_SM_EERKSM_lbbbEUlllE0_EEPmJS9_EEE10hipError_tPvRmT3_T4_T5_T6_T7_T9_mT8_P12ihipStream_tbDpT10_ENKUlT_T0_E_clISt17integral_constantIbLb0EES1B_IbLb1EEEEDaS17_S18_EUlS17_E_NS1_11comp_targetILNS1_3genE10ELNS1_11target_archE1200ELNS1_3gpuE4ELNS1_3repE0EEENS1_30default_config_static_selectorELNS0_4arch9wavefront6targetE1EEEvT1_.private_seg_size, 0
	.set _ZN7rocprim17ROCPRIM_400000_NS6detail17trampoline_kernelINS0_14default_configENS1_25partition_config_selectorILNS1_17partition_subalgoE9EllbEEZZNS1_14partition_implILS5_9ELb0ES3_jPlS8_PNS0_10empty_typeENS0_5tupleIJS8_S9_EEENSB_IJS8_SA_EEENS0_18inequality_wrapperIZN2at6native12_GLOBAL__N_124unique_dim_cuda_templateIN3c104HalfEEESt5tupleIJNSF_6TensorESM_SM_EERKSM_lbbbEUlllE0_EEPmJS9_EEE10hipError_tPvRmT3_T4_T5_T6_T7_T9_mT8_P12ihipStream_tbDpT10_ENKUlT_T0_E_clISt17integral_constantIbLb0EES1B_IbLb1EEEEDaS17_S18_EUlS17_E_NS1_11comp_targetILNS1_3genE10ELNS1_11target_archE1200ELNS1_3gpuE4ELNS1_3repE0EEENS1_30default_config_static_selectorELNS0_4arch9wavefront6targetE1EEEvT1_.uses_vcc, 0
	.set _ZN7rocprim17ROCPRIM_400000_NS6detail17trampoline_kernelINS0_14default_configENS1_25partition_config_selectorILNS1_17partition_subalgoE9EllbEEZZNS1_14partition_implILS5_9ELb0ES3_jPlS8_PNS0_10empty_typeENS0_5tupleIJS8_S9_EEENSB_IJS8_SA_EEENS0_18inequality_wrapperIZN2at6native12_GLOBAL__N_124unique_dim_cuda_templateIN3c104HalfEEESt5tupleIJNSF_6TensorESM_SM_EERKSM_lbbbEUlllE0_EEPmJS9_EEE10hipError_tPvRmT3_T4_T5_T6_T7_T9_mT8_P12ihipStream_tbDpT10_ENKUlT_T0_E_clISt17integral_constantIbLb0EES1B_IbLb1EEEEDaS17_S18_EUlS17_E_NS1_11comp_targetILNS1_3genE10ELNS1_11target_archE1200ELNS1_3gpuE4ELNS1_3repE0EEENS1_30default_config_static_selectorELNS0_4arch9wavefront6targetE1EEEvT1_.uses_flat_scratch, 0
	.set _ZN7rocprim17ROCPRIM_400000_NS6detail17trampoline_kernelINS0_14default_configENS1_25partition_config_selectorILNS1_17partition_subalgoE9EllbEEZZNS1_14partition_implILS5_9ELb0ES3_jPlS8_PNS0_10empty_typeENS0_5tupleIJS8_S9_EEENSB_IJS8_SA_EEENS0_18inequality_wrapperIZN2at6native12_GLOBAL__N_124unique_dim_cuda_templateIN3c104HalfEEESt5tupleIJNSF_6TensorESM_SM_EERKSM_lbbbEUlllE0_EEPmJS9_EEE10hipError_tPvRmT3_T4_T5_T6_T7_T9_mT8_P12ihipStream_tbDpT10_ENKUlT_T0_E_clISt17integral_constantIbLb0EES1B_IbLb1EEEEDaS17_S18_EUlS17_E_NS1_11comp_targetILNS1_3genE10ELNS1_11target_archE1200ELNS1_3gpuE4ELNS1_3repE0EEENS1_30default_config_static_selectorELNS0_4arch9wavefront6targetE1EEEvT1_.has_dyn_sized_stack, 0
	.set _ZN7rocprim17ROCPRIM_400000_NS6detail17trampoline_kernelINS0_14default_configENS1_25partition_config_selectorILNS1_17partition_subalgoE9EllbEEZZNS1_14partition_implILS5_9ELb0ES3_jPlS8_PNS0_10empty_typeENS0_5tupleIJS8_S9_EEENSB_IJS8_SA_EEENS0_18inequality_wrapperIZN2at6native12_GLOBAL__N_124unique_dim_cuda_templateIN3c104HalfEEESt5tupleIJNSF_6TensorESM_SM_EERKSM_lbbbEUlllE0_EEPmJS9_EEE10hipError_tPvRmT3_T4_T5_T6_T7_T9_mT8_P12ihipStream_tbDpT10_ENKUlT_T0_E_clISt17integral_constantIbLb0EES1B_IbLb1EEEEDaS17_S18_EUlS17_E_NS1_11comp_targetILNS1_3genE10ELNS1_11target_archE1200ELNS1_3gpuE4ELNS1_3repE0EEENS1_30default_config_static_selectorELNS0_4arch9wavefront6targetE1EEEvT1_.has_recursion, 0
	.set _ZN7rocprim17ROCPRIM_400000_NS6detail17trampoline_kernelINS0_14default_configENS1_25partition_config_selectorILNS1_17partition_subalgoE9EllbEEZZNS1_14partition_implILS5_9ELb0ES3_jPlS8_PNS0_10empty_typeENS0_5tupleIJS8_S9_EEENSB_IJS8_SA_EEENS0_18inequality_wrapperIZN2at6native12_GLOBAL__N_124unique_dim_cuda_templateIN3c104HalfEEESt5tupleIJNSF_6TensorESM_SM_EERKSM_lbbbEUlllE0_EEPmJS9_EEE10hipError_tPvRmT3_T4_T5_T6_T7_T9_mT8_P12ihipStream_tbDpT10_ENKUlT_T0_E_clISt17integral_constantIbLb0EES1B_IbLb1EEEEDaS17_S18_EUlS17_E_NS1_11comp_targetILNS1_3genE10ELNS1_11target_archE1200ELNS1_3gpuE4ELNS1_3repE0EEENS1_30default_config_static_selectorELNS0_4arch9wavefront6targetE1EEEvT1_.has_indirect_call, 0
	.section	.AMDGPU.csdata,"",@progbits
; Kernel info:
; codeLenInByte = 0
; TotalNumSgprs: 6
; NumVgprs: 0
; NumAgprs: 0
; TotalNumVgprs: 0
; ScratchSize: 0
; MemoryBound: 0
; FloatMode: 240
; IeeeMode: 1
; LDSByteSize: 0 bytes/workgroup (compile time only)
; SGPRBlocks: 0
; VGPRBlocks: 0
; NumSGPRsForWavesPerEU: 6
; NumVGPRsForWavesPerEU: 1
; AccumOffset: 4
; Occupancy: 8
; WaveLimiterHint : 0
; COMPUTE_PGM_RSRC2:SCRATCH_EN: 0
; COMPUTE_PGM_RSRC2:USER_SGPR: 2
; COMPUTE_PGM_RSRC2:TRAP_HANDLER: 0
; COMPUTE_PGM_RSRC2:TGID_X_EN: 1
; COMPUTE_PGM_RSRC2:TGID_Y_EN: 0
; COMPUTE_PGM_RSRC2:TGID_Z_EN: 0
; COMPUTE_PGM_RSRC2:TIDIG_COMP_CNT: 0
; COMPUTE_PGM_RSRC3_GFX90A:ACCUM_OFFSET: 0
; COMPUTE_PGM_RSRC3_GFX90A:TG_SPLIT: 0
	.section	.text._ZN7rocprim17ROCPRIM_400000_NS6detail17trampoline_kernelINS0_14default_configENS1_25partition_config_selectorILNS1_17partition_subalgoE9EllbEEZZNS1_14partition_implILS5_9ELb0ES3_jPlS8_PNS0_10empty_typeENS0_5tupleIJS8_S9_EEENSB_IJS8_SA_EEENS0_18inequality_wrapperIZN2at6native12_GLOBAL__N_124unique_dim_cuda_templateIN3c104HalfEEESt5tupleIJNSF_6TensorESM_SM_EERKSM_lbbbEUlllE0_EEPmJS9_EEE10hipError_tPvRmT3_T4_T5_T6_T7_T9_mT8_P12ihipStream_tbDpT10_ENKUlT_T0_E_clISt17integral_constantIbLb0EES1B_IbLb1EEEEDaS17_S18_EUlS17_E_NS1_11comp_targetILNS1_3genE9ELNS1_11target_archE1100ELNS1_3gpuE3ELNS1_3repE0EEENS1_30default_config_static_selectorELNS0_4arch9wavefront6targetE1EEEvT1_,"axG",@progbits,_ZN7rocprim17ROCPRIM_400000_NS6detail17trampoline_kernelINS0_14default_configENS1_25partition_config_selectorILNS1_17partition_subalgoE9EllbEEZZNS1_14partition_implILS5_9ELb0ES3_jPlS8_PNS0_10empty_typeENS0_5tupleIJS8_S9_EEENSB_IJS8_SA_EEENS0_18inequality_wrapperIZN2at6native12_GLOBAL__N_124unique_dim_cuda_templateIN3c104HalfEEESt5tupleIJNSF_6TensorESM_SM_EERKSM_lbbbEUlllE0_EEPmJS9_EEE10hipError_tPvRmT3_T4_T5_T6_T7_T9_mT8_P12ihipStream_tbDpT10_ENKUlT_T0_E_clISt17integral_constantIbLb0EES1B_IbLb1EEEEDaS17_S18_EUlS17_E_NS1_11comp_targetILNS1_3genE9ELNS1_11target_archE1100ELNS1_3gpuE3ELNS1_3repE0EEENS1_30default_config_static_selectorELNS0_4arch9wavefront6targetE1EEEvT1_,comdat
	.globl	_ZN7rocprim17ROCPRIM_400000_NS6detail17trampoline_kernelINS0_14default_configENS1_25partition_config_selectorILNS1_17partition_subalgoE9EllbEEZZNS1_14partition_implILS5_9ELb0ES3_jPlS8_PNS0_10empty_typeENS0_5tupleIJS8_S9_EEENSB_IJS8_SA_EEENS0_18inequality_wrapperIZN2at6native12_GLOBAL__N_124unique_dim_cuda_templateIN3c104HalfEEESt5tupleIJNSF_6TensorESM_SM_EERKSM_lbbbEUlllE0_EEPmJS9_EEE10hipError_tPvRmT3_T4_T5_T6_T7_T9_mT8_P12ihipStream_tbDpT10_ENKUlT_T0_E_clISt17integral_constantIbLb0EES1B_IbLb1EEEEDaS17_S18_EUlS17_E_NS1_11comp_targetILNS1_3genE9ELNS1_11target_archE1100ELNS1_3gpuE3ELNS1_3repE0EEENS1_30default_config_static_selectorELNS0_4arch9wavefront6targetE1EEEvT1_ ; -- Begin function _ZN7rocprim17ROCPRIM_400000_NS6detail17trampoline_kernelINS0_14default_configENS1_25partition_config_selectorILNS1_17partition_subalgoE9EllbEEZZNS1_14partition_implILS5_9ELb0ES3_jPlS8_PNS0_10empty_typeENS0_5tupleIJS8_S9_EEENSB_IJS8_SA_EEENS0_18inequality_wrapperIZN2at6native12_GLOBAL__N_124unique_dim_cuda_templateIN3c104HalfEEESt5tupleIJNSF_6TensorESM_SM_EERKSM_lbbbEUlllE0_EEPmJS9_EEE10hipError_tPvRmT3_T4_T5_T6_T7_T9_mT8_P12ihipStream_tbDpT10_ENKUlT_T0_E_clISt17integral_constantIbLb0EES1B_IbLb1EEEEDaS17_S18_EUlS17_E_NS1_11comp_targetILNS1_3genE9ELNS1_11target_archE1100ELNS1_3gpuE3ELNS1_3repE0EEENS1_30default_config_static_selectorELNS0_4arch9wavefront6targetE1EEEvT1_
	.p2align	8
	.type	_ZN7rocprim17ROCPRIM_400000_NS6detail17trampoline_kernelINS0_14default_configENS1_25partition_config_selectorILNS1_17partition_subalgoE9EllbEEZZNS1_14partition_implILS5_9ELb0ES3_jPlS8_PNS0_10empty_typeENS0_5tupleIJS8_S9_EEENSB_IJS8_SA_EEENS0_18inequality_wrapperIZN2at6native12_GLOBAL__N_124unique_dim_cuda_templateIN3c104HalfEEESt5tupleIJNSF_6TensorESM_SM_EERKSM_lbbbEUlllE0_EEPmJS9_EEE10hipError_tPvRmT3_T4_T5_T6_T7_T9_mT8_P12ihipStream_tbDpT10_ENKUlT_T0_E_clISt17integral_constantIbLb0EES1B_IbLb1EEEEDaS17_S18_EUlS17_E_NS1_11comp_targetILNS1_3genE9ELNS1_11target_archE1100ELNS1_3gpuE3ELNS1_3repE0EEENS1_30default_config_static_selectorELNS0_4arch9wavefront6targetE1EEEvT1_,@function
_ZN7rocprim17ROCPRIM_400000_NS6detail17trampoline_kernelINS0_14default_configENS1_25partition_config_selectorILNS1_17partition_subalgoE9EllbEEZZNS1_14partition_implILS5_9ELb0ES3_jPlS8_PNS0_10empty_typeENS0_5tupleIJS8_S9_EEENSB_IJS8_SA_EEENS0_18inequality_wrapperIZN2at6native12_GLOBAL__N_124unique_dim_cuda_templateIN3c104HalfEEESt5tupleIJNSF_6TensorESM_SM_EERKSM_lbbbEUlllE0_EEPmJS9_EEE10hipError_tPvRmT3_T4_T5_T6_T7_T9_mT8_P12ihipStream_tbDpT10_ENKUlT_T0_E_clISt17integral_constantIbLb0EES1B_IbLb1EEEEDaS17_S18_EUlS17_E_NS1_11comp_targetILNS1_3genE9ELNS1_11target_archE1100ELNS1_3gpuE3ELNS1_3repE0EEENS1_30default_config_static_selectorELNS0_4arch9wavefront6targetE1EEEvT1_: ; @_ZN7rocprim17ROCPRIM_400000_NS6detail17trampoline_kernelINS0_14default_configENS1_25partition_config_selectorILNS1_17partition_subalgoE9EllbEEZZNS1_14partition_implILS5_9ELb0ES3_jPlS8_PNS0_10empty_typeENS0_5tupleIJS8_S9_EEENSB_IJS8_SA_EEENS0_18inequality_wrapperIZN2at6native12_GLOBAL__N_124unique_dim_cuda_templateIN3c104HalfEEESt5tupleIJNSF_6TensorESM_SM_EERKSM_lbbbEUlllE0_EEPmJS9_EEE10hipError_tPvRmT3_T4_T5_T6_T7_T9_mT8_P12ihipStream_tbDpT10_ENKUlT_T0_E_clISt17integral_constantIbLb0EES1B_IbLb1EEEEDaS17_S18_EUlS17_E_NS1_11comp_targetILNS1_3genE9ELNS1_11target_archE1100ELNS1_3gpuE3ELNS1_3repE0EEENS1_30default_config_static_selectorELNS0_4arch9wavefront6targetE1EEEvT1_
; %bb.0:
	.section	.rodata,"a",@progbits
	.p2align	6, 0x0
	.amdhsa_kernel _ZN7rocprim17ROCPRIM_400000_NS6detail17trampoline_kernelINS0_14default_configENS1_25partition_config_selectorILNS1_17partition_subalgoE9EllbEEZZNS1_14partition_implILS5_9ELb0ES3_jPlS8_PNS0_10empty_typeENS0_5tupleIJS8_S9_EEENSB_IJS8_SA_EEENS0_18inequality_wrapperIZN2at6native12_GLOBAL__N_124unique_dim_cuda_templateIN3c104HalfEEESt5tupleIJNSF_6TensorESM_SM_EERKSM_lbbbEUlllE0_EEPmJS9_EEE10hipError_tPvRmT3_T4_T5_T6_T7_T9_mT8_P12ihipStream_tbDpT10_ENKUlT_T0_E_clISt17integral_constantIbLb0EES1B_IbLb1EEEEDaS17_S18_EUlS17_E_NS1_11comp_targetILNS1_3genE9ELNS1_11target_archE1100ELNS1_3gpuE3ELNS1_3repE0EEENS1_30default_config_static_selectorELNS0_4arch9wavefront6targetE1EEEvT1_
		.amdhsa_group_segment_fixed_size 0
		.amdhsa_private_segment_fixed_size 0
		.amdhsa_kernarg_size 136
		.amdhsa_user_sgpr_count 2
		.amdhsa_user_sgpr_dispatch_ptr 0
		.amdhsa_user_sgpr_queue_ptr 0
		.amdhsa_user_sgpr_kernarg_segment_ptr 1
		.amdhsa_user_sgpr_dispatch_id 0
		.amdhsa_user_sgpr_kernarg_preload_length 0
		.amdhsa_user_sgpr_kernarg_preload_offset 0
		.amdhsa_user_sgpr_private_segment_size 0
		.amdhsa_uses_dynamic_stack 0
		.amdhsa_enable_private_segment 0
		.amdhsa_system_sgpr_workgroup_id_x 1
		.amdhsa_system_sgpr_workgroup_id_y 0
		.amdhsa_system_sgpr_workgroup_id_z 0
		.amdhsa_system_sgpr_workgroup_info 0
		.amdhsa_system_vgpr_workitem_id 0
		.amdhsa_next_free_vgpr 1
		.amdhsa_next_free_sgpr 0
		.amdhsa_accum_offset 4
		.amdhsa_reserve_vcc 0
		.amdhsa_float_round_mode_32 0
		.amdhsa_float_round_mode_16_64 0
		.amdhsa_float_denorm_mode_32 3
		.amdhsa_float_denorm_mode_16_64 3
		.amdhsa_dx10_clamp 1
		.amdhsa_ieee_mode 1
		.amdhsa_fp16_overflow 0
		.amdhsa_tg_split 0
		.amdhsa_exception_fp_ieee_invalid_op 0
		.amdhsa_exception_fp_denorm_src 0
		.amdhsa_exception_fp_ieee_div_zero 0
		.amdhsa_exception_fp_ieee_overflow 0
		.amdhsa_exception_fp_ieee_underflow 0
		.amdhsa_exception_fp_ieee_inexact 0
		.amdhsa_exception_int_div_zero 0
	.end_amdhsa_kernel
	.section	.text._ZN7rocprim17ROCPRIM_400000_NS6detail17trampoline_kernelINS0_14default_configENS1_25partition_config_selectorILNS1_17partition_subalgoE9EllbEEZZNS1_14partition_implILS5_9ELb0ES3_jPlS8_PNS0_10empty_typeENS0_5tupleIJS8_S9_EEENSB_IJS8_SA_EEENS0_18inequality_wrapperIZN2at6native12_GLOBAL__N_124unique_dim_cuda_templateIN3c104HalfEEESt5tupleIJNSF_6TensorESM_SM_EERKSM_lbbbEUlllE0_EEPmJS9_EEE10hipError_tPvRmT3_T4_T5_T6_T7_T9_mT8_P12ihipStream_tbDpT10_ENKUlT_T0_E_clISt17integral_constantIbLb0EES1B_IbLb1EEEEDaS17_S18_EUlS17_E_NS1_11comp_targetILNS1_3genE9ELNS1_11target_archE1100ELNS1_3gpuE3ELNS1_3repE0EEENS1_30default_config_static_selectorELNS0_4arch9wavefront6targetE1EEEvT1_,"axG",@progbits,_ZN7rocprim17ROCPRIM_400000_NS6detail17trampoline_kernelINS0_14default_configENS1_25partition_config_selectorILNS1_17partition_subalgoE9EllbEEZZNS1_14partition_implILS5_9ELb0ES3_jPlS8_PNS0_10empty_typeENS0_5tupleIJS8_S9_EEENSB_IJS8_SA_EEENS0_18inequality_wrapperIZN2at6native12_GLOBAL__N_124unique_dim_cuda_templateIN3c104HalfEEESt5tupleIJNSF_6TensorESM_SM_EERKSM_lbbbEUlllE0_EEPmJS9_EEE10hipError_tPvRmT3_T4_T5_T6_T7_T9_mT8_P12ihipStream_tbDpT10_ENKUlT_T0_E_clISt17integral_constantIbLb0EES1B_IbLb1EEEEDaS17_S18_EUlS17_E_NS1_11comp_targetILNS1_3genE9ELNS1_11target_archE1100ELNS1_3gpuE3ELNS1_3repE0EEENS1_30default_config_static_selectorELNS0_4arch9wavefront6targetE1EEEvT1_,comdat
.Lfunc_end1359:
	.size	_ZN7rocprim17ROCPRIM_400000_NS6detail17trampoline_kernelINS0_14default_configENS1_25partition_config_selectorILNS1_17partition_subalgoE9EllbEEZZNS1_14partition_implILS5_9ELb0ES3_jPlS8_PNS0_10empty_typeENS0_5tupleIJS8_S9_EEENSB_IJS8_SA_EEENS0_18inequality_wrapperIZN2at6native12_GLOBAL__N_124unique_dim_cuda_templateIN3c104HalfEEESt5tupleIJNSF_6TensorESM_SM_EERKSM_lbbbEUlllE0_EEPmJS9_EEE10hipError_tPvRmT3_T4_T5_T6_T7_T9_mT8_P12ihipStream_tbDpT10_ENKUlT_T0_E_clISt17integral_constantIbLb0EES1B_IbLb1EEEEDaS17_S18_EUlS17_E_NS1_11comp_targetILNS1_3genE9ELNS1_11target_archE1100ELNS1_3gpuE3ELNS1_3repE0EEENS1_30default_config_static_selectorELNS0_4arch9wavefront6targetE1EEEvT1_, .Lfunc_end1359-_ZN7rocprim17ROCPRIM_400000_NS6detail17trampoline_kernelINS0_14default_configENS1_25partition_config_selectorILNS1_17partition_subalgoE9EllbEEZZNS1_14partition_implILS5_9ELb0ES3_jPlS8_PNS0_10empty_typeENS0_5tupleIJS8_S9_EEENSB_IJS8_SA_EEENS0_18inequality_wrapperIZN2at6native12_GLOBAL__N_124unique_dim_cuda_templateIN3c104HalfEEESt5tupleIJNSF_6TensorESM_SM_EERKSM_lbbbEUlllE0_EEPmJS9_EEE10hipError_tPvRmT3_T4_T5_T6_T7_T9_mT8_P12ihipStream_tbDpT10_ENKUlT_T0_E_clISt17integral_constantIbLb0EES1B_IbLb1EEEEDaS17_S18_EUlS17_E_NS1_11comp_targetILNS1_3genE9ELNS1_11target_archE1100ELNS1_3gpuE3ELNS1_3repE0EEENS1_30default_config_static_selectorELNS0_4arch9wavefront6targetE1EEEvT1_
                                        ; -- End function
	.set _ZN7rocprim17ROCPRIM_400000_NS6detail17trampoline_kernelINS0_14default_configENS1_25partition_config_selectorILNS1_17partition_subalgoE9EllbEEZZNS1_14partition_implILS5_9ELb0ES3_jPlS8_PNS0_10empty_typeENS0_5tupleIJS8_S9_EEENSB_IJS8_SA_EEENS0_18inequality_wrapperIZN2at6native12_GLOBAL__N_124unique_dim_cuda_templateIN3c104HalfEEESt5tupleIJNSF_6TensorESM_SM_EERKSM_lbbbEUlllE0_EEPmJS9_EEE10hipError_tPvRmT3_T4_T5_T6_T7_T9_mT8_P12ihipStream_tbDpT10_ENKUlT_T0_E_clISt17integral_constantIbLb0EES1B_IbLb1EEEEDaS17_S18_EUlS17_E_NS1_11comp_targetILNS1_3genE9ELNS1_11target_archE1100ELNS1_3gpuE3ELNS1_3repE0EEENS1_30default_config_static_selectorELNS0_4arch9wavefront6targetE1EEEvT1_.num_vgpr, 0
	.set _ZN7rocprim17ROCPRIM_400000_NS6detail17trampoline_kernelINS0_14default_configENS1_25partition_config_selectorILNS1_17partition_subalgoE9EllbEEZZNS1_14partition_implILS5_9ELb0ES3_jPlS8_PNS0_10empty_typeENS0_5tupleIJS8_S9_EEENSB_IJS8_SA_EEENS0_18inequality_wrapperIZN2at6native12_GLOBAL__N_124unique_dim_cuda_templateIN3c104HalfEEESt5tupleIJNSF_6TensorESM_SM_EERKSM_lbbbEUlllE0_EEPmJS9_EEE10hipError_tPvRmT3_T4_T5_T6_T7_T9_mT8_P12ihipStream_tbDpT10_ENKUlT_T0_E_clISt17integral_constantIbLb0EES1B_IbLb1EEEEDaS17_S18_EUlS17_E_NS1_11comp_targetILNS1_3genE9ELNS1_11target_archE1100ELNS1_3gpuE3ELNS1_3repE0EEENS1_30default_config_static_selectorELNS0_4arch9wavefront6targetE1EEEvT1_.num_agpr, 0
	.set _ZN7rocprim17ROCPRIM_400000_NS6detail17trampoline_kernelINS0_14default_configENS1_25partition_config_selectorILNS1_17partition_subalgoE9EllbEEZZNS1_14partition_implILS5_9ELb0ES3_jPlS8_PNS0_10empty_typeENS0_5tupleIJS8_S9_EEENSB_IJS8_SA_EEENS0_18inequality_wrapperIZN2at6native12_GLOBAL__N_124unique_dim_cuda_templateIN3c104HalfEEESt5tupleIJNSF_6TensorESM_SM_EERKSM_lbbbEUlllE0_EEPmJS9_EEE10hipError_tPvRmT3_T4_T5_T6_T7_T9_mT8_P12ihipStream_tbDpT10_ENKUlT_T0_E_clISt17integral_constantIbLb0EES1B_IbLb1EEEEDaS17_S18_EUlS17_E_NS1_11comp_targetILNS1_3genE9ELNS1_11target_archE1100ELNS1_3gpuE3ELNS1_3repE0EEENS1_30default_config_static_selectorELNS0_4arch9wavefront6targetE1EEEvT1_.numbered_sgpr, 0
	.set _ZN7rocprim17ROCPRIM_400000_NS6detail17trampoline_kernelINS0_14default_configENS1_25partition_config_selectorILNS1_17partition_subalgoE9EllbEEZZNS1_14partition_implILS5_9ELb0ES3_jPlS8_PNS0_10empty_typeENS0_5tupleIJS8_S9_EEENSB_IJS8_SA_EEENS0_18inequality_wrapperIZN2at6native12_GLOBAL__N_124unique_dim_cuda_templateIN3c104HalfEEESt5tupleIJNSF_6TensorESM_SM_EERKSM_lbbbEUlllE0_EEPmJS9_EEE10hipError_tPvRmT3_T4_T5_T6_T7_T9_mT8_P12ihipStream_tbDpT10_ENKUlT_T0_E_clISt17integral_constantIbLb0EES1B_IbLb1EEEEDaS17_S18_EUlS17_E_NS1_11comp_targetILNS1_3genE9ELNS1_11target_archE1100ELNS1_3gpuE3ELNS1_3repE0EEENS1_30default_config_static_selectorELNS0_4arch9wavefront6targetE1EEEvT1_.num_named_barrier, 0
	.set _ZN7rocprim17ROCPRIM_400000_NS6detail17trampoline_kernelINS0_14default_configENS1_25partition_config_selectorILNS1_17partition_subalgoE9EllbEEZZNS1_14partition_implILS5_9ELb0ES3_jPlS8_PNS0_10empty_typeENS0_5tupleIJS8_S9_EEENSB_IJS8_SA_EEENS0_18inequality_wrapperIZN2at6native12_GLOBAL__N_124unique_dim_cuda_templateIN3c104HalfEEESt5tupleIJNSF_6TensorESM_SM_EERKSM_lbbbEUlllE0_EEPmJS9_EEE10hipError_tPvRmT3_T4_T5_T6_T7_T9_mT8_P12ihipStream_tbDpT10_ENKUlT_T0_E_clISt17integral_constantIbLb0EES1B_IbLb1EEEEDaS17_S18_EUlS17_E_NS1_11comp_targetILNS1_3genE9ELNS1_11target_archE1100ELNS1_3gpuE3ELNS1_3repE0EEENS1_30default_config_static_selectorELNS0_4arch9wavefront6targetE1EEEvT1_.private_seg_size, 0
	.set _ZN7rocprim17ROCPRIM_400000_NS6detail17trampoline_kernelINS0_14default_configENS1_25partition_config_selectorILNS1_17partition_subalgoE9EllbEEZZNS1_14partition_implILS5_9ELb0ES3_jPlS8_PNS0_10empty_typeENS0_5tupleIJS8_S9_EEENSB_IJS8_SA_EEENS0_18inequality_wrapperIZN2at6native12_GLOBAL__N_124unique_dim_cuda_templateIN3c104HalfEEESt5tupleIJNSF_6TensorESM_SM_EERKSM_lbbbEUlllE0_EEPmJS9_EEE10hipError_tPvRmT3_T4_T5_T6_T7_T9_mT8_P12ihipStream_tbDpT10_ENKUlT_T0_E_clISt17integral_constantIbLb0EES1B_IbLb1EEEEDaS17_S18_EUlS17_E_NS1_11comp_targetILNS1_3genE9ELNS1_11target_archE1100ELNS1_3gpuE3ELNS1_3repE0EEENS1_30default_config_static_selectorELNS0_4arch9wavefront6targetE1EEEvT1_.uses_vcc, 0
	.set _ZN7rocprim17ROCPRIM_400000_NS6detail17trampoline_kernelINS0_14default_configENS1_25partition_config_selectorILNS1_17partition_subalgoE9EllbEEZZNS1_14partition_implILS5_9ELb0ES3_jPlS8_PNS0_10empty_typeENS0_5tupleIJS8_S9_EEENSB_IJS8_SA_EEENS0_18inequality_wrapperIZN2at6native12_GLOBAL__N_124unique_dim_cuda_templateIN3c104HalfEEESt5tupleIJNSF_6TensorESM_SM_EERKSM_lbbbEUlllE0_EEPmJS9_EEE10hipError_tPvRmT3_T4_T5_T6_T7_T9_mT8_P12ihipStream_tbDpT10_ENKUlT_T0_E_clISt17integral_constantIbLb0EES1B_IbLb1EEEEDaS17_S18_EUlS17_E_NS1_11comp_targetILNS1_3genE9ELNS1_11target_archE1100ELNS1_3gpuE3ELNS1_3repE0EEENS1_30default_config_static_selectorELNS0_4arch9wavefront6targetE1EEEvT1_.uses_flat_scratch, 0
	.set _ZN7rocprim17ROCPRIM_400000_NS6detail17trampoline_kernelINS0_14default_configENS1_25partition_config_selectorILNS1_17partition_subalgoE9EllbEEZZNS1_14partition_implILS5_9ELb0ES3_jPlS8_PNS0_10empty_typeENS0_5tupleIJS8_S9_EEENSB_IJS8_SA_EEENS0_18inequality_wrapperIZN2at6native12_GLOBAL__N_124unique_dim_cuda_templateIN3c104HalfEEESt5tupleIJNSF_6TensorESM_SM_EERKSM_lbbbEUlllE0_EEPmJS9_EEE10hipError_tPvRmT3_T4_T5_T6_T7_T9_mT8_P12ihipStream_tbDpT10_ENKUlT_T0_E_clISt17integral_constantIbLb0EES1B_IbLb1EEEEDaS17_S18_EUlS17_E_NS1_11comp_targetILNS1_3genE9ELNS1_11target_archE1100ELNS1_3gpuE3ELNS1_3repE0EEENS1_30default_config_static_selectorELNS0_4arch9wavefront6targetE1EEEvT1_.has_dyn_sized_stack, 0
	.set _ZN7rocprim17ROCPRIM_400000_NS6detail17trampoline_kernelINS0_14default_configENS1_25partition_config_selectorILNS1_17partition_subalgoE9EllbEEZZNS1_14partition_implILS5_9ELb0ES3_jPlS8_PNS0_10empty_typeENS0_5tupleIJS8_S9_EEENSB_IJS8_SA_EEENS0_18inequality_wrapperIZN2at6native12_GLOBAL__N_124unique_dim_cuda_templateIN3c104HalfEEESt5tupleIJNSF_6TensorESM_SM_EERKSM_lbbbEUlllE0_EEPmJS9_EEE10hipError_tPvRmT3_T4_T5_T6_T7_T9_mT8_P12ihipStream_tbDpT10_ENKUlT_T0_E_clISt17integral_constantIbLb0EES1B_IbLb1EEEEDaS17_S18_EUlS17_E_NS1_11comp_targetILNS1_3genE9ELNS1_11target_archE1100ELNS1_3gpuE3ELNS1_3repE0EEENS1_30default_config_static_selectorELNS0_4arch9wavefront6targetE1EEEvT1_.has_recursion, 0
	.set _ZN7rocprim17ROCPRIM_400000_NS6detail17trampoline_kernelINS0_14default_configENS1_25partition_config_selectorILNS1_17partition_subalgoE9EllbEEZZNS1_14partition_implILS5_9ELb0ES3_jPlS8_PNS0_10empty_typeENS0_5tupleIJS8_S9_EEENSB_IJS8_SA_EEENS0_18inequality_wrapperIZN2at6native12_GLOBAL__N_124unique_dim_cuda_templateIN3c104HalfEEESt5tupleIJNSF_6TensorESM_SM_EERKSM_lbbbEUlllE0_EEPmJS9_EEE10hipError_tPvRmT3_T4_T5_T6_T7_T9_mT8_P12ihipStream_tbDpT10_ENKUlT_T0_E_clISt17integral_constantIbLb0EES1B_IbLb1EEEEDaS17_S18_EUlS17_E_NS1_11comp_targetILNS1_3genE9ELNS1_11target_archE1100ELNS1_3gpuE3ELNS1_3repE0EEENS1_30default_config_static_selectorELNS0_4arch9wavefront6targetE1EEEvT1_.has_indirect_call, 0
	.section	.AMDGPU.csdata,"",@progbits
; Kernel info:
; codeLenInByte = 0
; TotalNumSgprs: 6
; NumVgprs: 0
; NumAgprs: 0
; TotalNumVgprs: 0
; ScratchSize: 0
; MemoryBound: 0
; FloatMode: 240
; IeeeMode: 1
; LDSByteSize: 0 bytes/workgroup (compile time only)
; SGPRBlocks: 0
; VGPRBlocks: 0
; NumSGPRsForWavesPerEU: 6
; NumVGPRsForWavesPerEU: 1
; AccumOffset: 4
; Occupancy: 8
; WaveLimiterHint : 0
; COMPUTE_PGM_RSRC2:SCRATCH_EN: 0
; COMPUTE_PGM_RSRC2:USER_SGPR: 2
; COMPUTE_PGM_RSRC2:TRAP_HANDLER: 0
; COMPUTE_PGM_RSRC2:TGID_X_EN: 1
; COMPUTE_PGM_RSRC2:TGID_Y_EN: 0
; COMPUTE_PGM_RSRC2:TGID_Z_EN: 0
; COMPUTE_PGM_RSRC2:TIDIG_COMP_CNT: 0
; COMPUTE_PGM_RSRC3_GFX90A:ACCUM_OFFSET: 0
; COMPUTE_PGM_RSRC3_GFX90A:TG_SPLIT: 0
	.section	.text._ZN7rocprim17ROCPRIM_400000_NS6detail17trampoline_kernelINS0_14default_configENS1_25partition_config_selectorILNS1_17partition_subalgoE9EllbEEZZNS1_14partition_implILS5_9ELb0ES3_jPlS8_PNS0_10empty_typeENS0_5tupleIJS8_S9_EEENSB_IJS8_SA_EEENS0_18inequality_wrapperIZN2at6native12_GLOBAL__N_124unique_dim_cuda_templateIN3c104HalfEEESt5tupleIJNSF_6TensorESM_SM_EERKSM_lbbbEUlllE0_EEPmJS9_EEE10hipError_tPvRmT3_T4_T5_T6_T7_T9_mT8_P12ihipStream_tbDpT10_ENKUlT_T0_E_clISt17integral_constantIbLb0EES1B_IbLb1EEEEDaS17_S18_EUlS17_E_NS1_11comp_targetILNS1_3genE8ELNS1_11target_archE1030ELNS1_3gpuE2ELNS1_3repE0EEENS1_30default_config_static_selectorELNS0_4arch9wavefront6targetE1EEEvT1_,"axG",@progbits,_ZN7rocprim17ROCPRIM_400000_NS6detail17trampoline_kernelINS0_14default_configENS1_25partition_config_selectorILNS1_17partition_subalgoE9EllbEEZZNS1_14partition_implILS5_9ELb0ES3_jPlS8_PNS0_10empty_typeENS0_5tupleIJS8_S9_EEENSB_IJS8_SA_EEENS0_18inequality_wrapperIZN2at6native12_GLOBAL__N_124unique_dim_cuda_templateIN3c104HalfEEESt5tupleIJNSF_6TensorESM_SM_EERKSM_lbbbEUlllE0_EEPmJS9_EEE10hipError_tPvRmT3_T4_T5_T6_T7_T9_mT8_P12ihipStream_tbDpT10_ENKUlT_T0_E_clISt17integral_constantIbLb0EES1B_IbLb1EEEEDaS17_S18_EUlS17_E_NS1_11comp_targetILNS1_3genE8ELNS1_11target_archE1030ELNS1_3gpuE2ELNS1_3repE0EEENS1_30default_config_static_selectorELNS0_4arch9wavefront6targetE1EEEvT1_,comdat
	.globl	_ZN7rocprim17ROCPRIM_400000_NS6detail17trampoline_kernelINS0_14default_configENS1_25partition_config_selectorILNS1_17partition_subalgoE9EllbEEZZNS1_14partition_implILS5_9ELb0ES3_jPlS8_PNS0_10empty_typeENS0_5tupleIJS8_S9_EEENSB_IJS8_SA_EEENS0_18inequality_wrapperIZN2at6native12_GLOBAL__N_124unique_dim_cuda_templateIN3c104HalfEEESt5tupleIJNSF_6TensorESM_SM_EERKSM_lbbbEUlllE0_EEPmJS9_EEE10hipError_tPvRmT3_T4_T5_T6_T7_T9_mT8_P12ihipStream_tbDpT10_ENKUlT_T0_E_clISt17integral_constantIbLb0EES1B_IbLb1EEEEDaS17_S18_EUlS17_E_NS1_11comp_targetILNS1_3genE8ELNS1_11target_archE1030ELNS1_3gpuE2ELNS1_3repE0EEENS1_30default_config_static_selectorELNS0_4arch9wavefront6targetE1EEEvT1_ ; -- Begin function _ZN7rocprim17ROCPRIM_400000_NS6detail17trampoline_kernelINS0_14default_configENS1_25partition_config_selectorILNS1_17partition_subalgoE9EllbEEZZNS1_14partition_implILS5_9ELb0ES3_jPlS8_PNS0_10empty_typeENS0_5tupleIJS8_S9_EEENSB_IJS8_SA_EEENS0_18inequality_wrapperIZN2at6native12_GLOBAL__N_124unique_dim_cuda_templateIN3c104HalfEEESt5tupleIJNSF_6TensorESM_SM_EERKSM_lbbbEUlllE0_EEPmJS9_EEE10hipError_tPvRmT3_T4_T5_T6_T7_T9_mT8_P12ihipStream_tbDpT10_ENKUlT_T0_E_clISt17integral_constantIbLb0EES1B_IbLb1EEEEDaS17_S18_EUlS17_E_NS1_11comp_targetILNS1_3genE8ELNS1_11target_archE1030ELNS1_3gpuE2ELNS1_3repE0EEENS1_30default_config_static_selectorELNS0_4arch9wavefront6targetE1EEEvT1_
	.p2align	8
	.type	_ZN7rocprim17ROCPRIM_400000_NS6detail17trampoline_kernelINS0_14default_configENS1_25partition_config_selectorILNS1_17partition_subalgoE9EllbEEZZNS1_14partition_implILS5_9ELb0ES3_jPlS8_PNS0_10empty_typeENS0_5tupleIJS8_S9_EEENSB_IJS8_SA_EEENS0_18inequality_wrapperIZN2at6native12_GLOBAL__N_124unique_dim_cuda_templateIN3c104HalfEEESt5tupleIJNSF_6TensorESM_SM_EERKSM_lbbbEUlllE0_EEPmJS9_EEE10hipError_tPvRmT3_T4_T5_T6_T7_T9_mT8_P12ihipStream_tbDpT10_ENKUlT_T0_E_clISt17integral_constantIbLb0EES1B_IbLb1EEEEDaS17_S18_EUlS17_E_NS1_11comp_targetILNS1_3genE8ELNS1_11target_archE1030ELNS1_3gpuE2ELNS1_3repE0EEENS1_30default_config_static_selectorELNS0_4arch9wavefront6targetE1EEEvT1_,@function
_ZN7rocprim17ROCPRIM_400000_NS6detail17trampoline_kernelINS0_14default_configENS1_25partition_config_selectorILNS1_17partition_subalgoE9EllbEEZZNS1_14partition_implILS5_9ELb0ES3_jPlS8_PNS0_10empty_typeENS0_5tupleIJS8_S9_EEENSB_IJS8_SA_EEENS0_18inequality_wrapperIZN2at6native12_GLOBAL__N_124unique_dim_cuda_templateIN3c104HalfEEESt5tupleIJNSF_6TensorESM_SM_EERKSM_lbbbEUlllE0_EEPmJS9_EEE10hipError_tPvRmT3_T4_T5_T6_T7_T9_mT8_P12ihipStream_tbDpT10_ENKUlT_T0_E_clISt17integral_constantIbLb0EES1B_IbLb1EEEEDaS17_S18_EUlS17_E_NS1_11comp_targetILNS1_3genE8ELNS1_11target_archE1030ELNS1_3gpuE2ELNS1_3repE0EEENS1_30default_config_static_selectorELNS0_4arch9wavefront6targetE1EEEvT1_: ; @_ZN7rocprim17ROCPRIM_400000_NS6detail17trampoline_kernelINS0_14default_configENS1_25partition_config_selectorILNS1_17partition_subalgoE9EllbEEZZNS1_14partition_implILS5_9ELb0ES3_jPlS8_PNS0_10empty_typeENS0_5tupleIJS8_S9_EEENSB_IJS8_SA_EEENS0_18inequality_wrapperIZN2at6native12_GLOBAL__N_124unique_dim_cuda_templateIN3c104HalfEEESt5tupleIJNSF_6TensorESM_SM_EERKSM_lbbbEUlllE0_EEPmJS9_EEE10hipError_tPvRmT3_T4_T5_T6_T7_T9_mT8_P12ihipStream_tbDpT10_ENKUlT_T0_E_clISt17integral_constantIbLb0EES1B_IbLb1EEEEDaS17_S18_EUlS17_E_NS1_11comp_targetILNS1_3genE8ELNS1_11target_archE1030ELNS1_3gpuE2ELNS1_3repE0EEENS1_30default_config_static_selectorELNS0_4arch9wavefront6targetE1EEEvT1_
; %bb.0:
	.section	.rodata,"a",@progbits
	.p2align	6, 0x0
	.amdhsa_kernel _ZN7rocprim17ROCPRIM_400000_NS6detail17trampoline_kernelINS0_14default_configENS1_25partition_config_selectorILNS1_17partition_subalgoE9EllbEEZZNS1_14partition_implILS5_9ELb0ES3_jPlS8_PNS0_10empty_typeENS0_5tupleIJS8_S9_EEENSB_IJS8_SA_EEENS0_18inequality_wrapperIZN2at6native12_GLOBAL__N_124unique_dim_cuda_templateIN3c104HalfEEESt5tupleIJNSF_6TensorESM_SM_EERKSM_lbbbEUlllE0_EEPmJS9_EEE10hipError_tPvRmT3_T4_T5_T6_T7_T9_mT8_P12ihipStream_tbDpT10_ENKUlT_T0_E_clISt17integral_constantIbLb0EES1B_IbLb1EEEEDaS17_S18_EUlS17_E_NS1_11comp_targetILNS1_3genE8ELNS1_11target_archE1030ELNS1_3gpuE2ELNS1_3repE0EEENS1_30default_config_static_selectorELNS0_4arch9wavefront6targetE1EEEvT1_
		.amdhsa_group_segment_fixed_size 0
		.amdhsa_private_segment_fixed_size 0
		.amdhsa_kernarg_size 136
		.amdhsa_user_sgpr_count 2
		.amdhsa_user_sgpr_dispatch_ptr 0
		.amdhsa_user_sgpr_queue_ptr 0
		.amdhsa_user_sgpr_kernarg_segment_ptr 1
		.amdhsa_user_sgpr_dispatch_id 0
		.amdhsa_user_sgpr_kernarg_preload_length 0
		.amdhsa_user_sgpr_kernarg_preload_offset 0
		.amdhsa_user_sgpr_private_segment_size 0
		.amdhsa_uses_dynamic_stack 0
		.amdhsa_enable_private_segment 0
		.amdhsa_system_sgpr_workgroup_id_x 1
		.amdhsa_system_sgpr_workgroup_id_y 0
		.amdhsa_system_sgpr_workgroup_id_z 0
		.amdhsa_system_sgpr_workgroup_info 0
		.amdhsa_system_vgpr_workitem_id 0
		.amdhsa_next_free_vgpr 1
		.amdhsa_next_free_sgpr 0
		.amdhsa_accum_offset 4
		.amdhsa_reserve_vcc 0
		.amdhsa_float_round_mode_32 0
		.amdhsa_float_round_mode_16_64 0
		.amdhsa_float_denorm_mode_32 3
		.amdhsa_float_denorm_mode_16_64 3
		.amdhsa_dx10_clamp 1
		.amdhsa_ieee_mode 1
		.amdhsa_fp16_overflow 0
		.amdhsa_tg_split 0
		.amdhsa_exception_fp_ieee_invalid_op 0
		.amdhsa_exception_fp_denorm_src 0
		.amdhsa_exception_fp_ieee_div_zero 0
		.amdhsa_exception_fp_ieee_overflow 0
		.amdhsa_exception_fp_ieee_underflow 0
		.amdhsa_exception_fp_ieee_inexact 0
		.amdhsa_exception_int_div_zero 0
	.end_amdhsa_kernel
	.section	.text._ZN7rocprim17ROCPRIM_400000_NS6detail17trampoline_kernelINS0_14default_configENS1_25partition_config_selectorILNS1_17partition_subalgoE9EllbEEZZNS1_14partition_implILS5_9ELb0ES3_jPlS8_PNS0_10empty_typeENS0_5tupleIJS8_S9_EEENSB_IJS8_SA_EEENS0_18inequality_wrapperIZN2at6native12_GLOBAL__N_124unique_dim_cuda_templateIN3c104HalfEEESt5tupleIJNSF_6TensorESM_SM_EERKSM_lbbbEUlllE0_EEPmJS9_EEE10hipError_tPvRmT3_T4_T5_T6_T7_T9_mT8_P12ihipStream_tbDpT10_ENKUlT_T0_E_clISt17integral_constantIbLb0EES1B_IbLb1EEEEDaS17_S18_EUlS17_E_NS1_11comp_targetILNS1_3genE8ELNS1_11target_archE1030ELNS1_3gpuE2ELNS1_3repE0EEENS1_30default_config_static_selectorELNS0_4arch9wavefront6targetE1EEEvT1_,"axG",@progbits,_ZN7rocprim17ROCPRIM_400000_NS6detail17trampoline_kernelINS0_14default_configENS1_25partition_config_selectorILNS1_17partition_subalgoE9EllbEEZZNS1_14partition_implILS5_9ELb0ES3_jPlS8_PNS0_10empty_typeENS0_5tupleIJS8_S9_EEENSB_IJS8_SA_EEENS0_18inequality_wrapperIZN2at6native12_GLOBAL__N_124unique_dim_cuda_templateIN3c104HalfEEESt5tupleIJNSF_6TensorESM_SM_EERKSM_lbbbEUlllE0_EEPmJS9_EEE10hipError_tPvRmT3_T4_T5_T6_T7_T9_mT8_P12ihipStream_tbDpT10_ENKUlT_T0_E_clISt17integral_constantIbLb0EES1B_IbLb1EEEEDaS17_S18_EUlS17_E_NS1_11comp_targetILNS1_3genE8ELNS1_11target_archE1030ELNS1_3gpuE2ELNS1_3repE0EEENS1_30default_config_static_selectorELNS0_4arch9wavefront6targetE1EEEvT1_,comdat
.Lfunc_end1360:
	.size	_ZN7rocprim17ROCPRIM_400000_NS6detail17trampoline_kernelINS0_14default_configENS1_25partition_config_selectorILNS1_17partition_subalgoE9EllbEEZZNS1_14partition_implILS5_9ELb0ES3_jPlS8_PNS0_10empty_typeENS0_5tupleIJS8_S9_EEENSB_IJS8_SA_EEENS0_18inequality_wrapperIZN2at6native12_GLOBAL__N_124unique_dim_cuda_templateIN3c104HalfEEESt5tupleIJNSF_6TensorESM_SM_EERKSM_lbbbEUlllE0_EEPmJS9_EEE10hipError_tPvRmT3_T4_T5_T6_T7_T9_mT8_P12ihipStream_tbDpT10_ENKUlT_T0_E_clISt17integral_constantIbLb0EES1B_IbLb1EEEEDaS17_S18_EUlS17_E_NS1_11comp_targetILNS1_3genE8ELNS1_11target_archE1030ELNS1_3gpuE2ELNS1_3repE0EEENS1_30default_config_static_selectorELNS0_4arch9wavefront6targetE1EEEvT1_, .Lfunc_end1360-_ZN7rocprim17ROCPRIM_400000_NS6detail17trampoline_kernelINS0_14default_configENS1_25partition_config_selectorILNS1_17partition_subalgoE9EllbEEZZNS1_14partition_implILS5_9ELb0ES3_jPlS8_PNS0_10empty_typeENS0_5tupleIJS8_S9_EEENSB_IJS8_SA_EEENS0_18inequality_wrapperIZN2at6native12_GLOBAL__N_124unique_dim_cuda_templateIN3c104HalfEEESt5tupleIJNSF_6TensorESM_SM_EERKSM_lbbbEUlllE0_EEPmJS9_EEE10hipError_tPvRmT3_T4_T5_T6_T7_T9_mT8_P12ihipStream_tbDpT10_ENKUlT_T0_E_clISt17integral_constantIbLb0EES1B_IbLb1EEEEDaS17_S18_EUlS17_E_NS1_11comp_targetILNS1_3genE8ELNS1_11target_archE1030ELNS1_3gpuE2ELNS1_3repE0EEENS1_30default_config_static_selectorELNS0_4arch9wavefront6targetE1EEEvT1_
                                        ; -- End function
	.set _ZN7rocprim17ROCPRIM_400000_NS6detail17trampoline_kernelINS0_14default_configENS1_25partition_config_selectorILNS1_17partition_subalgoE9EllbEEZZNS1_14partition_implILS5_9ELb0ES3_jPlS8_PNS0_10empty_typeENS0_5tupleIJS8_S9_EEENSB_IJS8_SA_EEENS0_18inequality_wrapperIZN2at6native12_GLOBAL__N_124unique_dim_cuda_templateIN3c104HalfEEESt5tupleIJNSF_6TensorESM_SM_EERKSM_lbbbEUlllE0_EEPmJS9_EEE10hipError_tPvRmT3_T4_T5_T6_T7_T9_mT8_P12ihipStream_tbDpT10_ENKUlT_T0_E_clISt17integral_constantIbLb0EES1B_IbLb1EEEEDaS17_S18_EUlS17_E_NS1_11comp_targetILNS1_3genE8ELNS1_11target_archE1030ELNS1_3gpuE2ELNS1_3repE0EEENS1_30default_config_static_selectorELNS0_4arch9wavefront6targetE1EEEvT1_.num_vgpr, 0
	.set _ZN7rocprim17ROCPRIM_400000_NS6detail17trampoline_kernelINS0_14default_configENS1_25partition_config_selectorILNS1_17partition_subalgoE9EllbEEZZNS1_14partition_implILS5_9ELb0ES3_jPlS8_PNS0_10empty_typeENS0_5tupleIJS8_S9_EEENSB_IJS8_SA_EEENS0_18inequality_wrapperIZN2at6native12_GLOBAL__N_124unique_dim_cuda_templateIN3c104HalfEEESt5tupleIJNSF_6TensorESM_SM_EERKSM_lbbbEUlllE0_EEPmJS9_EEE10hipError_tPvRmT3_T4_T5_T6_T7_T9_mT8_P12ihipStream_tbDpT10_ENKUlT_T0_E_clISt17integral_constantIbLb0EES1B_IbLb1EEEEDaS17_S18_EUlS17_E_NS1_11comp_targetILNS1_3genE8ELNS1_11target_archE1030ELNS1_3gpuE2ELNS1_3repE0EEENS1_30default_config_static_selectorELNS0_4arch9wavefront6targetE1EEEvT1_.num_agpr, 0
	.set _ZN7rocprim17ROCPRIM_400000_NS6detail17trampoline_kernelINS0_14default_configENS1_25partition_config_selectorILNS1_17partition_subalgoE9EllbEEZZNS1_14partition_implILS5_9ELb0ES3_jPlS8_PNS0_10empty_typeENS0_5tupleIJS8_S9_EEENSB_IJS8_SA_EEENS0_18inequality_wrapperIZN2at6native12_GLOBAL__N_124unique_dim_cuda_templateIN3c104HalfEEESt5tupleIJNSF_6TensorESM_SM_EERKSM_lbbbEUlllE0_EEPmJS9_EEE10hipError_tPvRmT3_T4_T5_T6_T7_T9_mT8_P12ihipStream_tbDpT10_ENKUlT_T0_E_clISt17integral_constantIbLb0EES1B_IbLb1EEEEDaS17_S18_EUlS17_E_NS1_11comp_targetILNS1_3genE8ELNS1_11target_archE1030ELNS1_3gpuE2ELNS1_3repE0EEENS1_30default_config_static_selectorELNS0_4arch9wavefront6targetE1EEEvT1_.numbered_sgpr, 0
	.set _ZN7rocprim17ROCPRIM_400000_NS6detail17trampoline_kernelINS0_14default_configENS1_25partition_config_selectorILNS1_17partition_subalgoE9EllbEEZZNS1_14partition_implILS5_9ELb0ES3_jPlS8_PNS0_10empty_typeENS0_5tupleIJS8_S9_EEENSB_IJS8_SA_EEENS0_18inequality_wrapperIZN2at6native12_GLOBAL__N_124unique_dim_cuda_templateIN3c104HalfEEESt5tupleIJNSF_6TensorESM_SM_EERKSM_lbbbEUlllE0_EEPmJS9_EEE10hipError_tPvRmT3_T4_T5_T6_T7_T9_mT8_P12ihipStream_tbDpT10_ENKUlT_T0_E_clISt17integral_constantIbLb0EES1B_IbLb1EEEEDaS17_S18_EUlS17_E_NS1_11comp_targetILNS1_3genE8ELNS1_11target_archE1030ELNS1_3gpuE2ELNS1_3repE0EEENS1_30default_config_static_selectorELNS0_4arch9wavefront6targetE1EEEvT1_.num_named_barrier, 0
	.set _ZN7rocprim17ROCPRIM_400000_NS6detail17trampoline_kernelINS0_14default_configENS1_25partition_config_selectorILNS1_17partition_subalgoE9EllbEEZZNS1_14partition_implILS5_9ELb0ES3_jPlS8_PNS0_10empty_typeENS0_5tupleIJS8_S9_EEENSB_IJS8_SA_EEENS0_18inequality_wrapperIZN2at6native12_GLOBAL__N_124unique_dim_cuda_templateIN3c104HalfEEESt5tupleIJNSF_6TensorESM_SM_EERKSM_lbbbEUlllE0_EEPmJS9_EEE10hipError_tPvRmT3_T4_T5_T6_T7_T9_mT8_P12ihipStream_tbDpT10_ENKUlT_T0_E_clISt17integral_constantIbLb0EES1B_IbLb1EEEEDaS17_S18_EUlS17_E_NS1_11comp_targetILNS1_3genE8ELNS1_11target_archE1030ELNS1_3gpuE2ELNS1_3repE0EEENS1_30default_config_static_selectorELNS0_4arch9wavefront6targetE1EEEvT1_.private_seg_size, 0
	.set _ZN7rocprim17ROCPRIM_400000_NS6detail17trampoline_kernelINS0_14default_configENS1_25partition_config_selectorILNS1_17partition_subalgoE9EllbEEZZNS1_14partition_implILS5_9ELb0ES3_jPlS8_PNS0_10empty_typeENS0_5tupleIJS8_S9_EEENSB_IJS8_SA_EEENS0_18inequality_wrapperIZN2at6native12_GLOBAL__N_124unique_dim_cuda_templateIN3c104HalfEEESt5tupleIJNSF_6TensorESM_SM_EERKSM_lbbbEUlllE0_EEPmJS9_EEE10hipError_tPvRmT3_T4_T5_T6_T7_T9_mT8_P12ihipStream_tbDpT10_ENKUlT_T0_E_clISt17integral_constantIbLb0EES1B_IbLb1EEEEDaS17_S18_EUlS17_E_NS1_11comp_targetILNS1_3genE8ELNS1_11target_archE1030ELNS1_3gpuE2ELNS1_3repE0EEENS1_30default_config_static_selectorELNS0_4arch9wavefront6targetE1EEEvT1_.uses_vcc, 0
	.set _ZN7rocprim17ROCPRIM_400000_NS6detail17trampoline_kernelINS0_14default_configENS1_25partition_config_selectorILNS1_17partition_subalgoE9EllbEEZZNS1_14partition_implILS5_9ELb0ES3_jPlS8_PNS0_10empty_typeENS0_5tupleIJS8_S9_EEENSB_IJS8_SA_EEENS0_18inequality_wrapperIZN2at6native12_GLOBAL__N_124unique_dim_cuda_templateIN3c104HalfEEESt5tupleIJNSF_6TensorESM_SM_EERKSM_lbbbEUlllE0_EEPmJS9_EEE10hipError_tPvRmT3_T4_T5_T6_T7_T9_mT8_P12ihipStream_tbDpT10_ENKUlT_T0_E_clISt17integral_constantIbLb0EES1B_IbLb1EEEEDaS17_S18_EUlS17_E_NS1_11comp_targetILNS1_3genE8ELNS1_11target_archE1030ELNS1_3gpuE2ELNS1_3repE0EEENS1_30default_config_static_selectorELNS0_4arch9wavefront6targetE1EEEvT1_.uses_flat_scratch, 0
	.set _ZN7rocprim17ROCPRIM_400000_NS6detail17trampoline_kernelINS0_14default_configENS1_25partition_config_selectorILNS1_17partition_subalgoE9EllbEEZZNS1_14partition_implILS5_9ELb0ES3_jPlS8_PNS0_10empty_typeENS0_5tupleIJS8_S9_EEENSB_IJS8_SA_EEENS0_18inequality_wrapperIZN2at6native12_GLOBAL__N_124unique_dim_cuda_templateIN3c104HalfEEESt5tupleIJNSF_6TensorESM_SM_EERKSM_lbbbEUlllE0_EEPmJS9_EEE10hipError_tPvRmT3_T4_T5_T6_T7_T9_mT8_P12ihipStream_tbDpT10_ENKUlT_T0_E_clISt17integral_constantIbLb0EES1B_IbLb1EEEEDaS17_S18_EUlS17_E_NS1_11comp_targetILNS1_3genE8ELNS1_11target_archE1030ELNS1_3gpuE2ELNS1_3repE0EEENS1_30default_config_static_selectorELNS0_4arch9wavefront6targetE1EEEvT1_.has_dyn_sized_stack, 0
	.set _ZN7rocprim17ROCPRIM_400000_NS6detail17trampoline_kernelINS0_14default_configENS1_25partition_config_selectorILNS1_17partition_subalgoE9EllbEEZZNS1_14partition_implILS5_9ELb0ES3_jPlS8_PNS0_10empty_typeENS0_5tupleIJS8_S9_EEENSB_IJS8_SA_EEENS0_18inequality_wrapperIZN2at6native12_GLOBAL__N_124unique_dim_cuda_templateIN3c104HalfEEESt5tupleIJNSF_6TensorESM_SM_EERKSM_lbbbEUlllE0_EEPmJS9_EEE10hipError_tPvRmT3_T4_T5_T6_T7_T9_mT8_P12ihipStream_tbDpT10_ENKUlT_T0_E_clISt17integral_constantIbLb0EES1B_IbLb1EEEEDaS17_S18_EUlS17_E_NS1_11comp_targetILNS1_3genE8ELNS1_11target_archE1030ELNS1_3gpuE2ELNS1_3repE0EEENS1_30default_config_static_selectorELNS0_4arch9wavefront6targetE1EEEvT1_.has_recursion, 0
	.set _ZN7rocprim17ROCPRIM_400000_NS6detail17trampoline_kernelINS0_14default_configENS1_25partition_config_selectorILNS1_17partition_subalgoE9EllbEEZZNS1_14partition_implILS5_9ELb0ES3_jPlS8_PNS0_10empty_typeENS0_5tupleIJS8_S9_EEENSB_IJS8_SA_EEENS0_18inequality_wrapperIZN2at6native12_GLOBAL__N_124unique_dim_cuda_templateIN3c104HalfEEESt5tupleIJNSF_6TensorESM_SM_EERKSM_lbbbEUlllE0_EEPmJS9_EEE10hipError_tPvRmT3_T4_T5_T6_T7_T9_mT8_P12ihipStream_tbDpT10_ENKUlT_T0_E_clISt17integral_constantIbLb0EES1B_IbLb1EEEEDaS17_S18_EUlS17_E_NS1_11comp_targetILNS1_3genE8ELNS1_11target_archE1030ELNS1_3gpuE2ELNS1_3repE0EEENS1_30default_config_static_selectorELNS0_4arch9wavefront6targetE1EEEvT1_.has_indirect_call, 0
	.section	.AMDGPU.csdata,"",@progbits
; Kernel info:
; codeLenInByte = 0
; TotalNumSgprs: 6
; NumVgprs: 0
; NumAgprs: 0
; TotalNumVgprs: 0
; ScratchSize: 0
; MemoryBound: 0
; FloatMode: 240
; IeeeMode: 1
; LDSByteSize: 0 bytes/workgroup (compile time only)
; SGPRBlocks: 0
; VGPRBlocks: 0
; NumSGPRsForWavesPerEU: 6
; NumVGPRsForWavesPerEU: 1
; AccumOffset: 4
; Occupancy: 8
; WaveLimiterHint : 0
; COMPUTE_PGM_RSRC2:SCRATCH_EN: 0
; COMPUTE_PGM_RSRC2:USER_SGPR: 2
; COMPUTE_PGM_RSRC2:TRAP_HANDLER: 0
; COMPUTE_PGM_RSRC2:TGID_X_EN: 1
; COMPUTE_PGM_RSRC2:TGID_Y_EN: 0
; COMPUTE_PGM_RSRC2:TGID_Z_EN: 0
; COMPUTE_PGM_RSRC2:TIDIG_COMP_CNT: 0
; COMPUTE_PGM_RSRC3_GFX90A:ACCUM_OFFSET: 0
; COMPUTE_PGM_RSRC3_GFX90A:TG_SPLIT: 0
	.section	.text._ZN7rocprim17ROCPRIM_400000_NS6detail17trampoline_kernelINS0_14default_configENS1_37merge_sort_block_sort_config_selectorIlNS0_10empty_typeEEEZNS1_21merge_sort_block_sortIS3_PlS8_PS5_S9_ZN2at6native12_GLOBAL__N_124unique_dim_cuda_templateItEESt5tupleIJNSA_6TensorESF_SF_EERKSF_lbbbEUlllE_EE10hipError_tT0_T1_T2_T3_mRjT4_P12ihipStream_tbNS1_7vsmem_tEEUlT_E_NS1_11comp_targetILNS1_3genE0ELNS1_11target_archE4294967295ELNS1_3gpuE0ELNS1_3repE0EEENS1_30default_config_static_selectorELNS0_4arch9wavefront6targetE1EEEvSM_,"axG",@progbits,_ZN7rocprim17ROCPRIM_400000_NS6detail17trampoline_kernelINS0_14default_configENS1_37merge_sort_block_sort_config_selectorIlNS0_10empty_typeEEEZNS1_21merge_sort_block_sortIS3_PlS8_PS5_S9_ZN2at6native12_GLOBAL__N_124unique_dim_cuda_templateItEESt5tupleIJNSA_6TensorESF_SF_EERKSF_lbbbEUlllE_EE10hipError_tT0_T1_T2_T3_mRjT4_P12ihipStream_tbNS1_7vsmem_tEEUlT_E_NS1_11comp_targetILNS1_3genE0ELNS1_11target_archE4294967295ELNS1_3gpuE0ELNS1_3repE0EEENS1_30default_config_static_selectorELNS0_4arch9wavefront6targetE1EEEvSM_,comdat
	.globl	_ZN7rocprim17ROCPRIM_400000_NS6detail17trampoline_kernelINS0_14default_configENS1_37merge_sort_block_sort_config_selectorIlNS0_10empty_typeEEEZNS1_21merge_sort_block_sortIS3_PlS8_PS5_S9_ZN2at6native12_GLOBAL__N_124unique_dim_cuda_templateItEESt5tupleIJNSA_6TensorESF_SF_EERKSF_lbbbEUlllE_EE10hipError_tT0_T1_T2_T3_mRjT4_P12ihipStream_tbNS1_7vsmem_tEEUlT_E_NS1_11comp_targetILNS1_3genE0ELNS1_11target_archE4294967295ELNS1_3gpuE0ELNS1_3repE0EEENS1_30default_config_static_selectorELNS0_4arch9wavefront6targetE1EEEvSM_ ; -- Begin function _ZN7rocprim17ROCPRIM_400000_NS6detail17trampoline_kernelINS0_14default_configENS1_37merge_sort_block_sort_config_selectorIlNS0_10empty_typeEEEZNS1_21merge_sort_block_sortIS3_PlS8_PS5_S9_ZN2at6native12_GLOBAL__N_124unique_dim_cuda_templateItEESt5tupleIJNSA_6TensorESF_SF_EERKSF_lbbbEUlllE_EE10hipError_tT0_T1_T2_T3_mRjT4_P12ihipStream_tbNS1_7vsmem_tEEUlT_E_NS1_11comp_targetILNS1_3genE0ELNS1_11target_archE4294967295ELNS1_3gpuE0ELNS1_3repE0EEENS1_30default_config_static_selectorELNS0_4arch9wavefront6targetE1EEEvSM_
	.p2align	8
	.type	_ZN7rocprim17ROCPRIM_400000_NS6detail17trampoline_kernelINS0_14default_configENS1_37merge_sort_block_sort_config_selectorIlNS0_10empty_typeEEEZNS1_21merge_sort_block_sortIS3_PlS8_PS5_S9_ZN2at6native12_GLOBAL__N_124unique_dim_cuda_templateItEESt5tupleIJNSA_6TensorESF_SF_EERKSF_lbbbEUlllE_EE10hipError_tT0_T1_T2_T3_mRjT4_P12ihipStream_tbNS1_7vsmem_tEEUlT_E_NS1_11comp_targetILNS1_3genE0ELNS1_11target_archE4294967295ELNS1_3gpuE0ELNS1_3repE0EEENS1_30default_config_static_selectorELNS0_4arch9wavefront6targetE1EEEvSM_,@function
_ZN7rocprim17ROCPRIM_400000_NS6detail17trampoline_kernelINS0_14default_configENS1_37merge_sort_block_sort_config_selectorIlNS0_10empty_typeEEEZNS1_21merge_sort_block_sortIS3_PlS8_PS5_S9_ZN2at6native12_GLOBAL__N_124unique_dim_cuda_templateItEESt5tupleIJNSA_6TensorESF_SF_EERKSF_lbbbEUlllE_EE10hipError_tT0_T1_T2_T3_mRjT4_P12ihipStream_tbNS1_7vsmem_tEEUlT_E_NS1_11comp_targetILNS1_3genE0ELNS1_11target_archE4294967295ELNS1_3gpuE0ELNS1_3repE0EEENS1_30default_config_static_selectorELNS0_4arch9wavefront6targetE1EEEvSM_: ; @_ZN7rocprim17ROCPRIM_400000_NS6detail17trampoline_kernelINS0_14default_configENS1_37merge_sort_block_sort_config_selectorIlNS0_10empty_typeEEEZNS1_21merge_sort_block_sortIS3_PlS8_PS5_S9_ZN2at6native12_GLOBAL__N_124unique_dim_cuda_templateItEESt5tupleIJNSA_6TensorESF_SF_EERKSF_lbbbEUlllE_EE10hipError_tT0_T1_T2_T3_mRjT4_P12ihipStream_tbNS1_7vsmem_tEEUlT_E_NS1_11comp_targetILNS1_3genE0ELNS1_11target_archE4294967295ELNS1_3gpuE0ELNS1_3repE0EEENS1_30default_config_static_selectorELNS0_4arch9wavefront6targetE1EEEvSM_
; %bb.0:
	s_mov_b32 s14, s2
	s_load_dwordx2 s[18:19], s[0:1], 0x48
	s_load_dword s2, s[0:1], 0x0
	s_add_u32 s16, s0, 0x48
	s_addc_u32 s17, s1, 0
	s_waitcnt lgkmcnt(0)
	s_mul_i32 s4, s19, s4
	s_add_i32 s3, s4, s3
	s_mul_i32 s3, s3, s18
	s_add_i32 s6, s3, s14
	s_cmp_ge_u32 s6, s2
	s_cbranch_scc1 .LBB1361_1484
; %bb.1:
	s_load_dwordx2 s[8:9], s[0:1], 0x8
	s_load_dwordx4 s[20:23], s[0:1], 0x18
	s_load_dwordx4 s[36:39], s[0:1], 0x38
	s_mov_b32 s7, 0
	s_lshl_b64 s[2:3], s[6:7], 14
	s_waitcnt lgkmcnt(0)
	s_lshr_b64 s[0:1], s[8:9], 11
	s_add_u32 s20, s20, s2
	s_addc_u32 s21, s21, s3
	s_add_u32 s34, s22, s2
	s_addc_u32 s35, s23, s3
	s_cmp_lg_u64 s[0:1], s[6:7]
	v_and_b32_e32 v18, 0x3ff, v0
	s_cbranch_scc0 .LBB1361_8
; %bb.2:
	v_mov_b32_e32 v19, 0
	v_lshlrev_b32_e32 v20, 3, v18
	v_mov_b32_e32 v21, v19
	v_lshl_add_u64 v[2:3], s[20:21], 0, v[20:21]
	v_add_co_u32_e32 v8, vcc, 0x1000, v2
	global_load_dwordx2 v[4:5], v20, s[20:21]
	global_load_dwordx2 v[6:7], v20, s[20:21] offset:2048
	v_addc_co_u32_e32 v9, vcc, 0, v3, vcc
	v_add_co_u32_e32 v10, vcc, 0x2000, v2
	v_lshrrev_b32_e32 v1, 2, v18
	s_nop 0
	v_addc_co_u32_e32 v11, vcc, 0, v3, vcc
	v_add_co_u32_e32 v2, vcc, 0x3000, v2
	global_load_dwordx2 v[12:13], v[8:9], off
	global_load_dwordx2 v[14:15], v[8:9], off offset:2048
	global_load_dwordx2 v[16:17], v[10:11], off
	global_load_dwordx2 v[22:23], v[10:11], off offset:2048
	v_addc_co_u32_e32 v3, vcc, 0, v3, vcc
	global_load_dwordx2 v[8:9], v[2:3], off
	global_load_dwordx2 v[10:11], v[2:3], off offset:2048
	v_add_u32_e32 v2, 0x100, v18
	v_add_u32_e32 v3, 0x200, v18
	;; [unrolled: 1-line block ×3, first 2 shown]
	v_or_b32_e32 v24, 0x400, v18
	v_add_u32_e32 v25, 0x500, v18
	v_add_u32_e32 v26, 0x600, v18
	;; [unrolled: 1-line block ×3, first 2 shown]
	v_lshlrev_b32_e32 v28, 1, v18
	v_and_b32_e32 v1, 0xf8, v1
	v_lshrrev_b32_e32 v2, 2, v2
	v_lshrrev_b32_e32 v3, 2, v3
	;; [unrolled: 1-line block ×7, first 2 shown]
	v_and_b32_e32 v28, 0x7f8, v28
	v_add_u32_e32 v1, v1, v20
	v_and_b32_e32 v2, 0x1f8, v2
	v_and_b32_e32 v3, 0x1f8, v3
	v_and_b32_e32 v29, 0x1f8, v21
	v_and_b32_e32 v24, 0x1f8, v24
	v_and_b32_e32 v25, 0x3f8, v25
	v_and_b32_e32 v26, 0x3f8, v26
	v_and_b32_e32 v27, 0x3f8, v27
	v_lshl_add_u32 v34, v18, 6, v28
	v_add_u32_e32 v21, v2, v20
	v_add_u32_e32 v28, v3, v20
	;; [unrolled: 1-line block ×7, first 2 shown]
	v_bfe_u32 v24, v0, 20, 10
	v_cmp_gt_i64_e64 s[12:13], s[36:37], 0
	s_waitcnt vmcnt(7)
	ds_write_b64 v1, v[4:5]
	s_waitcnt vmcnt(6)
	ds_write_b64 v21, v[6:7] offset:2048
	s_waitcnt vmcnt(5)
	ds_write_b64 v28, v[12:13] offset:4096
	s_waitcnt vmcnt(4)
	ds_write_b64 v29, v[14:15] offset:6144
	s_waitcnt vmcnt(3)
	ds_write_b64 v30, v[16:17] offset:8192
	s_waitcnt vmcnt(2)
	ds_write_b64 v31, v[22:23] offset:10240
	s_waitcnt vmcnt(1)
	ds_write_b64 v32, v[8:9] offset:12288
	s_waitcnt vmcnt(0)
	ds_write_b64 v33, v[10:11] offset:14336
	s_waitcnt lgkmcnt(0)
	s_barrier
	ds_read2_b64 v[14:17], v34 offset1:1
	ds_read2_b64 v[10:13], v34 offset0:2 offset1:3
	ds_read2_b64 v[6:9], v34 offset0:4 offset1:5
	;; [unrolled: 1-line block ×3, first 2 shown]
	s_waitcnt lgkmcnt(0)
	s_barrier
	s_load_dword s0, s[16:17], 0xc
	v_bfe_u32 v23, v0, 10, 10
	v_cndmask_b32_e64 v25, 0, 1, s[12:13]
	s_waitcnt lgkmcnt(0)
	s_lshr_b32 s2, s0, 16
	s_cmp_lt_u32 s14, s18
	s_cselect_b32 s0, 12, 18
	s_add_u32 s0, s16, s0
	s_addc_u32 s1, s17, 0
	global_load_ushort v22, v19, s[0:1]
	v_mad_u32_u24 v23, v24, s2, v23
	s_movk_i32 s0, 0x800
	s_waitcnt vmcnt(0)
	v_mul_lo_u32 v22, v23, v22
	v_add_lshl_u32 v26, v22, v18, 3
	v_cmp_gt_u32_e32 vcc, s0, v26
	v_cmp_ne_u32_e64 s[0:1], 1, v25
	s_and_saveexec_b64 s[10:11], vcc
	s_cbranch_execz .LBB1361_188
; %bb.3:
	s_and_b64 vcc, exec, s[0:1]
	s_cbranch_vccnz .LBB1361_18
; %bb.4:
	v_mul_lo_u32 v24, v17, s36
	v_mul_lo_u32 v25, v16, s37
	v_mad_u64_u32 v[22:23], s[2:3], v16, s36, 0
	v_add3_u32 v23, v23, v25, v24
	v_mul_lo_u32 v27, v15, s36
	v_mul_lo_u32 v35, v14, s37
	v_mad_u64_u32 v[24:25], s[2:3], v14, s36, 0
	v_add3_u32 v25, v25, v35, v27
	v_lshl_add_u64 v[22:23], v[22:23], 1, s[38:39]
	v_lshl_add_u64 v[24:25], v[24:25], 1, s[38:39]
	s_mov_b64 s[24:25], 0
	s_mov_b64 s[42:43], s[36:37]
                                        ; implicit-def: $sgpr22_sgpr23
                                        ; implicit-def: $sgpr26_sgpr27
                                        ; implicit-def: $sgpr30_sgpr31
                                        ; implicit-def: $sgpr28_sgpr29
                                        ; implicit-def: $sgpr40_sgpr41
	s_branch .LBB1361_6
.LBB1361_5:                             ;   in Loop: Header=BB1361_6 Depth=1
	s_or_b64 exec, exec, s[44:45]
	s_and_b64 s[2:3], s[2:3], s[40:41]
	s_or_b64 s[2:3], vcc, s[2:3]
	s_and_b64 s[4:5], exec, s[30:31]
	s_or_b64 s[24:25], s[4:5], s[24:25]
	s_andn2_b64 s[4:5], s[40:41], exec
	s_and_b64 s[2:3], s[2:3], exec
	s_or_b64 s[40:41], s[4:5], s[2:3]
	s_andn2_b64 s[4:5], s[26:27], exec
	s_and_b64 s[26:27], s[28:29], exec
	s_or_b64 s[26:27], s[4:5], s[26:27]
	s_andn2_b64 s[4:5], s[22:23], exec
	s_or_b64 s[22:23], s[4:5], s[2:3]
	s_andn2_b64 exec, exec, s[24:25]
	s_cbranch_execz .LBB1361_9
.LBB1361_6:                             ; =>This Inner Loop Header: Depth=1
	global_load_ushort v27, v[22:23], off
	global_load_ushort v35, v[24:25], off
	s_or_b64 s[28:29], s[28:29], exec
	s_or_b64 s[30:31], s[30:31], exec
	s_waitcnt vmcnt(0)
	v_cmp_lt_u16_e32 vcc, v27, v35
	v_cmp_le_u16_e64 s[2:3], v27, v35
	v_cmp_eq_u16_e64 s[4:5], v27, v35
	s_and_saveexec_b64 s[44:45], s[4:5]
	s_cbranch_execz .LBB1361_5
; %bb.7:                                ;   in Loop: Header=BB1361_6 Depth=1
	s_add_u32 s42, s42, -1
	s_addc_u32 s43, s43, -1
	s_cmp_eq_u64 s[42:43], 0
	s_cselect_b64 s[4:5], -1, 0
	s_andn2_b64 s[30:31], s[30:31], exec
	s_and_b64 s[4:5], s[4:5], exec
	v_lshl_add_u64 v[22:23], v[22:23], 0, 2
	v_lshl_add_u64 v[24:25], v[24:25], 0, 2
	s_andn2_b64 s[28:29], s[28:29], exec
	s_or_b64 s[30:31], s[30:31], s[4:5]
	s_branch .LBB1361_5
.LBB1361_8:
	s_mov_b64 s[40:41], 0
                                        ; implicit-def: $vgpr14_vgpr15
	s_cbranch_execnz .LBB1361_697
	s_branch .LBB1361_1482
.LBB1361_9:
	s_or_b64 exec, exec, s[24:25]
	s_and_saveexec_b64 s[2:3], s[26:27]
	s_xor_b64 s[2:3], exec, s[2:3]
; %bb.10:
	v_cndmask_b32_e64 v23, v17, v15, s[22:23]
	v_cndmask_b32_e64 v22, v16, v14, s[22:23]
	;; [unrolled: 1-line block ×4, first 2 shown]
	v_mov_b64_e32 v[16:17], v[22:23]
; %bb.11:
	s_or_b64 exec, exec, s[2:3]
	v_mul_lo_u32 v24, v13, s36
	v_mul_lo_u32 v25, v12, s37
	v_mad_u64_u32 v[22:23], s[2:3], v12, s36, 0
	v_add3_u32 v23, v23, v25, v24
	v_mul_lo_u32 v27, v11, s36
	v_mul_lo_u32 v35, v10, s37
	v_mad_u64_u32 v[24:25], s[2:3], v10, s36, 0
	v_add3_u32 v25, v25, v35, v27
	v_lshl_add_u64 v[22:23], v[22:23], 1, s[38:39]
	v_lshl_add_u64 v[24:25], v[24:25], 1, s[38:39]
	s_mov_b64 s[26:27], 0
	s_mov_b64 s[42:43], s[36:37]
                                        ; implicit-def: $sgpr22_sgpr23
                                        ; implicit-def: $sgpr24_sgpr25
                                        ; implicit-def: $sgpr30_sgpr31
                                        ; implicit-def: $sgpr28_sgpr29
                                        ; implicit-def: $sgpr40_sgpr41
	s_branch .LBB1361_13
.LBB1361_12:                            ;   in Loop: Header=BB1361_13 Depth=1
	s_or_b64 exec, exec, s[44:45]
	s_and_b64 s[2:3], s[2:3], s[40:41]
	s_or_b64 s[2:3], vcc, s[2:3]
	s_and_b64 s[4:5], exec, s[30:31]
	s_or_b64 s[26:27], s[4:5], s[26:27]
	s_andn2_b64 s[4:5], s[40:41], exec
	s_and_b64 s[2:3], s[2:3], exec
	s_or_b64 s[40:41], s[4:5], s[2:3]
	s_andn2_b64 s[4:5], s[24:25], exec
	s_and_b64 s[24:25], s[28:29], exec
	s_or_b64 s[24:25], s[4:5], s[24:25]
	s_andn2_b64 s[4:5], s[22:23], exec
	s_or_b64 s[22:23], s[4:5], s[2:3]
	s_andn2_b64 exec, exec, s[26:27]
	s_cbranch_execz .LBB1361_15
.LBB1361_13:                            ; =>This Inner Loop Header: Depth=1
	global_load_ushort v27, v[22:23], off
	global_load_ushort v35, v[24:25], off
	s_or_b64 s[28:29], s[28:29], exec
	s_or_b64 s[30:31], s[30:31], exec
	s_waitcnt vmcnt(0)
	v_cmp_lt_u16_e32 vcc, v27, v35
	v_cmp_le_u16_e64 s[2:3], v27, v35
	v_cmp_eq_u16_e64 s[4:5], v27, v35
	s_and_saveexec_b64 s[44:45], s[4:5]
	s_cbranch_execz .LBB1361_12
; %bb.14:                               ;   in Loop: Header=BB1361_13 Depth=1
	s_add_u32 s42, s42, -1
	s_addc_u32 s43, s43, -1
	s_cmp_eq_u64 s[42:43], 0
	s_cselect_b64 s[4:5], -1, 0
	s_andn2_b64 s[30:31], s[30:31], exec
	s_and_b64 s[4:5], s[4:5], exec
	v_lshl_add_u64 v[22:23], v[22:23], 0, 2
	v_lshl_add_u64 v[24:25], v[24:25], 0, 2
	s_andn2_b64 s[28:29], s[28:29], exec
	s_or_b64 s[30:31], s[30:31], s[4:5]
	s_branch .LBB1361_12
.LBB1361_15:
	s_or_b64 exec, exec, s[26:27]
	s_and_saveexec_b64 s[2:3], s[24:25]
	s_xor_b64 s[2:3], exec, s[2:3]
; %bb.16:
	v_cndmask_b32_e64 v23, v11, v13, s[22:23]
	v_cndmask_b32_e64 v22, v10, v12, s[22:23]
	;; [unrolled: 1-line block ×4, first 2 shown]
	v_mov_b64_e32 v[10:11], v[22:23]
; %bb.17:
	s_or_b64 exec, exec, s[2:3]
.LBB1361_18:
	s_and_b64 vcc, exec, s[0:1]
	s_cbranch_vccnz .LBB1361_32
; %bb.19:
	v_mul_lo_u32 v24, v9, s36
	v_mul_lo_u32 v25, v8, s37
	v_mad_u64_u32 v[22:23], s[2:3], v8, s36, 0
	v_add3_u32 v23, v23, v25, v24
	v_mul_lo_u32 v27, v7, s36
	v_mul_lo_u32 v35, v6, s37
	v_mad_u64_u32 v[24:25], s[2:3], v6, s36, 0
	v_add3_u32 v25, v25, v35, v27
	v_lshl_add_u64 v[22:23], v[22:23], 1, s[38:39]
	v_lshl_add_u64 v[24:25], v[24:25], 1, s[38:39]
	s_mov_b64 s[24:25], 0
	s_mov_b64 s[42:43], s[36:37]
                                        ; implicit-def: $sgpr22_sgpr23
                                        ; implicit-def: $sgpr26_sgpr27
                                        ; implicit-def: $sgpr30_sgpr31
                                        ; implicit-def: $sgpr28_sgpr29
                                        ; implicit-def: $sgpr40_sgpr41
	s_branch .LBB1361_21
.LBB1361_20:                            ;   in Loop: Header=BB1361_21 Depth=1
	s_or_b64 exec, exec, s[44:45]
	s_and_b64 s[2:3], s[2:3], s[40:41]
	s_or_b64 s[2:3], vcc, s[2:3]
	s_and_b64 s[4:5], exec, s[30:31]
	s_or_b64 s[24:25], s[4:5], s[24:25]
	s_andn2_b64 s[4:5], s[40:41], exec
	s_and_b64 s[2:3], s[2:3], exec
	s_or_b64 s[40:41], s[4:5], s[2:3]
	s_andn2_b64 s[4:5], s[26:27], exec
	s_and_b64 s[26:27], s[28:29], exec
	s_or_b64 s[26:27], s[4:5], s[26:27]
	s_andn2_b64 s[4:5], s[22:23], exec
	s_or_b64 s[22:23], s[4:5], s[2:3]
	s_andn2_b64 exec, exec, s[24:25]
	s_cbranch_execz .LBB1361_23
.LBB1361_21:                            ; =>This Inner Loop Header: Depth=1
	global_load_ushort v27, v[22:23], off
	global_load_ushort v35, v[24:25], off
	s_or_b64 s[28:29], s[28:29], exec
	s_or_b64 s[30:31], s[30:31], exec
	s_waitcnt vmcnt(0)
	v_cmp_lt_u16_e32 vcc, v27, v35
	v_cmp_le_u16_e64 s[2:3], v27, v35
	v_cmp_eq_u16_e64 s[4:5], v27, v35
	s_and_saveexec_b64 s[44:45], s[4:5]
	s_cbranch_execz .LBB1361_20
; %bb.22:                               ;   in Loop: Header=BB1361_21 Depth=1
	s_add_u32 s42, s42, -1
	s_addc_u32 s43, s43, -1
	s_cmp_eq_u64 s[42:43], 0
	s_cselect_b64 s[4:5], -1, 0
	s_andn2_b64 s[30:31], s[30:31], exec
	s_and_b64 s[4:5], s[4:5], exec
	v_lshl_add_u64 v[22:23], v[22:23], 0, 2
	v_lshl_add_u64 v[24:25], v[24:25], 0, 2
	s_andn2_b64 s[28:29], s[28:29], exec
	s_or_b64 s[30:31], s[30:31], s[4:5]
	s_branch .LBB1361_20
.LBB1361_23:
	s_or_b64 exec, exec, s[24:25]
	s_and_saveexec_b64 s[2:3], s[26:27]
	s_xor_b64 s[2:3], exec, s[2:3]
; %bb.24:
	v_cndmask_b32_e64 v23, v7, v9, s[22:23]
	v_cndmask_b32_e64 v22, v6, v8, s[22:23]
	v_cndmask_b32_e64 v9, v9, v7, s[22:23]
	v_cndmask_b32_e64 v8, v8, v6, s[22:23]
	v_mov_b64_e32 v[6:7], v[22:23]
; %bb.25:
	s_or_b64 exec, exec, s[2:3]
	v_mul_lo_u32 v24, v5, s36
	v_mul_lo_u32 v25, v4, s37
	v_mad_u64_u32 v[22:23], s[2:3], v4, s36, 0
	v_add3_u32 v23, v23, v25, v24
	v_mul_lo_u32 v27, v3, s36
	v_mul_lo_u32 v35, v2, s37
	v_mad_u64_u32 v[24:25], s[2:3], v2, s36, 0
	v_add3_u32 v25, v25, v35, v27
	v_lshl_add_u64 v[22:23], v[22:23], 1, s[38:39]
	v_lshl_add_u64 v[24:25], v[24:25], 1, s[38:39]
	s_mov_b64 s[26:27], 0
	s_mov_b64 s[42:43], s[36:37]
                                        ; implicit-def: $sgpr22_sgpr23
                                        ; implicit-def: $sgpr24_sgpr25
                                        ; implicit-def: $sgpr30_sgpr31
                                        ; implicit-def: $sgpr28_sgpr29
                                        ; implicit-def: $sgpr40_sgpr41
	s_branch .LBB1361_27
.LBB1361_26:                            ;   in Loop: Header=BB1361_27 Depth=1
	s_or_b64 exec, exec, s[44:45]
	s_and_b64 s[2:3], s[2:3], s[40:41]
	s_or_b64 s[2:3], vcc, s[2:3]
	s_and_b64 s[4:5], exec, s[30:31]
	s_or_b64 s[26:27], s[4:5], s[26:27]
	s_andn2_b64 s[4:5], s[40:41], exec
	s_and_b64 s[2:3], s[2:3], exec
	s_or_b64 s[40:41], s[4:5], s[2:3]
	s_andn2_b64 s[4:5], s[24:25], exec
	s_and_b64 s[24:25], s[28:29], exec
	s_or_b64 s[24:25], s[4:5], s[24:25]
	s_andn2_b64 s[4:5], s[22:23], exec
	s_or_b64 s[22:23], s[4:5], s[2:3]
	s_andn2_b64 exec, exec, s[26:27]
	s_cbranch_execz .LBB1361_29
.LBB1361_27:                            ; =>This Inner Loop Header: Depth=1
	global_load_ushort v27, v[22:23], off
	global_load_ushort v35, v[24:25], off
	s_or_b64 s[28:29], s[28:29], exec
	s_or_b64 s[30:31], s[30:31], exec
	s_waitcnt vmcnt(0)
	v_cmp_lt_u16_e32 vcc, v27, v35
	v_cmp_le_u16_e64 s[2:3], v27, v35
	v_cmp_eq_u16_e64 s[4:5], v27, v35
	s_and_saveexec_b64 s[44:45], s[4:5]
	s_cbranch_execz .LBB1361_26
; %bb.28:                               ;   in Loop: Header=BB1361_27 Depth=1
	s_add_u32 s42, s42, -1
	s_addc_u32 s43, s43, -1
	s_cmp_eq_u64 s[42:43], 0
	s_cselect_b64 s[4:5], -1, 0
	s_andn2_b64 s[30:31], s[30:31], exec
	s_and_b64 s[4:5], s[4:5], exec
	v_lshl_add_u64 v[22:23], v[22:23], 0, 2
	v_lshl_add_u64 v[24:25], v[24:25], 0, 2
	s_andn2_b64 s[28:29], s[28:29], exec
	s_or_b64 s[30:31], s[30:31], s[4:5]
	s_branch .LBB1361_26
.LBB1361_29:
	s_or_b64 exec, exec, s[26:27]
	s_and_saveexec_b64 s[2:3], s[24:25]
	s_xor_b64 s[2:3], exec, s[2:3]
; %bb.30:
	v_cndmask_b32_e64 v23, v3, v5, s[22:23]
	v_cndmask_b32_e64 v22, v2, v4, s[22:23]
	;; [unrolled: 1-line block ×4, first 2 shown]
	v_mov_b64_e32 v[2:3], v[22:23]
; %bb.31:
	s_or_b64 exec, exec, s[2:3]
.LBB1361_32:
	s_and_b64 vcc, exec, s[12:13]
	s_cbranch_vccz .LBB1361_46
; %bb.33:
	v_mul_lo_u32 v24, v11, s36
	v_mul_lo_u32 v25, v10, s37
	v_mad_u64_u32 v[22:23], s[2:3], v10, s36, 0
	v_add3_u32 v23, v23, v25, v24
	v_mul_lo_u32 v27, v17, s36
	v_mul_lo_u32 v35, v16, s37
	v_mad_u64_u32 v[24:25], s[2:3], v16, s36, 0
	v_add3_u32 v25, v25, v35, v27
	v_lshl_add_u64 v[22:23], v[22:23], 1, s[38:39]
	v_lshl_add_u64 v[24:25], v[24:25], 1, s[38:39]
	s_mov_b64 s[22:23], 0
	s_mov_b64 s[40:41], s[36:37]
                                        ; implicit-def: $sgpr12_sgpr13
                                        ; implicit-def: $sgpr24_sgpr25
                                        ; implicit-def: $sgpr28_sgpr29
                                        ; implicit-def: $sgpr26_sgpr27
                                        ; implicit-def: $sgpr30_sgpr31
	s_branch .LBB1361_35
.LBB1361_34:                            ;   in Loop: Header=BB1361_35 Depth=1
	s_or_b64 exec, exec, s[42:43]
	s_and_b64 s[2:3], s[2:3], s[30:31]
	s_or_b64 s[2:3], vcc, s[2:3]
	s_and_b64 s[4:5], exec, s[28:29]
	s_or_b64 s[22:23], s[4:5], s[22:23]
	s_andn2_b64 s[4:5], s[30:31], exec
	s_and_b64 s[2:3], s[2:3], exec
	s_or_b64 s[30:31], s[4:5], s[2:3]
	s_andn2_b64 s[4:5], s[24:25], exec
	s_and_b64 s[24:25], s[26:27], exec
	s_or_b64 s[24:25], s[4:5], s[24:25]
	s_andn2_b64 s[4:5], s[12:13], exec
	s_or_b64 s[12:13], s[4:5], s[2:3]
	s_andn2_b64 exec, exec, s[22:23]
	s_cbranch_execz .LBB1361_37
.LBB1361_35:                            ; =>This Inner Loop Header: Depth=1
	global_load_ushort v27, v[22:23], off
	global_load_ushort v35, v[24:25], off
	s_or_b64 s[26:27], s[26:27], exec
	s_or_b64 s[28:29], s[28:29], exec
	s_waitcnt vmcnt(0)
	v_cmp_lt_u16_e32 vcc, v27, v35
	v_cmp_le_u16_e64 s[2:3], v27, v35
	v_cmp_eq_u16_e64 s[4:5], v27, v35
	s_and_saveexec_b64 s[42:43], s[4:5]
	s_cbranch_execz .LBB1361_34
; %bb.36:                               ;   in Loop: Header=BB1361_35 Depth=1
	s_add_u32 s40, s40, -1
	s_addc_u32 s41, s41, -1
	s_cmp_eq_u64 s[40:41], 0
	s_cselect_b64 s[4:5], -1, 0
	s_andn2_b64 s[28:29], s[28:29], exec
	s_and_b64 s[4:5], s[4:5], exec
	v_lshl_add_u64 v[22:23], v[22:23], 0, 2
	v_lshl_add_u64 v[24:25], v[24:25], 0, 2
	s_andn2_b64 s[26:27], s[26:27], exec
	s_or_b64 s[28:29], s[28:29], s[4:5]
	s_branch .LBB1361_34
.LBB1361_37:
	s_or_b64 exec, exec, s[22:23]
	s_and_saveexec_b64 s[2:3], s[24:25]
	s_xor_b64 s[2:3], exec, s[2:3]
; %bb.38:
	v_cndmask_b32_e64 v23, v17, v11, s[12:13]
	v_cndmask_b32_e64 v22, v16, v10, s[12:13]
	;; [unrolled: 1-line block ×4, first 2 shown]
	v_mov_b64_e32 v[16:17], v[22:23]
; %bb.39:
	s_or_b64 exec, exec, s[2:3]
	v_mul_lo_u32 v24, v7, s36
	v_mul_lo_u32 v25, v6, s37
	v_mad_u64_u32 v[22:23], s[2:3], v6, s36, 0
	v_add3_u32 v23, v23, v25, v24
	v_mul_lo_u32 v27, v13, s36
	v_mul_lo_u32 v35, v12, s37
	v_mad_u64_u32 v[24:25], s[2:3], v12, s36, 0
	v_add3_u32 v25, v25, v35, v27
	v_lshl_add_u64 v[22:23], v[22:23], 1, s[38:39]
	v_lshl_add_u64 v[24:25], v[24:25], 1, s[38:39]
	s_mov_b64 s[24:25], 0
	s_mov_b64 s[40:41], s[36:37]
                                        ; implicit-def: $sgpr12_sgpr13
                                        ; implicit-def: $sgpr22_sgpr23
                                        ; implicit-def: $sgpr28_sgpr29
                                        ; implicit-def: $sgpr26_sgpr27
                                        ; implicit-def: $sgpr30_sgpr31
	s_branch .LBB1361_41
.LBB1361_40:                            ;   in Loop: Header=BB1361_41 Depth=1
	s_or_b64 exec, exec, s[42:43]
	s_and_b64 s[2:3], s[2:3], s[30:31]
	s_or_b64 s[2:3], vcc, s[2:3]
	s_and_b64 s[4:5], exec, s[28:29]
	s_or_b64 s[24:25], s[4:5], s[24:25]
	s_andn2_b64 s[4:5], s[30:31], exec
	s_and_b64 s[2:3], s[2:3], exec
	s_or_b64 s[30:31], s[4:5], s[2:3]
	s_andn2_b64 s[4:5], s[22:23], exec
	s_and_b64 s[22:23], s[26:27], exec
	s_or_b64 s[22:23], s[4:5], s[22:23]
	s_andn2_b64 s[4:5], s[12:13], exec
	s_or_b64 s[12:13], s[4:5], s[2:3]
	s_andn2_b64 exec, exec, s[24:25]
	s_cbranch_execz .LBB1361_43
.LBB1361_41:                            ; =>This Inner Loop Header: Depth=1
	global_load_ushort v27, v[22:23], off
	global_load_ushort v35, v[24:25], off
	s_or_b64 s[26:27], s[26:27], exec
	s_or_b64 s[28:29], s[28:29], exec
	s_waitcnt vmcnt(0)
	v_cmp_lt_u16_e32 vcc, v27, v35
	v_cmp_le_u16_e64 s[2:3], v27, v35
	v_cmp_eq_u16_e64 s[4:5], v27, v35
	s_and_saveexec_b64 s[42:43], s[4:5]
	s_cbranch_execz .LBB1361_40
; %bb.42:                               ;   in Loop: Header=BB1361_41 Depth=1
	s_add_u32 s40, s40, -1
	s_addc_u32 s41, s41, -1
	s_cmp_eq_u64 s[40:41], 0
	s_cselect_b64 s[4:5], -1, 0
	s_andn2_b64 s[28:29], s[28:29], exec
	s_and_b64 s[4:5], s[4:5], exec
	v_lshl_add_u64 v[22:23], v[22:23], 0, 2
	v_lshl_add_u64 v[24:25], v[24:25], 0, 2
	s_andn2_b64 s[26:27], s[26:27], exec
	s_or_b64 s[28:29], s[28:29], s[4:5]
	s_branch .LBB1361_40
.LBB1361_43:
	s_or_b64 exec, exec, s[24:25]
	s_and_saveexec_b64 s[2:3], s[22:23]
	s_xor_b64 s[2:3], exec, s[2:3]
; %bb.44:
	v_cndmask_b32_e64 v23, v13, v7, s[12:13]
	v_cndmask_b32_e64 v22, v12, v6, s[12:13]
	;; [unrolled: 1-line block ×4, first 2 shown]
	v_mov_b64_e32 v[12:13], v[22:23]
; %bb.45:
	s_or_b64 exec, exec, s[2:3]
.LBB1361_46:
	s_and_b64 vcc, exec, s[0:1]
	s_cbranch_vccnz .LBB1361_72
; %bb.47:
	v_mul_lo_u32 v24, v3, s36
	v_mul_lo_u32 v25, v2, s37
	v_mad_u64_u32 v[22:23], s[2:3], v2, s36, 0
	v_add3_u32 v23, v23, v25, v24
	v_mul_lo_u32 v27, v9, s36
	v_mul_lo_u32 v35, v8, s37
	v_mad_u64_u32 v[24:25], s[2:3], v8, s36, 0
	v_add3_u32 v25, v25, v35, v27
	v_lshl_add_u64 v[22:23], v[22:23], 1, s[38:39]
	v_lshl_add_u64 v[24:25], v[24:25], 1, s[38:39]
	s_mov_b64 s[22:23], 0
	s_mov_b64 s[40:41], s[36:37]
                                        ; implicit-def: $sgpr12_sgpr13
                                        ; implicit-def: $sgpr24_sgpr25
                                        ; implicit-def: $sgpr28_sgpr29
                                        ; implicit-def: $sgpr26_sgpr27
                                        ; implicit-def: $sgpr30_sgpr31
	s_branch .LBB1361_49
.LBB1361_48:                            ;   in Loop: Header=BB1361_49 Depth=1
	s_or_b64 exec, exec, s[42:43]
	s_and_b64 s[2:3], s[2:3], s[30:31]
	s_or_b64 s[2:3], vcc, s[2:3]
	s_and_b64 s[4:5], exec, s[28:29]
	s_or_b64 s[22:23], s[4:5], s[22:23]
	s_andn2_b64 s[4:5], s[30:31], exec
	s_and_b64 s[2:3], s[2:3], exec
	s_or_b64 s[30:31], s[4:5], s[2:3]
	s_andn2_b64 s[4:5], s[24:25], exec
	s_and_b64 s[24:25], s[26:27], exec
	s_or_b64 s[24:25], s[4:5], s[24:25]
	s_andn2_b64 s[4:5], s[12:13], exec
	s_or_b64 s[12:13], s[4:5], s[2:3]
	s_andn2_b64 exec, exec, s[22:23]
	s_cbranch_execz .LBB1361_51
.LBB1361_49:                            ; =>This Inner Loop Header: Depth=1
	global_load_ushort v27, v[22:23], off
	global_load_ushort v35, v[24:25], off
	s_or_b64 s[26:27], s[26:27], exec
	s_or_b64 s[28:29], s[28:29], exec
	s_waitcnt vmcnt(0)
	v_cmp_lt_u16_e32 vcc, v27, v35
	v_cmp_le_u16_e64 s[2:3], v27, v35
	v_cmp_eq_u16_e64 s[4:5], v27, v35
	s_and_saveexec_b64 s[42:43], s[4:5]
	s_cbranch_execz .LBB1361_48
; %bb.50:                               ;   in Loop: Header=BB1361_49 Depth=1
	s_add_u32 s40, s40, -1
	s_addc_u32 s41, s41, -1
	s_cmp_eq_u64 s[40:41], 0
	s_cselect_b64 s[4:5], -1, 0
	s_andn2_b64 s[28:29], s[28:29], exec
	s_and_b64 s[4:5], s[4:5], exec
	v_lshl_add_u64 v[22:23], v[22:23], 0, 2
	v_lshl_add_u64 v[24:25], v[24:25], 0, 2
	s_andn2_b64 s[26:27], s[26:27], exec
	s_or_b64 s[28:29], s[28:29], s[4:5]
	s_branch .LBB1361_48
.LBB1361_51:
	s_or_b64 exec, exec, s[22:23]
	s_and_saveexec_b64 s[2:3], s[24:25]
	s_xor_b64 s[2:3], exec, s[2:3]
; %bb.52:
	v_cndmask_b32_e64 v23, v9, v3, s[12:13]
	v_cndmask_b32_e64 v22, v8, v2, s[12:13]
	v_cndmask_b32_e64 v3, v3, v9, s[12:13]
	v_cndmask_b32_e64 v2, v2, v8, s[12:13]
	v_mov_b64_e32 v[8:9], v[22:23]
; %bb.53:
	s_or_b64 exec, exec, s[2:3]
	v_mul_lo_u32 v24, v17, s36
	v_mul_lo_u32 v25, v16, s37
	v_mad_u64_u32 v[22:23], s[2:3], v16, s36, 0
	v_add3_u32 v23, v23, v25, v24
	v_mul_lo_u32 v27, v15, s36
	v_mul_lo_u32 v35, v14, s37
	v_mad_u64_u32 v[24:25], s[2:3], v14, s36, 0
	v_add3_u32 v25, v25, v35, v27
	v_lshl_add_u64 v[22:23], v[22:23], 1, s[38:39]
	v_lshl_add_u64 v[24:25], v[24:25], 1, s[38:39]
	s_mov_b64 s[22:23], 0
	s_mov_b64 s[40:41], s[36:37]
                                        ; implicit-def: $sgpr12_sgpr13
                                        ; implicit-def: $sgpr24_sgpr25
                                        ; implicit-def: $sgpr28_sgpr29
                                        ; implicit-def: $sgpr26_sgpr27
                                        ; implicit-def: $sgpr30_sgpr31
	s_branch .LBB1361_55
.LBB1361_54:                            ;   in Loop: Header=BB1361_55 Depth=1
	s_or_b64 exec, exec, s[42:43]
	s_and_b64 s[2:3], s[2:3], s[30:31]
	s_or_b64 s[2:3], vcc, s[2:3]
	s_and_b64 s[4:5], exec, s[28:29]
	s_or_b64 s[22:23], s[4:5], s[22:23]
	s_andn2_b64 s[4:5], s[30:31], exec
	s_and_b64 s[2:3], s[2:3], exec
	s_or_b64 s[30:31], s[4:5], s[2:3]
	s_andn2_b64 s[4:5], s[24:25], exec
	s_and_b64 s[24:25], s[26:27], exec
	s_or_b64 s[24:25], s[4:5], s[24:25]
	s_andn2_b64 s[4:5], s[12:13], exec
	s_or_b64 s[12:13], s[4:5], s[2:3]
	s_andn2_b64 exec, exec, s[22:23]
	s_cbranch_execz .LBB1361_57
.LBB1361_55:                            ; =>This Inner Loop Header: Depth=1
	global_load_ushort v27, v[22:23], off
	global_load_ushort v35, v[24:25], off
	s_or_b64 s[26:27], s[26:27], exec
	s_or_b64 s[28:29], s[28:29], exec
	s_waitcnt vmcnt(0)
	v_cmp_lt_u16_e32 vcc, v27, v35
	v_cmp_le_u16_e64 s[2:3], v27, v35
	v_cmp_eq_u16_e64 s[4:5], v27, v35
	s_and_saveexec_b64 s[42:43], s[4:5]
	s_cbranch_execz .LBB1361_54
; %bb.56:                               ;   in Loop: Header=BB1361_55 Depth=1
	s_add_u32 s40, s40, -1
	s_addc_u32 s41, s41, -1
	s_cmp_eq_u64 s[40:41], 0
	s_cselect_b64 s[4:5], -1, 0
	s_andn2_b64 s[28:29], s[28:29], exec
	s_and_b64 s[4:5], s[4:5], exec
	v_lshl_add_u64 v[22:23], v[22:23], 0, 2
	v_lshl_add_u64 v[24:25], v[24:25], 0, 2
	s_andn2_b64 s[26:27], s[26:27], exec
	s_or_b64 s[28:29], s[28:29], s[4:5]
	s_branch .LBB1361_54
.LBB1361_57:
	s_or_b64 exec, exec, s[22:23]
	s_and_saveexec_b64 s[2:3], s[24:25]
	s_xor_b64 s[2:3], exec, s[2:3]
; %bb.58:
	v_cndmask_b32_e64 v23, v17, v15, s[12:13]
	v_cndmask_b32_e64 v22, v16, v14, s[12:13]
	;; [unrolled: 1-line block ×4, first 2 shown]
	v_mov_b64_e32 v[16:17], v[22:23]
; %bb.59:
	s_or_b64 exec, exec, s[2:3]
	v_mul_lo_u32 v24, v13, s36
	v_mul_lo_u32 v25, v12, s37
	v_mad_u64_u32 v[22:23], s[2:3], v12, s36, 0
	v_add3_u32 v23, v23, v25, v24
	v_mul_lo_u32 v27, v11, s36
	v_mul_lo_u32 v35, v10, s37
	v_mad_u64_u32 v[24:25], s[2:3], v10, s36, 0
	v_add3_u32 v25, v25, v35, v27
	v_lshl_add_u64 v[22:23], v[22:23], 1, s[38:39]
	v_lshl_add_u64 v[24:25], v[24:25], 1, s[38:39]
	s_mov_b64 s[22:23], 0
	s_mov_b64 s[40:41], s[36:37]
                                        ; implicit-def: $sgpr12_sgpr13
                                        ; implicit-def: $sgpr24_sgpr25
                                        ; implicit-def: $sgpr28_sgpr29
                                        ; implicit-def: $sgpr26_sgpr27
                                        ; implicit-def: $sgpr30_sgpr31
	s_branch .LBB1361_61
.LBB1361_60:                            ;   in Loop: Header=BB1361_61 Depth=1
	s_or_b64 exec, exec, s[42:43]
	s_and_b64 s[2:3], s[2:3], s[30:31]
	s_or_b64 s[2:3], vcc, s[2:3]
	s_and_b64 s[4:5], exec, s[28:29]
	s_or_b64 s[22:23], s[4:5], s[22:23]
	s_andn2_b64 s[4:5], s[30:31], exec
	s_and_b64 s[2:3], s[2:3], exec
	s_or_b64 s[30:31], s[4:5], s[2:3]
	s_andn2_b64 s[4:5], s[24:25], exec
	s_and_b64 s[24:25], s[26:27], exec
	s_or_b64 s[24:25], s[4:5], s[24:25]
	s_andn2_b64 s[4:5], s[12:13], exec
	s_or_b64 s[12:13], s[4:5], s[2:3]
	s_andn2_b64 exec, exec, s[22:23]
	s_cbranch_execz .LBB1361_63
.LBB1361_61:                            ; =>This Inner Loop Header: Depth=1
	global_load_ushort v27, v[22:23], off
	global_load_ushort v35, v[24:25], off
	s_or_b64 s[26:27], s[26:27], exec
	s_or_b64 s[28:29], s[28:29], exec
	s_waitcnt vmcnt(0)
	v_cmp_lt_u16_e32 vcc, v27, v35
	v_cmp_le_u16_e64 s[2:3], v27, v35
	v_cmp_eq_u16_e64 s[4:5], v27, v35
	s_and_saveexec_b64 s[42:43], s[4:5]
	s_cbranch_execz .LBB1361_60
; %bb.62:                               ;   in Loop: Header=BB1361_61 Depth=1
	s_add_u32 s40, s40, -1
	s_addc_u32 s41, s41, -1
	s_cmp_eq_u64 s[40:41], 0
	s_cselect_b64 s[4:5], -1, 0
	s_andn2_b64 s[28:29], s[28:29], exec
	s_and_b64 s[4:5], s[4:5], exec
	v_lshl_add_u64 v[22:23], v[22:23], 0, 2
	v_lshl_add_u64 v[24:25], v[24:25], 0, 2
	s_andn2_b64 s[26:27], s[26:27], exec
	s_or_b64 s[28:29], s[28:29], s[4:5]
	s_branch .LBB1361_60
.LBB1361_63:
	s_or_b64 exec, exec, s[22:23]
	s_and_saveexec_b64 s[2:3], s[24:25]
	s_xor_b64 s[2:3], exec, s[2:3]
; %bb.64:
	v_cndmask_b32_e64 v23, v11, v13, s[12:13]
	v_cndmask_b32_e64 v22, v10, v12, s[12:13]
	;; [unrolled: 1-line block ×4, first 2 shown]
	v_mov_b64_e32 v[10:11], v[22:23]
; %bb.65:
	s_or_b64 exec, exec, s[2:3]
	v_mul_lo_u32 v24, v9, s36
	v_mul_lo_u32 v25, v8, s37
	v_mad_u64_u32 v[22:23], s[2:3], v8, s36, 0
	v_add3_u32 v23, v23, v25, v24
	v_mul_lo_u32 v27, v7, s36
	v_mul_lo_u32 v35, v6, s37
	v_mad_u64_u32 v[24:25], s[2:3], v6, s36, 0
	v_add3_u32 v25, v25, v35, v27
	v_lshl_add_u64 v[22:23], v[22:23], 1, s[38:39]
	v_lshl_add_u64 v[24:25], v[24:25], 1, s[38:39]
	s_mov_b64 s[24:25], 0
	s_mov_b64 s[40:41], s[36:37]
                                        ; implicit-def: $sgpr12_sgpr13
                                        ; implicit-def: $sgpr22_sgpr23
                                        ; implicit-def: $sgpr28_sgpr29
                                        ; implicit-def: $sgpr26_sgpr27
                                        ; implicit-def: $sgpr30_sgpr31
	s_branch .LBB1361_67
.LBB1361_66:                            ;   in Loop: Header=BB1361_67 Depth=1
	s_or_b64 exec, exec, s[42:43]
	s_and_b64 s[2:3], s[2:3], s[30:31]
	s_or_b64 s[2:3], vcc, s[2:3]
	s_and_b64 s[4:5], exec, s[28:29]
	s_or_b64 s[24:25], s[4:5], s[24:25]
	s_andn2_b64 s[4:5], s[30:31], exec
	s_and_b64 s[2:3], s[2:3], exec
	s_or_b64 s[30:31], s[4:5], s[2:3]
	s_andn2_b64 s[4:5], s[22:23], exec
	s_and_b64 s[22:23], s[26:27], exec
	s_or_b64 s[22:23], s[4:5], s[22:23]
	s_andn2_b64 s[4:5], s[12:13], exec
	s_or_b64 s[12:13], s[4:5], s[2:3]
	s_andn2_b64 exec, exec, s[24:25]
	s_cbranch_execz .LBB1361_69
.LBB1361_67:                            ; =>This Inner Loop Header: Depth=1
	global_load_ushort v27, v[22:23], off
	global_load_ushort v35, v[24:25], off
	s_or_b64 s[26:27], s[26:27], exec
	s_or_b64 s[28:29], s[28:29], exec
	s_waitcnt vmcnt(0)
	v_cmp_lt_u16_e32 vcc, v27, v35
	v_cmp_le_u16_e64 s[2:3], v27, v35
	v_cmp_eq_u16_e64 s[4:5], v27, v35
	s_and_saveexec_b64 s[42:43], s[4:5]
	s_cbranch_execz .LBB1361_66
; %bb.68:                               ;   in Loop: Header=BB1361_67 Depth=1
	s_add_u32 s40, s40, -1
	s_addc_u32 s41, s41, -1
	s_cmp_eq_u64 s[40:41], 0
	s_cselect_b64 s[4:5], -1, 0
	s_andn2_b64 s[28:29], s[28:29], exec
	s_and_b64 s[4:5], s[4:5], exec
	v_lshl_add_u64 v[22:23], v[22:23], 0, 2
	v_lshl_add_u64 v[24:25], v[24:25], 0, 2
	s_andn2_b64 s[26:27], s[26:27], exec
	s_or_b64 s[28:29], s[28:29], s[4:5]
	s_branch .LBB1361_66
.LBB1361_69:
	s_or_b64 exec, exec, s[24:25]
	s_and_saveexec_b64 s[2:3], s[22:23]
	s_xor_b64 s[2:3], exec, s[2:3]
; %bb.70:
	v_cndmask_b32_e64 v23, v7, v9, s[12:13]
	v_cndmask_b32_e64 v22, v6, v8, s[12:13]
	;; [unrolled: 1-line block ×4, first 2 shown]
	v_mov_b64_e32 v[6:7], v[22:23]
; %bb.71:
	s_or_b64 exec, exec, s[2:3]
.LBB1361_72:
	s_and_b64 vcc, exec, s[0:1]
	s_cbranch_vccnz .LBB1361_86
; %bb.73:
	v_mul_lo_u32 v24, v5, s36
	v_mul_lo_u32 v25, v4, s37
	v_mad_u64_u32 v[22:23], s[2:3], v4, s36, 0
	v_add3_u32 v23, v23, v25, v24
	v_mul_lo_u32 v27, v3, s36
	v_mul_lo_u32 v35, v2, s37
	v_mad_u64_u32 v[24:25], s[2:3], v2, s36, 0
	v_add3_u32 v25, v25, v35, v27
	v_lshl_add_u64 v[22:23], v[22:23], 1, s[38:39]
	v_lshl_add_u64 v[24:25], v[24:25], 1, s[38:39]
	s_mov_b64 s[22:23], 0
	s_mov_b64 s[40:41], s[36:37]
                                        ; implicit-def: $sgpr12_sgpr13
                                        ; implicit-def: $sgpr24_sgpr25
                                        ; implicit-def: $sgpr28_sgpr29
                                        ; implicit-def: $sgpr26_sgpr27
                                        ; implicit-def: $sgpr30_sgpr31
	s_branch .LBB1361_75
.LBB1361_74:                            ;   in Loop: Header=BB1361_75 Depth=1
	s_or_b64 exec, exec, s[42:43]
	s_and_b64 s[2:3], s[2:3], s[30:31]
	s_or_b64 s[2:3], vcc, s[2:3]
	s_and_b64 s[4:5], exec, s[28:29]
	s_or_b64 s[22:23], s[4:5], s[22:23]
	s_andn2_b64 s[4:5], s[30:31], exec
	s_and_b64 s[2:3], s[2:3], exec
	s_or_b64 s[30:31], s[4:5], s[2:3]
	s_andn2_b64 s[4:5], s[24:25], exec
	s_and_b64 s[24:25], s[26:27], exec
	s_or_b64 s[24:25], s[4:5], s[24:25]
	s_andn2_b64 s[4:5], s[12:13], exec
	s_or_b64 s[12:13], s[4:5], s[2:3]
	s_andn2_b64 exec, exec, s[22:23]
	s_cbranch_execz .LBB1361_77
.LBB1361_75:                            ; =>This Inner Loop Header: Depth=1
	global_load_ushort v27, v[22:23], off
	global_load_ushort v35, v[24:25], off
	s_or_b64 s[26:27], s[26:27], exec
	s_or_b64 s[28:29], s[28:29], exec
	s_waitcnt vmcnt(0)
	v_cmp_lt_u16_e32 vcc, v27, v35
	v_cmp_le_u16_e64 s[2:3], v27, v35
	v_cmp_eq_u16_e64 s[4:5], v27, v35
	s_and_saveexec_b64 s[42:43], s[4:5]
	s_cbranch_execz .LBB1361_74
; %bb.76:                               ;   in Loop: Header=BB1361_75 Depth=1
	s_add_u32 s40, s40, -1
	s_addc_u32 s41, s41, -1
	s_cmp_eq_u64 s[40:41], 0
	s_cselect_b64 s[4:5], -1, 0
	s_andn2_b64 s[28:29], s[28:29], exec
	s_and_b64 s[4:5], s[4:5], exec
	v_lshl_add_u64 v[22:23], v[22:23], 0, 2
	v_lshl_add_u64 v[24:25], v[24:25], 0, 2
	s_andn2_b64 s[26:27], s[26:27], exec
	s_or_b64 s[28:29], s[28:29], s[4:5]
	s_branch .LBB1361_74
.LBB1361_77:
	s_or_b64 exec, exec, s[22:23]
	s_and_saveexec_b64 s[2:3], s[24:25]
	s_xor_b64 s[2:3], exec, s[2:3]
; %bb.78:
	v_cndmask_b32_e64 v23, v3, v5, s[12:13]
	v_cndmask_b32_e64 v22, v2, v4, s[12:13]
	;; [unrolled: 1-line block ×4, first 2 shown]
	v_mov_b64_e32 v[2:3], v[22:23]
; %bb.79:
	s_or_b64 exec, exec, s[2:3]
	v_mul_lo_u32 v24, v11, s36
	v_mul_lo_u32 v25, v10, s37
	v_mad_u64_u32 v[22:23], s[2:3], v10, s36, 0
	v_add3_u32 v23, v23, v25, v24
	v_mul_lo_u32 v27, v17, s36
	v_mul_lo_u32 v35, v16, s37
	v_mad_u64_u32 v[24:25], s[2:3], v16, s36, 0
	v_add3_u32 v25, v25, v35, v27
	v_lshl_add_u64 v[22:23], v[22:23], 1, s[38:39]
	v_lshl_add_u64 v[24:25], v[24:25], 1, s[38:39]
	s_mov_b64 s[24:25], 0
	s_mov_b64 s[40:41], s[36:37]
                                        ; implicit-def: $sgpr12_sgpr13
                                        ; implicit-def: $sgpr22_sgpr23
                                        ; implicit-def: $sgpr28_sgpr29
                                        ; implicit-def: $sgpr26_sgpr27
                                        ; implicit-def: $sgpr30_sgpr31
	s_branch .LBB1361_81
.LBB1361_80:                            ;   in Loop: Header=BB1361_81 Depth=1
	s_or_b64 exec, exec, s[42:43]
	s_and_b64 s[2:3], s[2:3], s[30:31]
	s_or_b64 s[2:3], vcc, s[2:3]
	s_and_b64 s[4:5], exec, s[28:29]
	s_or_b64 s[24:25], s[4:5], s[24:25]
	s_andn2_b64 s[4:5], s[30:31], exec
	s_and_b64 s[2:3], s[2:3], exec
	s_or_b64 s[30:31], s[4:5], s[2:3]
	s_andn2_b64 s[4:5], s[22:23], exec
	s_and_b64 s[22:23], s[26:27], exec
	s_or_b64 s[22:23], s[4:5], s[22:23]
	s_andn2_b64 s[4:5], s[12:13], exec
	s_or_b64 s[12:13], s[4:5], s[2:3]
	s_andn2_b64 exec, exec, s[24:25]
	s_cbranch_execz .LBB1361_83
.LBB1361_81:                            ; =>This Inner Loop Header: Depth=1
	global_load_ushort v27, v[22:23], off
	global_load_ushort v35, v[24:25], off
	s_or_b64 s[26:27], s[26:27], exec
	s_or_b64 s[28:29], s[28:29], exec
	s_waitcnt vmcnt(0)
	v_cmp_lt_u16_e32 vcc, v27, v35
	v_cmp_le_u16_e64 s[2:3], v27, v35
	v_cmp_eq_u16_e64 s[4:5], v27, v35
	s_and_saveexec_b64 s[42:43], s[4:5]
	s_cbranch_execz .LBB1361_80
; %bb.82:                               ;   in Loop: Header=BB1361_81 Depth=1
	s_add_u32 s40, s40, -1
	s_addc_u32 s41, s41, -1
	s_cmp_eq_u64 s[40:41], 0
	s_cselect_b64 s[4:5], -1, 0
	s_andn2_b64 s[28:29], s[28:29], exec
	s_and_b64 s[4:5], s[4:5], exec
	v_lshl_add_u64 v[22:23], v[22:23], 0, 2
	v_lshl_add_u64 v[24:25], v[24:25], 0, 2
	s_andn2_b64 s[26:27], s[26:27], exec
	s_or_b64 s[28:29], s[28:29], s[4:5]
	s_branch .LBB1361_80
.LBB1361_83:
	s_or_b64 exec, exec, s[24:25]
	s_and_saveexec_b64 s[2:3], s[22:23]
	s_xor_b64 s[2:3], exec, s[2:3]
; %bb.84:
	v_cndmask_b32_e64 v23, v17, v11, s[12:13]
	v_cndmask_b32_e64 v22, v16, v10, s[12:13]
	;; [unrolled: 1-line block ×4, first 2 shown]
	v_mov_b64_e32 v[16:17], v[22:23]
; %bb.85:
	s_or_b64 exec, exec, s[2:3]
.LBB1361_86:
	s_and_b64 vcc, exec, s[0:1]
	s_cbranch_vccnz .LBB1361_100
; %bb.87:
	v_mul_lo_u32 v24, v7, s36
	v_mul_lo_u32 v25, v6, s37
	v_mad_u64_u32 v[22:23], s[2:3], v6, s36, 0
	v_add3_u32 v23, v23, v25, v24
	v_mul_lo_u32 v27, v13, s36
	v_mul_lo_u32 v35, v12, s37
	v_mad_u64_u32 v[24:25], s[2:3], v12, s36, 0
	v_add3_u32 v25, v25, v35, v27
	v_lshl_add_u64 v[22:23], v[22:23], 1, s[38:39]
	v_lshl_add_u64 v[24:25], v[24:25], 1, s[38:39]
	s_mov_b64 s[22:23], 0
	s_mov_b64 s[40:41], s[36:37]
                                        ; implicit-def: $sgpr12_sgpr13
                                        ; implicit-def: $sgpr24_sgpr25
                                        ; implicit-def: $sgpr28_sgpr29
                                        ; implicit-def: $sgpr26_sgpr27
                                        ; implicit-def: $sgpr30_sgpr31
	s_branch .LBB1361_89
.LBB1361_88:                            ;   in Loop: Header=BB1361_89 Depth=1
	s_or_b64 exec, exec, s[42:43]
	s_and_b64 s[2:3], s[2:3], s[30:31]
	s_or_b64 s[2:3], vcc, s[2:3]
	s_and_b64 s[4:5], exec, s[28:29]
	s_or_b64 s[22:23], s[4:5], s[22:23]
	s_andn2_b64 s[4:5], s[30:31], exec
	s_and_b64 s[2:3], s[2:3], exec
	s_or_b64 s[30:31], s[4:5], s[2:3]
	s_andn2_b64 s[4:5], s[24:25], exec
	s_and_b64 s[24:25], s[26:27], exec
	s_or_b64 s[24:25], s[4:5], s[24:25]
	s_andn2_b64 s[4:5], s[12:13], exec
	s_or_b64 s[12:13], s[4:5], s[2:3]
	s_andn2_b64 exec, exec, s[22:23]
	s_cbranch_execz .LBB1361_91
.LBB1361_89:                            ; =>This Inner Loop Header: Depth=1
	global_load_ushort v27, v[22:23], off
	global_load_ushort v35, v[24:25], off
	s_or_b64 s[26:27], s[26:27], exec
	s_or_b64 s[28:29], s[28:29], exec
	s_waitcnt vmcnt(0)
	v_cmp_lt_u16_e32 vcc, v27, v35
	v_cmp_le_u16_e64 s[2:3], v27, v35
	v_cmp_eq_u16_e64 s[4:5], v27, v35
	s_and_saveexec_b64 s[42:43], s[4:5]
	s_cbranch_execz .LBB1361_88
; %bb.90:                               ;   in Loop: Header=BB1361_89 Depth=1
	s_add_u32 s40, s40, -1
	s_addc_u32 s41, s41, -1
	s_cmp_eq_u64 s[40:41], 0
	s_cselect_b64 s[4:5], -1, 0
	s_andn2_b64 s[28:29], s[28:29], exec
	s_and_b64 s[4:5], s[4:5], exec
	v_lshl_add_u64 v[22:23], v[22:23], 0, 2
	v_lshl_add_u64 v[24:25], v[24:25], 0, 2
	s_andn2_b64 s[26:27], s[26:27], exec
	s_or_b64 s[28:29], s[28:29], s[4:5]
	s_branch .LBB1361_88
.LBB1361_91:
	s_or_b64 exec, exec, s[22:23]
	s_and_saveexec_b64 s[2:3], s[24:25]
	s_xor_b64 s[2:3], exec, s[2:3]
; %bb.92:
	v_cndmask_b32_e64 v23, v13, v7, s[12:13]
	v_cndmask_b32_e64 v22, v12, v6, s[12:13]
	v_cndmask_b32_e64 v7, v7, v13, s[12:13]
	v_cndmask_b32_e64 v6, v6, v12, s[12:13]
	v_mov_b64_e32 v[12:13], v[22:23]
; %bb.93:
	s_or_b64 exec, exec, s[2:3]
	v_mul_lo_u32 v24, v3, s36
	v_mul_lo_u32 v25, v2, s37
	v_mad_u64_u32 v[22:23], s[2:3], v2, s36, 0
	v_add3_u32 v23, v23, v25, v24
	v_mul_lo_u32 v27, v9, s36
	v_mul_lo_u32 v35, v8, s37
	v_mad_u64_u32 v[24:25], s[2:3], v8, s36, 0
	v_add3_u32 v25, v25, v35, v27
	v_lshl_add_u64 v[22:23], v[22:23], 1, s[38:39]
	v_lshl_add_u64 v[24:25], v[24:25], 1, s[38:39]
	s_mov_b64 s[24:25], 0
	s_mov_b64 s[40:41], s[36:37]
                                        ; implicit-def: $sgpr12_sgpr13
                                        ; implicit-def: $sgpr22_sgpr23
                                        ; implicit-def: $sgpr28_sgpr29
                                        ; implicit-def: $sgpr26_sgpr27
                                        ; implicit-def: $sgpr30_sgpr31
	s_branch .LBB1361_95
.LBB1361_94:                            ;   in Loop: Header=BB1361_95 Depth=1
	s_or_b64 exec, exec, s[42:43]
	s_and_b64 s[2:3], s[2:3], s[30:31]
	s_or_b64 s[2:3], vcc, s[2:3]
	s_and_b64 s[4:5], exec, s[28:29]
	s_or_b64 s[24:25], s[4:5], s[24:25]
	s_andn2_b64 s[4:5], s[30:31], exec
	s_and_b64 s[2:3], s[2:3], exec
	s_or_b64 s[30:31], s[4:5], s[2:3]
	s_andn2_b64 s[4:5], s[22:23], exec
	s_and_b64 s[22:23], s[26:27], exec
	s_or_b64 s[22:23], s[4:5], s[22:23]
	s_andn2_b64 s[4:5], s[12:13], exec
	s_or_b64 s[12:13], s[4:5], s[2:3]
	s_andn2_b64 exec, exec, s[24:25]
	s_cbranch_execz .LBB1361_97
.LBB1361_95:                            ; =>This Inner Loop Header: Depth=1
	global_load_ushort v27, v[22:23], off
	global_load_ushort v35, v[24:25], off
	s_or_b64 s[26:27], s[26:27], exec
	s_or_b64 s[28:29], s[28:29], exec
	s_waitcnt vmcnt(0)
	v_cmp_lt_u16_e32 vcc, v27, v35
	v_cmp_le_u16_e64 s[2:3], v27, v35
	v_cmp_eq_u16_e64 s[4:5], v27, v35
	s_and_saveexec_b64 s[42:43], s[4:5]
	s_cbranch_execz .LBB1361_94
; %bb.96:                               ;   in Loop: Header=BB1361_95 Depth=1
	s_add_u32 s40, s40, -1
	s_addc_u32 s41, s41, -1
	s_cmp_eq_u64 s[40:41], 0
	s_cselect_b64 s[4:5], -1, 0
	s_andn2_b64 s[28:29], s[28:29], exec
	s_and_b64 s[4:5], s[4:5], exec
	v_lshl_add_u64 v[22:23], v[22:23], 0, 2
	v_lshl_add_u64 v[24:25], v[24:25], 0, 2
	s_andn2_b64 s[26:27], s[26:27], exec
	s_or_b64 s[28:29], s[28:29], s[4:5]
	s_branch .LBB1361_94
.LBB1361_97:
	s_or_b64 exec, exec, s[24:25]
	s_and_saveexec_b64 s[2:3], s[22:23]
	s_xor_b64 s[2:3], exec, s[2:3]
; %bb.98:
	v_cndmask_b32_e64 v23, v9, v3, s[12:13]
	v_cndmask_b32_e64 v22, v8, v2, s[12:13]
	;; [unrolled: 1-line block ×4, first 2 shown]
	v_mov_b64_e32 v[8:9], v[22:23]
; %bb.99:
	s_or_b64 exec, exec, s[2:3]
.LBB1361_100:
	s_and_b64 vcc, exec, s[0:1]
	s_cbranch_vccnz .LBB1361_114
; %bb.101:
	v_mul_lo_u32 v24, v17, s36
	v_mul_lo_u32 v25, v16, s37
	v_mad_u64_u32 v[22:23], s[2:3], v16, s36, 0
	v_add3_u32 v23, v23, v25, v24
	v_mul_lo_u32 v27, v15, s36
	v_mul_lo_u32 v35, v14, s37
	v_mad_u64_u32 v[24:25], s[2:3], v14, s36, 0
	v_add3_u32 v25, v25, v35, v27
	v_lshl_add_u64 v[22:23], v[22:23], 1, s[38:39]
	v_lshl_add_u64 v[24:25], v[24:25], 1, s[38:39]
	s_mov_b64 s[22:23], 0
	s_mov_b64 s[40:41], s[36:37]
                                        ; implicit-def: $sgpr12_sgpr13
                                        ; implicit-def: $sgpr24_sgpr25
                                        ; implicit-def: $sgpr28_sgpr29
                                        ; implicit-def: $sgpr26_sgpr27
                                        ; implicit-def: $sgpr30_sgpr31
	s_branch .LBB1361_103
.LBB1361_102:                           ;   in Loop: Header=BB1361_103 Depth=1
	s_or_b64 exec, exec, s[42:43]
	s_and_b64 s[2:3], s[2:3], s[30:31]
	s_or_b64 s[2:3], vcc, s[2:3]
	s_and_b64 s[4:5], exec, s[28:29]
	s_or_b64 s[22:23], s[4:5], s[22:23]
	s_andn2_b64 s[4:5], s[30:31], exec
	s_and_b64 s[2:3], s[2:3], exec
	s_or_b64 s[30:31], s[4:5], s[2:3]
	s_andn2_b64 s[4:5], s[24:25], exec
	s_and_b64 s[24:25], s[26:27], exec
	s_or_b64 s[24:25], s[4:5], s[24:25]
	s_andn2_b64 s[4:5], s[12:13], exec
	s_or_b64 s[12:13], s[4:5], s[2:3]
	s_andn2_b64 exec, exec, s[22:23]
	s_cbranch_execz .LBB1361_105
.LBB1361_103:                           ; =>This Inner Loop Header: Depth=1
	global_load_ushort v27, v[22:23], off
	global_load_ushort v35, v[24:25], off
	s_or_b64 s[26:27], s[26:27], exec
	s_or_b64 s[28:29], s[28:29], exec
	s_waitcnt vmcnt(0)
	v_cmp_lt_u16_e32 vcc, v27, v35
	v_cmp_le_u16_e64 s[2:3], v27, v35
	v_cmp_eq_u16_e64 s[4:5], v27, v35
	s_and_saveexec_b64 s[42:43], s[4:5]
	s_cbranch_execz .LBB1361_102
; %bb.104:                              ;   in Loop: Header=BB1361_103 Depth=1
	s_add_u32 s40, s40, -1
	s_addc_u32 s41, s41, -1
	s_cmp_eq_u64 s[40:41], 0
	s_cselect_b64 s[4:5], -1, 0
	s_andn2_b64 s[28:29], s[28:29], exec
	s_and_b64 s[4:5], s[4:5], exec
	v_lshl_add_u64 v[22:23], v[22:23], 0, 2
	v_lshl_add_u64 v[24:25], v[24:25], 0, 2
	s_andn2_b64 s[26:27], s[26:27], exec
	s_or_b64 s[28:29], s[28:29], s[4:5]
	s_branch .LBB1361_102
.LBB1361_105:
	s_or_b64 exec, exec, s[22:23]
	s_and_saveexec_b64 s[2:3], s[24:25]
	s_xor_b64 s[2:3], exec, s[2:3]
; %bb.106:
	v_cndmask_b32_e64 v23, v17, v15, s[12:13]
	v_cndmask_b32_e64 v22, v16, v14, s[12:13]
	;; [unrolled: 1-line block ×4, first 2 shown]
	v_mov_b64_e32 v[16:17], v[22:23]
; %bb.107:
	s_or_b64 exec, exec, s[2:3]
	v_mul_lo_u32 v24, v13, s36
	v_mul_lo_u32 v25, v12, s37
	v_mad_u64_u32 v[22:23], s[2:3], v12, s36, 0
	v_add3_u32 v23, v23, v25, v24
	v_mul_lo_u32 v27, v11, s36
	v_mul_lo_u32 v35, v10, s37
	v_mad_u64_u32 v[24:25], s[2:3], v10, s36, 0
	v_add3_u32 v25, v25, v35, v27
	v_lshl_add_u64 v[22:23], v[22:23], 1, s[38:39]
	v_lshl_add_u64 v[24:25], v[24:25], 1, s[38:39]
	s_mov_b64 s[24:25], 0
	s_mov_b64 s[40:41], s[36:37]
                                        ; implicit-def: $sgpr12_sgpr13
                                        ; implicit-def: $sgpr22_sgpr23
                                        ; implicit-def: $sgpr28_sgpr29
                                        ; implicit-def: $sgpr26_sgpr27
                                        ; implicit-def: $sgpr30_sgpr31
	s_branch .LBB1361_109
.LBB1361_108:                           ;   in Loop: Header=BB1361_109 Depth=1
	s_or_b64 exec, exec, s[42:43]
	s_and_b64 s[2:3], s[2:3], s[30:31]
	s_or_b64 s[2:3], vcc, s[2:3]
	s_and_b64 s[4:5], exec, s[28:29]
	s_or_b64 s[24:25], s[4:5], s[24:25]
	s_andn2_b64 s[4:5], s[30:31], exec
	s_and_b64 s[2:3], s[2:3], exec
	s_or_b64 s[30:31], s[4:5], s[2:3]
	s_andn2_b64 s[4:5], s[22:23], exec
	s_and_b64 s[22:23], s[26:27], exec
	s_or_b64 s[22:23], s[4:5], s[22:23]
	s_andn2_b64 s[4:5], s[12:13], exec
	s_or_b64 s[12:13], s[4:5], s[2:3]
	s_andn2_b64 exec, exec, s[24:25]
	s_cbranch_execz .LBB1361_111
.LBB1361_109:                           ; =>This Inner Loop Header: Depth=1
	global_load_ushort v27, v[22:23], off
	global_load_ushort v35, v[24:25], off
	s_or_b64 s[26:27], s[26:27], exec
	s_or_b64 s[28:29], s[28:29], exec
	s_waitcnt vmcnt(0)
	v_cmp_lt_u16_e32 vcc, v27, v35
	v_cmp_le_u16_e64 s[2:3], v27, v35
	v_cmp_eq_u16_e64 s[4:5], v27, v35
	s_and_saveexec_b64 s[42:43], s[4:5]
	s_cbranch_execz .LBB1361_108
; %bb.110:                              ;   in Loop: Header=BB1361_109 Depth=1
	s_add_u32 s40, s40, -1
	s_addc_u32 s41, s41, -1
	s_cmp_eq_u64 s[40:41], 0
	s_cselect_b64 s[4:5], -1, 0
	s_andn2_b64 s[28:29], s[28:29], exec
	s_and_b64 s[4:5], s[4:5], exec
	v_lshl_add_u64 v[22:23], v[22:23], 0, 2
	v_lshl_add_u64 v[24:25], v[24:25], 0, 2
	s_andn2_b64 s[26:27], s[26:27], exec
	s_or_b64 s[28:29], s[28:29], s[4:5]
	s_branch .LBB1361_108
.LBB1361_111:
	s_or_b64 exec, exec, s[24:25]
	s_and_saveexec_b64 s[2:3], s[22:23]
	s_xor_b64 s[2:3], exec, s[2:3]
; %bb.112:
	v_cndmask_b32_e64 v23, v11, v13, s[12:13]
	v_cndmask_b32_e64 v22, v10, v12, s[12:13]
	;; [unrolled: 1-line block ×4, first 2 shown]
	v_mov_b64_e32 v[10:11], v[22:23]
; %bb.113:
	s_or_b64 exec, exec, s[2:3]
.LBB1361_114:
	s_and_b64 vcc, exec, s[0:1]
	s_cbranch_vccnz .LBB1361_188
; %bb.115:
	v_mul_lo_u32 v24, v9, s36
	v_mul_lo_u32 v25, v8, s37
	v_mad_u64_u32 v[22:23], s[2:3], v8, s36, 0
	v_add3_u32 v23, v23, v25, v24
	v_mul_lo_u32 v27, v7, s36
	v_mul_lo_u32 v35, v6, s37
	v_mad_u64_u32 v[24:25], s[2:3], v6, s36, 0
	v_add3_u32 v25, v25, v35, v27
	v_lshl_add_u64 v[22:23], v[22:23], 1, s[38:39]
	v_lshl_add_u64 v[24:25], v[24:25], 1, s[38:39]
	s_mov_b64 s[22:23], 0
	s_mov_b64 s[40:41], s[36:37]
                                        ; implicit-def: $sgpr12_sgpr13
                                        ; implicit-def: $sgpr24_sgpr25
                                        ; implicit-def: $sgpr28_sgpr29
                                        ; implicit-def: $sgpr26_sgpr27
                                        ; implicit-def: $sgpr30_sgpr31
	s_branch .LBB1361_117
.LBB1361_116:                           ;   in Loop: Header=BB1361_117 Depth=1
	s_or_b64 exec, exec, s[42:43]
	s_and_b64 s[2:3], s[2:3], s[30:31]
	s_or_b64 s[2:3], vcc, s[2:3]
	s_and_b64 s[4:5], exec, s[28:29]
	s_or_b64 s[22:23], s[4:5], s[22:23]
	s_andn2_b64 s[4:5], s[30:31], exec
	s_and_b64 s[2:3], s[2:3], exec
	s_or_b64 s[30:31], s[4:5], s[2:3]
	s_andn2_b64 s[4:5], s[24:25], exec
	s_and_b64 s[24:25], s[26:27], exec
	s_or_b64 s[24:25], s[4:5], s[24:25]
	s_andn2_b64 s[4:5], s[12:13], exec
	s_or_b64 s[12:13], s[4:5], s[2:3]
	s_andn2_b64 exec, exec, s[22:23]
	s_cbranch_execz .LBB1361_119
.LBB1361_117:                           ; =>This Inner Loop Header: Depth=1
	global_load_ushort v27, v[22:23], off
	global_load_ushort v35, v[24:25], off
	s_or_b64 s[26:27], s[26:27], exec
	s_or_b64 s[28:29], s[28:29], exec
	s_waitcnt vmcnt(0)
	v_cmp_lt_u16_e32 vcc, v27, v35
	v_cmp_le_u16_e64 s[2:3], v27, v35
	v_cmp_eq_u16_e64 s[4:5], v27, v35
	s_and_saveexec_b64 s[42:43], s[4:5]
	s_cbranch_execz .LBB1361_116
; %bb.118:                              ;   in Loop: Header=BB1361_117 Depth=1
	s_add_u32 s40, s40, -1
	s_addc_u32 s41, s41, -1
	s_cmp_eq_u64 s[40:41], 0
	s_cselect_b64 s[4:5], -1, 0
	s_andn2_b64 s[28:29], s[28:29], exec
	s_and_b64 s[4:5], s[4:5], exec
	v_lshl_add_u64 v[22:23], v[22:23], 0, 2
	v_lshl_add_u64 v[24:25], v[24:25], 0, 2
	s_andn2_b64 s[26:27], s[26:27], exec
	s_or_b64 s[28:29], s[28:29], s[4:5]
	s_branch .LBB1361_116
.LBB1361_119:
	s_or_b64 exec, exec, s[22:23]
	s_and_saveexec_b64 s[2:3], s[24:25]
	s_xor_b64 s[2:3], exec, s[2:3]
; %bb.120:
	v_cndmask_b32_e64 v23, v7, v9, s[12:13]
	v_cndmask_b32_e64 v22, v6, v8, s[12:13]
	;; [unrolled: 1-line block ×4, first 2 shown]
	v_mov_b64_e32 v[6:7], v[22:23]
; %bb.121:
	s_or_b64 exec, exec, s[2:3]
	v_mul_lo_u32 v24, v5, s36
	v_mul_lo_u32 v25, v4, s37
	v_mad_u64_u32 v[22:23], s[2:3], v4, s36, 0
	v_add3_u32 v23, v23, v25, v24
	v_mul_lo_u32 v27, v3, s36
	v_mul_lo_u32 v35, v2, s37
	v_mad_u64_u32 v[24:25], s[2:3], v2, s36, 0
	v_add3_u32 v25, v25, v35, v27
	v_lshl_add_u64 v[22:23], v[22:23], 1, s[38:39]
	v_lshl_add_u64 v[24:25], v[24:25], 1, s[38:39]
	s_mov_b64 s[22:23], 0
	s_mov_b64 s[40:41], s[36:37]
                                        ; implicit-def: $sgpr12_sgpr13
                                        ; implicit-def: $sgpr24_sgpr25
                                        ; implicit-def: $sgpr28_sgpr29
                                        ; implicit-def: $sgpr26_sgpr27
                                        ; implicit-def: $sgpr30_sgpr31
	s_branch .LBB1361_123
.LBB1361_122:                           ;   in Loop: Header=BB1361_123 Depth=1
	s_or_b64 exec, exec, s[42:43]
	s_and_b64 s[2:3], s[2:3], s[30:31]
	s_or_b64 s[2:3], vcc, s[2:3]
	s_and_b64 s[4:5], exec, s[28:29]
	s_or_b64 s[22:23], s[4:5], s[22:23]
	s_andn2_b64 s[4:5], s[30:31], exec
	s_and_b64 s[2:3], s[2:3], exec
	s_or_b64 s[30:31], s[4:5], s[2:3]
	s_andn2_b64 s[4:5], s[24:25], exec
	s_and_b64 s[24:25], s[26:27], exec
	s_or_b64 s[24:25], s[4:5], s[24:25]
	s_andn2_b64 s[4:5], s[12:13], exec
	s_or_b64 s[12:13], s[4:5], s[2:3]
	s_andn2_b64 exec, exec, s[22:23]
	s_cbranch_execz .LBB1361_125
.LBB1361_123:                           ; =>This Inner Loop Header: Depth=1
	global_load_ushort v27, v[22:23], off
	global_load_ushort v35, v[24:25], off
	s_or_b64 s[26:27], s[26:27], exec
	s_or_b64 s[28:29], s[28:29], exec
	s_waitcnt vmcnt(0)
	v_cmp_lt_u16_e32 vcc, v27, v35
	v_cmp_le_u16_e64 s[2:3], v27, v35
	v_cmp_eq_u16_e64 s[4:5], v27, v35
	s_and_saveexec_b64 s[42:43], s[4:5]
	s_cbranch_execz .LBB1361_122
; %bb.124:                              ;   in Loop: Header=BB1361_123 Depth=1
	s_add_u32 s40, s40, -1
	s_addc_u32 s41, s41, -1
	s_cmp_eq_u64 s[40:41], 0
	s_cselect_b64 s[4:5], -1, 0
	s_andn2_b64 s[28:29], s[28:29], exec
	s_and_b64 s[4:5], s[4:5], exec
	v_lshl_add_u64 v[22:23], v[22:23], 0, 2
	v_lshl_add_u64 v[24:25], v[24:25], 0, 2
	s_andn2_b64 s[26:27], s[26:27], exec
	s_or_b64 s[28:29], s[28:29], s[4:5]
	s_branch .LBB1361_122
.LBB1361_125:
	s_or_b64 exec, exec, s[22:23]
	s_and_saveexec_b64 s[2:3], s[24:25]
	s_xor_b64 s[2:3], exec, s[2:3]
; %bb.126:
	v_cndmask_b32_e64 v23, v3, v5, s[12:13]
	v_cndmask_b32_e64 v22, v2, v4, s[12:13]
	;; [unrolled: 1-line block ×4, first 2 shown]
	v_mov_b64_e32 v[2:3], v[22:23]
; %bb.127:
	s_or_b64 exec, exec, s[2:3]
	v_mul_lo_u32 v24, v11, s36
	v_mul_lo_u32 v25, v10, s37
	v_mad_u64_u32 v[22:23], s[2:3], v10, s36, 0
	v_add3_u32 v23, v23, v25, v24
	v_mul_lo_u32 v27, v17, s36
	v_mul_lo_u32 v35, v16, s37
	v_mad_u64_u32 v[24:25], s[2:3], v16, s36, 0
	v_add3_u32 v25, v25, v35, v27
	v_lshl_add_u64 v[22:23], v[22:23], 1, s[38:39]
	v_lshl_add_u64 v[24:25], v[24:25], 1, s[38:39]
	s_mov_b64 s[22:23], 0
	s_mov_b64 s[40:41], s[36:37]
                                        ; implicit-def: $sgpr12_sgpr13
                                        ; implicit-def: $sgpr24_sgpr25
                                        ; implicit-def: $sgpr28_sgpr29
                                        ; implicit-def: $sgpr26_sgpr27
                                        ; implicit-def: $sgpr30_sgpr31
	s_branch .LBB1361_129
.LBB1361_128:                           ;   in Loop: Header=BB1361_129 Depth=1
	s_or_b64 exec, exec, s[42:43]
	s_and_b64 s[2:3], s[2:3], s[30:31]
	s_or_b64 s[2:3], vcc, s[2:3]
	s_and_b64 s[4:5], exec, s[28:29]
	s_or_b64 s[22:23], s[4:5], s[22:23]
	s_andn2_b64 s[4:5], s[30:31], exec
	s_and_b64 s[2:3], s[2:3], exec
	s_or_b64 s[30:31], s[4:5], s[2:3]
	s_andn2_b64 s[4:5], s[24:25], exec
	s_and_b64 s[24:25], s[26:27], exec
	s_or_b64 s[24:25], s[4:5], s[24:25]
	s_andn2_b64 s[4:5], s[12:13], exec
	s_or_b64 s[12:13], s[4:5], s[2:3]
	s_andn2_b64 exec, exec, s[22:23]
	s_cbranch_execz .LBB1361_131
.LBB1361_129:                           ; =>This Inner Loop Header: Depth=1
	global_load_ushort v27, v[22:23], off
	global_load_ushort v35, v[24:25], off
	s_or_b64 s[26:27], s[26:27], exec
	s_or_b64 s[28:29], s[28:29], exec
	s_waitcnt vmcnt(0)
	v_cmp_lt_u16_e32 vcc, v27, v35
	v_cmp_le_u16_e64 s[2:3], v27, v35
	v_cmp_eq_u16_e64 s[4:5], v27, v35
	s_and_saveexec_b64 s[42:43], s[4:5]
	s_cbranch_execz .LBB1361_128
; %bb.130:                              ;   in Loop: Header=BB1361_129 Depth=1
	s_add_u32 s40, s40, -1
	s_addc_u32 s41, s41, -1
	s_cmp_eq_u64 s[40:41], 0
	s_cselect_b64 s[4:5], -1, 0
	s_andn2_b64 s[28:29], s[28:29], exec
	s_and_b64 s[4:5], s[4:5], exec
	v_lshl_add_u64 v[22:23], v[22:23], 0, 2
	v_lshl_add_u64 v[24:25], v[24:25], 0, 2
	s_andn2_b64 s[26:27], s[26:27], exec
	s_or_b64 s[28:29], s[28:29], s[4:5]
	s_branch .LBB1361_128
.LBB1361_131:
	s_or_b64 exec, exec, s[22:23]
	s_and_saveexec_b64 s[2:3], s[24:25]
	s_xor_b64 s[2:3], exec, s[2:3]
; %bb.132:
	v_cndmask_b32_e64 v23, v17, v11, s[12:13]
	v_cndmask_b32_e64 v22, v16, v10, s[12:13]
	;; [unrolled: 1-line block ×4, first 2 shown]
	v_mov_b64_e32 v[16:17], v[22:23]
; %bb.133:
	s_or_b64 exec, exec, s[2:3]
	v_mul_lo_u32 v24, v7, s36
	v_mul_lo_u32 v25, v6, s37
	v_mad_u64_u32 v[22:23], s[2:3], v6, s36, 0
	v_add3_u32 v23, v23, v25, v24
	v_mul_lo_u32 v27, v13, s36
	v_mul_lo_u32 v35, v12, s37
	v_mad_u64_u32 v[24:25], s[2:3], v12, s36, 0
	v_add3_u32 v25, v25, v35, v27
	v_lshl_add_u64 v[22:23], v[22:23], 1, s[38:39]
	v_lshl_add_u64 v[24:25], v[24:25], 1, s[38:39]
	s_mov_b64 s[22:23], 0
	s_mov_b64 s[40:41], s[36:37]
                                        ; implicit-def: $sgpr12_sgpr13
                                        ; implicit-def: $sgpr24_sgpr25
                                        ; implicit-def: $sgpr28_sgpr29
                                        ; implicit-def: $sgpr26_sgpr27
                                        ; implicit-def: $sgpr30_sgpr31
	s_branch .LBB1361_135
.LBB1361_134:                           ;   in Loop: Header=BB1361_135 Depth=1
	s_or_b64 exec, exec, s[42:43]
	s_and_b64 s[2:3], s[2:3], s[30:31]
	s_or_b64 s[2:3], vcc, s[2:3]
	s_and_b64 s[4:5], exec, s[28:29]
	s_or_b64 s[22:23], s[4:5], s[22:23]
	s_andn2_b64 s[4:5], s[30:31], exec
	s_and_b64 s[2:3], s[2:3], exec
	s_or_b64 s[30:31], s[4:5], s[2:3]
	s_andn2_b64 s[4:5], s[24:25], exec
	s_and_b64 s[24:25], s[26:27], exec
	s_or_b64 s[24:25], s[4:5], s[24:25]
	s_andn2_b64 s[4:5], s[12:13], exec
	s_or_b64 s[12:13], s[4:5], s[2:3]
	s_andn2_b64 exec, exec, s[22:23]
	s_cbranch_execz .LBB1361_137
.LBB1361_135:                           ; =>This Inner Loop Header: Depth=1
	global_load_ushort v27, v[22:23], off
	global_load_ushort v35, v[24:25], off
	s_or_b64 s[26:27], s[26:27], exec
	s_or_b64 s[28:29], s[28:29], exec
	s_waitcnt vmcnt(0)
	v_cmp_lt_u16_e32 vcc, v27, v35
	v_cmp_le_u16_e64 s[2:3], v27, v35
	v_cmp_eq_u16_e64 s[4:5], v27, v35
	s_and_saveexec_b64 s[42:43], s[4:5]
	s_cbranch_execz .LBB1361_134
; %bb.136:                              ;   in Loop: Header=BB1361_135 Depth=1
	s_add_u32 s40, s40, -1
	s_addc_u32 s41, s41, -1
	s_cmp_eq_u64 s[40:41], 0
	s_cselect_b64 s[4:5], -1, 0
	s_andn2_b64 s[28:29], s[28:29], exec
	s_and_b64 s[4:5], s[4:5], exec
	v_lshl_add_u64 v[22:23], v[22:23], 0, 2
	v_lshl_add_u64 v[24:25], v[24:25], 0, 2
	s_andn2_b64 s[26:27], s[26:27], exec
	s_or_b64 s[28:29], s[28:29], s[4:5]
	s_branch .LBB1361_134
.LBB1361_137:
	s_or_b64 exec, exec, s[22:23]
	s_and_saveexec_b64 s[2:3], s[24:25]
	s_xor_b64 s[2:3], exec, s[2:3]
; %bb.138:
	v_cndmask_b32_e64 v23, v13, v7, s[12:13]
	v_cndmask_b32_e64 v22, v12, v6, s[12:13]
	;; [unrolled: 1-line block ×4, first 2 shown]
	v_mov_b64_e32 v[12:13], v[22:23]
; %bb.139:
	s_or_b64 exec, exec, s[2:3]
	v_mul_lo_u32 v24, v3, s36
	v_mul_lo_u32 v25, v2, s37
	v_mad_u64_u32 v[22:23], s[2:3], v2, s36, 0
	v_add3_u32 v23, v23, v25, v24
	v_mul_lo_u32 v27, v9, s36
	v_mul_lo_u32 v35, v8, s37
	v_mad_u64_u32 v[24:25], s[2:3], v8, s36, 0
	v_add3_u32 v25, v25, v35, v27
	v_lshl_add_u64 v[22:23], v[22:23], 1, s[38:39]
	v_lshl_add_u64 v[24:25], v[24:25], 1, s[38:39]
	s_mov_b64 s[22:23], 0
	s_mov_b64 s[40:41], s[36:37]
                                        ; implicit-def: $sgpr12_sgpr13
                                        ; implicit-def: $sgpr24_sgpr25
                                        ; implicit-def: $sgpr28_sgpr29
                                        ; implicit-def: $sgpr26_sgpr27
                                        ; implicit-def: $sgpr30_sgpr31
	s_branch .LBB1361_141
.LBB1361_140:                           ;   in Loop: Header=BB1361_141 Depth=1
	s_or_b64 exec, exec, s[42:43]
	s_and_b64 s[2:3], s[2:3], s[30:31]
	s_or_b64 s[2:3], vcc, s[2:3]
	s_and_b64 s[4:5], exec, s[28:29]
	s_or_b64 s[22:23], s[4:5], s[22:23]
	s_andn2_b64 s[4:5], s[30:31], exec
	s_and_b64 s[2:3], s[2:3], exec
	s_or_b64 s[30:31], s[4:5], s[2:3]
	s_andn2_b64 s[4:5], s[24:25], exec
	s_and_b64 s[24:25], s[26:27], exec
	s_or_b64 s[24:25], s[4:5], s[24:25]
	s_andn2_b64 s[4:5], s[12:13], exec
	s_or_b64 s[12:13], s[4:5], s[2:3]
	s_andn2_b64 exec, exec, s[22:23]
	s_cbranch_execz .LBB1361_143
.LBB1361_141:                           ; =>This Inner Loop Header: Depth=1
	global_load_ushort v27, v[22:23], off
	global_load_ushort v35, v[24:25], off
	s_or_b64 s[26:27], s[26:27], exec
	s_or_b64 s[28:29], s[28:29], exec
	s_waitcnt vmcnt(0)
	v_cmp_lt_u16_e32 vcc, v27, v35
	v_cmp_le_u16_e64 s[2:3], v27, v35
	v_cmp_eq_u16_e64 s[4:5], v27, v35
	s_and_saveexec_b64 s[42:43], s[4:5]
	s_cbranch_execz .LBB1361_140
; %bb.142:                              ;   in Loop: Header=BB1361_141 Depth=1
	s_add_u32 s40, s40, -1
	s_addc_u32 s41, s41, -1
	s_cmp_eq_u64 s[40:41], 0
	s_cselect_b64 s[4:5], -1, 0
	s_andn2_b64 s[28:29], s[28:29], exec
	s_and_b64 s[4:5], s[4:5], exec
	v_lshl_add_u64 v[22:23], v[22:23], 0, 2
	v_lshl_add_u64 v[24:25], v[24:25], 0, 2
	s_andn2_b64 s[26:27], s[26:27], exec
	s_or_b64 s[28:29], s[28:29], s[4:5]
	s_branch .LBB1361_140
.LBB1361_143:
	s_or_b64 exec, exec, s[22:23]
	s_and_saveexec_b64 s[2:3], s[24:25]
	s_xor_b64 s[2:3], exec, s[2:3]
; %bb.144:
	v_cndmask_b32_e64 v23, v9, v3, s[12:13]
	v_cndmask_b32_e64 v22, v8, v2, s[12:13]
	;; [unrolled: 1-line block ×4, first 2 shown]
	v_mov_b64_e32 v[8:9], v[22:23]
; %bb.145:
	s_or_b64 exec, exec, s[2:3]
	v_mul_lo_u32 v24, v17, s36
	v_mul_lo_u32 v25, v16, s37
	v_mad_u64_u32 v[22:23], s[2:3], v16, s36, 0
	v_add3_u32 v23, v23, v25, v24
	v_mul_lo_u32 v27, v15, s36
	v_mul_lo_u32 v35, v14, s37
	v_mad_u64_u32 v[24:25], s[2:3], v14, s36, 0
	v_add3_u32 v25, v25, v35, v27
	v_lshl_add_u64 v[22:23], v[22:23], 1, s[38:39]
	v_lshl_add_u64 v[24:25], v[24:25], 1, s[38:39]
	s_mov_b64 s[22:23], 0
	s_mov_b64 s[40:41], s[36:37]
                                        ; implicit-def: $sgpr12_sgpr13
                                        ; implicit-def: $sgpr24_sgpr25
                                        ; implicit-def: $sgpr28_sgpr29
                                        ; implicit-def: $sgpr26_sgpr27
                                        ; implicit-def: $sgpr30_sgpr31
	s_branch .LBB1361_147
.LBB1361_146:                           ;   in Loop: Header=BB1361_147 Depth=1
	s_or_b64 exec, exec, s[42:43]
	s_and_b64 s[2:3], s[2:3], s[30:31]
	s_or_b64 s[2:3], vcc, s[2:3]
	s_and_b64 s[4:5], exec, s[28:29]
	s_or_b64 s[22:23], s[4:5], s[22:23]
	s_andn2_b64 s[4:5], s[30:31], exec
	s_and_b64 s[2:3], s[2:3], exec
	s_or_b64 s[30:31], s[4:5], s[2:3]
	s_andn2_b64 s[4:5], s[24:25], exec
	s_and_b64 s[24:25], s[26:27], exec
	s_or_b64 s[24:25], s[4:5], s[24:25]
	s_andn2_b64 s[4:5], s[12:13], exec
	s_or_b64 s[12:13], s[4:5], s[2:3]
	s_andn2_b64 exec, exec, s[22:23]
	s_cbranch_execz .LBB1361_149
.LBB1361_147:                           ; =>This Inner Loop Header: Depth=1
	global_load_ushort v27, v[22:23], off
	global_load_ushort v35, v[24:25], off
	s_or_b64 s[26:27], s[26:27], exec
	s_or_b64 s[28:29], s[28:29], exec
	s_waitcnt vmcnt(0)
	v_cmp_lt_u16_e32 vcc, v27, v35
	v_cmp_le_u16_e64 s[2:3], v27, v35
	v_cmp_eq_u16_e64 s[4:5], v27, v35
	s_and_saveexec_b64 s[42:43], s[4:5]
	s_cbranch_execz .LBB1361_146
; %bb.148:                              ;   in Loop: Header=BB1361_147 Depth=1
	s_add_u32 s40, s40, -1
	s_addc_u32 s41, s41, -1
	s_cmp_eq_u64 s[40:41], 0
	s_cselect_b64 s[4:5], -1, 0
	s_andn2_b64 s[28:29], s[28:29], exec
	s_and_b64 s[4:5], s[4:5], exec
	v_lshl_add_u64 v[22:23], v[22:23], 0, 2
	v_lshl_add_u64 v[24:25], v[24:25], 0, 2
	s_andn2_b64 s[26:27], s[26:27], exec
	s_or_b64 s[28:29], s[28:29], s[4:5]
	s_branch .LBB1361_146
.LBB1361_149:
	s_or_b64 exec, exec, s[22:23]
	s_and_saveexec_b64 s[2:3], s[24:25]
	s_xor_b64 s[2:3], exec, s[2:3]
; %bb.150:
	v_cndmask_b32_e64 v23, v17, v15, s[12:13]
	v_cndmask_b32_e64 v22, v16, v14, s[12:13]
	;; [unrolled: 1-line block ×4, first 2 shown]
	v_mov_b64_e32 v[16:17], v[22:23]
; %bb.151:
	s_or_b64 exec, exec, s[2:3]
	v_mul_lo_u32 v24, v13, s36
	v_mul_lo_u32 v25, v12, s37
	v_mad_u64_u32 v[22:23], s[2:3], v12, s36, 0
	v_add3_u32 v23, v23, v25, v24
	v_mul_lo_u32 v27, v11, s36
	v_mul_lo_u32 v35, v10, s37
	v_mad_u64_u32 v[24:25], s[2:3], v10, s36, 0
	v_add3_u32 v25, v25, v35, v27
	v_lshl_add_u64 v[22:23], v[22:23], 1, s[38:39]
	v_lshl_add_u64 v[24:25], v[24:25], 1, s[38:39]
	s_mov_b64 s[22:23], 0
	s_mov_b64 s[40:41], s[36:37]
                                        ; implicit-def: $sgpr12_sgpr13
                                        ; implicit-def: $sgpr24_sgpr25
                                        ; implicit-def: $sgpr28_sgpr29
                                        ; implicit-def: $sgpr26_sgpr27
                                        ; implicit-def: $sgpr30_sgpr31
	s_branch .LBB1361_153
.LBB1361_152:                           ;   in Loop: Header=BB1361_153 Depth=1
	s_or_b64 exec, exec, s[42:43]
	s_and_b64 s[2:3], s[2:3], s[30:31]
	s_or_b64 s[2:3], vcc, s[2:3]
	s_and_b64 s[4:5], exec, s[28:29]
	s_or_b64 s[22:23], s[4:5], s[22:23]
	s_andn2_b64 s[4:5], s[30:31], exec
	s_and_b64 s[2:3], s[2:3], exec
	s_or_b64 s[30:31], s[4:5], s[2:3]
	s_andn2_b64 s[4:5], s[24:25], exec
	s_and_b64 s[24:25], s[26:27], exec
	s_or_b64 s[24:25], s[4:5], s[24:25]
	s_andn2_b64 s[4:5], s[12:13], exec
	s_or_b64 s[12:13], s[4:5], s[2:3]
	s_andn2_b64 exec, exec, s[22:23]
	s_cbranch_execz .LBB1361_155
.LBB1361_153:                           ; =>This Inner Loop Header: Depth=1
	global_load_ushort v27, v[22:23], off
	global_load_ushort v35, v[24:25], off
	s_or_b64 s[26:27], s[26:27], exec
	s_or_b64 s[28:29], s[28:29], exec
	s_waitcnt vmcnt(0)
	v_cmp_lt_u16_e32 vcc, v27, v35
	v_cmp_le_u16_e64 s[2:3], v27, v35
	v_cmp_eq_u16_e64 s[4:5], v27, v35
	s_and_saveexec_b64 s[42:43], s[4:5]
	s_cbranch_execz .LBB1361_152
; %bb.154:                              ;   in Loop: Header=BB1361_153 Depth=1
	s_add_u32 s40, s40, -1
	s_addc_u32 s41, s41, -1
	s_cmp_eq_u64 s[40:41], 0
	s_cselect_b64 s[4:5], -1, 0
	s_andn2_b64 s[28:29], s[28:29], exec
	s_and_b64 s[4:5], s[4:5], exec
	v_lshl_add_u64 v[22:23], v[22:23], 0, 2
	v_lshl_add_u64 v[24:25], v[24:25], 0, 2
	s_andn2_b64 s[26:27], s[26:27], exec
	s_or_b64 s[28:29], s[28:29], s[4:5]
	s_branch .LBB1361_152
.LBB1361_155:
	s_or_b64 exec, exec, s[22:23]
	s_and_saveexec_b64 s[2:3], s[24:25]
	s_xor_b64 s[2:3], exec, s[2:3]
; %bb.156:
	v_cndmask_b32_e64 v23, v11, v13, s[12:13]
	v_cndmask_b32_e64 v22, v10, v12, s[12:13]
	;; [unrolled: 1-line block ×4, first 2 shown]
	v_mov_b64_e32 v[10:11], v[22:23]
; %bb.157:
	s_or_b64 exec, exec, s[2:3]
	v_mul_lo_u32 v24, v9, s36
	v_mul_lo_u32 v25, v8, s37
	v_mad_u64_u32 v[22:23], s[2:3], v8, s36, 0
	v_add3_u32 v23, v23, v25, v24
	v_mul_lo_u32 v27, v7, s36
	v_mul_lo_u32 v35, v6, s37
	v_mad_u64_u32 v[24:25], s[2:3], v6, s36, 0
	v_add3_u32 v25, v25, v35, v27
	v_lshl_add_u64 v[22:23], v[22:23], 1, s[38:39]
	v_lshl_add_u64 v[24:25], v[24:25], 1, s[38:39]
	s_mov_b64 s[22:23], 0
	s_mov_b64 s[40:41], s[36:37]
                                        ; implicit-def: $sgpr12_sgpr13
                                        ; implicit-def: $sgpr24_sgpr25
                                        ; implicit-def: $sgpr28_sgpr29
                                        ; implicit-def: $sgpr26_sgpr27
                                        ; implicit-def: $sgpr30_sgpr31
	s_branch .LBB1361_159
.LBB1361_158:                           ;   in Loop: Header=BB1361_159 Depth=1
	s_or_b64 exec, exec, s[42:43]
	s_and_b64 s[2:3], s[2:3], s[30:31]
	s_or_b64 s[2:3], vcc, s[2:3]
	s_and_b64 s[4:5], exec, s[28:29]
	s_or_b64 s[22:23], s[4:5], s[22:23]
	s_andn2_b64 s[4:5], s[30:31], exec
	s_and_b64 s[2:3], s[2:3], exec
	s_or_b64 s[30:31], s[4:5], s[2:3]
	s_andn2_b64 s[4:5], s[24:25], exec
	s_and_b64 s[24:25], s[26:27], exec
	s_or_b64 s[24:25], s[4:5], s[24:25]
	s_andn2_b64 s[4:5], s[12:13], exec
	s_or_b64 s[12:13], s[4:5], s[2:3]
	s_andn2_b64 exec, exec, s[22:23]
	s_cbranch_execz .LBB1361_161
.LBB1361_159:                           ; =>This Inner Loop Header: Depth=1
	global_load_ushort v27, v[22:23], off
	global_load_ushort v35, v[24:25], off
	s_or_b64 s[26:27], s[26:27], exec
	s_or_b64 s[28:29], s[28:29], exec
	s_waitcnt vmcnt(0)
	v_cmp_lt_u16_e32 vcc, v27, v35
	v_cmp_le_u16_e64 s[2:3], v27, v35
	v_cmp_eq_u16_e64 s[4:5], v27, v35
	s_and_saveexec_b64 s[42:43], s[4:5]
	s_cbranch_execz .LBB1361_158
; %bb.160:                              ;   in Loop: Header=BB1361_159 Depth=1
	s_add_u32 s40, s40, -1
	s_addc_u32 s41, s41, -1
	s_cmp_eq_u64 s[40:41], 0
	s_cselect_b64 s[4:5], -1, 0
	s_andn2_b64 s[28:29], s[28:29], exec
	s_and_b64 s[4:5], s[4:5], exec
	v_lshl_add_u64 v[22:23], v[22:23], 0, 2
	v_lshl_add_u64 v[24:25], v[24:25], 0, 2
	s_andn2_b64 s[26:27], s[26:27], exec
	s_or_b64 s[28:29], s[28:29], s[4:5]
	s_branch .LBB1361_158
.LBB1361_161:
	s_or_b64 exec, exec, s[22:23]
	s_and_saveexec_b64 s[2:3], s[24:25]
	s_xor_b64 s[2:3], exec, s[2:3]
; %bb.162:
	v_cndmask_b32_e64 v23, v7, v9, s[12:13]
	v_cndmask_b32_e64 v22, v6, v8, s[12:13]
	;; [unrolled: 1-line block ×4, first 2 shown]
	v_mov_b64_e32 v[6:7], v[22:23]
; %bb.163:
	s_or_b64 exec, exec, s[2:3]
	v_mul_lo_u32 v24, v5, s36
	v_mul_lo_u32 v25, v4, s37
	v_mad_u64_u32 v[22:23], s[2:3], v4, s36, 0
	v_add3_u32 v23, v23, v25, v24
	v_mul_lo_u32 v27, v3, s36
	v_mul_lo_u32 v35, v2, s37
	v_mad_u64_u32 v[24:25], s[2:3], v2, s36, 0
	v_add3_u32 v25, v25, v35, v27
	v_lshl_add_u64 v[22:23], v[22:23], 1, s[38:39]
	v_lshl_add_u64 v[24:25], v[24:25], 1, s[38:39]
	s_mov_b64 s[22:23], 0
	s_mov_b64 s[40:41], s[36:37]
                                        ; implicit-def: $sgpr12_sgpr13
                                        ; implicit-def: $sgpr24_sgpr25
                                        ; implicit-def: $sgpr28_sgpr29
                                        ; implicit-def: $sgpr26_sgpr27
                                        ; implicit-def: $sgpr30_sgpr31
	s_branch .LBB1361_165
.LBB1361_164:                           ;   in Loop: Header=BB1361_165 Depth=1
	s_or_b64 exec, exec, s[42:43]
	s_and_b64 s[2:3], s[2:3], s[30:31]
	s_or_b64 s[2:3], vcc, s[2:3]
	s_and_b64 s[4:5], exec, s[28:29]
	s_or_b64 s[22:23], s[4:5], s[22:23]
	s_andn2_b64 s[4:5], s[30:31], exec
	s_and_b64 s[2:3], s[2:3], exec
	s_or_b64 s[30:31], s[4:5], s[2:3]
	s_andn2_b64 s[4:5], s[24:25], exec
	s_and_b64 s[24:25], s[26:27], exec
	s_or_b64 s[24:25], s[4:5], s[24:25]
	s_andn2_b64 s[4:5], s[12:13], exec
	s_or_b64 s[12:13], s[4:5], s[2:3]
	s_andn2_b64 exec, exec, s[22:23]
	s_cbranch_execz .LBB1361_167
.LBB1361_165:                           ; =>This Inner Loop Header: Depth=1
	global_load_ushort v27, v[22:23], off
	global_load_ushort v35, v[24:25], off
	s_or_b64 s[26:27], s[26:27], exec
	s_or_b64 s[28:29], s[28:29], exec
	s_waitcnt vmcnt(0)
	v_cmp_lt_u16_e32 vcc, v27, v35
	v_cmp_le_u16_e64 s[2:3], v27, v35
	v_cmp_eq_u16_e64 s[4:5], v27, v35
	s_and_saveexec_b64 s[42:43], s[4:5]
	s_cbranch_execz .LBB1361_164
; %bb.166:                              ;   in Loop: Header=BB1361_165 Depth=1
	s_add_u32 s40, s40, -1
	s_addc_u32 s41, s41, -1
	s_cmp_eq_u64 s[40:41], 0
	s_cselect_b64 s[4:5], -1, 0
	s_andn2_b64 s[28:29], s[28:29], exec
	s_and_b64 s[4:5], s[4:5], exec
	v_lshl_add_u64 v[22:23], v[22:23], 0, 2
	v_lshl_add_u64 v[24:25], v[24:25], 0, 2
	s_andn2_b64 s[26:27], s[26:27], exec
	s_or_b64 s[28:29], s[28:29], s[4:5]
	s_branch .LBB1361_164
.LBB1361_167:
	s_or_b64 exec, exec, s[22:23]
	s_and_saveexec_b64 s[2:3], s[24:25]
	s_xor_b64 s[2:3], exec, s[2:3]
; %bb.168:
	v_cndmask_b32_e64 v23, v3, v5, s[12:13]
	v_cndmask_b32_e64 v22, v2, v4, s[12:13]
	;; [unrolled: 1-line block ×4, first 2 shown]
	v_mov_b64_e32 v[2:3], v[22:23]
; %bb.169:
	s_or_b64 exec, exec, s[2:3]
	v_mul_lo_u32 v24, v11, s36
	v_mul_lo_u32 v25, v10, s37
	v_mad_u64_u32 v[22:23], s[2:3], v10, s36, 0
	v_add3_u32 v23, v23, v25, v24
	v_mul_lo_u32 v27, v17, s36
	v_mul_lo_u32 v35, v16, s37
	v_mad_u64_u32 v[24:25], s[2:3], v16, s36, 0
	v_add3_u32 v25, v25, v35, v27
	v_lshl_add_u64 v[22:23], v[22:23], 1, s[38:39]
	v_lshl_add_u64 v[24:25], v[24:25], 1, s[38:39]
	s_mov_b64 s[22:23], 0
	s_mov_b64 s[40:41], s[36:37]
                                        ; implicit-def: $sgpr12_sgpr13
                                        ; implicit-def: $sgpr24_sgpr25
                                        ; implicit-def: $sgpr28_sgpr29
                                        ; implicit-def: $sgpr26_sgpr27
                                        ; implicit-def: $sgpr30_sgpr31
	s_branch .LBB1361_171
.LBB1361_170:                           ;   in Loop: Header=BB1361_171 Depth=1
	s_or_b64 exec, exec, s[42:43]
	s_and_b64 s[2:3], s[2:3], s[30:31]
	s_or_b64 s[2:3], vcc, s[2:3]
	s_and_b64 s[4:5], exec, s[28:29]
	s_or_b64 s[22:23], s[4:5], s[22:23]
	s_andn2_b64 s[4:5], s[30:31], exec
	s_and_b64 s[2:3], s[2:3], exec
	s_or_b64 s[30:31], s[4:5], s[2:3]
	s_andn2_b64 s[4:5], s[24:25], exec
	s_and_b64 s[24:25], s[26:27], exec
	s_or_b64 s[24:25], s[4:5], s[24:25]
	s_andn2_b64 s[4:5], s[12:13], exec
	s_or_b64 s[12:13], s[4:5], s[2:3]
	s_andn2_b64 exec, exec, s[22:23]
	s_cbranch_execz .LBB1361_173
.LBB1361_171:                           ; =>This Inner Loop Header: Depth=1
	global_load_ushort v27, v[22:23], off
	global_load_ushort v35, v[24:25], off
	s_or_b64 s[26:27], s[26:27], exec
	s_or_b64 s[28:29], s[28:29], exec
	s_waitcnt vmcnt(0)
	v_cmp_lt_u16_e32 vcc, v27, v35
	v_cmp_le_u16_e64 s[2:3], v27, v35
	v_cmp_eq_u16_e64 s[4:5], v27, v35
	s_and_saveexec_b64 s[42:43], s[4:5]
	s_cbranch_execz .LBB1361_170
; %bb.172:                              ;   in Loop: Header=BB1361_171 Depth=1
	s_add_u32 s40, s40, -1
	s_addc_u32 s41, s41, -1
	s_cmp_eq_u64 s[40:41], 0
	s_cselect_b64 s[4:5], -1, 0
	s_andn2_b64 s[28:29], s[28:29], exec
	s_and_b64 s[4:5], s[4:5], exec
	v_lshl_add_u64 v[22:23], v[22:23], 0, 2
	v_lshl_add_u64 v[24:25], v[24:25], 0, 2
	s_andn2_b64 s[26:27], s[26:27], exec
	s_or_b64 s[28:29], s[28:29], s[4:5]
	s_branch .LBB1361_170
.LBB1361_173:
	s_or_b64 exec, exec, s[22:23]
	s_and_saveexec_b64 s[2:3], s[24:25]
	s_xor_b64 s[2:3], exec, s[2:3]
; %bb.174:
	v_cndmask_b32_e64 v23, v17, v11, s[12:13]
	v_cndmask_b32_e64 v22, v16, v10, s[12:13]
	;; [unrolled: 1-line block ×4, first 2 shown]
	v_mov_b64_e32 v[16:17], v[22:23]
; %bb.175:
	s_or_b64 exec, exec, s[2:3]
	v_mul_lo_u32 v24, v7, s36
	v_mul_lo_u32 v25, v6, s37
	v_mad_u64_u32 v[22:23], s[2:3], v6, s36, 0
	v_add3_u32 v23, v23, v25, v24
	v_mul_lo_u32 v27, v13, s36
	v_mul_lo_u32 v35, v12, s37
	v_mad_u64_u32 v[24:25], s[2:3], v12, s36, 0
	v_add3_u32 v25, v25, v35, v27
	v_lshl_add_u64 v[22:23], v[22:23], 1, s[38:39]
	v_lshl_add_u64 v[24:25], v[24:25], 1, s[38:39]
	s_mov_b64 s[22:23], 0
	s_mov_b64 s[40:41], s[36:37]
                                        ; implicit-def: $sgpr12_sgpr13
                                        ; implicit-def: $sgpr24_sgpr25
                                        ; implicit-def: $sgpr28_sgpr29
                                        ; implicit-def: $sgpr26_sgpr27
                                        ; implicit-def: $sgpr30_sgpr31
	s_branch .LBB1361_177
.LBB1361_176:                           ;   in Loop: Header=BB1361_177 Depth=1
	s_or_b64 exec, exec, s[42:43]
	s_and_b64 s[2:3], s[2:3], s[30:31]
	s_or_b64 s[2:3], vcc, s[2:3]
	s_and_b64 s[4:5], exec, s[28:29]
	s_or_b64 s[22:23], s[4:5], s[22:23]
	s_andn2_b64 s[4:5], s[30:31], exec
	s_and_b64 s[2:3], s[2:3], exec
	s_or_b64 s[30:31], s[4:5], s[2:3]
	s_andn2_b64 s[4:5], s[24:25], exec
	s_and_b64 s[24:25], s[26:27], exec
	s_or_b64 s[24:25], s[4:5], s[24:25]
	s_andn2_b64 s[4:5], s[12:13], exec
	s_or_b64 s[12:13], s[4:5], s[2:3]
	s_andn2_b64 exec, exec, s[22:23]
	s_cbranch_execz .LBB1361_179
.LBB1361_177:                           ; =>This Inner Loop Header: Depth=1
	global_load_ushort v27, v[22:23], off
	global_load_ushort v35, v[24:25], off
	s_or_b64 s[26:27], s[26:27], exec
	s_or_b64 s[28:29], s[28:29], exec
	s_waitcnt vmcnt(0)
	v_cmp_lt_u16_e32 vcc, v27, v35
	v_cmp_le_u16_e64 s[2:3], v27, v35
	v_cmp_eq_u16_e64 s[4:5], v27, v35
	s_and_saveexec_b64 s[42:43], s[4:5]
	s_cbranch_execz .LBB1361_176
; %bb.178:                              ;   in Loop: Header=BB1361_177 Depth=1
	s_add_u32 s40, s40, -1
	s_addc_u32 s41, s41, -1
	s_cmp_eq_u64 s[40:41], 0
	s_cselect_b64 s[4:5], -1, 0
	s_andn2_b64 s[28:29], s[28:29], exec
	s_and_b64 s[4:5], s[4:5], exec
	v_lshl_add_u64 v[22:23], v[22:23], 0, 2
	v_lshl_add_u64 v[24:25], v[24:25], 0, 2
	s_andn2_b64 s[26:27], s[26:27], exec
	s_or_b64 s[28:29], s[28:29], s[4:5]
	s_branch .LBB1361_176
.LBB1361_179:
	s_or_b64 exec, exec, s[22:23]
	s_and_saveexec_b64 s[2:3], s[24:25]
	s_xor_b64 s[2:3], exec, s[2:3]
; %bb.180:
	v_cndmask_b32_e64 v23, v13, v7, s[12:13]
	v_cndmask_b32_e64 v22, v12, v6, s[12:13]
	v_cndmask_b32_e64 v7, v7, v13, s[12:13]
	v_cndmask_b32_e64 v6, v6, v12, s[12:13]
	v_mov_b64_e32 v[12:13], v[22:23]
; %bb.181:
	s_or_b64 exec, exec, s[2:3]
	v_mul_lo_u32 v24, v3, s36
	v_mul_lo_u32 v25, v2, s37
	v_mad_u64_u32 v[22:23], s[2:3], v2, s36, 0
	v_add3_u32 v23, v23, v25, v24
	v_mul_lo_u32 v27, v9, s36
	v_mul_lo_u32 v35, v8, s37
	v_mad_u64_u32 v[24:25], s[2:3], v8, s36, 0
	v_add3_u32 v25, v25, v35, v27
	v_lshl_add_u64 v[22:23], v[22:23], 1, s[38:39]
	v_lshl_add_u64 v[24:25], v[24:25], 1, s[38:39]
	s_mov_b64 s[24:25], 0
	s_mov_b64 s[40:41], s[36:37]
                                        ; implicit-def: $sgpr12_sgpr13
                                        ; implicit-def: $sgpr22_sgpr23
                                        ; implicit-def: $sgpr28_sgpr29
                                        ; implicit-def: $sgpr26_sgpr27
                                        ; implicit-def: $sgpr30_sgpr31
	s_branch .LBB1361_183
.LBB1361_182:                           ;   in Loop: Header=BB1361_183 Depth=1
	s_or_b64 exec, exec, s[42:43]
	s_and_b64 s[2:3], s[2:3], s[30:31]
	s_or_b64 s[2:3], vcc, s[2:3]
	s_and_b64 s[4:5], exec, s[28:29]
	s_or_b64 s[24:25], s[4:5], s[24:25]
	s_andn2_b64 s[4:5], s[30:31], exec
	s_and_b64 s[2:3], s[2:3], exec
	s_or_b64 s[30:31], s[4:5], s[2:3]
	s_andn2_b64 s[4:5], s[22:23], exec
	s_and_b64 s[22:23], s[26:27], exec
	s_or_b64 s[22:23], s[4:5], s[22:23]
	s_andn2_b64 s[4:5], s[12:13], exec
	s_or_b64 s[12:13], s[4:5], s[2:3]
	s_andn2_b64 exec, exec, s[24:25]
	s_cbranch_execz .LBB1361_185
.LBB1361_183:                           ; =>This Inner Loop Header: Depth=1
	global_load_ushort v27, v[22:23], off
	global_load_ushort v35, v[24:25], off
	s_or_b64 s[26:27], s[26:27], exec
	s_or_b64 s[28:29], s[28:29], exec
	s_waitcnt vmcnt(0)
	v_cmp_lt_u16_e32 vcc, v27, v35
	v_cmp_le_u16_e64 s[2:3], v27, v35
	v_cmp_eq_u16_e64 s[4:5], v27, v35
	s_and_saveexec_b64 s[42:43], s[4:5]
	s_cbranch_execz .LBB1361_182
; %bb.184:                              ;   in Loop: Header=BB1361_183 Depth=1
	s_add_u32 s40, s40, -1
	s_addc_u32 s41, s41, -1
	s_cmp_eq_u64 s[40:41], 0
	s_cselect_b64 s[4:5], -1, 0
	s_andn2_b64 s[28:29], s[28:29], exec
	s_and_b64 s[4:5], s[4:5], exec
	v_lshl_add_u64 v[22:23], v[22:23], 0, 2
	v_lshl_add_u64 v[24:25], v[24:25], 0, 2
	s_andn2_b64 s[26:27], s[26:27], exec
	s_or_b64 s[28:29], s[28:29], s[4:5]
	s_branch .LBB1361_182
.LBB1361_185:
	s_or_b64 exec, exec, s[24:25]
	s_and_saveexec_b64 s[2:3], s[22:23]
	s_xor_b64 s[2:3], exec, s[2:3]
; %bb.186:
	v_cndmask_b32_e64 v23, v9, v3, s[12:13]
	v_cndmask_b32_e64 v22, v8, v2, s[12:13]
	;; [unrolled: 1-line block ×4, first 2 shown]
	v_mov_b64_e32 v[8:9], v[22:23]
; %bb.187:
	s_or_b64 exec, exec, s[2:3]
.LBB1361_188:
	s_or_b64 exec, exec, s[10:11]
	v_mbcnt_lo_u32_b32 v22, -1, 0
	v_mbcnt_hi_u32_b32 v22, -1, v22
	v_and_b32_e32 v23, 0xfffffe00, v26
	s_movk_i32 s2, 0x800
	v_lshlrev_b32_e32 v35, 3, v23
	v_lshlrev_b32_e32 v37, 3, v22
	v_sub_u32_e64 v36, s2, v23 clamp
	v_lshl_add_u32 v38, v22, 6, v35
	v_or_b32_e32 v22, 8, v37
	v_min_u32_e32 v26, v36, v22
	v_add_u32_e32 v22, 8, v26
	v_and_b32_e32 v41, 0x3f0, v37
	v_min_u32_e32 v27, v36, v22
	v_and_b32_e32 v22, 8, v37
	v_min_u32_e32 v42, v36, v22
	v_sub_u32_e32 v22, v26, v41
	v_sub_u32_e32 v23, v27, v26
	v_sub_u32_e64 v40, v42, v23 clamp
	v_min_u32_e32 v43, v42, v22
	v_lshl_add_u32 v39, v41, 3, v35
	v_cmp_lt_u32_e32 vcc, v40, v43
	ds_write_b128 v38, v[14:17]
	ds_write_b128 v38, v[10:13] offset:16
	ds_write_b128 v38, v[6:9] offset:32
	;; [unrolled: 1-line block ×3, first 2 shown]
	; wave barrier
	s_and_saveexec_b64 s[10:11], vcc
	s_cbranch_execz .LBB1361_198
; %bb.189:
	v_lshlrev_b32_e32 v22, 3, v26
	v_lshlrev_b32_e32 v23, 3, v42
	v_add3_u32 v44, v35, v22, v23
	s_lshl_b64 s[22:23], s[36:37], 1
	s_mov_b64 s[12:13], 0
	s_branch .LBB1361_192
.LBB1361_190:                           ;   in Loop: Header=BB1361_192 Depth=1
	s_or_b64 exec, exec, s[26:27]
.LBB1361_191:                           ;   in Loop: Header=BB1361_192 Depth=1
	v_add_u32_e32 v22, 1, v45
	v_cndmask_b32_e64 v43, v43, v45, s[24:25]
	v_cndmask_b32_e64 v40, v22, v40, s[24:25]
	v_cmp_ge_u32_e32 vcc, v40, v43
	s_or_b64 s[12:13], vcc, s[12:13]
	s_andn2_b64 exec, exec, s[12:13]
	s_cbranch_execz .LBB1361_197
.LBB1361_192:                           ; =>This Loop Header: Depth=1
                                        ;     Child Loop BB1361_195 Depth 2
	v_add_u32_e32 v22, v43, v40
	v_lshrrev_b32_e32 v45, 1, v22
	s_and_b64 vcc, exec, s[0:1]
	s_mov_b64 s[24:25], 0
	s_cbranch_vccnz .LBB1361_191
; %bb.193:                              ;   in Loop: Header=BB1361_192 Depth=1
	v_not_b32_e32 v22, v45
	v_lshl_add_u32 v22, v22, 3, v44
	ds_read_b64 v[22:23], v22
	v_lshl_add_u32 v46, v45, 3, v39
	ds_read_b64 v[46:47], v46
	v_mov_b64_e32 v[24:25], s[38:39]
	s_mov_b64 s[26:27], 0
	s_waitcnt lgkmcnt(1)
	v_mul_lo_u32 v48, s22, v23
	v_mul_lo_u32 v49, s23, v22
	v_mad_u64_u32 v[22:23], s[2:3], s22, v22, v[24:25]
	v_add3_u32 v23, v49, v23, v48
	s_waitcnt lgkmcnt(0)
	v_mul_lo_u32 v47, s22, v47
	v_mul_lo_u32 v48, s23, v46
	v_mad_u64_u32 v[24:25], s[2:3], s22, v46, v[24:25]
	v_add3_u32 v25, v48, v25, v47
	s_mov_b64 s[30:31], s[36:37]
                                        ; implicit-def: $sgpr24_sgpr25
                                        ; implicit-def: $sgpr28_sgpr29
                                        ; implicit-def: $sgpr2_sgpr3
                                        ; implicit-def: $sgpr40_sgpr41
	s_branch .LBB1361_195
.LBB1361_194:                           ;   in Loop: Header=BB1361_195 Depth=2
	s_or_b64 exec, exec, s[44:45]
	s_and_b64 s[4:5], exec, s[28:29]
	s_or_b64 s[26:27], s[4:5], s[26:27]
	s_andn2_b64 s[4:5], s[40:41], exec
	s_and_b64 s[40:41], s[42:43], exec
	s_or_b64 s[40:41], s[4:5], s[40:41]
	s_andn2_b64 s[4:5], s[24:25], exec
	s_and_b64 s[24:25], s[2:3], exec
	s_or_b64 s[24:25], s[4:5], s[24:25]
	s_andn2_b64 exec, exec, s[26:27]
	s_cbranch_execz .LBB1361_190
.LBB1361_195:                           ;   Parent Loop BB1361_192 Depth=1
                                        ; =>  This Inner Loop Header: Depth=2
	global_load_ushort v46, v[22:23], off
	global_load_ushort v47, v[24:25], off
	s_andn2_b64 s[44:45], s[2:3], exec
	s_or_b64 s[28:29], s[28:29], exec
	s_waitcnt vmcnt(0)
	v_cmp_le_u16_e64 s[2:3], v46, v47
	v_cmp_lt_u16_e32 vcc, v46, v47
	s_and_b64 s[2:3], s[2:3], s[40:41]
	s_or_b64 s[42:43], vcc, s[2:3]
	s_and_b64 s[2:3], s[42:43], exec
	v_cmp_eq_u16_e64 s[4:5], v46, v47
	s_or_b64 s[2:3], s[44:45], s[2:3]
	s_and_saveexec_b64 s[44:45], s[4:5]
	s_cbranch_execz .LBB1361_194
; %bb.196:                              ;   in Loop: Header=BB1361_195 Depth=2
	s_add_u32 s30, s30, -1
	s_addc_u32 s31, s31, -1
	s_cmp_eq_u64 s[30:31], 0
	s_cselect_b64 s[4:5], -1, 0
	s_andn2_b64 s[28:29], s[28:29], exec
	s_and_b64 s[4:5], s[4:5], exec
	v_lshl_add_u64 v[22:23], v[22:23], 0, 2
	v_lshl_add_u64 v[24:25], v[24:25], 0, 2
	s_andn2_b64 s[2:3], s[2:3], exec
	s_or_b64 s[28:29], s[28:29], s[4:5]
                                        ; implicit-def: $sgpr40_sgpr41
	s_branch .LBB1361_194
.LBB1361_197:
	s_or_b64 exec, exec, s[12:13]
.LBB1361_198:
	s_or_b64 exec, exec, s[10:11]
	v_add_u32_e32 v22, v26, v42
	v_add_u32_e32 v23, v40, v41
	v_sub_u32_e32 v24, v22, v40
	v_cmp_le_u32_e32 vcc, v23, v26
	v_cmp_le_u32_e64 s[2:3], v24, v27
	s_or_b64 s[2:3], vcc, s[2:3]
	s_and_saveexec_b64 s[10:11], s[2:3]
	s_cbranch_execz .LBB1361_289
; %bb.199:
	v_cmp_ge_u32_e32 vcc, v23, v26
	v_cmp_lt_u32_e64 s[2:3], v23, v26
                                        ; implicit-def: $vgpr2_vgpr3
	s_and_saveexec_b64 s[4:5], s[2:3]
; %bb.200:
	v_lshl_add_u32 v2, v40, 3, v39
	ds_read_b64 v[2:3], v2
; %bb.201:
	s_or_b64 exec, exec, s[4:5]
	v_cmp_ge_u32_e64 s[12:13], v24, v27
	v_cmp_lt_u32_e64 s[2:3], v24, v27
                                        ; implicit-def: $vgpr4_vgpr5
	s_and_saveexec_b64 s[4:5], s[2:3]
; %bb.202:
	v_lshl_add_u32 v4, v24, 3, v35
	ds_read_b64 v[4:5], v4
; %bb.203:
	s_or_b64 exec, exec, s[4:5]
	s_nor_b64 s[2:3], vcc, s[12:13]
	s_and_saveexec_b64 s[22:23], s[2:3]
	s_cbranch_execz .LBB1361_212
; %bb.204:
	s_and_b64 vcc, exec, s[0:1]
	s_cbranch_vccnz .LBB1361_210
; %bb.205:
	s_waitcnt lgkmcnt(0)
	v_mul_lo_u32 v8, v5, s36
	v_mul_lo_u32 v9, v4, s37
	v_mad_u64_u32 v[6:7], s[2:3], v4, s36, 0
	v_add3_u32 v7, v7, v9, v8
	v_mul_lo_u32 v10, v3, s36
	v_mul_lo_u32 v11, v2, s37
	v_mad_u64_u32 v[8:9], s[2:3], v2, s36, 0
	v_add3_u32 v9, v9, v11, v10
	v_lshl_add_u64 v[6:7], v[6:7], 1, s[38:39]
	v_lshl_add_u64 v[8:9], v[8:9], 1, s[38:39]
	s_mov_b64 s[24:25], 0
	s_mov_b64 s[30:31], s[36:37]
                                        ; implicit-def: $sgpr26_sgpr27
                                        ; implicit-def: $sgpr28_sgpr29
                                        ; implicit-def: $sgpr2_sgpr3
                                        ; implicit-def: $sgpr40_sgpr41
	s_branch .LBB1361_207
.LBB1361_206:                           ;   in Loop: Header=BB1361_207 Depth=1
	s_or_b64 exec, exec, s[44:45]
	s_and_b64 s[4:5], exec, s[28:29]
	s_or_b64 s[24:25], s[4:5], s[24:25]
	s_andn2_b64 s[4:5], s[40:41], exec
	s_and_b64 s[40:41], s[42:43], exec
	s_or_b64 s[40:41], s[4:5], s[40:41]
	s_andn2_b64 s[4:5], s[26:27], exec
	s_and_b64 s[26:27], s[2:3], exec
	s_or_b64 s[26:27], s[4:5], s[26:27]
	s_andn2_b64 exec, exec, s[24:25]
	s_cbranch_execz .LBB1361_209
.LBB1361_207:                           ; =>This Inner Loop Header: Depth=1
	global_load_ushort v10, v[6:7], off
	global_load_ushort v11, v[8:9], off
	s_andn2_b64 s[44:45], s[2:3], exec
	s_or_b64 s[28:29], s[28:29], exec
	s_waitcnt vmcnt(0)
	v_cmp_le_u16_e64 s[2:3], v10, v11
	v_cmp_lt_u16_e32 vcc, v10, v11
	s_and_b64 s[2:3], s[2:3], s[40:41]
	s_or_b64 s[42:43], vcc, s[2:3]
	s_and_b64 s[2:3], s[42:43], exec
	v_cmp_eq_u16_e64 s[4:5], v10, v11
	s_or_b64 s[2:3], s[44:45], s[2:3]
	s_and_saveexec_b64 s[44:45], s[4:5]
	s_cbranch_execz .LBB1361_206
; %bb.208:                              ;   in Loop: Header=BB1361_207 Depth=1
	s_add_u32 s30, s30, -1
	s_addc_u32 s31, s31, -1
	s_cmp_eq_u64 s[30:31], 0
	s_cselect_b64 s[4:5], -1, 0
	s_andn2_b64 s[28:29], s[28:29], exec
	s_and_b64 s[4:5], s[4:5], exec
	v_lshl_add_u64 v[6:7], v[6:7], 0, 2
	v_lshl_add_u64 v[8:9], v[8:9], 0, 2
	s_andn2_b64 s[2:3], s[2:3], exec
	s_or_b64 s[28:29], s[28:29], s[4:5]
                                        ; implicit-def: $sgpr40_sgpr41
	s_branch .LBB1361_206
.LBB1361_209:
	s_or_b64 exec, exec, s[24:25]
	s_xor_b64 s[2:3], s[26:27], -1
	s_branch .LBB1361_211
.LBB1361_210:
	s_mov_b64 s[2:3], -1
.LBB1361_211:
	s_andn2_b64 s[4:5], s[12:13], exec
	s_and_b64 s[2:3], s[2:3], exec
	s_or_b64 s[12:13], s[4:5], s[2:3]
.LBB1361_212:
	s_or_b64 exec, exec, s[22:23]
	v_cndmask_b32_e64 v6, v24, v23, s[12:13]
	v_cndmask_b32_e64 v7, v27, v26, s[12:13]
	v_add_u32_e32 v8, 1, v6
	v_add_u32_e32 v6, -1, v7
	v_min_u32_e32 v6, v8, v6
	v_lshl_add_u32 v6, v6, 3, v35
	ds_read_b64 v[6:7], v6
	v_cndmask_b32_e64 v12, v8, v24, s[12:13]
	v_cndmask_b32_e64 v13, v23, v8, s[12:13]
	v_cmp_lt_u32_e32 vcc, v12, v27
	s_mov_b64 s[24:25], -1
	s_waitcnt lgkmcnt(0)
	v_cndmask_b32_e64 v14, v7, v5, s[12:13]
	v_cndmask_b32_e64 v15, v6, v4, s[12:13]
	;; [unrolled: 1-line block ×4, first 2 shown]
	s_mov_b64 s[22:23], -1
	s_and_saveexec_b64 s[26:27], vcc
	s_cbranch_execz .LBB1361_223
; %bb.213:
	v_cmp_lt_u32_e32 vcc, v13, v26
	s_mov_b64 s[2:3], 0
	s_and_saveexec_b64 s[22:23], vcc
	s_cbranch_execz .LBB1361_222
; %bb.214:
	s_and_b64 vcc, exec, s[0:1]
	s_cbranch_vccnz .LBB1361_220
; %bb.215:
	v_mul_lo_u32 v8, v14, s36
	v_mul_lo_u32 v9, v15, s37
	v_mad_u64_u32 v[6:7], s[2:3], v15, s36, 0
	v_add3_u32 v7, v7, v9, v8
	v_mul_lo_u32 v10, v16, s36
	v_mul_lo_u32 v11, v22, s37
	v_mad_u64_u32 v[8:9], s[2:3], v22, s36, 0
	v_add3_u32 v9, v9, v11, v10
	v_lshl_add_u64 v[6:7], v[6:7], 1, s[38:39]
	v_lshl_add_u64 v[8:9], v[8:9], 1, s[38:39]
	s_mov_b64 s[28:29], 0
	s_mov_b64 s[42:43], s[36:37]
                                        ; implicit-def: $sgpr30_sgpr31
                                        ; implicit-def: $sgpr40_sgpr41
                                        ; implicit-def: $sgpr2_sgpr3
                                        ; implicit-def: $sgpr44_sgpr45
	s_branch .LBB1361_217
.LBB1361_216:                           ;   in Loop: Header=BB1361_217 Depth=1
	s_or_b64 exec, exec, s[48:49]
	s_and_b64 s[4:5], exec, s[40:41]
	s_or_b64 s[28:29], s[4:5], s[28:29]
	s_andn2_b64 s[4:5], s[44:45], exec
	s_and_b64 s[44:45], s[46:47], exec
	s_or_b64 s[44:45], s[4:5], s[44:45]
	s_andn2_b64 s[4:5], s[30:31], exec
	s_and_b64 s[30:31], s[2:3], exec
	s_or_b64 s[30:31], s[4:5], s[30:31]
	s_andn2_b64 exec, exec, s[28:29]
	s_cbranch_execz .LBB1361_219
.LBB1361_217:                           ; =>This Inner Loop Header: Depth=1
	global_load_ushort v10, v[6:7], off
	global_load_ushort v11, v[8:9], off
	s_andn2_b64 s[48:49], s[2:3], exec
	s_or_b64 s[40:41], s[40:41], exec
	s_waitcnt vmcnt(0)
	v_cmp_le_u16_e64 s[2:3], v10, v11
	v_cmp_lt_u16_e32 vcc, v10, v11
	s_and_b64 s[2:3], s[2:3], s[44:45]
	s_or_b64 s[46:47], vcc, s[2:3]
	s_and_b64 s[2:3], s[46:47], exec
	v_cmp_eq_u16_e64 s[4:5], v10, v11
	s_or_b64 s[2:3], s[48:49], s[2:3]
	s_and_saveexec_b64 s[48:49], s[4:5]
	s_cbranch_execz .LBB1361_216
; %bb.218:                              ;   in Loop: Header=BB1361_217 Depth=1
	s_add_u32 s42, s42, -1
	s_addc_u32 s43, s43, -1
	s_cmp_eq_u64 s[42:43], 0
	s_cselect_b64 s[4:5], -1, 0
	s_andn2_b64 s[40:41], s[40:41], exec
	s_and_b64 s[4:5], s[4:5], exec
	v_lshl_add_u64 v[6:7], v[6:7], 0, 2
	v_lshl_add_u64 v[8:9], v[8:9], 0, 2
	s_andn2_b64 s[2:3], s[2:3], exec
	s_or_b64 s[40:41], s[40:41], s[4:5]
                                        ; implicit-def: $sgpr44_sgpr45
	s_branch .LBB1361_216
.LBB1361_219:
	s_or_b64 exec, exec, s[28:29]
	s_xor_b64 s[2:3], s[30:31], -1
	s_branch .LBB1361_221
.LBB1361_220:
	s_mov_b64 s[2:3], -1
.LBB1361_221:
	s_and_b64 s[2:3], s[2:3], exec
.LBB1361_222:
	s_or_b64 exec, exec, s[22:23]
	s_orn2_b64 s[22:23], s[2:3], exec
.LBB1361_223:
	s_or_b64 exec, exec, s[26:27]
	v_cndmask_b32_e64 v6, v12, v13, s[22:23]
	v_cndmask_b32_e64 v7, v27, v26, s[22:23]
	v_add_u32_e32 v8, 1, v6
	v_add_u32_e32 v6, -1, v7
	v_min_u32_e32 v6, v8, v6
	v_lshl_add_u32 v6, v6, 3, v35
	ds_read_b64 v[6:7], v6
	v_cndmask_b32_e64 v39, v8, v12, s[22:23]
	v_cndmask_b32_e64 v40, v13, v8, s[22:23]
	v_cmp_lt_u32_e32 vcc, v39, v27
	s_waitcnt lgkmcnt(0)
	v_cndmask_b32_e64 v10, v7, v14, s[22:23]
	v_cndmask_b32_e64 v17, v6, v15, s[22:23]
	;; [unrolled: 1-line block ×4, first 2 shown]
	s_and_saveexec_b64 s[26:27], vcc
	s_cbranch_execz .LBB1361_234
; %bb.224:
	v_cmp_lt_u32_e32 vcc, v40, v26
	s_mov_b64 s[2:3], 0
	s_and_saveexec_b64 s[24:25], vcc
	s_cbranch_execz .LBB1361_233
; %bb.225:
	s_and_b64 vcc, exec, s[0:1]
	s_cbranch_vccnz .LBB1361_231
; %bb.226:
	v_mul_lo_u32 v8, v10, s36
	v_mul_lo_u32 v9, v17, s37
	v_mad_u64_u32 v[6:7], s[2:3], v17, s36, 0
	v_add3_u32 v7, v7, v9, v8
	v_mul_lo_u32 v12, v11, s36
	v_mul_lo_u32 v13, v23, s37
	v_mad_u64_u32 v[8:9], s[2:3], v23, s36, 0
	v_add3_u32 v9, v9, v13, v12
	v_lshl_add_u64 v[6:7], v[6:7], 1, s[38:39]
	v_lshl_add_u64 v[8:9], v[8:9], 1, s[38:39]
	s_mov_b64 s[28:29], 0
	s_mov_b64 s[42:43], s[36:37]
                                        ; implicit-def: $sgpr30_sgpr31
                                        ; implicit-def: $sgpr40_sgpr41
                                        ; implicit-def: $sgpr2_sgpr3
                                        ; implicit-def: $sgpr44_sgpr45
	s_branch .LBB1361_228
.LBB1361_227:                           ;   in Loop: Header=BB1361_228 Depth=1
	s_or_b64 exec, exec, s[48:49]
	s_and_b64 s[4:5], exec, s[40:41]
	s_or_b64 s[28:29], s[4:5], s[28:29]
	s_andn2_b64 s[4:5], s[44:45], exec
	s_and_b64 s[44:45], s[46:47], exec
	s_or_b64 s[44:45], s[4:5], s[44:45]
	s_andn2_b64 s[4:5], s[30:31], exec
	s_and_b64 s[30:31], s[2:3], exec
	s_or_b64 s[30:31], s[4:5], s[30:31]
	s_andn2_b64 exec, exec, s[28:29]
	s_cbranch_execz .LBB1361_230
.LBB1361_228:                           ; =>This Inner Loop Header: Depth=1
	global_load_ushort v12, v[6:7], off
	global_load_ushort v13, v[8:9], off
	s_andn2_b64 s[48:49], s[2:3], exec
	s_or_b64 s[40:41], s[40:41], exec
	s_waitcnt vmcnt(0)
	v_cmp_le_u16_e64 s[2:3], v12, v13
	v_cmp_lt_u16_e32 vcc, v12, v13
	s_and_b64 s[2:3], s[2:3], s[44:45]
	s_or_b64 s[46:47], vcc, s[2:3]
	s_and_b64 s[2:3], s[46:47], exec
	v_cmp_eq_u16_e64 s[4:5], v12, v13
	s_or_b64 s[2:3], s[48:49], s[2:3]
	s_and_saveexec_b64 s[48:49], s[4:5]
	s_cbranch_execz .LBB1361_227
; %bb.229:                              ;   in Loop: Header=BB1361_228 Depth=1
	s_add_u32 s42, s42, -1
	s_addc_u32 s43, s43, -1
	s_cmp_eq_u64 s[42:43], 0
	s_cselect_b64 s[4:5], -1, 0
	s_andn2_b64 s[40:41], s[40:41], exec
	s_and_b64 s[4:5], s[4:5], exec
	v_lshl_add_u64 v[6:7], v[6:7], 0, 2
	v_lshl_add_u64 v[8:9], v[8:9], 0, 2
	s_andn2_b64 s[2:3], s[2:3], exec
	s_or_b64 s[40:41], s[40:41], s[4:5]
                                        ; implicit-def: $sgpr44_sgpr45
	s_branch .LBB1361_227
.LBB1361_230:
	s_or_b64 exec, exec, s[28:29]
	s_xor_b64 s[2:3], s[30:31], -1
	s_branch .LBB1361_232
.LBB1361_231:
	s_mov_b64 s[2:3], -1
.LBB1361_232:
	s_and_b64 s[2:3], s[2:3], exec
.LBB1361_233:
	s_or_b64 exec, exec, s[24:25]
	s_orn2_b64 s[24:25], s[2:3], exec
.LBB1361_234:
	s_or_b64 exec, exec, s[26:27]
	v_cndmask_b32_e64 v6, v39, v40, s[24:25]
	v_cndmask_b32_e64 v7, v27, v26, s[24:25]
	v_add_u32_e32 v8, 1, v6
	v_add_u32_e32 v6, -1, v7
	v_min_u32_e32 v6, v8, v6
	v_lshl_add_u32 v6, v6, 3, v35
	ds_read_b64 v[6:7], v6
	v_cndmask_b32_e64 v43, v8, v39, s[24:25]
	v_cndmask_b32_e64 v44, v40, v8, s[24:25]
	v_cmp_lt_u32_e32 vcc, v43, v27
	s_mov_b64 s[28:29], -1
	s_waitcnt lgkmcnt(0)
	v_cndmask_b32_e64 v12, v7, v10, s[24:25]
	v_cndmask_b32_e64 v24, v6, v17, s[24:25]
	;; [unrolled: 1-line block ×4, first 2 shown]
	s_mov_b64 s[26:27], -1
	s_and_saveexec_b64 s[30:31], vcc
	s_cbranch_execz .LBB1361_245
; %bb.235:
	v_cmp_lt_u32_e32 vcc, v44, v26
	s_mov_b64 s[2:3], 0
	s_and_saveexec_b64 s[26:27], vcc
	s_cbranch_execz .LBB1361_244
; %bb.236:
	s_and_b64 vcc, exec, s[0:1]
	s_cbranch_vccnz .LBB1361_242
; %bb.237:
	v_mul_lo_u32 v8, v12, s36
	v_mul_lo_u32 v9, v24, s37
	v_mad_u64_u32 v[6:7], s[2:3], v24, s36, 0
	v_add3_u32 v7, v7, v9, v8
	v_mul_lo_u32 v39, v13, s36
	v_mul_lo_u32 v40, v25, s37
	v_mad_u64_u32 v[8:9], s[2:3], v25, s36, 0
	v_add3_u32 v9, v9, v40, v39
	v_lshl_add_u64 v[6:7], v[6:7], 1, s[38:39]
	v_lshl_add_u64 v[8:9], v[8:9], 1, s[38:39]
	s_mov_b64 s[40:41], 0
	s_mov_b64 s[46:47], s[36:37]
                                        ; implicit-def: $sgpr42_sgpr43
                                        ; implicit-def: $sgpr44_sgpr45
                                        ; implicit-def: $sgpr2_sgpr3
                                        ; implicit-def: $sgpr48_sgpr49
	s_branch .LBB1361_239
.LBB1361_238:                           ;   in Loop: Header=BB1361_239 Depth=1
	s_or_b64 exec, exec, s[52:53]
	s_and_b64 s[4:5], exec, s[44:45]
	s_or_b64 s[40:41], s[4:5], s[40:41]
	s_andn2_b64 s[4:5], s[48:49], exec
	s_and_b64 s[48:49], s[50:51], exec
	s_or_b64 s[48:49], s[4:5], s[48:49]
	s_andn2_b64 s[4:5], s[42:43], exec
	s_and_b64 s[42:43], s[2:3], exec
	s_or_b64 s[42:43], s[4:5], s[42:43]
	s_andn2_b64 exec, exec, s[40:41]
	s_cbranch_execz .LBB1361_241
.LBB1361_239:                           ; =>This Inner Loop Header: Depth=1
	global_load_ushort v39, v[6:7], off
	global_load_ushort v40, v[8:9], off
	s_andn2_b64 s[52:53], s[2:3], exec
	s_or_b64 s[44:45], s[44:45], exec
	s_waitcnt vmcnt(0)
	v_cmp_le_u16_e64 s[2:3], v39, v40
	v_cmp_lt_u16_e32 vcc, v39, v40
	s_and_b64 s[2:3], s[2:3], s[48:49]
	s_or_b64 s[50:51], vcc, s[2:3]
	s_and_b64 s[2:3], s[50:51], exec
	v_cmp_eq_u16_e64 s[4:5], v39, v40
	s_or_b64 s[2:3], s[52:53], s[2:3]
	s_and_saveexec_b64 s[52:53], s[4:5]
	s_cbranch_execz .LBB1361_238
; %bb.240:                              ;   in Loop: Header=BB1361_239 Depth=1
	s_add_u32 s46, s46, -1
	s_addc_u32 s47, s47, -1
	s_cmp_eq_u64 s[46:47], 0
	s_cselect_b64 s[4:5], -1, 0
	s_andn2_b64 s[44:45], s[44:45], exec
	s_and_b64 s[4:5], s[4:5], exec
	v_lshl_add_u64 v[6:7], v[6:7], 0, 2
	v_lshl_add_u64 v[8:9], v[8:9], 0, 2
	s_andn2_b64 s[2:3], s[2:3], exec
	s_or_b64 s[44:45], s[44:45], s[4:5]
                                        ; implicit-def: $sgpr48_sgpr49
	s_branch .LBB1361_238
.LBB1361_241:
	s_or_b64 exec, exec, s[40:41]
	s_xor_b64 s[2:3], s[42:43], -1
	s_branch .LBB1361_243
.LBB1361_242:
	s_mov_b64 s[2:3], -1
.LBB1361_243:
	s_and_b64 s[2:3], s[2:3], exec
.LBB1361_244:
	s_or_b64 exec, exec, s[26:27]
	s_orn2_b64 s[26:27], s[2:3], exec
.LBB1361_245:
	s_or_b64 exec, exec, s[30:31]
	v_cndmask_b32_e64 v6, v43, v44, s[26:27]
	v_cndmask_b32_e64 v7, v27, v26, s[26:27]
	v_add_u32_e32 v8, 1, v6
	v_add_u32_e32 v6, -1, v7
	v_min_u32_e32 v6, v8, v6
	v_lshl_add_u32 v6, v6, 3, v35
	ds_read_b64 v[6:7], v6
	v_cndmask_b32_e64 v47, v8, v43, s[26:27]
	v_cndmask_b32_e64 v48, v44, v8, s[26:27]
	v_cmp_lt_u32_e32 vcc, v47, v27
	s_waitcnt lgkmcnt(0)
	v_cndmask_b32_e64 v39, v7, v12, s[26:27]
	v_cndmask_b32_e64 v40, v6, v24, s[26:27]
	;; [unrolled: 1-line block ×4, first 2 shown]
	s_and_saveexec_b64 s[30:31], vcc
	s_cbranch_execz .LBB1361_256
; %bb.246:
	v_cmp_lt_u32_e32 vcc, v48, v26
	s_mov_b64 s[2:3], 0
	s_and_saveexec_b64 s[28:29], vcc
	s_cbranch_execz .LBB1361_255
; %bb.247:
	s_and_b64 vcc, exec, s[0:1]
	s_cbranch_vccnz .LBB1361_253
; %bb.248:
	v_mul_lo_u32 v8, v39, s36
	v_mul_lo_u32 v9, v40, s37
	v_mad_u64_u32 v[6:7], s[2:3], v40, s36, 0
	v_add3_u32 v7, v7, v9, v8
	v_mul_lo_u32 v43, v41, s36
	v_mul_lo_u32 v44, v42, s37
	v_mad_u64_u32 v[8:9], s[2:3], v42, s36, 0
	v_add3_u32 v9, v9, v44, v43
	v_lshl_add_u64 v[6:7], v[6:7], 1, s[38:39]
	v_lshl_add_u64 v[8:9], v[8:9], 1, s[38:39]
	s_mov_b64 s[40:41], 0
	s_mov_b64 s[46:47], s[36:37]
                                        ; implicit-def: $sgpr42_sgpr43
                                        ; implicit-def: $sgpr44_sgpr45
                                        ; implicit-def: $sgpr2_sgpr3
                                        ; implicit-def: $sgpr48_sgpr49
	s_branch .LBB1361_250
.LBB1361_249:                           ;   in Loop: Header=BB1361_250 Depth=1
	s_or_b64 exec, exec, s[52:53]
	s_and_b64 s[4:5], exec, s[44:45]
	s_or_b64 s[40:41], s[4:5], s[40:41]
	s_andn2_b64 s[4:5], s[48:49], exec
	s_and_b64 s[48:49], s[50:51], exec
	s_or_b64 s[48:49], s[4:5], s[48:49]
	s_andn2_b64 s[4:5], s[42:43], exec
	s_and_b64 s[42:43], s[2:3], exec
	s_or_b64 s[42:43], s[4:5], s[42:43]
	s_andn2_b64 exec, exec, s[40:41]
	s_cbranch_execz .LBB1361_252
.LBB1361_250:                           ; =>This Inner Loop Header: Depth=1
	global_load_ushort v43, v[6:7], off
	global_load_ushort v44, v[8:9], off
	s_andn2_b64 s[52:53], s[2:3], exec
	s_or_b64 s[44:45], s[44:45], exec
	s_waitcnt vmcnt(0)
	v_cmp_le_u16_e64 s[2:3], v43, v44
	v_cmp_lt_u16_e32 vcc, v43, v44
	s_and_b64 s[2:3], s[2:3], s[48:49]
	s_or_b64 s[50:51], vcc, s[2:3]
	s_and_b64 s[2:3], s[50:51], exec
	v_cmp_eq_u16_e64 s[4:5], v43, v44
	s_or_b64 s[2:3], s[52:53], s[2:3]
	s_and_saveexec_b64 s[52:53], s[4:5]
	s_cbranch_execz .LBB1361_249
; %bb.251:                              ;   in Loop: Header=BB1361_250 Depth=1
	s_add_u32 s46, s46, -1
	s_addc_u32 s47, s47, -1
	s_cmp_eq_u64 s[46:47], 0
	s_cselect_b64 s[4:5], -1, 0
	s_andn2_b64 s[44:45], s[44:45], exec
	s_and_b64 s[4:5], s[4:5], exec
	v_lshl_add_u64 v[6:7], v[6:7], 0, 2
	v_lshl_add_u64 v[8:9], v[8:9], 0, 2
	s_andn2_b64 s[2:3], s[2:3], exec
	s_or_b64 s[44:45], s[44:45], s[4:5]
                                        ; implicit-def: $sgpr48_sgpr49
	s_branch .LBB1361_249
.LBB1361_252:
	s_or_b64 exec, exec, s[40:41]
	s_xor_b64 s[2:3], s[42:43], -1
	s_branch .LBB1361_254
.LBB1361_253:
	s_mov_b64 s[2:3], -1
.LBB1361_254:
	s_and_b64 s[2:3], s[2:3], exec
.LBB1361_255:
	s_or_b64 exec, exec, s[28:29]
	s_orn2_b64 s[28:29], s[2:3], exec
.LBB1361_256:
	s_or_b64 exec, exec, s[30:31]
	v_cndmask_b32_e64 v6, v47, v48, s[28:29]
	v_cndmask_b32_e64 v7, v27, v26, s[28:29]
	v_add_u32_e32 v8, 1, v6
	v_add_u32_e32 v6, -1, v7
	v_min_u32_e32 v6, v8, v6
	v_lshl_add_u32 v6, v6, 3, v35
	ds_read_b64 v[6:7], v6
	v_cndmask_b32_e64 v49, v8, v47, s[28:29]
	v_cndmask_b32_e64 v53, v48, v8, s[28:29]
	v_cmp_lt_u32_e32 vcc, v49, v27
	s_mov_b64 s[30:31], -1
	s_waitcnt lgkmcnt(0)
	v_cndmask_b32_e64 v43, v7, v39, s[28:29]
	v_cndmask_b32_e64 v44, v6, v40, s[28:29]
	;; [unrolled: 1-line block ×4, first 2 shown]
	s_mov_b64 s[40:41], -1
	s_and_saveexec_b64 s[42:43], vcc
	s_cbranch_execz .LBB1361_267
; %bb.257:
	v_cmp_lt_u32_e32 vcc, v53, v26
	s_mov_b64 s[2:3], 0
	s_and_saveexec_b64 s[40:41], vcc
	s_cbranch_execz .LBB1361_266
; %bb.258:
	s_and_b64 vcc, exec, s[0:1]
	s_cbranch_vccnz .LBB1361_264
; %bb.259:
	v_mul_lo_u32 v8, v43, s36
	v_mul_lo_u32 v9, v44, s37
	v_mad_u64_u32 v[6:7], s[2:3], v44, s36, 0
	v_add3_u32 v7, v7, v9, v8
	v_mul_lo_u32 v47, v45, s36
	v_mul_lo_u32 v48, v46, s37
	v_mad_u64_u32 v[8:9], s[2:3], v46, s36, 0
	v_add3_u32 v9, v9, v48, v47
	v_lshl_add_u64 v[6:7], v[6:7], 1, s[38:39]
	v_lshl_add_u64 v[8:9], v[8:9], 1, s[38:39]
	s_mov_b64 s[44:45], 0
	s_mov_b64 s[50:51], s[36:37]
                                        ; implicit-def: $sgpr46_sgpr47
                                        ; implicit-def: $sgpr48_sgpr49
                                        ; implicit-def: $sgpr2_sgpr3
                                        ; implicit-def: $sgpr52_sgpr53
	s_branch .LBB1361_261
.LBB1361_260:                           ;   in Loop: Header=BB1361_261 Depth=1
	s_or_b64 exec, exec, s[56:57]
	s_and_b64 s[4:5], exec, s[48:49]
	s_or_b64 s[44:45], s[4:5], s[44:45]
	s_andn2_b64 s[4:5], s[52:53], exec
	s_and_b64 s[52:53], s[54:55], exec
	s_or_b64 s[52:53], s[4:5], s[52:53]
	s_andn2_b64 s[4:5], s[46:47], exec
	s_and_b64 s[46:47], s[2:3], exec
	s_or_b64 s[46:47], s[4:5], s[46:47]
	s_andn2_b64 exec, exec, s[44:45]
	s_cbranch_execz .LBB1361_263
.LBB1361_261:                           ; =>This Inner Loop Header: Depth=1
	global_load_ushort v47, v[6:7], off
	global_load_ushort v48, v[8:9], off
	s_andn2_b64 s[56:57], s[2:3], exec
	s_or_b64 s[48:49], s[48:49], exec
	s_waitcnt vmcnt(0)
	v_cmp_le_u16_e64 s[2:3], v47, v48
	v_cmp_lt_u16_e32 vcc, v47, v48
	s_and_b64 s[2:3], s[2:3], s[52:53]
	s_or_b64 s[54:55], vcc, s[2:3]
	s_and_b64 s[2:3], s[54:55], exec
	v_cmp_eq_u16_e64 s[4:5], v47, v48
	s_or_b64 s[2:3], s[56:57], s[2:3]
	s_and_saveexec_b64 s[56:57], s[4:5]
	s_cbranch_execz .LBB1361_260
; %bb.262:                              ;   in Loop: Header=BB1361_261 Depth=1
	s_add_u32 s50, s50, -1
	s_addc_u32 s51, s51, -1
	s_cmp_eq_u64 s[50:51], 0
	s_cselect_b64 s[4:5], -1, 0
	s_andn2_b64 s[48:49], s[48:49], exec
	s_and_b64 s[4:5], s[4:5], exec
	v_lshl_add_u64 v[6:7], v[6:7], 0, 2
	v_lshl_add_u64 v[8:9], v[8:9], 0, 2
	s_andn2_b64 s[2:3], s[2:3], exec
	s_or_b64 s[48:49], s[48:49], s[4:5]
                                        ; implicit-def: $sgpr52_sgpr53
	s_branch .LBB1361_260
.LBB1361_263:
	s_or_b64 exec, exec, s[44:45]
	s_xor_b64 s[2:3], s[46:47], -1
	s_branch .LBB1361_265
.LBB1361_264:
	s_mov_b64 s[2:3], -1
.LBB1361_265:
	s_and_b64 s[2:3], s[2:3], exec
.LBB1361_266:
	s_or_b64 exec, exec, s[40:41]
	s_orn2_b64 s[40:41], s[2:3], exec
.LBB1361_267:
	s_or_b64 exec, exec, s[42:43]
	v_cndmask_b32_e64 v6, v49, v53, s[40:41]
	v_cndmask_b32_e64 v7, v27, v26, s[40:41]
	v_add_u32_e32 v8, 1, v6
	v_add_u32_e32 v6, -1, v7
	v_min_u32_e32 v6, v8, v6
	v_lshl_add_u32 v6, v6, 3, v35
	ds_read_b64 v[6:7], v6
	v_cndmask_b32_e64 v50, v8, v49, s[40:41]
	v_cndmask_b32_e64 v49, v53, v8, s[40:41]
	v_cmp_lt_u32_e32 vcc, v50, v27
	s_waitcnt lgkmcnt(0)
	v_cndmask_b32_e64 v47, v7, v43, s[40:41]
	v_cndmask_b32_e64 v48, v6, v44, s[40:41]
	;; [unrolled: 1-line block ×4, first 2 shown]
	s_and_saveexec_b64 s[42:43], vcc
	s_cbranch_execz .LBB1361_278
; %bb.268:
	v_cmp_lt_u32_e32 vcc, v49, v26
	s_mov_b64 s[2:3], 0
	s_and_saveexec_b64 s[30:31], vcc
	s_cbranch_execz .LBB1361_277
; %bb.269:
	s_and_b64 vcc, exec, s[0:1]
	s_cbranch_vccnz .LBB1361_275
; %bb.270:
	v_mul_lo_u32 v8, v47, s36
	v_mul_lo_u32 v9, v48, s37
	v_mad_u64_u32 v[6:7], s[2:3], v48, s36, 0
	v_add3_u32 v7, v7, v9, v8
	v_mul_lo_u32 v53, v51, s36
	v_mul_lo_u32 v54, v52, s37
	v_mad_u64_u32 v[8:9], s[2:3], v52, s36, 0
	v_add3_u32 v9, v9, v54, v53
	v_lshl_add_u64 v[6:7], v[6:7], 1, s[38:39]
	v_lshl_add_u64 v[8:9], v[8:9], 1, s[38:39]
	s_mov_b64 s[44:45], 0
	s_mov_b64 s[50:51], s[36:37]
                                        ; implicit-def: $sgpr46_sgpr47
                                        ; implicit-def: $sgpr48_sgpr49
                                        ; implicit-def: $sgpr2_sgpr3
                                        ; implicit-def: $sgpr52_sgpr53
	s_branch .LBB1361_272
.LBB1361_271:                           ;   in Loop: Header=BB1361_272 Depth=1
	s_or_b64 exec, exec, s[56:57]
	s_and_b64 s[4:5], exec, s[48:49]
	s_or_b64 s[44:45], s[4:5], s[44:45]
	s_andn2_b64 s[4:5], s[52:53], exec
	s_and_b64 s[52:53], s[54:55], exec
	s_or_b64 s[52:53], s[4:5], s[52:53]
	s_andn2_b64 s[4:5], s[46:47], exec
	s_and_b64 s[46:47], s[2:3], exec
	s_or_b64 s[46:47], s[4:5], s[46:47]
	s_andn2_b64 exec, exec, s[44:45]
	s_cbranch_execz .LBB1361_274
.LBB1361_272:                           ; =>This Inner Loop Header: Depth=1
	global_load_ushort v53, v[6:7], off
	global_load_ushort v54, v[8:9], off
	s_andn2_b64 s[56:57], s[2:3], exec
	s_or_b64 s[48:49], s[48:49], exec
	s_waitcnt vmcnt(0)
	v_cmp_le_u16_e64 s[2:3], v53, v54
	v_cmp_lt_u16_e32 vcc, v53, v54
	s_and_b64 s[2:3], s[2:3], s[52:53]
	s_or_b64 s[54:55], vcc, s[2:3]
	s_and_b64 s[2:3], s[54:55], exec
	v_cmp_eq_u16_e64 s[4:5], v53, v54
	s_or_b64 s[2:3], s[56:57], s[2:3]
	s_and_saveexec_b64 s[56:57], s[4:5]
	s_cbranch_execz .LBB1361_271
; %bb.273:                              ;   in Loop: Header=BB1361_272 Depth=1
	s_add_u32 s50, s50, -1
	s_addc_u32 s51, s51, -1
	s_cmp_eq_u64 s[50:51], 0
	s_cselect_b64 s[4:5], -1, 0
	s_andn2_b64 s[48:49], s[48:49], exec
	s_and_b64 s[4:5], s[4:5], exec
	v_lshl_add_u64 v[6:7], v[6:7], 0, 2
	v_lshl_add_u64 v[8:9], v[8:9], 0, 2
	s_andn2_b64 s[2:3], s[2:3], exec
	s_or_b64 s[48:49], s[48:49], s[4:5]
                                        ; implicit-def: $sgpr52_sgpr53
	s_branch .LBB1361_271
.LBB1361_274:
	s_or_b64 exec, exec, s[44:45]
	s_xor_b64 s[2:3], s[46:47], -1
	s_branch .LBB1361_276
.LBB1361_275:
	s_mov_b64 s[2:3], -1
.LBB1361_276:
	s_and_b64 s[2:3], s[2:3], exec
.LBB1361_277:
	s_or_b64 exec, exec, s[30:31]
	s_orn2_b64 s[30:31], s[2:3], exec
.LBB1361_278:
	s_or_b64 exec, exec, s[42:43]
	v_cndmask_b32_e64 v11, v10, v11, s[24:25]
	v_cndmask_b32_e64 v10, v17, v23, s[24:25]
	;; [unrolled: 1-line block ×8, first 2 shown]
	v_add_u32_e32 v24, 1, v14
	v_add_u32_e32 v14, -1, v15
	v_min_u32_e32 v14, v24, v14
	v_lshl_add_u32 v14, v14, 3, v35
	ds_read_b64 v[22:23], v14
	v_cndmask_b32_e64 v25, v24, v50, s[30:31]
	v_cndmask_b32_e64 v9, v43, v45, s[40:41]
	;; [unrolled: 1-line block ×9, first 2 shown]
	s_waitcnt lgkmcnt(0)
	v_cndmask_b32_e64 v5, v51, v23, s[30:31]
	v_cndmask_b32_e64 v4, v52, v22, s[30:31]
	v_cmp_lt_u32_e32 vcc, v25, v27
	s_and_saveexec_b64 s[12:13], vcc
	s_cbranch_execz .LBB1361_288
; %bb.279:
	v_cndmask_b32_e64 v24, v49, v24, s[30:31]
	v_cndmask_b32_e64 v23, v23, v47, s[30:31]
	v_cndmask_b32_e64 v22, v22, v48, s[30:31]
	v_cmp_lt_u32_e32 vcc, v24, v26
	s_and_saveexec_b64 s[22:23], vcc
	s_cbranch_execz .LBB1361_287
; %bb.280:
	s_and_b64 vcc, exec, s[0:1]
	s_cbranch_vccnz .LBB1361_286
; %bb.281:
	v_mul_lo_u32 v26, v23, s36
	v_mul_lo_u32 v27, v22, s37
	v_mad_u64_u32 v[24:25], s[2:3], v22, s36, 0
	v_add3_u32 v25, v25, v27, v26
	v_mul_lo_u32 v39, v5, s36
	v_mul_lo_u32 v40, v4, s37
	v_mad_u64_u32 v[26:27], s[2:3], v4, s36, 0
	v_add3_u32 v27, v27, v40, v39
	v_lshl_add_u64 v[24:25], v[24:25], 1, s[38:39]
	v_lshl_add_u64 v[26:27], v[26:27], 1, s[38:39]
	s_mov_b64 s[24:25], 0
	s_mov_b64 s[30:31], s[36:37]
                                        ; implicit-def: $sgpr26_sgpr27
                                        ; implicit-def: $sgpr28_sgpr29
                                        ; implicit-def: $sgpr2_sgpr3
                                        ; implicit-def: $sgpr40_sgpr41
	s_branch .LBB1361_283
.LBB1361_282:                           ;   in Loop: Header=BB1361_283 Depth=1
	s_or_b64 exec, exec, s[44:45]
	s_and_b64 s[4:5], exec, s[28:29]
	s_or_b64 s[24:25], s[4:5], s[24:25]
	s_andn2_b64 s[4:5], s[40:41], exec
	s_and_b64 s[40:41], s[42:43], exec
	s_or_b64 s[40:41], s[4:5], s[40:41]
	s_andn2_b64 s[4:5], s[26:27], exec
	s_and_b64 s[26:27], s[2:3], exec
	s_or_b64 s[26:27], s[4:5], s[26:27]
	s_andn2_b64 exec, exec, s[24:25]
	s_cbranch_execz .LBB1361_285
.LBB1361_283:                           ; =>This Inner Loop Header: Depth=1
	global_load_ushort v39, v[24:25], off
	global_load_ushort v40, v[26:27], off
	s_andn2_b64 s[44:45], s[2:3], exec
	s_or_b64 s[28:29], s[28:29], exec
	s_waitcnt vmcnt(0)
	v_cmp_le_u16_e64 s[2:3], v39, v40
	v_cmp_lt_u16_e32 vcc, v39, v40
	s_and_b64 s[2:3], s[2:3], s[40:41]
	s_or_b64 s[42:43], vcc, s[2:3]
	s_and_b64 s[2:3], s[42:43], exec
	v_cmp_eq_u16_e64 s[4:5], v39, v40
	s_or_b64 s[2:3], s[44:45], s[2:3]
	s_and_saveexec_b64 s[44:45], s[4:5]
	s_cbranch_execz .LBB1361_282
; %bb.284:                              ;   in Loop: Header=BB1361_283 Depth=1
	s_add_u32 s30, s30, -1
	s_addc_u32 s31, s31, -1
	s_cmp_eq_u64 s[30:31], 0
	s_cselect_b64 s[4:5], -1, 0
	s_andn2_b64 s[28:29], s[28:29], exec
	s_and_b64 s[4:5], s[4:5], exec
	v_lshl_add_u64 v[24:25], v[24:25], 0, 2
	v_lshl_add_u64 v[26:27], v[26:27], 0, 2
	s_andn2_b64 s[2:3], s[2:3], exec
	s_or_b64 s[28:29], s[28:29], s[4:5]
                                        ; implicit-def: $sgpr40_sgpr41
	s_branch .LBB1361_282
.LBB1361_285:
	s_or_b64 exec, exec, s[24:25]
	v_cndmask_b32_e64 v5, v5, v23, s[26:27]
	v_cndmask_b32_e64 v4, v4, v22, s[26:27]
.LBB1361_286:
	v_mov_b64_e32 v[22:23], v[4:5]
.LBB1361_287:
	s_or_b64 exec, exec, s[22:23]
	v_mov_b64_e32 v[4:5], v[22:23]
.LBB1361_288:
	s_or_b64 exec, exec, s[12:13]
.LBB1361_289:
	s_or_b64 exec, exec, s[10:11]
	v_and_b32_e32 v41, 0x3e0, v37
	v_or_b32_e32 v22, 16, v41
	v_min_u32_e32 v26, v36, v22
	v_add_u32_e32 v22, 16, v26
	v_min_u32_e32 v27, v36, v22
	v_and_b32_e32 v22, 24, v37
	v_min_u32_e32 v42, v36, v22
	v_sub_u32_e32 v22, v26, v41
	v_sub_u32_e32 v23, v27, v26
	v_sub_u32_e64 v40, v42, v23 clamp
	v_min_u32_e32 v43, v42, v22
	v_lshl_add_u32 v39, v41, 3, v35
	v_cmp_lt_u32_e32 vcc, v40, v43
	; wave barrier
	ds_write_b128 v38, v[14:17]
	ds_write_b128 v38, v[10:13] offset:16
	ds_write_b128 v38, v[6:9] offset:32
	;; [unrolled: 1-line block ×3, first 2 shown]
	; wave barrier
	s_and_saveexec_b64 s[10:11], vcc
	s_cbranch_execz .LBB1361_299
; %bb.290:
	v_lshlrev_b32_e32 v22, 3, v26
	v_lshlrev_b32_e32 v23, 3, v42
	v_add3_u32 v44, v35, v22, v23
	s_lshl_b64 s[22:23], s[36:37], 1
	s_mov_b64 s[12:13], 0
	s_branch .LBB1361_293
.LBB1361_291:                           ;   in Loop: Header=BB1361_293 Depth=1
	s_or_b64 exec, exec, s[26:27]
.LBB1361_292:                           ;   in Loop: Header=BB1361_293 Depth=1
	v_add_u32_e32 v22, 1, v45
	v_cndmask_b32_e64 v43, v43, v45, s[24:25]
	v_cndmask_b32_e64 v40, v22, v40, s[24:25]
	v_cmp_ge_u32_e32 vcc, v40, v43
	s_or_b64 s[12:13], vcc, s[12:13]
	s_andn2_b64 exec, exec, s[12:13]
	s_cbranch_execz .LBB1361_298
.LBB1361_293:                           ; =>This Loop Header: Depth=1
                                        ;     Child Loop BB1361_296 Depth 2
	v_add_u32_e32 v22, v43, v40
	v_lshrrev_b32_e32 v45, 1, v22
	s_and_b64 vcc, exec, s[0:1]
	s_mov_b64 s[24:25], 0
	s_cbranch_vccnz .LBB1361_292
; %bb.294:                              ;   in Loop: Header=BB1361_293 Depth=1
	v_not_b32_e32 v22, v45
	v_lshl_add_u32 v22, v22, 3, v44
	ds_read_b64 v[22:23], v22
	v_lshl_add_u32 v46, v45, 3, v39
	ds_read_b64 v[46:47], v46
	v_mov_b64_e32 v[24:25], s[38:39]
	s_mov_b64 s[26:27], 0
	s_waitcnt lgkmcnt(1)
	v_mul_lo_u32 v48, s22, v23
	v_mul_lo_u32 v49, s23, v22
	v_mad_u64_u32 v[22:23], s[2:3], s22, v22, v[24:25]
	v_add3_u32 v23, v49, v23, v48
	s_waitcnt lgkmcnt(0)
	v_mul_lo_u32 v47, s22, v47
	v_mul_lo_u32 v48, s23, v46
	v_mad_u64_u32 v[24:25], s[2:3], s22, v46, v[24:25]
	v_add3_u32 v25, v48, v25, v47
	s_mov_b64 s[30:31], s[36:37]
                                        ; implicit-def: $sgpr24_sgpr25
                                        ; implicit-def: $sgpr28_sgpr29
                                        ; implicit-def: $sgpr2_sgpr3
                                        ; implicit-def: $sgpr40_sgpr41
	s_branch .LBB1361_296
.LBB1361_295:                           ;   in Loop: Header=BB1361_296 Depth=2
	s_or_b64 exec, exec, s[44:45]
	s_and_b64 s[4:5], exec, s[28:29]
	s_or_b64 s[26:27], s[4:5], s[26:27]
	s_andn2_b64 s[4:5], s[40:41], exec
	s_and_b64 s[40:41], s[42:43], exec
	s_or_b64 s[40:41], s[4:5], s[40:41]
	s_andn2_b64 s[4:5], s[24:25], exec
	s_and_b64 s[24:25], s[2:3], exec
	s_or_b64 s[24:25], s[4:5], s[24:25]
	s_andn2_b64 exec, exec, s[26:27]
	s_cbranch_execz .LBB1361_291
.LBB1361_296:                           ;   Parent Loop BB1361_293 Depth=1
                                        ; =>  This Inner Loop Header: Depth=2
	global_load_ushort v46, v[22:23], off
	global_load_ushort v47, v[24:25], off
	s_andn2_b64 s[44:45], s[2:3], exec
	s_or_b64 s[28:29], s[28:29], exec
	s_waitcnt vmcnt(0)
	v_cmp_le_u16_e64 s[2:3], v46, v47
	v_cmp_lt_u16_e32 vcc, v46, v47
	s_and_b64 s[2:3], s[2:3], s[40:41]
	s_or_b64 s[42:43], vcc, s[2:3]
	s_and_b64 s[2:3], s[42:43], exec
	v_cmp_eq_u16_e64 s[4:5], v46, v47
	s_or_b64 s[2:3], s[44:45], s[2:3]
	s_and_saveexec_b64 s[44:45], s[4:5]
	s_cbranch_execz .LBB1361_295
; %bb.297:                              ;   in Loop: Header=BB1361_296 Depth=2
	s_add_u32 s30, s30, -1
	s_addc_u32 s31, s31, -1
	s_cmp_eq_u64 s[30:31], 0
	s_cselect_b64 s[4:5], -1, 0
	s_andn2_b64 s[28:29], s[28:29], exec
	s_and_b64 s[4:5], s[4:5], exec
	v_lshl_add_u64 v[22:23], v[22:23], 0, 2
	v_lshl_add_u64 v[24:25], v[24:25], 0, 2
	s_andn2_b64 s[2:3], s[2:3], exec
	s_or_b64 s[28:29], s[28:29], s[4:5]
                                        ; implicit-def: $sgpr40_sgpr41
	s_branch .LBB1361_295
.LBB1361_298:
	s_or_b64 exec, exec, s[12:13]
.LBB1361_299:
	s_or_b64 exec, exec, s[10:11]
	v_add_u32_e32 v22, v26, v42
	v_add_u32_e32 v23, v40, v41
	v_sub_u32_e32 v24, v22, v40
	v_cmp_le_u32_e32 vcc, v23, v26
	v_cmp_le_u32_e64 s[2:3], v24, v27
	s_or_b64 s[2:3], vcc, s[2:3]
	s_and_saveexec_b64 s[10:11], s[2:3]
	s_cbranch_execz .LBB1361_390
; %bb.300:
	v_cmp_ge_u32_e32 vcc, v23, v26
	v_cmp_lt_u32_e64 s[2:3], v23, v26
                                        ; implicit-def: $vgpr2_vgpr3
	s_and_saveexec_b64 s[4:5], s[2:3]
; %bb.301:
	v_lshl_add_u32 v2, v40, 3, v39
	ds_read_b64 v[2:3], v2
; %bb.302:
	s_or_b64 exec, exec, s[4:5]
	v_cmp_ge_u32_e64 s[12:13], v24, v27
	v_cmp_lt_u32_e64 s[2:3], v24, v27
                                        ; implicit-def: $vgpr4_vgpr5
	s_and_saveexec_b64 s[4:5], s[2:3]
; %bb.303:
	v_lshl_add_u32 v4, v24, 3, v35
	ds_read_b64 v[4:5], v4
; %bb.304:
	s_or_b64 exec, exec, s[4:5]
	s_nor_b64 s[2:3], vcc, s[12:13]
	s_and_saveexec_b64 s[22:23], s[2:3]
	s_cbranch_execz .LBB1361_313
; %bb.305:
	s_and_b64 vcc, exec, s[0:1]
	s_cbranch_vccnz .LBB1361_311
; %bb.306:
	s_waitcnt lgkmcnt(0)
	v_mul_lo_u32 v8, v5, s36
	v_mul_lo_u32 v9, v4, s37
	v_mad_u64_u32 v[6:7], s[2:3], v4, s36, 0
	v_add3_u32 v7, v7, v9, v8
	v_mul_lo_u32 v10, v3, s36
	v_mul_lo_u32 v11, v2, s37
	v_mad_u64_u32 v[8:9], s[2:3], v2, s36, 0
	v_add3_u32 v9, v9, v11, v10
	v_lshl_add_u64 v[6:7], v[6:7], 1, s[38:39]
	v_lshl_add_u64 v[8:9], v[8:9], 1, s[38:39]
	s_mov_b64 s[24:25], 0
	s_mov_b64 s[30:31], s[36:37]
                                        ; implicit-def: $sgpr26_sgpr27
                                        ; implicit-def: $sgpr28_sgpr29
                                        ; implicit-def: $sgpr2_sgpr3
                                        ; implicit-def: $sgpr40_sgpr41
	s_branch .LBB1361_308
.LBB1361_307:                           ;   in Loop: Header=BB1361_308 Depth=1
	s_or_b64 exec, exec, s[44:45]
	s_and_b64 s[4:5], exec, s[28:29]
	s_or_b64 s[24:25], s[4:5], s[24:25]
	s_andn2_b64 s[4:5], s[40:41], exec
	s_and_b64 s[40:41], s[42:43], exec
	s_or_b64 s[40:41], s[4:5], s[40:41]
	s_andn2_b64 s[4:5], s[26:27], exec
	s_and_b64 s[26:27], s[2:3], exec
	s_or_b64 s[26:27], s[4:5], s[26:27]
	s_andn2_b64 exec, exec, s[24:25]
	s_cbranch_execz .LBB1361_310
.LBB1361_308:                           ; =>This Inner Loop Header: Depth=1
	global_load_ushort v10, v[6:7], off
	global_load_ushort v11, v[8:9], off
	s_andn2_b64 s[44:45], s[2:3], exec
	s_or_b64 s[28:29], s[28:29], exec
	s_waitcnt vmcnt(0)
	v_cmp_le_u16_e64 s[2:3], v10, v11
	v_cmp_lt_u16_e32 vcc, v10, v11
	s_and_b64 s[2:3], s[2:3], s[40:41]
	s_or_b64 s[42:43], vcc, s[2:3]
	s_and_b64 s[2:3], s[42:43], exec
	v_cmp_eq_u16_e64 s[4:5], v10, v11
	s_or_b64 s[2:3], s[44:45], s[2:3]
	s_and_saveexec_b64 s[44:45], s[4:5]
	s_cbranch_execz .LBB1361_307
; %bb.309:                              ;   in Loop: Header=BB1361_308 Depth=1
	s_add_u32 s30, s30, -1
	s_addc_u32 s31, s31, -1
	s_cmp_eq_u64 s[30:31], 0
	s_cselect_b64 s[4:5], -1, 0
	s_andn2_b64 s[28:29], s[28:29], exec
	s_and_b64 s[4:5], s[4:5], exec
	v_lshl_add_u64 v[6:7], v[6:7], 0, 2
	v_lshl_add_u64 v[8:9], v[8:9], 0, 2
	s_andn2_b64 s[2:3], s[2:3], exec
	s_or_b64 s[28:29], s[28:29], s[4:5]
                                        ; implicit-def: $sgpr40_sgpr41
	s_branch .LBB1361_307
.LBB1361_310:
	s_or_b64 exec, exec, s[24:25]
	s_xor_b64 s[2:3], s[26:27], -1
	s_branch .LBB1361_312
.LBB1361_311:
	s_mov_b64 s[2:3], -1
.LBB1361_312:
	s_andn2_b64 s[4:5], s[12:13], exec
	s_and_b64 s[2:3], s[2:3], exec
	s_or_b64 s[12:13], s[4:5], s[2:3]
.LBB1361_313:
	s_or_b64 exec, exec, s[22:23]
	v_cndmask_b32_e64 v6, v24, v23, s[12:13]
	v_cndmask_b32_e64 v7, v27, v26, s[12:13]
	v_add_u32_e32 v8, 1, v6
	v_add_u32_e32 v6, -1, v7
	v_min_u32_e32 v6, v8, v6
	v_lshl_add_u32 v6, v6, 3, v35
	ds_read_b64 v[6:7], v6
	v_cndmask_b32_e64 v12, v8, v24, s[12:13]
	v_cndmask_b32_e64 v13, v23, v8, s[12:13]
	v_cmp_lt_u32_e32 vcc, v12, v27
	s_mov_b64 s[24:25], -1
	s_waitcnt lgkmcnt(0)
	v_cndmask_b32_e64 v14, v7, v5, s[12:13]
	v_cndmask_b32_e64 v15, v6, v4, s[12:13]
	;; [unrolled: 1-line block ×4, first 2 shown]
	s_mov_b64 s[22:23], -1
	s_and_saveexec_b64 s[26:27], vcc
	s_cbranch_execz .LBB1361_324
; %bb.314:
	v_cmp_lt_u32_e32 vcc, v13, v26
	s_mov_b64 s[2:3], 0
	s_and_saveexec_b64 s[22:23], vcc
	s_cbranch_execz .LBB1361_323
; %bb.315:
	s_and_b64 vcc, exec, s[0:1]
	s_cbranch_vccnz .LBB1361_321
; %bb.316:
	v_mul_lo_u32 v8, v14, s36
	v_mul_lo_u32 v9, v15, s37
	v_mad_u64_u32 v[6:7], s[2:3], v15, s36, 0
	v_add3_u32 v7, v7, v9, v8
	v_mul_lo_u32 v10, v16, s36
	v_mul_lo_u32 v11, v22, s37
	v_mad_u64_u32 v[8:9], s[2:3], v22, s36, 0
	v_add3_u32 v9, v9, v11, v10
	v_lshl_add_u64 v[6:7], v[6:7], 1, s[38:39]
	v_lshl_add_u64 v[8:9], v[8:9], 1, s[38:39]
	s_mov_b64 s[28:29], 0
	s_mov_b64 s[42:43], s[36:37]
                                        ; implicit-def: $sgpr30_sgpr31
                                        ; implicit-def: $sgpr40_sgpr41
                                        ; implicit-def: $sgpr2_sgpr3
                                        ; implicit-def: $sgpr44_sgpr45
	s_branch .LBB1361_318
.LBB1361_317:                           ;   in Loop: Header=BB1361_318 Depth=1
	s_or_b64 exec, exec, s[48:49]
	s_and_b64 s[4:5], exec, s[40:41]
	s_or_b64 s[28:29], s[4:5], s[28:29]
	s_andn2_b64 s[4:5], s[44:45], exec
	s_and_b64 s[44:45], s[46:47], exec
	s_or_b64 s[44:45], s[4:5], s[44:45]
	s_andn2_b64 s[4:5], s[30:31], exec
	s_and_b64 s[30:31], s[2:3], exec
	s_or_b64 s[30:31], s[4:5], s[30:31]
	s_andn2_b64 exec, exec, s[28:29]
	s_cbranch_execz .LBB1361_320
.LBB1361_318:                           ; =>This Inner Loop Header: Depth=1
	global_load_ushort v10, v[6:7], off
	global_load_ushort v11, v[8:9], off
	s_andn2_b64 s[48:49], s[2:3], exec
	s_or_b64 s[40:41], s[40:41], exec
	s_waitcnt vmcnt(0)
	v_cmp_le_u16_e64 s[2:3], v10, v11
	v_cmp_lt_u16_e32 vcc, v10, v11
	s_and_b64 s[2:3], s[2:3], s[44:45]
	s_or_b64 s[46:47], vcc, s[2:3]
	s_and_b64 s[2:3], s[46:47], exec
	v_cmp_eq_u16_e64 s[4:5], v10, v11
	s_or_b64 s[2:3], s[48:49], s[2:3]
	s_and_saveexec_b64 s[48:49], s[4:5]
	s_cbranch_execz .LBB1361_317
; %bb.319:                              ;   in Loop: Header=BB1361_318 Depth=1
	s_add_u32 s42, s42, -1
	s_addc_u32 s43, s43, -1
	s_cmp_eq_u64 s[42:43], 0
	s_cselect_b64 s[4:5], -1, 0
	s_andn2_b64 s[40:41], s[40:41], exec
	s_and_b64 s[4:5], s[4:5], exec
	v_lshl_add_u64 v[6:7], v[6:7], 0, 2
	v_lshl_add_u64 v[8:9], v[8:9], 0, 2
	s_andn2_b64 s[2:3], s[2:3], exec
	s_or_b64 s[40:41], s[40:41], s[4:5]
                                        ; implicit-def: $sgpr44_sgpr45
	s_branch .LBB1361_317
.LBB1361_320:
	s_or_b64 exec, exec, s[28:29]
	s_xor_b64 s[2:3], s[30:31], -1
	s_branch .LBB1361_322
.LBB1361_321:
	s_mov_b64 s[2:3], -1
.LBB1361_322:
	s_and_b64 s[2:3], s[2:3], exec
.LBB1361_323:
	s_or_b64 exec, exec, s[22:23]
	s_orn2_b64 s[22:23], s[2:3], exec
.LBB1361_324:
	s_or_b64 exec, exec, s[26:27]
	v_cndmask_b32_e64 v6, v12, v13, s[22:23]
	v_cndmask_b32_e64 v7, v27, v26, s[22:23]
	v_add_u32_e32 v8, 1, v6
	v_add_u32_e32 v6, -1, v7
	v_min_u32_e32 v6, v8, v6
	v_lshl_add_u32 v6, v6, 3, v35
	ds_read_b64 v[6:7], v6
	v_cndmask_b32_e64 v39, v8, v12, s[22:23]
	v_cndmask_b32_e64 v40, v13, v8, s[22:23]
	v_cmp_lt_u32_e32 vcc, v39, v27
	s_waitcnt lgkmcnt(0)
	v_cndmask_b32_e64 v10, v7, v14, s[22:23]
	v_cndmask_b32_e64 v17, v6, v15, s[22:23]
	;; [unrolled: 1-line block ×4, first 2 shown]
	s_and_saveexec_b64 s[26:27], vcc
	s_cbranch_execz .LBB1361_335
; %bb.325:
	v_cmp_lt_u32_e32 vcc, v40, v26
	s_mov_b64 s[2:3], 0
	s_and_saveexec_b64 s[24:25], vcc
	s_cbranch_execz .LBB1361_334
; %bb.326:
	s_and_b64 vcc, exec, s[0:1]
	s_cbranch_vccnz .LBB1361_332
; %bb.327:
	v_mul_lo_u32 v8, v10, s36
	v_mul_lo_u32 v9, v17, s37
	v_mad_u64_u32 v[6:7], s[2:3], v17, s36, 0
	v_add3_u32 v7, v7, v9, v8
	v_mul_lo_u32 v12, v11, s36
	v_mul_lo_u32 v13, v23, s37
	v_mad_u64_u32 v[8:9], s[2:3], v23, s36, 0
	v_add3_u32 v9, v9, v13, v12
	v_lshl_add_u64 v[6:7], v[6:7], 1, s[38:39]
	v_lshl_add_u64 v[8:9], v[8:9], 1, s[38:39]
	s_mov_b64 s[28:29], 0
	s_mov_b64 s[42:43], s[36:37]
                                        ; implicit-def: $sgpr30_sgpr31
                                        ; implicit-def: $sgpr40_sgpr41
                                        ; implicit-def: $sgpr2_sgpr3
                                        ; implicit-def: $sgpr44_sgpr45
	s_branch .LBB1361_329
.LBB1361_328:                           ;   in Loop: Header=BB1361_329 Depth=1
	s_or_b64 exec, exec, s[48:49]
	s_and_b64 s[4:5], exec, s[40:41]
	s_or_b64 s[28:29], s[4:5], s[28:29]
	s_andn2_b64 s[4:5], s[44:45], exec
	s_and_b64 s[44:45], s[46:47], exec
	s_or_b64 s[44:45], s[4:5], s[44:45]
	s_andn2_b64 s[4:5], s[30:31], exec
	s_and_b64 s[30:31], s[2:3], exec
	s_or_b64 s[30:31], s[4:5], s[30:31]
	s_andn2_b64 exec, exec, s[28:29]
	s_cbranch_execz .LBB1361_331
.LBB1361_329:                           ; =>This Inner Loop Header: Depth=1
	global_load_ushort v12, v[6:7], off
	global_load_ushort v13, v[8:9], off
	s_andn2_b64 s[48:49], s[2:3], exec
	s_or_b64 s[40:41], s[40:41], exec
	s_waitcnt vmcnt(0)
	v_cmp_le_u16_e64 s[2:3], v12, v13
	v_cmp_lt_u16_e32 vcc, v12, v13
	s_and_b64 s[2:3], s[2:3], s[44:45]
	s_or_b64 s[46:47], vcc, s[2:3]
	s_and_b64 s[2:3], s[46:47], exec
	v_cmp_eq_u16_e64 s[4:5], v12, v13
	s_or_b64 s[2:3], s[48:49], s[2:3]
	s_and_saveexec_b64 s[48:49], s[4:5]
	s_cbranch_execz .LBB1361_328
; %bb.330:                              ;   in Loop: Header=BB1361_329 Depth=1
	s_add_u32 s42, s42, -1
	s_addc_u32 s43, s43, -1
	s_cmp_eq_u64 s[42:43], 0
	s_cselect_b64 s[4:5], -1, 0
	s_andn2_b64 s[40:41], s[40:41], exec
	s_and_b64 s[4:5], s[4:5], exec
	v_lshl_add_u64 v[6:7], v[6:7], 0, 2
	v_lshl_add_u64 v[8:9], v[8:9], 0, 2
	s_andn2_b64 s[2:3], s[2:3], exec
	s_or_b64 s[40:41], s[40:41], s[4:5]
                                        ; implicit-def: $sgpr44_sgpr45
	s_branch .LBB1361_328
.LBB1361_331:
	s_or_b64 exec, exec, s[28:29]
	s_xor_b64 s[2:3], s[30:31], -1
	s_branch .LBB1361_333
.LBB1361_332:
	s_mov_b64 s[2:3], -1
.LBB1361_333:
	s_and_b64 s[2:3], s[2:3], exec
.LBB1361_334:
	s_or_b64 exec, exec, s[24:25]
	s_orn2_b64 s[24:25], s[2:3], exec
.LBB1361_335:
	s_or_b64 exec, exec, s[26:27]
	v_cndmask_b32_e64 v6, v39, v40, s[24:25]
	v_cndmask_b32_e64 v7, v27, v26, s[24:25]
	v_add_u32_e32 v8, 1, v6
	v_add_u32_e32 v6, -1, v7
	v_min_u32_e32 v6, v8, v6
	v_lshl_add_u32 v6, v6, 3, v35
	ds_read_b64 v[6:7], v6
	v_cndmask_b32_e64 v43, v8, v39, s[24:25]
	v_cndmask_b32_e64 v44, v40, v8, s[24:25]
	v_cmp_lt_u32_e32 vcc, v43, v27
	s_mov_b64 s[28:29], -1
	s_waitcnt lgkmcnt(0)
	v_cndmask_b32_e64 v12, v7, v10, s[24:25]
	v_cndmask_b32_e64 v24, v6, v17, s[24:25]
	;; [unrolled: 1-line block ×4, first 2 shown]
	s_mov_b64 s[26:27], -1
	s_and_saveexec_b64 s[30:31], vcc
	s_cbranch_execz .LBB1361_346
; %bb.336:
	v_cmp_lt_u32_e32 vcc, v44, v26
	s_mov_b64 s[2:3], 0
	s_and_saveexec_b64 s[26:27], vcc
	s_cbranch_execz .LBB1361_345
; %bb.337:
	s_and_b64 vcc, exec, s[0:1]
	s_cbranch_vccnz .LBB1361_343
; %bb.338:
	v_mul_lo_u32 v8, v12, s36
	v_mul_lo_u32 v9, v24, s37
	v_mad_u64_u32 v[6:7], s[2:3], v24, s36, 0
	v_add3_u32 v7, v7, v9, v8
	v_mul_lo_u32 v39, v13, s36
	v_mul_lo_u32 v40, v25, s37
	v_mad_u64_u32 v[8:9], s[2:3], v25, s36, 0
	v_add3_u32 v9, v9, v40, v39
	v_lshl_add_u64 v[6:7], v[6:7], 1, s[38:39]
	v_lshl_add_u64 v[8:9], v[8:9], 1, s[38:39]
	s_mov_b64 s[40:41], 0
	s_mov_b64 s[46:47], s[36:37]
                                        ; implicit-def: $sgpr42_sgpr43
                                        ; implicit-def: $sgpr44_sgpr45
                                        ; implicit-def: $sgpr2_sgpr3
                                        ; implicit-def: $sgpr48_sgpr49
	s_branch .LBB1361_340
.LBB1361_339:                           ;   in Loop: Header=BB1361_340 Depth=1
	s_or_b64 exec, exec, s[52:53]
	s_and_b64 s[4:5], exec, s[44:45]
	s_or_b64 s[40:41], s[4:5], s[40:41]
	s_andn2_b64 s[4:5], s[48:49], exec
	s_and_b64 s[48:49], s[50:51], exec
	s_or_b64 s[48:49], s[4:5], s[48:49]
	s_andn2_b64 s[4:5], s[42:43], exec
	s_and_b64 s[42:43], s[2:3], exec
	s_or_b64 s[42:43], s[4:5], s[42:43]
	s_andn2_b64 exec, exec, s[40:41]
	s_cbranch_execz .LBB1361_342
.LBB1361_340:                           ; =>This Inner Loop Header: Depth=1
	global_load_ushort v39, v[6:7], off
	global_load_ushort v40, v[8:9], off
	s_andn2_b64 s[52:53], s[2:3], exec
	s_or_b64 s[44:45], s[44:45], exec
	s_waitcnt vmcnt(0)
	v_cmp_le_u16_e64 s[2:3], v39, v40
	v_cmp_lt_u16_e32 vcc, v39, v40
	s_and_b64 s[2:3], s[2:3], s[48:49]
	s_or_b64 s[50:51], vcc, s[2:3]
	s_and_b64 s[2:3], s[50:51], exec
	v_cmp_eq_u16_e64 s[4:5], v39, v40
	s_or_b64 s[2:3], s[52:53], s[2:3]
	s_and_saveexec_b64 s[52:53], s[4:5]
	s_cbranch_execz .LBB1361_339
; %bb.341:                              ;   in Loop: Header=BB1361_340 Depth=1
	s_add_u32 s46, s46, -1
	s_addc_u32 s47, s47, -1
	s_cmp_eq_u64 s[46:47], 0
	s_cselect_b64 s[4:5], -1, 0
	s_andn2_b64 s[44:45], s[44:45], exec
	s_and_b64 s[4:5], s[4:5], exec
	v_lshl_add_u64 v[6:7], v[6:7], 0, 2
	v_lshl_add_u64 v[8:9], v[8:9], 0, 2
	s_andn2_b64 s[2:3], s[2:3], exec
	s_or_b64 s[44:45], s[44:45], s[4:5]
                                        ; implicit-def: $sgpr48_sgpr49
	s_branch .LBB1361_339
.LBB1361_342:
	s_or_b64 exec, exec, s[40:41]
	s_xor_b64 s[2:3], s[42:43], -1
	s_branch .LBB1361_344
.LBB1361_343:
	s_mov_b64 s[2:3], -1
.LBB1361_344:
	s_and_b64 s[2:3], s[2:3], exec
.LBB1361_345:
	s_or_b64 exec, exec, s[26:27]
	s_orn2_b64 s[26:27], s[2:3], exec
.LBB1361_346:
	s_or_b64 exec, exec, s[30:31]
	v_cndmask_b32_e64 v6, v43, v44, s[26:27]
	v_cndmask_b32_e64 v7, v27, v26, s[26:27]
	v_add_u32_e32 v8, 1, v6
	v_add_u32_e32 v6, -1, v7
	v_min_u32_e32 v6, v8, v6
	v_lshl_add_u32 v6, v6, 3, v35
	ds_read_b64 v[6:7], v6
	v_cndmask_b32_e64 v47, v8, v43, s[26:27]
	v_cndmask_b32_e64 v48, v44, v8, s[26:27]
	v_cmp_lt_u32_e32 vcc, v47, v27
	s_waitcnt lgkmcnt(0)
	v_cndmask_b32_e64 v39, v7, v12, s[26:27]
	v_cndmask_b32_e64 v40, v6, v24, s[26:27]
	;; [unrolled: 1-line block ×4, first 2 shown]
	s_and_saveexec_b64 s[30:31], vcc
	s_cbranch_execz .LBB1361_357
; %bb.347:
	v_cmp_lt_u32_e32 vcc, v48, v26
	s_mov_b64 s[2:3], 0
	s_and_saveexec_b64 s[28:29], vcc
	s_cbranch_execz .LBB1361_356
; %bb.348:
	s_and_b64 vcc, exec, s[0:1]
	s_cbranch_vccnz .LBB1361_354
; %bb.349:
	v_mul_lo_u32 v8, v39, s36
	v_mul_lo_u32 v9, v40, s37
	v_mad_u64_u32 v[6:7], s[2:3], v40, s36, 0
	v_add3_u32 v7, v7, v9, v8
	v_mul_lo_u32 v43, v41, s36
	v_mul_lo_u32 v44, v42, s37
	v_mad_u64_u32 v[8:9], s[2:3], v42, s36, 0
	v_add3_u32 v9, v9, v44, v43
	v_lshl_add_u64 v[6:7], v[6:7], 1, s[38:39]
	v_lshl_add_u64 v[8:9], v[8:9], 1, s[38:39]
	s_mov_b64 s[40:41], 0
	s_mov_b64 s[46:47], s[36:37]
                                        ; implicit-def: $sgpr42_sgpr43
                                        ; implicit-def: $sgpr44_sgpr45
                                        ; implicit-def: $sgpr2_sgpr3
                                        ; implicit-def: $sgpr48_sgpr49
	s_branch .LBB1361_351
.LBB1361_350:                           ;   in Loop: Header=BB1361_351 Depth=1
	s_or_b64 exec, exec, s[52:53]
	s_and_b64 s[4:5], exec, s[44:45]
	s_or_b64 s[40:41], s[4:5], s[40:41]
	s_andn2_b64 s[4:5], s[48:49], exec
	s_and_b64 s[48:49], s[50:51], exec
	s_or_b64 s[48:49], s[4:5], s[48:49]
	s_andn2_b64 s[4:5], s[42:43], exec
	s_and_b64 s[42:43], s[2:3], exec
	s_or_b64 s[42:43], s[4:5], s[42:43]
	s_andn2_b64 exec, exec, s[40:41]
	s_cbranch_execz .LBB1361_353
.LBB1361_351:                           ; =>This Inner Loop Header: Depth=1
	global_load_ushort v43, v[6:7], off
	global_load_ushort v44, v[8:9], off
	s_andn2_b64 s[52:53], s[2:3], exec
	s_or_b64 s[44:45], s[44:45], exec
	s_waitcnt vmcnt(0)
	v_cmp_le_u16_e64 s[2:3], v43, v44
	v_cmp_lt_u16_e32 vcc, v43, v44
	s_and_b64 s[2:3], s[2:3], s[48:49]
	s_or_b64 s[50:51], vcc, s[2:3]
	s_and_b64 s[2:3], s[50:51], exec
	v_cmp_eq_u16_e64 s[4:5], v43, v44
	s_or_b64 s[2:3], s[52:53], s[2:3]
	s_and_saveexec_b64 s[52:53], s[4:5]
	s_cbranch_execz .LBB1361_350
; %bb.352:                              ;   in Loop: Header=BB1361_351 Depth=1
	s_add_u32 s46, s46, -1
	s_addc_u32 s47, s47, -1
	s_cmp_eq_u64 s[46:47], 0
	s_cselect_b64 s[4:5], -1, 0
	s_andn2_b64 s[44:45], s[44:45], exec
	s_and_b64 s[4:5], s[4:5], exec
	v_lshl_add_u64 v[6:7], v[6:7], 0, 2
	v_lshl_add_u64 v[8:9], v[8:9], 0, 2
	s_andn2_b64 s[2:3], s[2:3], exec
	s_or_b64 s[44:45], s[44:45], s[4:5]
                                        ; implicit-def: $sgpr48_sgpr49
	s_branch .LBB1361_350
.LBB1361_353:
	s_or_b64 exec, exec, s[40:41]
	s_xor_b64 s[2:3], s[42:43], -1
	s_branch .LBB1361_355
.LBB1361_354:
	s_mov_b64 s[2:3], -1
.LBB1361_355:
	s_and_b64 s[2:3], s[2:3], exec
.LBB1361_356:
	s_or_b64 exec, exec, s[28:29]
	s_orn2_b64 s[28:29], s[2:3], exec
.LBB1361_357:
	s_or_b64 exec, exec, s[30:31]
	v_cndmask_b32_e64 v6, v47, v48, s[28:29]
	v_cndmask_b32_e64 v7, v27, v26, s[28:29]
	v_add_u32_e32 v8, 1, v6
	v_add_u32_e32 v6, -1, v7
	v_min_u32_e32 v6, v8, v6
	v_lshl_add_u32 v6, v6, 3, v35
	ds_read_b64 v[6:7], v6
	v_cndmask_b32_e64 v49, v8, v47, s[28:29]
	v_cndmask_b32_e64 v53, v48, v8, s[28:29]
	v_cmp_lt_u32_e32 vcc, v49, v27
	s_mov_b64 s[30:31], -1
	s_waitcnt lgkmcnt(0)
	v_cndmask_b32_e64 v43, v7, v39, s[28:29]
	v_cndmask_b32_e64 v44, v6, v40, s[28:29]
	;; [unrolled: 1-line block ×4, first 2 shown]
	s_mov_b64 s[40:41], -1
	s_and_saveexec_b64 s[42:43], vcc
	s_cbranch_execz .LBB1361_368
; %bb.358:
	v_cmp_lt_u32_e32 vcc, v53, v26
	s_mov_b64 s[2:3], 0
	s_and_saveexec_b64 s[40:41], vcc
	s_cbranch_execz .LBB1361_367
; %bb.359:
	s_and_b64 vcc, exec, s[0:1]
	s_cbranch_vccnz .LBB1361_365
; %bb.360:
	v_mul_lo_u32 v8, v43, s36
	v_mul_lo_u32 v9, v44, s37
	v_mad_u64_u32 v[6:7], s[2:3], v44, s36, 0
	v_add3_u32 v7, v7, v9, v8
	v_mul_lo_u32 v47, v45, s36
	v_mul_lo_u32 v48, v46, s37
	v_mad_u64_u32 v[8:9], s[2:3], v46, s36, 0
	v_add3_u32 v9, v9, v48, v47
	v_lshl_add_u64 v[6:7], v[6:7], 1, s[38:39]
	v_lshl_add_u64 v[8:9], v[8:9], 1, s[38:39]
	s_mov_b64 s[44:45], 0
	s_mov_b64 s[50:51], s[36:37]
                                        ; implicit-def: $sgpr46_sgpr47
                                        ; implicit-def: $sgpr48_sgpr49
                                        ; implicit-def: $sgpr2_sgpr3
                                        ; implicit-def: $sgpr52_sgpr53
	s_branch .LBB1361_362
.LBB1361_361:                           ;   in Loop: Header=BB1361_362 Depth=1
	s_or_b64 exec, exec, s[56:57]
	s_and_b64 s[4:5], exec, s[48:49]
	s_or_b64 s[44:45], s[4:5], s[44:45]
	s_andn2_b64 s[4:5], s[52:53], exec
	s_and_b64 s[52:53], s[54:55], exec
	s_or_b64 s[52:53], s[4:5], s[52:53]
	s_andn2_b64 s[4:5], s[46:47], exec
	s_and_b64 s[46:47], s[2:3], exec
	s_or_b64 s[46:47], s[4:5], s[46:47]
	s_andn2_b64 exec, exec, s[44:45]
	s_cbranch_execz .LBB1361_364
.LBB1361_362:                           ; =>This Inner Loop Header: Depth=1
	global_load_ushort v47, v[6:7], off
	global_load_ushort v48, v[8:9], off
	s_andn2_b64 s[56:57], s[2:3], exec
	s_or_b64 s[48:49], s[48:49], exec
	s_waitcnt vmcnt(0)
	v_cmp_le_u16_e64 s[2:3], v47, v48
	v_cmp_lt_u16_e32 vcc, v47, v48
	s_and_b64 s[2:3], s[2:3], s[52:53]
	s_or_b64 s[54:55], vcc, s[2:3]
	s_and_b64 s[2:3], s[54:55], exec
	v_cmp_eq_u16_e64 s[4:5], v47, v48
	s_or_b64 s[2:3], s[56:57], s[2:3]
	s_and_saveexec_b64 s[56:57], s[4:5]
	s_cbranch_execz .LBB1361_361
; %bb.363:                              ;   in Loop: Header=BB1361_362 Depth=1
	s_add_u32 s50, s50, -1
	s_addc_u32 s51, s51, -1
	s_cmp_eq_u64 s[50:51], 0
	s_cselect_b64 s[4:5], -1, 0
	s_andn2_b64 s[48:49], s[48:49], exec
	s_and_b64 s[4:5], s[4:5], exec
	v_lshl_add_u64 v[6:7], v[6:7], 0, 2
	v_lshl_add_u64 v[8:9], v[8:9], 0, 2
	s_andn2_b64 s[2:3], s[2:3], exec
	s_or_b64 s[48:49], s[48:49], s[4:5]
                                        ; implicit-def: $sgpr52_sgpr53
	s_branch .LBB1361_361
.LBB1361_364:
	s_or_b64 exec, exec, s[44:45]
	s_xor_b64 s[2:3], s[46:47], -1
	s_branch .LBB1361_366
.LBB1361_365:
	s_mov_b64 s[2:3], -1
.LBB1361_366:
	s_and_b64 s[2:3], s[2:3], exec
.LBB1361_367:
	s_or_b64 exec, exec, s[40:41]
	s_orn2_b64 s[40:41], s[2:3], exec
.LBB1361_368:
	s_or_b64 exec, exec, s[42:43]
	v_cndmask_b32_e64 v6, v49, v53, s[40:41]
	v_cndmask_b32_e64 v7, v27, v26, s[40:41]
	v_add_u32_e32 v8, 1, v6
	v_add_u32_e32 v6, -1, v7
	v_min_u32_e32 v6, v8, v6
	v_lshl_add_u32 v6, v6, 3, v35
	ds_read_b64 v[6:7], v6
	v_cndmask_b32_e64 v50, v8, v49, s[40:41]
	v_cndmask_b32_e64 v49, v53, v8, s[40:41]
	v_cmp_lt_u32_e32 vcc, v50, v27
	s_waitcnt lgkmcnt(0)
	v_cndmask_b32_e64 v47, v7, v43, s[40:41]
	v_cndmask_b32_e64 v48, v6, v44, s[40:41]
	;; [unrolled: 1-line block ×4, first 2 shown]
	s_and_saveexec_b64 s[42:43], vcc
	s_cbranch_execz .LBB1361_379
; %bb.369:
	v_cmp_lt_u32_e32 vcc, v49, v26
	s_mov_b64 s[2:3], 0
	s_and_saveexec_b64 s[30:31], vcc
	s_cbranch_execz .LBB1361_378
; %bb.370:
	s_and_b64 vcc, exec, s[0:1]
	s_cbranch_vccnz .LBB1361_376
; %bb.371:
	v_mul_lo_u32 v8, v47, s36
	v_mul_lo_u32 v9, v48, s37
	v_mad_u64_u32 v[6:7], s[2:3], v48, s36, 0
	v_add3_u32 v7, v7, v9, v8
	v_mul_lo_u32 v53, v51, s36
	v_mul_lo_u32 v54, v52, s37
	v_mad_u64_u32 v[8:9], s[2:3], v52, s36, 0
	v_add3_u32 v9, v9, v54, v53
	v_lshl_add_u64 v[6:7], v[6:7], 1, s[38:39]
	v_lshl_add_u64 v[8:9], v[8:9], 1, s[38:39]
	s_mov_b64 s[44:45], 0
	s_mov_b64 s[50:51], s[36:37]
                                        ; implicit-def: $sgpr46_sgpr47
                                        ; implicit-def: $sgpr48_sgpr49
                                        ; implicit-def: $sgpr2_sgpr3
                                        ; implicit-def: $sgpr52_sgpr53
	s_branch .LBB1361_373
.LBB1361_372:                           ;   in Loop: Header=BB1361_373 Depth=1
	s_or_b64 exec, exec, s[56:57]
	s_and_b64 s[4:5], exec, s[48:49]
	s_or_b64 s[44:45], s[4:5], s[44:45]
	s_andn2_b64 s[4:5], s[52:53], exec
	s_and_b64 s[52:53], s[54:55], exec
	s_or_b64 s[52:53], s[4:5], s[52:53]
	s_andn2_b64 s[4:5], s[46:47], exec
	s_and_b64 s[46:47], s[2:3], exec
	s_or_b64 s[46:47], s[4:5], s[46:47]
	s_andn2_b64 exec, exec, s[44:45]
	s_cbranch_execz .LBB1361_375
.LBB1361_373:                           ; =>This Inner Loop Header: Depth=1
	global_load_ushort v53, v[6:7], off
	global_load_ushort v54, v[8:9], off
	s_andn2_b64 s[56:57], s[2:3], exec
	s_or_b64 s[48:49], s[48:49], exec
	s_waitcnt vmcnt(0)
	v_cmp_le_u16_e64 s[2:3], v53, v54
	v_cmp_lt_u16_e32 vcc, v53, v54
	s_and_b64 s[2:3], s[2:3], s[52:53]
	s_or_b64 s[54:55], vcc, s[2:3]
	s_and_b64 s[2:3], s[54:55], exec
	v_cmp_eq_u16_e64 s[4:5], v53, v54
	s_or_b64 s[2:3], s[56:57], s[2:3]
	s_and_saveexec_b64 s[56:57], s[4:5]
	s_cbranch_execz .LBB1361_372
; %bb.374:                              ;   in Loop: Header=BB1361_373 Depth=1
	s_add_u32 s50, s50, -1
	s_addc_u32 s51, s51, -1
	s_cmp_eq_u64 s[50:51], 0
	s_cselect_b64 s[4:5], -1, 0
	s_andn2_b64 s[48:49], s[48:49], exec
	s_and_b64 s[4:5], s[4:5], exec
	v_lshl_add_u64 v[6:7], v[6:7], 0, 2
	v_lshl_add_u64 v[8:9], v[8:9], 0, 2
	s_andn2_b64 s[2:3], s[2:3], exec
	s_or_b64 s[48:49], s[48:49], s[4:5]
                                        ; implicit-def: $sgpr52_sgpr53
	s_branch .LBB1361_372
.LBB1361_375:
	s_or_b64 exec, exec, s[44:45]
	s_xor_b64 s[2:3], s[46:47], -1
	s_branch .LBB1361_377
.LBB1361_376:
	s_mov_b64 s[2:3], -1
.LBB1361_377:
	s_and_b64 s[2:3], s[2:3], exec
.LBB1361_378:
	s_or_b64 exec, exec, s[30:31]
	s_orn2_b64 s[30:31], s[2:3], exec
.LBB1361_379:
	s_or_b64 exec, exec, s[42:43]
	v_cndmask_b32_e64 v11, v10, v11, s[24:25]
	v_cndmask_b32_e64 v10, v17, v23, s[24:25]
	;; [unrolled: 1-line block ×8, first 2 shown]
	v_add_u32_e32 v24, 1, v14
	v_add_u32_e32 v14, -1, v15
	v_min_u32_e32 v14, v24, v14
	v_lshl_add_u32 v14, v14, 3, v35
	ds_read_b64 v[22:23], v14
	v_cndmask_b32_e64 v25, v24, v50, s[30:31]
	v_cndmask_b32_e64 v9, v43, v45, s[40:41]
	;; [unrolled: 1-line block ×9, first 2 shown]
	s_waitcnt lgkmcnt(0)
	v_cndmask_b32_e64 v5, v51, v23, s[30:31]
	v_cndmask_b32_e64 v4, v52, v22, s[30:31]
	v_cmp_lt_u32_e32 vcc, v25, v27
	s_and_saveexec_b64 s[12:13], vcc
	s_cbranch_execz .LBB1361_389
; %bb.380:
	v_cndmask_b32_e64 v24, v49, v24, s[30:31]
	v_cndmask_b32_e64 v23, v23, v47, s[30:31]
	;; [unrolled: 1-line block ×3, first 2 shown]
	v_cmp_lt_u32_e32 vcc, v24, v26
	s_and_saveexec_b64 s[22:23], vcc
	s_cbranch_execz .LBB1361_388
; %bb.381:
	s_and_b64 vcc, exec, s[0:1]
	s_cbranch_vccnz .LBB1361_387
; %bb.382:
	v_mul_lo_u32 v26, v23, s36
	v_mul_lo_u32 v27, v22, s37
	v_mad_u64_u32 v[24:25], s[2:3], v22, s36, 0
	v_add3_u32 v25, v25, v27, v26
	v_mul_lo_u32 v39, v5, s36
	v_mul_lo_u32 v40, v4, s37
	v_mad_u64_u32 v[26:27], s[2:3], v4, s36, 0
	v_add3_u32 v27, v27, v40, v39
	v_lshl_add_u64 v[24:25], v[24:25], 1, s[38:39]
	v_lshl_add_u64 v[26:27], v[26:27], 1, s[38:39]
	s_mov_b64 s[24:25], 0
	s_mov_b64 s[30:31], s[36:37]
                                        ; implicit-def: $sgpr26_sgpr27
                                        ; implicit-def: $sgpr28_sgpr29
                                        ; implicit-def: $sgpr2_sgpr3
                                        ; implicit-def: $sgpr40_sgpr41
	s_branch .LBB1361_384
.LBB1361_383:                           ;   in Loop: Header=BB1361_384 Depth=1
	s_or_b64 exec, exec, s[44:45]
	s_and_b64 s[4:5], exec, s[28:29]
	s_or_b64 s[24:25], s[4:5], s[24:25]
	s_andn2_b64 s[4:5], s[40:41], exec
	s_and_b64 s[40:41], s[42:43], exec
	s_or_b64 s[40:41], s[4:5], s[40:41]
	s_andn2_b64 s[4:5], s[26:27], exec
	s_and_b64 s[26:27], s[2:3], exec
	s_or_b64 s[26:27], s[4:5], s[26:27]
	s_andn2_b64 exec, exec, s[24:25]
	s_cbranch_execz .LBB1361_386
.LBB1361_384:                           ; =>This Inner Loop Header: Depth=1
	global_load_ushort v39, v[24:25], off
	global_load_ushort v40, v[26:27], off
	s_andn2_b64 s[44:45], s[2:3], exec
	s_or_b64 s[28:29], s[28:29], exec
	s_waitcnt vmcnt(0)
	v_cmp_le_u16_e64 s[2:3], v39, v40
	v_cmp_lt_u16_e32 vcc, v39, v40
	s_and_b64 s[2:3], s[2:3], s[40:41]
	s_or_b64 s[42:43], vcc, s[2:3]
	s_and_b64 s[2:3], s[42:43], exec
	v_cmp_eq_u16_e64 s[4:5], v39, v40
	s_or_b64 s[2:3], s[44:45], s[2:3]
	s_and_saveexec_b64 s[44:45], s[4:5]
	s_cbranch_execz .LBB1361_383
; %bb.385:                              ;   in Loop: Header=BB1361_384 Depth=1
	s_add_u32 s30, s30, -1
	s_addc_u32 s31, s31, -1
	s_cmp_eq_u64 s[30:31], 0
	s_cselect_b64 s[4:5], -1, 0
	s_andn2_b64 s[28:29], s[28:29], exec
	s_and_b64 s[4:5], s[4:5], exec
	v_lshl_add_u64 v[24:25], v[24:25], 0, 2
	v_lshl_add_u64 v[26:27], v[26:27], 0, 2
	s_andn2_b64 s[2:3], s[2:3], exec
	s_or_b64 s[28:29], s[28:29], s[4:5]
                                        ; implicit-def: $sgpr40_sgpr41
	s_branch .LBB1361_383
.LBB1361_386:
	s_or_b64 exec, exec, s[24:25]
	v_cndmask_b32_e64 v5, v5, v23, s[26:27]
	v_cndmask_b32_e64 v4, v4, v22, s[26:27]
.LBB1361_387:
	v_mov_b64_e32 v[22:23], v[4:5]
.LBB1361_388:
	s_or_b64 exec, exec, s[22:23]
	v_mov_b64_e32 v[4:5], v[22:23]
.LBB1361_389:
	s_or_b64 exec, exec, s[12:13]
.LBB1361_390:
	s_or_b64 exec, exec, s[10:11]
	v_and_b32_e32 v41, 0x3c0, v37
	v_or_b32_e32 v22, 32, v41
	v_min_u32_e32 v26, v36, v22
	v_add_u32_e32 v22, 32, v26
	v_min_u32_e32 v27, v36, v22
	v_and_b32_e32 v22, 56, v37
	v_min_u32_e32 v42, v36, v22
	v_sub_u32_e32 v22, v26, v41
	v_sub_u32_e32 v23, v27, v26
	v_sub_u32_e64 v40, v42, v23 clamp
	v_min_u32_e32 v43, v42, v22
	v_lshl_add_u32 v39, v41, 3, v35
	v_cmp_lt_u32_e32 vcc, v40, v43
	; wave barrier
	ds_write_b128 v38, v[14:17]
	ds_write_b128 v38, v[10:13] offset:16
	ds_write_b128 v38, v[6:9] offset:32
	;; [unrolled: 1-line block ×3, first 2 shown]
	; wave barrier
	s_and_saveexec_b64 s[10:11], vcc
	s_cbranch_execz .LBB1361_400
; %bb.391:
	v_lshlrev_b32_e32 v22, 3, v26
	v_lshlrev_b32_e32 v23, 3, v42
	v_add3_u32 v44, v35, v22, v23
	s_lshl_b64 s[22:23], s[36:37], 1
	s_mov_b64 s[12:13], 0
	s_branch .LBB1361_394
.LBB1361_392:                           ;   in Loop: Header=BB1361_394 Depth=1
	s_or_b64 exec, exec, s[26:27]
.LBB1361_393:                           ;   in Loop: Header=BB1361_394 Depth=1
	v_add_u32_e32 v22, 1, v45
	v_cndmask_b32_e64 v43, v43, v45, s[24:25]
	v_cndmask_b32_e64 v40, v22, v40, s[24:25]
	v_cmp_ge_u32_e32 vcc, v40, v43
	s_or_b64 s[12:13], vcc, s[12:13]
	s_andn2_b64 exec, exec, s[12:13]
	s_cbranch_execz .LBB1361_399
.LBB1361_394:                           ; =>This Loop Header: Depth=1
                                        ;     Child Loop BB1361_397 Depth 2
	v_add_u32_e32 v22, v43, v40
	v_lshrrev_b32_e32 v45, 1, v22
	s_and_b64 vcc, exec, s[0:1]
	s_mov_b64 s[24:25], 0
	s_cbranch_vccnz .LBB1361_393
; %bb.395:                              ;   in Loop: Header=BB1361_394 Depth=1
	v_not_b32_e32 v22, v45
	v_lshl_add_u32 v22, v22, 3, v44
	ds_read_b64 v[22:23], v22
	v_lshl_add_u32 v46, v45, 3, v39
	ds_read_b64 v[46:47], v46
	v_mov_b64_e32 v[24:25], s[38:39]
	s_mov_b64 s[26:27], 0
	s_waitcnt lgkmcnt(1)
	v_mul_lo_u32 v48, s22, v23
	v_mul_lo_u32 v49, s23, v22
	v_mad_u64_u32 v[22:23], s[2:3], s22, v22, v[24:25]
	v_add3_u32 v23, v49, v23, v48
	s_waitcnt lgkmcnt(0)
	v_mul_lo_u32 v47, s22, v47
	v_mul_lo_u32 v48, s23, v46
	v_mad_u64_u32 v[24:25], s[2:3], s22, v46, v[24:25]
	v_add3_u32 v25, v48, v25, v47
	s_mov_b64 s[30:31], s[36:37]
                                        ; implicit-def: $sgpr24_sgpr25
                                        ; implicit-def: $sgpr28_sgpr29
                                        ; implicit-def: $sgpr2_sgpr3
                                        ; implicit-def: $sgpr40_sgpr41
	s_branch .LBB1361_397
.LBB1361_396:                           ;   in Loop: Header=BB1361_397 Depth=2
	s_or_b64 exec, exec, s[44:45]
	s_and_b64 s[4:5], exec, s[28:29]
	s_or_b64 s[26:27], s[4:5], s[26:27]
	s_andn2_b64 s[4:5], s[40:41], exec
	s_and_b64 s[40:41], s[42:43], exec
	s_or_b64 s[40:41], s[4:5], s[40:41]
	s_andn2_b64 s[4:5], s[24:25], exec
	s_and_b64 s[24:25], s[2:3], exec
	s_or_b64 s[24:25], s[4:5], s[24:25]
	s_andn2_b64 exec, exec, s[26:27]
	s_cbranch_execz .LBB1361_392
.LBB1361_397:                           ;   Parent Loop BB1361_394 Depth=1
                                        ; =>  This Inner Loop Header: Depth=2
	global_load_ushort v46, v[22:23], off
	global_load_ushort v47, v[24:25], off
	s_andn2_b64 s[44:45], s[2:3], exec
	s_or_b64 s[28:29], s[28:29], exec
	s_waitcnt vmcnt(0)
	v_cmp_le_u16_e64 s[2:3], v46, v47
	v_cmp_lt_u16_e32 vcc, v46, v47
	s_and_b64 s[2:3], s[2:3], s[40:41]
	s_or_b64 s[42:43], vcc, s[2:3]
	s_and_b64 s[2:3], s[42:43], exec
	v_cmp_eq_u16_e64 s[4:5], v46, v47
	s_or_b64 s[2:3], s[44:45], s[2:3]
	s_and_saveexec_b64 s[44:45], s[4:5]
	s_cbranch_execz .LBB1361_396
; %bb.398:                              ;   in Loop: Header=BB1361_397 Depth=2
	s_add_u32 s30, s30, -1
	s_addc_u32 s31, s31, -1
	s_cmp_eq_u64 s[30:31], 0
	s_cselect_b64 s[4:5], -1, 0
	s_andn2_b64 s[28:29], s[28:29], exec
	s_and_b64 s[4:5], s[4:5], exec
	v_lshl_add_u64 v[22:23], v[22:23], 0, 2
	v_lshl_add_u64 v[24:25], v[24:25], 0, 2
	s_andn2_b64 s[2:3], s[2:3], exec
	s_or_b64 s[28:29], s[28:29], s[4:5]
                                        ; implicit-def: $sgpr40_sgpr41
	s_branch .LBB1361_396
.LBB1361_399:
	s_or_b64 exec, exec, s[12:13]
.LBB1361_400:
	s_or_b64 exec, exec, s[10:11]
	v_add_u32_e32 v22, v26, v42
	v_add_u32_e32 v23, v40, v41
	v_sub_u32_e32 v24, v22, v40
	v_cmp_le_u32_e32 vcc, v23, v26
	v_cmp_le_u32_e64 s[2:3], v24, v27
	s_or_b64 s[2:3], vcc, s[2:3]
	s_and_saveexec_b64 s[10:11], s[2:3]
	s_cbranch_execz .LBB1361_491
; %bb.401:
	v_cmp_ge_u32_e32 vcc, v23, v26
	v_cmp_lt_u32_e64 s[2:3], v23, v26
                                        ; implicit-def: $vgpr2_vgpr3
	s_and_saveexec_b64 s[4:5], s[2:3]
; %bb.402:
	v_lshl_add_u32 v2, v40, 3, v39
	ds_read_b64 v[2:3], v2
; %bb.403:
	s_or_b64 exec, exec, s[4:5]
	v_cmp_ge_u32_e64 s[12:13], v24, v27
	v_cmp_lt_u32_e64 s[2:3], v24, v27
                                        ; implicit-def: $vgpr4_vgpr5
	s_and_saveexec_b64 s[4:5], s[2:3]
; %bb.404:
	v_lshl_add_u32 v4, v24, 3, v35
	ds_read_b64 v[4:5], v4
; %bb.405:
	s_or_b64 exec, exec, s[4:5]
	s_nor_b64 s[2:3], vcc, s[12:13]
	s_and_saveexec_b64 s[22:23], s[2:3]
	s_cbranch_execz .LBB1361_414
; %bb.406:
	s_and_b64 vcc, exec, s[0:1]
	s_cbranch_vccnz .LBB1361_412
; %bb.407:
	s_waitcnt lgkmcnt(0)
	v_mul_lo_u32 v8, v5, s36
	v_mul_lo_u32 v9, v4, s37
	v_mad_u64_u32 v[6:7], s[2:3], v4, s36, 0
	v_add3_u32 v7, v7, v9, v8
	v_mul_lo_u32 v10, v3, s36
	v_mul_lo_u32 v11, v2, s37
	v_mad_u64_u32 v[8:9], s[2:3], v2, s36, 0
	v_add3_u32 v9, v9, v11, v10
	v_lshl_add_u64 v[6:7], v[6:7], 1, s[38:39]
	v_lshl_add_u64 v[8:9], v[8:9], 1, s[38:39]
	s_mov_b64 s[24:25], 0
	s_mov_b64 s[30:31], s[36:37]
                                        ; implicit-def: $sgpr26_sgpr27
                                        ; implicit-def: $sgpr28_sgpr29
                                        ; implicit-def: $sgpr2_sgpr3
                                        ; implicit-def: $sgpr40_sgpr41
	s_branch .LBB1361_409
.LBB1361_408:                           ;   in Loop: Header=BB1361_409 Depth=1
	s_or_b64 exec, exec, s[44:45]
	s_and_b64 s[4:5], exec, s[28:29]
	s_or_b64 s[24:25], s[4:5], s[24:25]
	s_andn2_b64 s[4:5], s[40:41], exec
	s_and_b64 s[40:41], s[42:43], exec
	s_or_b64 s[40:41], s[4:5], s[40:41]
	s_andn2_b64 s[4:5], s[26:27], exec
	s_and_b64 s[26:27], s[2:3], exec
	s_or_b64 s[26:27], s[4:5], s[26:27]
	s_andn2_b64 exec, exec, s[24:25]
	s_cbranch_execz .LBB1361_411
.LBB1361_409:                           ; =>This Inner Loop Header: Depth=1
	global_load_ushort v10, v[6:7], off
	global_load_ushort v11, v[8:9], off
	s_andn2_b64 s[44:45], s[2:3], exec
	s_or_b64 s[28:29], s[28:29], exec
	s_waitcnt vmcnt(0)
	v_cmp_le_u16_e64 s[2:3], v10, v11
	v_cmp_lt_u16_e32 vcc, v10, v11
	s_and_b64 s[2:3], s[2:3], s[40:41]
	s_or_b64 s[42:43], vcc, s[2:3]
	s_and_b64 s[2:3], s[42:43], exec
	v_cmp_eq_u16_e64 s[4:5], v10, v11
	s_or_b64 s[2:3], s[44:45], s[2:3]
	s_and_saveexec_b64 s[44:45], s[4:5]
	s_cbranch_execz .LBB1361_408
; %bb.410:                              ;   in Loop: Header=BB1361_409 Depth=1
	s_add_u32 s30, s30, -1
	s_addc_u32 s31, s31, -1
	s_cmp_eq_u64 s[30:31], 0
	s_cselect_b64 s[4:5], -1, 0
	s_andn2_b64 s[28:29], s[28:29], exec
	s_and_b64 s[4:5], s[4:5], exec
	v_lshl_add_u64 v[6:7], v[6:7], 0, 2
	v_lshl_add_u64 v[8:9], v[8:9], 0, 2
	s_andn2_b64 s[2:3], s[2:3], exec
	s_or_b64 s[28:29], s[28:29], s[4:5]
                                        ; implicit-def: $sgpr40_sgpr41
	s_branch .LBB1361_408
.LBB1361_411:
	s_or_b64 exec, exec, s[24:25]
	s_xor_b64 s[2:3], s[26:27], -1
	s_branch .LBB1361_413
.LBB1361_412:
	s_mov_b64 s[2:3], -1
.LBB1361_413:
	s_andn2_b64 s[4:5], s[12:13], exec
	s_and_b64 s[2:3], s[2:3], exec
	s_or_b64 s[12:13], s[4:5], s[2:3]
.LBB1361_414:
	s_or_b64 exec, exec, s[22:23]
	v_cndmask_b32_e64 v6, v24, v23, s[12:13]
	v_cndmask_b32_e64 v7, v27, v26, s[12:13]
	v_add_u32_e32 v8, 1, v6
	v_add_u32_e32 v6, -1, v7
	v_min_u32_e32 v6, v8, v6
	v_lshl_add_u32 v6, v6, 3, v35
	ds_read_b64 v[6:7], v6
	v_cndmask_b32_e64 v12, v8, v24, s[12:13]
	v_cndmask_b32_e64 v13, v23, v8, s[12:13]
	v_cmp_lt_u32_e32 vcc, v12, v27
	s_mov_b64 s[24:25], -1
	s_waitcnt lgkmcnt(0)
	v_cndmask_b32_e64 v14, v7, v5, s[12:13]
	v_cndmask_b32_e64 v15, v6, v4, s[12:13]
	;; [unrolled: 1-line block ×4, first 2 shown]
	s_mov_b64 s[22:23], -1
	s_and_saveexec_b64 s[26:27], vcc
	s_cbranch_execz .LBB1361_425
; %bb.415:
	v_cmp_lt_u32_e32 vcc, v13, v26
	s_mov_b64 s[2:3], 0
	s_and_saveexec_b64 s[22:23], vcc
	s_cbranch_execz .LBB1361_424
; %bb.416:
	s_and_b64 vcc, exec, s[0:1]
	s_cbranch_vccnz .LBB1361_422
; %bb.417:
	v_mul_lo_u32 v8, v14, s36
	v_mul_lo_u32 v9, v15, s37
	v_mad_u64_u32 v[6:7], s[2:3], v15, s36, 0
	v_add3_u32 v7, v7, v9, v8
	v_mul_lo_u32 v10, v16, s36
	v_mul_lo_u32 v11, v22, s37
	v_mad_u64_u32 v[8:9], s[2:3], v22, s36, 0
	v_add3_u32 v9, v9, v11, v10
	v_lshl_add_u64 v[6:7], v[6:7], 1, s[38:39]
	v_lshl_add_u64 v[8:9], v[8:9], 1, s[38:39]
	s_mov_b64 s[28:29], 0
	s_mov_b64 s[42:43], s[36:37]
                                        ; implicit-def: $sgpr30_sgpr31
                                        ; implicit-def: $sgpr40_sgpr41
                                        ; implicit-def: $sgpr2_sgpr3
                                        ; implicit-def: $sgpr44_sgpr45
	s_branch .LBB1361_419
.LBB1361_418:                           ;   in Loop: Header=BB1361_419 Depth=1
	s_or_b64 exec, exec, s[48:49]
	s_and_b64 s[4:5], exec, s[40:41]
	s_or_b64 s[28:29], s[4:5], s[28:29]
	s_andn2_b64 s[4:5], s[44:45], exec
	s_and_b64 s[44:45], s[46:47], exec
	s_or_b64 s[44:45], s[4:5], s[44:45]
	s_andn2_b64 s[4:5], s[30:31], exec
	s_and_b64 s[30:31], s[2:3], exec
	s_or_b64 s[30:31], s[4:5], s[30:31]
	s_andn2_b64 exec, exec, s[28:29]
	s_cbranch_execz .LBB1361_421
.LBB1361_419:                           ; =>This Inner Loop Header: Depth=1
	global_load_ushort v10, v[6:7], off
	global_load_ushort v11, v[8:9], off
	s_andn2_b64 s[48:49], s[2:3], exec
	s_or_b64 s[40:41], s[40:41], exec
	s_waitcnt vmcnt(0)
	v_cmp_le_u16_e64 s[2:3], v10, v11
	v_cmp_lt_u16_e32 vcc, v10, v11
	s_and_b64 s[2:3], s[2:3], s[44:45]
	s_or_b64 s[46:47], vcc, s[2:3]
	s_and_b64 s[2:3], s[46:47], exec
	v_cmp_eq_u16_e64 s[4:5], v10, v11
	s_or_b64 s[2:3], s[48:49], s[2:3]
	s_and_saveexec_b64 s[48:49], s[4:5]
	s_cbranch_execz .LBB1361_418
; %bb.420:                              ;   in Loop: Header=BB1361_419 Depth=1
	s_add_u32 s42, s42, -1
	s_addc_u32 s43, s43, -1
	s_cmp_eq_u64 s[42:43], 0
	s_cselect_b64 s[4:5], -1, 0
	s_andn2_b64 s[40:41], s[40:41], exec
	s_and_b64 s[4:5], s[4:5], exec
	v_lshl_add_u64 v[6:7], v[6:7], 0, 2
	v_lshl_add_u64 v[8:9], v[8:9], 0, 2
	s_andn2_b64 s[2:3], s[2:3], exec
	s_or_b64 s[40:41], s[40:41], s[4:5]
                                        ; implicit-def: $sgpr44_sgpr45
	s_branch .LBB1361_418
.LBB1361_421:
	s_or_b64 exec, exec, s[28:29]
	s_xor_b64 s[2:3], s[30:31], -1
	s_branch .LBB1361_423
.LBB1361_422:
	s_mov_b64 s[2:3], -1
.LBB1361_423:
	s_and_b64 s[2:3], s[2:3], exec
.LBB1361_424:
	s_or_b64 exec, exec, s[22:23]
	s_orn2_b64 s[22:23], s[2:3], exec
.LBB1361_425:
	s_or_b64 exec, exec, s[26:27]
	v_cndmask_b32_e64 v6, v12, v13, s[22:23]
	v_cndmask_b32_e64 v7, v27, v26, s[22:23]
	v_add_u32_e32 v8, 1, v6
	v_add_u32_e32 v6, -1, v7
	v_min_u32_e32 v6, v8, v6
	v_lshl_add_u32 v6, v6, 3, v35
	ds_read_b64 v[6:7], v6
	v_cndmask_b32_e64 v39, v8, v12, s[22:23]
	v_cndmask_b32_e64 v40, v13, v8, s[22:23]
	v_cmp_lt_u32_e32 vcc, v39, v27
	s_waitcnt lgkmcnt(0)
	v_cndmask_b32_e64 v10, v7, v14, s[22:23]
	v_cndmask_b32_e64 v17, v6, v15, s[22:23]
	;; [unrolled: 1-line block ×4, first 2 shown]
	s_and_saveexec_b64 s[26:27], vcc
	s_cbranch_execz .LBB1361_436
; %bb.426:
	v_cmp_lt_u32_e32 vcc, v40, v26
	s_mov_b64 s[2:3], 0
	s_and_saveexec_b64 s[24:25], vcc
	s_cbranch_execz .LBB1361_435
; %bb.427:
	s_and_b64 vcc, exec, s[0:1]
	s_cbranch_vccnz .LBB1361_433
; %bb.428:
	v_mul_lo_u32 v8, v10, s36
	v_mul_lo_u32 v9, v17, s37
	v_mad_u64_u32 v[6:7], s[2:3], v17, s36, 0
	v_add3_u32 v7, v7, v9, v8
	v_mul_lo_u32 v12, v11, s36
	v_mul_lo_u32 v13, v23, s37
	v_mad_u64_u32 v[8:9], s[2:3], v23, s36, 0
	v_add3_u32 v9, v9, v13, v12
	v_lshl_add_u64 v[6:7], v[6:7], 1, s[38:39]
	v_lshl_add_u64 v[8:9], v[8:9], 1, s[38:39]
	s_mov_b64 s[28:29], 0
	s_mov_b64 s[42:43], s[36:37]
                                        ; implicit-def: $sgpr30_sgpr31
                                        ; implicit-def: $sgpr40_sgpr41
                                        ; implicit-def: $sgpr2_sgpr3
                                        ; implicit-def: $sgpr44_sgpr45
	s_branch .LBB1361_430
.LBB1361_429:                           ;   in Loop: Header=BB1361_430 Depth=1
	s_or_b64 exec, exec, s[48:49]
	s_and_b64 s[4:5], exec, s[40:41]
	s_or_b64 s[28:29], s[4:5], s[28:29]
	s_andn2_b64 s[4:5], s[44:45], exec
	s_and_b64 s[44:45], s[46:47], exec
	s_or_b64 s[44:45], s[4:5], s[44:45]
	s_andn2_b64 s[4:5], s[30:31], exec
	s_and_b64 s[30:31], s[2:3], exec
	s_or_b64 s[30:31], s[4:5], s[30:31]
	s_andn2_b64 exec, exec, s[28:29]
	s_cbranch_execz .LBB1361_432
.LBB1361_430:                           ; =>This Inner Loop Header: Depth=1
	global_load_ushort v12, v[6:7], off
	global_load_ushort v13, v[8:9], off
	s_andn2_b64 s[48:49], s[2:3], exec
	s_or_b64 s[40:41], s[40:41], exec
	s_waitcnt vmcnt(0)
	v_cmp_le_u16_e64 s[2:3], v12, v13
	v_cmp_lt_u16_e32 vcc, v12, v13
	s_and_b64 s[2:3], s[2:3], s[44:45]
	s_or_b64 s[46:47], vcc, s[2:3]
	s_and_b64 s[2:3], s[46:47], exec
	v_cmp_eq_u16_e64 s[4:5], v12, v13
	s_or_b64 s[2:3], s[48:49], s[2:3]
	s_and_saveexec_b64 s[48:49], s[4:5]
	s_cbranch_execz .LBB1361_429
; %bb.431:                              ;   in Loop: Header=BB1361_430 Depth=1
	s_add_u32 s42, s42, -1
	s_addc_u32 s43, s43, -1
	s_cmp_eq_u64 s[42:43], 0
	s_cselect_b64 s[4:5], -1, 0
	s_andn2_b64 s[40:41], s[40:41], exec
	s_and_b64 s[4:5], s[4:5], exec
	v_lshl_add_u64 v[6:7], v[6:7], 0, 2
	v_lshl_add_u64 v[8:9], v[8:9], 0, 2
	s_andn2_b64 s[2:3], s[2:3], exec
	s_or_b64 s[40:41], s[40:41], s[4:5]
                                        ; implicit-def: $sgpr44_sgpr45
	s_branch .LBB1361_429
.LBB1361_432:
	s_or_b64 exec, exec, s[28:29]
	s_xor_b64 s[2:3], s[30:31], -1
	s_branch .LBB1361_434
.LBB1361_433:
	s_mov_b64 s[2:3], -1
.LBB1361_434:
	s_and_b64 s[2:3], s[2:3], exec
.LBB1361_435:
	s_or_b64 exec, exec, s[24:25]
	s_orn2_b64 s[24:25], s[2:3], exec
.LBB1361_436:
	s_or_b64 exec, exec, s[26:27]
	v_cndmask_b32_e64 v6, v39, v40, s[24:25]
	v_cndmask_b32_e64 v7, v27, v26, s[24:25]
	v_add_u32_e32 v8, 1, v6
	v_add_u32_e32 v6, -1, v7
	v_min_u32_e32 v6, v8, v6
	v_lshl_add_u32 v6, v6, 3, v35
	ds_read_b64 v[6:7], v6
	v_cndmask_b32_e64 v43, v8, v39, s[24:25]
	v_cndmask_b32_e64 v44, v40, v8, s[24:25]
	v_cmp_lt_u32_e32 vcc, v43, v27
	s_mov_b64 s[28:29], -1
	s_waitcnt lgkmcnt(0)
	v_cndmask_b32_e64 v12, v7, v10, s[24:25]
	v_cndmask_b32_e64 v24, v6, v17, s[24:25]
	;; [unrolled: 1-line block ×4, first 2 shown]
	s_mov_b64 s[26:27], -1
	s_and_saveexec_b64 s[30:31], vcc
	s_cbranch_execz .LBB1361_447
; %bb.437:
	v_cmp_lt_u32_e32 vcc, v44, v26
	s_mov_b64 s[2:3], 0
	s_and_saveexec_b64 s[26:27], vcc
	s_cbranch_execz .LBB1361_446
; %bb.438:
	s_and_b64 vcc, exec, s[0:1]
	s_cbranch_vccnz .LBB1361_444
; %bb.439:
	v_mul_lo_u32 v8, v12, s36
	v_mul_lo_u32 v9, v24, s37
	v_mad_u64_u32 v[6:7], s[2:3], v24, s36, 0
	v_add3_u32 v7, v7, v9, v8
	v_mul_lo_u32 v39, v13, s36
	v_mul_lo_u32 v40, v25, s37
	v_mad_u64_u32 v[8:9], s[2:3], v25, s36, 0
	v_add3_u32 v9, v9, v40, v39
	v_lshl_add_u64 v[6:7], v[6:7], 1, s[38:39]
	v_lshl_add_u64 v[8:9], v[8:9], 1, s[38:39]
	s_mov_b64 s[40:41], 0
	s_mov_b64 s[46:47], s[36:37]
                                        ; implicit-def: $sgpr42_sgpr43
                                        ; implicit-def: $sgpr44_sgpr45
                                        ; implicit-def: $sgpr2_sgpr3
                                        ; implicit-def: $sgpr48_sgpr49
	s_branch .LBB1361_441
.LBB1361_440:                           ;   in Loop: Header=BB1361_441 Depth=1
	s_or_b64 exec, exec, s[52:53]
	s_and_b64 s[4:5], exec, s[44:45]
	s_or_b64 s[40:41], s[4:5], s[40:41]
	s_andn2_b64 s[4:5], s[48:49], exec
	s_and_b64 s[48:49], s[50:51], exec
	s_or_b64 s[48:49], s[4:5], s[48:49]
	s_andn2_b64 s[4:5], s[42:43], exec
	s_and_b64 s[42:43], s[2:3], exec
	s_or_b64 s[42:43], s[4:5], s[42:43]
	s_andn2_b64 exec, exec, s[40:41]
	s_cbranch_execz .LBB1361_443
.LBB1361_441:                           ; =>This Inner Loop Header: Depth=1
	global_load_ushort v39, v[6:7], off
	global_load_ushort v40, v[8:9], off
	s_andn2_b64 s[52:53], s[2:3], exec
	s_or_b64 s[44:45], s[44:45], exec
	s_waitcnt vmcnt(0)
	v_cmp_le_u16_e64 s[2:3], v39, v40
	v_cmp_lt_u16_e32 vcc, v39, v40
	s_and_b64 s[2:3], s[2:3], s[48:49]
	s_or_b64 s[50:51], vcc, s[2:3]
	s_and_b64 s[2:3], s[50:51], exec
	v_cmp_eq_u16_e64 s[4:5], v39, v40
	s_or_b64 s[2:3], s[52:53], s[2:3]
	s_and_saveexec_b64 s[52:53], s[4:5]
	s_cbranch_execz .LBB1361_440
; %bb.442:                              ;   in Loop: Header=BB1361_441 Depth=1
	s_add_u32 s46, s46, -1
	s_addc_u32 s47, s47, -1
	s_cmp_eq_u64 s[46:47], 0
	s_cselect_b64 s[4:5], -1, 0
	s_andn2_b64 s[44:45], s[44:45], exec
	s_and_b64 s[4:5], s[4:5], exec
	v_lshl_add_u64 v[6:7], v[6:7], 0, 2
	v_lshl_add_u64 v[8:9], v[8:9], 0, 2
	s_andn2_b64 s[2:3], s[2:3], exec
	s_or_b64 s[44:45], s[44:45], s[4:5]
                                        ; implicit-def: $sgpr48_sgpr49
	s_branch .LBB1361_440
.LBB1361_443:
	s_or_b64 exec, exec, s[40:41]
	s_xor_b64 s[2:3], s[42:43], -1
	s_branch .LBB1361_445
.LBB1361_444:
	s_mov_b64 s[2:3], -1
.LBB1361_445:
	s_and_b64 s[2:3], s[2:3], exec
.LBB1361_446:
	s_or_b64 exec, exec, s[26:27]
	s_orn2_b64 s[26:27], s[2:3], exec
.LBB1361_447:
	s_or_b64 exec, exec, s[30:31]
	v_cndmask_b32_e64 v6, v43, v44, s[26:27]
	v_cndmask_b32_e64 v7, v27, v26, s[26:27]
	v_add_u32_e32 v8, 1, v6
	v_add_u32_e32 v6, -1, v7
	v_min_u32_e32 v6, v8, v6
	v_lshl_add_u32 v6, v6, 3, v35
	ds_read_b64 v[6:7], v6
	v_cndmask_b32_e64 v47, v8, v43, s[26:27]
	v_cndmask_b32_e64 v48, v44, v8, s[26:27]
	v_cmp_lt_u32_e32 vcc, v47, v27
	s_waitcnt lgkmcnt(0)
	v_cndmask_b32_e64 v39, v7, v12, s[26:27]
	v_cndmask_b32_e64 v40, v6, v24, s[26:27]
	;; [unrolled: 1-line block ×4, first 2 shown]
	s_and_saveexec_b64 s[30:31], vcc
	s_cbranch_execz .LBB1361_458
; %bb.448:
	v_cmp_lt_u32_e32 vcc, v48, v26
	s_mov_b64 s[2:3], 0
	s_and_saveexec_b64 s[28:29], vcc
	s_cbranch_execz .LBB1361_457
; %bb.449:
	s_and_b64 vcc, exec, s[0:1]
	s_cbranch_vccnz .LBB1361_455
; %bb.450:
	v_mul_lo_u32 v8, v39, s36
	v_mul_lo_u32 v9, v40, s37
	v_mad_u64_u32 v[6:7], s[2:3], v40, s36, 0
	v_add3_u32 v7, v7, v9, v8
	v_mul_lo_u32 v43, v41, s36
	v_mul_lo_u32 v44, v42, s37
	v_mad_u64_u32 v[8:9], s[2:3], v42, s36, 0
	v_add3_u32 v9, v9, v44, v43
	v_lshl_add_u64 v[6:7], v[6:7], 1, s[38:39]
	v_lshl_add_u64 v[8:9], v[8:9], 1, s[38:39]
	s_mov_b64 s[40:41], 0
	s_mov_b64 s[46:47], s[36:37]
                                        ; implicit-def: $sgpr42_sgpr43
                                        ; implicit-def: $sgpr44_sgpr45
                                        ; implicit-def: $sgpr2_sgpr3
                                        ; implicit-def: $sgpr48_sgpr49
	s_branch .LBB1361_452
.LBB1361_451:                           ;   in Loop: Header=BB1361_452 Depth=1
	s_or_b64 exec, exec, s[52:53]
	s_and_b64 s[4:5], exec, s[44:45]
	s_or_b64 s[40:41], s[4:5], s[40:41]
	s_andn2_b64 s[4:5], s[48:49], exec
	s_and_b64 s[48:49], s[50:51], exec
	s_or_b64 s[48:49], s[4:5], s[48:49]
	s_andn2_b64 s[4:5], s[42:43], exec
	s_and_b64 s[42:43], s[2:3], exec
	s_or_b64 s[42:43], s[4:5], s[42:43]
	s_andn2_b64 exec, exec, s[40:41]
	s_cbranch_execz .LBB1361_454
.LBB1361_452:                           ; =>This Inner Loop Header: Depth=1
	global_load_ushort v43, v[6:7], off
	global_load_ushort v44, v[8:9], off
	s_andn2_b64 s[52:53], s[2:3], exec
	s_or_b64 s[44:45], s[44:45], exec
	s_waitcnt vmcnt(0)
	v_cmp_le_u16_e64 s[2:3], v43, v44
	v_cmp_lt_u16_e32 vcc, v43, v44
	s_and_b64 s[2:3], s[2:3], s[48:49]
	s_or_b64 s[50:51], vcc, s[2:3]
	s_and_b64 s[2:3], s[50:51], exec
	v_cmp_eq_u16_e64 s[4:5], v43, v44
	s_or_b64 s[2:3], s[52:53], s[2:3]
	s_and_saveexec_b64 s[52:53], s[4:5]
	s_cbranch_execz .LBB1361_451
; %bb.453:                              ;   in Loop: Header=BB1361_452 Depth=1
	s_add_u32 s46, s46, -1
	s_addc_u32 s47, s47, -1
	s_cmp_eq_u64 s[46:47], 0
	s_cselect_b64 s[4:5], -1, 0
	s_andn2_b64 s[44:45], s[44:45], exec
	s_and_b64 s[4:5], s[4:5], exec
	v_lshl_add_u64 v[6:7], v[6:7], 0, 2
	v_lshl_add_u64 v[8:9], v[8:9], 0, 2
	s_andn2_b64 s[2:3], s[2:3], exec
	s_or_b64 s[44:45], s[44:45], s[4:5]
                                        ; implicit-def: $sgpr48_sgpr49
	s_branch .LBB1361_451
.LBB1361_454:
	s_or_b64 exec, exec, s[40:41]
	s_xor_b64 s[2:3], s[42:43], -1
	s_branch .LBB1361_456
.LBB1361_455:
	s_mov_b64 s[2:3], -1
.LBB1361_456:
	s_and_b64 s[2:3], s[2:3], exec
.LBB1361_457:
	s_or_b64 exec, exec, s[28:29]
	s_orn2_b64 s[28:29], s[2:3], exec
.LBB1361_458:
	s_or_b64 exec, exec, s[30:31]
	v_cndmask_b32_e64 v6, v47, v48, s[28:29]
	v_cndmask_b32_e64 v7, v27, v26, s[28:29]
	v_add_u32_e32 v8, 1, v6
	v_add_u32_e32 v6, -1, v7
	v_min_u32_e32 v6, v8, v6
	v_lshl_add_u32 v6, v6, 3, v35
	ds_read_b64 v[6:7], v6
	v_cndmask_b32_e64 v49, v8, v47, s[28:29]
	v_cndmask_b32_e64 v53, v48, v8, s[28:29]
	v_cmp_lt_u32_e32 vcc, v49, v27
	s_mov_b64 s[30:31], -1
	s_waitcnt lgkmcnt(0)
	v_cndmask_b32_e64 v43, v7, v39, s[28:29]
	v_cndmask_b32_e64 v44, v6, v40, s[28:29]
	;; [unrolled: 1-line block ×4, first 2 shown]
	s_mov_b64 s[40:41], -1
	s_and_saveexec_b64 s[42:43], vcc
	s_cbranch_execz .LBB1361_469
; %bb.459:
	v_cmp_lt_u32_e32 vcc, v53, v26
	s_mov_b64 s[2:3], 0
	s_and_saveexec_b64 s[40:41], vcc
	s_cbranch_execz .LBB1361_468
; %bb.460:
	s_and_b64 vcc, exec, s[0:1]
	s_cbranch_vccnz .LBB1361_466
; %bb.461:
	v_mul_lo_u32 v8, v43, s36
	v_mul_lo_u32 v9, v44, s37
	v_mad_u64_u32 v[6:7], s[2:3], v44, s36, 0
	v_add3_u32 v7, v7, v9, v8
	v_mul_lo_u32 v47, v45, s36
	v_mul_lo_u32 v48, v46, s37
	v_mad_u64_u32 v[8:9], s[2:3], v46, s36, 0
	v_add3_u32 v9, v9, v48, v47
	v_lshl_add_u64 v[6:7], v[6:7], 1, s[38:39]
	v_lshl_add_u64 v[8:9], v[8:9], 1, s[38:39]
	s_mov_b64 s[44:45], 0
	s_mov_b64 s[50:51], s[36:37]
                                        ; implicit-def: $sgpr46_sgpr47
                                        ; implicit-def: $sgpr48_sgpr49
                                        ; implicit-def: $sgpr2_sgpr3
                                        ; implicit-def: $sgpr52_sgpr53
	s_branch .LBB1361_463
.LBB1361_462:                           ;   in Loop: Header=BB1361_463 Depth=1
	s_or_b64 exec, exec, s[56:57]
	s_and_b64 s[4:5], exec, s[48:49]
	s_or_b64 s[44:45], s[4:5], s[44:45]
	s_andn2_b64 s[4:5], s[52:53], exec
	s_and_b64 s[52:53], s[54:55], exec
	s_or_b64 s[52:53], s[4:5], s[52:53]
	s_andn2_b64 s[4:5], s[46:47], exec
	s_and_b64 s[46:47], s[2:3], exec
	s_or_b64 s[46:47], s[4:5], s[46:47]
	s_andn2_b64 exec, exec, s[44:45]
	s_cbranch_execz .LBB1361_465
.LBB1361_463:                           ; =>This Inner Loop Header: Depth=1
	global_load_ushort v47, v[6:7], off
	global_load_ushort v48, v[8:9], off
	s_andn2_b64 s[56:57], s[2:3], exec
	s_or_b64 s[48:49], s[48:49], exec
	s_waitcnt vmcnt(0)
	v_cmp_le_u16_e64 s[2:3], v47, v48
	v_cmp_lt_u16_e32 vcc, v47, v48
	s_and_b64 s[2:3], s[2:3], s[52:53]
	s_or_b64 s[54:55], vcc, s[2:3]
	s_and_b64 s[2:3], s[54:55], exec
	v_cmp_eq_u16_e64 s[4:5], v47, v48
	s_or_b64 s[2:3], s[56:57], s[2:3]
	s_and_saveexec_b64 s[56:57], s[4:5]
	s_cbranch_execz .LBB1361_462
; %bb.464:                              ;   in Loop: Header=BB1361_463 Depth=1
	s_add_u32 s50, s50, -1
	s_addc_u32 s51, s51, -1
	s_cmp_eq_u64 s[50:51], 0
	s_cselect_b64 s[4:5], -1, 0
	s_andn2_b64 s[48:49], s[48:49], exec
	s_and_b64 s[4:5], s[4:5], exec
	v_lshl_add_u64 v[6:7], v[6:7], 0, 2
	v_lshl_add_u64 v[8:9], v[8:9], 0, 2
	s_andn2_b64 s[2:3], s[2:3], exec
	s_or_b64 s[48:49], s[48:49], s[4:5]
                                        ; implicit-def: $sgpr52_sgpr53
	s_branch .LBB1361_462
.LBB1361_465:
	s_or_b64 exec, exec, s[44:45]
	s_xor_b64 s[2:3], s[46:47], -1
	s_branch .LBB1361_467
.LBB1361_466:
	s_mov_b64 s[2:3], -1
.LBB1361_467:
	s_and_b64 s[2:3], s[2:3], exec
.LBB1361_468:
	s_or_b64 exec, exec, s[40:41]
	s_orn2_b64 s[40:41], s[2:3], exec
.LBB1361_469:
	s_or_b64 exec, exec, s[42:43]
	v_cndmask_b32_e64 v6, v49, v53, s[40:41]
	v_cndmask_b32_e64 v7, v27, v26, s[40:41]
	v_add_u32_e32 v8, 1, v6
	v_add_u32_e32 v6, -1, v7
	v_min_u32_e32 v6, v8, v6
	v_lshl_add_u32 v6, v6, 3, v35
	ds_read_b64 v[6:7], v6
	v_cndmask_b32_e64 v50, v8, v49, s[40:41]
	v_cndmask_b32_e64 v49, v53, v8, s[40:41]
	v_cmp_lt_u32_e32 vcc, v50, v27
	s_waitcnt lgkmcnt(0)
	v_cndmask_b32_e64 v47, v7, v43, s[40:41]
	v_cndmask_b32_e64 v48, v6, v44, s[40:41]
	;; [unrolled: 1-line block ×4, first 2 shown]
	s_and_saveexec_b64 s[42:43], vcc
	s_cbranch_execz .LBB1361_480
; %bb.470:
	v_cmp_lt_u32_e32 vcc, v49, v26
	s_mov_b64 s[2:3], 0
	s_and_saveexec_b64 s[30:31], vcc
	s_cbranch_execz .LBB1361_479
; %bb.471:
	s_and_b64 vcc, exec, s[0:1]
	s_cbranch_vccnz .LBB1361_477
; %bb.472:
	v_mul_lo_u32 v8, v47, s36
	v_mul_lo_u32 v9, v48, s37
	v_mad_u64_u32 v[6:7], s[2:3], v48, s36, 0
	v_add3_u32 v7, v7, v9, v8
	v_mul_lo_u32 v53, v51, s36
	v_mul_lo_u32 v54, v52, s37
	v_mad_u64_u32 v[8:9], s[2:3], v52, s36, 0
	v_add3_u32 v9, v9, v54, v53
	v_lshl_add_u64 v[6:7], v[6:7], 1, s[38:39]
	v_lshl_add_u64 v[8:9], v[8:9], 1, s[38:39]
	s_mov_b64 s[44:45], 0
	s_mov_b64 s[50:51], s[36:37]
                                        ; implicit-def: $sgpr46_sgpr47
                                        ; implicit-def: $sgpr48_sgpr49
                                        ; implicit-def: $sgpr2_sgpr3
                                        ; implicit-def: $sgpr52_sgpr53
	s_branch .LBB1361_474
.LBB1361_473:                           ;   in Loop: Header=BB1361_474 Depth=1
	s_or_b64 exec, exec, s[56:57]
	s_and_b64 s[4:5], exec, s[48:49]
	s_or_b64 s[44:45], s[4:5], s[44:45]
	s_andn2_b64 s[4:5], s[52:53], exec
	s_and_b64 s[52:53], s[54:55], exec
	s_or_b64 s[52:53], s[4:5], s[52:53]
	s_andn2_b64 s[4:5], s[46:47], exec
	s_and_b64 s[46:47], s[2:3], exec
	s_or_b64 s[46:47], s[4:5], s[46:47]
	s_andn2_b64 exec, exec, s[44:45]
	s_cbranch_execz .LBB1361_476
.LBB1361_474:                           ; =>This Inner Loop Header: Depth=1
	global_load_ushort v53, v[6:7], off
	global_load_ushort v54, v[8:9], off
	s_andn2_b64 s[56:57], s[2:3], exec
	s_or_b64 s[48:49], s[48:49], exec
	s_waitcnt vmcnt(0)
	v_cmp_le_u16_e64 s[2:3], v53, v54
	v_cmp_lt_u16_e32 vcc, v53, v54
	s_and_b64 s[2:3], s[2:3], s[52:53]
	s_or_b64 s[54:55], vcc, s[2:3]
	s_and_b64 s[2:3], s[54:55], exec
	v_cmp_eq_u16_e64 s[4:5], v53, v54
	s_or_b64 s[2:3], s[56:57], s[2:3]
	s_and_saveexec_b64 s[56:57], s[4:5]
	s_cbranch_execz .LBB1361_473
; %bb.475:                              ;   in Loop: Header=BB1361_474 Depth=1
	s_add_u32 s50, s50, -1
	s_addc_u32 s51, s51, -1
	s_cmp_eq_u64 s[50:51], 0
	s_cselect_b64 s[4:5], -1, 0
	s_andn2_b64 s[48:49], s[48:49], exec
	s_and_b64 s[4:5], s[4:5], exec
	v_lshl_add_u64 v[6:7], v[6:7], 0, 2
	v_lshl_add_u64 v[8:9], v[8:9], 0, 2
	s_andn2_b64 s[2:3], s[2:3], exec
	s_or_b64 s[48:49], s[48:49], s[4:5]
                                        ; implicit-def: $sgpr52_sgpr53
	s_branch .LBB1361_473
.LBB1361_476:
	s_or_b64 exec, exec, s[44:45]
	s_xor_b64 s[2:3], s[46:47], -1
	s_branch .LBB1361_478
.LBB1361_477:
	s_mov_b64 s[2:3], -1
.LBB1361_478:
	s_and_b64 s[2:3], s[2:3], exec
.LBB1361_479:
	s_or_b64 exec, exec, s[30:31]
	s_orn2_b64 s[30:31], s[2:3], exec
.LBB1361_480:
	s_or_b64 exec, exec, s[42:43]
	v_cndmask_b32_e64 v11, v10, v11, s[24:25]
	v_cndmask_b32_e64 v10, v17, v23, s[24:25]
	;; [unrolled: 1-line block ×8, first 2 shown]
	v_add_u32_e32 v24, 1, v14
	v_add_u32_e32 v14, -1, v15
	v_min_u32_e32 v14, v24, v14
	v_lshl_add_u32 v14, v14, 3, v35
	ds_read_b64 v[22:23], v14
	v_cndmask_b32_e64 v25, v24, v50, s[30:31]
	v_cndmask_b32_e64 v9, v43, v45, s[40:41]
	;; [unrolled: 1-line block ×9, first 2 shown]
	s_waitcnt lgkmcnt(0)
	v_cndmask_b32_e64 v5, v51, v23, s[30:31]
	v_cndmask_b32_e64 v4, v52, v22, s[30:31]
	v_cmp_lt_u32_e32 vcc, v25, v27
	s_and_saveexec_b64 s[12:13], vcc
	s_cbranch_execz .LBB1361_490
; %bb.481:
	v_cndmask_b32_e64 v24, v49, v24, s[30:31]
	v_cndmask_b32_e64 v23, v23, v47, s[30:31]
	;; [unrolled: 1-line block ×3, first 2 shown]
	v_cmp_lt_u32_e32 vcc, v24, v26
	s_and_saveexec_b64 s[22:23], vcc
	s_cbranch_execz .LBB1361_489
; %bb.482:
	s_and_b64 vcc, exec, s[0:1]
	s_cbranch_vccnz .LBB1361_488
; %bb.483:
	v_mul_lo_u32 v26, v23, s36
	v_mul_lo_u32 v27, v22, s37
	v_mad_u64_u32 v[24:25], s[2:3], v22, s36, 0
	v_add3_u32 v25, v25, v27, v26
	v_mul_lo_u32 v39, v5, s36
	v_mul_lo_u32 v40, v4, s37
	v_mad_u64_u32 v[26:27], s[2:3], v4, s36, 0
	v_add3_u32 v27, v27, v40, v39
	v_lshl_add_u64 v[24:25], v[24:25], 1, s[38:39]
	v_lshl_add_u64 v[26:27], v[26:27], 1, s[38:39]
	s_mov_b64 s[24:25], 0
	s_mov_b64 s[30:31], s[36:37]
                                        ; implicit-def: $sgpr26_sgpr27
                                        ; implicit-def: $sgpr28_sgpr29
                                        ; implicit-def: $sgpr2_sgpr3
                                        ; implicit-def: $sgpr40_sgpr41
	s_branch .LBB1361_485
.LBB1361_484:                           ;   in Loop: Header=BB1361_485 Depth=1
	s_or_b64 exec, exec, s[44:45]
	s_and_b64 s[4:5], exec, s[28:29]
	s_or_b64 s[24:25], s[4:5], s[24:25]
	s_andn2_b64 s[4:5], s[40:41], exec
	s_and_b64 s[40:41], s[42:43], exec
	s_or_b64 s[40:41], s[4:5], s[40:41]
	s_andn2_b64 s[4:5], s[26:27], exec
	s_and_b64 s[26:27], s[2:3], exec
	s_or_b64 s[26:27], s[4:5], s[26:27]
	s_andn2_b64 exec, exec, s[24:25]
	s_cbranch_execz .LBB1361_487
.LBB1361_485:                           ; =>This Inner Loop Header: Depth=1
	global_load_ushort v39, v[24:25], off
	global_load_ushort v40, v[26:27], off
	s_andn2_b64 s[44:45], s[2:3], exec
	s_or_b64 s[28:29], s[28:29], exec
	s_waitcnt vmcnt(0)
	v_cmp_le_u16_e64 s[2:3], v39, v40
	v_cmp_lt_u16_e32 vcc, v39, v40
	s_and_b64 s[2:3], s[2:3], s[40:41]
	s_or_b64 s[42:43], vcc, s[2:3]
	s_and_b64 s[2:3], s[42:43], exec
	v_cmp_eq_u16_e64 s[4:5], v39, v40
	s_or_b64 s[2:3], s[44:45], s[2:3]
	s_and_saveexec_b64 s[44:45], s[4:5]
	s_cbranch_execz .LBB1361_484
; %bb.486:                              ;   in Loop: Header=BB1361_485 Depth=1
	s_add_u32 s30, s30, -1
	s_addc_u32 s31, s31, -1
	s_cmp_eq_u64 s[30:31], 0
	s_cselect_b64 s[4:5], -1, 0
	s_andn2_b64 s[28:29], s[28:29], exec
	s_and_b64 s[4:5], s[4:5], exec
	v_lshl_add_u64 v[24:25], v[24:25], 0, 2
	v_lshl_add_u64 v[26:27], v[26:27], 0, 2
	s_andn2_b64 s[2:3], s[2:3], exec
	s_or_b64 s[28:29], s[28:29], s[4:5]
                                        ; implicit-def: $sgpr40_sgpr41
	s_branch .LBB1361_484
.LBB1361_487:
	s_or_b64 exec, exec, s[24:25]
	v_cndmask_b32_e64 v5, v5, v23, s[26:27]
	v_cndmask_b32_e64 v4, v4, v22, s[26:27]
.LBB1361_488:
	v_mov_b64_e32 v[22:23], v[4:5]
.LBB1361_489:
	s_or_b64 exec, exec, s[22:23]
	v_mov_b64_e32 v[4:5], v[22:23]
.LBB1361_490:
	s_or_b64 exec, exec, s[12:13]
.LBB1361_491:
	s_or_b64 exec, exec, s[10:11]
	; wave barrier
	ds_write_b128 v38, v[14:17]
	ds_write_b128 v38, v[10:13] offset:16
	ds_write_b128 v38, v[6:9] offset:32
	;; [unrolled: 1-line block ×3, first 2 shown]
	v_and_b32_e32 v38, 0x380, v37
	v_or_b32_e32 v22, 64, v38
	v_min_u32_e32 v26, v36, v22
	v_add_u32_e32 v22, 64, v26
	v_min_u32_e32 v27, v36, v22
	v_and_b32_e32 v22, 0x78, v37
	v_min_u32_e32 v39, v36, v22
	v_sub_u32_e32 v22, v26, v38
	v_sub_u32_e32 v23, v27, v26
	v_sub_u32_e64 v37, v39, v23 clamp
	v_min_u32_e32 v40, v39, v22
	v_lshl_add_u32 v36, v38, 3, v35
	v_cmp_lt_u32_e32 vcc, v37, v40
	; wave barrier
	s_and_saveexec_b64 s[10:11], vcc
	s_cbranch_execz .LBB1361_501
; %bb.492:
	v_lshlrev_b32_e32 v22, 3, v26
	v_lshlrev_b32_e32 v23, 3, v39
	v_add3_u32 v41, v35, v22, v23
	s_lshl_b64 s[22:23], s[36:37], 1
	s_mov_b64 s[12:13], 0
	s_branch .LBB1361_495
.LBB1361_493:                           ;   in Loop: Header=BB1361_495 Depth=1
	s_or_b64 exec, exec, s[26:27]
.LBB1361_494:                           ;   in Loop: Header=BB1361_495 Depth=1
	v_add_u32_e32 v22, 1, v42
	v_cndmask_b32_e64 v40, v40, v42, s[24:25]
	v_cndmask_b32_e64 v37, v22, v37, s[24:25]
	v_cmp_ge_u32_e32 vcc, v37, v40
	s_or_b64 s[12:13], vcc, s[12:13]
	s_andn2_b64 exec, exec, s[12:13]
	s_cbranch_execz .LBB1361_500
.LBB1361_495:                           ; =>This Loop Header: Depth=1
                                        ;     Child Loop BB1361_498 Depth 2
	v_add_u32_e32 v22, v40, v37
	v_lshrrev_b32_e32 v42, 1, v22
	s_and_b64 vcc, exec, s[0:1]
	s_mov_b64 s[24:25], 0
	s_cbranch_vccnz .LBB1361_494
; %bb.496:                              ;   in Loop: Header=BB1361_495 Depth=1
	v_not_b32_e32 v22, v42
	v_lshl_add_u32 v22, v22, 3, v41
	ds_read_b64 v[22:23], v22
	v_lshl_add_u32 v43, v42, 3, v36
	ds_read_b64 v[44:45], v43
	v_mov_b64_e32 v[24:25], s[38:39]
	s_mov_b64 s[26:27], 0
	s_waitcnt lgkmcnt(1)
	v_mul_lo_u32 v43, s22, v23
	v_mul_lo_u32 v46, s23, v22
	v_mad_u64_u32 v[22:23], s[2:3], s22, v22, v[24:25]
	v_add3_u32 v23, v46, v23, v43
	s_waitcnt lgkmcnt(0)
	v_mul_lo_u32 v43, s22, v45
	v_mul_lo_u32 v45, s23, v44
	v_mad_u64_u32 v[24:25], s[2:3], s22, v44, v[24:25]
	v_add3_u32 v25, v45, v25, v43
	s_mov_b64 s[30:31], s[36:37]
                                        ; implicit-def: $sgpr24_sgpr25
                                        ; implicit-def: $sgpr28_sgpr29
                                        ; implicit-def: $sgpr2_sgpr3
                                        ; implicit-def: $sgpr40_sgpr41
	s_branch .LBB1361_498
.LBB1361_497:                           ;   in Loop: Header=BB1361_498 Depth=2
	s_or_b64 exec, exec, s[44:45]
	s_and_b64 s[4:5], exec, s[28:29]
	s_or_b64 s[26:27], s[4:5], s[26:27]
	s_andn2_b64 s[4:5], s[40:41], exec
	s_and_b64 s[40:41], s[42:43], exec
	s_or_b64 s[40:41], s[4:5], s[40:41]
	s_andn2_b64 s[4:5], s[24:25], exec
	s_and_b64 s[24:25], s[2:3], exec
	s_or_b64 s[24:25], s[4:5], s[24:25]
	s_andn2_b64 exec, exec, s[26:27]
	s_cbranch_execz .LBB1361_493
.LBB1361_498:                           ;   Parent Loop BB1361_495 Depth=1
                                        ; =>  This Inner Loop Header: Depth=2
	global_load_ushort v43, v[22:23], off
	global_load_ushort v44, v[24:25], off
	s_andn2_b64 s[44:45], s[2:3], exec
	s_or_b64 s[28:29], s[28:29], exec
	s_waitcnt vmcnt(0)
	v_cmp_le_u16_e64 s[2:3], v43, v44
	v_cmp_lt_u16_e32 vcc, v43, v44
	s_and_b64 s[2:3], s[2:3], s[40:41]
	s_or_b64 s[42:43], vcc, s[2:3]
	s_and_b64 s[2:3], s[42:43], exec
	v_cmp_eq_u16_e64 s[4:5], v43, v44
	s_or_b64 s[2:3], s[44:45], s[2:3]
	s_and_saveexec_b64 s[44:45], s[4:5]
	s_cbranch_execz .LBB1361_497
; %bb.499:                              ;   in Loop: Header=BB1361_498 Depth=2
	s_add_u32 s30, s30, -1
	s_addc_u32 s31, s31, -1
	s_cmp_eq_u64 s[30:31], 0
	s_cselect_b64 s[4:5], -1, 0
	s_andn2_b64 s[28:29], s[28:29], exec
	s_and_b64 s[4:5], s[4:5], exec
	v_lshl_add_u64 v[22:23], v[22:23], 0, 2
	v_lshl_add_u64 v[24:25], v[24:25], 0, 2
	s_andn2_b64 s[2:3], s[2:3], exec
	s_or_b64 s[28:29], s[28:29], s[4:5]
                                        ; implicit-def: $sgpr40_sgpr41
	s_branch .LBB1361_497
.LBB1361_500:
	s_or_b64 exec, exec, s[12:13]
.LBB1361_501:
	s_or_b64 exec, exec, s[10:11]
	v_add_u32_e32 v22, v26, v39
	v_add_u32_e32 v23, v37, v38
	v_sub_u32_e32 v24, v22, v37
	v_cmp_le_u32_e32 vcc, v23, v26
	v_cmp_le_u32_e64 s[2:3], v24, v27
	s_or_b64 s[2:3], vcc, s[2:3]
	s_and_saveexec_b64 s[10:11], s[2:3]
	s_cbranch_execz .LBB1361_592
; %bb.502:
	v_cmp_ge_u32_e32 vcc, v23, v26
	v_cmp_lt_u32_e64 s[2:3], v23, v26
                                        ; implicit-def: $vgpr2_vgpr3
	s_and_saveexec_b64 s[4:5], s[2:3]
; %bb.503:
	v_lshl_add_u32 v2, v37, 3, v36
	ds_read_b64 v[2:3], v2
; %bb.504:
	s_or_b64 exec, exec, s[4:5]
	v_cmp_ge_u32_e64 s[12:13], v24, v27
	v_cmp_lt_u32_e64 s[2:3], v24, v27
                                        ; implicit-def: $vgpr4_vgpr5
	s_and_saveexec_b64 s[4:5], s[2:3]
; %bb.505:
	v_lshl_add_u32 v4, v24, 3, v35
	ds_read_b64 v[4:5], v4
; %bb.506:
	s_or_b64 exec, exec, s[4:5]
	s_nor_b64 s[2:3], vcc, s[12:13]
	s_and_saveexec_b64 s[22:23], s[2:3]
	s_cbranch_execz .LBB1361_515
; %bb.507:
	s_and_b64 vcc, exec, s[0:1]
	s_cbranch_vccnz .LBB1361_513
; %bb.508:
	s_waitcnt lgkmcnt(0)
	v_mul_lo_u32 v8, v5, s36
	v_mul_lo_u32 v9, v4, s37
	v_mad_u64_u32 v[6:7], s[2:3], v4, s36, 0
	v_add3_u32 v7, v7, v9, v8
	v_mul_lo_u32 v10, v3, s36
	v_mul_lo_u32 v11, v2, s37
	v_mad_u64_u32 v[8:9], s[2:3], v2, s36, 0
	v_add3_u32 v9, v9, v11, v10
	v_lshl_add_u64 v[6:7], v[6:7], 1, s[38:39]
	v_lshl_add_u64 v[8:9], v[8:9], 1, s[38:39]
	s_mov_b64 s[24:25], 0
	s_mov_b64 s[30:31], s[36:37]
                                        ; implicit-def: $sgpr26_sgpr27
                                        ; implicit-def: $sgpr28_sgpr29
                                        ; implicit-def: $sgpr2_sgpr3
                                        ; implicit-def: $sgpr40_sgpr41
	s_branch .LBB1361_510
.LBB1361_509:                           ;   in Loop: Header=BB1361_510 Depth=1
	s_or_b64 exec, exec, s[44:45]
	s_and_b64 s[4:5], exec, s[28:29]
	s_or_b64 s[24:25], s[4:5], s[24:25]
	s_andn2_b64 s[4:5], s[40:41], exec
	s_and_b64 s[40:41], s[42:43], exec
	s_or_b64 s[40:41], s[4:5], s[40:41]
	s_andn2_b64 s[4:5], s[26:27], exec
	s_and_b64 s[26:27], s[2:3], exec
	s_or_b64 s[26:27], s[4:5], s[26:27]
	s_andn2_b64 exec, exec, s[24:25]
	s_cbranch_execz .LBB1361_512
.LBB1361_510:                           ; =>This Inner Loop Header: Depth=1
	global_load_ushort v10, v[6:7], off
	global_load_ushort v11, v[8:9], off
	s_andn2_b64 s[44:45], s[2:3], exec
	s_or_b64 s[28:29], s[28:29], exec
	s_waitcnt vmcnt(0)
	v_cmp_le_u16_e64 s[2:3], v10, v11
	v_cmp_lt_u16_e32 vcc, v10, v11
	s_and_b64 s[2:3], s[2:3], s[40:41]
	s_or_b64 s[42:43], vcc, s[2:3]
	s_and_b64 s[2:3], s[42:43], exec
	v_cmp_eq_u16_e64 s[4:5], v10, v11
	s_or_b64 s[2:3], s[44:45], s[2:3]
	s_and_saveexec_b64 s[44:45], s[4:5]
	s_cbranch_execz .LBB1361_509
; %bb.511:                              ;   in Loop: Header=BB1361_510 Depth=1
	s_add_u32 s30, s30, -1
	s_addc_u32 s31, s31, -1
	s_cmp_eq_u64 s[30:31], 0
	s_cselect_b64 s[4:5], -1, 0
	s_andn2_b64 s[28:29], s[28:29], exec
	s_and_b64 s[4:5], s[4:5], exec
	v_lshl_add_u64 v[6:7], v[6:7], 0, 2
	v_lshl_add_u64 v[8:9], v[8:9], 0, 2
	s_andn2_b64 s[2:3], s[2:3], exec
	s_or_b64 s[28:29], s[28:29], s[4:5]
                                        ; implicit-def: $sgpr40_sgpr41
	s_branch .LBB1361_509
.LBB1361_512:
	s_or_b64 exec, exec, s[24:25]
	s_xor_b64 s[2:3], s[26:27], -1
	s_branch .LBB1361_514
.LBB1361_513:
	s_mov_b64 s[2:3], -1
.LBB1361_514:
	s_andn2_b64 s[4:5], s[12:13], exec
	s_and_b64 s[2:3], s[2:3], exec
	s_or_b64 s[12:13], s[4:5], s[2:3]
.LBB1361_515:
	s_or_b64 exec, exec, s[22:23]
	v_cndmask_b32_e64 v6, v24, v23, s[12:13]
	v_cndmask_b32_e64 v7, v27, v26, s[12:13]
	v_add_u32_e32 v8, 1, v6
	v_add_u32_e32 v6, -1, v7
	v_min_u32_e32 v6, v8, v6
	v_lshl_add_u32 v6, v6, 3, v35
	ds_read_b64 v[6:7], v6
	v_cndmask_b32_e64 v12, v8, v24, s[12:13]
	v_cndmask_b32_e64 v13, v23, v8, s[12:13]
	v_cmp_lt_u32_e32 vcc, v12, v27
	s_mov_b64 s[24:25], -1
	s_waitcnt lgkmcnt(0)
	v_cndmask_b32_e64 v14, v7, v5, s[12:13]
	v_cndmask_b32_e64 v15, v6, v4, s[12:13]
	;; [unrolled: 1-line block ×4, first 2 shown]
	s_mov_b64 s[22:23], -1
	s_and_saveexec_b64 s[26:27], vcc
	s_cbranch_execz .LBB1361_526
; %bb.516:
	v_cmp_lt_u32_e32 vcc, v13, v26
	s_mov_b64 s[2:3], 0
	s_and_saveexec_b64 s[22:23], vcc
	s_cbranch_execz .LBB1361_525
; %bb.517:
	s_and_b64 vcc, exec, s[0:1]
	s_cbranch_vccnz .LBB1361_523
; %bb.518:
	v_mul_lo_u32 v8, v14, s36
	v_mul_lo_u32 v9, v15, s37
	v_mad_u64_u32 v[6:7], s[2:3], v15, s36, 0
	v_add3_u32 v7, v7, v9, v8
	v_mul_lo_u32 v10, v16, s36
	v_mul_lo_u32 v11, v22, s37
	v_mad_u64_u32 v[8:9], s[2:3], v22, s36, 0
	v_add3_u32 v9, v9, v11, v10
	v_lshl_add_u64 v[6:7], v[6:7], 1, s[38:39]
	v_lshl_add_u64 v[8:9], v[8:9], 1, s[38:39]
	s_mov_b64 s[28:29], 0
	s_mov_b64 s[42:43], s[36:37]
                                        ; implicit-def: $sgpr30_sgpr31
                                        ; implicit-def: $sgpr40_sgpr41
                                        ; implicit-def: $sgpr2_sgpr3
                                        ; implicit-def: $sgpr44_sgpr45
	s_branch .LBB1361_520
.LBB1361_519:                           ;   in Loop: Header=BB1361_520 Depth=1
	s_or_b64 exec, exec, s[48:49]
	s_and_b64 s[4:5], exec, s[40:41]
	s_or_b64 s[28:29], s[4:5], s[28:29]
	s_andn2_b64 s[4:5], s[44:45], exec
	s_and_b64 s[44:45], s[46:47], exec
	s_or_b64 s[44:45], s[4:5], s[44:45]
	s_andn2_b64 s[4:5], s[30:31], exec
	s_and_b64 s[30:31], s[2:3], exec
	s_or_b64 s[30:31], s[4:5], s[30:31]
	s_andn2_b64 exec, exec, s[28:29]
	s_cbranch_execz .LBB1361_522
.LBB1361_520:                           ; =>This Inner Loop Header: Depth=1
	global_load_ushort v10, v[6:7], off
	global_load_ushort v11, v[8:9], off
	s_andn2_b64 s[48:49], s[2:3], exec
	s_or_b64 s[40:41], s[40:41], exec
	s_waitcnt vmcnt(0)
	v_cmp_le_u16_e64 s[2:3], v10, v11
	v_cmp_lt_u16_e32 vcc, v10, v11
	s_and_b64 s[2:3], s[2:3], s[44:45]
	s_or_b64 s[46:47], vcc, s[2:3]
	s_and_b64 s[2:3], s[46:47], exec
	v_cmp_eq_u16_e64 s[4:5], v10, v11
	s_or_b64 s[2:3], s[48:49], s[2:3]
	s_and_saveexec_b64 s[48:49], s[4:5]
	s_cbranch_execz .LBB1361_519
; %bb.521:                              ;   in Loop: Header=BB1361_520 Depth=1
	s_add_u32 s42, s42, -1
	s_addc_u32 s43, s43, -1
	s_cmp_eq_u64 s[42:43], 0
	s_cselect_b64 s[4:5], -1, 0
	s_andn2_b64 s[40:41], s[40:41], exec
	s_and_b64 s[4:5], s[4:5], exec
	v_lshl_add_u64 v[6:7], v[6:7], 0, 2
	v_lshl_add_u64 v[8:9], v[8:9], 0, 2
	s_andn2_b64 s[2:3], s[2:3], exec
	s_or_b64 s[40:41], s[40:41], s[4:5]
                                        ; implicit-def: $sgpr44_sgpr45
	s_branch .LBB1361_519
.LBB1361_522:
	s_or_b64 exec, exec, s[28:29]
	s_xor_b64 s[2:3], s[30:31], -1
	s_branch .LBB1361_524
.LBB1361_523:
	s_mov_b64 s[2:3], -1
.LBB1361_524:
	s_and_b64 s[2:3], s[2:3], exec
.LBB1361_525:
	s_or_b64 exec, exec, s[22:23]
	s_orn2_b64 s[22:23], s[2:3], exec
.LBB1361_526:
	s_or_b64 exec, exec, s[26:27]
	v_cndmask_b32_e64 v6, v12, v13, s[22:23]
	v_cndmask_b32_e64 v7, v27, v26, s[22:23]
	v_add_u32_e32 v8, 1, v6
	v_add_u32_e32 v6, -1, v7
	v_min_u32_e32 v6, v8, v6
	v_lshl_add_u32 v6, v6, 3, v35
	ds_read_b64 v[6:7], v6
	v_cndmask_b32_e64 v36, v8, v12, s[22:23]
	v_cndmask_b32_e64 v37, v13, v8, s[22:23]
	v_cmp_lt_u32_e32 vcc, v36, v27
	s_waitcnt lgkmcnt(0)
	v_cndmask_b32_e64 v10, v7, v14, s[22:23]
	v_cndmask_b32_e64 v17, v6, v15, s[22:23]
	;; [unrolled: 1-line block ×4, first 2 shown]
	s_and_saveexec_b64 s[26:27], vcc
	s_cbranch_execz .LBB1361_537
; %bb.527:
	v_cmp_lt_u32_e32 vcc, v37, v26
	s_mov_b64 s[2:3], 0
	s_and_saveexec_b64 s[24:25], vcc
	s_cbranch_execz .LBB1361_536
; %bb.528:
	s_and_b64 vcc, exec, s[0:1]
	s_cbranch_vccnz .LBB1361_534
; %bb.529:
	v_mul_lo_u32 v8, v10, s36
	v_mul_lo_u32 v9, v17, s37
	v_mad_u64_u32 v[6:7], s[2:3], v17, s36, 0
	v_add3_u32 v7, v7, v9, v8
	v_mul_lo_u32 v12, v11, s36
	v_mul_lo_u32 v13, v23, s37
	v_mad_u64_u32 v[8:9], s[2:3], v23, s36, 0
	v_add3_u32 v9, v9, v13, v12
	v_lshl_add_u64 v[6:7], v[6:7], 1, s[38:39]
	v_lshl_add_u64 v[8:9], v[8:9], 1, s[38:39]
	s_mov_b64 s[28:29], 0
	s_mov_b64 s[42:43], s[36:37]
                                        ; implicit-def: $sgpr30_sgpr31
                                        ; implicit-def: $sgpr40_sgpr41
                                        ; implicit-def: $sgpr2_sgpr3
                                        ; implicit-def: $sgpr44_sgpr45
	s_branch .LBB1361_531
.LBB1361_530:                           ;   in Loop: Header=BB1361_531 Depth=1
	s_or_b64 exec, exec, s[48:49]
	s_and_b64 s[4:5], exec, s[40:41]
	s_or_b64 s[28:29], s[4:5], s[28:29]
	s_andn2_b64 s[4:5], s[44:45], exec
	s_and_b64 s[44:45], s[46:47], exec
	s_or_b64 s[44:45], s[4:5], s[44:45]
	s_andn2_b64 s[4:5], s[30:31], exec
	s_and_b64 s[30:31], s[2:3], exec
	s_or_b64 s[30:31], s[4:5], s[30:31]
	s_andn2_b64 exec, exec, s[28:29]
	s_cbranch_execz .LBB1361_533
.LBB1361_531:                           ; =>This Inner Loop Header: Depth=1
	global_load_ushort v12, v[6:7], off
	global_load_ushort v13, v[8:9], off
	s_andn2_b64 s[48:49], s[2:3], exec
	s_or_b64 s[40:41], s[40:41], exec
	s_waitcnt vmcnt(0)
	v_cmp_le_u16_e64 s[2:3], v12, v13
	v_cmp_lt_u16_e32 vcc, v12, v13
	s_and_b64 s[2:3], s[2:3], s[44:45]
	s_or_b64 s[46:47], vcc, s[2:3]
	s_and_b64 s[2:3], s[46:47], exec
	v_cmp_eq_u16_e64 s[4:5], v12, v13
	s_or_b64 s[2:3], s[48:49], s[2:3]
	s_and_saveexec_b64 s[48:49], s[4:5]
	s_cbranch_execz .LBB1361_530
; %bb.532:                              ;   in Loop: Header=BB1361_531 Depth=1
	s_add_u32 s42, s42, -1
	s_addc_u32 s43, s43, -1
	s_cmp_eq_u64 s[42:43], 0
	s_cselect_b64 s[4:5], -1, 0
	s_andn2_b64 s[40:41], s[40:41], exec
	s_and_b64 s[4:5], s[4:5], exec
	v_lshl_add_u64 v[6:7], v[6:7], 0, 2
	v_lshl_add_u64 v[8:9], v[8:9], 0, 2
	s_andn2_b64 s[2:3], s[2:3], exec
	s_or_b64 s[40:41], s[40:41], s[4:5]
                                        ; implicit-def: $sgpr44_sgpr45
	s_branch .LBB1361_530
.LBB1361_533:
	s_or_b64 exec, exec, s[28:29]
	s_xor_b64 s[2:3], s[30:31], -1
	s_branch .LBB1361_535
.LBB1361_534:
	s_mov_b64 s[2:3], -1
.LBB1361_535:
	s_and_b64 s[2:3], s[2:3], exec
.LBB1361_536:
	s_or_b64 exec, exec, s[24:25]
	s_orn2_b64 s[24:25], s[2:3], exec
.LBB1361_537:
	s_or_b64 exec, exec, s[26:27]
	v_cndmask_b32_e64 v6, v36, v37, s[24:25]
	v_cndmask_b32_e64 v7, v27, v26, s[24:25]
	v_add_u32_e32 v8, 1, v6
	v_add_u32_e32 v6, -1, v7
	v_min_u32_e32 v6, v8, v6
	v_lshl_add_u32 v6, v6, 3, v35
	ds_read_b64 v[6:7], v6
	v_cndmask_b32_e64 v40, v8, v36, s[24:25]
	v_cndmask_b32_e64 v41, v37, v8, s[24:25]
	v_cmp_lt_u32_e32 vcc, v40, v27
	s_mov_b64 s[28:29], -1
	s_waitcnt lgkmcnt(0)
	v_cndmask_b32_e64 v12, v7, v10, s[24:25]
	v_cndmask_b32_e64 v24, v6, v17, s[24:25]
	v_cndmask_b32_e64 v13, v11, v7, s[24:25]
	v_cndmask_b32_e64 v25, v23, v6, s[24:25]
	s_mov_b64 s[26:27], -1
	s_and_saveexec_b64 s[30:31], vcc
	s_cbranch_execz .LBB1361_548
; %bb.538:
	v_cmp_lt_u32_e32 vcc, v41, v26
	s_mov_b64 s[2:3], 0
	s_and_saveexec_b64 s[26:27], vcc
	s_cbranch_execz .LBB1361_547
; %bb.539:
	s_and_b64 vcc, exec, s[0:1]
	s_cbranch_vccnz .LBB1361_545
; %bb.540:
	v_mul_lo_u32 v8, v12, s36
	v_mul_lo_u32 v9, v24, s37
	v_mad_u64_u32 v[6:7], s[2:3], v24, s36, 0
	v_add3_u32 v7, v7, v9, v8
	v_mul_lo_u32 v36, v13, s36
	v_mul_lo_u32 v37, v25, s37
	v_mad_u64_u32 v[8:9], s[2:3], v25, s36, 0
	v_add3_u32 v9, v9, v37, v36
	v_lshl_add_u64 v[6:7], v[6:7], 1, s[38:39]
	v_lshl_add_u64 v[8:9], v[8:9], 1, s[38:39]
	s_mov_b64 s[40:41], 0
	s_mov_b64 s[46:47], s[36:37]
                                        ; implicit-def: $sgpr42_sgpr43
                                        ; implicit-def: $sgpr44_sgpr45
                                        ; implicit-def: $sgpr2_sgpr3
                                        ; implicit-def: $sgpr48_sgpr49
	s_branch .LBB1361_542
.LBB1361_541:                           ;   in Loop: Header=BB1361_542 Depth=1
	s_or_b64 exec, exec, s[52:53]
	s_and_b64 s[4:5], exec, s[44:45]
	s_or_b64 s[40:41], s[4:5], s[40:41]
	s_andn2_b64 s[4:5], s[48:49], exec
	s_and_b64 s[48:49], s[50:51], exec
	s_or_b64 s[48:49], s[4:5], s[48:49]
	s_andn2_b64 s[4:5], s[42:43], exec
	s_and_b64 s[42:43], s[2:3], exec
	s_or_b64 s[42:43], s[4:5], s[42:43]
	s_andn2_b64 exec, exec, s[40:41]
	s_cbranch_execz .LBB1361_544
.LBB1361_542:                           ; =>This Inner Loop Header: Depth=1
	global_load_ushort v36, v[6:7], off
	global_load_ushort v37, v[8:9], off
	s_andn2_b64 s[52:53], s[2:3], exec
	s_or_b64 s[44:45], s[44:45], exec
	s_waitcnt vmcnt(0)
	v_cmp_le_u16_e64 s[2:3], v36, v37
	v_cmp_lt_u16_e32 vcc, v36, v37
	s_and_b64 s[2:3], s[2:3], s[48:49]
	s_or_b64 s[50:51], vcc, s[2:3]
	s_and_b64 s[2:3], s[50:51], exec
	v_cmp_eq_u16_e64 s[4:5], v36, v37
	s_or_b64 s[2:3], s[52:53], s[2:3]
	s_and_saveexec_b64 s[52:53], s[4:5]
	s_cbranch_execz .LBB1361_541
; %bb.543:                              ;   in Loop: Header=BB1361_542 Depth=1
	s_add_u32 s46, s46, -1
	s_addc_u32 s47, s47, -1
	s_cmp_eq_u64 s[46:47], 0
	s_cselect_b64 s[4:5], -1, 0
	s_andn2_b64 s[44:45], s[44:45], exec
	s_and_b64 s[4:5], s[4:5], exec
	v_lshl_add_u64 v[6:7], v[6:7], 0, 2
	v_lshl_add_u64 v[8:9], v[8:9], 0, 2
	s_andn2_b64 s[2:3], s[2:3], exec
	s_or_b64 s[44:45], s[44:45], s[4:5]
                                        ; implicit-def: $sgpr48_sgpr49
	s_branch .LBB1361_541
.LBB1361_544:
	s_or_b64 exec, exec, s[40:41]
	s_xor_b64 s[2:3], s[42:43], -1
	s_branch .LBB1361_546
.LBB1361_545:
	s_mov_b64 s[2:3], -1
.LBB1361_546:
	s_and_b64 s[2:3], s[2:3], exec
.LBB1361_547:
	s_or_b64 exec, exec, s[26:27]
	s_orn2_b64 s[26:27], s[2:3], exec
.LBB1361_548:
	s_or_b64 exec, exec, s[30:31]
	v_cndmask_b32_e64 v6, v40, v41, s[26:27]
	v_cndmask_b32_e64 v7, v27, v26, s[26:27]
	v_add_u32_e32 v8, 1, v6
	v_add_u32_e32 v6, -1, v7
	v_min_u32_e32 v6, v8, v6
	v_lshl_add_u32 v6, v6, 3, v35
	ds_read_b64 v[6:7], v6
	v_cndmask_b32_e64 v44, v8, v40, s[26:27]
	v_cndmask_b32_e64 v45, v41, v8, s[26:27]
	v_cmp_lt_u32_e32 vcc, v44, v27
	s_waitcnt lgkmcnt(0)
	v_cndmask_b32_e64 v36, v7, v12, s[26:27]
	v_cndmask_b32_e64 v37, v6, v24, s[26:27]
	;; [unrolled: 1-line block ×4, first 2 shown]
	s_and_saveexec_b64 s[30:31], vcc
	s_cbranch_execz .LBB1361_559
; %bb.549:
	v_cmp_lt_u32_e32 vcc, v45, v26
	s_mov_b64 s[2:3], 0
	s_and_saveexec_b64 s[28:29], vcc
	s_cbranch_execz .LBB1361_558
; %bb.550:
	s_and_b64 vcc, exec, s[0:1]
	s_cbranch_vccnz .LBB1361_556
; %bb.551:
	v_mul_lo_u32 v8, v36, s36
	v_mul_lo_u32 v9, v37, s37
	v_mad_u64_u32 v[6:7], s[2:3], v37, s36, 0
	v_add3_u32 v7, v7, v9, v8
	v_mul_lo_u32 v40, v38, s36
	v_mul_lo_u32 v41, v39, s37
	v_mad_u64_u32 v[8:9], s[2:3], v39, s36, 0
	v_add3_u32 v9, v9, v41, v40
	v_lshl_add_u64 v[6:7], v[6:7], 1, s[38:39]
	v_lshl_add_u64 v[8:9], v[8:9], 1, s[38:39]
	s_mov_b64 s[40:41], 0
	s_mov_b64 s[46:47], s[36:37]
                                        ; implicit-def: $sgpr42_sgpr43
                                        ; implicit-def: $sgpr44_sgpr45
                                        ; implicit-def: $sgpr2_sgpr3
                                        ; implicit-def: $sgpr48_sgpr49
	s_branch .LBB1361_553
.LBB1361_552:                           ;   in Loop: Header=BB1361_553 Depth=1
	s_or_b64 exec, exec, s[52:53]
	s_and_b64 s[4:5], exec, s[44:45]
	s_or_b64 s[40:41], s[4:5], s[40:41]
	s_andn2_b64 s[4:5], s[48:49], exec
	s_and_b64 s[48:49], s[50:51], exec
	s_or_b64 s[48:49], s[4:5], s[48:49]
	s_andn2_b64 s[4:5], s[42:43], exec
	s_and_b64 s[42:43], s[2:3], exec
	s_or_b64 s[42:43], s[4:5], s[42:43]
	s_andn2_b64 exec, exec, s[40:41]
	s_cbranch_execz .LBB1361_555
.LBB1361_553:                           ; =>This Inner Loop Header: Depth=1
	global_load_ushort v40, v[6:7], off
	global_load_ushort v41, v[8:9], off
	s_andn2_b64 s[52:53], s[2:3], exec
	s_or_b64 s[44:45], s[44:45], exec
	s_waitcnt vmcnt(0)
	v_cmp_le_u16_e64 s[2:3], v40, v41
	v_cmp_lt_u16_e32 vcc, v40, v41
	s_and_b64 s[2:3], s[2:3], s[48:49]
	s_or_b64 s[50:51], vcc, s[2:3]
	s_and_b64 s[2:3], s[50:51], exec
	v_cmp_eq_u16_e64 s[4:5], v40, v41
	s_or_b64 s[2:3], s[52:53], s[2:3]
	s_and_saveexec_b64 s[52:53], s[4:5]
	s_cbranch_execz .LBB1361_552
; %bb.554:                              ;   in Loop: Header=BB1361_553 Depth=1
	s_add_u32 s46, s46, -1
	s_addc_u32 s47, s47, -1
	s_cmp_eq_u64 s[46:47], 0
	s_cselect_b64 s[4:5], -1, 0
	s_andn2_b64 s[44:45], s[44:45], exec
	s_and_b64 s[4:5], s[4:5], exec
	v_lshl_add_u64 v[6:7], v[6:7], 0, 2
	v_lshl_add_u64 v[8:9], v[8:9], 0, 2
	s_andn2_b64 s[2:3], s[2:3], exec
	s_or_b64 s[44:45], s[44:45], s[4:5]
                                        ; implicit-def: $sgpr48_sgpr49
	s_branch .LBB1361_552
.LBB1361_555:
	s_or_b64 exec, exec, s[40:41]
	s_xor_b64 s[2:3], s[42:43], -1
	s_branch .LBB1361_557
.LBB1361_556:
	s_mov_b64 s[2:3], -1
.LBB1361_557:
	s_and_b64 s[2:3], s[2:3], exec
.LBB1361_558:
	s_or_b64 exec, exec, s[28:29]
	s_orn2_b64 s[28:29], s[2:3], exec
.LBB1361_559:
	s_or_b64 exec, exec, s[30:31]
	v_cndmask_b32_e64 v6, v44, v45, s[28:29]
	v_cndmask_b32_e64 v7, v27, v26, s[28:29]
	v_add_u32_e32 v8, 1, v6
	v_add_u32_e32 v6, -1, v7
	v_min_u32_e32 v6, v8, v6
	v_lshl_add_u32 v6, v6, 3, v35
	ds_read_b64 v[6:7], v6
	v_cndmask_b32_e64 v46, v8, v44, s[28:29]
	v_cndmask_b32_e64 v50, v45, v8, s[28:29]
	v_cmp_lt_u32_e32 vcc, v46, v27
	s_mov_b64 s[30:31], -1
	s_waitcnt lgkmcnt(0)
	v_cndmask_b32_e64 v40, v7, v36, s[28:29]
	v_cndmask_b32_e64 v41, v6, v37, s[28:29]
	;; [unrolled: 1-line block ×4, first 2 shown]
	s_mov_b64 s[40:41], -1
	s_and_saveexec_b64 s[42:43], vcc
	s_cbranch_execz .LBB1361_570
; %bb.560:
	v_cmp_lt_u32_e32 vcc, v50, v26
	s_mov_b64 s[2:3], 0
	s_and_saveexec_b64 s[40:41], vcc
	s_cbranch_execz .LBB1361_569
; %bb.561:
	s_and_b64 vcc, exec, s[0:1]
	s_cbranch_vccnz .LBB1361_567
; %bb.562:
	v_mul_lo_u32 v8, v40, s36
	v_mul_lo_u32 v9, v41, s37
	v_mad_u64_u32 v[6:7], s[2:3], v41, s36, 0
	v_add3_u32 v7, v7, v9, v8
	v_mul_lo_u32 v44, v42, s36
	v_mul_lo_u32 v45, v43, s37
	v_mad_u64_u32 v[8:9], s[2:3], v43, s36, 0
	v_add3_u32 v9, v9, v45, v44
	v_lshl_add_u64 v[6:7], v[6:7], 1, s[38:39]
	v_lshl_add_u64 v[8:9], v[8:9], 1, s[38:39]
	s_mov_b64 s[44:45], 0
	s_mov_b64 s[50:51], s[36:37]
                                        ; implicit-def: $sgpr46_sgpr47
                                        ; implicit-def: $sgpr48_sgpr49
                                        ; implicit-def: $sgpr2_sgpr3
                                        ; implicit-def: $sgpr52_sgpr53
	s_branch .LBB1361_564
.LBB1361_563:                           ;   in Loop: Header=BB1361_564 Depth=1
	s_or_b64 exec, exec, s[56:57]
	s_and_b64 s[4:5], exec, s[48:49]
	s_or_b64 s[44:45], s[4:5], s[44:45]
	s_andn2_b64 s[4:5], s[52:53], exec
	s_and_b64 s[52:53], s[54:55], exec
	s_or_b64 s[52:53], s[4:5], s[52:53]
	s_andn2_b64 s[4:5], s[46:47], exec
	s_and_b64 s[46:47], s[2:3], exec
	s_or_b64 s[46:47], s[4:5], s[46:47]
	s_andn2_b64 exec, exec, s[44:45]
	s_cbranch_execz .LBB1361_566
.LBB1361_564:                           ; =>This Inner Loop Header: Depth=1
	global_load_ushort v44, v[6:7], off
	global_load_ushort v45, v[8:9], off
	s_andn2_b64 s[56:57], s[2:3], exec
	s_or_b64 s[48:49], s[48:49], exec
	s_waitcnt vmcnt(0)
	v_cmp_le_u16_e64 s[2:3], v44, v45
	v_cmp_lt_u16_e32 vcc, v44, v45
	s_and_b64 s[2:3], s[2:3], s[52:53]
	s_or_b64 s[54:55], vcc, s[2:3]
	s_and_b64 s[2:3], s[54:55], exec
	v_cmp_eq_u16_e64 s[4:5], v44, v45
	s_or_b64 s[2:3], s[56:57], s[2:3]
	s_and_saveexec_b64 s[56:57], s[4:5]
	s_cbranch_execz .LBB1361_563
; %bb.565:                              ;   in Loop: Header=BB1361_564 Depth=1
	s_add_u32 s50, s50, -1
	s_addc_u32 s51, s51, -1
	s_cmp_eq_u64 s[50:51], 0
	s_cselect_b64 s[4:5], -1, 0
	s_andn2_b64 s[48:49], s[48:49], exec
	s_and_b64 s[4:5], s[4:5], exec
	v_lshl_add_u64 v[6:7], v[6:7], 0, 2
	v_lshl_add_u64 v[8:9], v[8:9], 0, 2
	s_andn2_b64 s[2:3], s[2:3], exec
	s_or_b64 s[48:49], s[48:49], s[4:5]
                                        ; implicit-def: $sgpr52_sgpr53
	s_branch .LBB1361_563
.LBB1361_566:
	s_or_b64 exec, exec, s[44:45]
	s_xor_b64 s[2:3], s[46:47], -1
	s_branch .LBB1361_568
.LBB1361_567:
	s_mov_b64 s[2:3], -1
.LBB1361_568:
	s_and_b64 s[2:3], s[2:3], exec
.LBB1361_569:
	s_or_b64 exec, exec, s[40:41]
	s_orn2_b64 s[40:41], s[2:3], exec
.LBB1361_570:
	s_or_b64 exec, exec, s[42:43]
	v_cndmask_b32_e64 v6, v46, v50, s[40:41]
	v_cndmask_b32_e64 v7, v27, v26, s[40:41]
	v_add_u32_e32 v8, 1, v6
	v_add_u32_e32 v6, -1, v7
	v_min_u32_e32 v6, v8, v6
	v_lshl_add_u32 v6, v6, 3, v35
	ds_read_b64 v[6:7], v6
	v_cndmask_b32_e64 v47, v8, v46, s[40:41]
	v_cndmask_b32_e64 v46, v50, v8, s[40:41]
	v_cmp_lt_u32_e32 vcc, v47, v27
	s_waitcnt lgkmcnt(0)
	v_cndmask_b32_e64 v44, v7, v40, s[40:41]
	v_cndmask_b32_e64 v45, v6, v41, s[40:41]
	;; [unrolled: 1-line block ×4, first 2 shown]
	s_and_saveexec_b64 s[42:43], vcc
	s_cbranch_execz .LBB1361_581
; %bb.571:
	v_cmp_lt_u32_e32 vcc, v46, v26
	s_mov_b64 s[2:3], 0
	s_and_saveexec_b64 s[30:31], vcc
	s_cbranch_execz .LBB1361_580
; %bb.572:
	s_and_b64 vcc, exec, s[0:1]
	s_cbranch_vccnz .LBB1361_578
; %bb.573:
	v_mul_lo_u32 v8, v44, s36
	v_mul_lo_u32 v9, v45, s37
	v_mad_u64_u32 v[6:7], s[2:3], v45, s36, 0
	v_add3_u32 v7, v7, v9, v8
	v_mul_lo_u32 v50, v48, s36
	v_mul_lo_u32 v51, v49, s37
	v_mad_u64_u32 v[8:9], s[2:3], v49, s36, 0
	v_add3_u32 v9, v9, v51, v50
	v_lshl_add_u64 v[6:7], v[6:7], 1, s[38:39]
	v_lshl_add_u64 v[8:9], v[8:9], 1, s[38:39]
	s_mov_b64 s[44:45], 0
	s_mov_b64 s[50:51], s[36:37]
                                        ; implicit-def: $sgpr46_sgpr47
                                        ; implicit-def: $sgpr48_sgpr49
                                        ; implicit-def: $sgpr2_sgpr3
                                        ; implicit-def: $sgpr52_sgpr53
	s_branch .LBB1361_575
.LBB1361_574:                           ;   in Loop: Header=BB1361_575 Depth=1
	s_or_b64 exec, exec, s[56:57]
	s_and_b64 s[4:5], exec, s[48:49]
	s_or_b64 s[44:45], s[4:5], s[44:45]
	s_andn2_b64 s[4:5], s[52:53], exec
	s_and_b64 s[52:53], s[54:55], exec
	s_or_b64 s[52:53], s[4:5], s[52:53]
	s_andn2_b64 s[4:5], s[46:47], exec
	s_and_b64 s[46:47], s[2:3], exec
	s_or_b64 s[46:47], s[4:5], s[46:47]
	s_andn2_b64 exec, exec, s[44:45]
	s_cbranch_execz .LBB1361_577
.LBB1361_575:                           ; =>This Inner Loop Header: Depth=1
	global_load_ushort v50, v[6:7], off
	global_load_ushort v51, v[8:9], off
	s_andn2_b64 s[56:57], s[2:3], exec
	s_or_b64 s[48:49], s[48:49], exec
	s_waitcnt vmcnt(0)
	v_cmp_le_u16_e64 s[2:3], v50, v51
	v_cmp_lt_u16_e32 vcc, v50, v51
	s_and_b64 s[2:3], s[2:3], s[52:53]
	s_or_b64 s[54:55], vcc, s[2:3]
	s_and_b64 s[2:3], s[54:55], exec
	v_cmp_eq_u16_e64 s[4:5], v50, v51
	s_or_b64 s[2:3], s[56:57], s[2:3]
	s_and_saveexec_b64 s[56:57], s[4:5]
	s_cbranch_execz .LBB1361_574
; %bb.576:                              ;   in Loop: Header=BB1361_575 Depth=1
	s_add_u32 s50, s50, -1
	s_addc_u32 s51, s51, -1
	s_cmp_eq_u64 s[50:51], 0
	s_cselect_b64 s[4:5], -1, 0
	s_andn2_b64 s[48:49], s[48:49], exec
	s_and_b64 s[4:5], s[4:5], exec
	v_lshl_add_u64 v[6:7], v[6:7], 0, 2
	v_lshl_add_u64 v[8:9], v[8:9], 0, 2
	s_andn2_b64 s[2:3], s[2:3], exec
	s_or_b64 s[48:49], s[48:49], s[4:5]
                                        ; implicit-def: $sgpr52_sgpr53
	s_branch .LBB1361_574
.LBB1361_577:
	s_or_b64 exec, exec, s[44:45]
	s_xor_b64 s[2:3], s[46:47], -1
	s_branch .LBB1361_579
.LBB1361_578:
	s_mov_b64 s[2:3], -1
.LBB1361_579:
	s_and_b64 s[2:3], s[2:3], exec
.LBB1361_580:
	s_or_b64 exec, exec, s[30:31]
	s_orn2_b64 s[30:31], s[2:3], exec
.LBB1361_581:
	s_or_b64 exec, exec, s[42:43]
	v_cndmask_b32_e64 v11, v10, v11, s[24:25]
	v_cndmask_b32_e64 v10, v17, v23, s[24:25]
	;; [unrolled: 1-line block ×8, first 2 shown]
	v_add_u32_e32 v24, 1, v14
	v_add_u32_e32 v14, -1, v15
	v_min_u32_e32 v14, v24, v14
	v_lshl_add_u32 v14, v14, 3, v35
	ds_read_b64 v[22:23], v14
	v_cndmask_b32_e64 v25, v24, v47, s[30:31]
	v_cndmask_b32_e64 v9, v40, v42, s[40:41]
	;; [unrolled: 1-line block ×9, first 2 shown]
	s_waitcnt lgkmcnt(0)
	v_cndmask_b32_e64 v5, v48, v23, s[30:31]
	v_cndmask_b32_e64 v4, v49, v22, s[30:31]
	v_cmp_lt_u32_e32 vcc, v25, v27
	s_and_saveexec_b64 s[12:13], vcc
	s_cbranch_execz .LBB1361_591
; %bb.582:
	v_cndmask_b32_e64 v24, v46, v24, s[30:31]
	v_cndmask_b32_e64 v23, v23, v44, s[30:31]
	v_cndmask_b32_e64 v22, v22, v45, s[30:31]
	v_cmp_lt_u32_e32 vcc, v24, v26
	s_and_saveexec_b64 s[22:23], vcc
	s_cbranch_execz .LBB1361_590
; %bb.583:
	s_and_b64 vcc, exec, s[0:1]
	s_cbranch_vccnz .LBB1361_589
; %bb.584:
	v_mul_lo_u32 v26, v23, s36
	v_mul_lo_u32 v27, v22, s37
	v_mad_u64_u32 v[24:25], s[2:3], v22, s36, 0
	v_add3_u32 v25, v25, v27, v26
	v_mul_lo_u32 v35, v5, s36
	v_mul_lo_u32 v36, v4, s37
	v_mad_u64_u32 v[26:27], s[2:3], v4, s36, 0
	v_add3_u32 v27, v27, v36, v35
	v_lshl_add_u64 v[24:25], v[24:25], 1, s[38:39]
	v_lshl_add_u64 v[26:27], v[26:27], 1, s[38:39]
	s_mov_b64 s[24:25], 0
	s_mov_b64 s[30:31], s[36:37]
                                        ; implicit-def: $sgpr26_sgpr27
                                        ; implicit-def: $sgpr28_sgpr29
                                        ; implicit-def: $sgpr2_sgpr3
                                        ; implicit-def: $sgpr40_sgpr41
	s_branch .LBB1361_586
.LBB1361_585:                           ;   in Loop: Header=BB1361_586 Depth=1
	s_or_b64 exec, exec, s[44:45]
	s_and_b64 s[4:5], exec, s[28:29]
	s_or_b64 s[24:25], s[4:5], s[24:25]
	s_andn2_b64 s[4:5], s[40:41], exec
	s_and_b64 s[40:41], s[42:43], exec
	s_or_b64 s[40:41], s[4:5], s[40:41]
	s_andn2_b64 s[4:5], s[26:27], exec
	s_and_b64 s[26:27], s[2:3], exec
	s_or_b64 s[26:27], s[4:5], s[26:27]
	s_andn2_b64 exec, exec, s[24:25]
	s_cbranch_execz .LBB1361_588
.LBB1361_586:                           ; =>This Inner Loop Header: Depth=1
	global_load_ushort v35, v[24:25], off
	global_load_ushort v36, v[26:27], off
	s_andn2_b64 s[44:45], s[2:3], exec
	s_or_b64 s[28:29], s[28:29], exec
	s_waitcnt vmcnt(0)
	v_cmp_le_u16_e64 s[2:3], v35, v36
	v_cmp_lt_u16_e32 vcc, v35, v36
	s_and_b64 s[2:3], s[2:3], s[40:41]
	s_or_b64 s[42:43], vcc, s[2:3]
	s_and_b64 s[2:3], s[42:43], exec
	v_cmp_eq_u16_e64 s[4:5], v35, v36
	s_or_b64 s[2:3], s[44:45], s[2:3]
	s_and_saveexec_b64 s[44:45], s[4:5]
	s_cbranch_execz .LBB1361_585
; %bb.587:                              ;   in Loop: Header=BB1361_586 Depth=1
	s_add_u32 s30, s30, -1
	s_addc_u32 s31, s31, -1
	s_cmp_eq_u64 s[30:31], 0
	s_cselect_b64 s[4:5], -1, 0
	s_andn2_b64 s[28:29], s[28:29], exec
	s_and_b64 s[4:5], s[4:5], exec
	v_lshl_add_u64 v[24:25], v[24:25], 0, 2
	v_lshl_add_u64 v[26:27], v[26:27], 0, 2
	s_andn2_b64 s[2:3], s[2:3], exec
	s_or_b64 s[28:29], s[28:29], s[4:5]
                                        ; implicit-def: $sgpr40_sgpr41
	s_branch .LBB1361_585
.LBB1361_588:
	s_or_b64 exec, exec, s[24:25]
	v_cndmask_b32_e64 v5, v5, v23, s[26:27]
	v_cndmask_b32_e64 v4, v4, v22, s[26:27]
.LBB1361_589:
	v_mov_b64_e32 v[22:23], v[4:5]
.LBB1361_590:
	s_or_b64 exec, exec, s[22:23]
	v_mov_b64_e32 v[4:5], v[22:23]
.LBB1361_591:
	s_or_b64 exec, exec, s[12:13]
.LBB1361_592:
	s_or_b64 exec, exec, s[10:11]
	v_lshlrev_b32_e32 v26, 3, v20
	s_lshl_b64 s[10:11], s[36:37], 1
	s_movk_i32 s9, 0x80
	; wave barrier
	s_waitcnt lgkmcnt(0)
	s_barrier
.LBB1361_593:                           ; =>This Loop Header: Depth=1
                                        ;     Child Loop BB1361_597 Depth 2
                                        ;       Child Loop BB1361_600 Depth 3
                                        ;     Child Loop BB1361_612 Depth 2
                                        ;     Child Loop BB1361_622 Depth 2
	;; [unrolled: 1-line block ×8, first 2 shown]
	s_lshl_b32 s15, s9, 1
	s_sub_i32 s3, 0, s15
	v_and_b32_e32 v38, s3, v20
	v_add_u32_e32 v22, s9, v38
	v_min_u32_e32 v27, 0x800, v22
	s_add_i32 s2, s15, -1
	v_add_u32_e32 v22, s9, v27
	v_min_u32_e32 v35, 0x800, v22
	v_and_b32_e32 v22, s2, v20
	v_min_u32_e32 v39, 0x800, v22
	v_sub_u32_e32 v22, v27, v38
	v_sub_u32_e32 v23, v35, v27
	v_sub_u32_e64 v37, v39, v23 clamp
	v_min_u32_e32 v40, v39, v22
	v_lshlrev_b32_e32 v36, 3, v38
	v_cmp_lt_u32_e32 vcc, v37, v40
	ds_write_b128 v26, v[14:17]
	ds_write_b128 v26, v[10:13] offset:16
	ds_write_b128 v26, v[6:9] offset:32
	;; [unrolled: 1-line block ×3, first 2 shown]
	s_waitcnt lgkmcnt(0)
	s_barrier
	s_and_saveexec_b64 s[12:13], vcc
	s_cbranch_execz .LBB1361_603
; %bb.594:                              ;   in Loop: Header=BB1361_593 Depth=1
	v_lshlrev_b32_e32 v22, 3, v39
	v_lshl_add_u32 v41, v27, 3, v22
	s_mov_b64 s[22:23], 0
	s_branch .LBB1361_597
.LBB1361_595:                           ;   in Loop: Header=BB1361_597 Depth=2
	s_or_b64 exec, exec, s[26:27]
.LBB1361_596:                           ;   in Loop: Header=BB1361_597 Depth=2
	v_add_u32_e32 v22, 1, v42
	v_cndmask_b32_e64 v40, v40, v42, s[24:25]
	v_cndmask_b32_e64 v37, v22, v37, s[24:25]
	v_cmp_ge_u32_e32 vcc, v37, v40
	s_or_b64 s[22:23], vcc, s[22:23]
	s_andn2_b64 exec, exec, s[22:23]
	s_cbranch_execz .LBB1361_602
.LBB1361_597:                           ;   Parent Loop BB1361_593 Depth=1
                                        ; =>  This Loop Header: Depth=2
                                        ;       Child Loop BB1361_600 Depth 3
	v_add_u32_e32 v22, v40, v37
	v_lshrrev_b32_e32 v42, 1, v22
	s_and_b64 vcc, exec, s[0:1]
	s_mov_b64 s[24:25], 0
	s_cbranch_vccnz .LBB1361_596
; %bb.598:                              ;   in Loop: Header=BB1361_597 Depth=2
	v_not_b32_e32 v22, v42
	v_lshl_add_u32 v22, v22, 3, v41
	ds_read_b64 v[22:23], v22
	v_lshl_add_u32 v43, v42, 3, v36
	ds_read_b64 v[44:45], v43
	v_mov_b64_e32 v[24:25], s[38:39]
	s_mov_b64 s[26:27], 0
	s_waitcnt lgkmcnt(1)
	v_mul_lo_u32 v43, s10, v23
	v_mul_lo_u32 v46, s11, v22
	v_mad_u64_u32 v[22:23], s[2:3], s10, v22, v[24:25]
	v_add3_u32 v23, v46, v23, v43
	s_waitcnt lgkmcnt(0)
	v_mul_lo_u32 v43, s10, v45
	v_mul_lo_u32 v45, s11, v44
	v_mad_u64_u32 v[24:25], s[2:3], s10, v44, v[24:25]
	v_add3_u32 v25, v45, v25, v43
	s_mov_b64 s[30:31], s[36:37]
                                        ; implicit-def: $sgpr24_sgpr25
                                        ; implicit-def: $sgpr28_sgpr29
                                        ; implicit-def: $sgpr2_sgpr3
                                        ; implicit-def: $sgpr40_sgpr41
	s_branch .LBB1361_600
.LBB1361_599:                           ;   in Loop: Header=BB1361_600 Depth=3
	s_or_b64 exec, exec, s[44:45]
	s_and_b64 s[4:5], exec, s[28:29]
	s_or_b64 s[26:27], s[4:5], s[26:27]
	s_andn2_b64 s[4:5], s[40:41], exec
	s_and_b64 s[40:41], s[42:43], exec
	s_or_b64 s[40:41], s[4:5], s[40:41]
	s_andn2_b64 s[4:5], s[24:25], exec
	s_and_b64 s[24:25], s[2:3], exec
	s_or_b64 s[24:25], s[4:5], s[24:25]
	s_andn2_b64 exec, exec, s[26:27]
	s_cbranch_execz .LBB1361_595
.LBB1361_600:                           ;   Parent Loop BB1361_593 Depth=1
                                        ;     Parent Loop BB1361_597 Depth=2
                                        ; =>    This Inner Loop Header: Depth=3
	global_load_ushort v43, v[22:23], off
	global_load_ushort v44, v[24:25], off
	s_andn2_b64 s[44:45], s[2:3], exec
	s_or_b64 s[28:29], s[28:29], exec
	s_waitcnt vmcnt(0)
	v_cmp_le_u16_e64 s[2:3], v43, v44
	v_cmp_lt_u16_e32 vcc, v43, v44
	s_and_b64 s[2:3], s[2:3], s[40:41]
	s_or_b64 s[42:43], vcc, s[2:3]
	s_and_b64 s[2:3], s[42:43], exec
	v_cmp_eq_u16_e64 s[4:5], v43, v44
	s_or_b64 s[2:3], s[44:45], s[2:3]
	s_and_saveexec_b64 s[44:45], s[4:5]
	s_cbranch_execz .LBB1361_599
; %bb.601:                              ;   in Loop: Header=BB1361_600 Depth=3
	s_add_u32 s30, s30, -1
	s_addc_u32 s31, s31, -1
	s_cmp_eq_u64 s[30:31], 0
	s_cselect_b64 s[4:5], -1, 0
	s_andn2_b64 s[28:29], s[28:29], exec
	s_and_b64 s[4:5], s[4:5], exec
	v_lshl_add_u64 v[22:23], v[22:23], 0, 2
	v_lshl_add_u64 v[24:25], v[24:25], 0, 2
	s_andn2_b64 s[2:3], s[2:3], exec
	s_or_b64 s[28:29], s[28:29], s[4:5]
                                        ; implicit-def: $sgpr40_sgpr41
	s_branch .LBB1361_599
.LBB1361_602:                           ;   in Loop: Header=BB1361_593 Depth=1
	s_or_b64 exec, exec, s[22:23]
.LBB1361_603:                           ;   in Loop: Header=BB1361_593 Depth=1
	s_or_b64 exec, exec, s[12:13]
	v_sub_u32_e32 v22, v39, v37
	v_add_u32_e32 v24, v37, v38
	v_add_u32_e32 v25, v22, v27
	v_cmp_le_u32_e32 vcc, v24, v27
	v_cmp_le_u32_e64 s[2:3], v25, v35
	s_or_b64 s[2:3], vcc, s[2:3]
	s_and_saveexec_b64 s[12:13], s[2:3]
	s_cbranch_execz .LBB1361_694
; %bb.604:                              ;   in Loop: Header=BB1361_593 Depth=1
	v_cmp_ge_u32_e32 vcc, v24, v27
	v_cmp_lt_u32_e64 s[2:3], v24, v27
                                        ; implicit-def: $vgpr2_vgpr3
	s_and_saveexec_b64 s[4:5], s[2:3]
; %bb.605:                              ;   in Loop: Header=BB1361_593 Depth=1
	v_lshl_add_u32 v2, v37, 3, v36
	ds_read_b64 v[2:3], v2
; %bb.606:                              ;   in Loop: Header=BB1361_593 Depth=1
	s_or_b64 exec, exec, s[4:5]
	v_cmp_ge_u32_e64 s[22:23], v25, v35
	v_cmp_lt_u32_e64 s[2:3], v25, v35
                                        ; implicit-def: $vgpr14_vgpr15
	s_and_saveexec_b64 s[4:5], s[2:3]
; %bb.607:                              ;   in Loop: Header=BB1361_593 Depth=1
	v_lshlrev_b32_e32 v4, 3, v25
	ds_read_b64 v[14:15], v4
; %bb.608:                              ;   in Loop: Header=BB1361_593 Depth=1
	s_or_b64 exec, exec, s[4:5]
	s_nor_b64 s[2:3], vcc, s[22:23]
	s_and_saveexec_b64 s[24:25], s[2:3]
	s_cbranch_execz .LBB1361_617
; %bb.609:                              ;   in Loop: Header=BB1361_593 Depth=1
	s_and_b64 vcc, exec, s[0:1]
	s_cbranch_vccnz .LBB1361_615
; %bb.610:                              ;   in Loop: Header=BB1361_593 Depth=1
	v_mov_b64_e32 v[6:7], s[38:39]
	s_waitcnt lgkmcnt(0)
	v_mad_u64_u32 v[4:5], s[2:3], s10, v14, v[6:7]
	v_mul_lo_u32 v8, s10, v15
	v_mul_lo_u32 v9, s11, v14
	v_add3_u32 v5, v9, v5, v8
	v_mad_u64_u32 v[6:7], s[2:3], s10, v2, v[6:7]
	v_mul_lo_u32 v8, s10, v3
	v_mul_lo_u32 v9, s11, v2
	v_add3_u32 v7, v9, v7, v8
	s_mov_b64 s[26:27], 0
	s_mov_b64 s[40:41], s[36:37]
                                        ; implicit-def: $sgpr28_sgpr29
                                        ; implicit-def: $sgpr30_sgpr31
                                        ; implicit-def: $sgpr2_sgpr3
                                        ; implicit-def: $sgpr42_sgpr43
	s_branch .LBB1361_612
.LBB1361_611:                           ;   in Loop: Header=BB1361_612 Depth=2
	s_or_b64 exec, exec, s[46:47]
	s_and_b64 s[4:5], exec, s[30:31]
	s_or_b64 s[26:27], s[4:5], s[26:27]
	s_andn2_b64 s[4:5], s[42:43], exec
	s_and_b64 s[42:43], s[44:45], exec
	s_or_b64 s[42:43], s[4:5], s[42:43]
	s_andn2_b64 s[4:5], s[28:29], exec
	s_and_b64 s[28:29], s[2:3], exec
	s_or_b64 s[28:29], s[4:5], s[28:29]
	s_andn2_b64 exec, exec, s[26:27]
	s_cbranch_execz .LBB1361_614
.LBB1361_612:                           ;   Parent Loop BB1361_593 Depth=1
                                        ; =>  This Inner Loop Header: Depth=2
	global_load_ushort v8, v[4:5], off
	global_load_ushort v9, v[6:7], off
	s_andn2_b64 s[46:47], s[2:3], exec
	s_or_b64 s[30:31], s[30:31], exec
	s_waitcnt vmcnt(0)
	v_cmp_le_u16_e64 s[2:3], v8, v9
	v_cmp_lt_u16_e32 vcc, v8, v9
	s_and_b64 s[2:3], s[2:3], s[42:43]
	s_or_b64 s[44:45], vcc, s[2:3]
	s_and_b64 s[2:3], s[44:45], exec
	v_cmp_eq_u16_e64 s[4:5], v8, v9
	s_or_b64 s[2:3], s[46:47], s[2:3]
	s_and_saveexec_b64 s[46:47], s[4:5]
	s_cbranch_execz .LBB1361_611
; %bb.613:                              ;   in Loop: Header=BB1361_612 Depth=2
	s_add_u32 s40, s40, -1
	s_addc_u32 s41, s41, -1
	s_cmp_eq_u64 s[40:41], 0
	s_cselect_b64 s[4:5], -1, 0
	s_andn2_b64 s[30:31], s[30:31], exec
	s_and_b64 s[4:5], s[4:5], exec
	v_lshl_add_u64 v[4:5], v[4:5], 0, 2
	v_lshl_add_u64 v[6:7], v[6:7], 0, 2
	s_andn2_b64 s[2:3], s[2:3], exec
	s_or_b64 s[30:31], s[30:31], s[4:5]
                                        ; implicit-def: $sgpr42_sgpr43
	s_branch .LBB1361_611
.LBB1361_614:                           ;   in Loop: Header=BB1361_593 Depth=1
	s_or_b64 exec, exec, s[26:27]
	s_xor_b64 s[2:3], s[28:29], -1
	s_branch .LBB1361_616
.LBB1361_615:                           ;   in Loop: Header=BB1361_593 Depth=1
	s_mov_b64 s[2:3], -1
.LBB1361_616:                           ;   in Loop: Header=BB1361_593 Depth=1
	s_andn2_b64 s[4:5], s[22:23], exec
	s_and_b64 s[2:3], s[2:3], exec
	s_or_b64 s[22:23], s[4:5], s[2:3]
.LBB1361_617:                           ;   in Loop: Header=BB1361_593 Depth=1
	s_or_b64 exec, exec, s[24:25]
	v_cndmask_b32_e64 v4, v25, v24, s[22:23]
	v_cndmask_b32_e64 v5, v35, v27, s[22:23]
	v_add_u32_e32 v6, 1, v4
	v_add_u32_e32 v4, -1, v5
	v_min_u32_e32 v4, v6, v4
	v_lshlrev_b32_e32 v4, 3, v4
	ds_read_b64 v[4:5], v4
	v_cndmask_b32_e64 v8, v6, v25, s[22:23]
	v_cndmask_b32_e64 v9, v24, v6, s[22:23]
	v_cmp_lt_u32_e32 vcc, v8, v35
	s_mov_b64 s[26:27], -1
	s_waitcnt lgkmcnt(0)
	v_cndmask_b32_e64 v16, v5, v15, s[22:23]
	v_cndmask_b32_e64 v22, v4, v14, s[22:23]
	;; [unrolled: 1-line block ×4, first 2 shown]
	s_mov_b64 s[24:25], -1
	s_and_saveexec_b64 s[28:29], vcc
	s_cbranch_execz .LBB1361_628
; %bb.618:                              ;   in Loop: Header=BB1361_593 Depth=1
	v_cmp_lt_u32_e32 vcc, v9, v27
	s_mov_b64 s[2:3], 0
	s_and_saveexec_b64 s[24:25], vcc
	s_cbranch_execz .LBB1361_627
; %bb.619:                              ;   in Loop: Header=BB1361_593 Depth=1
	s_and_b64 vcc, exec, s[0:1]
	s_cbranch_vccnz .LBB1361_625
; %bb.620:                              ;   in Loop: Header=BB1361_593 Depth=1
	v_mov_b64_e32 v[6:7], s[38:39]
	v_mad_u64_u32 v[4:5], s[2:3], s10, v22, v[6:7]
	v_mul_lo_u32 v10, s10, v16
	v_mul_lo_u32 v11, s11, v22
	v_add3_u32 v5, v11, v5, v10
	v_mad_u64_u32 v[6:7], s[2:3], s10, v23, v[6:7]
	v_mul_lo_u32 v10, s10, v17
	v_mul_lo_u32 v11, s11, v23
	v_add3_u32 v7, v11, v7, v10
	s_mov_b64 s[30:31], 0
	s_mov_b64 s[44:45], s[36:37]
                                        ; implicit-def: $sgpr40_sgpr41
                                        ; implicit-def: $sgpr42_sgpr43
                                        ; implicit-def: $sgpr2_sgpr3
                                        ; implicit-def: $sgpr46_sgpr47
	s_branch .LBB1361_622
.LBB1361_621:                           ;   in Loop: Header=BB1361_622 Depth=2
	s_or_b64 exec, exec, s[50:51]
	s_and_b64 s[4:5], exec, s[42:43]
	s_or_b64 s[30:31], s[4:5], s[30:31]
	s_andn2_b64 s[4:5], s[46:47], exec
	s_and_b64 s[46:47], s[48:49], exec
	s_or_b64 s[46:47], s[4:5], s[46:47]
	s_andn2_b64 s[4:5], s[40:41], exec
	s_and_b64 s[40:41], s[2:3], exec
	s_or_b64 s[40:41], s[4:5], s[40:41]
	s_andn2_b64 exec, exec, s[30:31]
	s_cbranch_execz .LBB1361_624
.LBB1361_622:                           ;   Parent Loop BB1361_593 Depth=1
                                        ; =>  This Inner Loop Header: Depth=2
	global_load_ushort v10, v[4:5], off
	global_load_ushort v11, v[6:7], off
	s_andn2_b64 s[50:51], s[2:3], exec
	s_or_b64 s[42:43], s[42:43], exec
	s_waitcnt vmcnt(0)
	v_cmp_le_u16_e64 s[2:3], v10, v11
	v_cmp_lt_u16_e32 vcc, v10, v11
	s_and_b64 s[2:3], s[2:3], s[46:47]
	s_or_b64 s[48:49], vcc, s[2:3]
	s_and_b64 s[2:3], s[48:49], exec
	v_cmp_eq_u16_e64 s[4:5], v10, v11
	s_or_b64 s[2:3], s[50:51], s[2:3]
	s_and_saveexec_b64 s[50:51], s[4:5]
	s_cbranch_execz .LBB1361_621
; %bb.623:                              ;   in Loop: Header=BB1361_622 Depth=2
	s_add_u32 s44, s44, -1
	s_addc_u32 s45, s45, -1
	s_cmp_eq_u64 s[44:45], 0
	s_cselect_b64 s[4:5], -1, 0
	s_andn2_b64 s[42:43], s[42:43], exec
	s_and_b64 s[4:5], s[4:5], exec
	v_lshl_add_u64 v[4:5], v[4:5], 0, 2
	v_lshl_add_u64 v[6:7], v[6:7], 0, 2
	s_andn2_b64 s[2:3], s[2:3], exec
	s_or_b64 s[42:43], s[42:43], s[4:5]
                                        ; implicit-def: $sgpr46_sgpr47
	s_branch .LBB1361_621
.LBB1361_624:                           ;   in Loop: Header=BB1361_593 Depth=1
	s_or_b64 exec, exec, s[30:31]
	s_xor_b64 s[2:3], s[40:41], -1
	s_branch .LBB1361_626
.LBB1361_625:                           ;   in Loop: Header=BB1361_593 Depth=1
	s_mov_b64 s[2:3], -1
.LBB1361_626:                           ;   in Loop: Header=BB1361_593 Depth=1
	s_and_b64 s[2:3], s[2:3], exec
.LBB1361_627:                           ;   in Loop: Header=BB1361_593 Depth=1
	s_or_b64 exec, exec, s[24:25]
	s_orn2_b64 s[24:25], s[2:3], exec
.LBB1361_628:                           ;   in Loop: Header=BB1361_593 Depth=1
	s_or_b64 exec, exec, s[28:29]
	v_cndmask_b32_e64 v4, v8, v9, s[24:25]
	v_cndmask_b32_e64 v5, v35, v27, s[24:25]
	v_add_u32_e32 v6, 1, v4
	v_add_u32_e32 v4, -1, v5
	v_min_u32_e32 v4, v6, v4
	v_lshlrev_b32_e32 v4, 3, v4
	ds_read_b64 v[4:5], v4
	v_cndmask_b32_e64 v8, v6, v8, s[24:25]
	v_cndmask_b32_e64 v9, v9, v6, s[24:25]
	v_cmp_lt_u32_e32 vcc, v8, v35
	s_waitcnt lgkmcnt(0)
	v_cndmask_b32_e64 v24, v5, v16, s[24:25]
	v_cndmask_b32_e64 v25, v4, v22, s[24:25]
	;; [unrolled: 1-line block ×4, first 2 shown]
	s_and_saveexec_b64 s[28:29], vcc
	s_cbranch_execz .LBB1361_639
; %bb.629:                              ;   in Loop: Header=BB1361_593 Depth=1
	v_cmp_lt_u32_e32 vcc, v9, v27
	s_mov_b64 s[2:3], 0
	s_and_saveexec_b64 s[26:27], vcc
	s_cbranch_execz .LBB1361_638
; %bb.630:                              ;   in Loop: Header=BB1361_593 Depth=1
	s_and_b64 vcc, exec, s[0:1]
	s_cbranch_vccnz .LBB1361_636
; %bb.631:                              ;   in Loop: Header=BB1361_593 Depth=1
	v_mov_b64_e32 v[6:7], s[38:39]
	v_mad_u64_u32 v[4:5], s[2:3], s10, v25, v[6:7]
	v_mul_lo_u32 v10, s10, v24
	v_mul_lo_u32 v11, s11, v25
	v_add3_u32 v5, v11, v5, v10
	v_mad_u64_u32 v[6:7], s[2:3], s10, v37, v[6:7]
	v_mul_lo_u32 v10, s10, v36
	v_mul_lo_u32 v11, s11, v37
	v_add3_u32 v7, v11, v7, v10
	s_mov_b64 s[30:31], 0
	s_mov_b64 s[44:45], s[36:37]
                                        ; implicit-def: $sgpr40_sgpr41
                                        ; implicit-def: $sgpr42_sgpr43
                                        ; implicit-def: $sgpr2_sgpr3
                                        ; implicit-def: $sgpr46_sgpr47
	s_branch .LBB1361_633
.LBB1361_632:                           ;   in Loop: Header=BB1361_633 Depth=2
	s_or_b64 exec, exec, s[50:51]
	s_and_b64 s[4:5], exec, s[42:43]
	s_or_b64 s[30:31], s[4:5], s[30:31]
	s_andn2_b64 s[4:5], s[46:47], exec
	s_and_b64 s[46:47], s[48:49], exec
	s_or_b64 s[46:47], s[4:5], s[46:47]
	s_andn2_b64 s[4:5], s[40:41], exec
	s_and_b64 s[40:41], s[2:3], exec
	s_or_b64 s[40:41], s[4:5], s[40:41]
	s_andn2_b64 exec, exec, s[30:31]
	s_cbranch_execz .LBB1361_635
.LBB1361_633:                           ;   Parent Loop BB1361_593 Depth=1
                                        ; =>  This Inner Loop Header: Depth=2
	global_load_ushort v10, v[4:5], off
	global_load_ushort v11, v[6:7], off
	s_andn2_b64 s[50:51], s[2:3], exec
	s_or_b64 s[42:43], s[42:43], exec
	s_waitcnt vmcnt(0)
	v_cmp_le_u16_e64 s[2:3], v10, v11
	v_cmp_lt_u16_e32 vcc, v10, v11
	s_and_b64 s[2:3], s[2:3], s[46:47]
	s_or_b64 s[48:49], vcc, s[2:3]
	s_and_b64 s[2:3], s[48:49], exec
	v_cmp_eq_u16_e64 s[4:5], v10, v11
	s_or_b64 s[2:3], s[50:51], s[2:3]
	s_and_saveexec_b64 s[50:51], s[4:5]
	s_cbranch_execz .LBB1361_632
; %bb.634:                              ;   in Loop: Header=BB1361_633 Depth=2
	s_add_u32 s44, s44, -1
	s_addc_u32 s45, s45, -1
	s_cmp_eq_u64 s[44:45], 0
	s_cselect_b64 s[4:5], -1, 0
	s_andn2_b64 s[42:43], s[42:43], exec
	s_and_b64 s[4:5], s[4:5], exec
	v_lshl_add_u64 v[4:5], v[4:5], 0, 2
	v_lshl_add_u64 v[6:7], v[6:7], 0, 2
	s_andn2_b64 s[2:3], s[2:3], exec
	s_or_b64 s[42:43], s[42:43], s[4:5]
                                        ; implicit-def: $sgpr46_sgpr47
	s_branch .LBB1361_632
.LBB1361_635:                           ;   in Loop: Header=BB1361_593 Depth=1
	s_or_b64 exec, exec, s[30:31]
	s_xor_b64 s[2:3], s[40:41], -1
	s_branch .LBB1361_637
.LBB1361_636:                           ;   in Loop: Header=BB1361_593 Depth=1
	s_mov_b64 s[2:3], -1
.LBB1361_637:                           ;   in Loop: Header=BB1361_593 Depth=1
	s_and_b64 s[2:3], s[2:3], exec
.LBB1361_638:                           ;   in Loop: Header=BB1361_593 Depth=1
	s_or_b64 exec, exec, s[26:27]
	s_orn2_b64 s[26:27], s[2:3], exec
.LBB1361_639:                           ;   in Loop: Header=BB1361_593 Depth=1
	s_or_b64 exec, exec, s[28:29]
	v_cndmask_b32_e64 v4, v8, v9, s[26:27]
	v_cndmask_b32_e64 v5, v35, v27, s[26:27]
	v_add_u32_e32 v6, 1, v4
	v_add_u32_e32 v4, -1, v5
	v_min_u32_e32 v4, v6, v4
	v_lshlrev_b32_e32 v4, 3, v4
	ds_read_b64 v[4:5], v4
	v_cndmask_b32_e64 v8, v6, v8, s[26:27]
	v_cndmask_b32_e64 v9, v9, v6, s[26:27]
	v_cmp_lt_u32_e32 vcc, v8, v35
	s_mov_b64 s[30:31], -1
	s_waitcnt lgkmcnt(0)
	v_cndmask_b32_e64 v12, v5, v24, s[26:27]
	v_cndmask_b32_e64 v38, v4, v25, s[26:27]
	;; [unrolled: 1-line block ×4, first 2 shown]
	s_mov_b64 s[28:29], -1
	s_and_saveexec_b64 s[40:41], vcc
	s_cbranch_execz .LBB1361_650
; %bb.640:                              ;   in Loop: Header=BB1361_593 Depth=1
	v_cmp_lt_u32_e32 vcc, v9, v27
	s_mov_b64 s[2:3], 0
	s_and_saveexec_b64 s[28:29], vcc
	s_cbranch_execz .LBB1361_649
; %bb.641:                              ;   in Loop: Header=BB1361_593 Depth=1
	s_and_b64 vcc, exec, s[0:1]
	s_cbranch_vccnz .LBB1361_647
; %bb.642:                              ;   in Loop: Header=BB1361_593 Depth=1
	v_mov_b64_e32 v[6:7], s[38:39]
	v_mad_u64_u32 v[4:5], s[2:3], s10, v38, v[6:7]
	v_mul_lo_u32 v10, s10, v12
	v_mul_lo_u32 v11, s11, v38
	v_add3_u32 v5, v11, v5, v10
	v_mad_u64_u32 v[6:7], s[2:3], s10, v39, v[6:7]
	v_mul_lo_u32 v10, s10, v13
	v_mul_lo_u32 v11, s11, v39
	v_add3_u32 v7, v11, v7, v10
	s_mov_b64 s[42:43], 0
	s_mov_b64 s[48:49], s[36:37]
                                        ; implicit-def: $sgpr44_sgpr45
                                        ; implicit-def: $sgpr46_sgpr47
                                        ; implicit-def: $sgpr2_sgpr3
                                        ; implicit-def: $sgpr50_sgpr51
	s_branch .LBB1361_644
.LBB1361_643:                           ;   in Loop: Header=BB1361_644 Depth=2
	s_or_b64 exec, exec, s[54:55]
	s_and_b64 s[4:5], exec, s[46:47]
	s_or_b64 s[42:43], s[4:5], s[42:43]
	s_andn2_b64 s[4:5], s[50:51], exec
	s_and_b64 s[50:51], s[52:53], exec
	s_or_b64 s[50:51], s[4:5], s[50:51]
	s_andn2_b64 s[4:5], s[44:45], exec
	s_and_b64 s[44:45], s[2:3], exec
	s_or_b64 s[44:45], s[4:5], s[44:45]
	s_andn2_b64 exec, exec, s[42:43]
	s_cbranch_execz .LBB1361_646
.LBB1361_644:                           ;   Parent Loop BB1361_593 Depth=1
                                        ; =>  This Inner Loop Header: Depth=2
	global_load_ushort v10, v[4:5], off
	global_load_ushort v11, v[6:7], off
	s_andn2_b64 s[54:55], s[2:3], exec
	s_or_b64 s[46:47], s[46:47], exec
	s_waitcnt vmcnt(0)
	v_cmp_le_u16_e64 s[2:3], v10, v11
	v_cmp_lt_u16_e32 vcc, v10, v11
	s_and_b64 s[2:3], s[2:3], s[50:51]
	s_or_b64 s[52:53], vcc, s[2:3]
	s_and_b64 s[2:3], s[52:53], exec
	v_cmp_eq_u16_e64 s[4:5], v10, v11
	s_or_b64 s[2:3], s[54:55], s[2:3]
	s_and_saveexec_b64 s[54:55], s[4:5]
	s_cbranch_execz .LBB1361_643
; %bb.645:                              ;   in Loop: Header=BB1361_644 Depth=2
	s_add_u32 s48, s48, -1
	s_addc_u32 s49, s49, -1
	s_cmp_eq_u64 s[48:49], 0
	s_cselect_b64 s[4:5], -1, 0
	s_andn2_b64 s[46:47], s[46:47], exec
	s_and_b64 s[4:5], s[4:5], exec
	v_lshl_add_u64 v[4:5], v[4:5], 0, 2
	v_lshl_add_u64 v[6:7], v[6:7], 0, 2
	s_andn2_b64 s[2:3], s[2:3], exec
	s_or_b64 s[46:47], s[46:47], s[4:5]
                                        ; implicit-def: $sgpr50_sgpr51
	s_branch .LBB1361_643
.LBB1361_646:                           ;   in Loop: Header=BB1361_593 Depth=1
	s_or_b64 exec, exec, s[42:43]
	s_xor_b64 s[2:3], s[44:45], -1
	s_branch .LBB1361_648
.LBB1361_647:                           ;   in Loop: Header=BB1361_593 Depth=1
	s_mov_b64 s[2:3], -1
.LBB1361_648:                           ;   in Loop: Header=BB1361_593 Depth=1
	s_and_b64 s[2:3], s[2:3], exec
.LBB1361_649:                           ;   in Loop: Header=BB1361_593 Depth=1
	s_or_b64 exec, exec, s[28:29]
	s_orn2_b64 s[28:29], s[2:3], exec
.LBB1361_650:                           ;   in Loop: Header=BB1361_593 Depth=1
	s_or_b64 exec, exec, s[40:41]
	v_cndmask_b32_e64 v4, v8, v9, s[28:29]
	v_cndmask_b32_e64 v5, v35, v27, s[28:29]
	v_add_u32_e32 v6, 1, v4
	v_add_u32_e32 v4, -1, v5
	v_min_u32_e32 v4, v6, v4
	v_lshlrev_b32_e32 v4, 3, v4
	ds_read_b64 v[4:5], v4
	v_cndmask_b32_e64 v8, v6, v8, s[28:29]
	v_cndmask_b32_e64 v9, v9, v6, s[28:29]
	v_cmp_lt_u32_e32 vcc, v8, v35
	s_waitcnt lgkmcnt(0)
	v_cndmask_b32_e64 v40, v5, v12, s[28:29]
	v_cndmask_b32_e64 v41, v4, v38, s[28:29]
	;; [unrolled: 1-line block ×4, first 2 shown]
	s_and_saveexec_b64 s[40:41], vcc
	s_cbranch_execz .LBB1361_661
; %bb.651:                              ;   in Loop: Header=BB1361_593 Depth=1
	v_cmp_lt_u32_e32 vcc, v9, v27
	s_mov_b64 s[2:3], 0
	s_and_saveexec_b64 s[30:31], vcc
	s_cbranch_execz .LBB1361_660
; %bb.652:                              ;   in Loop: Header=BB1361_593 Depth=1
	s_and_b64 vcc, exec, s[0:1]
	s_cbranch_vccnz .LBB1361_658
; %bb.653:                              ;   in Loop: Header=BB1361_593 Depth=1
	v_mov_b64_e32 v[6:7], s[38:39]
	v_mad_u64_u32 v[4:5], s[2:3], s10, v41, v[6:7]
	v_mul_lo_u32 v10, s10, v40
	v_mul_lo_u32 v11, s11, v41
	v_add3_u32 v5, v11, v5, v10
	v_mad_u64_u32 v[6:7], s[2:3], s10, v43, v[6:7]
	v_mul_lo_u32 v10, s10, v42
	v_mul_lo_u32 v11, s11, v43
	v_add3_u32 v7, v11, v7, v10
	s_mov_b64 s[42:43], 0
	s_mov_b64 s[48:49], s[36:37]
                                        ; implicit-def: $sgpr44_sgpr45
                                        ; implicit-def: $sgpr46_sgpr47
                                        ; implicit-def: $sgpr2_sgpr3
                                        ; implicit-def: $sgpr50_sgpr51
	s_branch .LBB1361_655
.LBB1361_654:                           ;   in Loop: Header=BB1361_655 Depth=2
	s_or_b64 exec, exec, s[54:55]
	s_and_b64 s[4:5], exec, s[46:47]
	s_or_b64 s[42:43], s[4:5], s[42:43]
	s_andn2_b64 s[4:5], s[50:51], exec
	s_and_b64 s[50:51], s[52:53], exec
	s_or_b64 s[50:51], s[4:5], s[50:51]
	s_andn2_b64 s[4:5], s[44:45], exec
	s_and_b64 s[44:45], s[2:3], exec
	s_or_b64 s[44:45], s[4:5], s[44:45]
	s_andn2_b64 exec, exec, s[42:43]
	s_cbranch_execz .LBB1361_657
.LBB1361_655:                           ;   Parent Loop BB1361_593 Depth=1
                                        ; =>  This Inner Loop Header: Depth=2
	global_load_ushort v10, v[4:5], off
	global_load_ushort v11, v[6:7], off
	s_andn2_b64 s[54:55], s[2:3], exec
	s_or_b64 s[46:47], s[46:47], exec
	s_waitcnt vmcnt(0)
	v_cmp_le_u16_e64 s[2:3], v10, v11
	v_cmp_lt_u16_e32 vcc, v10, v11
	s_and_b64 s[2:3], s[2:3], s[50:51]
	s_or_b64 s[52:53], vcc, s[2:3]
	s_and_b64 s[2:3], s[52:53], exec
	v_cmp_eq_u16_e64 s[4:5], v10, v11
	s_or_b64 s[2:3], s[54:55], s[2:3]
	s_and_saveexec_b64 s[54:55], s[4:5]
	s_cbranch_execz .LBB1361_654
; %bb.656:                              ;   in Loop: Header=BB1361_655 Depth=2
	s_add_u32 s48, s48, -1
	s_addc_u32 s49, s49, -1
	s_cmp_eq_u64 s[48:49], 0
	s_cselect_b64 s[4:5], -1, 0
	s_andn2_b64 s[46:47], s[46:47], exec
	s_and_b64 s[4:5], s[4:5], exec
	v_lshl_add_u64 v[4:5], v[4:5], 0, 2
	v_lshl_add_u64 v[6:7], v[6:7], 0, 2
	s_andn2_b64 s[2:3], s[2:3], exec
	s_or_b64 s[46:47], s[46:47], s[4:5]
                                        ; implicit-def: $sgpr50_sgpr51
	s_branch .LBB1361_654
.LBB1361_657:                           ;   in Loop: Header=BB1361_593 Depth=1
	s_or_b64 exec, exec, s[42:43]
	s_xor_b64 s[2:3], s[44:45], -1
	s_branch .LBB1361_659
.LBB1361_658:                           ;   in Loop: Header=BB1361_593 Depth=1
	s_mov_b64 s[2:3], -1
.LBB1361_659:                           ;   in Loop: Header=BB1361_593 Depth=1
	s_and_b64 s[2:3], s[2:3], exec
.LBB1361_660:                           ;   in Loop: Header=BB1361_593 Depth=1
	s_or_b64 exec, exec, s[30:31]
	s_orn2_b64 s[30:31], s[2:3], exec
.LBB1361_661:                           ;   in Loop: Header=BB1361_593 Depth=1
	s_or_b64 exec, exec, s[40:41]
	v_cndmask_b32_e64 v4, v8, v9, s[30:31]
	v_cndmask_b32_e64 v5, v35, v27, s[30:31]
	v_add_u32_e32 v6, 1, v4
	v_add_u32_e32 v4, -1, v5
	v_min_u32_e32 v4, v6, v4
	v_lshlrev_b32_e32 v4, 3, v4
	ds_read_b64 v[4:5], v4
	v_cndmask_b32_e64 v8, v6, v8, s[30:31]
	v_cndmask_b32_e64 v9, v9, v6, s[30:31]
	v_cmp_lt_u32_e32 vcc, v8, v35
	s_mov_b64 s[40:41], -1
	s_waitcnt lgkmcnt(0)
	v_cndmask_b32_e64 v44, v5, v40, s[30:31]
	v_cndmask_b32_e64 v45, v4, v41, s[30:31]
	;; [unrolled: 1-line block ×4, first 2 shown]
	s_mov_b64 s[42:43], -1
	s_and_saveexec_b64 s[44:45], vcc
	s_cbranch_execz .LBB1361_672
; %bb.662:                              ;   in Loop: Header=BB1361_593 Depth=1
	v_cmp_lt_u32_e32 vcc, v9, v27
	s_mov_b64 s[2:3], 0
	s_and_saveexec_b64 s[42:43], vcc
	s_cbranch_execz .LBB1361_671
; %bb.663:                              ;   in Loop: Header=BB1361_593 Depth=1
	s_and_b64 vcc, exec, s[0:1]
	s_cbranch_vccnz .LBB1361_669
; %bb.664:                              ;   in Loop: Header=BB1361_593 Depth=1
	v_mov_b64_e32 v[6:7], s[38:39]
	v_mad_u64_u32 v[4:5], s[2:3], s10, v45, v[6:7]
	v_mul_lo_u32 v10, s10, v44
	v_mul_lo_u32 v11, s11, v45
	v_add3_u32 v5, v11, v5, v10
	v_mad_u64_u32 v[6:7], s[2:3], s10, v47, v[6:7]
	v_mul_lo_u32 v10, s10, v46
	v_mul_lo_u32 v11, s11, v47
	v_add3_u32 v7, v11, v7, v10
	s_mov_b64 s[46:47], 0
	s_mov_b64 s[52:53], s[36:37]
                                        ; implicit-def: $sgpr48_sgpr49
                                        ; implicit-def: $sgpr50_sgpr51
                                        ; implicit-def: $sgpr2_sgpr3
                                        ; implicit-def: $sgpr54_sgpr55
	s_branch .LBB1361_666
.LBB1361_665:                           ;   in Loop: Header=BB1361_666 Depth=2
	s_or_b64 exec, exec, s[58:59]
	s_and_b64 s[4:5], exec, s[50:51]
	s_or_b64 s[46:47], s[4:5], s[46:47]
	s_andn2_b64 s[4:5], s[54:55], exec
	s_and_b64 s[54:55], s[56:57], exec
	s_or_b64 s[54:55], s[4:5], s[54:55]
	s_andn2_b64 s[4:5], s[48:49], exec
	s_and_b64 s[48:49], s[2:3], exec
	s_or_b64 s[48:49], s[4:5], s[48:49]
	s_andn2_b64 exec, exec, s[46:47]
	s_cbranch_execz .LBB1361_668
.LBB1361_666:                           ;   Parent Loop BB1361_593 Depth=1
                                        ; =>  This Inner Loop Header: Depth=2
	global_load_ushort v10, v[4:5], off
	global_load_ushort v11, v[6:7], off
	s_andn2_b64 s[58:59], s[2:3], exec
	s_or_b64 s[50:51], s[50:51], exec
	s_waitcnt vmcnt(0)
	v_cmp_le_u16_e64 s[2:3], v10, v11
	v_cmp_lt_u16_e32 vcc, v10, v11
	s_and_b64 s[2:3], s[2:3], s[54:55]
	s_or_b64 s[56:57], vcc, s[2:3]
	s_and_b64 s[2:3], s[56:57], exec
	v_cmp_eq_u16_e64 s[4:5], v10, v11
	s_or_b64 s[2:3], s[58:59], s[2:3]
	s_and_saveexec_b64 s[58:59], s[4:5]
	s_cbranch_execz .LBB1361_665
; %bb.667:                              ;   in Loop: Header=BB1361_666 Depth=2
	s_add_u32 s52, s52, -1
	s_addc_u32 s53, s53, -1
	s_cmp_eq_u64 s[52:53], 0
	s_cselect_b64 s[4:5], -1, 0
	s_andn2_b64 s[50:51], s[50:51], exec
	s_and_b64 s[4:5], s[4:5], exec
	v_lshl_add_u64 v[4:5], v[4:5], 0, 2
	v_lshl_add_u64 v[6:7], v[6:7], 0, 2
	s_andn2_b64 s[2:3], s[2:3], exec
	s_or_b64 s[50:51], s[50:51], s[4:5]
                                        ; implicit-def: $sgpr54_sgpr55
	s_branch .LBB1361_665
.LBB1361_668:                           ;   in Loop: Header=BB1361_593 Depth=1
	s_or_b64 exec, exec, s[46:47]
	s_xor_b64 s[2:3], s[48:49], -1
	s_branch .LBB1361_670
.LBB1361_669:                           ;   in Loop: Header=BB1361_593 Depth=1
	s_mov_b64 s[2:3], -1
.LBB1361_670:                           ;   in Loop: Header=BB1361_593 Depth=1
	s_and_b64 s[2:3], s[2:3], exec
.LBB1361_671:                           ;   in Loop: Header=BB1361_593 Depth=1
	s_or_b64 exec, exec, s[42:43]
	s_orn2_b64 s[42:43], s[2:3], exec
.LBB1361_672:                           ;   in Loop: Header=BB1361_593 Depth=1
	s_or_b64 exec, exec, s[44:45]
	v_cndmask_b32_e64 v4, v8, v9, s[42:43]
	v_cndmask_b32_e64 v5, v35, v27, s[42:43]
	v_add_u32_e32 v6, 1, v4
	v_add_u32_e32 v4, -1, v5
	v_min_u32_e32 v4, v6, v4
	v_lshlrev_b32_e32 v4, 3, v4
	ds_read_b64 v[4:5], v4
	v_cndmask_b32_e64 v10, v6, v8, s[42:43]
	v_cndmask_b32_e64 v8, v9, v6, s[42:43]
	v_cmp_lt_u32_e32 vcc, v10, v35
	s_waitcnt lgkmcnt(0)
	v_cndmask_b32_e64 v48, v5, v44, s[42:43]
	v_cndmask_b32_e64 v49, v4, v45, s[42:43]
	;; [unrolled: 1-line block ×4, first 2 shown]
	s_and_saveexec_b64 s[44:45], vcc
	s_cbranch_execz .LBB1361_683
; %bb.673:                              ;   in Loop: Header=BB1361_593 Depth=1
	v_cmp_lt_u32_e32 vcc, v8, v27
	s_mov_b64 s[2:3], 0
	s_and_saveexec_b64 s[40:41], vcc
	s_cbranch_execz .LBB1361_682
; %bb.674:                              ;   in Loop: Header=BB1361_593 Depth=1
	s_and_b64 vcc, exec, s[0:1]
	s_cbranch_vccnz .LBB1361_680
; %bb.675:                              ;   in Loop: Header=BB1361_593 Depth=1
	v_mov_b64_e32 v[6:7], s[38:39]
	v_mad_u64_u32 v[4:5], s[2:3], s10, v49, v[6:7]
	v_mul_lo_u32 v9, s10, v48
	v_mul_lo_u32 v11, s11, v49
	v_add3_u32 v5, v11, v5, v9
	v_mad_u64_u32 v[6:7], s[2:3], s10, v51, v[6:7]
	v_mul_lo_u32 v9, s10, v50
	v_mul_lo_u32 v11, s11, v51
	v_add3_u32 v7, v11, v7, v9
	s_mov_b64 s[46:47], 0
	s_mov_b64 s[52:53], s[36:37]
                                        ; implicit-def: $sgpr48_sgpr49
                                        ; implicit-def: $sgpr50_sgpr51
                                        ; implicit-def: $sgpr2_sgpr3
                                        ; implicit-def: $sgpr54_sgpr55
	s_branch .LBB1361_677
.LBB1361_676:                           ;   in Loop: Header=BB1361_677 Depth=2
	s_or_b64 exec, exec, s[58:59]
	s_and_b64 s[4:5], exec, s[50:51]
	s_or_b64 s[46:47], s[4:5], s[46:47]
	s_andn2_b64 s[4:5], s[54:55], exec
	s_and_b64 s[54:55], s[56:57], exec
	s_or_b64 s[54:55], s[4:5], s[54:55]
	s_andn2_b64 s[4:5], s[48:49], exec
	s_and_b64 s[48:49], s[2:3], exec
	s_or_b64 s[48:49], s[4:5], s[48:49]
	s_andn2_b64 exec, exec, s[46:47]
	s_cbranch_execz .LBB1361_679
.LBB1361_677:                           ;   Parent Loop BB1361_593 Depth=1
                                        ; =>  This Inner Loop Header: Depth=2
	global_load_ushort v9, v[4:5], off
	global_load_ushort v11, v[6:7], off
	s_andn2_b64 s[58:59], s[2:3], exec
	s_or_b64 s[50:51], s[50:51], exec
	s_waitcnt vmcnt(0)
	v_cmp_le_u16_e64 s[2:3], v9, v11
	v_cmp_lt_u16_e32 vcc, v9, v11
	s_and_b64 s[2:3], s[2:3], s[54:55]
	s_or_b64 s[56:57], vcc, s[2:3]
	s_and_b64 s[2:3], s[56:57], exec
	v_cmp_eq_u16_e64 s[4:5], v9, v11
	s_or_b64 s[2:3], s[58:59], s[2:3]
	s_and_saveexec_b64 s[58:59], s[4:5]
	s_cbranch_execz .LBB1361_676
; %bb.678:                              ;   in Loop: Header=BB1361_677 Depth=2
	s_add_u32 s52, s52, -1
	s_addc_u32 s53, s53, -1
	s_cmp_eq_u64 s[52:53], 0
	s_cselect_b64 s[4:5], -1, 0
	s_andn2_b64 s[50:51], s[50:51], exec
	s_and_b64 s[4:5], s[4:5], exec
	v_lshl_add_u64 v[4:5], v[4:5], 0, 2
	v_lshl_add_u64 v[6:7], v[6:7], 0, 2
	s_andn2_b64 s[2:3], s[2:3], exec
	s_or_b64 s[50:51], s[50:51], s[4:5]
                                        ; implicit-def: $sgpr54_sgpr55
	s_branch .LBB1361_676
.LBB1361_679:                           ;   in Loop: Header=BB1361_593 Depth=1
	s_or_b64 exec, exec, s[46:47]
	s_xor_b64 s[2:3], s[48:49], -1
	s_branch .LBB1361_681
.LBB1361_680:                           ;   in Loop: Header=BB1361_593 Depth=1
	s_mov_b64 s[2:3], -1
.LBB1361_681:                           ;   in Loop: Header=BB1361_593 Depth=1
	s_and_b64 s[2:3], s[2:3], exec
.LBB1361_682:                           ;   in Loop: Header=BB1361_593 Depth=1
	s_or_b64 exec, exec, s[40:41]
	s_orn2_b64 s[40:41], s[2:3], exec
.LBB1361_683:                           ;   in Loop: Header=BB1361_593 Depth=1
	s_or_b64 exec, exec, s[44:45]
	v_cndmask_b32_e64 v4, v10, v8, s[40:41]
	v_cndmask_b32_e64 v5, v35, v27, s[40:41]
	v_add_u32_e32 v9, 1, v4
	v_add_u32_e32 v4, -1, v5
	v_min_u32_e32 v4, v9, v4
	v_lshlrev_b32_e32 v4, 3, v4
	ds_read_b64 v[6:7], v4
	v_cndmask_b32_e64 v10, v9, v10, s[40:41]
	v_cmp_lt_u32_e32 vcc, v10, v35
	s_waitcnt lgkmcnt(0)
	v_cndmask_b32_e64 v5, v50, v7, s[40:41]
	v_cndmask_b32_e64 v4, v51, v6, s[40:41]
	s_and_saveexec_b64 s[44:45], vcc
	s_cbranch_execz .LBB1361_693
; %bb.684:                              ;   in Loop: Header=BB1361_593 Depth=1
	v_cndmask_b32_e64 v8, v8, v9, s[40:41]
	v_cndmask_b32_e64 v7, v7, v48, s[40:41]
	;; [unrolled: 1-line block ×3, first 2 shown]
	v_cmp_lt_u32_e32 vcc, v8, v27
	s_and_saveexec_b64 s[46:47], vcc
	s_cbranch_execz .LBB1361_692
; %bb.685:                              ;   in Loop: Header=BB1361_593 Depth=1
	s_and_b64 vcc, exec, s[0:1]
	s_cbranch_vccnz .LBB1361_691
; %bb.686:                              ;   in Loop: Header=BB1361_593 Depth=1
	v_mov_b64_e32 v[10:11], s[38:39]
	v_mad_u64_u32 v[8:9], s[2:3], s10, v6, v[10:11]
	v_mul_lo_u32 v27, s10, v7
	v_mul_lo_u32 v35, s11, v6
	v_add3_u32 v9, v35, v9, v27
	v_mad_u64_u32 v[10:11], s[2:3], s10, v4, v[10:11]
	v_mul_lo_u32 v27, s10, v5
	v_mul_lo_u32 v35, s11, v4
	v_add3_u32 v11, v35, v11, v27
	s_mov_b64 s[48:49], 0
	s_mov_b64 s[54:55], s[36:37]
                                        ; implicit-def: $sgpr50_sgpr51
                                        ; implicit-def: $sgpr52_sgpr53
                                        ; implicit-def: $sgpr2_sgpr3
                                        ; implicit-def: $sgpr56_sgpr57
	s_branch .LBB1361_688
.LBB1361_687:                           ;   in Loop: Header=BB1361_688 Depth=2
	s_or_b64 exec, exec, s[60:61]
	s_and_b64 s[4:5], exec, s[52:53]
	s_or_b64 s[48:49], s[4:5], s[48:49]
	s_andn2_b64 s[4:5], s[56:57], exec
	s_and_b64 s[56:57], s[58:59], exec
	s_or_b64 s[56:57], s[4:5], s[56:57]
	s_andn2_b64 s[4:5], s[50:51], exec
	s_and_b64 s[50:51], s[2:3], exec
	s_or_b64 s[50:51], s[4:5], s[50:51]
	s_andn2_b64 exec, exec, s[48:49]
	s_cbranch_execz .LBB1361_690
.LBB1361_688:                           ;   Parent Loop BB1361_593 Depth=1
                                        ; =>  This Inner Loop Header: Depth=2
	global_load_ushort v27, v[8:9], off
	global_load_ushort v35, v[10:11], off
	s_andn2_b64 s[60:61], s[2:3], exec
	s_or_b64 s[52:53], s[52:53], exec
	s_waitcnt vmcnt(0)
	v_cmp_le_u16_e64 s[2:3], v27, v35
	v_cmp_lt_u16_e32 vcc, v27, v35
	s_and_b64 s[2:3], s[2:3], s[56:57]
	s_or_b64 s[58:59], vcc, s[2:3]
	s_and_b64 s[2:3], s[58:59], exec
	v_cmp_eq_u16_e64 s[4:5], v27, v35
	s_or_b64 s[2:3], s[60:61], s[2:3]
	s_and_saveexec_b64 s[60:61], s[4:5]
	s_cbranch_execz .LBB1361_687
; %bb.689:                              ;   in Loop: Header=BB1361_688 Depth=2
	s_add_u32 s54, s54, -1
	s_addc_u32 s55, s55, -1
	s_cmp_eq_u64 s[54:55], 0
	s_cselect_b64 s[4:5], -1, 0
	s_andn2_b64 s[52:53], s[52:53], exec
	s_and_b64 s[4:5], s[4:5], exec
	v_lshl_add_u64 v[8:9], v[8:9], 0, 2
	v_lshl_add_u64 v[10:11], v[10:11], 0, 2
	s_andn2_b64 s[2:3], s[2:3], exec
	s_or_b64 s[52:53], s[52:53], s[4:5]
                                        ; implicit-def: $sgpr56_sgpr57
	s_branch .LBB1361_687
.LBB1361_690:                           ;   in Loop: Header=BB1361_593 Depth=1
	s_or_b64 exec, exec, s[48:49]
	v_cndmask_b32_e64 v5, v5, v7, s[50:51]
	v_cndmask_b32_e64 v4, v4, v6, s[50:51]
.LBB1361_691:                           ;   in Loop: Header=BB1361_593 Depth=1
	v_mov_b64_e32 v[6:7], v[4:5]
.LBB1361_692:                           ;   in Loop: Header=BB1361_593 Depth=1
	s_or_b64 exec, exec, s[46:47]
	v_mov_b64_e32 v[4:5], v[6:7]
.LBB1361_693:                           ;   in Loop: Header=BB1361_593 Depth=1
	s_or_b64 exec, exec, s[44:45]
	v_cndmask_b32_e64 v9, v44, v46, s[42:43]
	v_cndmask_b32_e64 v8, v45, v47, s[42:43]
	;; [unrolled: 1-line block ×14, first 2 shown]
.LBB1361_694:                           ;   in Loop: Header=BB1361_593 Depth=1
	s_or_b64 exec, exec, s[12:13]
	s_cmpk_lt_u32 s9, 0x400
	s_barrier
	s_cbranch_scc0 .LBB1361_696
; %bb.695:                              ;   in Loop: Header=BB1361_593 Depth=1
	s_mov_b32 s9, s15
	s_branch .LBB1361_593
.LBB1361_696:
	s_barrier
	ds_write2_b64 v34, v[14:15], v[16:17] offset1:1
	ds_write2_b64 v34, v[10:11], v[12:13] offset0:2 offset1:3
	ds_write2_b64 v34, v[6:7], v[8:9] offset0:4 offset1:5
	;; [unrolled: 1-line block ×3, first 2 shown]
	s_waitcnt lgkmcnt(0)
	s_barrier
	ds_read_b64 v[2:3], v1
	ds_read_b64 v[4:5], v21 offset:2048
	ds_read_b64 v[6:7], v28 offset:4096
	;; [unrolled: 1-line block ×7, first 2 shown]
	v_mov_b32_e32 v21, 0
	v_lshl_add_u64 v[22:23], s[34:35], 0, v[20:21]
	s_movk_i32 s0, 0x1000
	s_waitcnt lgkmcnt(7)
	global_store_dwordx2 v20, v[2:3], s[34:35]
	s_waitcnt lgkmcnt(6)
	global_store_dwordx2 v20, v[4:5], s[34:35] offset:2048
	v_add_co_u32_e32 v2, vcc, s0, v22
	s_nop 1
	v_addc_co_u32_e32 v3, vcc, 0, v23, vcc
	s_waitcnt lgkmcnt(5)
	global_store_dwordx2 v[2:3], v[6:7], off
	s_waitcnt lgkmcnt(4)
	global_store_dwordx2 v[2:3], v[8:9], off offset:2048
	v_add_co_u32_e32 v2, vcc, 0x2000, v22
	s_mov_b64 s[40:41], -1
	s_nop 0
	v_addc_co_u32_e32 v3, vcc, 0, v23, vcc
	s_waitcnt lgkmcnt(3)
	global_store_dwordx2 v[2:3], v[10:11], off
	s_waitcnt lgkmcnt(2)
	global_store_dwordx2 v[2:3], v[12:13], off offset:2048
	v_add_co_u32_e32 v2, vcc, 0x3000, v22
	s_nop 1
	v_addc_co_u32_e32 v3, vcc, 0, v23, vcc
	s_waitcnt lgkmcnt(1)
	global_store_dwordx2 v[2:3], v[16:17], off
	s_branch .LBB1361_1482
.LBB1361_697:
	s_lshl_b64 s[0:1], s[6:7], 11
	s_sub_i32 s33, s8, s0
	v_cmp_gt_u32_e64 s[0:1], s33, v18
	v_lshlrev_b32_e32 v20, 3, v18
                                        ; implicit-def: $vgpr8_vgpr9
	s_and_saveexec_b64 s[2:3], s[0:1]
	s_cbranch_execz .LBB1361_699
; %bb.698:
	global_load_dwordx2 v[8:9], v20, s[20:21]
.LBB1361_699:
	s_or_b64 exec, exec, s[2:3]
	v_add_u32_e32 v1, 0x100, v18
	v_cmp_gt_u32_e64 s[2:3], s33, v1
                                        ; implicit-def: $vgpr10_vgpr11
	s_and_saveexec_b64 s[4:5], s[2:3]
	s_cbranch_execz .LBB1361_701
; %bb.700:
	global_load_dwordx2 v[10:11], v20, s[20:21] offset:2048
.LBB1361_701:
	s_or_b64 exec, exec, s[4:5]
	v_add_u32_e32 v2, 0x200, v18
	v_cmp_gt_u32_e64 s[4:5], s33, v2
                                        ; implicit-def: $vgpr12_vgpr13
	s_and_saveexec_b64 s[6:7], s[4:5]
	s_cbranch_execz .LBB1361_703
; %bb.702:
	v_lshlrev_b32_e32 v3, 3, v2
	global_load_dwordx2 v[12:13], v3, s[20:21]
.LBB1361_703:
	s_or_b64 exec, exec, s[6:7]
	v_add_u32_e32 v3, 0x300, v18
	v_cmp_gt_u32_e64 s[6:7], s33, v3
                                        ; implicit-def: $vgpr14_vgpr15
	s_and_saveexec_b64 s[8:9], s[6:7]
	s_cbranch_execz .LBB1361_705
; %bb.704:
	v_lshlrev_b32_e32 v4, 3, v3
	s_waitcnt lgkmcnt(0)
	global_load_dwordx2 v[14:15], v4, s[20:21]
.LBB1361_705:
	s_or_b64 exec, exec, s[8:9]
	v_or_b32_e32 v4, 0x400, v18
	v_cmp_gt_u32_e64 s[8:9], s33, v4
                                        ; implicit-def: $vgpr16_vgpr17
	s_and_saveexec_b64 s[10:11], s[8:9]
	s_cbranch_execz .LBB1361_707
; %bb.706:
	v_lshlrev_b32_e32 v5, 3, v4
	global_load_dwordx2 v[16:17], v5, s[20:21]
.LBB1361_707:
	s_or_b64 exec, exec, s[10:11]
	v_add_u32_e32 v5, 0x500, v18
	v_cmp_gt_u32_e64 s[10:11], s33, v5
                                        ; implicit-def: $vgpr22_vgpr23
	s_and_saveexec_b64 s[12:13], s[10:11]
	s_cbranch_execz .LBB1361_709
; %bb.708:
	v_lshlrev_b32_e32 v6, 3, v5
	global_load_dwordx2 v[22:23], v6, s[20:21]
.LBB1361_709:
	s_or_b64 exec, exec, s[12:13]
	v_add_u32_e32 v6, 0x600, v18
	v_cmp_gt_u32_e64 s[12:13], s33, v6
                                        ; implicit-def: $vgpr24_vgpr25
	s_and_saveexec_b64 s[22:23], s[12:13]
	s_cbranch_execz .LBB1361_711
; %bb.710:
	v_lshlrev_b32_e32 v7, 3, v6
	global_load_dwordx2 v[24:25], v7, s[20:21]
.LBB1361_711:
	s_or_b64 exec, exec, s[22:23]
	v_add_u32_e32 v7, 0x700, v18
	v_cmp_gt_u32_e64 s[40:41], s33, v7
                                        ; implicit-def: $vgpr32_vgpr33
	s_and_saveexec_b64 s[22:23], s[40:41]
	s_cbranch_execz .LBB1361_713
; %bb.712:
	v_lshlrev_b32_e32 v19, 3, v7
	global_load_dwordx2 v[32:33], v19, s[20:21]
.LBB1361_713:
	s_or_b64 exec, exec, s[22:23]
	v_lshrrev_b32_e32 v1, 2, v1
	v_and_b32_e32 v1, 0x1f8, v1
	v_add_u32_e32 v21, v1, v20
	v_lshrrev_b32_e32 v1, 2, v2
	v_and_b32_e32 v1, 0x1f8, v1
	v_add_u32_e32 v26, v1, v20
	;; [unrolled: 3-line block ×6, first 2 shown]
	v_lshrrev_b32_e32 v1, 2, v7
	v_and_b32_e32 v1, 0x3f8, v1
	v_lshrrev_b32_e32 v19, 2, v18
	v_add_u32_e32 v31, v1, v20
	v_lshlrev_b32_e32 v1, 1, v18
	v_and_b32_e32 v19, 0xf8, v19
	v_and_b32_e32 v1, 0x7f8, v1
	v_add_u32_e32 v19, v19, v20
	s_waitcnt vmcnt(0)
	ds_write_b64 v31, v[32:33] offset:14336
	v_lshl_add_u32 v32, v18, 6, v1
	ds_write_b64 v19, v[8:9]
	ds_write_b64 v21, v[10:11] offset:2048
	ds_write_b64 v26, v[12:13] offset:4096
	s_waitcnt lgkmcnt(4)
	ds_write_b64 v27, v[14:15] offset:6144
	ds_write_b64 v28, v[16:17] offset:8192
	;; [unrolled: 1-line block ×4, first 2 shown]
	s_waitcnt lgkmcnt(0)
	s_barrier
	ds_read2_b64 v[14:17], v32 offset1:1
	ds_read2_b64 v[10:13], v32 offset0:2 offset1:3
	ds_read2_b64 v[6:9], v32 offset0:4 offset1:5
	;; [unrolled: 1-line block ×3, first 2 shown]
	s_waitcnt lgkmcnt(0)
	s_barrier
	s_load_dword s15, s[16:17], 0xc
	v_mov_b32_e32 v1, 0
	v_bfe_u32 v22, v0, 10, 10
	v_bfe_u32 v0, v0, 20, 10
	v_cmp_gt_i64_e64 s[42:43], s[36:37], 0
	s_waitcnt lgkmcnt(0)
	s_lshr_b32 s19, s15, 16
	s_cmp_lt_u32 s14, s18
	s_cselect_b32 s14, 12, 18
	s_add_u32 s14, s16, s14
	s_addc_u32 s15, s17, 0
	global_load_ushort v1, v1, s[14:15]
	v_mad_u32_u24 v0, v0, s19, v22
	s_waitcnt vmcnt(0)
	v_mul_lo_u32 v0, v0, v1
	v_add_lshl_u32 v24, v0, v18, 3
	v_sub_u32_e64 v25, s33, v24 clamp
	v_cmp_lt_u32_e64 s[14:15], 1, v25
	s_and_saveexec_b64 s[20:21], s[14:15]
	s_cbranch_execz .LBB1361_722
; %bb.714:
	s_andn2_b64 vcc, exec, s[42:43]
	s_cbranch_vccnz .LBB1361_722
; %bb.715:
	v_mul_lo_u32 v22, v17, s36
	v_mul_lo_u32 v23, v16, s37
	v_mad_u64_u32 v[0:1], s[16:17], v16, s36, 0
	v_add3_u32 v1, v1, v23, v22
	v_mul_lo_u32 v33, v15, s36
	v_mul_lo_u32 v34, v14, s37
	v_mad_u64_u32 v[22:23], s[16:17], v14, s36, 0
	v_add3_u32 v23, v23, v34, v33
	v_lshl_add_u64 v[0:1], v[0:1], 1, s[38:39]
	v_lshl_add_u64 v[22:23], v[22:23], 1, s[38:39]
	s_mov_b64 s[24:25], 0
	s_mov_b64 s[46:47], s[36:37]
                                        ; implicit-def: $sgpr22_sgpr23
                                        ; implicit-def: $sgpr26_sgpr27
                                        ; implicit-def: $sgpr30_sgpr31
                                        ; implicit-def: $sgpr28_sgpr29
                                        ; implicit-def: $sgpr44_sgpr45
	s_branch .LBB1361_717
.LBB1361_716:                           ;   in Loop: Header=BB1361_717 Depth=1
	s_or_b64 exec, exec, s[48:49]
	s_and_b64 s[16:17], s[16:17], s[44:45]
	s_or_b64 s[16:17], vcc, s[16:17]
	s_and_b64 s[18:19], exec, s[30:31]
	s_or_b64 s[24:25], s[18:19], s[24:25]
	s_andn2_b64 s[18:19], s[44:45], exec
	s_and_b64 s[16:17], s[16:17], exec
	s_or_b64 s[44:45], s[18:19], s[16:17]
	s_andn2_b64 s[18:19], s[26:27], exec
	s_and_b64 s[26:27], s[28:29], exec
	s_or_b64 s[26:27], s[18:19], s[26:27]
	s_andn2_b64 s[18:19], s[22:23], exec
	s_or_b64 s[22:23], s[18:19], s[16:17]
	s_andn2_b64 exec, exec, s[24:25]
	s_cbranch_execz .LBB1361_719
.LBB1361_717:                           ; =>This Inner Loop Header: Depth=1
	global_load_ushort v33, v[0:1], off
	global_load_ushort v34, v[22:23], off
	s_or_b64 s[28:29], s[28:29], exec
	s_or_b64 s[30:31], s[30:31], exec
	s_waitcnt vmcnt(0)
	v_cmp_lt_u16_e32 vcc, v33, v34
	v_cmp_le_u16_e64 s[16:17], v33, v34
	v_cmp_eq_u16_e64 s[18:19], v33, v34
	s_and_saveexec_b64 s[48:49], s[18:19]
	s_cbranch_execz .LBB1361_716
; %bb.718:                              ;   in Loop: Header=BB1361_717 Depth=1
	s_add_u32 s46, s46, -1
	s_addc_u32 s47, s47, -1
	s_cmp_eq_u64 s[46:47], 0
	s_cselect_b64 s[18:19], -1, 0
	s_andn2_b64 s[30:31], s[30:31], exec
	s_and_b64 s[18:19], s[18:19], exec
	v_lshl_add_u64 v[0:1], v[0:1], 0, 2
	v_lshl_add_u64 v[22:23], v[22:23], 0, 2
	s_andn2_b64 s[28:29], s[28:29], exec
	s_or_b64 s[30:31], s[30:31], s[18:19]
	s_branch .LBB1361_716
.LBB1361_719:
	s_or_b64 exec, exec, s[24:25]
	s_and_saveexec_b64 s[16:17], s[26:27]
	s_xor_b64 s[16:17], exec, s[16:17]
; %bb.720:
	v_cndmask_b32_e64 v1, v17, v15, s[22:23]
	v_cndmask_b32_e64 v0, v16, v14, s[22:23]
	;; [unrolled: 1-line block ×4, first 2 shown]
	v_mov_b64_e32 v[16:17], v[0:1]
; %bb.721:
	s_or_b64 exec, exec, s[16:17]
.LBB1361_722:
	s_or_b64 exec, exec, s[20:21]
	v_cmp_lt_u32_e64 s[16:17], 3, v25
	s_and_saveexec_b64 s[22:23], s[16:17]
	s_cbranch_execz .LBB1361_731
; %bb.723:
	s_andn2_b64 vcc, exec, s[42:43]
	s_cbranch_vccnz .LBB1361_731
; %bb.724:
	v_mul_lo_u32 v22, v13, s36
	v_mul_lo_u32 v23, v12, s37
	v_mad_u64_u32 v[0:1], s[18:19], v12, s36, 0
	v_add3_u32 v1, v1, v23, v22
	v_mul_lo_u32 v33, v11, s36
	v_mul_lo_u32 v34, v10, s37
	v_mad_u64_u32 v[22:23], s[18:19], v10, s36, 0
	v_add3_u32 v23, v23, v34, v33
	v_lshl_add_u64 v[0:1], v[0:1], 1, s[38:39]
	v_lshl_add_u64 v[22:23], v[22:23], 1, s[38:39]
	s_mov_b64 s[26:27], 0
	s_mov_b64 s[48:49], s[36:37]
                                        ; implicit-def: $sgpr24_sgpr25
                                        ; implicit-def: $sgpr28_sgpr29
                                        ; implicit-def: $sgpr44_sgpr45
                                        ; implicit-def: $sgpr30_sgpr31
                                        ; implicit-def: $sgpr46_sgpr47
	s_branch .LBB1361_726
.LBB1361_725:                           ;   in Loop: Header=BB1361_726 Depth=1
	s_or_b64 exec, exec, s[50:51]
	s_and_b64 s[18:19], s[18:19], s[46:47]
	s_or_b64 s[18:19], vcc, s[18:19]
	s_and_b64 s[20:21], exec, s[44:45]
	s_or_b64 s[26:27], s[20:21], s[26:27]
	s_andn2_b64 s[20:21], s[46:47], exec
	s_and_b64 s[18:19], s[18:19], exec
	s_or_b64 s[46:47], s[20:21], s[18:19]
	s_andn2_b64 s[20:21], s[28:29], exec
	s_and_b64 s[28:29], s[30:31], exec
	s_or_b64 s[28:29], s[20:21], s[28:29]
	s_andn2_b64 s[20:21], s[24:25], exec
	s_or_b64 s[24:25], s[20:21], s[18:19]
	s_andn2_b64 exec, exec, s[26:27]
	s_cbranch_execz .LBB1361_728
.LBB1361_726:                           ; =>This Inner Loop Header: Depth=1
	global_load_ushort v33, v[0:1], off
	global_load_ushort v34, v[22:23], off
	s_or_b64 s[30:31], s[30:31], exec
	s_or_b64 s[44:45], s[44:45], exec
	s_waitcnt vmcnt(0)
	v_cmp_lt_u16_e32 vcc, v33, v34
	v_cmp_le_u16_e64 s[18:19], v33, v34
	v_cmp_eq_u16_e64 s[20:21], v33, v34
	s_and_saveexec_b64 s[50:51], s[20:21]
	s_cbranch_execz .LBB1361_725
; %bb.727:                              ;   in Loop: Header=BB1361_726 Depth=1
	s_add_u32 s48, s48, -1
	s_addc_u32 s49, s49, -1
	s_cmp_eq_u64 s[48:49], 0
	s_cselect_b64 s[20:21], -1, 0
	s_andn2_b64 s[44:45], s[44:45], exec
	s_and_b64 s[20:21], s[20:21], exec
	v_lshl_add_u64 v[0:1], v[0:1], 0, 2
	v_lshl_add_u64 v[22:23], v[22:23], 0, 2
	s_andn2_b64 s[30:31], s[30:31], exec
	s_or_b64 s[44:45], s[44:45], s[20:21]
	s_branch .LBB1361_725
.LBB1361_728:
	s_or_b64 exec, exec, s[26:27]
	s_and_saveexec_b64 s[18:19], s[28:29]
	s_xor_b64 s[18:19], exec, s[18:19]
; %bb.729:
	v_cndmask_b32_e64 v1, v11, v13, s[24:25]
	v_cndmask_b32_e64 v0, v10, v12, s[24:25]
	;; [unrolled: 1-line block ×4, first 2 shown]
	v_mov_b64_e32 v[10:11], v[0:1]
; %bb.730:
	s_or_b64 exec, exec, s[18:19]
.LBB1361_731:
	s_or_b64 exec, exec, s[22:23]
	v_cmp_lt_u32_e64 s[18:19], 5, v25
	s_and_saveexec_b64 s[24:25], s[18:19]
	s_cbranch_execz .LBB1361_740
; %bb.732:
	s_andn2_b64 vcc, exec, s[42:43]
	s_cbranch_vccnz .LBB1361_740
; %bb.733:
	v_mul_lo_u32 v22, v9, s36
	v_mul_lo_u32 v23, v8, s37
	v_mad_u64_u32 v[0:1], s[20:21], v8, s36, 0
	v_add3_u32 v1, v1, v23, v22
	v_mul_lo_u32 v33, v7, s36
	v_mul_lo_u32 v34, v6, s37
	v_mad_u64_u32 v[22:23], s[20:21], v6, s36, 0
	v_add3_u32 v23, v23, v34, v33
	v_lshl_add_u64 v[0:1], v[0:1], 1, s[38:39]
	v_lshl_add_u64 v[22:23], v[22:23], 1, s[38:39]
	s_mov_b64 s[28:29], 0
	s_mov_b64 s[50:51], s[36:37]
                                        ; implicit-def: $sgpr26_sgpr27
                                        ; implicit-def: $sgpr30_sgpr31
                                        ; implicit-def: $sgpr46_sgpr47
                                        ; implicit-def: $sgpr44_sgpr45
                                        ; implicit-def: $sgpr48_sgpr49
	s_branch .LBB1361_735
.LBB1361_734:                           ;   in Loop: Header=BB1361_735 Depth=1
	s_or_b64 exec, exec, s[52:53]
	s_and_b64 s[20:21], s[20:21], s[48:49]
	s_or_b64 s[20:21], vcc, s[20:21]
	s_and_b64 s[22:23], exec, s[46:47]
	s_or_b64 s[28:29], s[22:23], s[28:29]
	s_andn2_b64 s[22:23], s[48:49], exec
	s_and_b64 s[20:21], s[20:21], exec
	s_or_b64 s[48:49], s[22:23], s[20:21]
	s_andn2_b64 s[22:23], s[30:31], exec
	s_and_b64 s[30:31], s[44:45], exec
	s_or_b64 s[30:31], s[22:23], s[30:31]
	s_andn2_b64 s[22:23], s[26:27], exec
	s_or_b64 s[26:27], s[22:23], s[20:21]
	s_andn2_b64 exec, exec, s[28:29]
	s_cbranch_execz .LBB1361_737
.LBB1361_735:                           ; =>This Inner Loop Header: Depth=1
	global_load_ushort v33, v[0:1], off
	global_load_ushort v34, v[22:23], off
	s_or_b64 s[44:45], s[44:45], exec
	s_or_b64 s[46:47], s[46:47], exec
	s_waitcnt vmcnt(0)
	v_cmp_lt_u16_e32 vcc, v33, v34
	v_cmp_le_u16_e64 s[20:21], v33, v34
	v_cmp_eq_u16_e64 s[22:23], v33, v34
	s_and_saveexec_b64 s[52:53], s[22:23]
	s_cbranch_execz .LBB1361_734
; %bb.736:                              ;   in Loop: Header=BB1361_735 Depth=1
	s_add_u32 s50, s50, -1
	s_addc_u32 s51, s51, -1
	s_cmp_eq_u64 s[50:51], 0
	s_cselect_b64 s[22:23], -1, 0
	s_andn2_b64 s[46:47], s[46:47], exec
	s_and_b64 s[22:23], s[22:23], exec
	v_lshl_add_u64 v[0:1], v[0:1], 0, 2
	v_lshl_add_u64 v[22:23], v[22:23], 0, 2
	s_andn2_b64 s[44:45], s[44:45], exec
	s_or_b64 s[46:47], s[46:47], s[22:23]
	s_branch .LBB1361_734
.LBB1361_737:
	s_or_b64 exec, exec, s[28:29]
	s_and_saveexec_b64 s[20:21], s[30:31]
	s_xor_b64 s[20:21], exec, s[20:21]
; %bb.738:
	v_cndmask_b32_e64 v1, v7, v9, s[26:27]
	v_cndmask_b32_e64 v0, v6, v8, s[26:27]
	;; [unrolled: 1-line block ×4, first 2 shown]
	v_mov_b64_e32 v[6:7], v[0:1]
; %bb.739:
	s_or_b64 exec, exec, s[20:21]
.LBB1361_740:
	s_or_b64 exec, exec, s[24:25]
	v_cmp_lt_u32_e64 s[20:21], 7, v25
	s_and_saveexec_b64 s[26:27], s[20:21]
	s_cbranch_execz .LBB1361_749
; %bb.741:
	s_andn2_b64 vcc, exec, s[42:43]
	s_cbranch_vccnz .LBB1361_749
; %bb.742:
	v_mul_lo_u32 v22, v5, s36
	v_mul_lo_u32 v23, v4, s37
	v_mad_u64_u32 v[0:1], s[22:23], v4, s36, 0
	v_add3_u32 v1, v1, v23, v22
	v_mul_lo_u32 v33, v3, s36
	v_mul_lo_u32 v34, v2, s37
	v_mad_u64_u32 v[22:23], s[22:23], v2, s36, 0
	v_add3_u32 v23, v23, v34, v33
	v_lshl_add_u64 v[0:1], v[0:1], 1, s[38:39]
	v_lshl_add_u64 v[22:23], v[22:23], 1, s[38:39]
	s_mov_b64 s[30:31], 0
	s_mov_b64 s[52:53], s[36:37]
                                        ; implicit-def: $sgpr28_sgpr29
                                        ; implicit-def: $sgpr44_sgpr45
                                        ; implicit-def: $sgpr48_sgpr49
                                        ; implicit-def: $sgpr46_sgpr47
                                        ; implicit-def: $sgpr50_sgpr51
	s_branch .LBB1361_744
.LBB1361_743:                           ;   in Loop: Header=BB1361_744 Depth=1
	s_or_b64 exec, exec, s[54:55]
	s_and_b64 s[22:23], s[22:23], s[50:51]
	s_or_b64 s[22:23], vcc, s[22:23]
	s_and_b64 s[24:25], exec, s[48:49]
	s_or_b64 s[30:31], s[24:25], s[30:31]
	s_andn2_b64 s[24:25], s[50:51], exec
	s_and_b64 s[22:23], s[22:23], exec
	s_or_b64 s[50:51], s[24:25], s[22:23]
	s_andn2_b64 s[24:25], s[44:45], exec
	s_and_b64 s[44:45], s[46:47], exec
	s_or_b64 s[44:45], s[24:25], s[44:45]
	s_andn2_b64 s[24:25], s[28:29], exec
	s_or_b64 s[28:29], s[24:25], s[22:23]
	s_andn2_b64 exec, exec, s[30:31]
	s_cbranch_execz .LBB1361_746
.LBB1361_744:                           ; =>This Inner Loop Header: Depth=1
	global_load_ushort v33, v[0:1], off
	global_load_ushort v34, v[22:23], off
	s_or_b64 s[46:47], s[46:47], exec
	s_or_b64 s[48:49], s[48:49], exec
	s_waitcnt vmcnt(0)
	v_cmp_lt_u16_e32 vcc, v33, v34
	v_cmp_le_u16_e64 s[22:23], v33, v34
	v_cmp_eq_u16_e64 s[24:25], v33, v34
	s_and_saveexec_b64 s[54:55], s[24:25]
	s_cbranch_execz .LBB1361_743
; %bb.745:                              ;   in Loop: Header=BB1361_744 Depth=1
	s_add_u32 s52, s52, -1
	s_addc_u32 s53, s53, -1
	s_cmp_eq_u64 s[52:53], 0
	s_cselect_b64 s[24:25], -1, 0
	s_andn2_b64 s[48:49], s[48:49], exec
	s_and_b64 s[24:25], s[24:25], exec
	v_lshl_add_u64 v[0:1], v[0:1], 0, 2
	v_lshl_add_u64 v[22:23], v[22:23], 0, 2
	s_andn2_b64 s[46:47], s[46:47], exec
	s_or_b64 s[48:49], s[48:49], s[24:25]
	s_branch .LBB1361_743
.LBB1361_746:
	s_or_b64 exec, exec, s[30:31]
	s_and_saveexec_b64 s[22:23], s[44:45]
	s_xor_b64 s[22:23], exec, s[22:23]
; %bb.747:
	v_cndmask_b32_e64 v1, v3, v5, s[28:29]
	v_cndmask_b32_e64 v0, v2, v4, s[28:29]
	;; [unrolled: 1-line block ×4, first 2 shown]
	v_mov_b64_e32 v[2:3], v[0:1]
; %bb.748:
	s_or_b64 exec, exec, s[22:23]
.LBB1361_749:
	s_or_b64 exec, exec, s[26:27]
	v_cmp_lt_u32_e64 s[22:23], 2, v25
	s_and_saveexec_b64 s[24:25], s[22:23]
	s_xor_b64 s[28:29], exec, s[24:25]
	s_cbranch_execz .LBB1361_758
; %bb.750:
	s_andn2_b64 vcc, exec, s[42:43]
	s_cbranch_vccnz .LBB1361_758
; %bb.751:
	v_mul_lo_u32 v22, v11, s36
	v_mul_lo_u32 v23, v10, s37
	v_mad_u64_u32 v[0:1], s[24:25], v10, s36, 0
	v_add3_u32 v1, v1, v23, v22
	v_mul_lo_u32 v33, v17, s36
	v_mul_lo_u32 v34, v16, s37
	v_mad_u64_u32 v[22:23], s[24:25], v16, s36, 0
	v_add3_u32 v23, v23, v34, v33
	v_lshl_add_u64 v[0:1], v[0:1], 1, s[38:39]
	v_lshl_add_u64 v[22:23], v[22:23], 1, s[38:39]
	s_mov_b64 s[44:45], 0
	s_mov_b64 s[54:55], s[36:37]
                                        ; implicit-def: $sgpr30_sgpr31
                                        ; implicit-def: $sgpr46_sgpr47
                                        ; implicit-def: $sgpr50_sgpr51
                                        ; implicit-def: $sgpr48_sgpr49
                                        ; implicit-def: $sgpr52_sgpr53
	s_branch .LBB1361_753
.LBB1361_752:                           ;   in Loop: Header=BB1361_753 Depth=1
	s_or_b64 exec, exec, s[56:57]
	s_and_b64 s[24:25], s[24:25], s[52:53]
	s_or_b64 s[24:25], vcc, s[24:25]
	s_and_b64 s[26:27], exec, s[50:51]
	s_or_b64 s[44:45], s[26:27], s[44:45]
	s_andn2_b64 s[26:27], s[52:53], exec
	s_and_b64 s[24:25], s[24:25], exec
	s_or_b64 s[52:53], s[26:27], s[24:25]
	s_andn2_b64 s[26:27], s[46:47], exec
	s_and_b64 s[46:47], s[48:49], exec
	s_or_b64 s[46:47], s[26:27], s[46:47]
	s_andn2_b64 s[26:27], s[30:31], exec
	s_or_b64 s[30:31], s[26:27], s[24:25]
	s_andn2_b64 exec, exec, s[44:45]
	s_cbranch_execz .LBB1361_755
.LBB1361_753:                           ; =>This Inner Loop Header: Depth=1
	global_load_ushort v33, v[0:1], off
	global_load_ushort v34, v[22:23], off
	s_or_b64 s[48:49], s[48:49], exec
	s_or_b64 s[50:51], s[50:51], exec
	s_waitcnt vmcnt(0)
	v_cmp_lt_u16_e32 vcc, v33, v34
	v_cmp_le_u16_e64 s[24:25], v33, v34
	v_cmp_eq_u16_e64 s[26:27], v33, v34
	s_and_saveexec_b64 s[56:57], s[26:27]
	s_cbranch_execz .LBB1361_752
; %bb.754:                              ;   in Loop: Header=BB1361_753 Depth=1
	s_add_u32 s54, s54, -1
	s_addc_u32 s55, s55, -1
	s_cmp_eq_u64 s[54:55], 0
	s_cselect_b64 s[26:27], -1, 0
	s_andn2_b64 s[50:51], s[50:51], exec
	s_and_b64 s[26:27], s[26:27], exec
	v_lshl_add_u64 v[0:1], v[0:1], 0, 2
	v_lshl_add_u64 v[22:23], v[22:23], 0, 2
	s_andn2_b64 s[48:49], s[48:49], exec
	s_or_b64 s[50:51], s[50:51], s[26:27]
	s_branch .LBB1361_752
.LBB1361_755:
	s_or_b64 exec, exec, s[44:45]
	s_and_saveexec_b64 s[24:25], s[46:47]
	s_xor_b64 s[24:25], exec, s[24:25]
; %bb.756:
	v_cndmask_b32_e64 v1, v17, v11, s[30:31]
	v_cndmask_b32_e64 v0, v16, v10, s[30:31]
	v_cndmask_b32_e64 v11, v11, v17, s[30:31]
	v_cndmask_b32_e64 v10, v10, v16, s[30:31]
	v_mov_b64_e32 v[16:17], v[0:1]
; %bb.757:
	s_or_b64 exec, exec, s[24:25]
.LBB1361_758:
	s_or_b64 exec, exec, s[28:29]
	v_cmp_lt_u32_e64 s[24:25], 4, v25
	s_and_saveexec_b64 s[30:31], s[24:25]
	s_cbranch_execz .LBB1361_767
; %bb.759:
	s_andn2_b64 vcc, exec, s[42:43]
	s_cbranch_vccnz .LBB1361_767
; %bb.760:
	v_mul_lo_u32 v22, v7, s36
	v_mul_lo_u32 v23, v6, s37
	v_mad_u64_u32 v[0:1], s[26:27], v6, s36, 0
	v_add3_u32 v1, v1, v23, v22
	v_mul_lo_u32 v33, v13, s36
	v_mul_lo_u32 v34, v12, s37
	v_mad_u64_u32 v[22:23], s[26:27], v12, s36, 0
	v_add3_u32 v23, v23, v34, v33
	v_lshl_add_u64 v[0:1], v[0:1], 1, s[38:39]
	v_lshl_add_u64 v[22:23], v[22:23], 1, s[38:39]
	s_mov_b64 s[46:47], 0
	s_mov_b64 s[56:57], s[36:37]
                                        ; implicit-def: $sgpr44_sgpr45
                                        ; implicit-def: $sgpr48_sgpr49
                                        ; implicit-def: $sgpr52_sgpr53
                                        ; implicit-def: $sgpr50_sgpr51
                                        ; implicit-def: $sgpr54_sgpr55
	s_branch .LBB1361_762
.LBB1361_761:                           ;   in Loop: Header=BB1361_762 Depth=1
	s_or_b64 exec, exec, s[58:59]
	s_and_b64 s[26:27], s[26:27], s[54:55]
	s_or_b64 s[26:27], vcc, s[26:27]
	s_and_b64 s[28:29], exec, s[52:53]
	s_or_b64 s[46:47], s[28:29], s[46:47]
	s_andn2_b64 s[28:29], s[54:55], exec
	s_and_b64 s[26:27], s[26:27], exec
	s_or_b64 s[54:55], s[28:29], s[26:27]
	s_andn2_b64 s[28:29], s[48:49], exec
	s_and_b64 s[48:49], s[50:51], exec
	s_or_b64 s[48:49], s[28:29], s[48:49]
	s_andn2_b64 s[28:29], s[44:45], exec
	s_or_b64 s[44:45], s[28:29], s[26:27]
	s_andn2_b64 exec, exec, s[46:47]
	s_cbranch_execz .LBB1361_764
.LBB1361_762:                           ; =>This Inner Loop Header: Depth=1
	global_load_ushort v33, v[0:1], off
	global_load_ushort v34, v[22:23], off
	s_or_b64 s[50:51], s[50:51], exec
	s_or_b64 s[52:53], s[52:53], exec
	s_waitcnt vmcnt(0)
	v_cmp_lt_u16_e32 vcc, v33, v34
	v_cmp_le_u16_e64 s[26:27], v33, v34
	v_cmp_eq_u16_e64 s[28:29], v33, v34
	s_and_saveexec_b64 s[58:59], s[28:29]
	s_cbranch_execz .LBB1361_761
; %bb.763:                              ;   in Loop: Header=BB1361_762 Depth=1
	s_add_u32 s56, s56, -1
	s_addc_u32 s57, s57, -1
	s_cmp_eq_u64 s[56:57], 0
	s_cselect_b64 s[28:29], -1, 0
	s_andn2_b64 s[52:53], s[52:53], exec
	s_and_b64 s[28:29], s[28:29], exec
	v_lshl_add_u64 v[0:1], v[0:1], 0, 2
	v_lshl_add_u64 v[22:23], v[22:23], 0, 2
	s_andn2_b64 s[50:51], s[50:51], exec
	s_or_b64 s[52:53], s[52:53], s[28:29]
	s_branch .LBB1361_761
.LBB1361_764:
	s_or_b64 exec, exec, s[46:47]
	s_and_saveexec_b64 s[26:27], s[48:49]
	s_xor_b64 s[26:27], exec, s[26:27]
; %bb.765:
	v_cndmask_b32_e64 v1, v13, v7, s[44:45]
	v_cndmask_b32_e64 v0, v12, v6, s[44:45]
	;; [unrolled: 1-line block ×4, first 2 shown]
	v_mov_b64_e32 v[12:13], v[0:1]
; %bb.766:
	s_or_b64 exec, exec, s[26:27]
.LBB1361_767:
	s_or_b64 exec, exec, s[30:31]
	v_cmp_lt_u32_e64 s[26:27], 6, v25
	s_and_saveexec_b64 s[44:45], s[26:27]
	s_cbranch_execz .LBB1361_776
; %bb.768:
	s_andn2_b64 vcc, exec, s[42:43]
	s_cbranch_vccnz .LBB1361_776
; %bb.769:
	v_mul_lo_u32 v22, v3, s36
	v_mul_lo_u32 v23, v2, s37
	v_mad_u64_u32 v[0:1], s[28:29], v2, s36, 0
	v_add3_u32 v1, v1, v23, v22
	v_mul_lo_u32 v25, v9, s36
	v_mul_lo_u32 v33, v8, s37
	v_mad_u64_u32 v[22:23], s[28:29], v8, s36, 0
	v_add3_u32 v23, v23, v33, v25
	v_lshl_add_u64 v[0:1], v[0:1], 1, s[38:39]
	v_lshl_add_u64 v[22:23], v[22:23], 1, s[38:39]
	s_mov_b64 s[48:49], 0
	s_mov_b64 s[58:59], s[36:37]
                                        ; implicit-def: $sgpr46_sgpr47
                                        ; implicit-def: $sgpr50_sgpr51
                                        ; implicit-def: $sgpr54_sgpr55
                                        ; implicit-def: $sgpr52_sgpr53
                                        ; implicit-def: $sgpr56_sgpr57
	s_branch .LBB1361_771
.LBB1361_770:                           ;   in Loop: Header=BB1361_771 Depth=1
	s_or_b64 exec, exec, s[60:61]
	s_and_b64 s[28:29], s[28:29], s[56:57]
	s_or_b64 s[28:29], vcc, s[28:29]
	s_and_b64 s[30:31], exec, s[54:55]
	s_or_b64 s[48:49], s[30:31], s[48:49]
	s_andn2_b64 s[30:31], s[56:57], exec
	s_and_b64 s[28:29], s[28:29], exec
	s_or_b64 s[56:57], s[30:31], s[28:29]
	s_andn2_b64 s[30:31], s[50:51], exec
	s_and_b64 s[50:51], s[52:53], exec
	s_or_b64 s[50:51], s[30:31], s[50:51]
	s_andn2_b64 s[30:31], s[46:47], exec
	s_or_b64 s[46:47], s[30:31], s[28:29]
	s_andn2_b64 exec, exec, s[48:49]
	s_cbranch_execz .LBB1361_773
.LBB1361_771:                           ; =>This Inner Loop Header: Depth=1
	global_load_ushort v25, v[0:1], off
	global_load_ushort v33, v[22:23], off
	s_or_b64 s[52:53], s[52:53], exec
	s_or_b64 s[54:55], s[54:55], exec
	s_waitcnt vmcnt(0)
	v_cmp_lt_u16_e32 vcc, v25, v33
	v_cmp_le_u16_e64 s[28:29], v25, v33
	v_cmp_eq_u16_e64 s[30:31], v25, v33
	s_and_saveexec_b64 s[60:61], s[30:31]
	s_cbranch_execz .LBB1361_770
; %bb.772:                              ;   in Loop: Header=BB1361_771 Depth=1
	s_add_u32 s58, s58, -1
	s_addc_u32 s59, s59, -1
	s_cmp_eq_u64 s[58:59], 0
	s_cselect_b64 s[30:31], -1, 0
	s_andn2_b64 s[54:55], s[54:55], exec
	s_and_b64 s[30:31], s[30:31], exec
	v_lshl_add_u64 v[0:1], v[0:1], 0, 2
	v_lshl_add_u64 v[22:23], v[22:23], 0, 2
	s_andn2_b64 s[52:53], s[52:53], exec
	s_or_b64 s[54:55], s[54:55], s[30:31]
	s_branch .LBB1361_770
.LBB1361_773:
	s_or_b64 exec, exec, s[48:49]
	s_and_saveexec_b64 s[28:29], s[50:51]
	s_xor_b64 s[28:29], exec, s[28:29]
; %bb.774:
	v_cndmask_b32_e64 v1, v9, v3, s[46:47]
	v_cndmask_b32_e64 v0, v8, v2, s[46:47]
	v_cndmask_b32_e64 v3, v3, v9, s[46:47]
	v_cndmask_b32_e64 v2, v2, v8, s[46:47]
	v_mov_b64_e32 v[8:9], v[0:1]
; %bb.775:
	s_or_b64 exec, exec, s[28:29]
.LBB1361_776:
	s_or_b64 exec, exec, s[44:45]
	s_and_saveexec_b64 s[44:45], s[14:15]
	s_cbranch_execz .LBB1361_785
; %bb.777:
	s_andn2_b64 vcc, exec, s[42:43]
	s_cbranch_vccnz .LBB1361_785
; %bb.778:
	v_mul_lo_u32 v22, v17, s36
	v_mul_lo_u32 v23, v16, s37
	v_mad_u64_u32 v[0:1], s[28:29], v16, s36, 0
	v_add3_u32 v1, v1, v23, v22
	v_mul_lo_u32 v25, v15, s36
	v_mul_lo_u32 v33, v14, s37
	v_mad_u64_u32 v[22:23], s[28:29], v14, s36, 0
	v_add3_u32 v23, v23, v33, v25
	v_lshl_add_u64 v[0:1], v[0:1], 1, s[38:39]
	v_lshl_add_u64 v[22:23], v[22:23], 1, s[38:39]
	s_mov_b64 s[48:49], 0
	s_mov_b64 s[58:59], s[36:37]
                                        ; implicit-def: $sgpr46_sgpr47
                                        ; implicit-def: $sgpr50_sgpr51
                                        ; implicit-def: $sgpr54_sgpr55
                                        ; implicit-def: $sgpr52_sgpr53
                                        ; implicit-def: $sgpr56_sgpr57
	s_branch .LBB1361_780
.LBB1361_779:                           ;   in Loop: Header=BB1361_780 Depth=1
	s_or_b64 exec, exec, s[60:61]
	s_and_b64 s[28:29], s[28:29], s[56:57]
	s_or_b64 s[28:29], vcc, s[28:29]
	s_and_b64 s[30:31], exec, s[54:55]
	s_or_b64 s[48:49], s[30:31], s[48:49]
	s_andn2_b64 s[30:31], s[56:57], exec
	s_and_b64 s[28:29], s[28:29], exec
	s_or_b64 s[56:57], s[30:31], s[28:29]
	s_andn2_b64 s[30:31], s[50:51], exec
	s_and_b64 s[50:51], s[52:53], exec
	s_or_b64 s[50:51], s[30:31], s[50:51]
	s_andn2_b64 s[30:31], s[46:47], exec
	s_or_b64 s[46:47], s[30:31], s[28:29]
	s_andn2_b64 exec, exec, s[48:49]
	s_cbranch_execz .LBB1361_782
.LBB1361_780:                           ; =>This Inner Loop Header: Depth=1
	global_load_ushort v25, v[0:1], off
	global_load_ushort v33, v[22:23], off
	s_or_b64 s[52:53], s[52:53], exec
	s_or_b64 s[54:55], s[54:55], exec
	s_waitcnt vmcnt(0)
	v_cmp_lt_u16_e32 vcc, v25, v33
	v_cmp_le_u16_e64 s[28:29], v25, v33
	v_cmp_eq_u16_e64 s[30:31], v25, v33
	s_and_saveexec_b64 s[60:61], s[30:31]
	s_cbranch_execz .LBB1361_779
; %bb.781:                              ;   in Loop: Header=BB1361_780 Depth=1
	s_add_u32 s58, s58, -1
	s_addc_u32 s59, s59, -1
	s_cmp_eq_u64 s[58:59], 0
	s_cselect_b64 s[30:31], -1, 0
	s_andn2_b64 s[54:55], s[54:55], exec
	s_and_b64 s[30:31], s[30:31], exec
	v_lshl_add_u64 v[0:1], v[0:1], 0, 2
	v_lshl_add_u64 v[22:23], v[22:23], 0, 2
	s_andn2_b64 s[52:53], s[52:53], exec
	s_or_b64 s[54:55], s[54:55], s[30:31]
	s_branch .LBB1361_779
.LBB1361_782:
	s_or_b64 exec, exec, s[48:49]
	s_and_saveexec_b64 s[28:29], s[50:51]
	s_xor_b64 s[28:29], exec, s[28:29]
; %bb.783:
	v_cndmask_b32_e64 v1, v17, v15, s[46:47]
	v_cndmask_b32_e64 v0, v16, v14, s[46:47]
	;; [unrolled: 1-line block ×4, first 2 shown]
	v_mov_b64_e32 v[16:17], v[0:1]
; %bb.784:
	s_or_b64 exec, exec, s[28:29]
.LBB1361_785:
	s_or_b64 exec, exec, s[44:45]
	s_and_saveexec_b64 s[44:45], s[16:17]
	s_cbranch_execz .LBB1361_794
; %bb.786:
	s_andn2_b64 vcc, exec, s[42:43]
	s_cbranch_vccnz .LBB1361_794
; %bb.787:
	v_mul_lo_u32 v22, v13, s36
	v_mul_lo_u32 v23, v12, s37
	v_mad_u64_u32 v[0:1], s[28:29], v12, s36, 0
	v_add3_u32 v1, v1, v23, v22
	v_mul_lo_u32 v25, v11, s36
	v_mul_lo_u32 v33, v10, s37
	v_mad_u64_u32 v[22:23], s[28:29], v10, s36, 0
	v_add3_u32 v23, v23, v33, v25
	v_lshl_add_u64 v[0:1], v[0:1], 1, s[38:39]
	v_lshl_add_u64 v[22:23], v[22:23], 1, s[38:39]
	s_mov_b64 s[48:49], 0
	s_mov_b64 s[58:59], s[36:37]
                                        ; implicit-def: $sgpr46_sgpr47
                                        ; implicit-def: $sgpr50_sgpr51
                                        ; implicit-def: $sgpr54_sgpr55
                                        ; implicit-def: $sgpr52_sgpr53
                                        ; implicit-def: $sgpr56_sgpr57
	s_branch .LBB1361_789
.LBB1361_788:                           ;   in Loop: Header=BB1361_789 Depth=1
	s_or_b64 exec, exec, s[60:61]
	s_and_b64 s[28:29], s[28:29], s[56:57]
	s_or_b64 s[28:29], vcc, s[28:29]
	s_and_b64 s[30:31], exec, s[54:55]
	s_or_b64 s[48:49], s[30:31], s[48:49]
	s_andn2_b64 s[30:31], s[56:57], exec
	s_and_b64 s[28:29], s[28:29], exec
	s_or_b64 s[56:57], s[30:31], s[28:29]
	s_andn2_b64 s[30:31], s[50:51], exec
	s_and_b64 s[50:51], s[52:53], exec
	s_or_b64 s[50:51], s[30:31], s[50:51]
	s_andn2_b64 s[30:31], s[46:47], exec
	s_or_b64 s[46:47], s[30:31], s[28:29]
	s_andn2_b64 exec, exec, s[48:49]
	s_cbranch_execz .LBB1361_791
.LBB1361_789:                           ; =>This Inner Loop Header: Depth=1
	global_load_ushort v25, v[0:1], off
	global_load_ushort v33, v[22:23], off
	s_or_b64 s[52:53], s[52:53], exec
	s_or_b64 s[54:55], s[54:55], exec
	s_waitcnt vmcnt(0)
	v_cmp_lt_u16_e32 vcc, v25, v33
	v_cmp_le_u16_e64 s[28:29], v25, v33
	v_cmp_eq_u16_e64 s[30:31], v25, v33
	s_and_saveexec_b64 s[60:61], s[30:31]
	s_cbranch_execz .LBB1361_788
; %bb.790:                              ;   in Loop: Header=BB1361_789 Depth=1
	s_add_u32 s58, s58, -1
	s_addc_u32 s59, s59, -1
	s_cmp_eq_u64 s[58:59], 0
	s_cselect_b64 s[30:31], -1, 0
	s_andn2_b64 s[54:55], s[54:55], exec
	s_and_b64 s[30:31], s[30:31], exec
	v_lshl_add_u64 v[0:1], v[0:1], 0, 2
	v_lshl_add_u64 v[22:23], v[22:23], 0, 2
	s_andn2_b64 s[52:53], s[52:53], exec
	s_or_b64 s[54:55], s[54:55], s[30:31]
	s_branch .LBB1361_788
.LBB1361_791:
	s_or_b64 exec, exec, s[48:49]
	s_and_saveexec_b64 s[28:29], s[50:51]
	s_xor_b64 s[28:29], exec, s[28:29]
; %bb.792:
	v_cndmask_b32_e64 v1, v11, v13, s[46:47]
	v_cndmask_b32_e64 v0, v10, v12, s[46:47]
	;; [unrolled: 1-line block ×4, first 2 shown]
	v_mov_b64_e32 v[10:11], v[0:1]
; %bb.793:
	s_or_b64 exec, exec, s[28:29]
.LBB1361_794:
	s_or_b64 exec, exec, s[44:45]
	s_and_saveexec_b64 s[44:45], s[18:19]
	s_cbranch_execz .LBB1361_803
; %bb.795:
	s_andn2_b64 vcc, exec, s[42:43]
	s_cbranch_vccnz .LBB1361_803
; %bb.796:
	v_mul_lo_u32 v22, v9, s36
	v_mul_lo_u32 v23, v8, s37
	v_mad_u64_u32 v[0:1], s[28:29], v8, s36, 0
	v_add3_u32 v1, v1, v23, v22
	v_mul_lo_u32 v25, v7, s36
	v_mul_lo_u32 v33, v6, s37
	v_mad_u64_u32 v[22:23], s[28:29], v6, s36, 0
	v_add3_u32 v23, v23, v33, v25
	v_lshl_add_u64 v[0:1], v[0:1], 1, s[38:39]
	v_lshl_add_u64 v[22:23], v[22:23], 1, s[38:39]
	s_mov_b64 s[48:49], 0
	s_mov_b64 s[58:59], s[36:37]
                                        ; implicit-def: $sgpr46_sgpr47
                                        ; implicit-def: $sgpr50_sgpr51
                                        ; implicit-def: $sgpr54_sgpr55
                                        ; implicit-def: $sgpr52_sgpr53
                                        ; implicit-def: $sgpr56_sgpr57
	s_branch .LBB1361_798
.LBB1361_797:                           ;   in Loop: Header=BB1361_798 Depth=1
	s_or_b64 exec, exec, s[60:61]
	s_and_b64 s[28:29], s[28:29], s[56:57]
	s_or_b64 s[28:29], vcc, s[28:29]
	s_and_b64 s[30:31], exec, s[54:55]
	s_or_b64 s[48:49], s[30:31], s[48:49]
	s_andn2_b64 s[30:31], s[56:57], exec
	s_and_b64 s[28:29], s[28:29], exec
	s_or_b64 s[56:57], s[30:31], s[28:29]
	s_andn2_b64 s[30:31], s[50:51], exec
	s_and_b64 s[50:51], s[52:53], exec
	s_or_b64 s[50:51], s[30:31], s[50:51]
	s_andn2_b64 s[30:31], s[46:47], exec
	s_or_b64 s[46:47], s[30:31], s[28:29]
	s_andn2_b64 exec, exec, s[48:49]
	s_cbranch_execz .LBB1361_800
.LBB1361_798:                           ; =>This Inner Loop Header: Depth=1
	global_load_ushort v25, v[0:1], off
	global_load_ushort v33, v[22:23], off
	s_or_b64 s[52:53], s[52:53], exec
	s_or_b64 s[54:55], s[54:55], exec
	s_waitcnt vmcnt(0)
	v_cmp_lt_u16_e32 vcc, v25, v33
	v_cmp_le_u16_e64 s[28:29], v25, v33
	v_cmp_eq_u16_e64 s[30:31], v25, v33
	s_and_saveexec_b64 s[60:61], s[30:31]
	s_cbranch_execz .LBB1361_797
; %bb.799:                              ;   in Loop: Header=BB1361_798 Depth=1
	s_add_u32 s58, s58, -1
	s_addc_u32 s59, s59, -1
	s_cmp_eq_u64 s[58:59], 0
	s_cselect_b64 s[30:31], -1, 0
	s_andn2_b64 s[54:55], s[54:55], exec
	s_and_b64 s[30:31], s[30:31], exec
	v_lshl_add_u64 v[0:1], v[0:1], 0, 2
	v_lshl_add_u64 v[22:23], v[22:23], 0, 2
	s_andn2_b64 s[52:53], s[52:53], exec
	s_or_b64 s[54:55], s[54:55], s[30:31]
	s_branch .LBB1361_797
.LBB1361_800:
	s_or_b64 exec, exec, s[48:49]
	s_and_saveexec_b64 s[28:29], s[50:51]
	s_xor_b64 s[28:29], exec, s[28:29]
; %bb.801:
	v_cndmask_b32_e64 v1, v7, v9, s[46:47]
	v_cndmask_b32_e64 v0, v6, v8, s[46:47]
	;; [unrolled: 1-line block ×4, first 2 shown]
	v_mov_b64_e32 v[6:7], v[0:1]
; %bb.802:
	s_or_b64 exec, exec, s[28:29]
.LBB1361_803:
	s_or_b64 exec, exec, s[44:45]
	s_and_saveexec_b64 s[44:45], s[20:21]
	s_cbranch_execz .LBB1361_812
; %bb.804:
	s_andn2_b64 vcc, exec, s[42:43]
	s_cbranch_vccnz .LBB1361_812
; %bb.805:
	v_mul_lo_u32 v22, v5, s36
	v_mul_lo_u32 v23, v4, s37
	v_mad_u64_u32 v[0:1], s[28:29], v4, s36, 0
	v_add3_u32 v1, v1, v23, v22
	v_mul_lo_u32 v25, v3, s36
	v_mul_lo_u32 v33, v2, s37
	v_mad_u64_u32 v[22:23], s[28:29], v2, s36, 0
	v_add3_u32 v23, v23, v33, v25
	v_lshl_add_u64 v[0:1], v[0:1], 1, s[38:39]
	v_lshl_add_u64 v[22:23], v[22:23], 1, s[38:39]
	s_mov_b64 s[48:49], 0
	s_mov_b64 s[58:59], s[36:37]
                                        ; implicit-def: $sgpr46_sgpr47
                                        ; implicit-def: $sgpr50_sgpr51
                                        ; implicit-def: $sgpr54_sgpr55
                                        ; implicit-def: $sgpr52_sgpr53
                                        ; implicit-def: $sgpr56_sgpr57
	s_branch .LBB1361_807
.LBB1361_806:                           ;   in Loop: Header=BB1361_807 Depth=1
	s_or_b64 exec, exec, s[60:61]
	s_and_b64 s[28:29], s[28:29], s[56:57]
	s_or_b64 s[28:29], vcc, s[28:29]
	s_and_b64 s[30:31], exec, s[54:55]
	s_or_b64 s[48:49], s[30:31], s[48:49]
	s_andn2_b64 s[30:31], s[56:57], exec
	s_and_b64 s[28:29], s[28:29], exec
	s_or_b64 s[56:57], s[30:31], s[28:29]
	s_andn2_b64 s[30:31], s[50:51], exec
	s_and_b64 s[50:51], s[52:53], exec
	s_or_b64 s[50:51], s[30:31], s[50:51]
	s_andn2_b64 s[30:31], s[46:47], exec
	s_or_b64 s[46:47], s[30:31], s[28:29]
	s_andn2_b64 exec, exec, s[48:49]
	s_cbranch_execz .LBB1361_809
.LBB1361_807:                           ; =>This Inner Loop Header: Depth=1
	global_load_ushort v25, v[0:1], off
	global_load_ushort v33, v[22:23], off
	s_or_b64 s[52:53], s[52:53], exec
	s_or_b64 s[54:55], s[54:55], exec
	s_waitcnt vmcnt(0)
	v_cmp_lt_u16_e32 vcc, v25, v33
	v_cmp_le_u16_e64 s[28:29], v25, v33
	v_cmp_eq_u16_e64 s[30:31], v25, v33
	s_and_saveexec_b64 s[60:61], s[30:31]
	s_cbranch_execz .LBB1361_806
; %bb.808:                              ;   in Loop: Header=BB1361_807 Depth=1
	s_add_u32 s58, s58, -1
	s_addc_u32 s59, s59, -1
	s_cmp_eq_u64 s[58:59], 0
	s_cselect_b64 s[30:31], -1, 0
	s_andn2_b64 s[54:55], s[54:55], exec
	s_and_b64 s[30:31], s[30:31], exec
	v_lshl_add_u64 v[0:1], v[0:1], 0, 2
	v_lshl_add_u64 v[22:23], v[22:23], 0, 2
	s_andn2_b64 s[52:53], s[52:53], exec
	s_or_b64 s[54:55], s[54:55], s[30:31]
	s_branch .LBB1361_806
.LBB1361_809:
	s_or_b64 exec, exec, s[48:49]
	s_and_saveexec_b64 s[28:29], s[50:51]
	s_xor_b64 s[28:29], exec, s[28:29]
; %bb.810:
	v_cndmask_b32_e64 v1, v3, v5, s[46:47]
	v_cndmask_b32_e64 v0, v2, v4, s[46:47]
	v_cndmask_b32_e64 v5, v5, v3, s[46:47]
	v_cndmask_b32_e64 v4, v4, v2, s[46:47]
	v_mov_b64_e32 v[2:3], v[0:1]
; %bb.811:
	s_or_b64 exec, exec, s[28:29]
.LBB1361_812:
	s_or_b64 exec, exec, s[44:45]
	s_and_saveexec_b64 s[44:45], s[22:23]
	s_cbranch_execz .LBB1361_821
; %bb.813:
	s_andn2_b64 vcc, exec, s[42:43]
	s_cbranch_vccnz .LBB1361_821
; %bb.814:
	v_mul_lo_u32 v22, v11, s36
	v_mul_lo_u32 v23, v10, s37
	v_mad_u64_u32 v[0:1], s[28:29], v10, s36, 0
	v_add3_u32 v1, v1, v23, v22
	v_mul_lo_u32 v25, v17, s36
	v_mul_lo_u32 v33, v16, s37
	v_mad_u64_u32 v[22:23], s[28:29], v16, s36, 0
	v_add3_u32 v23, v23, v33, v25
	v_lshl_add_u64 v[0:1], v[0:1], 1, s[38:39]
	v_lshl_add_u64 v[22:23], v[22:23], 1, s[38:39]
	s_mov_b64 s[48:49], 0
	s_mov_b64 s[58:59], s[36:37]
                                        ; implicit-def: $sgpr46_sgpr47
                                        ; implicit-def: $sgpr50_sgpr51
                                        ; implicit-def: $sgpr54_sgpr55
                                        ; implicit-def: $sgpr52_sgpr53
                                        ; implicit-def: $sgpr56_sgpr57
	s_branch .LBB1361_816
.LBB1361_815:                           ;   in Loop: Header=BB1361_816 Depth=1
	s_or_b64 exec, exec, s[60:61]
	s_and_b64 s[28:29], s[28:29], s[56:57]
	s_or_b64 s[28:29], vcc, s[28:29]
	s_and_b64 s[30:31], exec, s[54:55]
	s_or_b64 s[48:49], s[30:31], s[48:49]
	s_andn2_b64 s[30:31], s[56:57], exec
	s_and_b64 s[28:29], s[28:29], exec
	s_or_b64 s[56:57], s[30:31], s[28:29]
	s_andn2_b64 s[30:31], s[50:51], exec
	s_and_b64 s[50:51], s[52:53], exec
	s_or_b64 s[50:51], s[30:31], s[50:51]
	s_andn2_b64 s[30:31], s[46:47], exec
	s_or_b64 s[46:47], s[30:31], s[28:29]
	s_andn2_b64 exec, exec, s[48:49]
	s_cbranch_execz .LBB1361_818
.LBB1361_816:                           ; =>This Inner Loop Header: Depth=1
	global_load_ushort v25, v[0:1], off
	global_load_ushort v33, v[22:23], off
	s_or_b64 s[52:53], s[52:53], exec
	s_or_b64 s[54:55], s[54:55], exec
	s_waitcnt vmcnt(0)
	v_cmp_lt_u16_e32 vcc, v25, v33
	v_cmp_le_u16_e64 s[28:29], v25, v33
	v_cmp_eq_u16_e64 s[30:31], v25, v33
	s_and_saveexec_b64 s[60:61], s[30:31]
	s_cbranch_execz .LBB1361_815
; %bb.817:                              ;   in Loop: Header=BB1361_816 Depth=1
	s_add_u32 s58, s58, -1
	s_addc_u32 s59, s59, -1
	s_cmp_eq_u64 s[58:59], 0
	s_cselect_b64 s[30:31], -1, 0
	s_andn2_b64 s[54:55], s[54:55], exec
	s_and_b64 s[30:31], s[30:31], exec
	v_lshl_add_u64 v[0:1], v[0:1], 0, 2
	v_lshl_add_u64 v[22:23], v[22:23], 0, 2
	s_andn2_b64 s[52:53], s[52:53], exec
	s_or_b64 s[54:55], s[54:55], s[30:31]
	s_branch .LBB1361_815
.LBB1361_818:
	s_or_b64 exec, exec, s[48:49]
	s_and_saveexec_b64 s[28:29], s[50:51]
	s_xor_b64 s[28:29], exec, s[28:29]
; %bb.819:
	v_cndmask_b32_e64 v1, v17, v11, s[46:47]
	v_cndmask_b32_e64 v0, v16, v10, s[46:47]
	;; [unrolled: 1-line block ×4, first 2 shown]
	v_mov_b64_e32 v[16:17], v[0:1]
; %bb.820:
	s_or_b64 exec, exec, s[28:29]
.LBB1361_821:
	s_or_b64 exec, exec, s[44:45]
	s_and_saveexec_b64 s[44:45], s[24:25]
	s_cbranch_execz .LBB1361_830
; %bb.822:
	s_andn2_b64 vcc, exec, s[42:43]
	s_cbranch_vccnz .LBB1361_830
; %bb.823:
	v_mul_lo_u32 v22, v7, s36
	v_mul_lo_u32 v23, v6, s37
	v_mad_u64_u32 v[0:1], s[28:29], v6, s36, 0
	v_add3_u32 v1, v1, v23, v22
	v_mul_lo_u32 v25, v13, s36
	v_mul_lo_u32 v33, v12, s37
	v_mad_u64_u32 v[22:23], s[28:29], v12, s36, 0
	v_add3_u32 v23, v23, v33, v25
	v_lshl_add_u64 v[0:1], v[0:1], 1, s[38:39]
	v_lshl_add_u64 v[22:23], v[22:23], 1, s[38:39]
	s_mov_b64 s[48:49], 0
	s_mov_b64 s[58:59], s[36:37]
                                        ; implicit-def: $sgpr46_sgpr47
                                        ; implicit-def: $sgpr50_sgpr51
                                        ; implicit-def: $sgpr54_sgpr55
                                        ; implicit-def: $sgpr52_sgpr53
                                        ; implicit-def: $sgpr56_sgpr57
	s_branch .LBB1361_825
.LBB1361_824:                           ;   in Loop: Header=BB1361_825 Depth=1
	s_or_b64 exec, exec, s[60:61]
	s_and_b64 s[28:29], s[28:29], s[56:57]
	s_or_b64 s[28:29], vcc, s[28:29]
	s_and_b64 s[30:31], exec, s[54:55]
	s_or_b64 s[48:49], s[30:31], s[48:49]
	s_andn2_b64 s[30:31], s[56:57], exec
	s_and_b64 s[28:29], s[28:29], exec
	s_or_b64 s[56:57], s[30:31], s[28:29]
	s_andn2_b64 s[30:31], s[50:51], exec
	s_and_b64 s[50:51], s[52:53], exec
	s_or_b64 s[50:51], s[30:31], s[50:51]
	s_andn2_b64 s[30:31], s[46:47], exec
	s_or_b64 s[46:47], s[30:31], s[28:29]
	s_andn2_b64 exec, exec, s[48:49]
	s_cbranch_execz .LBB1361_827
.LBB1361_825:                           ; =>This Inner Loop Header: Depth=1
	global_load_ushort v25, v[0:1], off
	global_load_ushort v33, v[22:23], off
	s_or_b64 s[52:53], s[52:53], exec
	s_or_b64 s[54:55], s[54:55], exec
	s_waitcnt vmcnt(0)
	v_cmp_lt_u16_e32 vcc, v25, v33
	v_cmp_le_u16_e64 s[28:29], v25, v33
	v_cmp_eq_u16_e64 s[30:31], v25, v33
	s_and_saveexec_b64 s[60:61], s[30:31]
	s_cbranch_execz .LBB1361_824
; %bb.826:                              ;   in Loop: Header=BB1361_825 Depth=1
	s_add_u32 s58, s58, -1
	s_addc_u32 s59, s59, -1
	s_cmp_eq_u64 s[58:59], 0
	s_cselect_b64 s[30:31], -1, 0
	s_andn2_b64 s[54:55], s[54:55], exec
	s_and_b64 s[30:31], s[30:31], exec
	v_lshl_add_u64 v[0:1], v[0:1], 0, 2
	v_lshl_add_u64 v[22:23], v[22:23], 0, 2
	s_andn2_b64 s[52:53], s[52:53], exec
	s_or_b64 s[54:55], s[54:55], s[30:31]
	s_branch .LBB1361_824
.LBB1361_827:
	s_or_b64 exec, exec, s[48:49]
	s_and_saveexec_b64 s[28:29], s[50:51]
	s_xor_b64 s[28:29], exec, s[28:29]
; %bb.828:
	v_cndmask_b32_e64 v1, v13, v7, s[46:47]
	v_cndmask_b32_e64 v0, v12, v6, s[46:47]
	;; [unrolled: 1-line block ×4, first 2 shown]
	v_mov_b64_e32 v[12:13], v[0:1]
; %bb.829:
	s_or_b64 exec, exec, s[28:29]
.LBB1361_830:
	s_or_b64 exec, exec, s[44:45]
	s_and_saveexec_b64 s[44:45], s[26:27]
	s_cbranch_execz .LBB1361_839
; %bb.831:
	s_andn2_b64 vcc, exec, s[42:43]
	s_cbranch_vccnz .LBB1361_839
; %bb.832:
	v_mul_lo_u32 v22, v3, s36
	v_mul_lo_u32 v23, v2, s37
	v_mad_u64_u32 v[0:1], s[28:29], v2, s36, 0
	v_add3_u32 v1, v1, v23, v22
	v_mul_lo_u32 v25, v9, s36
	v_mul_lo_u32 v33, v8, s37
	v_mad_u64_u32 v[22:23], s[28:29], v8, s36, 0
	v_add3_u32 v23, v23, v33, v25
	v_lshl_add_u64 v[0:1], v[0:1], 1, s[38:39]
	v_lshl_add_u64 v[22:23], v[22:23], 1, s[38:39]
	s_mov_b64 s[48:49], 0
	s_mov_b64 s[58:59], s[36:37]
                                        ; implicit-def: $sgpr46_sgpr47
                                        ; implicit-def: $sgpr50_sgpr51
                                        ; implicit-def: $sgpr54_sgpr55
                                        ; implicit-def: $sgpr52_sgpr53
                                        ; implicit-def: $sgpr56_sgpr57
	s_branch .LBB1361_834
.LBB1361_833:                           ;   in Loop: Header=BB1361_834 Depth=1
	s_or_b64 exec, exec, s[60:61]
	s_and_b64 s[28:29], s[28:29], s[56:57]
	s_or_b64 s[28:29], vcc, s[28:29]
	s_and_b64 s[30:31], exec, s[54:55]
	s_or_b64 s[48:49], s[30:31], s[48:49]
	s_andn2_b64 s[30:31], s[56:57], exec
	s_and_b64 s[28:29], s[28:29], exec
	s_or_b64 s[56:57], s[30:31], s[28:29]
	s_andn2_b64 s[30:31], s[50:51], exec
	s_and_b64 s[50:51], s[52:53], exec
	s_or_b64 s[50:51], s[30:31], s[50:51]
	s_andn2_b64 s[30:31], s[46:47], exec
	s_or_b64 s[46:47], s[30:31], s[28:29]
	s_andn2_b64 exec, exec, s[48:49]
	s_cbranch_execz .LBB1361_836
.LBB1361_834:                           ; =>This Inner Loop Header: Depth=1
	global_load_ushort v25, v[0:1], off
	global_load_ushort v33, v[22:23], off
	s_or_b64 s[52:53], s[52:53], exec
	s_or_b64 s[54:55], s[54:55], exec
	s_waitcnt vmcnt(0)
	v_cmp_lt_u16_e32 vcc, v25, v33
	v_cmp_le_u16_e64 s[28:29], v25, v33
	v_cmp_eq_u16_e64 s[30:31], v25, v33
	s_and_saveexec_b64 s[60:61], s[30:31]
	s_cbranch_execz .LBB1361_833
; %bb.835:                              ;   in Loop: Header=BB1361_834 Depth=1
	s_add_u32 s58, s58, -1
	s_addc_u32 s59, s59, -1
	s_cmp_eq_u64 s[58:59], 0
	s_cselect_b64 s[30:31], -1, 0
	s_andn2_b64 s[54:55], s[54:55], exec
	s_and_b64 s[30:31], s[30:31], exec
	v_lshl_add_u64 v[0:1], v[0:1], 0, 2
	v_lshl_add_u64 v[22:23], v[22:23], 0, 2
	s_andn2_b64 s[52:53], s[52:53], exec
	s_or_b64 s[54:55], s[54:55], s[30:31]
	s_branch .LBB1361_833
.LBB1361_836:
	s_or_b64 exec, exec, s[48:49]
	s_and_saveexec_b64 s[28:29], s[50:51]
	s_xor_b64 s[28:29], exec, s[28:29]
; %bb.837:
	v_cndmask_b32_e64 v1, v9, v3, s[46:47]
	v_cndmask_b32_e64 v0, v8, v2, s[46:47]
	;; [unrolled: 1-line block ×4, first 2 shown]
	v_mov_b64_e32 v[8:9], v[0:1]
; %bb.838:
	s_or_b64 exec, exec, s[28:29]
.LBB1361_839:
	s_or_b64 exec, exec, s[44:45]
	s_and_saveexec_b64 s[44:45], s[14:15]
	s_cbranch_execz .LBB1361_848
; %bb.840:
	s_andn2_b64 vcc, exec, s[42:43]
	s_cbranch_vccnz .LBB1361_848
; %bb.841:
	v_mul_lo_u32 v22, v17, s36
	v_mul_lo_u32 v23, v16, s37
	v_mad_u64_u32 v[0:1], s[28:29], v16, s36, 0
	v_add3_u32 v1, v1, v23, v22
	v_mul_lo_u32 v25, v15, s36
	v_mul_lo_u32 v33, v14, s37
	v_mad_u64_u32 v[22:23], s[28:29], v14, s36, 0
	v_add3_u32 v23, v23, v33, v25
	v_lshl_add_u64 v[0:1], v[0:1], 1, s[38:39]
	v_lshl_add_u64 v[22:23], v[22:23], 1, s[38:39]
	s_mov_b64 s[48:49], 0
	s_mov_b64 s[58:59], s[36:37]
                                        ; implicit-def: $sgpr46_sgpr47
                                        ; implicit-def: $sgpr50_sgpr51
                                        ; implicit-def: $sgpr54_sgpr55
                                        ; implicit-def: $sgpr52_sgpr53
                                        ; implicit-def: $sgpr56_sgpr57
	s_branch .LBB1361_843
.LBB1361_842:                           ;   in Loop: Header=BB1361_843 Depth=1
	s_or_b64 exec, exec, s[60:61]
	s_and_b64 s[28:29], s[28:29], s[56:57]
	s_or_b64 s[28:29], vcc, s[28:29]
	s_and_b64 s[30:31], exec, s[54:55]
	s_or_b64 s[48:49], s[30:31], s[48:49]
	s_andn2_b64 s[30:31], s[56:57], exec
	s_and_b64 s[28:29], s[28:29], exec
	s_or_b64 s[56:57], s[30:31], s[28:29]
	s_andn2_b64 s[30:31], s[50:51], exec
	s_and_b64 s[50:51], s[52:53], exec
	s_or_b64 s[50:51], s[30:31], s[50:51]
	s_andn2_b64 s[30:31], s[46:47], exec
	s_or_b64 s[46:47], s[30:31], s[28:29]
	s_andn2_b64 exec, exec, s[48:49]
	s_cbranch_execz .LBB1361_845
.LBB1361_843:                           ; =>This Inner Loop Header: Depth=1
	global_load_ushort v25, v[0:1], off
	global_load_ushort v33, v[22:23], off
	s_or_b64 s[52:53], s[52:53], exec
	s_or_b64 s[54:55], s[54:55], exec
	s_waitcnt vmcnt(0)
	v_cmp_lt_u16_e32 vcc, v25, v33
	v_cmp_le_u16_e64 s[28:29], v25, v33
	v_cmp_eq_u16_e64 s[30:31], v25, v33
	s_and_saveexec_b64 s[60:61], s[30:31]
	s_cbranch_execz .LBB1361_842
; %bb.844:                              ;   in Loop: Header=BB1361_843 Depth=1
	s_add_u32 s58, s58, -1
	s_addc_u32 s59, s59, -1
	s_cmp_eq_u64 s[58:59], 0
	s_cselect_b64 s[30:31], -1, 0
	s_andn2_b64 s[54:55], s[54:55], exec
	s_and_b64 s[30:31], s[30:31], exec
	v_lshl_add_u64 v[0:1], v[0:1], 0, 2
	v_lshl_add_u64 v[22:23], v[22:23], 0, 2
	s_andn2_b64 s[52:53], s[52:53], exec
	s_or_b64 s[54:55], s[54:55], s[30:31]
	s_branch .LBB1361_842
.LBB1361_845:
	s_or_b64 exec, exec, s[48:49]
	s_and_saveexec_b64 s[28:29], s[50:51]
	s_xor_b64 s[28:29], exec, s[28:29]
; %bb.846:
	v_cndmask_b32_e64 v1, v17, v15, s[46:47]
	v_cndmask_b32_e64 v0, v16, v14, s[46:47]
	;; [unrolled: 1-line block ×4, first 2 shown]
	v_mov_b64_e32 v[16:17], v[0:1]
; %bb.847:
	s_or_b64 exec, exec, s[28:29]
.LBB1361_848:
	s_or_b64 exec, exec, s[44:45]
	s_and_saveexec_b64 s[44:45], s[16:17]
	s_cbranch_execz .LBB1361_857
; %bb.849:
	s_andn2_b64 vcc, exec, s[42:43]
	s_cbranch_vccnz .LBB1361_857
; %bb.850:
	v_mul_lo_u32 v22, v13, s36
	v_mul_lo_u32 v23, v12, s37
	v_mad_u64_u32 v[0:1], s[28:29], v12, s36, 0
	v_add3_u32 v1, v1, v23, v22
	v_mul_lo_u32 v25, v11, s36
	v_mul_lo_u32 v33, v10, s37
	v_mad_u64_u32 v[22:23], s[28:29], v10, s36, 0
	v_add3_u32 v23, v23, v33, v25
	v_lshl_add_u64 v[0:1], v[0:1], 1, s[38:39]
	v_lshl_add_u64 v[22:23], v[22:23], 1, s[38:39]
	s_mov_b64 s[48:49], 0
	s_mov_b64 s[58:59], s[36:37]
                                        ; implicit-def: $sgpr46_sgpr47
                                        ; implicit-def: $sgpr50_sgpr51
                                        ; implicit-def: $sgpr54_sgpr55
                                        ; implicit-def: $sgpr52_sgpr53
                                        ; implicit-def: $sgpr56_sgpr57
	s_branch .LBB1361_852
.LBB1361_851:                           ;   in Loop: Header=BB1361_852 Depth=1
	s_or_b64 exec, exec, s[60:61]
	s_and_b64 s[28:29], s[28:29], s[56:57]
	s_or_b64 s[28:29], vcc, s[28:29]
	s_and_b64 s[30:31], exec, s[54:55]
	s_or_b64 s[48:49], s[30:31], s[48:49]
	s_andn2_b64 s[30:31], s[56:57], exec
	s_and_b64 s[28:29], s[28:29], exec
	s_or_b64 s[56:57], s[30:31], s[28:29]
	s_andn2_b64 s[30:31], s[50:51], exec
	s_and_b64 s[50:51], s[52:53], exec
	s_or_b64 s[50:51], s[30:31], s[50:51]
	s_andn2_b64 s[30:31], s[46:47], exec
	s_or_b64 s[46:47], s[30:31], s[28:29]
	s_andn2_b64 exec, exec, s[48:49]
	s_cbranch_execz .LBB1361_854
.LBB1361_852:                           ; =>This Inner Loop Header: Depth=1
	global_load_ushort v25, v[0:1], off
	global_load_ushort v33, v[22:23], off
	s_or_b64 s[52:53], s[52:53], exec
	s_or_b64 s[54:55], s[54:55], exec
	s_waitcnt vmcnt(0)
	v_cmp_lt_u16_e32 vcc, v25, v33
	v_cmp_le_u16_e64 s[28:29], v25, v33
	v_cmp_eq_u16_e64 s[30:31], v25, v33
	s_and_saveexec_b64 s[60:61], s[30:31]
	s_cbranch_execz .LBB1361_851
; %bb.853:                              ;   in Loop: Header=BB1361_852 Depth=1
	s_add_u32 s58, s58, -1
	s_addc_u32 s59, s59, -1
	s_cmp_eq_u64 s[58:59], 0
	s_cselect_b64 s[30:31], -1, 0
	s_andn2_b64 s[54:55], s[54:55], exec
	s_and_b64 s[30:31], s[30:31], exec
	v_lshl_add_u64 v[0:1], v[0:1], 0, 2
	v_lshl_add_u64 v[22:23], v[22:23], 0, 2
	s_andn2_b64 s[52:53], s[52:53], exec
	s_or_b64 s[54:55], s[54:55], s[30:31]
	s_branch .LBB1361_851
.LBB1361_854:
	s_or_b64 exec, exec, s[48:49]
	s_and_saveexec_b64 s[28:29], s[50:51]
	s_xor_b64 s[28:29], exec, s[28:29]
; %bb.855:
	v_cndmask_b32_e64 v1, v11, v13, s[46:47]
	v_cndmask_b32_e64 v0, v10, v12, s[46:47]
	;; [unrolled: 1-line block ×4, first 2 shown]
	v_mov_b64_e32 v[10:11], v[0:1]
; %bb.856:
	s_or_b64 exec, exec, s[28:29]
.LBB1361_857:
	s_or_b64 exec, exec, s[44:45]
	s_and_saveexec_b64 s[44:45], s[18:19]
	s_cbranch_execz .LBB1361_866
; %bb.858:
	s_andn2_b64 vcc, exec, s[42:43]
	s_cbranch_vccnz .LBB1361_866
; %bb.859:
	v_mul_lo_u32 v22, v9, s36
	v_mul_lo_u32 v23, v8, s37
	v_mad_u64_u32 v[0:1], s[28:29], v8, s36, 0
	v_add3_u32 v1, v1, v23, v22
	v_mul_lo_u32 v25, v7, s36
	v_mul_lo_u32 v33, v6, s37
	v_mad_u64_u32 v[22:23], s[28:29], v6, s36, 0
	v_add3_u32 v23, v23, v33, v25
	v_lshl_add_u64 v[0:1], v[0:1], 1, s[38:39]
	v_lshl_add_u64 v[22:23], v[22:23], 1, s[38:39]
	s_mov_b64 s[48:49], 0
	s_mov_b64 s[58:59], s[36:37]
                                        ; implicit-def: $sgpr46_sgpr47
                                        ; implicit-def: $sgpr50_sgpr51
                                        ; implicit-def: $sgpr54_sgpr55
                                        ; implicit-def: $sgpr52_sgpr53
                                        ; implicit-def: $sgpr56_sgpr57
	s_branch .LBB1361_861
.LBB1361_860:                           ;   in Loop: Header=BB1361_861 Depth=1
	s_or_b64 exec, exec, s[60:61]
	s_and_b64 s[28:29], s[28:29], s[56:57]
	s_or_b64 s[28:29], vcc, s[28:29]
	s_and_b64 s[30:31], exec, s[54:55]
	s_or_b64 s[48:49], s[30:31], s[48:49]
	s_andn2_b64 s[30:31], s[56:57], exec
	s_and_b64 s[28:29], s[28:29], exec
	s_or_b64 s[56:57], s[30:31], s[28:29]
	s_andn2_b64 s[30:31], s[50:51], exec
	s_and_b64 s[50:51], s[52:53], exec
	s_or_b64 s[50:51], s[30:31], s[50:51]
	s_andn2_b64 s[30:31], s[46:47], exec
	s_or_b64 s[46:47], s[30:31], s[28:29]
	s_andn2_b64 exec, exec, s[48:49]
	s_cbranch_execz .LBB1361_863
.LBB1361_861:                           ; =>This Inner Loop Header: Depth=1
	global_load_ushort v25, v[0:1], off
	global_load_ushort v33, v[22:23], off
	s_or_b64 s[52:53], s[52:53], exec
	s_or_b64 s[54:55], s[54:55], exec
	s_waitcnt vmcnt(0)
	v_cmp_lt_u16_e32 vcc, v25, v33
	v_cmp_le_u16_e64 s[28:29], v25, v33
	v_cmp_eq_u16_e64 s[30:31], v25, v33
	s_and_saveexec_b64 s[60:61], s[30:31]
	s_cbranch_execz .LBB1361_860
; %bb.862:                              ;   in Loop: Header=BB1361_861 Depth=1
	s_add_u32 s58, s58, -1
	s_addc_u32 s59, s59, -1
	s_cmp_eq_u64 s[58:59], 0
	s_cselect_b64 s[30:31], -1, 0
	s_andn2_b64 s[54:55], s[54:55], exec
	s_and_b64 s[30:31], s[30:31], exec
	v_lshl_add_u64 v[0:1], v[0:1], 0, 2
	v_lshl_add_u64 v[22:23], v[22:23], 0, 2
	s_andn2_b64 s[52:53], s[52:53], exec
	s_or_b64 s[54:55], s[54:55], s[30:31]
	s_branch .LBB1361_860
.LBB1361_863:
	s_or_b64 exec, exec, s[48:49]
	s_and_saveexec_b64 s[28:29], s[50:51]
	s_xor_b64 s[28:29], exec, s[28:29]
; %bb.864:
	v_cndmask_b32_e64 v1, v7, v9, s[46:47]
	v_cndmask_b32_e64 v0, v6, v8, s[46:47]
	;; [unrolled: 1-line block ×4, first 2 shown]
	v_mov_b64_e32 v[6:7], v[0:1]
; %bb.865:
	s_or_b64 exec, exec, s[28:29]
.LBB1361_866:
	s_or_b64 exec, exec, s[44:45]
	s_and_saveexec_b64 s[44:45], s[20:21]
	s_cbranch_execz .LBB1361_875
; %bb.867:
	s_andn2_b64 vcc, exec, s[42:43]
	s_cbranch_vccnz .LBB1361_875
; %bb.868:
	v_mul_lo_u32 v22, v5, s36
	v_mul_lo_u32 v23, v4, s37
	v_mad_u64_u32 v[0:1], s[28:29], v4, s36, 0
	v_add3_u32 v1, v1, v23, v22
	v_mul_lo_u32 v25, v3, s36
	v_mul_lo_u32 v33, v2, s37
	v_mad_u64_u32 v[22:23], s[28:29], v2, s36, 0
	v_add3_u32 v23, v23, v33, v25
	v_lshl_add_u64 v[0:1], v[0:1], 1, s[38:39]
	v_lshl_add_u64 v[22:23], v[22:23], 1, s[38:39]
	s_mov_b64 s[48:49], 0
	s_mov_b64 s[58:59], s[36:37]
                                        ; implicit-def: $sgpr46_sgpr47
                                        ; implicit-def: $sgpr50_sgpr51
                                        ; implicit-def: $sgpr54_sgpr55
                                        ; implicit-def: $sgpr52_sgpr53
                                        ; implicit-def: $sgpr56_sgpr57
	s_branch .LBB1361_870
.LBB1361_869:                           ;   in Loop: Header=BB1361_870 Depth=1
	s_or_b64 exec, exec, s[60:61]
	s_and_b64 s[28:29], s[28:29], s[56:57]
	s_or_b64 s[28:29], vcc, s[28:29]
	s_and_b64 s[30:31], exec, s[54:55]
	s_or_b64 s[48:49], s[30:31], s[48:49]
	s_andn2_b64 s[30:31], s[56:57], exec
	s_and_b64 s[28:29], s[28:29], exec
	s_or_b64 s[56:57], s[30:31], s[28:29]
	s_andn2_b64 s[30:31], s[50:51], exec
	s_and_b64 s[50:51], s[52:53], exec
	s_or_b64 s[50:51], s[30:31], s[50:51]
	s_andn2_b64 s[30:31], s[46:47], exec
	s_or_b64 s[46:47], s[30:31], s[28:29]
	s_andn2_b64 exec, exec, s[48:49]
	s_cbranch_execz .LBB1361_872
.LBB1361_870:                           ; =>This Inner Loop Header: Depth=1
	global_load_ushort v25, v[0:1], off
	global_load_ushort v33, v[22:23], off
	s_or_b64 s[52:53], s[52:53], exec
	s_or_b64 s[54:55], s[54:55], exec
	s_waitcnt vmcnt(0)
	v_cmp_lt_u16_e32 vcc, v25, v33
	v_cmp_le_u16_e64 s[28:29], v25, v33
	v_cmp_eq_u16_e64 s[30:31], v25, v33
	s_and_saveexec_b64 s[60:61], s[30:31]
	s_cbranch_execz .LBB1361_869
; %bb.871:                              ;   in Loop: Header=BB1361_870 Depth=1
	s_add_u32 s58, s58, -1
	s_addc_u32 s59, s59, -1
	s_cmp_eq_u64 s[58:59], 0
	s_cselect_b64 s[30:31], -1, 0
	s_andn2_b64 s[54:55], s[54:55], exec
	s_and_b64 s[30:31], s[30:31], exec
	v_lshl_add_u64 v[0:1], v[0:1], 0, 2
	v_lshl_add_u64 v[22:23], v[22:23], 0, 2
	s_andn2_b64 s[52:53], s[52:53], exec
	s_or_b64 s[54:55], s[54:55], s[30:31]
	s_branch .LBB1361_869
.LBB1361_872:
	s_or_b64 exec, exec, s[48:49]
	s_and_saveexec_b64 s[28:29], s[50:51]
	s_xor_b64 s[28:29], exec, s[28:29]
; %bb.873:
	v_cndmask_b32_e64 v1, v3, v5, s[46:47]
	v_cndmask_b32_e64 v0, v2, v4, s[46:47]
	;; [unrolled: 1-line block ×4, first 2 shown]
	v_mov_b64_e32 v[2:3], v[0:1]
; %bb.874:
	s_or_b64 exec, exec, s[28:29]
.LBB1361_875:
	s_or_b64 exec, exec, s[44:45]
	s_and_saveexec_b64 s[44:45], s[22:23]
	s_cbranch_execz .LBB1361_884
; %bb.876:
	s_andn2_b64 vcc, exec, s[42:43]
	s_cbranch_vccnz .LBB1361_884
; %bb.877:
	v_mul_lo_u32 v22, v11, s36
	v_mul_lo_u32 v23, v10, s37
	v_mad_u64_u32 v[0:1], s[28:29], v10, s36, 0
	v_add3_u32 v1, v1, v23, v22
	v_mul_lo_u32 v25, v17, s36
	v_mul_lo_u32 v33, v16, s37
	v_mad_u64_u32 v[22:23], s[28:29], v16, s36, 0
	v_add3_u32 v23, v23, v33, v25
	v_lshl_add_u64 v[0:1], v[0:1], 1, s[38:39]
	v_lshl_add_u64 v[22:23], v[22:23], 1, s[38:39]
	s_mov_b64 s[48:49], 0
	s_mov_b64 s[58:59], s[36:37]
                                        ; implicit-def: $sgpr46_sgpr47
                                        ; implicit-def: $sgpr50_sgpr51
                                        ; implicit-def: $sgpr54_sgpr55
                                        ; implicit-def: $sgpr52_sgpr53
                                        ; implicit-def: $sgpr56_sgpr57
	s_branch .LBB1361_879
.LBB1361_878:                           ;   in Loop: Header=BB1361_879 Depth=1
	s_or_b64 exec, exec, s[60:61]
	s_and_b64 s[28:29], s[28:29], s[56:57]
	s_or_b64 s[28:29], vcc, s[28:29]
	s_and_b64 s[30:31], exec, s[54:55]
	s_or_b64 s[48:49], s[30:31], s[48:49]
	s_andn2_b64 s[30:31], s[56:57], exec
	s_and_b64 s[28:29], s[28:29], exec
	s_or_b64 s[56:57], s[30:31], s[28:29]
	s_andn2_b64 s[30:31], s[50:51], exec
	s_and_b64 s[50:51], s[52:53], exec
	s_or_b64 s[50:51], s[30:31], s[50:51]
	s_andn2_b64 s[30:31], s[46:47], exec
	s_or_b64 s[46:47], s[30:31], s[28:29]
	s_andn2_b64 exec, exec, s[48:49]
	s_cbranch_execz .LBB1361_881
.LBB1361_879:                           ; =>This Inner Loop Header: Depth=1
	global_load_ushort v25, v[0:1], off
	global_load_ushort v33, v[22:23], off
	s_or_b64 s[52:53], s[52:53], exec
	s_or_b64 s[54:55], s[54:55], exec
	s_waitcnt vmcnt(0)
	v_cmp_lt_u16_e32 vcc, v25, v33
	v_cmp_le_u16_e64 s[28:29], v25, v33
	v_cmp_eq_u16_e64 s[30:31], v25, v33
	s_and_saveexec_b64 s[60:61], s[30:31]
	s_cbranch_execz .LBB1361_878
; %bb.880:                              ;   in Loop: Header=BB1361_879 Depth=1
	s_add_u32 s58, s58, -1
	s_addc_u32 s59, s59, -1
	s_cmp_eq_u64 s[58:59], 0
	s_cselect_b64 s[30:31], -1, 0
	s_andn2_b64 s[54:55], s[54:55], exec
	s_and_b64 s[30:31], s[30:31], exec
	v_lshl_add_u64 v[0:1], v[0:1], 0, 2
	v_lshl_add_u64 v[22:23], v[22:23], 0, 2
	s_andn2_b64 s[52:53], s[52:53], exec
	s_or_b64 s[54:55], s[54:55], s[30:31]
	s_branch .LBB1361_878
.LBB1361_881:
	s_or_b64 exec, exec, s[48:49]
	s_and_saveexec_b64 s[28:29], s[50:51]
	s_xor_b64 s[28:29], exec, s[28:29]
; %bb.882:
	v_cndmask_b32_e64 v1, v17, v11, s[46:47]
	v_cndmask_b32_e64 v0, v16, v10, s[46:47]
	;; [unrolled: 1-line block ×4, first 2 shown]
	v_mov_b64_e32 v[16:17], v[0:1]
; %bb.883:
	s_or_b64 exec, exec, s[28:29]
.LBB1361_884:
	s_or_b64 exec, exec, s[44:45]
	s_and_saveexec_b64 s[44:45], s[24:25]
	s_cbranch_execz .LBB1361_893
; %bb.885:
	s_andn2_b64 vcc, exec, s[42:43]
	s_cbranch_vccnz .LBB1361_893
; %bb.886:
	v_mul_lo_u32 v22, v7, s36
	v_mul_lo_u32 v23, v6, s37
	v_mad_u64_u32 v[0:1], s[28:29], v6, s36, 0
	v_add3_u32 v1, v1, v23, v22
	v_mul_lo_u32 v25, v13, s36
	v_mul_lo_u32 v33, v12, s37
	v_mad_u64_u32 v[22:23], s[28:29], v12, s36, 0
	v_add3_u32 v23, v23, v33, v25
	v_lshl_add_u64 v[0:1], v[0:1], 1, s[38:39]
	v_lshl_add_u64 v[22:23], v[22:23], 1, s[38:39]
	s_mov_b64 s[48:49], 0
	s_mov_b64 s[58:59], s[36:37]
                                        ; implicit-def: $sgpr46_sgpr47
                                        ; implicit-def: $sgpr50_sgpr51
                                        ; implicit-def: $sgpr54_sgpr55
                                        ; implicit-def: $sgpr52_sgpr53
                                        ; implicit-def: $sgpr56_sgpr57
	s_branch .LBB1361_888
.LBB1361_887:                           ;   in Loop: Header=BB1361_888 Depth=1
	s_or_b64 exec, exec, s[60:61]
	s_and_b64 s[28:29], s[28:29], s[56:57]
	s_or_b64 s[28:29], vcc, s[28:29]
	s_and_b64 s[30:31], exec, s[54:55]
	s_or_b64 s[48:49], s[30:31], s[48:49]
	s_andn2_b64 s[30:31], s[56:57], exec
	s_and_b64 s[28:29], s[28:29], exec
	s_or_b64 s[56:57], s[30:31], s[28:29]
	s_andn2_b64 s[30:31], s[50:51], exec
	s_and_b64 s[50:51], s[52:53], exec
	s_or_b64 s[50:51], s[30:31], s[50:51]
	s_andn2_b64 s[30:31], s[46:47], exec
	s_or_b64 s[46:47], s[30:31], s[28:29]
	s_andn2_b64 exec, exec, s[48:49]
	s_cbranch_execz .LBB1361_890
.LBB1361_888:                           ; =>This Inner Loop Header: Depth=1
	global_load_ushort v25, v[0:1], off
	global_load_ushort v33, v[22:23], off
	s_or_b64 s[52:53], s[52:53], exec
	s_or_b64 s[54:55], s[54:55], exec
	s_waitcnt vmcnt(0)
	v_cmp_lt_u16_e32 vcc, v25, v33
	v_cmp_le_u16_e64 s[28:29], v25, v33
	v_cmp_eq_u16_e64 s[30:31], v25, v33
	s_and_saveexec_b64 s[60:61], s[30:31]
	s_cbranch_execz .LBB1361_887
; %bb.889:                              ;   in Loop: Header=BB1361_888 Depth=1
	s_add_u32 s58, s58, -1
	s_addc_u32 s59, s59, -1
	s_cmp_eq_u64 s[58:59], 0
	s_cselect_b64 s[30:31], -1, 0
	s_andn2_b64 s[54:55], s[54:55], exec
	s_and_b64 s[30:31], s[30:31], exec
	v_lshl_add_u64 v[0:1], v[0:1], 0, 2
	v_lshl_add_u64 v[22:23], v[22:23], 0, 2
	s_andn2_b64 s[52:53], s[52:53], exec
	s_or_b64 s[54:55], s[54:55], s[30:31]
	s_branch .LBB1361_887
.LBB1361_890:
	s_or_b64 exec, exec, s[48:49]
	s_and_saveexec_b64 s[28:29], s[50:51]
	s_xor_b64 s[28:29], exec, s[28:29]
; %bb.891:
	v_cndmask_b32_e64 v1, v13, v7, s[46:47]
	v_cndmask_b32_e64 v0, v12, v6, s[46:47]
	;; [unrolled: 1-line block ×4, first 2 shown]
	v_mov_b64_e32 v[12:13], v[0:1]
; %bb.892:
	s_or_b64 exec, exec, s[28:29]
.LBB1361_893:
	s_or_b64 exec, exec, s[44:45]
	s_and_saveexec_b64 s[44:45], s[26:27]
	s_cbranch_execz .LBB1361_902
; %bb.894:
	s_andn2_b64 vcc, exec, s[42:43]
	s_cbranch_vccnz .LBB1361_902
; %bb.895:
	v_mul_lo_u32 v22, v3, s36
	v_mul_lo_u32 v23, v2, s37
	v_mad_u64_u32 v[0:1], s[28:29], v2, s36, 0
	v_add3_u32 v1, v1, v23, v22
	v_mul_lo_u32 v25, v9, s36
	v_mul_lo_u32 v33, v8, s37
	v_mad_u64_u32 v[22:23], s[28:29], v8, s36, 0
	v_add3_u32 v23, v23, v33, v25
	v_lshl_add_u64 v[0:1], v[0:1], 1, s[38:39]
	v_lshl_add_u64 v[22:23], v[22:23], 1, s[38:39]
	s_mov_b64 s[48:49], 0
	s_mov_b64 s[58:59], s[36:37]
                                        ; implicit-def: $sgpr46_sgpr47
                                        ; implicit-def: $sgpr50_sgpr51
                                        ; implicit-def: $sgpr54_sgpr55
                                        ; implicit-def: $sgpr52_sgpr53
                                        ; implicit-def: $sgpr56_sgpr57
	s_branch .LBB1361_897
.LBB1361_896:                           ;   in Loop: Header=BB1361_897 Depth=1
	s_or_b64 exec, exec, s[60:61]
	s_and_b64 s[28:29], s[28:29], s[56:57]
	s_or_b64 s[28:29], vcc, s[28:29]
	s_and_b64 s[30:31], exec, s[54:55]
	s_or_b64 s[48:49], s[30:31], s[48:49]
	s_andn2_b64 s[30:31], s[56:57], exec
	s_and_b64 s[28:29], s[28:29], exec
	s_or_b64 s[56:57], s[30:31], s[28:29]
	s_andn2_b64 s[30:31], s[50:51], exec
	s_and_b64 s[50:51], s[52:53], exec
	s_or_b64 s[50:51], s[30:31], s[50:51]
	s_andn2_b64 s[30:31], s[46:47], exec
	s_or_b64 s[46:47], s[30:31], s[28:29]
	s_andn2_b64 exec, exec, s[48:49]
	s_cbranch_execz .LBB1361_899
.LBB1361_897:                           ; =>This Inner Loop Header: Depth=1
	global_load_ushort v25, v[0:1], off
	global_load_ushort v33, v[22:23], off
	s_or_b64 s[52:53], s[52:53], exec
	s_or_b64 s[54:55], s[54:55], exec
	s_waitcnt vmcnt(0)
	v_cmp_lt_u16_e32 vcc, v25, v33
	v_cmp_le_u16_e64 s[28:29], v25, v33
	v_cmp_eq_u16_e64 s[30:31], v25, v33
	s_and_saveexec_b64 s[60:61], s[30:31]
	s_cbranch_execz .LBB1361_896
; %bb.898:                              ;   in Loop: Header=BB1361_897 Depth=1
	s_add_u32 s58, s58, -1
	s_addc_u32 s59, s59, -1
	s_cmp_eq_u64 s[58:59], 0
	s_cselect_b64 s[30:31], -1, 0
	s_andn2_b64 s[54:55], s[54:55], exec
	s_and_b64 s[30:31], s[30:31], exec
	v_lshl_add_u64 v[0:1], v[0:1], 0, 2
	v_lshl_add_u64 v[22:23], v[22:23], 0, 2
	s_andn2_b64 s[52:53], s[52:53], exec
	s_or_b64 s[54:55], s[54:55], s[30:31]
	s_branch .LBB1361_896
.LBB1361_899:
	s_or_b64 exec, exec, s[48:49]
	s_and_saveexec_b64 s[28:29], s[50:51]
	s_xor_b64 s[28:29], exec, s[28:29]
; %bb.900:
	v_cndmask_b32_e64 v1, v9, v3, s[46:47]
	v_cndmask_b32_e64 v0, v8, v2, s[46:47]
	;; [unrolled: 1-line block ×4, first 2 shown]
	v_mov_b64_e32 v[8:9], v[0:1]
; %bb.901:
	s_or_b64 exec, exec, s[28:29]
.LBB1361_902:
	s_or_b64 exec, exec, s[44:45]
	s_and_saveexec_b64 s[30:31], s[14:15]
	s_cbranch_execz .LBB1361_911
; %bb.903:
	s_andn2_b64 vcc, exec, s[42:43]
	s_cbranch_vccnz .LBB1361_911
; %bb.904:
	v_mul_lo_u32 v22, v17, s36
	v_mul_lo_u32 v23, v16, s37
	v_mad_u64_u32 v[0:1], s[14:15], v16, s36, 0
	v_add3_u32 v1, v1, v23, v22
	v_mul_lo_u32 v25, v15, s36
	v_mul_lo_u32 v33, v14, s37
	v_mad_u64_u32 v[22:23], s[14:15], v14, s36, 0
	v_add3_u32 v23, v23, v33, v25
	v_lshl_add_u64 v[0:1], v[0:1], 1, s[38:39]
	v_lshl_add_u64 v[22:23], v[22:23], 1, s[38:39]
	s_mov_b64 s[46:47], 0
	s_mov_b64 s[56:57], s[36:37]
                                        ; implicit-def: $sgpr44_sgpr45
                                        ; implicit-def: $sgpr48_sgpr49
                                        ; implicit-def: $sgpr52_sgpr53
                                        ; implicit-def: $sgpr50_sgpr51
                                        ; implicit-def: $sgpr54_sgpr55
	s_branch .LBB1361_906
.LBB1361_905:                           ;   in Loop: Header=BB1361_906 Depth=1
	s_or_b64 exec, exec, s[58:59]
	s_and_b64 s[14:15], s[14:15], s[54:55]
	s_or_b64 s[14:15], vcc, s[14:15]
	s_and_b64 s[28:29], exec, s[52:53]
	s_or_b64 s[46:47], s[28:29], s[46:47]
	s_andn2_b64 s[28:29], s[54:55], exec
	s_and_b64 s[14:15], s[14:15], exec
	s_or_b64 s[54:55], s[28:29], s[14:15]
	s_andn2_b64 s[28:29], s[48:49], exec
	s_and_b64 s[48:49], s[50:51], exec
	s_or_b64 s[48:49], s[28:29], s[48:49]
	s_andn2_b64 s[28:29], s[44:45], exec
	s_or_b64 s[44:45], s[28:29], s[14:15]
	s_andn2_b64 exec, exec, s[46:47]
	s_cbranch_execz .LBB1361_908
.LBB1361_906:                           ; =>This Inner Loop Header: Depth=1
	global_load_ushort v25, v[0:1], off
	global_load_ushort v33, v[22:23], off
	s_or_b64 s[50:51], s[50:51], exec
	s_or_b64 s[52:53], s[52:53], exec
	s_waitcnt vmcnt(0)
	v_cmp_lt_u16_e32 vcc, v25, v33
	v_cmp_le_u16_e64 s[14:15], v25, v33
	v_cmp_eq_u16_e64 s[28:29], v25, v33
	s_and_saveexec_b64 s[58:59], s[28:29]
	s_cbranch_execz .LBB1361_905
; %bb.907:                              ;   in Loop: Header=BB1361_906 Depth=1
	s_add_u32 s56, s56, -1
	s_addc_u32 s57, s57, -1
	s_cmp_eq_u64 s[56:57], 0
	s_cselect_b64 s[28:29], -1, 0
	s_andn2_b64 s[52:53], s[52:53], exec
	s_and_b64 s[28:29], s[28:29], exec
	v_lshl_add_u64 v[0:1], v[0:1], 0, 2
	v_lshl_add_u64 v[22:23], v[22:23], 0, 2
	s_andn2_b64 s[50:51], s[50:51], exec
	s_or_b64 s[52:53], s[52:53], s[28:29]
	s_branch .LBB1361_905
.LBB1361_908:
	s_or_b64 exec, exec, s[46:47]
	s_and_saveexec_b64 s[14:15], s[48:49]
	s_xor_b64 s[14:15], exec, s[14:15]
; %bb.909:
	v_cndmask_b32_e64 v1, v17, v15, s[44:45]
	v_cndmask_b32_e64 v0, v16, v14, s[44:45]
	;; [unrolled: 1-line block ×4, first 2 shown]
	v_mov_b64_e32 v[16:17], v[0:1]
; %bb.910:
	s_or_b64 exec, exec, s[14:15]
.LBB1361_911:
	s_or_b64 exec, exec, s[30:31]
	s_and_saveexec_b64 s[28:29], s[16:17]
	s_cbranch_execz .LBB1361_920
; %bb.912:
	s_andn2_b64 vcc, exec, s[42:43]
	s_cbranch_vccnz .LBB1361_920
; %bb.913:
	v_mul_lo_u32 v22, v13, s36
	v_mul_lo_u32 v23, v12, s37
	v_mad_u64_u32 v[0:1], s[14:15], v12, s36, 0
	v_add3_u32 v1, v1, v23, v22
	v_mul_lo_u32 v25, v11, s36
	v_mul_lo_u32 v33, v10, s37
	v_mad_u64_u32 v[22:23], s[14:15], v10, s36, 0
	v_add3_u32 v23, v23, v33, v25
	v_lshl_add_u64 v[0:1], v[0:1], 1, s[38:39]
	v_lshl_add_u64 v[22:23], v[22:23], 1, s[38:39]
	s_mov_b64 s[44:45], 0
	s_mov_b64 s[54:55], s[36:37]
                                        ; implicit-def: $sgpr30_sgpr31
                                        ; implicit-def: $sgpr46_sgpr47
                                        ; implicit-def: $sgpr50_sgpr51
                                        ; implicit-def: $sgpr48_sgpr49
                                        ; implicit-def: $sgpr52_sgpr53
	s_branch .LBB1361_915
.LBB1361_914:                           ;   in Loop: Header=BB1361_915 Depth=1
	s_or_b64 exec, exec, s[56:57]
	s_and_b64 s[14:15], s[14:15], s[52:53]
	s_or_b64 s[14:15], vcc, s[14:15]
	s_and_b64 s[16:17], exec, s[50:51]
	s_or_b64 s[44:45], s[16:17], s[44:45]
	s_andn2_b64 s[16:17], s[52:53], exec
	s_and_b64 s[14:15], s[14:15], exec
	s_or_b64 s[52:53], s[16:17], s[14:15]
	s_andn2_b64 s[16:17], s[46:47], exec
	s_and_b64 s[46:47], s[48:49], exec
	s_or_b64 s[46:47], s[16:17], s[46:47]
	s_andn2_b64 s[16:17], s[30:31], exec
	s_or_b64 s[30:31], s[16:17], s[14:15]
	s_andn2_b64 exec, exec, s[44:45]
	s_cbranch_execz .LBB1361_917
.LBB1361_915:                           ; =>This Inner Loop Header: Depth=1
	global_load_ushort v25, v[0:1], off
	global_load_ushort v33, v[22:23], off
	s_or_b64 s[48:49], s[48:49], exec
	s_or_b64 s[50:51], s[50:51], exec
	s_waitcnt vmcnt(0)
	v_cmp_lt_u16_e32 vcc, v25, v33
	v_cmp_le_u16_e64 s[14:15], v25, v33
	v_cmp_eq_u16_e64 s[16:17], v25, v33
	s_and_saveexec_b64 s[56:57], s[16:17]
	s_cbranch_execz .LBB1361_914
; %bb.916:                              ;   in Loop: Header=BB1361_915 Depth=1
	s_add_u32 s54, s54, -1
	s_addc_u32 s55, s55, -1
	s_cmp_eq_u64 s[54:55], 0
	s_cselect_b64 s[16:17], -1, 0
	s_andn2_b64 s[50:51], s[50:51], exec
	s_and_b64 s[16:17], s[16:17], exec
	v_lshl_add_u64 v[0:1], v[0:1], 0, 2
	v_lshl_add_u64 v[22:23], v[22:23], 0, 2
	s_andn2_b64 s[48:49], s[48:49], exec
	s_or_b64 s[50:51], s[50:51], s[16:17]
	s_branch .LBB1361_914
.LBB1361_917:
	s_or_b64 exec, exec, s[44:45]
	s_and_saveexec_b64 s[14:15], s[46:47]
	s_xor_b64 s[14:15], exec, s[14:15]
; %bb.918:
	v_cndmask_b32_e64 v1, v11, v13, s[30:31]
	v_cndmask_b32_e64 v0, v10, v12, s[30:31]
	;; [unrolled: 1-line block ×4, first 2 shown]
	v_mov_b64_e32 v[10:11], v[0:1]
; %bb.919:
	s_or_b64 exec, exec, s[14:15]
.LBB1361_920:
	s_or_b64 exec, exec, s[28:29]
	s_and_saveexec_b64 s[28:29], s[18:19]
	s_cbranch_execz .LBB1361_929
; %bb.921:
	s_andn2_b64 vcc, exec, s[42:43]
	s_cbranch_vccnz .LBB1361_929
; %bb.922:
	v_mul_lo_u32 v22, v9, s36
	v_mul_lo_u32 v23, v8, s37
	v_mad_u64_u32 v[0:1], s[14:15], v8, s36, 0
	v_add3_u32 v1, v1, v23, v22
	v_mul_lo_u32 v25, v7, s36
	v_mul_lo_u32 v33, v6, s37
	v_mad_u64_u32 v[22:23], s[14:15], v6, s36, 0
	v_add3_u32 v23, v23, v33, v25
	v_lshl_add_u64 v[0:1], v[0:1], 1, s[38:39]
	v_lshl_add_u64 v[22:23], v[22:23], 1, s[38:39]
	s_mov_b64 s[30:31], 0
	s_mov_b64 s[52:53], s[36:37]
                                        ; implicit-def: $sgpr18_sgpr19
                                        ; implicit-def: $sgpr44_sgpr45
                                        ; implicit-def: $sgpr48_sgpr49
                                        ; implicit-def: $sgpr46_sgpr47
                                        ; implicit-def: $sgpr50_sgpr51
	s_branch .LBB1361_924
.LBB1361_923:                           ;   in Loop: Header=BB1361_924 Depth=1
	s_or_b64 exec, exec, s[54:55]
	s_and_b64 s[14:15], s[14:15], s[50:51]
	s_or_b64 s[14:15], vcc, s[14:15]
	s_and_b64 s[16:17], exec, s[48:49]
	s_or_b64 s[30:31], s[16:17], s[30:31]
	s_andn2_b64 s[16:17], s[50:51], exec
	s_and_b64 s[14:15], s[14:15], exec
	s_or_b64 s[50:51], s[16:17], s[14:15]
	s_andn2_b64 s[16:17], s[44:45], exec
	s_and_b64 s[44:45], s[46:47], exec
	s_or_b64 s[44:45], s[16:17], s[44:45]
	s_andn2_b64 s[16:17], s[18:19], exec
	s_or_b64 s[18:19], s[16:17], s[14:15]
	s_andn2_b64 exec, exec, s[30:31]
	s_cbranch_execz .LBB1361_926
.LBB1361_924:                           ; =>This Inner Loop Header: Depth=1
	global_load_ushort v25, v[0:1], off
	global_load_ushort v33, v[22:23], off
	s_or_b64 s[46:47], s[46:47], exec
	s_or_b64 s[48:49], s[48:49], exec
	s_waitcnt vmcnt(0)
	v_cmp_lt_u16_e32 vcc, v25, v33
	v_cmp_le_u16_e64 s[14:15], v25, v33
	v_cmp_eq_u16_e64 s[16:17], v25, v33
	s_and_saveexec_b64 s[54:55], s[16:17]
	s_cbranch_execz .LBB1361_923
; %bb.925:                              ;   in Loop: Header=BB1361_924 Depth=1
	s_add_u32 s52, s52, -1
	s_addc_u32 s53, s53, -1
	s_cmp_eq_u64 s[52:53], 0
	s_cselect_b64 s[16:17], -1, 0
	s_andn2_b64 s[48:49], s[48:49], exec
	s_and_b64 s[16:17], s[16:17], exec
	v_lshl_add_u64 v[0:1], v[0:1], 0, 2
	v_lshl_add_u64 v[22:23], v[22:23], 0, 2
	s_andn2_b64 s[46:47], s[46:47], exec
	s_or_b64 s[48:49], s[48:49], s[16:17]
	s_branch .LBB1361_923
.LBB1361_926:
	s_or_b64 exec, exec, s[30:31]
	s_and_saveexec_b64 s[14:15], s[44:45]
	s_xor_b64 s[14:15], exec, s[14:15]
; %bb.927:
	v_cndmask_b32_e64 v1, v7, v9, s[18:19]
	v_cndmask_b32_e64 v0, v6, v8, s[18:19]
	;; [unrolled: 1-line block ×4, first 2 shown]
	v_mov_b64_e32 v[6:7], v[0:1]
; %bb.928:
	s_or_b64 exec, exec, s[14:15]
.LBB1361_929:
	s_or_b64 exec, exec, s[28:29]
	s_and_saveexec_b64 s[18:19], s[20:21]
	s_cbranch_execz .LBB1361_938
; %bb.930:
	s_andn2_b64 vcc, exec, s[42:43]
	s_cbranch_vccnz .LBB1361_938
; %bb.931:
	v_mul_lo_u32 v22, v5, s36
	v_mul_lo_u32 v23, v4, s37
	v_mad_u64_u32 v[0:1], s[14:15], v4, s36, 0
	v_add3_u32 v1, v1, v23, v22
	v_mul_lo_u32 v25, v3, s36
	v_mul_lo_u32 v33, v2, s37
	v_mad_u64_u32 v[22:23], s[14:15], v2, s36, 0
	v_add3_u32 v23, v23, v33, v25
	v_lshl_add_u64 v[0:1], v[0:1], 1, s[38:39]
	v_lshl_add_u64 v[22:23], v[22:23], 1, s[38:39]
	s_mov_b64 s[28:29], 0
	s_mov_b64 s[50:51], s[36:37]
                                        ; implicit-def: $sgpr20_sgpr21
                                        ; implicit-def: $sgpr30_sgpr31
                                        ; implicit-def: $sgpr46_sgpr47
                                        ; implicit-def: $sgpr44_sgpr45
                                        ; implicit-def: $sgpr48_sgpr49
	s_branch .LBB1361_933
.LBB1361_932:                           ;   in Loop: Header=BB1361_933 Depth=1
	s_or_b64 exec, exec, s[52:53]
	s_and_b64 s[14:15], s[14:15], s[48:49]
	s_or_b64 s[14:15], vcc, s[14:15]
	s_and_b64 s[16:17], exec, s[46:47]
	s_or_b64 s[28:29], s[16:17], s[28:29]
	s_andn2_b64 s[16:17], s[48:49], exec
	s_and_b64 s[14:15], s[14:15], exec
	s_or_b64 s[48:49], s[16:17], s[14:15]
	s_andn2_b64 s[16:17], s[30:31], exec
	s_and_b64 s[30:31], s[44:45], exec
	s_or_b64 s[30:31], s[16:17], s[30:31]
	s_andn2_b64 s[16:17], s[20:21], exec
	s_or_b64 s[20:21], s[16:17], s[14:15]
	s_andn2_b64 exec, exec, s[28:29]
	s_cbranch_execz .LBB1361_935
.LBB1361_933:                           ; =>This Inner Loop Header: Depth=1
	global_load_ushort v25, v[0:1], off
	global_load_ushort v33, v[22:23], off
	s_or_b64 s[44:45], s[44:45], exec
	s_or_b64 s[46:47], s[46:47], exec
	s_waitcnt vmcnt(0)
	v_cmp_lt_u16_e32 vcc, v25, v33
	v_cmp_le_u16_e64 s[14:15], v25, v33
	v_cmp_eq_u16_e64 s[16:17], v25, v33
	s_and_saveexec_b64 s[52:53], s[16:17]
	s_cbranch_execz .LBB1361_932
; %bb.934:                              ;   in Loop: Header=BB1361_933 Depth=1
	s_add_u32 s50, s50, -1
	s_addc_u32 s51, s51, -1
	s_cmp_eq_u64 s[50:51], 0
	s_cselect_b64 s[16:17], -1, 0
	s_andn2_b64 s[46:47], s[46:47], exec
	s_and_b64 s[16:17], s[16:17], exec
	v_lshl_add_u64 v[0:1], v[0:1], 0, 2
	v_lshl_add_u64 v[22:23], v[22:23], 0, 2
	s_andn2_b64 s[44:45], s[44:45], exec
	s_or_b64 s[46:47], s[46:47], s[16:17]
	s_branch .LBB1361_932
.LBB1361_935:
	s_or_b64 exec, exec, s[28:29]
	s_and_saveexec_b64 s[14:15], s[30:31]
	s_xor_b64 s[14:15], exec, s[14:15]
; %bb.936:
	v_cndmask_b32_e64 v1, v3, v5, s[20:21]
	v_cndmask_b32_e64 v0, v2, v4, s[20:21]
	;; [unrolled: 1-line block ×4, first 2 shown]
	v_mov_b64_e32 v[2:3], v[0:1]
; %bb.937:
	s_or_b64 exec, exec, s[14:15]
.LBB1361_938:
	s_or_b64 exec, exec, s[18:19]
	s_and_saveexec_b64 s[18:19], s[22:23]
	s_cbranch_execz .LBB1361_947
; %bb.939:
	s_andn2_b64 vcc, exec, s[42:43]
	s_cbranch_vccnz .LBB1361_947
; %bb.940:
	v_mul_lo_u32 v22, v11, s36
	v_mul_lo_u32 v23, v10, s37
	v_mad_u64_u32 v[0:1], s[14:15], v10, s36, 0
	v_add3_u32 v1, v1, v23, v22
	v_mul_lo_u32 v25, v17, s36
	v_mul_lo_u32 v33, v16, s37
	v_mad_u64_u32 v[22:23], s[14:15], v16, s36, 0
	v_add3_u32 v23, v23, v33, v25
	v_lshl_add_u64 v[0:1], v[0:1], 1, s[38:39]
	v_lshl_add_u64 v[22:23], v[22:23], 1, s[38:39]
	s_mov_b64 s[22:23], 0
	s_mov_b64 s[48:49], s[36:37]
                                        ; implicit-def: $sgpr20_sgpr21
                                        ; implicit-def: $sgpr28_sgpr29
                                        ; implicit-def: $sgpr44_sgpr45
                                        ; implicit-def: $sgpr30_sgpr31
                                        ; implicit-def: $sgpr46_sgpr47
	s_branch .LBB1361_942
.LBB1361_941:                           ;   in Loop: Header=BB1361_942 Depth=1
	s_or_b64 exec, exec, s[50:51]
	s_and_b64 s[14:15], s[14:15], s[46:47]
	s_or_b64 s[14:15], vcc, s[14:15]
	s_and_b64 s[16:17], exec, s[44:45]
	s_or_b64 s[22:23], s[16:17], s[22:23]
	s_andn2_b64 s[16:17], s[46:47], exec
	s_and_b64 s[14:15], s[14:15], exec
	s_or_b64 s[46:47], s[16:17], s[14:15]
	s_andn2_b64 s[16:17], s[28:29], exec
	s_and_b64 s[28:29], s[30:31], exec
	s_or_b64 s[28:29], s[16:17], s[28:29]
	s_andn2_b64 s[16:17], s[20:21], exec
	s_or_b64 s[20:21], s[16:17], s[14:15]
	s_andn2_b64 exec, exec, s[22:23]
	s_cbranch_execz .LBB1361_944
.LBB1361_942:                           ; =>This Inner Loop Header: Depth=1
	global_load_ushort v25, v[0:1], off
	global_load_ushort v33, v[22:23], off
	s_or_b64 s[30:31], s[30:31], exec
	s_or_b64 s[44:45], s[44:45], exec
	s_waitcnt vmcnt(0)
	v_cmp_lt_u16_e32 vcc, v25, v33
	v_cmp_le_u16_e64 s[14:15], v25, v33
	v_cmp_eq_u16_e64 s[16:17], v25, v33
	s_and_saveexec_b64 s[50:51], s[16:17]
	s_cbranch_execz .LBB1361_941
; %bb.943:                              ;   in Loop: Header=BB1361_942 Depth=1
	s_add_u32 s48, s48, -1
	s_addc_u32 s49, s49, -1
	s_cmp_eq_u64 s[48:49], 0
	s_cselect_b64 s[16:17], -1, 0
	s_andn2_b64 s[44:45], s[44:45], exec
	s_and_b64 s[16:17], s[16:17], exec
	v_lshl_add_u64 v[0:1], v[0:1], 0, 2
	v_lshl_add_u64 v[22:23], v[22:23], 0, 2
	s_andn2_b64 s[30:31], s[30:31], exec
	s_or_b64 s[44:45], s[44:45], s[16:17]
	s_branch .LBB1361_941
.LBB1361_944:
	s_or_b64 exec, exec, s[22:23]
	s_and_saveexec_b64 s[14:15], s[28:29]
	s_xor_b64 s[14:15], exec, s[14:15]
; %bb.945:
	v_cndmask_b32_e64 v1, v17, v11, s[20:21]
	v_cndmask_b32_e64 v0, v16, v10, s[20:21]
	;; [unrolled: 1-line block ×4, first 2 shown]
	v_mov_b64_e32 v[16:17], v[0:1]
; %bb.946:
	s_or_b64 exec, exec, s[14:15]
.LBB1361_947:
	s_or_b64 exec, exec, s[18:19]
	s_and_saveexec_b64 s[18:19], s[24:25]
	s_cbranch_execz .LBB1361_956
; %bb.948:
	s_andn2_b64 vcc, exec, s[42:43]
	s_cbranch_vccnz .LBB1361_956
; %bb.949:
	v_mul_lo_u32 v22, v7, s36
	v_mul_lo_u32 v23, v6, s37
	v_mad_u64_u32 v[0:1], s[14:15], v6, s36, 0
	v_add3_u32 v1, v1, v23, v22
	v_mul_lo_u32 v25, v13, s36
	v_mul_lo_u32 v33, v12, s37
	v_mad_u64_u32 v[22:23], s[14:15], v12, s36, 0
	v_add3_u32 v23, v23, v33, v25
	v_lshl_add_u64 v[0:1], v[0:1], 1, s[38:39]
	v_lshl_add_u64 v[22:23], v[22:23], 1, s[38:39]
	s_mov_b64 s[22:23], 0
	s_mov_b64 s[46:47], s[36:37]
                                        ; implicit-def: $sgpr20_sgpr21
                                        ; implicit-def: $sgpr24_sgpr25
                                        ; implicit-def: $sgpr30_sgpr31
                                        ; implicit-def: $sgpr28_sgpr29
                                        ; implicit-def: $sgpr44_sgpr45
	s_branch .LBB1361_951
.LBB1361_950:                           ;   in Loop: Header=BB1361_951 Depth=1
	s_or_b64 exec, exec, s[48:49]
	s_and_b64 s[14:15], s[14:15], s[44:45]
	s_or_b64 s[14:15], vcc, s[14:15]
	s_and_b64 s[16:17], exec, s[30:31]
	s_or_b64 s[22:23], s[16:17], s[22:23]
	s_andn2_b64 s[16:17], s[44:45], exec
	s_and_b64 s[14:15], s[14:15], exec
	s_or_b64 s[44:45], s[16:17], s[14:15]
	s_andn2_b64 s[16:17], s[24:25], exec
	s_and_b64 s[24:25], s[28:29], exec
	s_or_b64 s[24:25], s[16:17], s[24:25]
	s_andn2_b64 s[16:17], s[20:21], exec
	s_or_b64 s[20:21], s[16:17], s[14:15]
	s_andn2_b64 exec, exec, s[22:23]
	s_cbranch_execz .LBB1361_953
.LBB1361_951:                           ; =>This Inner Loop Header: Depth=1
	global_load_ushort v25, v[0:1], off
	global_load_ushort v33, v[22:23], off
	s_or_b64 s[28:29], s[28:29], exec
	s_or_b64 s[30:31], s[30:31], exec
	s_waitcnt vmcnt(0)
	v_cmp_lt_u16_e32 vcc, v25, v33
	v_cmp_le_u16_e64 s[14:15], v25, v33
	v_cmp_eq_u16_e64 s[16:17], v25, v33
	s_and_saveexec_b64 s[48:49], s[16:17]
	s_cbranch_execz .LBB1361_950
; %bb.952:                              ;   in Loop: Header=BB1361_951 Depth=1
	s_add_u32 s46, s46, -1
	s_addc_u32 s47, s47, -1
	s_cmp_eq_u64 s[46:47], 0
	s_cselect_b64 s[16:17], -1, 0
	s_andn2_b64 s[30:31], s[30:31], exec
	s_and_b64 s[16:17], s[16:17], exec
	v_lshl_add_u64 v[0:1], v[0:1], 0, 2
	v_lshl_add_u64 v[22:23], v[22:23], 0, 2
	s_andn2_b64 s[28:29], s[28:29], exec
	s_or_b64 s[30:31], s[30:31], s[16:17]
	s_branch .LBB1361_950
.LBB1361_953:
	s_or_b64 exec, exec, s[22:23]
	s_and_saveexec_b64 s[14:15], s[24:25]
	s_xor_b64 s[14:15], exec, s[14:15]
; %bb.954:
	v_cndmask_b32_e64 v1, v13, v7, s[20:21]
	v_cndmask_b32_e64 v0, v12, v6, s[20:21]
	;; [unrolled: 1-line block ×4, first 2 shown]
	v_mov_b64_e32 v[12:13], v[0:1]
; %bb.955:
	s_or_b64 exec, exec, s[14:15]
.LBB1361_956:
	s_or_b64 exec, exec, s[18:19]
	s_and_saveexec_b64 s[18:19], s[26:27]
	s_cbranch_execz .LBB1361_965
; %bb.957:
	s_andn2_b64 vcc, exec, s[42:43]
	s_cbranch_vccnz .LBB1361_965
; %bb.958:
	v_mul_lo_u32 v22, v3, s36
	v_mul_lo_u32 v23, v2, s37
	v_mad_u64_u32 v[0:1], s[14:15], v2, s36, 0
	v_add3_u32 v1, v1, v23, v22
	v_mul_lo_u32 v25, v9, s36
	v_mul_lo_u32 v33, v8, s37
	v_mad_u64_u32 v[22:23], s[14:15], v8, s36, 0
	v_add3_u32 v23, v23, v33, v25
	v_lshl_add_u64 v[0:1], v[0:1], 1, s[38:39]
	v_lshl_add_u64 v[22:23], v[22:23], 1, s[38:39]
	s_mov_b64 s[22:23], 0
	s_mov_b64 s[44:45], s[36:37]
                                        ; implicit-def: $sgpr20_sgpr21
                                        ; implicit-def: $sgpr24_sgpr25
                                        ; implicit-def: $sgpr28_sgpr29
                                        ; implicit-def: $sgpr26_sgpr27
                                        ; implicit-def: $sgpr30_sgpr31
	s_branch .LBB1361_960
.LBB1361_959:                           ;   in Loop: Header=BB1361_960 Depth=1
	s_or_b64 exec, exec, s[46:47]
	s_and_b64 s[14:15], s[14:15], s[30:31]
	s_or_b64 s[14:15], vcc, s[14:15]
	s_and_b64 s[16:17], exec, s[28:29]
	s_or_b64 s[22:23], s[16:17], s[22:23]
	s_andn2_b64 s[16:17], s[30:31], exec
	s_and_b64 s[14:15], s[14:15], exec
	s_or_b64 s[30:31], s[16:17], s[14:15]
	s_andn2_b64 s[16:17], s[24:25], exec
	s_and_b64 s[24:25], s[26:27], exec
	s_or_b64 s[24:25], s[16:17], s[24:25]
	s_andn2_b64 s[16:17], s[20:21], exec
	s_or_b64 s[20:21], s[16:17], s[14:15]
	s_andn2_b64 exec, exec, s[22:23]
	s_cbranch_execz .LBB1361_962
.LBB1361_960:                           ; =>This Inner Loop Header: Depth=1
	global_load_ushort v25, v[0:1], off
	global_load_ushort v33, v[22:23], off
	s_or_b64 s[26:27], s[26:27], exec
	s_or_b64 s[28:29], s[28:29], exec
	s_waitcnt vmcnt(0)
	v_cmp_lt_u16_e32 vcc, v25, v33
	v_cmp_le_u16_e64 s[14:15], v25, v33
	v_cmp_eq_u16_e64 s[16:17], v25, v33
	s_and_saveexec_b64 s[46:47], s[16:17]
	s_cbranch_execz .LBB1361_959
; %bb.961:                              ;   in Loop: Header=BB1361_960 Depth=1
	s_add_u32 s44, s44, -1
	s_addc_u32 s45, s45, -1
	s_cmp_eq_u64 s[44:45], 0
	s_cselect_b64 s[16:17], -1, 0
	s_andn2_b64 s[28:29], s[28:29], exec
	s_and_b64 s[16:17], s[16:17], exec
	v_lshl_add_u64 v[0:1], v[0:1], 0, 2
	v_lshl_add_u64 v[22:23], v[22:23], 0, 2
	s_andn2_b64 s[26:27], s[26:27], exec
	s_or_b64 s[28:29], s[28:29], s[16:17]
	s_branch .LBB1361_959
.LBB1361_962:
	s_or_b64 exec, exec, s[22:23]
	s_and_saveexec_b64 s[14:15], s[24:25]
	s_xor_b64 s[14:15], exec, s[14:15]
; %bb.963:
	v_cndmask_b32_e64 v1, v9, v3, s[20:21]
	v_cndmask_b32_e64 v0, v8, v2, s[20:21]
	v_cndmask_b32_e64 v3, v3, v9, s[20:21]
	v_cndmask_b32_e64 v2, v2, v8, s[20:21]
	v_mov_b64_e32 v[8:9], v[0:1]
; %bb.964:
	s_or_b64 exec, exec, s[14:15]
.LBB1361_965:
	s_or_b64 exec, exec, s[18:19]
	v_mbcnt_lo_u32_b32 v0, -1, 0
	v_mbcnt_hi_u32_b32 v0, -1, v0
	v_and_b32_e32 v1, 0xfffffe00, v24
	v_lshlrev_b32_e32 v33, 3, v1
	v_lshlrev_b32_e32 v35, 3, v0
	v_sub_u32_e64 v34, s33, v1 clamp
	v_lshl_add_u32 v36, v0, 6, v33
	v_or_b32_e32 v0, 8, v35
	v_min_u32_e32 v24, v34, v0
	v_add_u32_e32 v0, 8, v24
	v_and_b32_e32 v39, 0x3f0, v35
	v_min_u32_e32 v25, v34, v0
	v_and_b32_e32 v0, 8, v35
	v_min_u32_e32 v40, v34, v0
	v_sub_u32_e32 v0, v24, v39
	v_sub_u32_e32 v1, v25, v24
	v_sub_u32_e64 v38, v40, v1 clamp
	v_min_u32_e32 v41, v40, v0
	v_lshl_add_u32 v37, v39, 3, v33
	v_cmp_lt_u32_e32 vcc, v38, v41
	ds_write_b128 v36, v[14:17]
	ds_write_b128 v36, v[10:13] offset:16
	ds_write_b128 v36, v[6:9] offset:32
	;; [unrolled: 1-line block ×3, first 2 shown]
	; wave barrier
	s_and_saveexec_b64 s[20:21], vcc
	s_cbranch_execz .LBB1361_975
; %bb.966:
	v_lshlrev_b32_e32 v0, 3, v24
	v_lshlrev_b32_e32 v1, 3, v40
	v_add3_u32 v42, v33, v0, v1
	v_cndmask_b32_e64 v0, 0, 1, s[42:43]
	s_lshl_b64 s[24:25], s[36:37], 1
	s_mov_b64 s[22:23], 0
	v_cmp_ne_u32_e64 s[14:15], 1, v0
	s_branch .LBB1361_969
.LBB1361_967:                           ;   in Loop: Header=BB1361_969 Depth=1
	s_or_b64 exec, exec, s[28:29]
.LBB1361_968:                           ;   in Loop: Header=BB1361_969 Depth=1
	v_add_u32_e32 v0, 1, v43
	v_cndmask_b32_e64 v41, v41, v43, s[26:27]
	v_cndmask_b32_e64 v38, v0, v38, s[26:27]
	v_cmp_ge_u32_e32 vcc, v38, v41
	s_or_b64 s[22:23], vcc, s[22:23]
	s_andn2_b64 exec, exec, s[22:23]
	s_cbranch_execz .LBB1361_974
.LBB1361_969:                           ; =>This Loop Header: Depth=1
                                        ;     Child Loop BB1361_972 Depth 2
	v_add_u32_e32 v0, v41, v38
	v_lshrrev_b32_e32 v43, 1, v0
	s_and_b64 vcc, exec, s[14:15]
	s_mov_b64 s[26:27], 0
	s_cbranch_vccnz .LBB1361_968
; %bb.970:                              ;   in Loop: Header=BB1361_969 Depth=1
	v_not_b32_e32 v0, v43
	v_lshl_add_u32 v0, v0, 3, v42
	ds_read_b64 v[0:1], v0
	v_lshl_add_u32 v44, v43, 3, v37
	ds_read_b64 v[44:45], v44
	v_mov_b64_e32 v[22:23], s[38:39]
	s_mov_b64 s[28:29], 0
	s_waitcnt lgkmcnt(1)
	v_mul_lo_u32 v46, s24, v1
	v_mul_lo_u32 v47, s25, v0
	v_mad_u64_u32 v[0:1], s[16:17], s24, v0, v[22:23]
	v_add3_u32 v1, v47, v1, v46
	s_waitcnt lgkmcnt(0)
	v_mul_lo_u32 v45, s24, v45
	v_mul_lo_u32 v46, s25, v44
	v_mad_u64_u32 v[22:23], s[16:17], s24, v44, v[22:23]
	v_add3_u32 v23, v46, v23, v45
	s_mov_b64 s[44:45], s[36:37]
                                        ; implicit-def: $sgpr26_sgpr27
                                        ; implicit-def: $sgpr30_sgpr31
                                        ; implicit-def: $sgpr16_sgpr17
                                        ; implicit-def: $sgpr46_sgpr47
	s_branch .LBB1361_972
.LBB1361_971:                           ;   in Loop: Header=BB1361_972 Depth=2
	s_or_b64 exec, exec, s[50:51]
	s_and_b64 s[18:19], exec, s[30:31]
	s_or_b64 s[28:29], s[18:19], s[28:29]
	s_andn2_b64 s[18:19], s[46:47], exec
	s_and_b64 s[46:47], s[48:49], exec
	s_or_b64 s[46:47], s[18:19], s[46:47]
	s_andn2_b64 s[18:19], s[26:27], exec
	s_and_b64 s[26:27], s[16:17], exec
	s_or_b64 s[26:27], s[18:19], s[26:27]
	s_andn2_b64 exec, exec, s[28:29]
	s_cbranch_execz .LBB1361_967
.LBB1361_972:                           ;   Parent Loop BB1361_969 Depth=1
                                        ; =>  This Inner Loop Header: Depth=2
	global_load_ushort v44, v[0:1], off
	global_load_ushort v45, v[22:23], off
	s_andn2_b64 s[50:51], s[16:17], exec
	s_or_b64 s[30:31], s[30:31], exec
	s_waitcnt vmcnt(0)
	v_cmp_le_u16_e64 s[16:17], v44, v45
	v_cmp_lt_u16_e32 vcc, v44, v45
	s_and_b64 s[16:17], s[16:17], s[46:47]
	s_or_b64 s[48:49], vcc, s[16:17]
	s_and_b64 s[16:17], s[48:49], exec
	v_cmp_eq_u16_e64 s[18:19], v44, v45
	s_or_b64 s[16:17], s[50:51], s[16:17]
	s_and_saveexec_b64 s[50:51], s[18:19]
	s_cbranch_execz .LBB1361_971
; %bb.973:                              ;   in Loop: Header=BB1361_972 Depth=2
	s_add_u32 s44, s44, -1
	s_addc_u32 s45, s45, -1
	s_cmp_eq_u64 s[44:45], 0
	s_cselect_b64 s[18:19], -1, 0
	s_andn2_b64 s[30:31], s[30:31], exec
	s_and_b64 s[18:19], s[18:19], exec
	v_lshl_add_u64 v[0:1], v[0:1], 0, 2
	v_lshl_add_u64 v[22:23], v[22:23], 0, 2
	s_andn2_b64 s[16:17], s[16:17], exec
	s_or_b64 s[30:31], s[30:31], s[18:19]
                                        ; implicit-def: $sgpr46_sgpr47
	s_branch .LBB1361_971
.LBB1361_974:
	s_or_b64 exec, exec, s[22:23]
.LBB1361_975:
	s_or_b64 exec, exec, s[20:21]
	v_add_u32_e32 v0, v24, v40
	v_add_u32_e32 v23, v38, v39
	v_sub_u32_e32 v39, v0, v38
	v_cmp_le_u32_e32 vcc, v23, v24
	v_cmp_le_u32_e64 s[14:15], v39, v25
	s_or_b64 s[14:15], vcc, s[14:15]
	s_and_saveexec_b64 s[18:19], s[14:15]
	s_cbranch_execz .LBB1361_1066
; %bb.976:
	v_cmp_ge_u32_e32 vcc, v23, v24
	v_cmp_lt_u32_e64 s[14:15], v23, v24
                                        ; implicit-def: $vgpr0_vgpr1
	s_and_saveexec_b64 s[16:17], s[14:15]
; %bb.977:
	v_lshl_add_u32 v0, v38, 3, v37
	ds_read_b64 v[0:1], v0
; %bb.978:
	s_or_b64 exec, exec, s[16:17]
	v_cmp_ge_u32_e64 s[20:21], v39, v25
	v_cmp_lt_u32_e64 s[14:15], v39, v25
                                        ; implicit-def: $vgpr2_vgpr3
	s_and_saveexec_b64 s[16:17], s[14:15]
; %bb.979:
	v_lshl_add_u32 v2, v39, 3, v33
	ds_read_b64 v[2:3], v2
; %bb.980:
	s_or_b64 exec, exec, s[16:17]
	s_nor_b64 s[14:15], vcc, s[20:21]
	s_and_saveexec_b64 s[22:23], s[14:15]
	s_cbranch_execz .LBB1361_989
; %bb.981:
	s_andn2_b64 vcc, exec, s[42:43]
	s_cbranch_vccnz .LBB1361_987
; %bb.982:
	s_waitcnt lgkmcnt(0)
	v_mul_lo_u32 v6, v3, s36
	v_mul_lo_u32 v7, v2, s37
	v_mad_u64_u32 v[4:5], s[14:15], v2, s36, 0
	v_add3_u32 v5, v5, v7, v6
	v_mul_lo_u32 v8, v1, s36
	v_mul_lo_u32 v9, v0, s37
	v_mad_u64_u32 v[6:7], s[14:15], v0, s36, 0
	v_add3_u32 v7, v7, v9, v8
	v_lshl_add_u64 v[4:5], v[4:5], 1, s[38:39]
	v_lshl_add_u64 v[6:7], v[6:7], 1, s[38:39]
	s_mov_b64 s[24:25], 0
	s_mov_b64 s[30:31], s[36:37]
                                        ; implicit-def: $sgpr26_sgpr27
                                        ; implicit-def: $sgpr28_sgpr29
                                        ; implicit-def: $sgpr14_sgpr15
                                        ; implicit-def: $sgpr44_sgpr45
	s_branch .LBB1361_984
.LBB1361_983:                           ;   in Loop: Header=BB1361_984 Depth=1
	s_or_b64 exec, exec, s[48:49]
	s_and_b64 s[16:17], exec, s[28:29]
	s_or_b64 s[24:25], s[16:17], s[24:25]
	s_andn2_b64 s[16:17], s[44:45], exec
	s_and_b64 s[44:45], s[46:47], exec
	s_or_b64 s[44:45], s[16:17], s[44:45]
	s_andn2_b64 s[16:17], s[26:27], exec
	s_and_b64 s[26:27], s[14:15], exec
	s_or_b64 s[26:27], s[16:17], s[26:27]
	s_andn2_b64 exec, exec, s[24:25]
	s_cbranch_execz .LBB1361_986
.LBB1361_984:                           ; =>This Inner Loop Header: Depth=1
	global_load_ushort v8, v[4:5], off
	global_load_ushort v9, v[6:7], off
	s_andn2_b64 s[48:49], s[14:15], exec
	s_or_b64 s[28:29], s[28:29], exec
	s_waitcnt vmcnt(0)
	v_cmp_le_u16_e64 s[14:15], v8, v9
	v_cmp_lt_u16_e32 vcc, v8, v9
	s_and_b64 s[14:15], s[14:15], s[44:45]
	s_or_b64 s[46:47], vcc, s[14:15]
	s_and_b64 s[14:15], s[46:47], exec
	v_cmp_eq_u16_e64 s[16:17], v8, v9
	s_or_b64 s[14:15], s[48:49], s[14:15]
	s_and_saveexec_b64 s[48:49], s[16:17]
	s_cbranch_execz .LBB1361_983
; %bb.985:                              ;   in Loop: Header=BB1361_984 Depth=1
	s_add_u32 s30, s30, -1
	s_addc_u32 s31, s31, -1
	s_cmp_eq_u64 s[30:31], 0
	s_cselect_b64 s[16:17], -1, 0
	s_andn2_b64 s[28:29], s[28:29], exec
	s_and_b64 s[16:17], s[16:17], exec
	v_lshl_add_u64 v[4:5], v[4:5], 0, 2
	v_lshl_add_u64 v[6:7], v[6:7], 0, 2
	s_andn2_b64 s[14:15], s[14:15], exec
	s_or_b64 s[28:29], s[28:29], s[16:17]
                                        ; implicit-def: $sgpr44_sgpr45
	s_branch .LBB1361_983
.LBB1361_986:
	s_or_b64 exec, exec, s[24:25]
	s_xor_b64 s[14:15], s[26:27], -1
	s_branch .LBB1361_988
.LBB1361_987:
	s_mov_b64 s[14:15], -1
.LBB1361_988:
	s_andn2_b64 s[16:17], s[20:21], exec
	s_and_b64 s[14:15], s[14:15], exec
	s_or_b64 s[20:21], s[16:17], s[14:15]
.LBB1361_989:
	s_or_b64 exec, exec, s[22:23]
	v_cndmask_b32_e64 v4, v39, v23, s[20:21]
	v_cndmask_b32_e64 v5, v25, v24, s[20:21]
	v_add_u32_e32 v6, 1, v4
	v_add_u32_e32 v4, -1, v5
	v_min_u32_e32 v4, v6, v4
	v_lshl_add_u32 v4, v4, 3, v33
	ds_read_b64 v[4:5], v4
	v_cndmask_b32_e64 v8, v6, v39, s[20:21]
	v_cndmask_b32_e64 v9, v23, v6, s[20:21]
	v_cmp_lt_u32_e32 vcc, v8, v25
	s_mov_b64 s[24:25], -1
	s_waitcnt lgkmcnt(0)
	v_cndmask_b32_e64 v14, v5, v3, s[20:21]
	v_cndmask_b32_e64 v15, v4, v2, s[20:21]
	;; [unrolled: 1-line block ×4, first 2 shown]
	s_mov_b64 s[22:23], -1
	s_and_saveexec_b64 s[26:27], vcc
	s_cbranch_execz .LBB1361_1000
; %bb.990:
	v_cmp_lt_u32_e32 vcc, v9, v24
	s_mov_b64 s[14:15], 0
	s_and_saveexec_b64 s[22:23], vcc
	s_cbranch_execz .LBB1361_999
; %bb.991:
	s_andn2_b64 vcc, exec, s[42:43]
	s_cbranch_vccnz .LBB1361_997
; %bb.992:
	v_mul_lo_u32 v6, v14, s36
	v_mul_lo_u32 v7, v15, s37
	v_mad_u64_u32 v[4:5], s[14:15], v15, s36, 0
	v_add3_u32 v5, v5, v7, v6
	v_mul_lo_u32 v10, v16, s36
	v_mul_lo_u32 v11, v22, s37
	v_mad_u64_u32 v[6:7], s[14:15], v22, s36, 0
	v_add3_u32 v7, v7, v11, v10
	v_lshl_add_u64 v[4:5], v[4:5], 1, s[38:39]
	v_lshl_add_u64 v[6:7], v[6:7], 1, s[38:39]
	s_mov_b64 s[28:29], 0
	s_mov_b64 s[46:47], s[36:37]
                                        ; implicit-def: $sgpr30_sgpr31
                                        ; implicit-def: $sgpr44_sgpr45
                                        ; implicit-def: $sgpr14_sgpr15
                                        ; implicit-def: $sgpr48_sgpr49
	s_branch .LBB1361_994
.LBB1361_993:                           ;   in Loop: Header=BB1361_994 Depth=1
	s_or_b64 exec, exec, s[52:53]
	s_and_b64 s[16:17], exec, s[44:45]
	s_or_b64 s[28:29], s[16:17], s[28:29]
	s_andn2_b64 s[16:17], s[48:49], exec
	s_and_b64 s[48:49], s[50:51], exec
	s_or_b64 s[48:49], s[16:17], s[48:49]
	s_andn2_b64 s[16:17], s[30:31], exec
	s_and_b64 s[30:31], s[14:15], exec
	s_or_b64 s[30:31], s[16:17], s[30:31]
	s_andn2_b64 exec, exec, s[28:29]
	s_cbranch_execz .LBB1361_996
.LBB1361_994:                           ; =>This Inner Loop Header: Depth=1
	global_load_ushort v10, v[4:5], off
	global_load_ushort v11, v[6:7], off
	s_andn2_b64 s[52:53], s[14:15], exec
	s_or_b64 s[44:45], s[44:45], exec
	s_waitcnt vmcnt(0)
	v_cmp_le_u16_e64 s[14:15], v10, v11
	v_cmp_lt_u16_e32 vcc, v10, v11
	s_and_b64 s[14:15], s[14:15], s[48:49]
	s_or_b64 s[50:51], vcc, s[14:15]
	s_and_b64 s[14:15], s[50:51], exec
	v_cmp_eq_u16_e64 s[16:17], v10, v11
	s_or_b64 s[14:15], s[52:53], s[14:15]
	s_and_saveexec_b64 s[52:53], s[16:17]
	s_cbranch_execz .LBB1361_993
; %bb.995:                              ;   in Loop: Header=BB1361_994 Depth=1
	s_add_u32 s46, s46, -1
	s_addc_u32 s47, s47, -1
	s_cmp_eq_u64 s[46:47], 0
	s_cselect_b64 s[16:17], -1, 0
	s_andn2_b64 s[44:45], s[44:45], exec
	s_and_b64 s[16:17], s[16:17], exec
	v_lshl_add_u64 v[4:5], v[4:5], 0, 2
	v_lshl_add_u64 v[6:7], v[6:7], 0, 2
	s_andn2_b64 s[14:15], s[14:15], exec
	s_or_b64 s[44:45], s[44:45], s[16:17]
                                        ; implicit-def: $sgpr48_sgpr49
	s_branch .LBB1361_993
.LBB1361_996:
	s_or_b64 exec, exec, s[28:29]
	s_xor_b64 s[14:15], s[30:31], -1
	s_branch .LBB1361_998
.LBB1361_997:
	s_mov_b64 s[14:15], -1
.LBB1361_998:
	s_and_b64 s[14:15], s[14:15], exec
.LBB1361_999:
	s_or_b64 exec, exec, s[22:23]
	s_orn2_b64 s[22:23], s[14:15], exec
.LBB1361_1000:
	s_or_b64 exec, exec, s[26:27]
	v_cndmask_b32_e64 v4, v8, v9, s[22:23]
	v_cndmask_b32_e64 v5, v25, v24, s[22:23]
	v_add_u32_e32 v6, 1, v4
	v_add_u32_e32 v4, -1, v5
	v_min_u32_e32 v4, v6, v4
	v_lshl_add_u32 v4, v4, 3, v33
	ds_read_b64 v[4:5], v4
	v_cndmask_b32_e64 v8, v6, v8, s[22:23]
	v_cndmask_b32_e64 v9, v9, v6, s[22:23]
	v_cmp_lt_u32_e32 vcc, v8, v25
	s_waitcnt lgkmcnt(0)
	v_cndmask_b32_e64 v10, v5, v14, s[22:23]
	v_cndmask_b32_e64 v17, v4, v15, s[22:23]
	;; [unrolled: 1-line block ×4, first 2 shown]
	s_and_saveexec_b64 s[26:27], vcc
	s_cbranch_execz .LBB1361_1011
; %bb.1001:
	v_cmp_lt_u32_e32 vcc, v9, v24
	s_mov_b64 s[14:15], 0
	s_and_saveexec_b64 s[24:25], vcc
	s_cbranch_execz .LBB1361_1010
; %bb.1002:
	s_andn2_b64 vcc, exec, s[42:43]
	s_cbranch_vccnz .LBB1361_1008
; %bb.1003:
	v_mul_lo_u32 v6, v10, s36
	v_mul_lo_u32 v7, v17, s37
	v_mad_u64_u32 v[4:5], s[14:15], v17, s36, 0
	v_add3_u32 v5, v5, v7, v6
	v_mul_lo_u32 v12, v11, s36
	v_mul_lo_u32 v13, v23, s37
	v_mad_u64_u32 v[6:7], s[14:15], v23, s36, 0
	v_add3_u32 v7, v7, v13, v12
	v_lshl_add_u64 v[4:5], v[4:5], 1, s[38:39]
	v_lshl_add_u64 v[6:7], v[6:7], 1, s[38:39]
	s_mov_b64 s[28:29], 0
	s_mov_b64 s[46:47], s[36:37]
                                        ; implicit-def: $sgpr30_sgpr31
                                        ; implicit-def: $sgpr44_sgpr45
                                        ; implicit-def: $sgpr14_sgpr15
                                        ; implicit-def: $sgpr48_sgpr49
	s_branch .LBB1361_1005
.LBB1361_1004:                          ;   in Loop: Header=BB1361_1005 Depth=1
	s_or_b64 exec, exec, s[52:53]
	s_and_b64 s[16:17], exec, s[44:45]
	s_or_b64 s[28:29], s[16:17], s[28:29]
	s_andn2_b64 s[16:17], s[48:49], exec
	s_and_b64 s[48:49], s[50:51], exec
	s_or_b64 s[48:49], s[16:17], s[48:49]
	s_andn2_b64 s[16:17], s[30:31], exec
	s_and_b64 s[30:31], s[14:15], exec
	s_or_b64 s[30:31], s[16:17], s[30:31]
	s_andn2_b64 exec, exec, s[28:29]
	s_cbranch_execz .LBB1361_1007
.LBB1361_1005:                          ; =>This Inner Loop Header: Depth=1
	global_load_ushort v12, v[4:5], off
	global_load_ushort v13, v[6:7], off
	s_andn2_b64 s[52:53], s[14:15], exec
	s_or_b64 s[44:45], s[44:45], exec
	s_waitcnt vmcnt(0)
	v_cmp_le_u16_e64 s[14:15], v12, v13
	v_cmp_lt_u16_e32 vcc, v12, v13
	s_and_b64 s[14:15], s[14:15], s[48:49]
	s_or_b64 s[50:51], vcc, s[14:15]
	s_and_b64 s[14:15], s[50:51], exec
	v_cmp_eq_u16_e64 s[16:17], v12, v13
	s_or_b64 s[14:15], s[52:53], s[14:15]
	s_and_saveexec_b64 s[52:53], s[16:17]
	s_cbranch_execz .LBB1361_1004
; %bb.1006:                             ;   in Loop: Header=BB1361_1005 Depth=1
	s_add_u32 s46, s46, -1
	s_addc_u32 s47, s47, -1
	s_cmp_eq_u64 s[46:47], 0
	s_cselect_b64 s[16:17], -1, 0
	s_andn2_b64 s[44:45], s[44:45], exec
	s_and_b64 s[16:17], s[16:17], exec
	v_lshl_add_u64 v[4:5], v[4:5], 0, 2
	v_lshl_add_u64 v[6:7], v[6:7], 0, 2
	s_andn2_b64 s[14:15], s[14:15], exec
	s_or_b64 s[44:45], s[44:45], s[16:17]
                                        ; implicit-def: $sgpr48_sgpr49
	s_branch .LBB1361_1004
.LBB1361_1007:
	s_or_b64 exec, exec, s[28:29]
	s_xor_b64 s[14:15], s[30:31], -1
	s_branch .LBB1361_1009
.LBB1361_1008:
	s_mov_b64 s[14:15], -1
.LBB1361_1009:
	s_and_b64 s[14:15], s[14:15], exec
.LBB1361_1010:
	s_or_b64 exec, exec, s[24:25]
	s_orn2_b64 s[24:25], s[14:15], exec
.LBB1361_1011:
	s_or_b64 exec, exec, s[26:27]
	v_cndmask_b32_e64 v4, v8, v9, s[24:25]
	v_cndmask_b32_e64 v5, v25, v24, s[24:25]
	v_add_u32_e32 v6, 1, v4
	v_add_u32_e32 v4, -1, v5
	v_min_u32_e32 v4, v6, v4
	v_lshl_add_u32 v4, v4, 3, v33
	ds_read_b64 v[4:5], v4
	v_cndmask_b32_e64 v8, v6, v8, s[24:25]
	v_cndmask_b32_e64 v9, v9, v6, s[24:25]
	v_cmp_lt_u32_e32 vcc, v8, v25
	s_mov_b64 s[28:29], -1
	s_waitcnt lgkmcnt(0)
	v_cndmask_b32_e64 v12, v5, v10, s[24:25]
	v_cndmask_b32_e64 v37, v4, v17, s[24:25]
	;; [unrolled: 1-line block ×4, first 2 shown]
	s_mov_b64 s[26:27], -1
	s_and_saveexec_b64 s[30:31], vcc
	s_cbranch_execz .LBB1361_1022
; %bb.1012:
	v_cmp_lt_u32_e32 vcc, v9, v24
	s_mov_b64 s[14:15], 0
	s_and_saveexec_b64 s[26:27], vcc
	s_cbranch_execz .LBB1361_1021
; %bb.1013:
	s_andn2_b64 vcc, exec, s[42:43]
	s_cbranch_vccnz .LBB1361_1019
; %bb.1014:
	v_mul_lo_u32 v6, v12, s36
	v_mul_lo_u32 v7, v37, s37
	v_mad_u64_u32 v[4:5], s[14:15], v37, s36, 0
	v_add3_u32 v5, v5, v7, v6
	v_mul_lo_u32 v39, v13, s36
	v_mul_lo_u32 v40, v38, s37
	v_mad_u64_u32 v[6:7], s[14:15], v38, s36, 0
	v_add3_u32 v7, v7, v40, v39
	v_lshl_add_u64 v[4:5], v[4:5], 1, s[38:39]
	v_lshl_add_u64 v[6:7], v[6:7], 1, s[38:39]
	s_mov_b64 s[44:45], 0
	s_mov_b64 s[50:51], s[36:37]
                                        ; implicit-def: $sgpr46_sgpr47
                                        ; implicit-def: $sgpr48_sgpr49
                                        ; implicit-def: $sgpr14_sgpr15
                                        ; implicit-def: $sgpr52_sgpr53
	s_branch .LBB1361_1016
.LBB1361_1015:                          ;   in Loop: Header=BB1361_1016 Depth=1
	s_or_b64 exec, exec, s[56:57]
	s_and_b64 s[16:17], exec, s[48:49]
	s_or_b64 s[44:45], s[16:17], s[44:45]
	s_andn2_b64 s[16:17], s[52:53], exec
	s_and_b64 s[52:53], s[54:55], exec
	s_or_b64 s[52:53], s[16:17], s[52:53]
	s_andn2_b64 s[16:17], s[46:47], exec
	s_and_b64 s[46:47], s[14:15], exec
	s_or_b64 s[46:47], s[16:17], s[46:47]
	s_andn2_b64 exec, exec, s[44:45]
	s_cbranch_execz .LBB1361_1018
.LBB1361_1016:                          ; =>This Inner Loop Header: Depth=1
	global_load_ushort v39, v[4:5], off
	global_load_ushort v40, v[6:7], off
	s_andn2_b64 s[56:57], s[14:15], exec
	s_or_b64 s[48:49], s[48:49], exec
	s_waitcnt vmcnt(0)
	v_cmp_le_u16_e64 s[14:15], v39, v40
	v_cmp_lt_u16_e32 vcc, v39, v40
	s_and_b64 s[14:15], s[14:15], s[52:53]
	s_or_b64 s[54:55], vcc, s[14:15]
	s_and_b64 s[14:15], s[54:55], exec
	v_cmp_eq_u16_e64 s[16:17], v39, v40
	s_or_b64 s[14:15], s[56:57], s[14:15]
	s_and_saveexec_b64 s[56:57], s[16:17]
	s_cbranch_execz .LBB1361_1015
; %bb.1017:                             ;   in Loop: Header=BB1361_1016 Depth=1
	s_add_u32 s50, s50, -1
	s_addc_u32 s51, s51, -1
	s_cmp_eq_u64 s[50:51], 0
	s_cselect_b64 s[16:17], -1, 0
	s_andn2_b64 s[48:49], s[48:49], exec
	s_and_b64 s[16:17], s[16:17], exec
	v_lshl_add_u64 v[4:5], v[4:5], 0, 2
	v_lshl_add_u64 v[6:7], v[6:7], 0, 2
	s_andn2_b64 s[14:15], s[14:15], exec
	s_or_b64 s[48:49], s[48:49], s[16:17]
                                        ; implicit-def: $sgpr52_sgpr53
	s_branch .LBB1361_1015
.LBB1361_1018:
	s_or_b64 exec, exec, s[44:45]
	s_xor_b64 s[14:15], s[46:47], -1
	s_branch .LBB1361_1020
.LBB1361_1019:
	s_mov_b64 s[14:15], -1
.LBB1361_1020:
	s_and_b64 s[14:15], s[14:15], exec
.LBB1361_1021:
	s_or_b64 exec, exec, s[26:27]
	s_orn2_b64 s[26:27], s[14:15], exec
.LBB1361_1022:
	s_or_b64 exec, exec, s[30:31]
	v_cndmask_b32_e64 v4, v8, v9, s[26:27]
	v_cndmask_b32_e64 v5, v25, v24, s[26:27]
	v_add_u32_e32 v6, 1, v4
	v_add_u32_e32 v4, -1, v5
	v_min_u32_e32 v4, v6, v4
	v_lshl_add_u32 v4, v4, 3, v33
	ds_read_b64 v[4:5], v4
	v_cndmask_b32_e64 v45, v6, v8, s[26:27]
	v_cndmask_b32_e64 v46, v9, v6, s[26:27]
	v_cmp_lt_u32_e32 vcc, v45, v25
	s_waitcnt lgkmcnt(0)
	v_cndmask_b32_e64 v39, v5, v12, s[26:27]
	v_cndmask_b32_e64 v40, v4, v37, s[26:27]
	;; [unrolled: 1-line block ×4, first 2 shown]
	s_and_saveexec_b64 s[30:31], vcc
	s_cbranch_execz .LBB1361_1033
; %bb.1023:
	v_cmp_lt_u32_e32 vcc, v46, v24
	s_mov_b64 s[14:15], 0
	s_and_saveexec_b64 s[28:29], vcc
	s_cbranch_execz .LBB1361_1032
; %bb.1024:
	s_andn2_b64 vcc, exec, s[42:43]
	s_cbranch_vccnz .LBB1361_1030
; %bb.1025:
	v_mul_lo_u32 v6, v39, s36
	v_mul_lo_u32 v7, v40, s37
	v_mad_u64_u32 v[4:5], s[14:15], v40, s36, 0
	v_add3_u32 v5, v5, v7, v6
	v_mul_lo_u32 v8, v41, s36
	v_mul_lo_u32 v9, v42, s37
	v_mad_u64_u32 v[6:7], s[14:15], v42, s36, 0
	v_add3_u32 v7, v7, v9, v8
	v_lshl_add_u64 v[4:5], v[4:5], 1, s[38:39]
	v_lshl_add_u64 v[6:7], v[6:7], 1, s[38:39]
	s_mov_b64 s[44:45], 0
	s_mov_b64 s[50:51], s[36:37]
                                        ; implicit-def: $sgpr46_sgpr47
                                        ; implicit-def: $sgpr48_sgpr49
                                        ; implicit-def: $sgpr14_sgpr15
                                        ; implicit-def: $sgpr52_sgpr53
	s_branch .LBB1361_1027
.LBB1361_1026:                          ;   in Loop: Header=BB1361_1027 Depth=1
	s_or_b64 exec, exec, s[56:57]
	s_and_b64 s[16:17], exec, s[48:49]
	s_or_b64 s[44:45], s[16:17], s[44:45]
	s_andn2_b64 s[16:17], s[52:53], exec
	s_and_b64 s[52:53], s[54:55], exec
	s_or_b64 s[52:53], s[16:17], s[52:53]
	s_andn2_b64 s[16:17], s[46:47], exec
	s_and_b64 s[46:47], s[14:15], exec
	s_or_b64 s[46:47], s[16:17], s[46:47]
	s_andn2_b64 exec, exec, s[44:45]
	s_cbranch_execz .LBB1361_1029
.LBB1361_1027:                          ; =>This Inner Loop Header: Depth=1
	global_load_ushort v8, v[4:5], off
	global_load_ushort v9, v[6:7], off
	s_andn2_b64 s[56:57], s[14:15], exec
	s_or_b64 s[48:49], s[48:49], exec
	s_waitcnt vmcnt(0)
	v_cmp_le_u16_e64 s[14:15], v8, v9
	v_cmp_lt_u16_e32 vcc, v8, v9
	s_and_b64 s[14:15], s[14:15], s[52:53]
	s_or_b64 s[54:55], vcc, s[14:15]
	s_and_b64 s[14:15], s[54:55], exec
	v_cmp_eq_u16_e64 s[16:17], v8, v9
	s_or_b64 s[14:15], s[56:57], s[14:15]
	s_and_saveexec_b64 s[56:57], s[16:17]
	s_cbranch_execz .LBB1361_1026
; %bb.1028:                             ;   in Loop: Header=BB1361_1027 Depth=1
	s_add_u32 s50, s50, -1
	s_addc_u32 s51, s51, -1
	s_cmp_eq_u64 s[50:51], 0
	s_cselect_b64 s[16:17], -1, 0
	s_andn2_b64 s[48:49], s[48:49], exec
	s_and_b64 s[16:17], s[16:17], exec
	v_lshl_add_u64 v[4:5], v[4:5], 0, 2
	v_lshl_add_u64 v[6:7], v[6:7], 0, 2
	s_andn2_b64 s[14:15], s[14:15], exec
	s_or_b64 s[48:49], s[48:49], s[16:17]
                                        ; implicit-def: $sgpr52_sgpr53
	s_branch .LBB1361_1026
.LBB1361_1029:
	s_or_b64 exec, exec, s[44:45]
	s_xor_b64 s[14:15], s[46:47], -1
	s_branch .LBB1361_1031
.LBB1361_1030:
	s_mov_b64 s[14:15], -1
.LBB1361_1031:
	s_and_b64 s[14:15], s[14:15], exec
.LBB1361_1032:
	s_or_b64 exec, exec, s[28:29]
	s_orn2_b64 s[28:29], s[14:15], exec
.LBB1361_1033:
	s_or_b64 exec, exec, s[30:31]
	v_cndmask_b32_e64 v4, v45, v46, s[28:29]
	v_cndmask_b32_e64 v5, v25, v24, s[28:29]
	v_add_u32_e32 v6, 1, v4
	v_add_u32_e32 v4, -1, v5
	v_min_u32_e32 v4, v6, v4
	v_lshl_add_u32 v4, v4, 3, v33
	ds_read_b64 v[4:5], v4
	v_cndmask_b32_e64 v47, v6, v45, s[28:29]
	v_cndmask_b32_e64 v51, v46, v6, s[28:29]
	v_cmp_lt_u32_e32 vcc, v47, v25
	s_mov_b64 s[30:31], -1
	s_waitcnt lgkmcnt(0)
	v_cndmask_b32_e64 v8, v5, v39, s[28:29]
	v_cndmask_b32_e64 v43, v4, v40, s[28:29]
	;; [unrolled: 1-line block ×4, first 2 shown]
	s_mov_b64 s[44:45], -1
	s_and_saveexec_b64 s[46:47], vcc
	s_cbranch_execz .LBB1361_1044
; %bb.1034:
	v_cmp_lt_u32_e32 vcc, v51, v24
	s_mov_b64 s[14:15], 0
	s_and_saveexec_b64 s[44:45], vcc
	s_cbranch_execz .LBB1361_1043
; %bb.1035:
	s_andn2_b64 vcc, exec, s[42:43]
	s_cbranch_vccnz .LBB1361_1041
; %bb.1036:
	v_mul_lo_u32 v6, v8, s36
	v_mul_lo_u32 v7, v43, s37
	v_mad_u64_u32 v[4:5], s[14:15], v43, s36, 0
	v_add3_u32 v5, v5, v7, v6
	v_mul_lo_u32 v45, v9, s36
	v_mul_lo_u32 v46, v44, s37
	v_mad_u64_u32 v[6:7], s[14:15], v44, s36, 0
	v_add3_u32 v7, v7, v46, v45
	v_lshl_add_u64 v[4:5], v[4:5], 1, s[38:39]
	v_lshl_add_u64 v[6:7], v[6:7], 1, s[38:39]
	s_mov_b64 s[48:49], 0
	s_mov_b64 s[54:55], s[36:37]
                                        ; implicit-def: $sgpr50_sgpr51
                                        ; implicit-def: $sgpr52_sgpr53
                                        ; implicit-def: $sgpr14_sgpr15
                                        ; implicit-def: $sgpr56_sgpr57
	s_branch .LBB1361_1038
.LBB1361_1037:                          ;   in Loop: Header=BB1361_1038 Depth=1
	s_or_b64 exec, exec, s[60:61]
	s_and_b64 s[16:17], exec, s[52:53]
	s_or_b64 s[48:49], s[16:17], s[48:49]
	s_andn2_b64 s[16:17], s[56:57], exec
	s_and_b64 s[56:57], s[58:59], exec
	s_or_b64 s[56:57], s[16:17], s[56:57]
	s_andn2_b64 s[16:17], s[50:51], exec
	s_and_b64 s[50:51], s[14:15], exec
	s_or_b64 s[50:51], s[16:17], s[50:51]
	s_andn2_b64 exec, exec, s[48:49]
	s_cbranch_execz .LBB1361_1040
.LBB1361_1038:                          ; =>This Inner Loop Header: Depth=1
	global_load_ushort v45, v[4:5], off
	global_load_ushort v46, v[6:7], off
	s_andn2_b64 s[60:61], s[14:15], exec
	s_or_b64 s[52:53], s[52:53], exec
	s_waitcnt vmcnt(0)
	v_cmp_le_u16_e64 s[14:15], v45, v46
	v_cmp_lt_u16_e32 vcc, v45, v46
	s_and_b64 s[14:15], s[14:15], s[56:57]
	s_or_b64 s[58:59], vcc, s[14:15]
	s_and_b64 s[14:15], s[58:59], exec
	v_cmp_eq_u16_e64 s[16:17], v45, v46
	s_or_b64 s[14:15], s[60:61], s[14:15]
	s_and_saveexec_b64 s[60:61], s[16:17]
	s_cbranch_execz .LBB1361_1037
; %bb.1039:                             ;   in Loop: Header=BB1361_1038 Depth=1
	s_add_u32 s54, s54, -1
	s_addc_u32 s55, s55, -1
	s_cmp_eq_u64 s[54:55], 0
	s_cselect_b64 s[16:17], -1, 0
	s_andn2_b64 s[52:53], s[52:53], exec
	s_and_b64 s[16:17], s[16:17], exec
	v_lshl_add_u64 v[4:5], v[4:5], 0, 2
	v_lshl_add_u64 v[6:7], v[6:7], 0, 2
	s_andn2_b64 s[14:15], s[14:15], exec
	s_or_b64 s[52:53], s[52:53], s[16:17]
                                        ; implicit-def: $sgpr56_sgpr57
	s_branch .LBB1361_1037
.LBB1361_1040:
	s_or_b64 exec, exec, s[48:49]
	s_xor_b64 s[14:15], s[50:51], -1
	s_branch .LBB1361_1042
.LBB1361_1041:
	s_mov_b64 s[14:15], -1
.LBB1361_1042:
	s_and_b64 s[14:15], s[14:15], exec
.LBB1361_1043:
	s_or_b64 exec, exec, s[44:45]
	s_orn2_b64 s[44:45], s[14:15], exec
.LBB1361_1044:
	s_or_b64 exec, exec, s[46:47]
	v_cndmask_b32_e64 v4, v47, v51, s[44:45]
	v_cndmask_b32_e64 v5, v25, v24, s[44:45]
	v_add_u32_e32 v6, 1, v4
	v_add_u32_e32 v4, -1, v5
	v_min_u32_e32 v4, v6, v4
	v_lshl_add_u32 v4, v4, 3, v33
	ds_read_b64 v[4:5], v4
	v_cndmask_b32_e64 v48, v6, v47, s[44:45]
	v_cndmask_b32_e64 v47, v51, v6, s[44:45]
	v_cmp_lt_u32_e32 vcc, v48, v25
	s_waitcnt lgkmcnt(0)
	v_cndmask_b32_e64 v45, v5, v8, s[44:45]
	v_cndmask_b32_e64 v46, v4, v43, s[44:45]
	;; [unrolled: 1-line block ×4, first 2 shown]
	s_and_saveexec_b64 s[46:47], vcc
	s_cbranch_execz .LBB1361_1055
; %bb.1045:
	v_cmp_lt_u32_e32 vcc, v47, v24
	s_mov_b64 s[14:15], 0
	s_and_saveexec_b64 s[30:31], vcc
	s_cbranch_execz .LBB1361_1054
; %bb.1046:
	s_andn2_b64 vcc, exec, s[42:43]
	s_cbranch_vccnz .LBB1361_1052
; %bb.1047:
	v_mul_lo_u32 v6, v45, s36
	v_mul_lo_u32 v7, v46, s37
	v_mad_u64_u32 v[4:5], s[14:15], v46, s36, 0
	v_add3_u32 v5, v5, v7, v6
	v_mul_lo_u32 v51, v49, s36
	v_mul_lo_u32 v52, v50, s37
	v_mad_u64_u32 v[6:7], s[14:15], v50, s36, 0
	v_add3_u32 v7, v7, v52, v51
	v_lshl_add_u64 v[4:5], v[4:5], 1, s[38:39]
	v_lshl_add_u64 v[6:7], v[6:7], 1, s[38:39]
	s_mov_b64 s[48:49], 0
	s_mov_b64 s[54:55], s[36:37]
                                        ; implicit-def: $sgpr50_sgpr51
                                        ; implicit-def: $sgpr52_sgpr53
                                        ; implicit-def: $sgpr14_sgpr15
                                        ; implicit-def: $sgpr56_sgpr57
	s_branch .LBB1361_1049
.LBB1361_1048:                          ;   in Loop: Header=BB1361_1049 Depth=1
	s_or_b64 exec, exec, s[60:61]
	s_and_b64 s[16:17], exec, s[52:53]
	s_or_b64 s[48:49], s[16:17], s[48:49]
	s_andn2_b64 s[16:17], s[56:57], exec
	s_and_b64 s[56:57], s[58:59], exec
	s_or_b64 s[56:57], s[16:17], s[56:57]
	s_andn2_b64 s[16:17], s[50:51], exec
	s_and_b64 s[50:51], s[14:15], exec
	s_or_b64 s[50:51], s[16:17], s[50:51]
	s_andn2_b64 exec, exec, s[48:49]
	s_cbranch_execz .LBB1361_1051
.LBB1361_1049:                          ; =>This Inner Loop Header: Depth=1
	global_load_ushort v51, v[4:5], off
	global_load_ushort v52, v[6:7], off
	s_andn2_b64 s[60:61], s[14:15], exec
	s_or_b64 s[52:53], s[52:53], exec
	s_waitcnt vmcnt(0)
	v_cmp_le_u16_e64 s[14:15], v51, v52
	v_cmp_lt_u16_e32 vcc, v51, v52
	s_and_b64 s[14:15], s[14:15], s[56:57]
	s_or_b64 s[58:59], vcc, s[14:15]
	s_and_b64 s[14:15], s[58:59], exec
	v_cmp_eq_u16_e64 s[16:17], v51, v52
	s_or_b64 s[14:15], s[60:61], s[14:15]
	s_and_saveexec_b64 s[60:61], s[16:17]
	s_cbranch_execz .LBB1361_1048
; %bb.1050:                             ;   in Loop: Header=BB1361_1049 Depth=1
	s_add_u32 s54, s54, -1
	s_addc_u32 s55, s55, -1
	s_cmp_eq_u64 s[54:55], 0
	s_cselect_b64 s[16:17], -1, 0
	s_andn2_b64 s[52:53], s[52:53], exec
	s_and_b64 s[16:17], s[16:17], exec
	v_lshl_add_u64 v[4:5], v[4:5], 0, 2
	v_lshl_add_u64 v[6:7], v[6:7], 0, 2
	s_andn2_b64 s[14:15], s[14:15], exec
	s_or_b64 s[52:53], s[52:53], s[16:17]
                                        ; implicit-def: $sgpr56_sgpr57
	s_branch .LBB1361_1048
.LBB1361_1051:
	s_or_b64 exec, exec, s[48:49]
	s_xor_b64 s[14:15], s[50:51], -1
	s_branch .LBB1361_1053
.LBB1361_1052:
	s_mov_b64 s[14:15], -1
.LBB1361_1053:
	s_and_b64 s[14:15], s[14:15], exec
.LBB1361_1054:
	s_or_b64 exec, exec, s[30:31]
	s_orn2_b64 s[30:31], s[14:15], exec
.LBB1361_1055:
	s_or_b64 exec, exec, s[46:47]
	v_cndmask_b32_e64 v4, v48, v47, s[30:31]
	v_cndmask_b32_e64 v5, v25, v24, s[30:31]
	;; [unrolled: 1-line block ×4, first 2 shown]
	v_add_u32_e32 v37, 1, v4
	v_add_u32_e32 v4, -1, v5
	v_min_u32_e32 v4, v37, v4
	v_lshl_add_u32 v4, v4, 3, v33
	v_cndmask_b32_e64 v11, v10, v11, s[24:25]
	v_cndmask_b32_e64 v10, v17, v23, s[24:25]
	v_cndmask_b32_e64 v17, v14, v16, s[22:23]
	v_cndmask_b32_e64 v16, v15, v22, s[22:23]
	ds_read_b64 v[22:23], v4
	v_cndmask_b32_e64 v14, v2, v0, s[20:21]
	v_cndmask_b32_e64 v0, v37, v48, s[30:31]
	;; [unrolled: 1-line block ×9, first 2 shown]
	s_waitcnt lgkmcnt(0)
	v_cndmask_b32_e64 v5, v49, v23, s[30:31]
	v_cndmask_b32_e64 v4, v50, v22, s[30:31]
	v_cmp_lt_u32_e32 vcc, v0, v25
	s_and_saveexec_b64 s[20:21], vcc
	s_cbranch_execz .LBB1361_1065
; %bb.1056:
	v_cndmask_b32_e64 v0, v22, v46, s[30:31]
	v_cndmask_b32_e64 v22, v47, v37, s[30:31]
	;; [unrolled: 1-line block ×3, first 2 shown]
	v_cmp_lt_u32_e32 vcc, v22, v24
	s_and_saveexec_b64 s[22:23], vcc
	s_cbranch_execz .LBB1361_1064
; %bb.1057:
	s_andn2_b64 vcc, exec, s[42:43]
	s_cbranch_vccnz .LBB1361_1063
; %bb.1058:
	v_mul_lo_u32 v24, v1, s36
	v_mul_lo_u32 v25, v0, s37
	v_mad_u64_u32 v[22:23], s[14:15], v0, s36, 0
	v_add3_u32 v23, v23, v25, v24
	v_mul_lo_u32 v37, v5, s36
	v_mul_lo_u32 v38, v4, s37
	v_mad_u64_u32 v[24:25], s[14:15], v4, s36, 0
	v_add3_u32 v25, v25, v38, v37
	v_lshl_add_u64 v[22:23], v[22:23], 1, s[38:39]
	v_lshl_add_u64 v[24:25], v[24:25], 1, s[38:39]
	s_mov_b64 s[24:25], 0
	s_mov_b64 s[30:31], s[36:37]
                                        ; implicit-def: $sgpr26_sgpr27
                                        ; implicit-def: $sgpr28_sgpr29
                                        ; implicit-def: $sgpr14_sgpr15
                                        ; implicit-def: $sgpr44_sgpr45
	s_branch .LBB1361_1060
.LBB1361_1059:                          ;   in Loop: Header=BB1361_1060 Depth=1
	s_or_b64 exec, exec, s[48:49]
	s_and_b64 s[16:17], exec, s[28:29]
	s_or_b64 s[24:25], s[16:17], s[24:25]
	s_andn2_b64 s[16:17], s[44:45], exec
	s_and_b64 s[44:45], s[46:47], exec
	s_or_b64 s[44:45], s[16:17], s[44:45]
	s_andn2_b64 s[16:17], s[26:27], exec
	s_and_b64 s[26:27], s[14:15], exec
	s_or_b64 s[26:27], s[16:17], s[26:27]
	s_andn2_b64 exec, exec, s[24:25]
	s_cbranch_execz .LBB1361_1062
.LBB1361_1060:                          ; =>This Inner Loop Header: Depth=1
	global_load_ushort v37, v[22:23], off
	global_load_ushort v38, v[24:25], off
	s_andn2_b64 s[48:49], s[14:15], exec
	s_or_b64 s[28:29], s[28:29], exec
	s_waitcnt vmcnt(0)
	v_cmp_le_u16_e64 s[14:15], v37, v38
	v_cmp_lt_u16_e32 vcc, v37, v38
	s_and_b64 s[14:15], s[14:15], s[44:45]
	s_or_b64 s[46:47], vcc, s[14:15]
	s_and_b64 s[14:15], s[46:47], exec
	v_cmp_eq_u16_e64 s[16:17], v37, v38
	s_or_b64 s[14:15], s[48:49], s[14:15]
	s_and_saveexec_b64 s[48:49], s[16:17]
	s_cbranch_execz .LBB1361_1059
; %bb.1061:                             ;   in Loop: Header=BB1361_1060 Depth=1
	s_add_u32 s30, s30, -1
	s_addc_u32 s31, s31, -1
	s_cmp_eq_u64 s[30:31], 0
	s_cselect_b64 s[16:17], -1, 0
	s_andn2_b64 s[28:29], s[28:29], exec
	s_and_b64 s[16:17], s[16:17], exec
	v_lshl_add_u64 v[22:23], v[22:23], 0, 2
	v_lshl_add_u64 v[24:25], v[24:25], 0, 2
	s_andn2_b64 s[14:15], s[14:15], exec
	s_or_b64 s[28:29], s[28:29], s[16:17]
                                        ; implicit-def: $sgpr44_sgpr45
	s_branch .LBB1361_1059
.LBB1361_1062:
	s_or_b64 exec, exec, s[24:25]
	v_cndmask_b32_e64 v5, v5, v1, s[26:27]
	v_cndmask_b32_e64 v4, v4, v0, s[26:27]
.LBB1361_1063:
	v_mov_b64_e32 v[0:1], v[4:5]
.LBB1361_1064:
	s_or_b64 exec, exec, s[22:23]
	v_mov_b64_e32 v[4:5], v[0:1]
.LBB1361_1065:
	s_or_b64 exec, exec, s[20:21]
.LBB1361_1066:
	s_or_b64 exec, exec, s[18:19]
	v_and_b32_e32 v39, 0x3e0, v35
	v_or_b32_e32 v0, 16, v39
	v_min_u32_e32 v24, v34, v0
	v_add_u32_e32 v0, 16, v24
	v_min_u32_e32 v25, v34, v0
	v_and_b32_e32 v0, 24, v35
	v_min_u32_e32 v40, v34, v0
	v_sub_u32_e32 v0, v24, v39
	v_sub_u32_e32 v1, v25, v24
	v_sub_u32_e64 v38, v40, v1 clamp
	v_min_u32_e32 v41, v40, v0
	v_lshl_add_u32 v37, v39, 3, v33
	v_cmp_lt_u32_e32 vcc, v38, v41
	; wave barrier
	ds_write_b128 v36, v[14:17]
	ds_write_b128 v36, v[10:13] offset:16
	ds_write_b128 v36, v[6:9] offset:32
	;; [unrolled: 1-line block ×3, first 2 shown]
	; wave barrier
	s_and_saveexec_b64 s[20:21], vcc
	s_cbranch_execz .LBB1361_1076
; %bb.1067:
	v_lshlrev_b32_e32 v0, 3, v24
	v_lshlrev_b32_e32 v1, 3, v40
	v_add3_u32 v42, v33, v0, v1
	v_cndmask_b32_e64 v0, 0, 1, s[42:43]
	s_lshl_b64 s[24:25], s[36:37], 1
	s_mov_b64 s[22:23], 0
	v_cmp_ne_u32_e64 s[14:15], 1, v0
	s_branch .LBB1361_1070
.LBB1361_1068:                          ;   in Loop: Header=BB1361_1070 Depth=1
	s_or_b64 exec, exec, s[28:29]
.LBB1361_1069:                          ;   in Loop: Header=BB1361_1070 Depth=1
	v_add_u32_e32 v0, 1, v43
	v_cndmask_b32_e64 v41, v41, v43, s[26:27]
	v_cndmask_b32_e64 v38, v0, v38, s[26:27]
	v_cmp_ge_u32_e32 vcc, v38, v41
	s_or_b64 s[22:23], vcc, s[22:23]
	s_andn2_b64 exec, exec, s[22:23]
	s_cbranch_execz .LBB1361_1075
.LBB1361_1070:                          ; =>This Loop Header: Depth=1
                                        ;     Child Loop BB1361_1073 Depth 2
	v_add_u32_e32 v0, v41, v38
	v_lshrrev_b32_e32 v43, 1, v0
	s_and_b64 vcc, exec, s[14:15]
	s_mov_b64 s[26:27], 0
	s_cbranch_vccnz .LBB1361_1069
; %bb.1071:                             ;   in Loop: Header=BB1361_1070 Depth=1
	v_not_b32_e32 v0, v43
	v_lshl_add_u32 v0, v0, 3, v42
	ds_read_b64 v[0:1], v0
	v_lshl_add_u32 v44, v43, 3, v37
	ds_read_b64 v[44:45], v44
	v_mov_b64_e32 v[22:23], s[38:39]
	s_mov_b64 s[28:29], 0
	s_waitcnt lgkmcnt(1)
	v_mul_lo_u32 v46, s24, v1
	v_mul_lo_u32 v47, s25, v0
	v_mad_u64_u32 v[0:1], s[16:17], s24, v0, v[22:23]
	v_add3_u32 v1, v47, v1, v46
	s_waitcnt lgkmcnt(0)
	v_mul_lo_u32 v45, s24, v45
	v_mul_lo_u32 v46, s25, v44
	v_mad_u64_u32 v[22:23], s[16:17], s24, v44, v[22:23]
	v_add3_u32 v23, v46, v23, v45
	s_mov_b64 s[44:45], s[36:37]
                                        ; implicit-def: $sgpr26_sgpr27
                                        ; implicit-def: $sgpr30_sgpr31
                                        ; implicit-def: $sgpr16_sgpr17
                                        ; implicit-def: $sgpr46_sgpr47
	s_branch .LBB1361_1073
.LBB1361_1072:                          ;   in Loop: Header=BB1361_1073 Depth=2
	s_or_b64 exec, exec, s[50:51]
	s_and_b64 s[18:19], exec, s[30:31]
	s_or_b64 s[28:29], s[18:19], s[28:29]
	s_andn2_b64 s[18:19], s[46:47], exec
	s_and_b64 s[46:47], s[48:49], exec
	s_or_b64 s[46:47], s[18:19], s[46:47]
	s_andn2_b64 s[18:19], s[26:27], exec
	s_and_b64 s[26:27], s[16:17], exec
	s_or_b64 s[26:27], s[18:19], s[26:27]
	s_andn2_b64 exec, exec, s[28:29]
	s_cbranch_execz .LBB1361_1068
.LBB1361_1073:                          ;   Parent Loop BB1361_1070 Depth=1
                                        ; =>  This Inner Loop Header: Depth=2
	global_load_ushort v44, v[0:1], off
	global_load_ushort v45, v[22:23], off
	s_andn2_b64 s[50:51], s[16:17], exec
	s_or_b64 s[30:31], s[30:31], exec
	s_waitcnt vmcnt(0)
	v_cmp_le_u16_e64 s[16:17], v44, v45
	v_cmp_lt_u16_e32 vcc, v44, v45
	s_and_b64 s[16:17], s[16:17], s[46:47]
	s_or_b64 s[48:49], vcc, s[16:17]
	s_and_b64 s[16:17], s[48:49], exec
	v_cmp_eq_u16_e64 s[18:19], v44, v45
	s_or_b64 s[16:17], s[50:51], s[16:17]
	s_and_saveexec_b64 s[50:51], s[18:19]
	s_cbranch_execz .LBB1361_1072
; %bb.1074:                             ;   in Loop: Header=BB1361_1073 Depth=2
	s_add_u32 s44, s44, -1
	s_addc_u32 s45, s45, -1
	s_cmp_eq_u64 s[44:45], 0
	s_cselect_b64 s[18:19], -1, 0
	s_andn2_b64 s[30:31], s[30:31], exec
	s_and_b64 s[18:19], s[18:19], exec
	v_lshl_add_u64 v[0:1], v[0:1], 0, 2
	v_lshl_add_u64 v[22:23], v[22:23], 0, 2
	s_andn2_b64 s[16:17], s[16:17], exec
	s_or_b64 s[30:31], s[30:31], s[18:19]
                                        ; implicit-def: $sgpr46_sgpr47
	s_branch .LBB1361_1072
.LBB1361_1075:
	s_or_b64 exec, exec, s[22:23]
.LBB1361_1076:
	s_or_b64 exec, exec, s[20:21]
	v_add_u32_e32 v0, v24, v40
	v_add_u32_e32 v23, v38, v39
	v_sub_u32_e32 v39, v0, v38
	v_cmp_le_u32_e32 vcc, v23, v24
	v_cmp_le_u32_e64 s[14:15], v39, v25
	s_or_b64 s[14:15], vcc, s[14:15]
	s_and_saveexec_b64 s[18:19], s[14:15]
	s_cbranch_execz .LBB1361_1167
; %bb.1077:
	v_cmp_ge_u32_e32 vcc, v23, v24
	v_cmp_lt_u32_e64 s[14:15], v23, v24
                                        ; implicit-def: $vgpr0_vgpr1
	s_and_saveexec_b64 s[16:17], s[14:15]
; %bb.1078:
	v_lshl_add_u32 v0, v38, 3, v37
	ds_read_b64 v[0:1], v0
; %bb.1079:
	s_or_b64 exec, exec, s[16:17]
	v_cmp_ge_u32_e64 s[20:21], v39, v25
	v_cmp_lt_u32_e64 s[14:15], v39, v25
                                        ; implicit-def: $vgpr2_vgpr3
	s_and_saveexec_b64 s[16:17], s[14:15]
; %bb.1080:
	v_lshl_add_u32 v2, v39, 3, v33
	ds_read_b64 v[2:3], v2
; %bb.1081:
	s_or_b64 exec, exec, s[16:17]
	s_nor_b64 s[14:15], vcc, s[20:21]
	s_and_saveexec_b64 s[22:23], s[14:15]
	s_cbranch_execz .LBB1361_1090
; %bb.1082:
	s_andn2_b64 vcc, exec, s[42:43]
	s_cbranch_vccnz .LBB1361_1088
; %bb.1083:
	s_waitcnt lgkmcnt(0)
	v_mul_lo_u32 v6, v3, s36
	v_mul_lo_u32 v7, v2, s37
	v_mad_u64_u32 v[4:5], s[14:15], v2, s36, 0
	v_add3_u32 v5, v5, v7, v6
	v_mul_lo_u32 v8, v1, s36
	v_mul_lo_u32 v9, v0, s37
	v_mad_u64_u32 v[6:7], s[14:15], v0, s36, 0
	v_add3_u32 v7, v7, v9, v8
	v_lshl_add_u64 v[4:5], v[4:5], 1, s[38:39]
	v_lshl_add_u64 v[6:7], v[6:7], 1, s[38:39]
	s_mov_b64 s[24:25], 0
	s_mov_b64 s[30:31], s[36:37]
                                        ; implicit-def: $sgpr26_sgpr27
                                        ; implicit-def: $sgpr28_sgpr29
                                        ; implicit-def: $sgpr14_sgpr15
                                        ; implicit-def: $sgpr44_sgpr45
	s_branch .LBB1361_1085
.LBB1361_1084:                          ;   in Loop: Header=BB1361_1085 Depth=1
	s_or_b64 exec, exec, s[48:49]
	s_and_b64 s[16:17], exec, s[28:29]
	s_or_b64 s[24:25], s[16:17], s[24:25]
	s_andn2_b64 s[16:17], s[44:45], exec
	s_and_b64 s[44:45], s[46:47], exec
	s_or_b64 s[44:45], s[16:17], s[44:45]
	s_andn2_b64 s[16:17], s[26:27], exec
	s_and_b64 s[26:27], s[14:15], exec
	s_or_b64 s[26:27], s[16:17], s[26:27]
	s_andn2_b64 exec, exec, s[24:25]
	s_cbranch_execz .LBB1361_1087
.LBB1361_1085:                          ; =>This Inner Loop Header: Depth=1
	global_load_ushort v8, v[4:5], off
	global_load_ushort v9, v[6:7], off
	s_andn2_b64 s[48:49], s[14:15], exec
	s_or_b64 s[28:29], s[28:29], exec
	s_waitcnt vmcnt(0)
	v_cmp_le_u16_e64 s[14:15], v8, v9
	v_cmp_lt_u16_e32 vcc, v8, v9
	s_and_b64 s[14:15], s[14:15], s[44:45]
	s_or_b64 s[46:47], vcc, s[14:15]
	s_and_b64 s[14:15], s[46:47], exec
	v_cmp_eq_u16_e64 s[16:17], v8, v9
	s_or_b64 s[14:15], s[48:49], s[14:15]
	s_and_saveexec_b64 s[48:49], s[16:17]
	s_cbranch_execz .LBB1361_1084
; %bb.1086:                             ;   in Loop: Header=BB1361_1085 Depth=1
	s_add_u32 s30, s30, -1
	s_addc_u32 s31, s31, -1
	s_cmp_eq_u64 s[30:31], 0
	s_cselect_b64 s[16:17], -1, 0
	s_andn2_b64 s[28:29], s[28:29], exec
	s_and_b64 s[16:17], s[16:17], exec
	v_lshl_add_u64 v[4:5], v[4:5], 0, 2
	v_lshl_add_u64 v[6:7], v[6:7], 0, 2
	s_andn2_b64 s[14:15], s[14:15], exec
	s_or_b64 s[28:29], s[28:29], s[16:17]
                                        ; implicit-def: $sgpr44_sgpr45
	s_branch .LBB1361_1084
.LBB1361_1087:
	s_or_b64 exec, exec, s[24:25]
	s_xor_b64 s[14:15], s[26:27], -1
	s_branch .LBB1361_1089
.LBB1361_1088:
	s_mov_b64 s[14:15], -1
.LBB1361_1089:
	s_andn2_b64 s[16:17], s[20:21], exec
	s_and_b64 s[14:15], s[14:15], exec
	s_or_b64 s[20:21], s[16:17], s[14:15]
.LBB1361_1090:
	s_or_b64 exec, exec, s[22:23]
	v_cndmask_b32_e64 v4, v39, v23, s[20:21]
	v_cndmask_b32_e64 v5, v25, v24, s[20:21]
	v_add_u32_e32 v6, 1, v4
	v_add_u32_e32 v4, -1, v5
	v_min_u32_e32 v4, v6, v4
	v_lshl_add_u32 v4, v4, 3, v33
	ds_read_b64 v[4:5], v4
	v_cndmask_b32_e64 v8, v6, v39, s[20:21]
	v_cndmask_b32_e64 v9, v23, v6, s[20:21]
	v_cmp_lt_u32_e32 vcc, v8, v25
	s_mov_b64 s[24:25], -1
	s_waitcnt lgkmcnt(0)
	v_cndmask_b32_e64 v14, v5, v3, s[20:21]
	v_cndmask_b32_e64 v15, v4, v2, s[20:21]
	;; [unrolled: 1-line block ×4, first 2 shown]
	s_mov_b64 s[22:23], -1
	s_and_saveexec_b64 s[26:27], vcc
	s_cbranch_execz .LBB1361_1101
; %bb.1091:
	v_cmp_lt_u32_e32 vcc, v9, v24
	s_mov_b64 s[14:15], 0
	s_and_saveexec_b64 s[22:23], vcc
	s_cbranch_execz .LBB1361_1100
; %bb.1092:
	s_andn2_b64 vcc, exec, s[42:43]
	s_cbranch_vccnz .LBB1361_1098
; %bb.1093:
	v_mul_lo_u32 v6, v14, s36
	v_mul_lo_u32 v7, v15, s37
	v_mad_u64_u32 v[4:5], s[14:15], v15, s36, 0
	v_add3_u32 v5, v5, v7, v6
	v_mul_lo_u32 v10, v16, s36
	v_mul_lo_u32 v11, v22, s37
	v_mad_u64_u32 v[6:7], s[14:15], v22, s36, 0
	v_add3_u32 v7, v7, v11, v10
	v_lshl_add_u64 v[4:5], v[4:5], 1, s[38:39]
	v_lshl_add_u64 v[6:7], v[6:7], 1, s[38:39]
	s_mov_b64 s[28:29], 0
	s_mov_b64 s[46:47], s[36:37]
                                        ; implicit-def: $sgpr30_sgpr31
                                        ; implicit-def: $sgpr44_sgpr45
                                        ; implicit-def: $sgpr14_sgpr15
                                        ; implicit-def: $sgpr48_sgpr49
	s_branch .LBB1361_1095
.LBB1361_1094:                          ;   in Loop: Header=BB1361_1095 Depth=1
	s_or_b64 exec, exec, s[52:53]
	s_and_b64 s[16:17], exec, s[44:45]
	s_or_b64 s[28:29], s[16:17], s[28:29]
	s_andn2_b64 s[16:17], s[48:49], exec
	s_and_b64 s[48:49], s[50:51], exec
	s_or_b64 s[48:49], s[16:17], s[48:49]
	s_andn2_b64 s[16:17], s[30:31], exec
	s_and_b64 s[30:31], s[14:15], exec
	s_or_b64 s[30:31], s[16:17], s[30:31]
	s_andn2_b64 exec, exec, s[28:29]
	s_cbranch_execz .LBB1361_1097
.LBB1361_1095:                          ; =>This Inner Loop Header: Depth=1
	global_load_ushort v10, v[4:5], off
	global_load_ushort v11, v[6:7], off
	s_andn2_b64 s[52:53], s[14:15], exec
	s_or_b64 s[44:45], s[44:45], exec
	s_waitcnt vmcnt(0)
	v_cmp_le_u16_e64 s[14:15], v10, v11
	v_cmp_lt_u16_e32 vcc, v10, v11
	s_and_b64 s[14:15], s[14:15], s[48:49]
	s_or_b64 s[50:51], vcc, s[14:15]
	s_and_b64 s[14:15], s[50:51], exec
	v_cmp_eq_u16_e64 s[16:17], v10, v11
	s_or_b64 s[14:15], s[52:53], s[14:15]
	s_and_saveexec_b64 s[52:53], s[16:17]
	s_cbranch_execz .LBB1361_1094
; %bb.1096:                             ;   in Loop: Header=BB1361_1095 Depth=1
	s_add_u32 s46, s46, -1
	s_addc_u32 s47, s47, -1
	s_cmp_eq_u64 s[46:47], 0
	s_cselect_b64 s[16:17], -1, 0
	s_andn2_b64 s[44:45], s[44:45], exec
	s_and_b64 s[16:17], s[16:17], exec
	v_lshl_add_u64 v[4:5], v[4:5], 0, 2
	v_lshl_add_u64 v[6:7], v[6:7], 0, 2
	s_andn2_b64 s[14:15], s[14:15], exec
	s_or_b64 s[44:45], s[44:45], s[16:17]
                                        ; implicit-def: $sgpr48_sgpr49
	s_branch .LBB1361_1094
.LBB1361_1097:
	s_or_b64 exec, exec, s[28:29]
	s_xor_b64 s[14:15], s[30:31], -1
	s_branch .LBB1361_1099
.LBB1361_1098:
	s_mov_b64 s[14:15], -1
.LBB1361_1099:
	s_and_b64 s[14:15], s[14:15], exec
.LBB1361_1100:
	s_or_b64 exec, exec, s[22:23]
	s_orn2_b64 s[22:23], s[14:15], exec
.LBB1361_1101:
	s_or_b64 exec, exec, s[26:27]
	v_cndmask_b32_e64 v4, v8, v9, s[22:23]
	v_cndmask_b32_e64 v5, v25, v24, s[22:23]
	v_add_u32_e32 v6, 1, v4
	v_add_u32_e32 v4, -1, v5
	v_min_u32_e32 v4, v6, v4
	v_lshl_add_u32 v4, v4, 3, v33
	ds_read_b64 v[4:5], v4
	v_cndmask_b32_e64 v8, v6, v8, s[22:23]
	v_cndmask_b32_e64 v9, v9, v6, s[22:23]
	v_cmp_lt_u32_e32 vcc, v8, v25
	s_waitcnt lgkmcnt(0)
	v_cndmask_b32_e64 v10, v5, v14, s[22:23]
	v_cndmask_b32_e64 v17, v4, v15, s[22:23]
	;; [unrolled: 1-line block ×4, first 2 shown]
	s_and_saveexec_b64 s[26:27], vcc
	s_cbranch_execz .LBB1361_1112
; %bb.1102:
	v_cmp_lt_u32_e32 vcc, v9, v24
	s_mov_b64 s[14:15], 0
	s_and_saveexec_b64 s[24:25], vcc
	s_cbranch_execz .LBB1361_1111
; %bb.1103:
	s_andn2_b64 vcc, exec, s[42:43]
	s_cbranch_vccnz .LBB1361_1109
; %bb.1104:
	v_mul_lo_u32 v6, v10, s36
	v_mul_lo_u32 v7, v17, s37
	v_mad_u64_u32 v[4:5], s[14:15], v17, s36, 0
	v_add3_u32 v5, v5, v7, v6
	v_mul_lo_u32 v12, v11, s36
	v_mul_lo_u32 v13, v23, s37
	v_mad_u64_u32 v[6:7], s[14:15], v23, s36, 0
	v_add3_u32 v7, v7, v13, v12
	v_lshl_add_u64 v[4:5], v[4:5], 1, s[38:39]
	v_lshl_add_u64 v[6:7], v[6:7], 1, s[38:39]
	s_mov_b64 s[28:29], 0
	s_mov_b64 s[46:47], s[36:37]
                                        ; implicit-def: $sgpr30_sgpr31
                                        ; implicit-def: $sgpr44_sgpr45
                                        ; implicit-def: $sgpr14_sgpr15
                                        ; implicit-def: $sgpr48_sgpr49
	s_branch .LBB1361_1106
.LBB1361_1105:                          ;   in Loop: Header=BB1361_1106 Depth=1
	s_or_b64 exec, exec, s[52:53]
	s_and_b64 s[16:17], exec, s[44:45]
	s_or_b64 s[28:29], s[16:17], s[28:29]
	s_andn2_b64 s[16:17], s[48:49], exec
	s_and_b64 s[48:49], s[50:51], exec
	s_or_b64 s[48:49], s[16:17], s[48:49]
	s_andn2_b64 s[16:17], s[30:31], exec
	s_and_b64 s[30:31], s[14:15], exec
	s_or_b64 s[30:31], s[16:17], s[30:31]
	s_andn2_b64 exec, exec, s[28:29]
	s_cbranch_execz .LBB1361_1108
.LBB1361_1106:                          ; =>This Inner Loop Header: Depth=1
	global_load_ushort v12, v[4:5], off
	global_load_ushort v13, v[6:7], off
	s_andn2_b64 s[52:53], s[14:15], exec
	s_or_b64 s[44:45], s[44:45], exec
	s_waitcnt vmcnt(0)
	v_cmp_le_u16_e64 s[14:15], v12, v13
	v_cmp_lt_u16_e32 vcc, v12, v13
	s_and_b64 s[14:15], s[14:15], s[48:49]
	s_or_b64 s[50:51], vcc, s[14:15]
	s_and_b64 s[14:15], s[50:51], exec
	v_cmp_eq_u16_e64 s[16:17], v12, v13
	s_or_b64 s[14:15], s[52:53], s[14:15]
	s_and_saveexec_b64 s[52:53], s[16:17]
	s_cbranch_execz .LBB1361_1105
; %bb.1107:                             ;   in Loop: Header=BB1361_1106 Depth=1
	s_add_u32 s46, s46, -1
	s_addc_u32 s47, s47, -1
	s_cmp_eq_u64 s[46:47], 0
	s_cselect_b64 s[16:17], -1, 0
	s_andn2_b64 s[44:45], s[44:45], exec
	s_and_b64 s[16:17], s[16:17], exec
	v_lshl_add_u64 v[4:5], v[4:5], 0, 2
	v_lshl_add_u64 v[6:7], v[6:7], 0, 2
	s_andn2_b64 s[14:15], s[14:15], exec
	s_or_b64 s[44:45], s[44:45], s[16:17]
                                        ; implicit-def: $sgpr48_sgpr49
	s_branch .LBB1361_1105
.LBB1361_1108:
	s_or_b64 exec, exec, s[28:29]
	s_xor_b64 s[14:15], s[30:31], -1
	s_branch .LBB1361_1110
.LBB1361_1109:
	s_mov_b64 s[14:15], -1
.LBB1361_1110:
	s_and_b64 s[14:15], s[14:15], exec
.LBB1361_1111:
	s_or_b64 exec, exec, s[24:25]
	s_orn2_b64 s[24:25], s[14:15], exec
.LBB1361_1112:
	s_or_b64 exec, exec, s[26:27]
	v_cndmask_b32_e64 v4, v8, v9, s[24:25]
	v_cndmask_b32_e64 v5, v25, v24, s[24:25]
	v_add_u32_e32 v6, 1, v4
	v_add_u32_e32 v4, -1, v5
	v_min_u32_e32 v4, v6, v4
	v_lshl_add_u32 v4, v4, 3, v33
	ds_read_b64 v[4:5], v4
	v_cndmask_b32_e64 v8, v6, v8, s[24:25]
	v_cndmask_b32_e64 v9, v9, v6, s[24:25]
	v_cmp_lt_u32_e32 vcc, v8, v25
	s_mov_b64 s[28:29], -1
	s_waitcnt lgkmcnt(0)
	v_cndmask_b32_e64 v12, v5, v10, s[24:25]
	v_cndmask_b32_e64 v37, v4, v17, s[24:25]
	;; [unrolled: 1-line block ×4, first 2 shown]
	s_mov_b64 s[26:27], -1
	s_and_saveexec_b64 s[30:31], vcc
	s_cbranch_execz .LBB1361_1123
; %bb.1113:
	v_cmp_lt_u32_e32 vcc, v9, v24
	s_mov_b64 s[14:15], 0
	s_and_saveexec_b64 s[26:27], vcc
	s_cbranch_execz .LBB1361_1122
; %bb.1114:
	s_andn2_b64 vcc, exec, s[42:43]
	s_cbranch_vccnz .LBB1361_1120
; %bb.1115:
	v_mul_lo_u32 v6, v12, s36
	v_mul_lo_u32 v7, v37, s37
	v_mad_u64_u32 v[4:5], s[14:15], v37, s36, 0
	v_add3_u32 v5, v5, v7, v6
	v_mul_lo_u32 v39, v13, s36
	v_mul_lo_u32 v40, v38, s37
	v_mad_u64_u32 v[6:7], s[14:15], v38, s36, 0
	v_add3_u32 v7, v7, v40, v39
	v_lshl_add_u64 v[4:5], v[4:5], 1, s[38:39]
	v_lshl_add_u64 v[6:7], v[6:7], 1, s[38:39]
	s_mov_b64 s[44:45], 0
	s_mov_b64 s[50:51], s[36:37]
                                        ; implicit-def: $sgpr46_sgpr47
                                        ; implicit-def: $sgpr48_sgpr49
                                        ; implicit-def: $sgpr14_sgpr15
                                        ; implicit-def: $sgpr52_sgpr53
	s_branch .LBB1361_1117
.LBB1361_1116:                          ;   in Loop: Header=BB1361_1117 Depth=1
	s_or_b64 exec, exec, s[56:57]
	s_and_b64 s[16:17], exec, s[48:49]
	s_or_b64 s[44:45], s[16:17], s[44:45]
	s_andn2_b64 s[16:17], s[52:53], exec
	s_and_b64 s[52:53], s[54:55], exec
	s_or_b64 s[52:53], s[16:17], s[52:53]
	s_andn2_b64 s[16:17], s[46:47], exec
	s_and_b64 s[46:47], s[14:15], exec
	s_or_b64 s[46:47], s[16:17], s[46:47]
	s_andn2_b64 exec, exec, s[44:45]
	s_cbranch_execz .LBB1361_1119
.LBB1361_1117:                          ; =>This Inner Loop Header: Depth=1
	global_load_ushort v39, v[4:5], off
	global_load_ushort v40, v[6:7], off
	s_andn2_b64 s[56:57], s[14:15], exec
	s_or_b64 s[48:49], s[48:49], exec
	s_waitcnt vmcnt(0)
	v_cmp_le_u16_e64 s[14:15], v39, v40
	v_cmp_lt_u16_e32 vcc, v39, v40
	s_and_b64 s[14:15], s[14:15], s[52:53]
	s_or_b64 s[54:55], vcc, s[14:15]
	s_and_b64 s[14:15], s[54:55], exec
	v_cmp_eq_u16_e64 s[16:17], v39, v40
	s_or_b64 s[14:15], s[56:57], s[14:15]
	s_and_saveexec_b64 s[56:57], s[16:17]
	s_cbranch_execz .LBB1361_1116
; %bb.1118:                             ;   in Loop: Header=BB1361_1117 Depth=1
	s_add_u32 s50, s50, -1
	s_addc_u32 s51, s51, -1
	s_cmp_eq_u64 s[50:51], 0
	s_cselect_b64 s[16:17], -1, 0
	s_andn2_b64 s[48:49], s[48:49], exec
	s_and_b64 s[16:17], s[16:17], exec
	v_lshl_add_u64 v[4:5], v[4:5], 0, 2
	v_lshl_add_u64 v[6:7], v[6:7], 0, 2
	s_andn2_b64 s[14:15], s[14:15], exec
	s_or_b64 s[48:49], s[48:49], s[16:17]
                                        ; implicit-def: $sgpr52_sgpr53
	s_branch .LBB1361_1116
.LBB1361_1119:
	s_or_b64 exec, exec, s[44:45]
	s_xor_b64 s[14:15], s[46:47], -1
	s_branch .LBB1361_1121
.LBB1361_1120:
	s_mov_b64 s[14:15], -1
.LBB1361_1121:
	s_and_b64 s[14:15], s[14:15], exec
.LBB1361_1122:
	s_or_b64 exec, exec, s[26:27]
	s_orn2_b64 s[26:27], s[14:15], exec
.LBB1361_1123:
	s_or_b64 exec, exec, s[30:31]
	v_cndmask_b32_e64 v4, v8, v9, s[26:27]
	v_cndmask_b32_e64 v5, v25, v24, s[26:27]
	v_add_u32_e32 v6, 1, v4
	v_add_u32_e32 v4, -1, v5
	v_min_u32_e32 v4, v6, v4
	v_lshl_add_u32 v4, v4, 3, v33
	ds_read_b64 v[4:5], v4
	v_cndmask_b32_e64 v45, v6, v8, s[26:27]
	v_cndmask_b32_e64 v46, v9, v6, s[26:27]
	v_cmp_lt_u32_e32 vcc, v45, v25
	s_waitcnt lgkmcnt(0)
	v_cndmask_b32_e64 v39, v5, v12, s[26:27]
	v_cndmask_b32_e64 v40, v4, v37, s[26:27]
	;; [unrolled: 1-line block ×4, first 2 shown]
	s_and_saveexec_b64 s[30:31], vcc
	s_cbranch_execz .LBB1361_1134
; %bb.1124:
	v_cmp_lt_u32_e32 vcc, v46, v24
	s_mov_b64 s[14:15], 0
	s_and_saveexec_b64 s[28:29], vcc
	s_cbranch_execz .LBB1361_1133
; %bb.1125:
	s_andn2_b64 vcc, exec, s[42:43]
	s_cbranch_vccnz .LBB1361_1131
; %bb.1126:
	v_mul_lo_u32 v6, v39, s36
	v_mul_lo_u32 v7, v40, s37
	v_mad_u64_u32 v[4:5], s[14:15], v40, s36, 0
	v_add3_u32 v5, v5, v7, v6
	v_mul_lo_u32 v8, v41, s36
	v_mul_lo_u32 v9, v42, s37
	v_mad_u64_u32 v[6:7], s[14:15], v42, s36, 0
	v_add3_u32 v7, v7, v9, v8
	v_lshl_add_u64 v[4:5], v[4:5], 1, s[38:39]
	v_lshl_add_u64 v[6:7], v[6:7], 1, s[38:39]
	s_mov_b64 s[44:45], 0
	s_mov_b64 s[50:51], s[36:37]
                                        ; implicit-def: $sgpr46_sgpr47
                                        ; implicit-def: $sgpr48_sgpr49
                                        ; implicit-def: $sgpr14_sgpr15
                                        ; implicit-def: $sgpr52_sgpr53
	s_branch .LBB1361_1128
.LBB1361_1127:                          ;   in Loop: Header=BB1361_1128 Depth=1
	s_or_b64 exec, exec, s[56:57]
	s_and_b64 s[16:17], exec, s[48:49]
	s_or_b64 s[44:45], s[16:17], s[44:45]
	s_andn2_b64 s[16:17], s[52:53], exec
	s_and_b64 s[52:53], s[54:55], exec
	s_or_b64 s[52:53], s[16:17], s[52:53]
	s_andn2_b64 s[16:17], s[46:47], exec
	s_and_b64 s[46:47], s[14:15], exec
	s_or_b64 s[46:47], s[16:17], s[46:47]
	s_andn2_b64 exec, exec, s[44:45]
	s_cbranch_execz .LBB1361_1130
.LBB1361_1128:                          ; =>This Inner Loop Header: Depth=1
	global_load_ushort v8, v[4:5], off
	global_load_ushort v9, v[6:7], off
	s_andn2_b64 s[56:57], s[14:15], exec
	s_or_b64 s[48:49], s[48:49], exec
	s_waitcnt vmcnt(0)
	v_cmp_le_u16_e64 s[14:15], v8, v9
	v_cmp_lt_u16_e32 vcc, v8, v9
	s_and_b64 s[14:15], s[14:15], s[52:53]
	s_or_b64 s[54:55], vcc, s[14:15]
	s_and_b64 s[14:15], s[54:55], exec
	v_cmp_eq_u16_e64 s[16:17], v8, v9
	s_or_b64 s[14:15], s[56:57], s[14:15]
	s_and_saveexec_b64 s[56:57], s[16:17]
	s_cbranch_execz .LBB1361_1127
; %bb.1129:                             ;   in Loop: Header=BB1361_1128 Depth=1
	s_add_u32 s50, s50, -1
	s_addc_u32 s51, s51, -1
	s_cmp_eq_u64 s[50:51], 0
	s_cselect_b64 s[16:17], -1, 0
	s_andn2_b64 s[48:49], s[48:49], exec
	s_and_b64 s[16:17], s[16:17], exec
	v_lshl_add_u64 v[4:5], v[4:5], 0, 2
	v_lshl_add_u64 v[6:7], v[6:7], 0, 2
	s_andn2_b64 s[14:15], s[14:15], exec
	s_or_b64 s[48:49], s[48:49], s[16:17]
                                        ; implicit-def: $sgpr52_sgpr53
	s_branch .LBB1361_1127
.LBB1361_1130:
	s_or_b64 exec, exec, s[44:45]
	s_xor_b64 s[14:15], s[46:47], -1
	s_branch .LBB1361_1132
.LBB1361_1131:
	s_mov_b64 s[14:15], -1
.LBB1361_1132:
	s_and_b64 s[14:15], s[14:15], exec
.LBB1361_1133:
	s_or_b64 exec, exec, s[28:29]
	s_orn2_b64 s[28:29], s[14:15], exec
.LBB1361_1134:
	s_or_b64 exec, exec, s[30:31]
	v_cndmask_b32_e64 v4, v45, v46, s[28:29]
	v_cndmask_b32_e64 v5, v25, v24, s[28:29]
	v_add_u32_e32 v6, 1, v4
	v_add_u32_e32 v4, -1, v5
	v_min_u32_e32 v4, v6, v4
	v_lshl_add_u32 v4, v4, 3, v33
	ds_read_b64 v[4:5], v4
	v_cndmask_b32_e64 v47, v6, v45, s[28:29]
	v_cndmask_b32_e64 v51, v46, v6, s[28:29]
	v_cmp_lt_u32_e32 vcc, v47, v25
	s_mov_b64 s[30:31], -1
	s_waitcnt lgkmcnt(0)
	v_cndmask_b32_e64 v8, v5, v39, s[28:29]
	v_cndmask_b32_e64 v43, v4, v40, s[28:29]
	v_cndmask_b32_e64 v9, v41, v5, s[28:29]
	v_cndmask_b32_e64 v44, v42, v4, s[28:29]
	s_mov_b64 s[44:45], -1
	s_and_saveexec_b64 s[46:47], vcc
	s_cbranch_execz .LBB1361_1145
; %bb.1135:
	v_cmp_lt_u32_e32 vcc, v51, v24
	s_mov_b64 s[14:15], 0
	s_and_saveexec_b64 s[44:45], vcc
	s_cbranch_execz .LBB1361_1144
; %bb.1136:
	s_andn2_b64 vcc, exec, s[42:43]
	s_cbranch_vccnz .LBB1361_1142
; %bb.1137:
	v_mul_lo_u32 v6, v8, s36
	v_mul_lo_u32 v7, v43, s37
	v_mad_u64_u32 v[4:5], s[14:15], v43, s36, 0
	v_add3_u32 v5, v5, v7, v6
	v_mul_lo_u32 v45, v9, s36
	v_mul_lo_u32 v46, v44, s37
	v_mad_u64_u32 v[6:7], s[14:15], v44, s36, 0
	v_add3_u32 v7, v7, v46, v45
	v_lshl_add_u64 v[4:5], v[4:5], 1, s[38:39]
	v_lshl_add_u64 v[6:7], v[6:7], 1, s[38:39]
	s_mov_b64 s[48:49], 0
	s_mov_b64 s[54:55], s[36:37]
                                        ; implicit-def: $sgpr50_sgpr51
                                        ; implicit-def: $sgpr52_sgpr53
                                        ; implicit-def: $sgpr14_sgpr15
                                        ; implicit-def: $sgpr56_sgpr57
	s_branch .LBB1361_1139
.LBB1361_1138:                          ;   in Loop: Header=BB1361_1139 Depth=1
	s_or_b64 exec, exec, s[60:61]
	s_and_b64 s[16:17], exec, s[52:53]
	s_or_b64 s[48:49], s[16:17], s[48:49]
	s_andn2_b64 s[16:17], s[56:57], exec
	s_and_b64 s[56:57], s[58:59], exec
	s_or_b64 s[56:57], s[16:17], s[56:57]
	s_andn2_b64 s[16:17], s[50:51], exec
	s_and_b64 s[50:51], s[14:15], exec
	s_or_b64 s[50:51], s[16:17], s[50:51]
	s_andn2_b64 exec, exec, s[48:49]
	s_cbranch_execz .LBB1361_1141
.LBB1361_1139:                          ; =>This Inner Loop Header: Depth=1
	global_load_ushort v45, v[4:5], off
	global_load_ushort v46, v[6:7], off
	s_andn2_b64 s[60:61], s[14:15], exec
	s_or_b64 s[52:53], s[52:53], exec
	s_waitcnt vmcnt(0)
	v_cmp_le_u16_e64 s[14:15], v45, v46
	v_cmp_lt_u16_e32 vcc, v45, v46
	s_and_b64 s[14:15], s[14:15], s[56:57]
	s_or_b64 s[58:59], vcc, s[14:15]
	s_and_b64 s[14:15], s[58:59], exec
	v_cmp_eq_u16_e64 s[16:17], v45, v46
	s_or_b64 s[14:15], s[60:61], s[14:15]
	s_and_saveexec_b64 s[60:61], s[16:17]
	s_cbranch_execz .LBB1361_1138
; %bb.1140:                             ;   in Loop: Header=BB1361_1139 Depth=1
	s_add_u32 s54, s54, -1
	s_addc_u32 s55, s55, -1
	s_cmp_eq_u64 s[54:55], 0
	s_cselect_b64 s[16:17], -1, 0
	s_andn2_b64 s[52:53], s[52:53], exec
	s_and_b64 s[16:17], s[16:17], exec
	v_lshl_add_u64 v[4:5], v[4:5], 0, 2
	v_lshl_add_u64 v[6:7], v[6:7], 0, 2
	s_andn2_b64 s[14:15], s[14:15], exec
	s_or_b64 s[52:53], s[52:53], s[16:17]
                                        ; implicit-def: $sgpr56_sgpr57
	s_branch .LBB1361_1138
.LBB1361_1141:
	s_or_b64 exec, exec, s[48:49]
	s_xor_b64 s[14:15], s[50:51], -1
	s_branch .LBB1361_1143
.LBB1361_1142:
	s_mov_b64 s[14:15], -1
.LBB1361_1143:
	s_and_b64 s[14:15], s[14:15], exec
.LBB1361_1144:
	s_or_b64 exec, exec, s[44:45]
	s_orn2_b64 s[44:45], s[14:15], exec
.LBB1361_1145:
	s_or_b64 exec, exec, s[46:47]
	v_cndmask_b32_e64 v4, v47, v51, s[44:45]
	v_cndmask_b32_e64 v5, v25, v24, s[44:45]
	v_add_u32_e32 v6, 1, v4
	v_add_u32_e32 v4, -1, v5
	v_min_u32_e32 v4, v6, v4
	v_lshl_add_u32 v4, v4, 3, v33
	ds_read_b64 v[4:5], v4
	v_cndmask_b32_e64 v48, v6, v47, s[44:45]
	v_cndmask_b32_e64 v47, v51, v6, s[44:45]
	v_cmp_lt_u32_e32 vcc, v48, v25
	s_waitcnt lgkmcnt(0)
	v_cndmask_b32_e64 v45, v5, v8, s[44:45]
	v_cndmask_b32_e64 v46, v4, v43, s[44:45]
	;; [unrolled: 1-line block ×4, first 2 shown]
	s_and_saveexec_b64 s[46:47], vcc
	s_cbranch_execz .LBB1361_1156
; %bb.1146:
	v_cmp_lt_u32_e32 vcc, v47, v24
	s_mov_b64 s[14:15], 0
	s_and_saveexec_b64 s[30:31], vcc
	s_cbranch_execz .LBB1361_1155
; %bb.1147:
	s_andn2_b64 vcc, exec, s[42:43]
	s_cbranch_vccnz .LBB1361_1153
; %bb.1148:
	v_mul_lo_u32 v6, v45, s36
	v_mul_lo_u32 v7, v46, s37
	v_mad_u64_u32 v[4:5], s[14:15], v46, s36, 0
	v_add3_u32 v5, v5, v7, v6
	v_mul_lo_u32 v51, v49, s36
	v_mul_lo_u32 v52, v50, s37
	v_mad_u64_u32 v[6:7], s[14:15], v50, s36, 0
	v_add3_u32 v7, v7, v52, v51
	v_lshl_add_u64 v[4:5], v[4:5], 1, s[38:39]
	v_lshl_add_u64 v[6:7], v[6:7], 1, s[38:39]
	s_mov_b64 s[48:49], 0
	s_mov_b64 s[54:55], s[36:37]
                                        ; implicit-def: $sgpr50_sgpr51
                                        ; implicit-def: $sgpr52_sgpr53
                                        ; implicit-def: $sgpr14_sgpr15
                                        ; implicit-def: $sgpr56_sgpr57
	s_branch .LBB1361_1150
.LBB1361_1149:                          ;   in Loop: Header=BB1361_1150 Depth=1
	s_or_b64 exec, exec, s[60:61]
	s_and_b64 s[16:17], exec, s[52:53]
	s_or_b64 s[48:49], s[16:17], s[48:49]
	s_andn2_b64 s[16:17], s[56:57], exec
	s_and_b64 s[56:57], s[58:59], exec
	s_or_b64 s[56:57], s[16:17], s[56:57]
	s_andn2_b64 s[16:17], s[50:51], exec
	s_and_b64 s[50:51], s[14:15], exec
	s_or_b64 s[50:51], s[16:17], s[50:51]
	s_andn2_b64 exec, exec, s[48:49]
	s_cbranch_execz .LBB1361_1152
.LBB1361_1150:                          ; =>This Inner Loop Header: Depth=1
	global_load_ushort v51, v[4:5], off
	global_load_ushort v52, v[6:7], off
	s_andn2_b64 s[60:61], s[14:15], exec
	s_or_b64 s[52:53], s[52:53], exec
	s_waitcnt vmcnt(0)
	v_cmp_le_u16_e64 s[14:15], v51, v52
	v_cmp_lt_u16_e32 vcc, v51, v52
	s_and_b64 s[14:15], s[14:15], s[56:57]
	s_or_b64 s[58:59], vcc, s[14:15]
	s_and_b64 s[14:15], s[58:59], exec
	v_cmp_eq_u16_e64 s[16:17], v51, v52
	s_or_b64 s[14:15], s[60:61], s[14:15]
	s_and_saveexec_b64 s[60:61], s[16:17]
	s_cbranch_execz .LBB1361_1149
; %bb.1151:                             ;   in Loop: Header=BB1361_1150 Depth=1
	s_add_u32 s54, s54, -1
	s_addc_u32 s55, s55, -1
	s_cmp_eq_u64 s[54:55], 0
	s_cselect_b64 s[16:17], -1, 0
	s_andn2_b64 s[52:53], s[52:53], exec
	s_and_b64 s[16:17], s[16:17], exec
	v_lshl_add_u64 v[4:5], v[4:5], 0, 2
	v_lshl_add_u64 v[6:7], v[6:7], 0, 2
	s_andn2_b64 s[14:15], s[14:15], exec
	s_or_b64 s[52:53], s[52:53], s[16:17]
                                        ; implicit-def: $sgpr56_sgpr57
	s_branch .LBB1361_1149
.LBB1361_1152:
	s_or_b64 exec, exec, s[48:49]
	s_xor_b64 s[14:15], s[50:51], -1
	s_branch .LBB1361_1154
.LBB1361_1153:
	s_mov_b64 s[14:15], -1
.LBB1361_1154:
	s_and_b64 s[14:15], s[14:15], exec
.LBB1361_1155:
	s_or_b64 exec, exec, s[30:31]
	s_orn2_b64 s[30:31], s[14:15], exec
.LBB1361_1156:
	s_or_b64 exec, exec, s[46:47]
	v_cndmask_b32_e64 v4, v48, v47, s[30:31]
	v_cndmask_b32_e64 v5, v25, v24, s[30:31]
	;; [unrolled: 1-line block ×4, first 2 shown]
	v_add_u32_e32 v37, 1, v4
	v_add_u32_e32 v4, -1, v5
	v_min_u32_e32 v4, v37, v4
	v_lshl_add_u32 v4, v4, 3, v33
	v_cndmask_b32_e64 v11, v10, v11, s[24:25]
	v_cndmask_b32_e64 v10, v17, v23, s[24:25]
	;; [unrolled: 1-line block ×4, first 2 shown]
	ds_read_b64 v[22:23], v4
	v_cndmask_b32_e64 v14, v2, v0, s[20:21]
	v_cndmask_b32_e64 v0, v37, v48, s[30:31]
	;; [unrolled: 1-line block ×9, first 2 shown]
	s_waitcnt lgkmcnt(0)
	v_cndmask_b32_e64 v5, v49, v23, s[30:31]
	v_cndmask_b32_e64 v4, v50, v22, s[30:31]
	v_cmp_lt_u32_e32 vcc, v0, v25
	s_and_saveexec_b64 s[20:21], vcc
	s_cbranch_execz .LBB1361_1166
; %bb.1157:
	v_cndmask_b32_e64 v0, v22, v46, s[30:31]
	v_cndmask_b32_e64 v22, v47, v37, s[30:31]
	;; [unrolled: 1-line block ×3, first 2 shown]
	v_cmp_lt_u32_e32 vcc, v22, v24
	s_and_saveexec_b64 s[22:23], vcc
	s_cbranch_execz .LBB1361_1165
; %bb.1158:
	s_andn2_b64 vcc, exec, s[42:43]
	s_cbranch_vccnz .LBB1361_1164
; %bb.1159:
	v_mul_lo_u32 v24, v1, s36
	v_mul_lo_u32 v25, v0, s37
	v_mad_u64_u32 v[22:23], s[14:15], v0, s36, 0
	v_add3_u32 v23, v23, v25, v24
	v_mul_lo_u32 v37, v5, s36
	v_mul_lo_u32 v38, v4, s37
	v_mad_u64_u32 v[24:25], s[14:15], v4, s36, 0
	v_add3_u32 v25, v25, v38, v37
	v_lshl_add_u64 v[22:23], v[22:23], 1, s[38:39]
	v_lshl_add_u64 v[24:25], v[24:25], 1, s[38:39]
	s_mov_b64 s[24:25], 0
	s_mov_b64 s[30:31], s[36:37]
                                        ; implicit-def: $sgpr26_sgpr27
                                        ; implicit-def: $sgpr28_sgpr29
                                        ; implicit-def: $sgpr14_sgpr15
                                        ; implicit-def: $sgpr44_sgpr45
	s_branch .LBB1361_1161
.LBB1361_1160:                          ;   in Loop: Header=BB1361_1161 Depth=1
	s_or_b64 exec, exec, s[48:49]
	s_and_b64 s[16:17], exec, s[28:29]
	s_or_b64 s[24:25], s[16:17], s[24:25]
	s_andn2_b64 s[16:17], s[44:45], exec
	s_and_b64 s[44:45], s[46:47], exec
	s_or_b64 s[44:45], s[16:17], s[44:45]
	s_andn2_b64 s[16:17], s[26:27], exec
	s_and_b64 s[26:27], s[14:15], exec
	s_or_b64 s[26:27], s[16:17], s[26:27]
	s_andn2_b64 exec, exec, s[24:25]
	s_cbranch_execz .LBB1361_1163
.LBB1361_1161:                          ; =>This Inner Loop Header: Depth=1
	global_load_ushort v37, v[22:23], off
	global_load_ushort v38, v[24:25], off
	s_andn2_b64 s[48:49], s[14:15], exec
	s_or_b64 s[28:29], s[28:29], exec
	s_waitcnt vmcnt(0)
	v_cmp_le_u16_e64 s[14:15], v37, v38
	v_cmp_lt_u16_e32 vcc, v37, v38
	s_and_b64 s[14:15], s[14:15], s[44:45]
	s_or_b64 s[46:47], vcc, s[14:15]
	s_and_b64 s[14:15], s[46:47], exec
	v_cmp_eq_u16_e64 s[16:17], v37, v38
	s_or_b64 s[14:15], s[48:49], s[14:15]
	s_and_saveexec_b64 s[48:49], s[16:17]
	s_cbranch_execz .LBB1361_1160
; %bb.1162:                             ;   in Loop: Header=BB1361_1161 Depth=1
	s_add_u32 s30, s30, -1
	s_addc_u32 s31, s31, -1
	s_cmp_eq_u64 s[30:31], 0
	s_cselect_b64 s[16:17], -1, 0
	s_andn2_b64 s[28:29], s[28:29], exec
	s_and_b64 s[16:17], s[16:17], exec
	v_lshl_add_u64 v[22:23], v[22:23], 0, 2
	v_lshl_add_u64 v[24:25], v[24:25], 0, 2
	s_andn2_b64 s[14:15], s[14:15], exec
	s_or_b64 s[28:29], s[28:29], s[16:17]
                                        ; implicit-def: $sgpr44_sgpr45
	s_branch .LBB1361_1160
.LBB1361_1163:
	s_or_b64 exec, exec, s[24:25]
	v_cndmask_b32_e64 v5, v5, v1, s[26:27]
	v_cndmask_b32_e64 v4, v4, v0, s[26:27]
.LBB1361_1164:
	v_mov_b64_e32 v[0:1], v[4:5]
.LBB1361_1165:
	s_or_b64 exec, exec, s[22:23]
	v_mov_b64_e32 v[4:5], v[0:1]
.LBB1361_1166:
	s_or_b64 exec, exec, s[20:21]
.LBB1361_1167:
	s_or_b64 exec, exec, s[18:19]
	v_and_b32_e32 v39, 0x3c0, v35
	v_or_b32_e32 v0, 32, v39
	v_min_u32_e32 v24, v34, v0
	v_add_u32_e32 v0, 32, v24
	v_min_u32_e32 v25, v34, v0
	v_and_b32_e32 v0, 56, v35
	v_min_u32_e32 v40, v34, v0
	v_sub_u32_e32 v0, v24, v39
	v_sub_u32_e32 v1, v25, v24
	v_sub_u32_e64 v38, v40, v1 clamp
	v_min_u32_e32 v41, v40, v0
	v_lshl_add_u32 v37, v39, 3, v33
	v_cmp_lt_u32_e32 vcc, v38, v41
	; wave barrier
	ds_write_b128 v36, v[14:17]
	ds_write_b128 v36, v[10:13] offset:16
	ds_write_b128 v36, v[6:9] offset:32
	;; [unrolled: 1-line block ×3, first 2 shown]
	; wave barrier
	s_and_saveexec_b64 s[20:21], vcc
	s_cbranch_execz .LBB1361_1177
; %bb.1168:
	v_lshlrev_b32_e32 v0, 3, v24
	v_lshlrev_b32_e32 v1, 3, v40
	v_add3_u32 v42, v33, v0, v1
	v_cndmask_b32_e64 v0, 0, 1, s[42:43]
	s_lshl_b64 s[24:25], s[36:37], 1
	s_mov_b64 s[22:23], 0
	v_cmp_ne_u32_e64 s[14:15], 1, v0
	s_branch .LBB1361_1171
.LBB1361_1169:                          ;   in Loop: Header=BB1361_1171 Depth=1
	s_or_b64 exec, exec, s[28:29]
.LBB1361_1170:                          ;   in Loop: Header=BB1361_1171 Depth=1
	v_add_u32_e32 v0, 1, v43
	v_cndmask_b32_e64 v41, v41, v43, s[26:27]
	v_cndmask_b32_e64 v38, v0, v38, s[26:27]
	v_cmp_ge_u32_e32 vcc, v38, v41
	s_or_b64 s[22:23], vcc, s[22:23]
	s_andn2_b64 exec, exec, s[22:23]
	s_cbranch_execz .LBB1361_1176
.LBB1361_1171:                          ; =>This Loop Header: Depth=1
                                        ;     Child Loop BB1361_1174 Depth 2
	v_add_u32_e32 v0, v41, v38
	v_lshrrev_b32_e32 v43, 1, v0
	s_and_b64 vcc, exec, s[14:15]
	s_mov_b64 s[26:27], 0
	s_cbranch_vccnz .LBB1361_1170
; %bb.1172:                             ;   in Loop: Header=BB1361_1171 Depth=1
	v_not_b32_e32 v0, v43
	v_lshl_add_u32 v0, v0, 3, v42
	ds_read_b64 v[0:1], v0
	v_lshl_add_u32 v44, v43, 3, v37
	ds_read_b64 v[44:45], v44
	v_mov_b64_e32 v[22:23], s[38:39]
	s_mov_b64 s[28:29], 0
	s_waitcnt lgkmcnt(1)
	v_mul_lo_u32 v46, s24, v1
	v_mul_lo_u32 v47, s25, v0
	v_mad_u64_u32 v[0:1], s[16:17], s24, v0, v[22:23]
	v_add3_u32 v1, v47, v1, v46
	s_waitcnt lgkmcnt(0)
	v_mul_lo_u32 v45, s24, v45
	v_mul_lo_u32 v46, s25, v44
	v_mad_u64_u32 v[22:23], s[16:17], s24, v44, v[22:23]
	v_add3_u32 v23, v46, v23, v45
	s_mov_b64 s[44:45], s[36:37]
                                        ; implicit-def: $sgpr26_sgpr27
                                        ; implicit-def: $sgpr30_sgpr31
                                        ; implicit-def: $sgpr16_sgpr17
                                        ; implicit-def: $sgpr46_sgpr47
	s_branch .LBB1361_1174
.LBB1361_1173:                          ;   in Loop: Header=BB1361_1174 Depth=2
	s_or_b64 exec, exec, s[50:51]
	s_and_b64 s[18:19], exec, s[30:31]
	s_or_b64 s[28:29], s[18:19], s[28:29]
	s_andn2_b64 s[18:19], s[46:47], exec
	s_and_b64 s[46:47], s[48:49], exec
	s_or_b64 s[46:47], s[18:19], s[46:47]
	s_andn2_b64 s[18:19], s[26:27], exec
	s_and_b64 s[26:27], s[16:17], exec
	s_or_b64 s[26:27], s[18:19], s[26:27]
	s_andn2_b64 exec, exec, s[28:29]
	s_cbranch_execz .LBB1361_1169
.LBB1361_1174:                          ;   Parent Loop BB1361_1171 Depth=1
                                        ; =>  This Inner Loop Header: Depth=2
	global_load_ushort v44, v[0:1], off
	global_load_ushort v45, v[22:23], off
	s_andn2_b64 s[50:51], s[16:17], exec
	s_or_b64 s[30:31], s[30:31], exec
	s_waitcnt vmcnt(0)
	v_cmp_le_u16_e64 s[16:17], v44, v45
	v_cmp_lt_u16_e32 vcc, v44, v45
	s_and_b64 s[16:17], s[16:17], s[46:47]
	s_or_b64 s[48:49], vcc, s[16:17]
	s_and_b64 s[16:17], s[48:49], exec
	v_cmp_eq_u16_e64 s[18:19], v44, v45
	s_or_b64 s[16:17], s[50:51], s[16:17]
	s_and_saveexec_b64 s[50:51], s[18:19]
	s_cbranch_execz .LBB1361_1173
; %bb.1175:                             ;   in Loop: Header=BB1361_1174 Depth=2
	s_add_u32 s44, s44, -1
	s_addc_u32 s45, s45, -1
	s_cmp_eq_u64 s[44:45], 0
	s_cselect_b64 s[18:19], -1, 0
	s_andn2_b64 s[30:31], s[30:31], exec
	s_and_b64 s[18:19], s[18:19], exec
	v_lshl_add_u64 v[0:1], v[0:1], 0, 2
	v_lshl_add_u64 v[22:23], v[22:23], 0, 2
	s_andn2_b64 s[16:17], s[16:17], exec
	s_or_b64 s[30:31], s[30:31], s[18:19]
                                        ; implicit-def: $sgpr46_sgpr47
	s_branch .LBB1361_1173
.LBB1361_1176:
	s_or_b64 exec, exec, s[22:23]
.LBB1361_1177:
	s_or_b64 exec, exec, s[20:21]
	v_add_u32_e32 v0, v24, v40
	v_add_u32_e32 v23, v38, v39
	v_sub_u32_e32 v39, v0, v38
	v_cmp_le_u32_e32 vcc, v23, v24
	v_cmp_le_u32_e64 s[14:15], v39, v25
	s_or_b64 s[14:15], vcc, s[14:15]
	s_and_saveexec_b64 s[18:19], s[14:15]
	s_cbranch_execz .LBB1361_1268
; %bb.1178:
	v_cmp_ge_u32_e32 vcc, v23, v24
	v_cmp_lt_u32_e64 s[14:15], v23, v24
                                        ; implicit-def: $vgpr0_vgpr1
	s_and_saveexec_b64 s[16:17], s[14:15]
; %bb.1179:
	v_lshl_add_u32 v0, v38, 3, v37
	ds_read_b64 v[0:1], v0
; %bb.1180:
	s_or_b64 exec, exec, s[16:17]
	v_cmp_ge_u32_e64 s[20:21], v39, v25
	v_cmp_lt_u32_e64 s[14:15], v39, v25
                                        ; implicit-def: $vgpr2_vgpr3
	s_and_saveexec_b64 s[16:17], s[14:15]
; %bb.1181:
	v_lshl_add_u32 v2, v39, 3, v33
	ds_read_b64 v[2:3], v2
; %bb.1182:
	s_or_b64 exec, exec, s[16:17]
	s_nor_b64 s[14:15], vcc, s[20:21]
	s_and_saveexec_b64 s[22:23], s[14:15]
	s_cbranch_execz .LBB1361_1191
; %bb.1183:
	s_andn2_b64 vcc, exec, s[42:43]
	s_cbranch_vccnz .LBB1361_1189
; %bb.1184:
	s_waitcnt lgkmcnt(0)
	v_mul_lo_u32 v6, v3, s36
	v_mul_lo_u32 v7, v2, s37
	v_mad_u64_u32 v[4:5], s[14:15], v2, s36, 0
	v_add3_u32 v5, v5, v7, v6
	v_mul_lo_u32 v8, v1, s36
	v_mul_lo_u32 v9, v0, s37
	v_mad_u64_u32 v[6:7], s[14:15], v0, s36, 0
	v_add3_u32 v7, v7, v9, v8
	v_lshl_add_u64 v[4:5], v[4:5], 1, s[38:39]
	v_lshl_add_u64 v[6:7], v[6:7], 1, s[38:39]
	s_mov_b64 s[24:25], 0
	s_mov_b64 s[30:31], s[36:37]
                                        ; implicit-def: $sgpr26_sgpr27
                                        ; implicit-def: $sgpr28_sgpr29
                                        ; implicit-def: $sgpr14_sgpr15
                                        ; implicit-def: $sgpr44_sgpr45
	s_branch .LBB1361_1186
.LBB1361_1185:                          ;   in Loop: Header=BB1361_1186 Depth=1
	s_or_b64 exec, exec, s[48:49]
	s_and_b64 s[16:17], exec, s[28:29]
	s_or_b64 s[24:25], s[16:17], s[24:25]
	s_andn2_b64 s[16:17], s[44:45], exec
	s_and_b64 s[44:45], s[46:47], exec
	s_or_b64 s[44:45], s[16:17], s[44:45]
	s_andn2_b64 s[16:17], s[26:27], exec
	s_and_b64 s[26:27], s[14:15], exec
	s_or_b64 s[26:27], s[16:17], s[26:27]
	s_andn2_b64 exec, exec, s[24:25]
	s_cbranch_execz .LBB1361_1188
.LBB1361_1186:                          ; =>This Inner Loop Header: Depth=1
	global_load_ushort v8, v[4:5], off
	global_load_ushort v9, v[6:7], off
	s_andn2_b64 s[48:49], s[14:15], exec
	s_or_b64 s[28:29], s[28:29], exec
	s_waitcnt vmcnt(0)
	v_cmp_le_u16_e64 s[14:15], v8, v9
	v_cmp_lt_u16_e32 vcc, v8, v9
	s_and_b64 s[14:15], s[14:15], s[44:45]
	s_or_b64 s[46:47], vcc, s[14:15]
	s_and_b64 s[14:15], s[46:47], exec
	v_cmp_eq_u16_e64 s[16:17], v8, v9
	s_or_b64 s[14:15], s[48:49], s[14:15]
	s_and_saveexec_b64 s[48:49], s[16:17]
	s_cbranch_execz .LBB1361_1185
; %bb.1187:                             ;   in Loop: Header=BB1361_1186 Depth=1
	s_add_u32 s30, s30, -1
	s_addc_u32 s31, s31, -1
	s_cmp_eq_u64 s[30:31], 0
	s_cselect_b64 s[16:17], -1, 0
	s_andn2_b64 s[28:29], s[28:29], exec
	s_and_b64 s[16:17], s[16:17], exec
	v_lshl_add_u64 v[4:5], v[4:5], 0, 2
	v_lshl_add_u64 v[6:7], v[6:7], 0, 2
	s_andn2_b64 s[14:15], s[14:15], exec
	s_or_b64 s[28:29], s[28:29], s[16:17]
                                        ; implicit-def: $sgpr44_sgpr45
	s_branch .LBB1361_1185
.LBB1361_1188:
	s_or_b64 exec, exec, s[24:25]
	s_xor_b64 s[14:15], s[26:27], -1
	s_branch .LBB1361_1190
.LBB1361_1189:
	s_mov_b64 s[14:15], -1
.LBB1361_1190:
	s_andn2_b64 s[16:17], s[20:21], exec
	s_and_b64 s[14:15], s[14:15], exec
	s_or_b64 s[20:21], s[16:17], s[14:15]
.LBB1361_1191:
	s_or_b64 exec, exec, s[22:23]
	v_cndmask_b32_e64 v4, v39, v23, s[20:21]
	v_cndmask_b32_e64 v5, v25, v24, s[20:21]
	v_add_u32_e32 v6, 1, v4
	v_add_u32_e32 v4, -1, v5
	v_min_u32_e32 v4, v6, v4
	v_lshl_add_u32 v4, v4, 3, v33
	ds_read_b64 v[4:5], v4
	v_cndmask_b32_e64 v8, v6, v39, s[20:21]
	v_cndmask_b32_e64 v9, v23, v6, s[20:21]
	v_cmp_lt_u32_e32 vcc, v8, v25
	s_mov_b64 s[24:25], -1
	s_waitcnt lgkmcnt(0)
	v_cndmask_b32_e64 v14, v5, v3, s[20:21]
	v_cndmask_b32_e64 v15, v4, v2, s[20:21]
	;; [unrolled: 1-line block ×4, first 2 shown]
	s_mov_b64 s[22:23], -1
	s_and_saveexec_b64 s[26:27], vcc
	s_cbranch_execz .LBB1361_1202
; %bb.1192:
	v_cmp_lt_u32_e32 vcc, v9, v24
	s_mov_b64 s[14:15], 0
	s_and_saveexec_b64 s[22:23], vcc
	s_cbranch_execz .LBB1361_1201
; %bb.1193:
	s_andn2_b64 vcc, exec, s[42:43]
	s_cbranch_vccnz .LBB1361_1199
; %bb.1194:
	v_mul_lo_u32 v6, v14, s36
	v_mul_lo_u32 v7, v15, s37
	v_mad_u64_u32 v[4:5], s[14:15], v15, s36, 0
	v_add3_u32 v5, v5, v7, v6
	v_mul_lo_u32 v10, v16, s36
	v_mul_lo_u32 v11, v22, s37
	v_mad_u64_u32 v[6:7], s[14:15], v22, s36, 0
	v_add3_u32 v7, v7, v11, v10
	v_lshl_add_u64 v[4:5], v[4:5], 1, s[38:39]
	v_lshl_add_u64 v[6:7], v[6:7], 1, s[38:39]
	s_mov_b64 s[28:29], 0
	s_mov_b64 s[46:47], s[36:37]
                                        ; implicit-def: $sgpr30_sgpr31
                                        ; implicit-def: $sgpr44_sgpr45
                                        ; implicit-def: $sgpr14_sgpr15
                                        ; implicit-def: $sgpr48_sgpr49
	s_branch .LBB1361_1196
.LBB1361_1195:                          ;   in Loop: Header=BB1361_1196 Depth=1
	s_or_b64 exec, exec, s[52:53]
	s_and_b64 s[16:17], exec, s[44:45]
	s_or_b64 s[28:29], s[16:17], s[28:29]
	s_andn2_b64 s[16:17], s[48:49], exec
	s_and_b64 s[48:49], s[50:51], exec
	s_or_b64 s[48:49], s[16:17], s[48:49]
	s_andn2_b64 s[16:17], s[30:31], exec
	s_and_b64 s[30:31], s[14:15], exec
	s_or_b64 s[30:31], s[16:17], s[30:31]
	s_andn2_b64 exec, exec, s[28:29]
	s_cbranch_execz .LBB1361_1198
.LBB1361_1196:                          ; =>This Inner Loop Header: Depth=1
	global_load_ushort v10, v[4:5], off
	global_load_ushort v11, v[6:7], off
	s_andn2_b64 s[52:53], s[14:15], exec
	s_or_b64 s[44:45], s[44:45], exec
	s_waitcnt vmcnt(0)
	v_cmp_le_u16_e64 s[14:15], v10, v11
	v_cmp_lt_u16_e32 vcc, v10, v11
	s_and_b64 s[14:15], s[14:15], s[48:49]
	s_or_b64 s[50:51], vcc, s[14:15]
	s_and_b64 s[14:15], s[50:51], exec
	v_cmp_eq_u16_e64 s[16:17], v10, v11
	s_or_b64 s[14:15], s[52:53], s[14:15]
	s_and_saveexec_b64 s[52:53], s[16:17]
	s_cbranch_execz .LBB1361_1195
; %bb.1197:                             ;   in Loop: Header=BB1361_1196 Depth=1
	s_add_u32 s46, s46, -1
	s_addc_u32 s47, s47, -1
	s_cmp_eq_u64 s[46:47], 0
	s_cselect_b64 s[16:17], -1, 0
	s_andn2_b64 s[44:45], s[44:45], exec
	s_and_b64 s[16:17], s[16:17], exec
	v_lshl_add_u64 v[4:5], v[4:5], 0, 2
	v_lshl_add_u64 v[6:7], v[6:7], 0, 2
	s_andn2_b64 s[14:15], s[14:15], exec
	s_or_b64 s[44:45], s[44:45], s[16:17]
                                        ; implicit-def: $sgpr48_sgpr49
	s_branch .LBB1361_1195
.LBB1361_1198:
	s_or_b64 exec, exec, s[28:29]
	s_xor_b64 s[14:15], s[30:31], -1
	s_branch .LBB1361_1200
.LBB1361_1199:
	s_mov_b64 s[14:15], -1
.LBB1361_1200:
	s_and_b64 s[14:15], s[14:15], exec
.LBB1361_1201:
	s_or_b64 exec, exec, s[22:23]
	s_orn2_b64 s[22:23], s[14:15], exec
.LBB1361_1202:
	s_or_b64 exec, exec, s[26:27]
	v_cndmask_b32_e64 v4, v8, v9, s[22:23]
	v_cndmask_b32_e64 v5, v25, v24, s[22:23]
	v_add_u32_e32 v6, 1, v4
	v_add_u32_e32 v4, -1, v5
	v_min_u32_e32 v4, v6, v4
	v_lshl_add_u32 v4, v4, 3, v33
	ds_read_b64 v[4:5], v4
	v_cndmask_b32_e64 v8, v6, v8, s[22:23]
	v_cndmask_b32_e64 v9, v9, v6, s[22:23]
	v_cmp_lt_u32_e32 vcc, v8, v25
	s_waitcnt lgkmcnt(0)
	v_cndmask_b32_e64 v10, v5, v14, s[22:23]
	v_cndmask_b32_e64 v17, v4, v15, s[22:23]
	;; [unrolled: 1-line block ×4, first 2 shown]
	s_and_saveexec_b64 s[26:27], vcc
	s_cbranch_execz .LBB1361_1213
; %bb.1203:
	v_cmp_lt_u32_e32 vcc, v9, v24
	s_mov_b64 s[14:15], 0
	s_and_saveexec_b64 s[24:25], vcc
	s_cbranch_execz .LBB1361_1212
; %bb.1204:
	s_andn2_b64 vcc, exec, s[42:43]
	s_cbranch_vccnz .LBB1361_1210
; %bb.1205:
	v_mul_lo_u32 v6, v10, s36
	v_mul_lo_u32 v7, v17, s37
	v_mad_u64_u32 v[4:5], s[14:15], v17, s36, 0
	v_add3_u32 v5, v5, v7, v6
	v_mul_lo_u32 v12, v11, s36
	v_mul_lo_u32 v13, v23, s37
	v_mad_u64_u32 v[6:7], s[14:15], v23, s36, 0
	v_add3_u32 v7, v7, v13, v12
	v_lshl_add_u64 v[4:5], v[4:5], 1, s[38:39]
	v_lshl_add_u64 v[6:7], v[6:7], 1, s[38:39]
	s_mov_b64 s[28:29], 0
	s_mov_b64 s[46:47], s[36:37]
                                        ; implicit-def: $sgpr30_sgpr31
                                        ; implicit-def: $sgpr44_sgpr45
                                        ; implicit-def: $sgpr14_sgpr15
                                        ; implicit-def: $sgpr48_sgpr49
	s_branch .LBB1361_1207
.LBB1361_1206:                          ;   in Loop: Header=BB1361_1207 Depth=1
	s_or_b64 exec, exec, s[52:53]
	s_and_b64 s[16:17], exec, s[44:45]
	s_or_b64 s[28:29], s[16:17], s[28:29]
	s_andn2_b64 s[16:17], s[48:49], exec
	s_and_b64 s[48:49], s[50:51], exec
	s_or_b64 s[48:49], s[16:17], s[48:49]
	s_andn2_b64 s[16:17], s[30:31], exec
	s_and_b64 s[30:31], s[14:15], exec
	s_or_b64 s[30:31], s[16:17], s[30:31]
	s_andn2_b64 exec, exec, s[28:29]
	s_cbranch_execz .LBB1361_1209
.LBB1361_1207:                          ; =>This Inner Loop Header: Depth=1
	global_load_ushort v12, v[4:5], off
	global_load_ushort v13, v[6:7], off
	s_andn2_b64 s[52:53], s[14:15], exec
	s_or_b64 s[44:45], s[44:45], exec
	s_waitcnt vmcnt(0)
	v_cmp_le_u16_e64 s[14:15], v12, v13
	v_cmp_lt_u16_e32 vcc, v12, v13
	s_and_b64 s[14:15], s[14:15], s[48:49]
	s_or_b64 s[50:51], vcc, s[14:15]
	s_and_b64 s[14:15], s[50:51], exec
	v_cmp_eq_u16_e64 s[16:17], v12, v13
	s_or_b64 s[14:15], s[52:53], s[14:15]
	s_and_saveexec_b64 s[52:53], s[16:17]
	s_cbranch_execz .LBB1361_1206
; %bb.1208:                             ;   in Loop: Header=BB1361_1207 Depth=1
	s_add_u32 s46, s46, -1
	s_addc_u32 s47, s47, -1
	s_cmp_eq_u64 s[46:47], 0
	s_cselect_b64 s[16:17], -1, 0
	s_andn2_b64 s[44:45], s[44:45], exec
	s_and_b64 s[16:17], s[16:17], exec
	v_lshl_add_u64 v[4:5], v[4:5], 0, 2
	v_lshl_add_u64 v[6:7], v[6:7], 0, 2
	s_andn2_b64 s[14:15], s[14:15], exec
	s_or_b64 s[44:45], s[44:45], s[16:17]
                                        ; implicit-def: $sgpr48_sgpr49
	s_branch .LBB1361_1206
.LBB1361_1209:
	s_or_b64 exec, exec, s[28:29]
	s_xor_b64 s[14:15], s[30:31], -1
	s_branch .LBB1361_1211
.LBB1361_1210:
	s_mov_b64 s[14:15], -1
.LBB1361_1211:
	s_and_b64 s[14:15], s[14:15], exec
.LBB1361_1212:
	s_or_b64 exec, exec, s[24:25]
	s_orn2_b64 s[24:25], s[14:15], exec
.LBB1361_1213:
	s_or_b64 exec, exec, s[26:27]
	v_cndmask_b32_e64 v4, v8, v9, s[24:25]
	v_cndmask_b32_e64 v5, v25, v24, s[24:25]
	v_add_u32_e32 v6, 1, v4
	v_add_u32_e32 v4, -1, v5
	v_min_u32_e32 v4, v6, v4
	v_lshl_add_u32 v4, v4, 3, v33
	ds_read_b64 v[4:5], v4
	v_cndmask_b32_e64 v8, v6, v8, s[24:25]
	v_cndmask_b32_e64 v9, v9, v6, s[24:25]
	v_cmp_lt_u32_e32 vcc, v8, v25
	s_mov_b64 s[28:29], -1
	s_waitcnt lgkmcnt(0)
	v_cndmask_b32_e64 v12, v5, v10, s[24:25]
	v_cndmask_b32_e64 v37, v4, v17, s[24:25]
	;; [unrolled: 1-line block ×4, first 2 shown]
	s_mov_b64 s[26:27], -1
	s_and_saveexec_b64 s[30:31], vcc
	s_cbranch_execz .LBB1361_1224
; %bb.1214:
	v_cmp_lt_u32_e32 vcc, v9, v24
	s_mov_b64 s[14:15], 0
	s_and_saveexec_b64 s[26:27], vcc
	s_cbranch_execz .LBB1361_1223
; %bb.1215:
	s_andn2_b64 vcc, exec, s[42:43]
	s_cbranch_vccnz .LBB1361_1221
; %bb.1216:
	v_mul_lo_u32 v6, v12, s36
	v_mul_lo_u32 v7, v37, s37
	v_mad_u64_u32 v[4:5], s[14:15], v37, s36, 0
	v_add3_u32 v5, v5, v7, v6
	v_mul_lo_u32 v39, v13, s36
	v_mul_lo_u32 v40, v38, s37
	v_mad_u64_u32 v[6:7], s[14:15], v38, s36, 0
	v_add3_u32 v7, v7, v40, v39
	v_lshl_add_u64 v[4:5], v[4:5], 1, s[38:39]
	v_lshl_add_u64 v[6:7], v[6:7], 1, s[38:39]
	s_mov_b64 s[44:45], 0
	s_mov_b64 s[50:51], s[36:37]
                                        ; implicit-def: $sgpr46_sgpr47
                                        ; implicit-def: $sgpr48_sgpr49
                                        ; implicit-def: $sgpr14_sgpr15
                                        ; implicit-def: $sgpr52_sgpr53
	s_branch .LBB1361_1218
.LBB1361_1217:                          ;   in Loop: Header=BB1361_1218 Depth=1
	s_or_b64 exec, exec, s[56:57]
	s_and_b64 s[16:17], exec, s[48:49]
	s_or_b64 s[44:45], s[16:17], s[44:45]
	s_andn2_b64 s[16:17], s[52:53], exec
	s_and_b64 s[52:53], s[54:55], exec
	s_or_b64 s[52:53], s[16:17], s[52:53]
	s_andn2_b64 s[16:17], s[46:47], exec
	s_and_b64 s[46:47], s[14:15], exec
	s_or_b64 s[46:47], s[16:17], s[46:47]
	s_andn2_b64 exec, exec, s[44:45]
	s_cbranch_execz .LBB1361_1220
.LBB1361_1218:                          ; =>This Inner Loop Header: Depth=1
	global_load_ushort v39, v[4:5], off
	global_load_ushort v40, v[6:7], off
	s_andn2_b64 s[56:57], s[14:15], exec
	s_or_b64 s[48:49], s[48:49], exec
	s_waitcnt vmcnt(0)
	v_cmp_le_u16_e64 s[14:15], v39, v40
	v_cmp_lt_u16_e32 vcc, v39, v40
	s_and_b64 s[14:15], s[14:15], s[52:53]
	s_or_b64 s[54:55], vcc, s[14:15]
	s_and_b64 s[14:15], s[54:55], exec
	v_cmp_eq_u16_e64 s[16:17], v39, v40
	s_or_b64 s[14:15], s[56:57], s[14:15]
	s_and_saveexec_b64 s[56:57], s[16:17]
	s_cbranch_execz .LBB1361_1217
; %bb.1219:                             ;   in Loop: Header=BB1361_1218 Depth=1
	s_add_u32 s50, s50, -1
	s_addc_u32 s51, s51, -1
	s_cmp_eq_u64 s[50:51], 0
	s_cselect_b64 s[16:17], -1, 0
	s_andn2_b64 s[48:49], s[48:49], exec
	s_and_b64 s[16:17], s[16:17], exec
	v_lshl_add_u64 v[4:5], v[4:5], 0, 2
	v_lshl_add_u64 v[6:7], v[6:7], 0, 2
	s_andn2_b64 s[14:15], s[14:15], exec
	s_or_b64 s[48:49], s[48:49], s[16:17]
                                        ; implicit-def: $sgpr52_sgpr53
	s_branch .LBB1361_1217
.LBB1361_1220:
	s_or_b64 exec, exec, s[44:45]
	s_xor_b64 s[14:15], s[46:47], -1
	s_branch .LBB1361_1222
.LBB1361_1221:
	s_mov_b64 s[14:15], -1
.LBB1361_1222:
	s_and_b64 s[14:15], s[14:15], exec
.LBB1361_1223:
	s_or_b64 exec, exec, s[26:27]
	s_orn2_b64 s[26:27], s[14:15], exec
.LBB1361_1224:
	s_or_b64 exec, exec, s[30:31]
	v_cndmask_b32_e64 v4, v8, v9, s[26:27]
	v_cndmask_b32_e64 v5, v25, v24, s[26:27]
	v_add_u32_e32 v6, 1, v4
	v_add_u32_e32 v4, -1, v5
	v_min_u32_e32 v4, v6, v4
	v_lshl_add_u32 v4, v4, 3, v33
	ds_read_b64 v[4:5], v4
	v_cndmask_b32_e64 v45, v6, v8, s[26:27]
	v_cndmask_b32_e64 v46, v9, v6, s[26:27]
	v_cmp_lt_u32_e32 vcc, v45, v25
	s_waitcnt lgkmcnt(0)
	v_cndmask_b32_e64 v39, v5, v12, s[26:27]
	v_cndmask_b32_e64 v40, v4, v37, s[26:27]
	;; [unrolled: 1-line block ×4, first 2 shown]
	s_and_saveexec_b64 s[30:31], vcc
	s_cbranch_execz .LBB1361_1235
; %bb.1225:
	v_cmp_lt_u32_e32 vcc, v46, v24
	s_mov_b64 s[14:15], 0
	s_and_saveexec_b64 s[28:29], vcc
	s_cbranch_execz .LBB1361_1234
; %bb.1226:
	s_andn2_b64 vcc, exec, s[42:43]
	s_cbranch_vccnz .LBB1361_1232
; %bb.1227:
	v_mul_lo_u32 v6, v39, s36
	v_mul_lo_u32 v7, v40, s37
	v_mad_u64_u32 v[4:5], s[14:15], v40, s36, 0
	v_add3_u32 v5, v5, v7, v6
	v_mul_lo_u32 v8, v41, s36
	v_mul_lo_u32 v9, v42, s37
	v_mad_u64_u32 v[6:7], s[14:15], v42, s36, 0
	v_add3_u32 v7, v7, v9, v8
	v_lshl_add_u64 v[4:5], v[4:5], 1, s[38:39]
	v_lshl_add_u64 v[6:7], v[6:7], 1, s[38:39]
	s_mov_b64 s[44:45], 0
	s_mov_b64 s[50:51], s[36:37]
                                        ; implicit-def: $sgpr46_sgpr47
                                        ; implicit-def: $sgpr48_sgpr49
                                        ; implicit-def: $sgpr14_sgpr15
                                        ; implicit-def: $sgpr52_sgpr53
	s_branch .LBB1361_1229
.LBB1361_1228:                          ;   in Loop: Header=BB1361_1229 Depth=1
	s_or_b64 exec, exec, s[56:57]
	s_and_b64 s[16:17], exec, s[48:49]
	s_or_b64 s[44:45], s[16:17], s[44:45]
	s_andn2_b64 s[16:17], s[52:53], exec
	s_and_b64 s[52:53], s[54:55], exec
	s_or_b64 s[52:53], s[16:17], s[52:53]
	s_andn2_b64 s[16:17], s[46:47], exec
	s_and_b64 s[46:47], s[14:15], exec
	s_or_b64 s[46:47], s[16:17], s[46:47]
	s_andn2_b64 exec, exec, s[44:45]
	s_cbranch_execz .LBB1361_1231
.LBB1361_1229:                          ; =>This Inner Loop Header: Depth=1
	global_load_ushort v8, v[4:5], off
	global_load_ushort v9, v[6:7], off
	s_andn2_b64 s[56:57], s[14:15], exec
	s_or_b64 s[48:49], s[48:49], exec
	s_waitcnt vmcnt(0)
	v_cmp_le_u16_e64 s[14:15], v8, v9
	v_cmp_lt_u16_e32 vcc, v8, v9
	s_and_b64 s[14:15], s[14:15], s[52:53]
	s_or_b64 s[54:55], vcc, s[14:15]
	s_and_b64 s[14:15], s[54:55], exec
	v_cmp_eq_u16_e64 s[16:17], v8, v9
	s_or_b64 s[14:15], s[56:57], s[14:15]
	s_and_saveexec_b64 s[56:57], s[16:17]
	s_cbranch_execz .LBB1361_1228
; %bb.1230:                             ;   in Loop: Header=BB1361_1229 Depth=1
	s_add_u32 s50, s50, -1
	s_addc_u32 s51, s51, -1
	s_cmp_eq_u64 s[50:51], 0
	s_cselect_b64 s[16:17], -1, 0
	s_andn2_b64 s[48:49], s[48:49], exec
	s_and_b64 s[16:17], s[16:17], exec
	v_lshl_add_u64 v[4:5], v[4:5], 0, 2
	v_lshl_add_u64 v[6:7], v[6:7], 0, 2
	s_andn2_b64 s[14:15], s[14:15], exec
	s_or_b64 s[48:49], s[48:49], s[16:17]
                                        ; implicit-def: $sgpr52_sgpr53
	s_branch .LBB1361_1228
.LBB1361_1231:
	s_or_b64 exec, exec, s[44:45]
	s_xor_b64 s[14:15], s[46:47], -1
	s_branch .LBB1361_1233
.LBB1361_1232:
	s_mov_b64 s[14:15], -1
.LBB1361_1233:
	s_and_b64 s[14:15], s[14:15], exec
.LBB1361_1234:
	s_or_b64 exec, exec, s[28:29]
	s_orn2_b64 s[28:29], s[14:15], exec
.LBB1361_1235:
	s_or_b64 exec, exec, s[30:31]
	v_cndmask_b32_e64 v4, v45, v46, s[28:29]
	v_cndmask_b32_e64 v5, v25, v24, s[28:29]
	v_add_u32_e32 v6, 1, v4
	v_add_u32_e32 v4, -1, v5
	v_min_u32_e32 v4, v6, v4
	v_lshl_add_u32 v4, v4, 3, v33
	ds_read_b64 v[4:5], v4
	v_cndmask_b32_e64 v47, v6, v45, s[28:29]
	v_cndmask_b32_e64 v51, v46, v6, s[28:29]
	v_cmp_lt_u32_e32 vcc, v47, v25
	s_mov_b64 s[30:31], -1
	s_waitcnt lgkmcnt(0)
	v_cndmask_b32_e64 v8, v5, v39, s[28:29]
	v_cndmask_b32_e64 v43, v4, v40, s[28:29]
	;; [unrolled: 1-line block ×4, first 2 shown]
	s_mov_b64 s[44:45], -1
	s_and_saveexec_b64 s[46:47], vcc
	s_cbranch_execz .LBB1361_1246
; %bb.1236:
	v_cmp_lt_u32_e32 vcc, v51, v24
	s_mov_b64 s[14:15], 0
	s_and_saveexec_b64 s[44:45], vcc
	s_cbranch_execz .LBB1361_1245
; %bb.1237:
	s_andn2_b64 vcc, exec, s[42:43]
	s_cbranch_vccnz .LBB1361_1243
; %bb.1238:
	v_mul_lo_u32 v6, v8, s36
	v_mul_lo_u32 v7, v43, s37
	v_mad_u64_u32 v[4:5], s[14:15], v43, s36, 0
	v_add3_u32 v5, v5, v7, v6
	v_mul_lo_u32 v45, v9, s36
	v_mul_lo_u32 v46, v44, s37
	v_mad_u64_u32 v[6:7], s[14:15], v44, s36, 0
	v_add3_u32 v7, v7, v46, v45
	v_lshl_add_u64 v[4:5], v[4:5], 1, s[38:39]
	v_lshl_add_u64 v[6:7], v[6:7], 1, s[38:39]
	s_mov_b64 s[48:49], 0
	s_mov_b64 s[54:55], s[36:37]
                                        ; implicit-def: $sgpr50_sgpr51
                                        ; implicit-def: $sgpr52_sgpr53
                                        ; implicit-def: $sgpr14_sgpr15
                                        ; implicit-def: $sgpr56_sgpr57
	s_branch .LBB1361_1240
.LBB1361_1239:                          ;   in Loop: Header=BB1361_1240 Depth=1
	s_or_b64 exec, exec, s[60:61]
	s_and_b64 s[16:17], exec, s[52:53]
	s_or_b64 s[48:49], s[16:17], s[48:49]
	s_andn2_b64 s[16:17], s[56:57], exec
	s_and_b64 s[56:57], s[58:59], exec
	s_or_b64 s[56:57], s[16:17], s[56:57]
	s_andn2_b64 s[16:17], s[50:51], exec
	s_and_b64 s[50:51], s[14:15], exec
	s_or_b64 s[50:51], s[16:17], s[50:51]
	s_andn2_b64 exec, exec, s[48:49]
	s_cbranch_execz .LBB1361_1242
.LBB1361_1240:                          ; =>This Inner Loop Header: Depth=1
	global_load_ushort v45, v[4:5], off
	global_load_ushort v46, v[6:7], off
	s_andn2_b64 s[60:61], s[14:15], exec
	s_or_b64 s[52:53], s[52:53], exec
	s_waitcnt vmcnt(0)
	v_cmp_le_u16_e64 s[14:15], v45, v46
	v_cmp_lt_u16_e32 vcc, v45, v46
	s_and_b64 s[14:15], s[14:15], s[56:57]
	s_or_b64 s[58:59], vcc, s[14:15]
	s_and_b64 s[14:15], s[58:59], exec
	v_cmp_eq_u16_e64 s[16:17], v45, v46
	s_or_b64 s[14:15], s[60:61], s[14:15]
	s_and_saveexec_b64 s[60:61], s[16:17]
	s_cbranch_execz .LBB1361_1239
; %bb.1241:                             ;   in Loop: Header=BB1361_1240 Depth=1
	s_add_u32 s54, s54, -1
	s_addc_u32 s55, s55, -1
	s_cmp_eq_u64 s[54:55], 0
	s_cselect_b64 s[16:17], -1, 0
	s_andn2_b64 s[52:53], s[52:53], exec
	s_and_b64 s[16:17], s[16:17], exec
	v_lshl_add_u64 v[4:5], v[4:5], 0, 2
	v_lshl_add_u64 v[6:7], v[6:7], 0, 2
	s_andn2_b64 s[14:15], s[14:15], exec
	s_or_b64 s[52:53], s[52:53], s[16:17]
                                        ; implicit-def: $sgpr56_sgpr57
	s_branch .LBB1361_1239
.LBB1361_1242:
	s_or_b64 exec, exec, s[48:49]
	s_xor_b64 s[14:15], s[50:51], -1
	s_branch .LBB1361_1244
.LBB1361_1243:
	s_mov_b64 s[14:15], -1
.LBB1361_1244:
	s_and_b64 s[14:15], s[14:15], exec
.LBB1361_1245:
	s_or_b64 exec, exec, s[44:45]
	s_orn2_b64 s[44:45], s[14:15], exec
.LBB1361_1246:
	s_or_b64 exec, exec, s[46:47]
	v_cndmask_b32_e64 v4, v47, v51, s[44:45]
	v_cndmask_b32_e64 v5, v25, v24, s[44:45]
	v_add_u32_e32 v6, 1, v4
	v_add_u32_e32 v4, -1, v5
	v_min_u32_e32 v4, v6, v4
	v_lshl_add_u32 v4, v4, 3, v33
	ds_read_b64 v[4:5], v4
	v_cndmask_b32_e64 v48, v6, v47, s[44:45]
	v_cndmask_b32_e64 v47, v51, v6, s[44:45]
	v_cmp_lt_u32_e32 vcc, v48, v25
	s_waitcnt lgkmcnt(0)
	v_cndmask_b32_e64 v45, v5, v8, s[44:45]
	v_cndmask_b32_e64 v46, v4, v43, s[44:45]
	;; [unrolled: 1-line block ×4, first 2 shown]
	s_and_saveexec_b64 s[46:47], vcc
	s_cbranch_execz .LBB1361_1257
; %bb.1247:
	v_cmp_lt_u32_e32 vcc, v47, v24
	s_mov_b64 s[14:15], 0
	s_and_saveexec_b64 s[30:31], vcc
	s_cbranch_execz .LBB1361_1256
; %bb.1248:
	s_andn2_b64 vcc, exec, s[42:43]
	s_cbranch_vccnz .LBB1361_1254
; %bb.1249:
	v_mul_lo_u32 v6, v45, s36
	v_mul_lo_u32 v7, v46, s37
	v_mad_u64_u32 v[4:5], s[14:15], v46, s36, 0
	v_add3_u32 v5, v5, v7, v6
	v_mul_lo_u32 v51, v49, s36
	v_mul_lo_u32 v52, v50, s37
	v_mad_u64_u32 v[6:7], s[14:15], v50, s36, 0
	v_add3_u32 v7, v7, v52, v51
	v_lshl_add_u64 v[4:5], v[4:5], 1, s[38:39]
	v_lshl_add_u64 v[6:7], v[6:7], 1, s[38:39]
	s_mov_b64 s[48:49], 0
	s_mov_b64 s[54:55], s[36:37]
                                        ; implicit-def: $sgpr50_sgpr51
                                        ; implicit-def: $sgpr52_sgpr53
                                        ; implicit-def: $sgpr14_sgpr15
                                        ; implicit-def: $sgpr56_sgpr57
	s_branch .LBB1361_1251
.LBB1361_1250:                          ;   in Loop: Header=BB1361_1251 Depth=1
	s_or_b64 exec, exec, s[60:61]
	s_and_b64 s[16:17], exec, s[52:53]
	s_or_b64 s[48:49], s[16:17], s[48:49]
	s_andn2_b64 s[16:17], s[56:57], exec
	s_and_b64 s[56:57], s[58:59], exec
	s_or_b64 s[56:57], s[16:17], s[56:57]
	s_andn2_b64 s[16:17], s[50:51], exec
	s_and_b64 s[50:51], s[14:15], exec
	s_or_b64 s[50:51], s[16:17], s[50:51]
	s_andn2_b64 exec, exec, s[48:49]
	s_cbranch_execz .LBB1361_1253
.LBB1361_1251:                          ; =>This Inner Loop Header: Depth=1
	global_load_ushort v51, v[4:5], off
	global_load_ushort v52, v[6:7], off
	s_andn2_b64 s[60:61], s[14:15], exec
	s_or_b64 s[52:53], s[52:53], exec
	s_waitcnt vmcnt(0)
	v_cmp_le_u16_e64 s[14:15], v51, v52
	v_cmp_lt_u16_e32 vcc, v51, v52
	s_and_b64 s[14:15], s[14:15], s[56:57]
	s_or_b64 s[58:59], vcc, s[14:15]
	s_and_b64 s[14:15], s[58:59], exec
	v_cmp_eq_u16_e64 s[16:17], v51, v52
	s_or_b64 s[14:15], s[60:61], s[14:15]
	s_and_saveexec_b64 s[60:61], s[16:17]
	s_cbranch_execz .LBB1361_1250
; %bb.1252:                             ;   in Loop: Header=BB1361_1251 Depth=1
	s_add_u32 s54, s54, -1
	s_addc_u32 s55, s55, -1
	s_cmp_eq_u64 s[54:55], 0
	s_cselect_b64 s[16:17], -1, 0
	s_andn2_b64 s[52:53], s[52:53], exec
	s_and_b64 s[16:17], s[16:17], exec
	v_lshl_add_u64 v[4:5], v[4:5], 0, 2
	v_lshl_add_u64 v[6:7], v[6:7], 0, 2
	s_andn2_b64 s[14:15], s[14:15], exec
	s_or_b64 s[52:53], s[52:53], s[16:17]
                                        ; implicit-def: $sgpr56_sgpr57
	s_branch .LBB1361_1250
.LBB1361_1253:
	s_or_b64 exec, exec, s[48:49]
	s_xor_b64 s[14:15], s[50:51], -1
	s_branch .LBB1361_1255
.LBB1361_1254:
	s_mov_b64 s[14:15], -1
.LBB1361_1255:
	s_and_b64 s[14:15], s[14:15], exec
.LBB1361_1256:
	s_or_b64 exec, exec, s[30:31]
	s_orn2_b64 s[30:31], s[14:15], exec
.LBB1361_1257:
	s_or_b64 exec, exec, s[46:47]
	v_cndmask_b32_e64 v4, v48, v47, s[30:31]
	v_cndmask_b32_e64 v5, v25, v24, s[30:31]
	v_cndmask_b32_e64 v13, v12, v13, s[26:27]
	v_cndmask_b32_e64 v12, v37, v38, s[26:27]
	v_add_u32_e32 v37, 1, v4
	v_add_u32_e32 v4, -1, v5
	v_min_u32_e32 v4, v37, v4
	v_lshl_add_u32 v4, v4, 3, v33
	v_cndmask_b32_e64 v11, v10, v11, s[24:25]
	v_cndmask_b32_e64 v10, v17, v23, s[24:25]
	;; [unrolled: 1-line block ×4, first 2 shown]
	ds_read_b64 v[22:23], v4
	v_cndmask_b32_e64 v14, v2, v0, s[20:21]
	v_cndmask_b32_e64 v0, v37, v48, s[30:31]
	;; [unrolled: 1-line block ×9, first 2 shown]
	s_waitcnt lgkmcnt(0)
	v_cndmask_b32_e64 v5, v49, v23, s[30:31]
	v_cndmask_b32_e64 v4, v50, v22, s[30:31]
	v_cmp_lt_u32_e32 vcc, v0, v25
	s_and_saveexec_b64 s[20:21], vcc
	s_cbranch_execz .LBB1361_1267
; %bb.1258:
	v_cndmask_b32_e64 v0, v22, v46, s[30:31]
	v_cndmask_b32_e64 v22, v47, v37, s[30:31]
	;; [unrolled: 1-line block ×3, first 2 shown]
	v_cmp_lt_u32_e32 vcc, v22, v24
	s_and_saveexec_b64 s[22:23], vcc
	s_cbranch_execz .LBB1361_1266
; %bb.1259:
	s_andn2_b64 vcc, exec, s[42:43]
	s_cbranch_vccnz .LBB1361_1265
; %bb.1260:
	v_mul_lo_u32 v24, v1, s36
	v_mul_lo_u32 v25, v0, s37
	v_mad_u64_u32 v[22:23], s[14:15], v0, s36, 0
	v_add3_u32 v23, v23, v25, v24
	v_mul_lo_u32 v37, v5, s36
	v_mul_lo_u32 v38, v4, s37
	v_mad_u64_u32 v[24:25], s[14:15], v4, s36, 0
	v_add3_u32 v25, v25, v38, v37
	v_lshl_add_u64 v[22:23], v[22:23], 1, s[38:39]
	v_lshl_add_u64 v[24:25], v[24:25], 1, s[38:39]
	s_mov_b64 s[24:25], 0
	s_mov_b64 s[30:31], s[36:37]
                                        ; implicit-def: $sgpr26_sgpr27
                                        ; implicit-def: $sgpr28_sgpr29
                                        ; implicit-def: $sgpr14_sgpr15
                                        ; implicit-def: $sgpr44_sgpr45
	s_branch .LBB1361_1262
.LBB1361_1261:                          ;   in Loop: Header=BB1361_1262 Depth=1
	s_or_b64 exec, exec, s[48:49]
	s_and_b64 s[16:17], exec, s[28:29]
	s_or_b64 s[24:25], s[16:17], s[24:25]
	s_andn2_b64 s[16:17], s[44:45], exec
	s_and_b64 s[44:45], s[46:47], exec
	s_or_b64 s[44:45], s[16:17], s[44:45]
	s_andn2_b64 s[16:17], s[26:27], exec
	s_and_b64 s[26:27], s[14:15], exec
	s_or_b64 s[26:27], s[16:17], s[26:27]
	s_andn2_b64 exec, exec, s[24:25]
	s_cbranch_execz .LBB1361_1264
.LBB1361_1262:                          ; =>This Inner Loop Header: Depth=1
	global_load_ushort v37, v[22:23], off
	global_load_ushort v38, v[24:25], off
	s_andn2_b64 s[48:49], s[14:15], exec
	s_or_b64 s[28:29], s[28:29], exec
	s_waitcnt vmcnt(0)
	v_cmp_le_u16_e64 s[14:15], v37, v38
	v_cmp_lt_u16_e32 vcc, v37, v38
	s_and_b64 s[14:15], s[14:15], s[44:45]
	s_or_b64 s[46:47], vcc, s[14:15]
	s_and_b64 s[14:15], s[46:47], exec
	v_cmp_eq_u16_e64 s[16:17], v37, v38
	s_or_b64 s[14:15], s[48:49], s[14:15]
	s_and_saveexec_b64 s[48:49], s[16:17]
	s_cbranch_execz .LBB1361_1261
; %bb.1263:                             ;   in Loop: Header=BB1361_1262 Depth=1
	s_add_u32 s30, s30, -1
	s_addc_u32 s31, s31, -1
	s_cmp_eq_u64 s[30:31], 0
	s_cselect_b64 s[16:17], -1, 0
	s_andn2_b64 s[28:29], s[28:29], exec
	s_and_b64 s[16:17], s[16:17], exec
	v_lshl_add_u64 v[22:23], v[22:23], 0, 2
	v_lshl_add_u64 v[24:25], v[24:25], 0, 2
	s_andn2_b64 s[14:15], s[14:15], exec
	s_or_b64 s[28:29], s[28:29], s[16:17]
                                        ; implicit-def: $sgpr44_sgpr45
	s_branch .LBB1361_1261
.LBB1361_1264:
	s_or_b64 exec, exec, s[24:25]
	v_cndmask_b32_e64 v5, v5, v1, s[26:27]
	v_cndmask_b32_e64 v4, v4, v0, s[26:27]
.LBB1361_1265:
	v_mov_b64_e32 v[0:1], v[4:5]
.LBB1361_1266:
	s_or_b64 exec, exec, s[22:23]
	v_mov_b64_e32 v[4:5], v[0:1]
.LBB1361_1267:
	s_or_b64 exec, exec, s[20:21]
.LBB1361_1268:
	s_or_b64 exec, exec, s[18:19]
	; wave barrier
	ds_write_b128 v36, v[14:17]
	ds_write_b128 v36, v[10:13] offset:16
	ds_write_b128 v36, v[6:9] offset:32
	;; [unrolled: 1-line block ×3, first 2 shown]
	v_and_b32_e32 v36, 0x380, v35
	v_or_b32_e32 v0, 64, v36
	v_min_u32_e32 v24, v34, v0
	v_add_u32_e32 v0, 64, v24
	v_min_u32_e32 v25, v34, v0
	v_and_b32_e32 v0, 0x78, v35
	v_min_u32_e32 v37, v34, v0
	v_sub_u32_e32 v0, v24, v36
	v_sub_u32_e32 v1, v25, v24
	v_sub_u32_e64 v35, v37, v1 clamp
	v_min_u32_e32 v38, v37, v0
	v_lshl_add_u32 v34, v36, 3, v33
	v_cmp_lt_u32_e32 vcc, v35, v38
	; wave barrier
	s_and_saveexec_b64 s[20:21], vcc
	s_cbranch_execz .LBB1361_1278
; %bb.1269:
	v_lshlrev_b32_e32 v0, 3, v24
	v_lshlrev_b32_e32 v1, 3, v37
	v_add3_u32 v39, v33, v0, v1
	v_cndmask_b32_e64 v0, 0, 1, s[42:43]
	s_lshl_b64 s[24:25], s[36:37], 1
	s_mov_b64 s[22:23], 0
	v_cmp_ne_u32_e64 s[14:15], 1, v0
	s_branch .LBB1361_1272
.LBB1361_1270:                          ;   in Loop: Header=BB1361_1272 Depth=1
	s_or_b64 exec, exec, s[28:29]
.LBB1361_1271:                          ;   in Loop: Header=BB1361_1272 Depth=1
	v_add_u32_e32 v0, 1, v40
	v_cndmask_b32_e64 v38, v38, v40, s[26:27]
	v_cndmask_b32_e64 v35, v0, v35, s[26:27]
	v_cmp_ge_u32_e32 vcc, v35, v38
	s_or_b64 s[22:23], vcc, s[22:23]
	s_andn2_b64 exec, exec, s[22:23]
	s_cbranch_execz .LBB1361_1277
.LBB1361_1272:                          ; =>This Loop Header: Depth=1
                                        ;     Child Loop BB1361_1275 Depth 2
	v_add_u32_e32 v0, v38, v35
	v_lshrrev_b32_e32 v40, 1, v0
	s_and_b64 vcc, exec, s[14:15]
	s_mov_b64 s[26:27], 0
	s_cbranch_vccnz .LBB1361_1271
; %bb.1273:                             ;   in Loop: Header=BB1361_1272 Depth=1
	v_not_b32_e32 v0, v40
	v_lshl_add_u32 v0, v0, 3, v39
	ds_read_b64 v[0:1], v0
	v_lshl_add_u32 v41, v40, 3, v34
	ds_read_b64 v[42:43], v41
	v_mov_b64_e32 v[22:23], s[38:39]
	s_mov_b64 s[28:29], 0
	s_waitcnt lgkmcnt(1)
	v_mul_lo_u32 v41, s24, v1
	v_mul_lo_u32 v44, s25, v0
	v_mad_u64_u32 v[0:1], s[16:17], s24, v0, v[22:23]
	v_add3_u32 v1, v44, v1, v41
	s_waitcnt lgkmcnt(0)
	v_mul_lo_u32 v41, s24, v43
	v_mul_lo_u32 v43, s25, v42
	v_mad_u64_u32 v[22:23], s[16:17], s24, v42, v[22:23]
	v_add3_u32 v23, v43, v23, v41
	s_mov_b64 s[44:45], s[36:37]
                                        ; implicit-def: $sgpr26_sgpr27
                                        ; implicit-def: $sgpr30_sgpr31
                                        ; implicit-def: $sgpr16_sgpr17
                                        ; implicit-def: $sgpr46_sgpr47
	s_branch .LBB1361_1275
.LBB1361_1274:                          ;   in Loop: Header=BB1361_1275 Depth=2
	s_or_b64 exec, exec, s[50:51]
	s_and_b64 s[18:19], exec, s[30:31]
	s_or_b64 s[28:29], s[18:19], s[28:29]
	s_andn2_b64 s[18:19], s[46:47], exec
	s_and_b64 s[46:47], s[48:49], exec
	s_or_b64 s[46:47], s[18:19], s[46:47]
	s_andn2_b64 s[18:19], s[26:27], exec
	s_and_b64 s[26:27], s[16:17], exec
	s_or_b64 s[26:27], s[18:19], s[26:27]
	s_andn2_b64 exec, exec, s[28:29]
	s_cbranch_execz .LBB1361_1270
.LBB1361_1275:                          ;   Parent Loop BB1361_1272 Depth=1
                                        ; =>  This Inner Loop Header: Depth=2
	global_load_ushort v41, v[0:1], off
	global_load_ushort v42, v[22:23], off
	s_andn2_b64 s[50:51], s[16:17], exec
	s_or_b64 s[30:31], s[30:31], exec
	s_waitcnt vmcnt(0)
	v_cmp_le_u16_e64 s[16:17], v41, v42
	v_cmp_lt_u16_e32 vcc, v41, v42
	s_and_b64 s[16:17], s[16:17], s[46:47]
	s_or_b64 s[48:49], vcc, s[16:17]
	s_and_b64 s[16:17], s[48:49], exec
	v_cmp_eq_u16_e64 s[18:19], v41, v42
	s_or_b64 s[16:17], s[50:51], s[16:17]
	s_and_saveexec_b64 s[50:51], s[18:19]
	s_cbranch_execz .LBB1361_1274
; %bb.1276:                             ;   in Loop: Header=BB1361_1275 Depth=2
	s_add_u32 s44, s44, -1
	s_addc_u32 s45, s45, -1
	s_cmp_eq_u64 s[44:45], 0
	s_cselect_b64 s[18:19], -1, 0
	s_andn2_b64 s[30:31], s[30:31], exec
	s_and_b64 s[18:19], s[18:19], exec
	v_lshl_add_u64 v[0:1], v[0:1], 0, 2
	v_lshl_add_u64 v[22:23], v[22:23], 0, 2
	s_andn2_b64 s[16:17], s[16:17], exec
	s_or_b64 s[30:31], s[30:31], s[18:19]
                                        ; implicit-def: $sgpr46_sgpr47
	s_branch .LBB1361_1274
.LBB1361_1277:
	s_or_b64 exec, exec, s[22:23]
.LBB1361_1278:
	s_or_b64 exec, exec, s[20:21]
	v_add_u32_e32 v0, v24, v37
	v_add_u32_e32 v23, v35, v36
	v_sub_u32_e32 v36, v0, v35
	v_cmp_le_u32_e32 vcc, v23, v24
	v_cmp_le_u32_e64 s[14:15], v36, v25
	s_or_b64 s[14:15], vcc, s[14:15]
	s_and_saveexec_b64 s[18:19], s[14:15]
	s_cbranch_execz .LBB1361_1369
; %bb.1279:
	v_cmp_ge_u32_e32 vcc, v23, v24
	v_cmp_lt_u32_e64 s[14:15], v23, v24
                                        ; implicit-def: $vgpr0_vgpr1
	s_and_saveexec_b64 s[16:17], s[14:15]
; %bb.1280:
	v_lshl_add_u32 v0, v35, 3, v34
	ds_read_b64 v[0:1], v0
; %bb.1281:
	s_or_b64 exec, exec, s[16:17]
	v_cmp_ge_u32_e64 s[20:21], v36, v25
	v_cmp_lt_u32_e64 s[14:15], v36, v25
                                        ; implicit-def: $vgpr2_vgpr3
	s_and_saveexec_b64 s[16:17], s[14:15]
; %bb.1282:
	v_lshl_add_u32 v2, v36, 3, v33
	ds_read_b64 v[2:3], v2
; %bb.1283:
	s_or_b64 exec, exec, s[16:17]
	s_nor_b64 s[14:15], vcc, s[20:21]
	s_and_saveexec_b64 s[22:23], s[14:15]
	s_cbranch_execz .LBB1361_1292
; %bb.1284:
	s_andn2_b64 vcc, exec, s[42:43]
	s_cbranch_vccnz .LBB1361_1290
; %bb.1285:
	s_waitcnt lgkmcnt(0)
	v_mul_lo_u32 v6, v3, s36
	v_mul_lo_u32 v7, v2, s37
	v_mad_u64_u32 v[4:5], s[14:15], v2, s36, 0
	v_add3_u32 v5, v5, v7, v6
	v_mul_lo_u32 v8, v1, s36
	v_mul_lo_u32 v9, v0, s37
	v_mad_u64_u32 v[6:7], s[14:15], v0, s36, 0
	v_add3_u32 v7, v7, v9, v8
	v_lshl_add_u64 v[4:5], v[4:5], 1, s[38:39]
	v_lshl_add_u64 v[6:7], v[6:7], 1, s[38:39]
	s_mov_b64 s[24:25], 0
	s_mov_b64 s[30:31], s[36:37]
                                        ; implicit-def: $sgpr26_sgpr27
                                        ; implicit-def: $sgpr28_sgpr29
                                        ; implicit-def: $sgpr14_sgpr15
                                        ; implicit-def: $sgpr44_sgpr45
	s_branch .LBB1361_1287
.LBB1361_1286:                          ;   in Loop: Header=BB1361_1287 Depth=1
	s_or_b64 exec, exec, s[48:49]
	s_and_b64 s[16:17], exec, s[28:29]
	s_or_b64 s[24:25], s[16:17], s[24:25]
	s_andn2_b64 s[16:17], s[44:45], exec
	s_and_b64 s[44:45], s[46:47], exec
	s_or_b64 s[44:45], s[16:17], s[44:45]
	s_andn2_b64 s[16:17], s[26:27], exec
	s_and_b64 s[26:27], s[14:15], exec
	s_or_b64 s[26:27], s[16:17], s[26:27]
	s_andn2_b64 exec, exec, s[24:25]
	s_cbranch_execz .LBB1361_1289
.LBB1361_1287:                          ; =>This Inner Loop Header: Depth=1
	global_load_ushort v8, v[4:5], off
	global_load_ushort v9, v[6:7], off
	s_andn2_b64 s[48:49], s[14:15], exec
	s_or_b64 s[28:29], s[28:29], exec
	s_waitcnt vmcnt(0)
	v_cmp_le_u16_e64 s[14:15], v8, v9
	v_cmp_lt_u16_e32 vcc, v8, v9
	s_and_b64 s[14:15], s[14:15], s[44:45]
	s_or_b64 s[46:47], vcc, s[14:15]
	s_and_b64 s[14:15], s[46:47], exec
	v_cmp_eq_u16_e64 s[16:17], v8, v9
	s_or_b64 s[14:15], s[48:49], s[14:15]
	s_and_saveexec_b64 s[48:49], s[16:17]
	s_cbranch_execz .LBB1361_1286
; %bb.1288:                             ;   in Loop: Header=BB1361_1287 Depth=1
	s_add_u32 s30, s30, -1
	s_addc_u32 s31, s31, -1
	s_cmp_eq_u64 s[30:31], 0
	s_cselect_b64 s[16:17], -1, 0
	s_andn2_b64 s[28:29], s[28:29], exec
	s_and_b64 s[16:17], s[16:17], exec
	v_lshl_add_u64 v[4:5], v[4:5], 0, 2
	v_lshl_add_u64 v[6:7], v[6:7], 0, 2
	s_andn2_b64 s[14:15], s[14:15], exec
	s_or_b64 s[28:29], s[28:29], s[16:17]
                                        ; implicit-def: $sgpr44_sgpr45
	s_branch .LBB1361_1286
.LBB1361_1289:
	s_or_b64 exec, exec, s[24:25]
	s_xor_b64 s[14:15], s[26:27], -1
	s_branch .LBB1361_1291
.LBB1361_1290:
	s_mov_b64 s[14:15], -1
.LBB1361_1291:
	s_andn2_b64 s[16:17], s[20:21], exec
	s_and_b64 s[14:15], s[14:15], exec
	s_or_b64 s[20:21], s[16:17], s[14:15]
.LBB1361_1292:
	s_or_b64 exec, exec, s[22:23]
	v_cndmask_b32_e64 v4, v36, v23, s[20:21]
	v_cndmask_b32_e64 v5, v25, v24, s[20:21]
	v_add_u32_e32 v6, 1, v4
	v_add_u32_e32 v4, -1, v5
	v_min_u32_e32 v4, v6, v4
	v_lshl_add_u32 v4, v4, 3, v33
	ds_read_b64 v[4:5], v4
	v_cndmask_b32_e64 v8, v6, v36, s[20:21]
	v_cndmask_b32_e64 v9, v23, v6, s[20:21]
	v_cmp_lt_u32_e32 vcc, v8, v25
	s_mov_b64 s[24:25], -1
	s_waitcnt lgkmcnt(0)
	v_cndmask_b32_e64 v14, v5, v3, s[20:21]
	v_cndmask_b32_e64 v15, v4, v2, s[20:21]
	;; [unrolled: 1-line block ×4, first 2 shown]
	s_mov_b64 s[22:23], -1
	s_and_saveexec_b64 s[26:27], vcc
	s_cbranch_execz .LBB1361_1303
; %bb.1293:
	v_cmp_lt_u32_e32 vcc, v9, v24
	s_mov_b64 s[14:15], 0
	s_and_saveexec_b64 s[22:23], vcc
	s_cbranch_execz .LBB1361_1302
; %bb.1294:
	s_andn2_b64 vcc, exec, s[42:43]
	s_cbranch_vccnz .LBB1361_1300
; %bb.1295:
	v_mul_lo_u32 v6, v14, s36
	v_mul_lo_u32 v7, v15, s37
	v_mad_u64_u32 v[4:5], s[14:15], v15, s36, 0
	v_add3_u32 v5, v5, v7, v6
	v_mul_lo_u32 v10, v16, s36
	v_mul_lo_u32 v11, v22, s37
	v_mad_u64_u32 v[6:7], s[14:15], v22, s36, 0
	v_add3_u32 v7, v7, v11, v10
	v_lshl_add_u64 v[4:5], v[4:5], 1, s[38:39]
	v_lshl_add_u64 v[6:7], v[6:7], 1, s[38:39]
	s_mov_b64 s[28:29], 0
	s_mov_b64 s[46:47], s[36:37]
                                        ; implicit-def: $sgpr30_sgpr31
                                        ; implicit-def: $sgpr44_sgpr45
                                        ; implicit-def: $sgpr14_sgpr15
                                        ; implicit-def: $sgpr48_sgpr49
	s_branch .LBB1361_1297
.LBB1361_1296:                          ;   in Loop: Header=BB1361_1297 Depth=1
	s_or_b64 exec, exec, s[52:53]
	s_and_b64 s[16:17], exec, s[44:45]
	s_or_b64 s[28:29], s[16:17], s[28:29]
	s_andn2_b64 s[16:17], s[48:49], exec
	s_and_b64 s[48:49], s[50:51], exec
	s_or_b64 s[48:49], s[16:17], s[48:49]
	s_andn2_b64 s[16:17], s[30:31], exec
	s_and_b64 s[30:31], s[14:15], exec
	s_or_b64 s[30:31], s[16:17], s[30:31]
	s_andn2_b64 exec, exec, s[28:29]
	s_cbranch_execz .LBB1361_1299
.LBB1361_1297:                          ; =>This Inner Loop Header: Depth=1
	global_load_ushort v10, v[4:5], off
	global_load_ushort v11, v[6:7], off
	s_andn2_b64 s[52:53], s[14:15], exec
	s_or_b64 s[44:45], s[44:45], exec
	s_waitcnt vmcnt(0)
	v_cmp_le_u16_e64 s[14:15], v10, v11
	v_cmp_lt_u16_e32 vcc, v10, v11
	s_and_b64 s[14:15], s[14:15], s[48:49]
	s_or_b64 s[50:51], vcc, s[14:15]
	s_and_b64 s[14:15], s[50:51], exec
	v_cmp_eq_u16_e64 s[16:17], v10, v11
	s_or_b64 s[14:15], s[52:53], s[14:15]
	s_and_saveexec_b64 s[52:53], s[16:17]
	s_cbranch_execz .LBB1361_1296
; %bb.1298:                             ;   in Loop: Header=BB1361_1297 Depth=1
	s_add_u32 s46, s46, -1
	s_addc_u32 s47, s47, -1
	s_cmp_eq_u64 s[46:47], 0
	s_cselect_b64 s[16:17], -1, 0
	s_andn2_b64 s[44:45], s[44:45], exec
	s_and_b64 s[16:17], s[16:17], exec
	v_lshl_add_u64 v[4:5], v[4:5], 0, 2
	v_lshl_add_u64 v[6:7], v[6:7], 0, 2
	s_andn2_b64 s[14:15], s[14:15], exec
	s_or_b64 s[44:45], s[44:45], s[16:17]
                                        ; implicit-def: $sgpr48_sgpr49
	s_branch .LBB1361_1296
.LBB1361_1299:
	s_or_b64 exec, exec, s[28:29]
	s_xor_b64 s[14:15], s[30:31], -1
	s_branch .LBB1361_1301
.LBB1361_1300:
	s_mov_b64 s[14:15], -1
.LBB1361_1301:
	s_and_b64 s[14:15], s[14:15], exec
.LBB1361_1302:
	s_or_b64 exec, exec, s[22:23]
	s_orn2_b64 s[22:23], s[14:15], exec
.LBB1361_1303:
	s_or_b64 exec, exec, s[26:27]
	v_cndmask_b32_e64 v4, v8, v9, s[22:23]
	v_cndmask_b32_e64 v5, v25, v24, s[22:23]
	v_add_u32_e32 v6, 1, v4
	v_add_u32_e32 v4, -1, v5
	v_min_u32_e32 v4, v6, v4
	v_lshl_add_u32 v4, v4, 3, v33
	ds_read_b64 v[4:5], v4
	v_cndmask_b32_e64 v8, v6, v8, s[22:23]
	v_cndmask_b32_e64 v9, v9, v6, s[22:23]
	v_cmp_lt_u32_e32 vcc, v8, v25
	s_waitcnt lgkmcnt(0)
	v_cndmask_b32_e64 v10, v5, v14, s[22:23]
	v_cndmask_b32_e64 v17, v4, v15, s[22:23]
	;; [unrolled: 1-line block ×4, first 2 shown]
	s_and_saveexec_b64 s[26:27], vcc
	s_cbranch_execz .LBB1361_1314
; %bb.1304:
	v_cmp_lt_u32_e32 vcc, v9, v24
	s_mov_b64 s[14:15], 0
	s_and_saveexec_b64 s[24:25], vcc
	s_cbranch_execz .LBB1361_1313
; %bb.1305:
	s_andn2_b64 vcc, exec, s[42:43]
	s_cbranch_vccnz .LBB1361_1311
; %bb.1306:
	v_mul_lo_u32 v6, v10, s36
	v_mul_lo_u32 v7, v17, s37
	v_mad_u64_u32 v[4:5], s[14:15], v17, s36, 0
	v_add3_u32 v5, v5, v7, v6
	v_mul_lo_u32 v12, v11, s36
	v_mul_lo_u32 v13, v23, s37
	v_mad_u64_u32 v[6:7], s[14:15], v23, s36, 0
	v_add3_u32 v7, v7, v13, v12
	v_lshl_add_u64 v[4:5], v[4:5], 1, s[38:39]
	v_lshl_add_u64 v[6:7], v[6:7], 1, s[38:39]
	s_mov_b64 s[28:29], 0
	s_mov_b64 s[46:47], s[36:37]
                                        ; implicit-def: $sgpr30_sgpr31
                                        ; implicit-def: $sgpr44_sgpr45
                                        ; implicit-def: $sgpr14_sgpr15
                                        ; implicit-def: $sgpr48_sgpr49
	s_branch .LBB1361_1308
.LBB1361_1307:                          ;   in Loop: Header=BB1361_1308 Depth=1
	s_or_b64 exec, exec, s[52:53]
	s_and_b64 s[16:17], exec, s[44:45]
	s_or_b64 s[28:29], s[16:17], s[28:29]
	s_andn2_b64 s[16:17], s[48:49], exec
	s_and_b64 s[48:49], s[50:51], exec
	s_or_b64 s[48:49], s[16:17], s[48:49]
	s_andn2_b64 s[16:17], s[30:31], exec
	s_and_b64 s[30:31], s[14:15], exec
	s_or_b64 s[30:31], s[16:17], s[30:31]
	s_andn2_b64 exec, exec, s[28:29]
	s_cbranch_execz .LBB1361_1310
.LBB1361_1308:                          ; =>This Inner Loop Header: Depth=1
	global_load_ushort v12, v[4:5], off
	global_load_ushort v13, v[6:7], off
	s_andn2_b64 s[52:53], s[14:15], exec
	s_or_b64 s[44:45], s[44:45], exec
	s_waitcnt vmcnt(0)
	v_cmp_le_u16_e64 s[14:15], v12, v13
	v_cmp_lt_u16_e32 vcc, v12, v13
	s_and_b64 s[14:15], s[14:15], s[48:49]
	s_or_b64 s[50:51], vcc, s[14:15]
	s_and_b64 s[14:15], s[50:51], exec
	v_cmp_eq_u16_e64 s[16:17], v12, v13
	s_or_b64 s[14:15], s[52:53], s[14:15]
	s_and_saveexec_b64 s[52:53], s[16:17]
	s_cbranch_execz .LBB1361_1307
; %bb.1309:                             ;   in Loop: Header=BB1361_1308 Depth=1
	s_add_u32 s46, s46, -1
	s_addc_u32 s47, s47, -1
	s_cmp_eq_u64 s[46:47], 0
	s_cselect_b64 s[16:17], -1, 0
	s_andn2_b64 s[44:45], s[44:45], exec
	s_and_b64 s[16:17], s[16:17], exec
	v_lshl_add_u64 v[4:5], v[4:5], 0, 2
	v_lshl_add_u64 v[6:7], v[6:7], 0, 2
	s_andn2_b64 s[14:15], s[14:15], exec
	s_or_b64 s[44:45], s[44:45], s[16:17]
                                        ; implicit-def: $sgpr48_sgpr49
	s_branch .LBB1361_1307
.LBB1361_1310:
	s_or_b64 exec, exec, s[28:29]
	s_xor_b64 s[14:15], s[30:31], -1
	s_branch .LBB1361_1312
.LBB1361_1311:
	s_mov_b64 s[14:15], -1
.LBB1361_1312:
	s_and_b64 s[14:15], s[14:15], exec
.LBB1361_1313:
	s_or_b64 exec, exec, s[24:25]
	s_orn2_b64 s[24:25], s[14:15], exec
.LBB1361_1314:
	s_or_b64 exec, exec, s[26:27]
	v_cndmask_b32_e64 v4, v8, v9, s[24:25]
	v_cndmask_b32_e64 v5, v25, v24, s[24:25]
	v_add_u32_e32 v6, 1, v4
	v_add_u32_e32 v4, -1, v5
	v_min_u32_e32 v4, v6, v4
	v_lshl_add_u32 v4, v4, 3, v33
	ds_read_b64 v[4:5], v4
	v_cndmask_b32_e64 v8, v6, v8, s[24:25]
	v_cndmask_b32_e64 v9, v9, v6, s[24:25]
	v_cmp_lt_u32_e32 vcc, v8, v25
	s_mov_b64 s[28:29], -1
	s_waitcnt lgkmcnt(0)
	v_cndmask_b32_e64 v12, v5, v10, s[24:25]
	v_cndmask_b32_e64 v34, v4, v17, s[24:25]
	v_cndmask_b32_e64 v13, v11, v5, s[24:25]
	v_cndmask_b32_e64 v35, v23, v4, s[24:25]
	s_mov_b64 s[26:27], -1
	s_and_saveexec_b64 s[30:31], vcc
	s_cbranch_execz .LBB1361_1325
; %bb.1315:
	v_cmp_lt_u32_e32 vcc, v9, v24
	s_mov_b64 s[14:15], 0
	s_and_saveexec_b64 s[26:27], vcc
	s_cbranch_execz .LBB1361_1324
; %bb.1316:
	s_andn2_b64 vcc, exec, s[42:43]
	s_cbranch_vccnz .LBB1361_1322
; %bb.1317:
	v_mul_lo_u32 v6, v12, s36
	v_mul_lo_u32 v7, v34, s37
	v_mad_u64_u32 v[4:5], s[14:15], v34, s36, 0
	v_add3_u32 v5, v5, v7, v6
	v_mul_lo_u32 v36, v13, s36
	v_mul_lo_u32 v37, v35, s37
	v_mad_u64_u32 v[6:7], s[14:15], v35, s36, 0
	v_add3_u32 v7, v7, v37, v36
	v_lshl_add_u64 v[4:5], v[4:5], 1, s[38:39]
	v_lshl_add_u64 v[6:7], v[6:7], 1, s[38:39]
	s_mov_b64 s[44:45], 0
	s_mov_b64 s[50:51], s[36:37]
                                        ; implicit-def: $sgpr46_sgpr47
                                        ; implicit-def: $sgpr48_sgpr49
                                        ; implicit-def: $sgpr14_sgpr15
                                        ; implicit-def: $sgpr52_sgpr53
	s_branch .LBB1361_1319
.LBB1361_1318:                          ;   in Loop: Header=BB1361_1319 Depth=1
	s_or_b64 exec, exec, s[56:57]
	s_and_b64 s[16:17], exec, s[48:49]
	s_or_b64 s[44:45], s[16:17], s[44:45]
	s_andn2_b64 s[16:17], s[52:53], exec
	s_and_b64 s[52:53], s[54:55], exec
	s_or_b64 s[52:53], s[16:17], s[52:53]
	s_andn2_b64 s[16:17], s[46:47], exec
	s_and_b64 s[46:47], s[14:15], exec
	s_or_b64 s[46:47], s[16:17], s[46:47]
	s_andn2_b64 exec, exec, s[44:45]
	s_cbranch_execz .LBB1361_1321
.LBB1361_1319:                          ; =>This Inner Loop Header: Depth=1
	global_load_ushort v36, v[4:5], off
	global_load_ushort v37, v[6:7], off
	s_andn2_b64 s[56:57], s[14:15], exec
	s_or_b64 s[48:49], s[48:49], exec
	s_waitcnt vmcnt(0)
	v_cmp_le_u16_e64 s[14:15], v36, v37
	v_cmp_lt_u16_e32 vcc, v36, v37
	s_and_b64 s[14:15], s[14:15], s[52:53]
	s_or_b64 s[54:55], vcc, s[14:15]
	s_and_b64 s[14:15], s[54:55], exec
	v_cmp_eq_u16_e64 s[16:17], v36, v37
	s_or_b64 s[14:15], s[56:57], s[14:15]
	s_and_saveexec_b64 s[56:57], s[16:17]
	s_cbranch_execz .LBB1361_1318
; %bb.1320:                             ;   in Loop: Header=BB1361_1319 Depth=1
	s_add_u32 s50, s50, -1
	s_addc_u32 s51, s51, -1
	s_cmp_eq_u64 s[50:51], 0
	s_cselect_b64 s[16:17], -1, 0
	s_andn2_b64 s[48:49], s[48:49], exec
	s_and_b64 s[16:17], s[16:17], exec
	v_lshl_add_u64 v[4:5], v[4:5], 0, 2
	v_lshl_add_u64 v[6:7], v[6:7], 0, 2
	s_andn2_b64 s[14:15], s[14:15], exec
	s_or_b64 s[48:49], s[48:49], s[16:17]
                                        ; implicit-def: $sgpr52_sgpr53
	s_branch .LBB1361_1318
.LBB1361_1321:
	s_or_b64 exec, exec, s[44:45]
	s_xor_b64 s[14:15], s[46:47], -1
	s_branch .LBB1361_1323
.LBB1361_1322:
	s_mov_b64 s[14:15], -1
.LBB1361_1323:
	s_and_b64 s[14:15], s[14:15], exec
.LBB1361_1324:
	s_or_b64 exec, exec, s[26:27]
	s_orn2_b64 s[26:27], s[14:15], exec
.LBB1361_1325:
	s_or_b64 exec, exec, s[30:31]
	v_cndmask_b32_e64 v4, v8, v9, s[26:27]
	v_cndmask_b32_e64 v5, v25, v24, s[26:27]
	v_add_u32_e32 v6, 1, v4
	v_add_u32_e32 v4, -1, v5
	v_min_u32_e32 v4, v6, v4
	v_lshl_add_u32 v4, v4, 3, v33
	ds_read_b64 v[4:5], v4
	v_cndmask_b32_e64 v42, v6, v8, s[26:27]
	v_cndmask_b32_e64 v43, v9, v6, s[26:27]
	v_cmp_lt_u32_e32 vcc, v42, v25
	s_waitcnt lgkmcnt(0)
	v_cndmask_b32_e64 v36, v5, v12, s[26:27]
	v_cndmask_b32_e64 v37, v4, v34, s[26:27]
	v_cndmask_b32_e64 v38, v13, v5, s[26:27]
	v_cndmask_b32_e64 v39, v35, v4, s[26:27]
	s_and_saveexec_b64 s[30:31], vcc
	s_cbranch_execz .LBB1361_1336
; %bb.1326:
	v_cmp_lt_u32_e32 vcc, v43, v24
	s_mov_b64 s[14:15], 0
	s_and_saveexec_b64 s[28:29], vcc
	s_cbranch_execz .LBB1361_1335
; %bb.1327:
	s_andn2_b64 vcc, exec, s[42:43]
	s_cbranch_vccnz .LBB1361_1333
; %bb.1328:
	v_mul_lo_u32 v6, v36, s36
	v_mul_lo_u32 v7, v37, s37
	v_mad_u64_u32 v[4:5], s[14:15], v37, s36, 0
	v_add3_u32 v5, v5, v7, v6
	v_mul_lo_u32 v8, v38, s36
	v_mul_lo_u32 v9, v39, s37
	v_mad_u64_u32 v[6:7], s[14:15], v39, s36, 0
	v_add3_u32 v7, v7, v9, v8
	v_lshl_add_u64 v[4:5], v[4:5], 1, s[38:39]
	v_lshl_add_u64 v[6:7], v[6:7], 1, s[38:39]
	s_mov_b64 s[44:45], 0
	s_mov_b64 s[50:51], s[36:37]
                                        ; implicit-def: $sgpr46_sgpr47
                                        ; implicit-def: $sgpr48_sgpr49
                                        ; implicit-def: $sgpr14_sgpr15
                                        ; implicit-def: $sgpr52_sgpr53
	s_branch .LBB1361_1330
.LBB1361_1329:                          ;   in Loop: Header=BB1361_1330 Depth=1
	s_or_b64 exec, exec, s[56:57]
	s_and_b64 s[16:17], exec, s[48:49]
	s_or_b64 s[44:45], s[16:17], s[44:45]
	s_andn2_b64 s[16:17], s[52:53], exec
	s_and_b64 s[52:53], s[54:55], exec
	s_or_b64 s[52:53], s[16:17], s[52:53]
	s_andn2_b64 s[16:17], s[46:47], exec
	s_and_b64 s[46:47], s[14:15], exec
	s_or_b64 s[46:47], s[16:17], s[46:47]
	s_andn2_b64 exec, exec, s[44:45]
	s_cbranch_execz .LBB1361_1332
.LBB1361_1330:                          ; =>This Inner Loop Header: Depth=1
	global_load_ushort v8, v[4:5], off
	global_load_ushort v9, v[6:7], off
	s_andn2_b64 s[56:57], s[14:15], exec
	s_or_b64 s[48:49], s[48:49], exec
	s_waitcnt vmcnt(0)
	v_cmp_le_u16_e64 s[14:15], v8, v9
	v_cmp_lt_u16_e32 vcc, v8, v9
	s_and_b64 s[14:15], s[14:15], s[52:53]
	s_or_b64 s[54:55], vcc, s[14:15]
	s_and_b64 s[14:15], s[54:55], exec
	v_cmp_eq_u16_e64 s[16:17], v8, v9
	s_or_b64 s[14:15], s[56:57], s[14:15]
	s_and_saveexec_b64 s[56:57], s[16:17]
	s_cbranch_execz .LBB1361_1329
; %bb.1331:                             ;   in Loop: Header=BB1361_1330 Depth=1
	s_add_u32 s50, s50, -1
	s_addc_u32 s51, s51, -1
	s_cmp_eq_u64 s[50:51], 0
	s_cselect_b64 s[16:17], -1, 0
	s_andn2_b64 s[48:49], s[48:49], exec
	s_and_b64 s[16:17], s[16:17], exec
	v_lshl_add_u64 v[4:5], v[4:5], 0, 2
	v_lshl_add_u64 v[6:7], v[6:7], 0, 2
	s_andn2_b64 s[14:15], s[14:15], exec
	s_or_b64 s[48:49], s[48:49], s[16:17]
                                        ; implicit-def: $sgpr52_sgpr53
	s_branch .LBB1361_1329
.LBB1361_1332:
	s_or_b64 exec, exec, s[44:45]
	s_xor_b64 s[14:15], s[46:47], -1
	s_branch .LBB1361_1334
.LBB1361_1333:
	s_mov_b64 s[14:15], -1
.LBB1361_1334:
	s_and_b64 s[14:15], s[14:15], exec
.LBB1361_1335:
	s_or_b64 exec, exec, s[28:29]
	s_orn2_b64 s[28:29], s[14:15], exec
.LBB1361_1336:
	s_or_b64 exec, exec, s[30:31]
	v_cndmask_b32_e64 v4, v42, v43, s[28:29]
	v_cndmask_b32_e64 v5, v25, v24, s[28:29]
	v_add_u32_e32 v6, 1, v4
	v_add_u32_e32 v4, -1, v5
	v_min_u32_e32 v4, v6, v4
	v_lshl_add_u32 v4, v4, 3, v33
	ds_read_b64 v[4:5], v4
	v_cndmask_b32_e64 v44, v6, v42, s[28:29]
	v_cndmask_b32_e64 v48, v43, v6, s[28:29]
	v_cmp_lt_u32_e32 vcc, v44, v25
	s_mov_b64 s[30:31], -1
	s_waitcnt lgkmcnt(0)
	v_cndmask_b32_e64 v8, v5, v36, s[28:29]
	v_cndmask_b32_e64 v40, v4, v37, s[28:29]
	v_cndmask_b32_e64 v9, v38, v5, s[28:29]
	v_cndmask_b32_e64 v41, v39, v4, s[28:29]
	s_mov_b64 s[44:45], -1
	s_and_saveexec_b64 s[46:47], vcc
	s_cbranch_execz .LBB1361_1347
; %bb.1337:
	v_cmp_lt_u32_e32 vcc, v48, v24
	s_mov_b64 s[14:15], 0
	s_and_saveexec_b64 s[44:45], vcc
	s_cbranch_execz .LBB1361_1346
; %bb.1338:
	s_andn2_b64 vcc, exec, s[42:43]
	s_cbranch_vccnz .LBB1361_1344
; %bb.1339:
	v_mul_lo_u32 v6, v8, s36
	v_mul_lo_u32 v7, v40, s37
	v_mad_u64_u32 v[4:5], s[14:15], v40, s36, 0
	v_add3_u32 v5, v5, v7, v6
	v_mul_lo_u32 v42, v9, s36
	v_mul_lo_u32 v43, v41, s37
	v_mad_u64_u32 v[6:7], s[14:15], v41, s36, 0
	v_add3_u32 v7, v7, v43, v42
	v_lshl_add_u64 v[4:5], v[4:5], 1, s[38:39]
	v_lshl_add_u64 v[6:7], v[6:7], 1, s[38:39]
	s_mov_b64 s[48:49], 0
	s_mov_b64 s[54:55], s[36:37]
                                        ; implicit-def: $sgpr50_sgpr51
                                        ; implicit-def: $sgpr52_sgpr53
                                        ; implicit-def: $sgpr14_sgpr15
                                        ; implicit-def: $sgpr56_sgpr57
	s_branch .LBB1361_1341
.LBB1361_1340:                          ;   in Loop: Header=BB1361_1341 Depth=1
	s_or_b64 exec, exec, s[60:61]
	s_and_b64 s[16:17], exec, s[52:53]
	s_or_b64 s[48:49], s[16:17], s[48:49]
	s_andn2_b64 s[16:17], s[56:57], exec
	s_and_b64 s[56:57], s[58:59], exec
	s_or_b64 s[56:57], s[16:17], s[56:57]
	s_andn2_b64 s[16:17], s[50:51], exec
	s_and_b64 s[50:51], s[14:15], exec
	s_or_b64 s[50:51], s[16:17], s[50:51]
	s_andn2_b64 exec, exec, s[48:49]
	s_cbranch_execz .LBB1361_1343
.LBB1361_1341:                          ; =>This Inner Loop Header: Depth=1
	global_load_ushort v42, v[4:5], off
	global_load_ushort v43, v[6:7], off
	s_andn2_b64 s[60:61], s[14:15], exec
	s_or_b64 s[52:53], s[52:53], exec
	s_waitcnt vmcnt(0)
	v_cmp_le_u16_e64 s[14:15], v42, v43
	v_cmp_lt_u16_e32 vcc, v42, v43
	s_and_b64 s[14:15], s[14:15], s[56:57]
	s_or_b64 s[58:59], vcc, s[14:15]
	s_and_b64 s[14:15], s[58:59], exec
	v_cmp_eq_u16_e64 s[16:17], v42, v43
	s_or_b64 s[14:15], s[60:61], s[14:15]
	s_and_saveexec_b64 s[60:61], s[16:17]
	s_cbranch_execz .LBB1361_1340
; %bb.1342:                             ;   in Loop: Header=BB1361_1341 Depth=1
	s_add_u32 s54, s54, -1
	s_addc_u32 s55, s55, -1
	s_cmp_eq_u64 s[54:55], 0
	s_cselect_b64 s[16:17], -1, 0
	s_andn2_b64 s[52:53], s[52:53], exec
	s_and_b64 s[16:17], s[16:17], exec
	v_lshl_add_u64 v[4:5], v[4:5], 0, 2
	v_lshl_add_u64 v[6:7], v[6:7], 0, 2
	s_andn2_b64 s[14:15], s[14:15], exec
	s_or_b64 s[52:53], s[52:53], s[16:17]
                                        ; implicit-def: $sgpr56_sgpr57
	s_branch .LBB1361_1340
.LBB1361_1343:
	s_or_b64 exec, exec, s[48:49]
	s_xor_b64 s[14:15], s[50:51], -1
	s_branch .LBB1361_1345
.LBB1361_1344:
	s_mov_b64 s[14:15], -1
.LBB1361_1345:
	s_and_b64 s[14:15], s[14:15], exec
.LBB1361_1346:
	s_or_b64 exec, exec, s[44:45]
	s_orn2_b64 s[44:45], s[14:15], exec
.LBB1361_1347:
	s_or_b64 exec, exec, s[46:47]
	v_cndmask_b32_e64 v4, v44, v48, s[44:45]
	v_cndmask_b32_e64 v5, v25, v24, s[44:45]
	v_add_u32_e32 v6, 1, v4
	v_add_u32_e32 v4, -1, v5
	v_min_u32_e32 v4, v6, v4
	v_lshl_add_u32 v4, v4, 3, v33
	ds_read_b64 v[4:5], v4
	v_cndmask_b32_e64 v45, v6, v44, s[44:45]
	v_cndmask_b32_e64 v44, v48, v6, s[44:45]
	v_cmp_lt_u32_e32 vcc, v45, v25
	s_waitcnt lgkmcnt(0)
	v_cndmask_b32_e64 v42, v5, v8, s[44:45]
	v_cndmask_b32_e64 v43, v4, v40, s[44:45]
	;; [unrolled: 1-line block ×4, first 2 shown]
	s_and_saveexec_b64 s[46:47], vcc
	s_cbranch_execz .LBB1361_1358
; %bb.1348:
	v_cmp_lt_u32_e32 vcc, v44, v24
	s_mov_b64 s[14:15], 0
	s_and_saveexec_b64 s[30:31], vcc
	s_cbranch_execz .LBB1361_1357
; %bb.1349:
	s_andn2_b64 vcc, exec, s[42:43]
	s_cbranch_vccnz .LBB1361_1355
; %bb.1350:
	v_mul_lo_u32 v6, v42, s36
	v_mul_lo_u32 v7, v43, s37
	v_mad_u64_u32 v[4:5], s[14:15], v43, s36, 0
	v_add3_u32 v5, v5, v7, v6
	v_mul_lo_u32 v48, v46, s36
	v_mul_lo_u32 v49, v47, s37
	v_mad_u64_u32 v[6:7], s[14:15], v47, s36, 0
	v_add3_u32 v7, v7, v49, v48
	v_lshl_add_u64 v[4:5], v[4:5], 1, s[38:39]
	v_lshl_add_u64 v[6:7], v[6:7], 1, s[38:39]
	s_mov_b64 s[48:49], 0
	s_mov_b64 s[54:55], s[36:37]
                                        ; implicit-def: $sgpr50_sgpr51
                                        ; implicit-def: $sgpr52_sgpr53
                                        ; implicit-def: $sgpr14_sgpr15
                                        ; implicit-def: $sgpr56_sgpr57
	s_branch .LBB1361_1352
.LBB1361_1351:                          ;   in Loop: Header=BB1361_1352 Depth=1
	s_or_b64 exec, exec, s[60:61]
	s_and_b64 s[16:17], exec, s[52:53]
	s_or_b64 s[48:49], s[16:17], s[48:49]
	s_andn2_b64 s[16:17], s[56:57], exec
	s_and_b64 s[56:57], s[58:59], exec
	s_or_b64 s[56:57], s[16:17], s[56:57]
	s_andn2_b64 s[16:17], s[50:51], exec
	s_and_b64 s[50:51], s[14:15], exec
	s_or_b64 s[50:51], s[16:17], s[50:51]
	s_andn2_b64 exec, exec, s[48:49]
	s_cbranch_execz .LBB1361_1354
.LBB1361_1352:                          ; =>This Inner Loop Header: Depth=1
	global_load_ushort v48, v[4:5], off
	global_load_ushort v49, v[6:7], off
	s_andn2_b64 s[60:61], s[14:15], exec
	s_or_b64 s[52:53], s[52:53], exec
	s_waitcnt vmcnt(0)
	v_cmp_le_u16_e64 s[14:15], v48, v49
	v_cmp_lt_u16_e32 vcc, v48, v49
	s_and_b64 s[14:15], s[14:15], s[56:57]
	s_or_b64 s[58:59], vcc, s[14:15]
	s_and_b64 s[14:15], s[58:59], exec
	v_cmp_eq_u16_e64 s[16:17], v48, v49
	s_or_b64 s[14:15], s[60:61], s[14:15]
	s_and_saveexec_b64 s[60:61], s[16:17]
	s_cbranch_execz .LBB1361_1351
; %bb.1353:                             ;   in Loop: Header=BB1361_1352 Depth=1
	s_add_u32 s54, s54, -1
	s_addc_u32 s55, s55, -1
	s_cmp_eq_u64 s[54:55], 0
	s_cselect_b64 s[16:17], -1, 0
	s_andn2_b64 s[52:53], s[52:53], exec
	s_and_b64 s[16:17], s[16:17], exec
	v_lshl_add_u64 v[4:5], v[4:5], 0, 2
	v_lshl_add_u64 v[6:7], v[6:7], 0, 2
	s_andn2_b64 s[14:15], s[14:15], exec
	s_or_b64 s[52:53], s[52:53], s[16:17]
                                        ; implicit-def: $sgpr56_sgpr57
	s_branch .LBB1361_1351
.LBB1361_1354:
	s_or_b64 exec, exec, s[48:49]
	s_xor_b64 s[14:15], s[50:51], -1
	s_branch .LBB1361_1356
.LBB1361_1355:
	s_mov_b64 s[14:15], -1
.LBB1361_1356:
	s_and_b64 s[14:15], s[14:15], exec
.LBB1361_1357:
	s_or_b64 exec, exec, s[30:31]
	s_orn2_b64 s[30:31], s[14:15], exec
.LBB1361_1358:
	s_or_b64 exec, exec, s[46:47]
	v_cndmask_b32_e64 v4, v45, v44, s[30:31]
	v_cndmask_b32_e64 v5, v25, v24, s[30:31]
	;; [unrolled: 1-line block ×4, first 2 shown]
	v_add_u32_e32 v34, 1, v4
	v_add_u32_e32 v4, -1, v5
	v_min_u32_e32 v4, v34, v4
	v_lshl_add_u32 v4, v4, 3, v33
	v_cndmask_b32_e64 v11, v10, v11, s[24:25]
	v_cndmask_b32_e64 v10, v17, v23, s[24:25]
	;; [unrolled: 1-line block ×4, first 2 shown]
	ds_read_b64 v[22:23], v4
	v_cndmask_b32_e64 v14, v2, v0, s[20:21]
	v_cndmask_b32_e64 v0, v34, v45, s[30:31]
	;; [unrolled: 1-line block ×9, first 2 shown]
	s_waitcnt lgkmcnt(0)
	v_cndmask_b32_e64 v5, v46, v23, s[30:31]
	v_cndmask_b32_e64 v4, v47, v22, s[30:31]
	v_cmp_lt_u32_e32 vcc, v0, v25
	s_and_saveexec_b64 s[20:21], vcc
	s_cbranch_execz .LBB1361_1368
; %bb.1359:
	v_cndmask_b32_e64 v0, v22, v43, s[30:31]
	v_cndmask_b32_e64 v22, v44, v34, s[30:31]
	;; [unrolled: 1-line block ×3, first 2 shown]
	v_cmp_lt_u32_e32 vcc, v22, v24
	s_and_saveexec_b64 s[22:23], vcc
	s_cbranch_execz .LBB1361_1367
; %bb.1360:
	s_andn2_b64 vcc, exec, s[42:43]
	s_cbranch_vccnz .LBB1361_1366
; %bb.1361:
	v_mul_lo_u32 v24, v1, s36
	v_mul_lo_u32 v25, v0, s37
	v_mad_u64_u32 v[22:23], s[14:15], v0, s36, 0
	v_add3_u32 v23, v23, v25, v24
	v_mul_lo_u32 v33, v5, s36
	v_mul_lo_u32 v34, v4, s37
	v_mad_u64_u32 v[24:25], s[14:15], v4, s36, 0
	v_add3_u32 v25, v25, v34, v33
	v_lshl_add_u64 v[22:23], v[22:23], 1, s[38:39]
	v_lshl_add_u64 v[24:25], v[24:25], 1, s[38:39]
	s_mov_b64 s[24:25], 0
	s_mov_b64 s[30:31], s[36:37]
                                        ; implicit-def: $sgpr26_sgpr27
                                        ; implicit-def: $sgpr28_sgpr29
                                        ; implicit-def: $sgpr14_sgpr15
                                        ; implicit-def: $sgpr44_sgpr45
	s_branch .LBB1361_1363
.LBB1361_1362:                          ;   in Loop: Header=BB1361_1363 Depth=1
	s_or_b64 exec, exec, s[48:49]
	s_and_b64 s[16:17], exec, s[28:29]
	s_or_b64 s[24:25], s[16:17], s[24:25]
	s_andn2_b64 s[16:17], s[44:45], exec
	s_and_b64 s[44:45], s[46:47], exec
	s_or_b64 s[44:45], s[16:17], s[44:45]
	s_andn2_b64 s[16:17], s[26:27], exec
	s_and_b64 s[26:27], s[14:15], exec
	s_or_b64 s[26:27], s[16:17], s[26:27]
	s_andn2_b64 exec, exec, s[24:25]
	s_cbranch_execz .LBB1361_1365
.LBB1361_1363:                          ; =>This Inner Loop Header: Depth=1
	global_load_ushort v33, v[22:23], off
	global_load_ushort v34, v[24:25], off
	s_andn2_b64 s[48:49], s[14:15], exec
	s_or_b64 s[28:29], s[28:29], exec
	s_waitcnt vmcnt(0)
	v_cmp_le_u16_e64 s[14:15], v33, v34
	v_cmp_lt_u16_e32 vcc, v33, v34
	s_and_b64 s[14:15], s[14:15], s[44:45]
	s_or_b64 s[46:47], vcc, s[14:15]
	s_and_b64 s[14:15], s[46:47], exec
	v_cmp_eq_u16_e64 s[16:17], v33, v34
	s_or_b64 s[14:15], s[48:49], s[14:15]
	s_and_saveexec_b64 s[48:49], s[16:17]
	s_cbranch_execz .LBB1361_1362
; %bb.1364:                             ;   in Loop: Header=BB1361_1363 Depth=1
	s_add_u32 s30, s30, -1
	s_addc_u32 s31, s31, -1
	s_cmp_eq_u64 s[30:31], 0
	s_cselect_b64 s[16:17], -1, 0
	s_andn2_b64 s[28:29], s[28:29], exec
	s_and_b64 s[16:17], s[16:17], exec
	v_lshl_add_u64 v[22:23], v[22:23], 0, 2
	v_lshl_add_u64 v[24:25], v[24:25], 0, 2
	s_andn2_b64 s[14:15], s[14:15], exec
	s_or_b64 s[28:29], s[28:29], s[16:17]
                                        ; implicit-def: $sgpr44_sgpr45
	s_branch .LBB1361_1362
.LBB1361_1365:
	s_or_b64 exec, exec, s[24:25]
	v_cndmask_b32_e64 v5, v5, v1, s[26:27]
	v_cndmask_b32_e64 v4, v4, v0, s[26:27]
.LBB1361_1366:
	v_mov_b64_e32 v[0:1], v[4:5]
.LBB1361_1367:
	s_or_b64 exec, exec, s[22:23]
	v_mov_b64_e32 v[4:5], v[0:1]
.LBB1361_1368:
	s_or_b64 exec, exec, s[20:21]
.LBB1361_1369:
	s_or_b64 exec, exec, s[18:19]
	s_cmpk_lt_u32 s33, 0x81
	; wave barrier
	s_waitcnt lgkmcnt(0)
	s_barrier
	s_cbranch_scc1 .LBB1361_1473
; %bb.1370:
	v_cndmask_b32_e64 v0, 0, 1, s[42:43]
	v_lshlrev_b32_e32 v24, 3, v20
	s_lshl_b64 s[20:21], s[36:37], 1
	s_movk_i32 s66, 0x80
	v_cmp_ne_u32_e64 s[14:15], 1, v0
	s_branch .LBB1361_1376
.LBB1361_1371:                          ;   in Loop: Header=BB1361_1376 Depth=1
	s_or_b64 exec, exec, s[52:53]
	v_cndmask_b32_e64 v5, v5, v7, s[54:55]
	v_cndmask_b32_e64 v4, v4, v6, s[54:55]
.LBB1361_1372:                          ;   in Loop: Header=BB1361_1376 Depth=1
	v_mov_b64_e32 v[6:7], v[4:5]
.LBB1361_1373:                          ;   in Loop: Header=BB1361_1376 Depth=1
	s_or_b64 exec, exec, s[50:51]
	v_mov_b64_e32 v[4:5], v[6:7]
.LBB1361_1374:                          ;   in Loop: Header=BB1361_1376 Depth=1
	s_or_b64 exec, exec, s[48:49]
	v_cndmask_b32_e64 v9, v42, v44, s[46:47]
	v_cndmask_b32_e64 v8, v43, v45, s[46:47]
	v_cndmask_b32_e64 v7, v38, v40, s[42:43]
	v_cndmask_b32_e64 v6, v39, v41, s[42:43]
	v_cndmask_b32_e64 v13, v12, v13, s[30:31]
	v_cndmask_b32_e64 v12, v36, v37, s[30:31]
	v_cndmask_b32_e64 v11, v17, v34, s[28:29]
	v_cndmask_b32_e64 v10, v23, v35, s[28:29]
	v_cndmask_b32_e64 v17, v14, v16, s[26:27]
	v_cndmask_b32_e64 v16, v15, v22, s[26:27]
	v_cndmask_b32_e64 v15, v3, v1, s[24:25]
	v_cndmask_b32_e64 v14, v2, v0, s[24:25]
	v_cndmask_b32_e64 v3, v46, v48, s[44:45]
	v_cndmask_b32_e64 v2, v47, v49, s[44:45]
.LBB1361_1375:                          ;   in Loop: Header=BB1361_1376 Depth=1
	s_or_b64 exec, exec, s[22:23]
	s_cmp_lt_u32 s66, s33
	s_barrier
	s_cbranch_scc0 .LBB1361_1473
.LBB1361_1376:                          ; =>This Loop Header: Depth=1
                                        ;     Child Loop BB1361_1380 Depth 2
                                        ;       Child Loop BB1361_1383 Depth 3
                                        ;     Child Loop BB1361_1395 Depth 2
                                        ;     Child Loop BB1361_1405 Depth 2
	;; [unrolled: 1-line block ×8, first 2 shown]
	s_mov_b32 s16, s66
	s_lshl_b32 s66, s66, 1
	s_sub_i32 s18, 0, s66
	v_and_b32_e32 v36, s18, v20
	v_add_u32_e32 v0, s16, v36
	v_min_u32_e32 v25, s33, v0
	s_add_i32 s17, s66, -1
	v_add_u32_e32 v0, s16, v25
	v_min_u32_e32 v33, s33, v0
	v_and_b32_e32 v0, s17, v20
	v_min_u32_e32 v37, s33, v0
	v_sub_u32_e32 v0, v25, v36
	v_sub_u32_e32 v1, v33, v25
	v_sub_u32_e64 v35, v37, v1 clamp
	v_min_u32_e32 v38, v37, v0
	v_lshlrev_b32_e32 v34, 3, v36
	v_cmp_lt_u32_e32 vcc, v35, v38
	ds_write_b128 v24, v[14:17]
	ds_write_b128 v24, v[10:13] offset:16
	ds_write_b128 v24, v[6:9] offset:32
	;; [unrolled: 1-line block ×3, first 2 shown]
	s_waitcnt lgkmcnt(0)
	s_barrier
	s_and_saveexec_b64 s[22:23], vcc
	s_cbranch_execz .LBB1361_1386
; %bb.1377:                             ;   in Loop: Header=BB1361_1376 Depth=1
	v_lshlrev_b32_e32 v0, 3, v37
	v_lshl_add_u32 v39, v25, 3, v0
	s_mov_b64 s[24:25], 0
	s_branch .LBB1361_1380
.LBB1361_1378:                          ;   in Loop: Header=BB1361_1380 Depth=2
	s_or_b64 exec, exec, s[28:29]
.LBB1361_1379:                          ;   in Loop: Header=BB1361_1380 Depth=2
	v_add_u32_e32 v0, 1, v40
	v_cndmask_b32_e64 v38, v38, v40, s[26:27]
	v_cndmask_b32_e64 v35, v0, v35, s[26:27]
	v_cmp_ge_u32_e32 vcc, v35, v38
	s_or_b64 s[24:25], vcc, s[24:25]
	s_andn2_b64 exec, exec, s[24:25]
	s_cbranch_execz .LBB1361_1385
.LBB1361_1380:                          ;   Parent Loop BB1361_1376 Depth=1
                                        ; =>  This Loop Header: Depth=2
                                        ;       Child Loop BB1361_1383 Depth 3
	v_add_u32_e32 v0, v38, v35
	v_lshrrev_b32_e32 v40, 1, v0
	s_and_b64 vcc, exec, s[14:15]
	s_mov_b64 s[26:27], 0
	s_cbranch_vccnz .LBB1361_1379
; %bb.1381:                             ;   in Loop: Header=BB1361_1380 Depth=2
	v_not_b32_e32 v0, v40
	v_lshl_add_u32 v0, v0, 3, v39
	ds_read_b64 v[0:1], v0
	v_lshl_add_u32 v41, v40, 3, v34
	ds_read_b64 v[42:43], v41
	v_mov_b64_e32 v[22:23], s[38:39]
	s_mov_b64 s[28:29], 0
	s_waitcnt lgkmcnt(1)
	v_mul_lo_u32 v41, s20, v1
	v_mul_lo_u32 v44, s21, v0
	v_mad_u64_u32 v[0:1], s[16:17], s20, v0, v[22:23]
	v_add3_u32 v1, v44, v1, v41
	s_waitcnt lgkmcnt(0)
	v_mul_lo_u32 v41, s20, v43
	v_mul_lo_u32 v43, s21, v42
	v_mad_u64_u32 v[22:23], s[16:17], s20, v42, v[22:23]
	v_add3_u32 v23, v43, v23, v41
	s_mov_b64 s[42:43], s[36:37]
                                        ; implicit-def: $sgpr26_sgpr27
                                        ; implicit-def: $sgpr30_sgpr31
                                        ; implicit-def: $sgpr16_sgpr17
                                        ; implicit-def: $sgpr44_sgpr45
	s_branch .LBB1361_1383
.LBB1361_1382:                          ;   in Loop: Header=BB1361_1383 Depth=3
	s_or_b64 exec, exec, s[48:49]
	s_and_b64 s[18:19], exec, s[30:31]
	s_or_b64 s[28:29], s[18:19], s[28:29]
	s_andn2_b64 s[18:19], s[44:45], exec
	s_and_b64 s[44:45], s[46:47], exec
	s_or_b64 s[44:45], s[18:19], s[44:45]
	s_andn2_b64 s[18:19], s[26:27], exec
	s_and_b64 s[26:27], s[16:17], exec
	s_or_b64 s[26:27], s[18:19], s[26:27]
	s_andn2_b64 exec, exec, s[28:29]
	s_cbranch_execz .LBB1361_1378
.LBB1361_1383:                          ;   Parent Loop BB1361_1376 Depth=1
                                        ;     Parent Loop BB1361_1380 Depth=2
                                        ; =>    This Inner Loop Header: Depth=3
	global_load_ushort v41, v[0:1], off
	global_load_ushort v42, v[22:23], off
	s_andn2_b64 s[48:49], s[16:17], exec
	s_or_b64 s[30:31], s[30:31], exec
	s_waitcnt vmcnt(0)
	v_cmp_le_u16_e64 s[16:17], v41, v42
	v_cmp_lt_u16_e32 vcc, v41, v42
	s_and_b64 s[16:17], s[16:17], s[44:45]
	s_or_b64 s[46:47], vcc, s[16:17]
	s_and_b64 s[16:17], s[46:47], exec
	v_cmp_eq_u16_e64 s[18:19], v41, v42
	s_or_b64 s[16:17], s[48:49], s[16:17]
	s_and_saveexec_b64 s[48:49], s[18:19]
	s_cbranch_execz .LBB1361_1382
; %bb.1384:                             ;   in Loop: Header=BB1361_1383 Depth=3
	s_add_u32 s42, s42, -1
	s_addc_u32 s43, s43, -1
	s_cmp_eq_u64 s[42:43], 0
	s_cselect_b64 s[18:19], -1, 0
	s_andn2_b64 s[30:31], s[30:31], exec
	s_and_b64 s[18:19], s[18:19], exec
	v_lshl_add_u64 v[0:1], v[0:1], 0, 2
	v_lshl_add_u64 v[22:23], v[22:23], 0, 2
	s_andn2_b64 s[16:17], s[16:17], exec
	s_or_b64 s[30:31], s[30:31], s[18:19]
                                        ; implicit-def: $sgpr44_sgpr45
	s_branch .LBB1361_1382
.LBB1361_1385:                          ;   in Loop: Header=BB1361_1376 Depth=1
	s_or_b64 exec, exec, s[24:25]
.LBB1361_1386:                          ;   in Loop: Header=BB1361_1376 Depth=1
	s_or_b64 exec, exec, s[22:23]
	v_sub_u32_e32 v0, v37, v35
	v_add_u32_e32 v23, v35, v36
	v_add_u32_e32 v36, v0, v25
	v_cmp_le_u32_e32 vcc, v23, v25
	v_cmp_le_u32_e64 s[16:17], v36, v33
	s_or_b64 s[16:17], vcc, s[16:17]
	s_and_saveexec_b64 s[22:23], s[16:17]
	s_cbranch_execz .LBB1361_1375
; %bb.1387:                             ;   in Loop: Header=BB1361_1376 Depth=1
	v_cmp_ge_u32_e32 vcc, v23, v25
	v_cmp_lt_u32_e64 s[16:17], v23, v25
                                        ; implicit-def: $vgpr0_vgpr1
	s_and_saveexec_b64 s[18:19], s[16:17]
; %bb.1388:                             ;   in Loop: Header=BB1361_1376 Depth=1
	v_lshl_add_u32 v0, v35, 3, v34
	ds_read_b64 v[0:1], v0
; %bb.1389:                             ;   in Loop: Header=BB1361_1376 Depth=1
	s_or_b64 exec, exec, s[18:19]
	v_cmp_ge_u32_e64 s[24:25], v36, v33
	v_cmp_lt_u32_e64 s[16:17], v36, v33
                                        ; implicit-def: $vgpr2_vgpr3
	s_and_saveexec_b64 s[18:19], s[16:17]
; %bb.1390:                             ;   in Loop: Header=BB1361_1376 Depth=1
	v_lshlrev_b32_e32 v2, 3, v36
	ds_read_b64 v[2:3], v2
; %bb.1391:                             ;   in Loop: Header=BB1361_1376 Depth=1
	s_or_b64 exec, exec, s[18:19]
	s_nor_b64 s[16:17], vcc, s[24:25]
	s_and_saveexec_b64 s[26:27], s[16:17]
	s_cbranch_execz .LBB1361_1400
; %bb.1392:                             ;   in Loop: Header=BB1361_1376 Depth=1
	s_and_b64 vcc, exec, s[14:15]
	s_cbranch_vccnz .LBB1361_1398
; %bb.1393:                             ;   in Loop: Header=BB1361_1376 Depth=1
	v_mov_b64_e32 v[6:7], s[38:39]
	s_waitcnt lgkmcnt(0)
	v_mad_u64_u32 v[4:5], s[16:17], s20, v2, v[6:7]
	v_mul_lo_u32 v8, s20, v3
	v_mul_lo_u32 v9, s21, v2
	v_add3_u32 v5, v9, v5, v8
	v_mad_u64_u32 v[6:7], s[16:17], s20, v0, v[6:7]
	v_mul_lo_u32 v8, s20, v1
	v_mul_lo_u32 v9, s21, v0
	v_add3_u32 v7, v9, v7, v8
	s_mov_b64 s[28:29], 0
	s_mov_b64 s[44:45], s[36:37]
                                        ; implicit-def: $sgpr30_sgpr31
                                        ; implicit-def: $sgpr42_sgpr43
                                        ; implicit-def: $sgpr16_sgpr17
                                        ; implicit-def: $sgpr46_sgpr47
	s_branch .LBB1361_1395
.LBB1361_1394:                          ;   in Loop: Header=BB1361_1395 Depth=2
	s_or_b64 exec, exec, s[50:51]
	s_and_b64 s[18:19], exec, s[42:43]
	s_or_b64 s[28:29], s[18:19], s[28:29]
	s_andn2_b64 s[18:19], s[46:47], exec
	s_and_b64 s[46:47], s[48:49], exec
	s_or_b64 s[46:47], s[18:19], s[46:47]
	s_andn2_b64 s[18:19], s[30:31], exec
	s_and_b64 s[30:31], s[16:17], exec
	s_or_b64 s[30:31], s[18:19], s[30:31]
	s_andn2_b64 exec, exec, s[28:29]
	s_cbranch_execz .LBB1361_1397
.LBB1361_1395:                          ;   Parent Loop BB1361_1376 Depth=1
                                        ; =>  This Inner Loop Header: Depth=2
	global_load_ushort v8, v[4:5], off
	global_load_ushort v9, v[6:7], off
	s_andn2_b64 s[50:51], s[16:17], exec
	s_or_b64 s[42:43], s[42:43], exec
	s_waitcnt vmcnt(0)
	v_cmp_le_u16_e64 s[16:17], v8, v9
	v_cmp_lt_u16_e32 vcc, v8, v9
	s_and_b64 s[16:17], s[16:17], s[46:47]
	s_or_b64 s[48:49], vcc, s[16:17]
	s_and_b64 s[16:17], s[48:49], exec
	v_cmp_eq_u16_e64 s[18:19], v8, v9
	s_or_b64 s[16:17], s[50:51], s[16:17]
	s_and_saveexec_b64 s[50:51], s[18:19]
	s_cbranch_execz .LBB1361_1394
; %bb.1396:                             ;   in Loop: Header=BB1361_1395 Depth=2
	s_add_u32 s44, s44, -1
	s_addc_u32 s45, s45, -1
	s_cmp_eq_u64 s[44:45], 0
	s_cselect_b64 s[18:19], -1, 0
	s_andn2_b64 s[42:43], s[42:43], exec
	s_and_b64 s[18:19], s[18:19], exec
	v_lshl_add_u64 v[4:5], v[4:5], 0, 2
	v_lshl_add_u64 v[6:7], v[6:7], 0, 2
	s_andn2_b64 s[16:17], s[16:17], exec
	s_or_b64 s[42:43], s[42:43], s[18:19]
                                        ; implicit-def: $sgpr46_sgpr47
	s_branch .LBB1361_1394
.LBB1361_1397:                          ;   in Loop: Header=BB1361_1376 Depth=1
	s_or_b64 exec, exec, s[28:29]
	s_xor_b64 s[16:17], s[30:31], -1
	s_branch .LBB1361_1399
.LBB1361_1398:                          ;   in Loop: Header=BB1361_1376 Depth=1
	s_mov_b64 s[16:17], -1
.LBB1361_1399:                          ;   in Loop: Header=BB1361_1376 Depth=1
	s_andn2_b64 s[18:19], s[24:25], exec
	s_and_b64 s[16:17], s[16:17], exec
	s_or_b64 s[24:25], s[18:19], s[16:17]
.LBB1361_1400:                          ;   in Loop: Header=BB1361_1376 Depth=1
	s_or_b64 exec, exec, s[26:27]
	v_cndmask_b32_e64 v4, v36, v23, s[24:25]
	v_cndmask_b32_e64 v5, v33, v25, s[24:25]
	v_add_u32_e32 v6, 1, v4
	v_add_u32_e32 v4, -1, v5
	v_min_u32_e32 v4, v6, v4
	v_lshlrev_b32_e32 v4, 3, v4
	ds_read_b64 v[4:5], v4
	v_cndmask_b32_e64 v8, v6, v36, s[24:25]
	v_cndmask_b32_e64 v9, v23, v6, s[24:25]
	v_cmp_lt_u32_e32 vcc, v8, v33
	s_mov_b64 s[28:29], -1
	s_waitcnt lgkmcnt(0)
	v_cndmask_b32_e64 v14, v5, v3, s[24:25]
	v_cndmask_b32_e64 v15, v4, v2, s[24:25]
	;; [unrolled: 1-line block ×4, first 2 shown]
	s_mov_b64 s[26:27], -1
	s_and_saveexec_b64 s[30:31], vcc
	s_cbranch_execz .LBB1361_1411
; %bb.1401:                             ;   in Loop: Header=BB1361_1376 Depth=1
	v_cmp_lt_u32_e32 vcc, v9, v25
	s_mov_b64 s[16:17], 0
	s_and_saveexec_b64 s[26:27], vcc
	s_cbranch_execz .LBB1361_1410
; %bb.1402:                             ;   in Loop: Header=BB1361_1376 Depth=1
	s_and_b64 vcc, exec, s[14:15]
	s_cbranch_vccnz .LBB1361_1408
; %bb.1403:                             ;   in Loop: Header=BB1361_1376 Depth=1
	v_mov_b64_e32 v[6:7], s[38:39]
	v_mad_u64_u32 v[4:5], s[16:17], s20, v15, v[6:7]
	v_mul_lo_u32 v10, s20, v14
	v_mul_lo_u32 v11, s21, v15
	v_add3_u32 v5, v11, v5, v10
	v_mad_u64_u32 v[6:7], s[16:17], s20, v22, v[6:7]
	v_mul_lo_u32 v10, s20, v16
	v_mul_lo_u32 v11, s21, v22
	v_add3_u32 v7, v11, v7, v10
	s_mov_b64 s[42:43], 0
	s_mov_b64 s[48:49], s[36:37]
                                        ; implicit-def: $sgpr44_sgpr45
                                        ; implicit-def: $sgpr46_sgpr47
                                        ; implicit-def: $sgpr16_sgpr17
                                        ; implicit-def: $sgpr50_sgpr51
	s_branch .LBB1361_1405
.LBB1361_1404:                          ;   in Loop: Header=BB1361_1405 Depth=2
	s_or_b64 exec, exec, s[54:55]
	s_and_b64 s[18:19], exec, s[46:47]
	s_or_b64 s[42:43], s[18:19], s[42:43]
	s_andn2_b64 s[18:19], s[50:51], exec
	s_and_b64 s[50:51], s[52:53], exec
	s_or_b64 s[50:51], s[18:19], s[50:51]
	s_andn2_b64 s[18:19], s[44:45], exec
	s_and_b64 s[44:45], s[16:17], exec
	s_or_b64 s[44:45], s[18:19], s[44:45]
	s_andn2_b64 exec, exec, s[42:43]
	s_cbranch_execz .LBB1361_1407
.LBB1361_1405:                          ;   Parent Loop BB1361_1376 Depth=1
                                        ; =>  This Inner Loop Header: Depth=2
	global_load_ushort v10, v[4:5], off
	global_load_ushort v11, v[6:7], off
	s_andn2_b64 s[54:55], s[16:17], exec
	s_or_b64 s[46:47], s[46:47], exec
	s_waitcnt vmcnt(0)
	v_cmp_le_u16_e64 s[16:17], v10, v11
	v_cmp_lt_u16_e32 vcc, v10, v11
	s_and_b64 s[16:17], s[16:17], s[50:51]
	s_or_b64 s[52:53], vcc, s[16:17]
	s_and_b64 s[16:17], s[52:53], exec
	v_cmp_eq_u16_e64 s[18:19], v10, v11
	s_or_b64 s[16:17], s[54:55], s[16:17]
	s_and_saveexec_b64 s[54:55], s[18:19]
	s_cbranch_execz .LBB1361_1404
; %bb.1406:                             ;   in Loop: Header=BB1361_1405 Depth=2
	s_add_u32 s48, s48, -1
	s_addc_u32 s49, s49, -1
	s_cmp_eq_u64 s[48:49], 0
	s_cselect_b64 s[18:19], -1, 0
	s_andn2_b64 s[46:47], s[46:47], exec
	s_and_b64 s[18:19], s[18:19], exec
	v_lshl_add_u64 v[4:5], v[4:5], 0, 2
	v_lshl_add_u64 v[6:7], v[6:7], 0, 2
	s_andn2_b64 s[16:17], s[16:17], exec
	s_or_b64 s[46:47], s[46:47], s[18:19]
                                        ; implicit-def: $sgpr50_sgpr51
	s_branch .LBB1361_1404
.LBB1361_1407:                          ;   in Loop: Header=BB1361_1376 Depth=1
	s_or_b64 exec, exec, s[42:43]
	s_xor_b64 s[16:17], s[44:45], -1
	s_branch .LBB1361_1409
.LBB1361_1408:                          ;   in Loop: Header=BB1361_1376 Depth=1
	s_mov_b64 s[16:17], -1
.LBB1361_1409:                          ;   in Loop: Header=BB1361_1376 Depth=1
	s_and_b64 s[16:17], s[16:17], exec
.LBB1361_1410:                          ;   in Loop: Header=BB1361_1376 Depth=1
	s_or_b64 exec, exec, s[26:27]
	s_orn2_b64 s[26:27], s[16:17], exec
.LBB1361_1411:                          ;   in Loop: Header=BB1361_1376 Depth=1
	s_or_b64 exec, exec, s[30:31]
	v_cndmask_b32_e64 v4, v8, v9, s[26:27]
	v_cndmask_b32_e64 v5, v33, v25, s[26:27]
	v_add_u32_e32 v6, 1, v4
	v_add_u32_e32 v4, -1, v5
	v_min_u32_e32 v4, v6, v4
	v_lshlrev_b32_e32 v4, 3, v4
	ds_read_b64 v[4:5], v4
	v_cndmask_b32_e64 v8, v6, v8, s[26:27]
	v_cndmask_b32_e64 v9, v9, v6, s[26:27]
	v_cmp_lt_u32_e32 vcc, v8, v33
	s_waitcnt lgkmcnt(0)
	v_cndmask_b32_e64 v17, v5, v14, s[26:27]
	v_cndmask_b32_e64 v23, v4, v15, s[26:27]
	;; [unrolled: 1-line block ×4, first 2 shown]
	s_and_saveexec_b64 s[30:31], vcc
	s_cbranch_execz .LBB1361_1422
; %bb.1412:                             ;   in Loop: Header=BB1361_1376 Depth=1
	v_cmp_lt_u32_e32 vcc, v9, v25
	s_mov_b64 s[16:17], 0
	s_and_saveexec_b64 s[28:29], vcc
	s_cbranch_execz .LBB1361_1421
; %bb.1413:                             ;   in Loop: Header=BB1361_1376 Depth=1
	s_and_b64 vcc, exec, s[14:15]
	s_cbranch_vccnz .LBB1361_1419
; %bb.1414:                             ;   in Loop: Header=BB1361_1376 Depth=1
	v_mov_b64_e32 v[6:7], s[38:39]
	v_mad_u64_u32 v[4:5], s[16:17], s20, v23, v[6:7]
	v_mul_lo_u32 v10, s20, v17
	v_mul_lo_u32 v11, s21, v23
	v_add3_u32 v5, v11, v5, v10
	v_mad_u64_u32 v[6:7], s[16:17], s20, v35, v[6:7]
	v_mul_lo_u32 v10, s20, v34
	v_mul_lo_u32 v11, s21, v35
	v_add3_u32 v7, v11, v7, v10
	s_mov_b64 s[42:43], 0
	s_mov_b64 s[48:49], s[36:37]
                                        ; implicit-def: $sgpr44_sgpr45
                                        ; implicit-def: $sgpr46_sgpr47
                                        ; implicit-def: $sgpr16_sgpr17
                                        ; implicit-def: $sgpr50_sgpr51
	s_branch .LBB1361_1416
.LBB1361_1415:                          ;   in Loop: Header=BB1361_1416 Depth=2
	s_or_b64 exec, exec, s[54:55]
	s_and_b64 s[18:19], exec, s[46:47]
	s_or_b64 s[42:43], s[18:19], s[42:43]
	s_andn2_b64 s[18:19], s[50:51], exec
	s_and_b64 s[50:51], s[52:53], exec
	s_or_b64 s[50:51], s[18:19], s[50:51]
	s_andn2_b64 s[18:19], s[44:45], exec
	s_and_b64 s[44:45], s[16:17], exec
	s_or_b64 s[44:45], s[18:19], s[44:45]
	s_andn2_b64 exec, exec, s[42:43]
	s_cbranch_execz .LBB1361_1418
.LBB1361_1416:                          ;   Parent Loop BB1361_1376 Depth=1
                                        ; =>  This Inner Loop Header: Depth=2
	global_load_ushort v10, v[4:5], off
	global_load_ushort v11, v[6:7], off
	s_andn2_b64 s[54:55], s[16:17], exec
	s_or_b64 s[46:47], s[46:47], exec
	s_waitcnt vmcnt(0)
	v_cmp_le_u16_e64 s[16:17], v10, v11
	v_cmp_lt_u16_e32 vcc, v10, v11
	s_and_b64 s[16:17], s[16:17], s[50:51]
	s_or_b64 s[52:53], vcc, s[16:17]
	s_and_b64 s[16:17], s[52:53], exec
	v_cmp_eq_u16_e64 s[18:19], v10, v11
	s_or_b64 s[16:17], s[54:55], s[16:17]
	s_and_saveexec_b64 s[54:55], s[18:19]
	s_cbranch_execz .LBB1361_1415
; %bb.1417:                             ;   in Loop: Header=BB1361_1416 Depth=2
	s_add_u32 s48, s48, -1
	s_addc_u32 s49, s49, -1
	s_cmp_eq_u64 s[48:49], 0
	s_cselect_b64 s[18:19], -1, 0
	s_andn2_b64 s[46:47], s[46:47], exec
	s_and_b64 s[18:19], s[18:19], exec
	v_lshl_add_u64 v[4:5], v[4:5], 0, 2
	v_lshl_add_u64 v[6:7], v[6:7], 0, 2
	s_andn2_b64 s[16:17], s[16:17], exec
	s_or_b64 s[46:47], s[46:47], s[18:19]
                                        ; implicit-def: $sgpr50_sgpr51
	s_branch .LBB1361_1415
.LBB1361_1418:                          ;   in Loop: Header=BB1361_1376 Depth=1
	s_or_b64 exec, exec, s[42:43]
	s_xor_b64 s[16:17], s[44:45], -1
	s_branch .LBB1361_1420
.LBB1361_1419:                          ;   in Loop: Header=BB1361_1376 Depth=1
	s_mov_b64 s[16:17], -1
.LBB1361_1420:                          ;   in Loop: Header=BB1361_1376 Depth=1
	s_and_b64 s[16:17], s[16:17], exec
.LBB1361_1421:                          ;   in Loop: Header=BB1361_1376 Depth=1
	s_or_b64 exec, exec, s[28:29]
	s_orn2_b64 s[28:29], s[16:17], exec
.LBB1361_1422:                          ;   in Loop: Header=BB1361_1376 Depth=1
	s_or_b64 exec, exec, s[30:31]
	v_cndmask_b32_e64 v4, v8, v9, s[28:29]
	v_cndmask_b32_e64 v5, v33, v25, s[28:29]
	v_add_u32_e32 v6, 1, v4
	v_add_u32_e32 v4, -1, v5
	v_min_u32_e32 v4, v6, v4
	v_lshlrev_b32_e32 v4, 3, v4
	ds_read_b64 v[4:5], v4
	v_cndmask_b32_e64 v8, v6, v8, s[28:29]
	v_cndmask_b32_e64 v9, v9, v6, s[28:29]
	v_cmp_lt_u32_e32 vcc, v8, v33
	s_mov_b64 s[42:43], -1
	s_waitcnt lgkmcnt(0)
	v_cndmask_b32_e64 v12, v5, v17, s[28:29]
	v_cndmask_b32_e64 v36, v4, v23, s[28:29]
	;; [unrolled: 1-line block ×4, first 2 shown]
	s_mov_b64 s[30:31], -1
	s_and_saveexec_b64 s[44:45], vcc
	s_cbranch_execz .LBB1361_1433
; %bb.1423:                             ;   in Loop: Header=BB1361_1376 Depth=1
	v_cmp_lt_u32_e32 vcc, v9, v25
	s_mov_b64 s[16:17], 0
	s_and_saveexec_b64 s[30:31], vcc
	s_cbranch_execz .LBB1361_1432
; %bb.1424:                             ;   in Loop: Header=BB1361_1376 Depth=1
	s_and_b64 vcc, exec, s[14:15]
	s_cbranch_vccnz .LBB1361_1430
; %bb.1425:                             ;   in Loop: Header=BB1361_1376 Depth=1
	v_mov_b64_e32 v[6:7], s[38:39]
	v_mad_u64_u32 v[4:5], s[16:17], s20, v36, v[6:7]
	v_mul_lo_u32 v10, s20, v12
	v_mul_lo_u32 v11, s21, v36
	v_add3_u32 v5, v11, v5, v10
	v_mad_u64_u32 v[6:7], s[16:17], s20, v37, v[6:7]
	v_mul_lo_u32 v10, s20, v13
	v_mul_lo_u32 v11, s21, v37
	v_add3_u32 v7, v11, v7, v10
	s_mov_b64 s[46:47], 0
	s_mov_b64 s[52:53], s[36:37]
                                        ; implicit-def: $sgpr48_sgpr49
                                        ; implicit-def: $sgpr50_sgpr51
                                        ; implicit-def: $sgpr16_sgpr17
                                        ; implicit-def: $sgpr54_sgpr55
	s_branch .LBB1361_1427
.LBB1361_1426:                          ;   in Loop: Header=BB1361_1427 Depth=2
	s_or_b64 exec, exec, s[58:59]
	s_and_b64 s[18:19], exec, s[50:51]
	s_or_b64 s[46:47], s[18:19], s[46:47]
	s_andn2_b64 s[18:19], s[54:55], exec
	s_and_b64 s[54:55], s[56:57], exec
	s_or_b64 s[54:55], s[18:19], s[54:55]
	s_andn2_b64 s[18:19], s[48:49], exec
	s_and_b64 s[48:49], s[16:17], exec
	s_or_b64 s[48:49], s[18:19], s[48:49]
	s_andn2_b64 exec, exec, s[46:47]
	s_cbranch_execz .LBB1361_1429
.LBB1361_1427:                          ;   Parent Loop BB1361_1376 Depth=1
                                        ; =>  This Inner Loop Header: Depth=2
	global_load_ushort v10, v[4:5], off
	global_load_ushort v11, v[6:7], off
	s_andn2_b64 s[58:59], s[16:17], exec
	s_or_b64 s[50:51], s[50:51], exec
	s_waitcnt vmcnt(0)
	v_cmp_le_u16_e64 s[16:17], v10, v11
	v_cmp_lt_u16_e32 vcc, v10, v11
	s_and_b64 s[16:17], s[16:17], s[54:55]
	s_or_b64 s[56:57], vcc, s[16:17]
	s_and_b64 s[16:17], s[56:57], exec
	v_cmp_eq_u16_e64 s[18:19], v10, v11
	s_or_b64 s[16:17], s[58:59], s[16:17]
	s_and_saveexec_b64 s[58:59], s[18:19]
	s_cbranch_execz .LBB1361_1426
; %bb.1428:                             ;   in Loop: Header=BB1361_1427 Depth=2
	s_add_u32 s52, s52, -1
	s_addc_u32 s53, s53, -1
	s_cmp_eq_u64 s[52:53], 0
	s_cselect_b64 s[18:19], -1, 0
	s_andn2_b64 s[50:51], s[50:51], exec
	s_and_b64 s[18:19], s[18:19], exec
	v_lshl_add_u64 v[4:5], v[4:5], 0, 2
	v_lshl_add_u64 v[6:7], v[6:7], 0, 2
	s_andn2_b64 s[16:17], s[16:17], exec
	s_or_b64 s[50:51], s[50:51], s[18:19]
                                        ; implicit-def: $sgpr54_sgpr55
	s_branch .LBB1361_1426
.LBB1361_1429:                          ;   in Loop: Header=BB1361_1376 Depth=1
	s_or_b64 exec, exec, s[46:47]
	s_xor_b64 s[16:17], s[48:49], -1
	s_branch .LBB1361_1431
.LBB1361_1430:                          ;   in Loop: Header=BB1361_1376 Depth=1
	s_mov_b64 s[16:17], -1
.LBB1361_1431:                          ;   in Loop: Header=BB1361_1376 Depth=1
	s_and_b64 s[16:17], s[16:17], exec
.LBB1361_1432:                          ;   in Loop: Header=BB1361_1376 Depth=1
	s_or_b64 exec, exec, s[30:31]
	s_orn2_b64 s[30:31], s[16:17], exec
.LBB1361_1433:                          ;   in Loop: Header=BB1361_1376 Depth=1
	s_or_b64 exec, exec, s[44:45]
	v_cndmask_b32_e64 v4, v8, v9, s[30:31]
	v_cndmask_b32_e64 v5, v33, v25, s[30:31]
	v_add_u32_e32 v6, 1, v4
	v_add_u32_e32 v4, -1, v5
	v_min_u32_e32 v4, v6, v4
	v_lshlrev_b32_e32 v4, 3, v4
	ds_read_b64 v[4:5], v4
	v_cndmask_b32_e64 v8, v6, v8, s[30:31]
	v_cndmask_b32_e64 v9, v9, v6, s[30:31]
	v_cmp_lt_u32_e32 vcc, v8, v33
	s_waitcnt lgkmcnt(0)
	v_cndmask_b32_e64 v38, v5, v12, s[30:31]
	v_cndmask_b32_e64 v39, v4, v36, s[30:31]
	;; [unrolled: 1-line block ×4, first 2 shown]
	s_and_saveexec_b64 s[44:45], vcc
	s_cbranch_execz .LBB1361_1444
; %bb.1434:                             ;   in Loop: Header=BB1361_1376 Depth=1
	v_cmp_lt_u32_e32 vcc, v9, v25
	s_mov_b64 s[16:17], 0
	s_and_saveexec_b64 s[42:43], vcc
	s_cbranch_execz .LBB1361_1443
; %bb.1435:                             ;   in Loop: Header=BB1361_1376 Depth=1
	s_and_b64 vcc, exec, s[14:15]
	s_cbranch_vccnz .LBB1361_1441
; %bb.1436:                             ;   in Loop: Header=BB1361_1376 Depth=1
	v_mov_b64_e32 v[6:7], s[38:39]
	v_mad_u64_u32 v[4:5], s[16:17], s20, v39, v[6:7]
	v_mul_lo_u32 v10, s20, v38
	v_mul_lo_u32 v11, s21, v39
	v_add3_u32 v5, v11, v5, v10
	v_mad_u64_u32 v[6:7], s[16:17], s20, v41, v[6:7]
	v_mul_lo_u32 v10, s20, v40
	v_mul_lo_u32 v11, s21, v41
	v_add3_u32 v7, v11, v7, v10
	s_mov_b64 s[46:47], 0
	s_mov_b64 s[52:53], s[36:37]
                                        ; implicit-def: $sgpr48_sgpr49
                                        ; implicit-def: $sgpr50_sgpr51
                                        ; implicit-def: $sgpr16_sgpr17
                                        ; implicit-def: $sgpr54_sgpr55
	s_branch .LBB1361_1438
.LBB1361_1437:                          ;   in Loop: Header=BB1361_1438 Depth=2
	s_or_b64 exec, exec, s[58:59]
	s_and_b64 s[18:19], exec, s[50:51]
	s_or_b64 s[46:47], s[18:19], s[46:47]
	s_andn2_b64 s[18:19], s[54:55], exec
	s_and_b64 s[54:55], s[56:57], exec
	s_or_b64 s[54:55], s[18:19], s[54:55]
	s_andn2_b64 s[18:19], s[48:49], exec
	s_and_b64 s[48:49], s[16:17], exec
	s_or_b64 s[48:49], s[18:19], s[48:49]
	s_andn2_b64 exec, exec, s[46:47]
	s_cbranch_execz .LBB1361_1440
.LBB1361_1438:                          ;   Parent Loop BB1361_1376 Depth=1
                                        ; =>  This Inner Loop Header: Depth=2
	global_load_ushort v10, v[4:5], off
	global_load_ushort v11, v[6:7], off
	s_andn2_b64 s[58:59], s[16:17], exec
	s_or_b64 s[50:51], s[50:51], exec
	s_waitcnt vmcnt(0)
	v_cmp_le_u16_e64 s[16:17], v10, v11
	v_cmp_lt_u16_e32 vcc, v10, v11
	s_and_b64 s[16:17], s[16:17], s[54:55]
	s_or_b64 s[56:57], vcc, s[16:17]
	s_and_b64 s[16:17], s[56:57], exec
	v_cmp_eq_u16_e64 s[18:19], v10, v11
	s_or_b64 s[16:17], s[58:59], s[16:17]
	s_and_saveexec_b64 s[58:59], s[18:19]
	s_cbranch_execz .LBB1361_1437
; %bb.1439:                             ;   in Loop: Header=BB1361_1438 Depth=2
	s_add_u32 s52, s52, -1
	s_addc_u32 s53, s53, -1
	s_cmp_eq_u64 s[52:53], 0
	s_cselect_b64 s[18:19], -1, 0
	s_andn2_b64 s[50:51], s[50:51], exec
	s_and_b64 s[18:19], s[18:19], exec
	v_lshl_add_u64 v[4:5], v[4:5], 0, 2
	v_lshl_add_u64 v[6:7], v[6:7], 0, 2
	s_andn2_b64 s[16:17], s[16:17], exec
	s_or_b64 s[50:51], s[50:51], s[18:19]
                                        ; implicit-def: $sgpr54_sgpr55
	s_branch .LBB1361_1437
.LBB1361_1440:                          ;   in Loop: Header=BB1361_1376 Depth=1
	s_or_b64 exec, exec, s[46:47]
	s_xor_b64 s[16:17], s[48:49], -1
	s_branch .LBB1361_1442
.LBB1361_1441:                          ;   in Loop: Header=BB1361_1376 Depth=1
	s_mov_b64 s[16:17], -1
.LBB1361_1442:                          ;   in Loop: Header=BB1361_1376 Depth=1
	s_and_b64 s[16:17], s[16:17], exec
.LBB1361_1443:                          ;   in Loop: Header=BB1361_1376 Depth=1
	s_or_b64 exec, exec, s[42:43]
	s_orn2_b64 s[42:43], s[16:17], exec
.LBB1361_1444:                          ;   in Loop: Header=BB1361_1376 Depth=1
	s_or_b64 exec, exec, s[44:45]
	v_cndmask_b32_e64 v4, v8, v9, s[42:43]
	v_cndmask_b32_e64 v5, v33, v25, s[42:43]
	v_add_u32_e32 v6, 1, v4
	v_add_u32_e32 v4, -1, v5
	v_min_u32_e32 v4, v6, v4
	v_lshlrev_b32_e32 v4, 3, v4
	ds_read_b64 v[4:5], v4
	v_cndmask_b32_e64 v8, v6, v8, s[42:43]
	v_cndmask_b32_e64 v9, v9, v6, s[42:43]
	v_cmp_lt_u32_e32 vcc, v8, v33
	s_mov_b64 s[44:45], -1
	s_waitcnt lgkmcnt(0)
	v_cndmask_b32_e64 v42, v5, v38, s[42:43]
	v_cndmask_b32_e64 v43, v4, v39, s[42:43]
	;; [unrolled: 1-line block ×4, first 2 shown]
	s_mov_b64 s[46:47], -1
	s_and_saveexec_b64 s[48:49], vcc
	s_cbranch_execz .LBB1361_1455
; %bb.1445:                             ;   in Loop: Header=BB1361_1376 Depth=1
	v_cmp_lt_u32_e32 vcc, v9, v25
	s_mov_b64 s[16:17], 0
	s_and_saveexec_b64 s[46:47], vcc
	s_cbranch_execz .LBB1361_1454
; %bb.1446:                             ;   in Loop: Header=BB1361_1376 Depth=1
	s_and_b64 vcc, exec, s[14:15]
	s_cbranch_vccnz .LBB1361_1452
; %bb.1447:                             ;   in Loop: Header=BB1361_1376 Depth=1
	v_mov_b64_e32 v[6:7], s[38:39]
	v_mad_u64_u32 v[4:5], s[16:17], s20, v43, v[6:7]
	v_mul_lo_u32 v10, s20, v42
	v_mul_lo_u32 v11, s21, v43
	v_add3_u32 v5, v11, v5, v10
	v_mad_u64_u32 v[6:7], s[16:17], s20, v45, v[6:7]
	v_mul_lo_u32 v10, s20, v44
	v_mul_lo_u32 v11, s21, v45
	v_add3_u32 v7, v11, v7, v10
	s_mov_b64 s[50:51], 0
	s_mov_b64 s[56:57], s[36:37]
                                        ; implicit-def: $sgpr52_sgpr53
                                        ; implicit-def: $sgpr54_sgpr55
                                        ; implicit-def: $sgpr16_sgpr17
                                        ; implicit-def: $sgpr58_sgpr59
	s_branch .LBB1361_1449
.LBB1361_1448:                          ;   in Loop: Header=BB1361_1449 Depth=2
	s_or_b64 exec, exec, s[62:63]
	s_and_b64 s[18:19], exec, s[54:55]
	s_or_b64 s[50:51], s[18:19], s[50:51]
	s_andn2_b64 s[18:19], s[58:59], exec
	s_and_b64 s[58:59], s[60:61], exec
	s_or_b64 s[58:59], s[18:19], s[58:59]
	s_andn2_b64 s[18:19], s[52:53], exec
	s_and_b64 s[52:53], s[16:17], exec
	s_or_b64 s[52:53], s[18:19], s[52:53]
	s_andn2_b64 exec, exec, s[50:51]
	s_cbranch_execz .LBB1361_1451
.LBB1361_1449:                          ;   Parent Loop BB1361_1376 Depth=1
                                        ; =>  This Inner Loop Header: Depth=2
	global_load_ushort v10, v[4:5], off
	global_load_ushort v11, v[6:7], off
	s_andn2_b64 s[62:63], s[16:17], exec
	s_or_b64 s[54:55], s[54:55], exec
	s_waitcnt vmcnt(0)
	v_cmp_le_u16_e64 s[16:17], v10, v11
	v_cmp_lt_u16_e32 vcc, v10, v11
	s_and_b64 s[16:17], s[16:17], s[58:59]
	s_or_b64 s[60:61], vcc, s[16:17]
	s_and_b64 s[16:17], s[60:61], exec
	v_cmp_eq_u16_e64 s[18:19], v10, v11
	s_or_b64 s[16:17], s[62:63], s[16:17]
	s_and_saveexec_b64 s[62:63], s[18:19]
	s_cbranch_execz .LBB1361_1448
; %bb.1450:                             ;   in Loop: Header=BB1361_1449 Depth=2
	s_add_u32 s56, s56, -1
	s_addc_u32 s57, s57, -1
	s_cmp_eq_u64 s[56:57], 0
	s_cselect_b64 s[18:19], -1, 0
	s_andn2_b64 s[54:55], s[54:55], exec
	s_and_b64 s[18:19], s[18:19], exec
	v_lshl_add_u64 v[4:5], v[4:5], 0, 2
	v_lshl_add_u64 v[6:7], v[6:7], 0, 2
	s_andn2_b64 s[16:17], s[16:17], exec
	s_or_b64 s[54:55], s[54:55], s[18:19]
                                        ; implicit-def: $sgpr58_sgpr59
	s_branch .LBB1361_1448
.LBB1361_1451:                          ;   in Loop: Header=BB1361_1376 Depth=1
	s_or_b64 exec, exec, s[50:51]
	s_xor_b64 s[16:17], s[52:53], -1
	s_branch .LBB1361_1453
.LBB1361_1452:                          ;   in Loop: Header=BB1361_1376 Depth=1
	s_mov_b64 s[16:17], -1
.LBB1361_1453:                          ;   in Loop: Header=BB1361_1376 Depth=1
	s_and_b64 s[16:17], s[16:17], exec
.LBB1361_1454:                          ;   in Loop: Header=BB1361_1376 Depth=1
	s_or_b64 exec, exec, s[46:47]
	s_orn2_b64 s[46:47], s[16:17], exec
.LBB1361_1455:                          ;   in Loop: Header=BB1361_1376 Depth=1
	s_or_b64 exec, exec, s[48:49]
	v_cndmask_b32_e64 v4, v8, v9, s[46:47]
	v_cndmask_b32_e64 v5, v33, v25, s[46:47]
	v_add_u32_e32 v6, 1, v4
	v_add_u32_e32 v4, -1, v5
	v_min_u32_e32 v4, v6, v4
	v_lshlrev_b32_e32 v4, 3, v4
	ds_read_b64 v[4:5], v4
	v_cndmask_b32_e64 v10, v6, v8, s[46:47]
	v_cndmask_b32_e64 v8, v9, v6, s[46:47]
	v_cmp_lt_u32_e32 vcc, v10, v33
	s_waitcnt lgkmcnt(0)
	v_cndmask_b32_e64 v46, v5, v42, s[46:47]
	v_cndmask_b32_e64 v47, v4, v43, s[46:47]
	;; [unrolled: 1-line block ×4, first 2 shown]
	s_and_saveexec_b64 s[48:49], vcc
	s_cbranch_execz .LBB1361_1466
; %bb.1456:                             ;   in Loop: Header=BB1361_1376 Depth=1
	v_cmp_lt_u32_e32 vcc, v8, v25
	s_mov_b64 s[16:17], 0
	s_and_saveexec_b64 s[44:45], vcc
	s_cbranch_execz .LBB1361_1465
; %bb.1457:                             ;   in Loop: Header=BB1361_1376 Depth=1
	s_and_b64 vcc, exec, s[14:15]
	s_cbranch_vccnz .LBB1361_1463
; %bb.1458:                             ;   in Loop: Header=BB1361_1376 Depth=1
	v_mov_b64_e32 v[6:7], s[38:39]
	v_mad_u64_u32 v[4:5], s[16:17], s20, v47, v[6:7]
	v_mul_lo_u32 v9, s20, v46
	v_mul_lo_u32 v11, s21, v47
	v_add3_u32 v5, v11, v5, v9
	v_mad_u64_u32 v[6:7], s[16:17], s20, v49, v[6:7]
	v_mul_lo_u32 v9, s20, v48
	v_mul_lo_u32 v11, s21, v49
	v_add3_u32 v7, v11, v7, v9
	s_mov_b64 s[50:51], 0
	s_mov_b64 s[56:57], s[36:37]
                                        ; implicit-def: $sgpr52_sgpr53
                                        ; implicit-def: $sgpr54_sgpr55
                                        ; implicit-def: $sgpr16_sgpr17
                                        ; implicit-def: $sgpr58_sgpr59
	s_branch .LBB1361_1460
.LBB1361_1459:                          ;   in Loop: Header=BB1361_1460 Depth=2
	s_or_b64 exec, exec, s[62:63]
	s_and_b64 s[18:19], exec, s[54:55]
	s_or_b64 s[50:51], s[18:19], s[50:51]
	s_andn2_b64 s[18:19], s[58:59], exec
	s_and_b64 s[58:59], s[60:61], exec
	s_or_b64 s[58:59], s[18:19], s[58:59]
	s_andn2_b64 s[18:19], s[52:53], exec
	s_and_b64 s[52:53], s[16:17], exec
	s_or_b64 s[52:53], s[18:19], s[52:53]
	s_andn2_b64 exec, exec, s[50:51]
	s_cbranch_execz .LBB1361_1462
.LBB1361_1460:                          ;   Parent Loop BB1361_1376 Depth=1
                                        ; =>  This Inner Loop Header: Depth=2
	global_load_ushort v9, v[4:5], off
	global_load_ushort v11, v[6:7], off
	s_andn2_b64 s[62:63], s[16:17], exec
	s_or_b64 s[54:55], s[54:55], exec
	s_waitcnt vmcnt(0)
	v_cmp_le_u16_e64 s[16:17], v9, v11
	v_cmp_lt_u16_e32 vcc, v9, v11
	s_and_b64 s[16:17], s[16:17], s[58:59]
	s_or_b64 s[60:61], vcc, s[16:17]
	s_and_b64 s[16:17], s[60:61], exec
	v_cmp_eq_u16_e64 s[18:19], v9, v11
	s_or_b64 s[16:17], s[62:63], s[16:17]
	s_and_saveexec_b64 s[62:63], s[18:19]
	s_cbranch_execz .LBB1361_1459
; %bb.1461:                             ;   in Loop: Header=BB1361_1460 Depth=2
	s_add_u32 s56, s56, -1
	s_addc_u32 s57, s57, -1
	s_cmp_eq_u64 s[56:57], 0
	s_cselect_b64 s[18:19], -1, 0
	s_andn2_b64 s[54:55], s[54:55], exec
	s_and_b64 s[18:19], s[18:19], exec
	v_lshl_add_u64 v[4:5], v[4:5], 0, 2
	v_lshl_add_u64 v[6:7], v[6:7], 0, 2
	s_andn2_b64 s[16:17], s[16:17], exec
	s_or_b64 s[54:55], s[54:55], s[18:19]
                                        ; implicit-def: $sgpr58_sgpr59
	s_branch .LBB1361_1459
.LBB1361_1462:                          ;   in Loop: Header=BB1361_1376 Depth=1
	s_or_b64 exec, exec, s[50:51]
	s_xor_b64 s[16:17], s[52:53], -1
	s_branch .LBB1361_1464
.LBB1361_1463:                          ;   in Loop: Header=BB1361_1376 Depth=1
	s_mov_b64 s[16:17], -1
.LBB1361_1464:                          ;   in Loop: Header=BB1361_1376 Depth=1
	s_and_b64 s[16:17], s[16:17], exec
.LBB1361_1465:                          ;   in Loop: Header=BB1361_1376 Depth=1
	s_or_b64 exec, exec, s[44:45]
	s_orn2_b64 s[44:45], s[16:17], exec
.LBB1361_1466:                          ;   in Loop: Header=BB1361_1376 Depth=1
	s_or_b64 exec, exec, s[48:49]
	v_cndmask_b32_e64 v4, v10, v8, s[44:45]
	v_cndmask_b32_e64 v5, v33, v25, s[44:45]
	v_add_u32_e32 v9, 1, v4
	v_add_u32_e32 v4, -1, v5
	v_min_u32_e32 v4, v9, v4
	v_lshlrev_b32_e32 v4, 3, v4
	ds_read_b64 v[6:7], v4
	v_cndmask_b32_e64 v10, v9, v10, s[44:45]
	v_cmp_lt_u32_e32 vcc, v10, v33
	s_waitcnt lgkmcnt(0)
	v_cndmask_b32_e64 v5, v48, v7, s[44:45]
	v_cndmask_b32_e64 v4, v49, v6, s[44:45]
	s_and_saveexec_b64 s[48:49], vcc
	s_cbranch_execz .LBB1361_1374
; %bb.1467:                             ;   in Loop: Header=BB1361_1376 Depth=1
	v_cndmask_b32_e64 v8, v8, v9, s[44:45]
	v_cndmask_b32_e64 v7, v7, v46, s[44:45]
	;; [unrolled: 1-line block ×3, first 2 shown]
	v_cmp_lt_u32_e32 vcc, v8, v25
	s_and_saveexec_b64 s[50:51], vcc
	s_cbranch_execz .LBB1361_1373
; %bb.1468:                             ;   in Loop: Header=BB1361_1376 Depth=1
	s_and_b64 vcc, exec, s[14:15]
	s_cbranch_vccnz .LBB1361_1372
; %bb.1469:                             ;   in Loop: Header=BB1361_1376 Depth=1
	v_mov_b64_e32 v[10:11], s[38:39]
	v_mad_u64_u32 v[8:9], s[16:17], s20, v6, v[10:11]
	v_mul_lo_u32 v25, s20, v7
	v_mul_lo_u32 v33, s21, v6
	v_add3_u32 v9, v33, v9, v25
	v_mad_u64_u32 v[10:11], s[16:17], s20, v4, v[10:11]
	v_mul_lo_u32 v25, s20, v5
	v_mul_lo_u32 v33, s21, v4
	v_add3_u32 v11, v33, v11, v25
	s_mov_b64 s[52:53], 0
	s_mov_b64 s[58:59], s[36:37]
                                        ; implicit-def: $sgpr54_sgpr55
                                        ; implicit-def: $sgpr56_sgpr57
                                        ; implicit-def: $sgpr16_sgpr17
                                        ; implicit-def: $sgpr60_sgpr61
	s_branch .LBB1361_1471
.LBB1361_1470:                          ;   in Loop: Header=BB1361_1471 Depth=2
	s_or_b64 exec, exec, s[64:65]
	s_and_b64 s[18:19], exec, s[56:57]
	s_or_b64 s[52:53], s[18:19], s[52:53]
	s_andn2_b64 s[18:19], s[60:61], exec
	s_and_b64 s[60:61], s[62:63], exec
	s_or_b64 s[60:61], s[18:19], s[60:61]
	s_andn2_b64 s[18:19], s[54:55], exec
	s_and_b64 s[54:55], s[16:17], exec
	s_or_b64 s[54:55], s[18:19], s[54:55]
	s_andn2_b64 exec, exec, s[52:53]
	s_cbranch_execz .LBB1361_1371
.LBB1361_1471:                          ;   Parent Loop BB1361_1376 Depth=1
                                        ; =>  This Inner Loop Header: Depth=2
	global_load_ushort v25, v[8:9], off
	global_load_ushort v33, v[10:11], off
	s_andn2_b64 s[64:65], s[16:17], exec
	s_or_b64 s[56:57], s[56:57], exec
	s_waitcnt vmcnt(0)
	v_cmp_le_u16_e64 s[16:17], v25, v33
	v_cmp_lt_u16_e32 vcc, v25, v33
	s_and_b64 s[16:17], s[16:17], s[60:61]
	s_or_b64 s[62:63], vcc, s[16:17]
	s_and_b64 s[16:17], s[62:63], exec
	v_cmp_eq_u16_e64 s[18:19], v25, v33
	s_or_b64 s[16:17], s[64:65], s[16:17]
	s_and_saveexec_b64 s[64:65], s[18:19]
	s_cbranch_execz .LBB1361_1470
; %bb.1472:                             ;   in Loop: Header=BB1361_1471 Depth=2
	s_add_u32 s58, s58, -1
	s_addc_u32 s59, s59, -1
	s_cmp_eq_u64 s[58:59], 0
	s_cselect_b64 s[18:19], -1, 0
	s_andn2_b64 s[56:57], s[56:57], exec
	s_and_b64 s[18:19], s[18:19], exec
	v_lshl_add_u64 v[8:9], v[8:9], 0, 2
	v_lshl_add_u64 v[10:11], v[10:11], 0, 2
	s_andn2_b64 s[16:17], s[16:17], exec
	s_or_b64 s[56:57], s[56:57], s[18:19]
                                        ; implicit-def: $sgpr60_sgpr61
	s_branch .LBB1361_1470
.LBB1361_1473:
	s_barrier
	ds_write2_b64 v32, v[14:15], v[16:17] offset1:1
	ds_write2_b64 v32, v[10:11], v[12:13] offset0:2 offset1:3
	ds_write2_b64 v32, v[6:7], v[8:9] offset0:4 offset1:5
	;; [unrolled: 1-line block ×3, first 2 shown]
	s_waitcnt lgkmcnt(0)
	s_barrier
	ds_read_b64 v[12:13], v21 offset:2048
	ds_read_b64 v[10:11], v26 offset:4096
	;; [unrolled: 1-line block ×7, first 2 shown]
	v_mov_b32_e32 v21, 0
	v_lshl_add_u64 v[2:3], s[34:35], 0, v[20:21]
	s_and_saveexec_b64 s[14:15], s[0:1]
	s_cbranch_execnz .LBB1361_1485
; %bb.1474:
	s_or_b64 exec, exec, s[14:15]
	s_and_saveexec_b64 s[0:1], s[2:3]
	s_cbranch_execnz .LBB1361_1486
.LBB1361_1475:
	s_or_b64 exec, exec, s[0:1]
	s_and_saveexec_b64 s[0:1], s[4:5]
	s_cbranch_execnz .LBB1361_1487
.LBB1361_1476:
	s_or_b64 exec, exec, s[0:1]
	s_and_saveexec_b64 s[0:1], s[6:7]
	s_cbranch_execnz .LBB1361_1488
.LBB1361_1477:
	s_or_b64 exec, exec, s[0:1]
	s_and_saveexec_b64 s[0:1], s[8:9]
	s_cbranch_execnz .LBB1361_1489
.LBB1361_1478:
	s_or_b64 exec, exec, s[0:1]
	s_and_saveexec_b64 s[0:1], s[10:11]
	s_cbranch_execnz .LBB1361_1490
.LBB1361_1479:
	s_or_b64 exec, exec, s[0:1]
	s_and_saveexec_b64 s[0:1], s[12:13]
	s_cbranch_execz .LBB1361_1481
.LBB1361_1480:
	v_add_co_u32_e32 v2, vcc, 0x3000, v2
	s_nop 1
	v_addc_co_u32_e32 v3, vcc, 0, v3, vcc
	s_waitcnt lgkmcnt(1)
	global_store_dwordx2 v[2:3], v[0:1], off
.LBB1361_1481:
	s_or_b64 exec, exec, s[0:1]
	v_mov_b32_e32 v19, v21
.LBB1361_1482:
	s_and_saveexec_b64 s[0:1], s[40:41]
	s_cbranch_execz .LBB1361_1484
; %bb.1483:
	s_waitcnt lgkmcnt(1)
	v_lshl_add_u64 v[0:1], v[18:19], 3, s[34:35]
	v_add_co_u32_e32 v0, vcc, 0x3000, v0
	s_nop 1
	v_addc_co_u32_e32 v1, vcc, 0, v1, vcc
	s_waitcnt lgkmcnt(0)
	global_store_dwordx2 v[0:1], v[14:15], off offset:2048
.LBB1361_1484:
	s_endpgm
.LBB1361_1485:
	ds_read_b64 v[16:17], v19
	s_waitcnt lgkmcnt(0)
	global_store_dwordx2 v[2:3], v[16:17], off
	s_or_b64 exec, exec, s[14:15]
	s_and_saveexec_b64 s[0:1], s[2:3]
	s_cbranch_execz .LBB1361_1475
.LBB1361_1486:
	s_waitcnt lgkmcnt(6)
	global_store_dwordx2 v[2:3], v[12:13], off offset:2048
	s_or_b64 exec, exec, s[0:1]
	s_and_saveexec_b64 s[0:1], s[4:5]
	s_cbranch_execz .LBB1361_1476
.LBB1361_1487:
	s_waitcnt lgkmcnt(6)
	v_add_co_u32_e32 v12, vcc, 0x1000, v2
	s_nop 1
	v_addc_co_u32_e32 v13, vcc, 0, v3, vcc
	s_waitcnt lgkmcnt(5)
	global_store_dwordx2 v[12:13], v[10:11], off
	s_or_b64 exec, exec, s[0:1]
	s_and_saveexec_b64 s[0:1], s[6:7]
	s_cbranch_execz .LBB1361_1477
.LBB1361_1488:
	s_waitcnt lgkmcnt(5)
	v_add_co_u32_e32 v10, vcc, 0x1000, v2
	s_nop 1
	v_addc_co_u32_e32 v11, vcc, 0, v3, vcc
	s_waitcnt lgkmcnt(4)
	global_store_dwordx2 v[10:11], v[8:9], off offset:2048
	s_or_b64 exec, exec, s[0:1]
	s_and_saveexec_b64 s[0:1], s[8:9]
	s_cbranch_execz .LBB1361_1478
.LBB1361_1489:
	s_waitcnt lgkmcnt(4)
	v_add_co_u32_e32 v8, vcc, 0x2000, v2
	s_nop 1
	v_addc_co_u32_e32 v9, vcc, 0, v3, vcc
	s_waitcnt lgkmcnt(3)
	global_store_dwordx2 v[8:9], v[6:7], off
	s_or_b64 exec, exec, s[0:1]
	s_and_saveexec_b64 s[0:1], s[10:11]
	s_cbranch_execz .LBB1361_1479
.LBB1361_1490:
	s_waitcnt lgkmcnt(3)
	v_add_co_u32_e32 v6, vcc, 0x2000, v2
	s_nop 1
	v_addc_co_u32_e32 v7, vcc, 0, v3, vcc
	s_waitcnt lgkmcnt(2)
	global_store_dwordx2 v[6:7], v[4:5], off offset:2048
	s_or_b64 exec, exec, s[0:1]
	s_and_saveexec_b64 s[0:1], s[12:13]
	s_cbranch_execnz .LBB1361_1480
	s_branch .LBB1361_1481
	.section	.rodata,"a",@progbits
	.p2align	6, 0x0
	.amdhsa_kernel _ZN7rocprim17ROCPRIM_400000_NS6detail17trampoline_kernelINS0_14default_configENS1_37merge_sort_block_sort_config_selectorIlNS0_10empty_typeEEEZNS1_21merge_sort_block_sortIS3_PlS8_PS5_S9_ZN2at6native12_GLOBAL__N_124unique_dim_cuda_templateItEESt5tupleIJNSA_6TensorESF_SF_EERKSF_lbbbEUlllE_EE10hipError_tT0_T1_T2_T3_mRjT4_P12ihipStream_tbNS1_7vsmem_tEEUlT_E_NS1_11comp_targetILNS1_3genE0ELNS1_11target_archE4294967295ELNS1_3gpuE0ELNS1_3repE0EEENS1_30default_config_static_selectorELNS0_4arch9wavefront6targetE1EEEvSM_
		.amdhsa_group_segment_fixed_size 16896
		.amdhsa_private_segment_fixed_size 0
		.amdhsa_kernarg_size 328
		.amdhsa_user_sgpr_count 2
		.amdhsa_user_sgpr_dispatch_ptr 0
		.amdhsa_user_sgpr_queue_ptr 0
		.amdhsa_user_sgpr_kernarg_segment_ptr 1
		.amdhsa_user_sgpr_dispatch_id 0
		.amdhsa_user_sgpr_kernarg_preload_length 0
		.amdhsa_user_sgpr_kernarg_preload_offset 0
		.amdhsa_user_sgpr_private_segment_size 0
		.amdhsa_uses_dynamic_stack 0
		.amdhsa_enable_private_segment 0
		.amdhsa_system_sgpr_workgroup_id_x 1
		.amdhsa_system_sgpr_workgroup_id_y 1
		.amdhsa_system_sgpr_workgroup_id_z 1
		.amdhsa_system_sgpr_workgroup_info 0
		.amdhsa_system_vgpr_workitem_id 2
		.amdhsa_next_free_vgpr 55
		.amdhsa_next_free_sgpr 67
		.amdhsa_accum_offset 56
		.amdhsa_reserve_vcc 1
		.amdhsa_float_round_mode_32 0
		.amdhsa_float_round_mode_16_64 0
		.amdhsa_float_denorm_mode_32 3
		.amdhsa_float_denorm_mode_16_64 3
		.amdhsa_dx10_clamp 1
		.amdhsa_ieee_mode 1
		.amdhsa_fp16_overflow 0
		.amdhsa_tg_split 0
		.amdhsa_exception_fp_ieee_invalid_op 0
		.amdhsa_exception_fp_denorm_src 0
		.amdhsa_exception_fp_ieee_div_zero 0
		.amdhsa_exception_fp_ieee_overflow 0
		.amdhsa_exception_fp_ieee_underflow 0
		.amdhsa_exception_fp_ieee_inexact 0
		.amdhsa_exception_int_div_zero 0
	.end_amdhsa_kernel
	.section	.text._ZN7rocprim17ROCPRIM_400000_NS6detail17trampoline_kernelINS0_14default_configENS1_37merge_sort_block_sort_config_selectorIlNS0_10empty_typeEEEZNS1_21merge_sort_block_sortIS3_PlS8_PS5_S9_ZN2at6native12_GLOBAL__N_124unique_dim_cuda_templateItEESt5tupleIJNSA_6TensorESF_SF_EERKSF_lbbbEUlllE_EE10hipError_tT0_T1_T2_T3_mRjT4_P12ihipStream_tbNS1_7vsmem_tEEUlT_E_NS1_11comp_targetILNS1_3genE0ELNS1_11target_archE4294967295ELNS1_3gpuE0ELNS1_3repE0EEENS1_30default_config_static_selectorELNS0_4arch9wavefront6targetE1EEEvSM_,"axG",@progbits,_ZN7rocprim17ROCPRIM_400000_NS6detail17trampoline_kernelINS0_14default_configENS1_37merge_sort_block_sort_config_selectorIlNS0_10empty_typeEEEZNS1_21merge_sort_block_sortIS3_PlS8_PS5_S9_ZN2at6native12_GLOBAL__N_124unique_dim_cuda_templateItEESt5tupleIJNSA_6TensorESF_SF_EERKSF_lbbbEUlllE_EE10hipError_tT0_T1_T2_T3_mRjT4_P12ihipStream_tbNS1_7vsmem_tEEUlT_E_NS1_11comp_targetILNS1_3genE0ELNS1_11target_archE4294967295ELNS1_3gpuE0ELNS1_3repE0EEENS1_30default_config_static_selectorELNS0_4arch9wavefront6targetE1EEEvSM_,comdat
.Lfunc_end1361:
	.size	_ZN7rocprim17ROCPRIM_400000_NS6detail17trampoline_kernelINS0_14default_configENS1_37merge_sort_block_sort_config_selectorIlNS0_10empty_typeEEEZNS1_21merge_sort_block_sortIS3_PlS8_PS5_S9_ZN2at6native12_GLOBAL__N_124unique_dim_cuda_templateItEESt5tupleIJNSA_6TensorESF_SF_EERKSF_lbbbEUlllE_EE10hipError_tT0_T1_T2_T3_mRjT4_P12ihipStream_tbNS1_7vsmem_tEEUlT_E_NS1_11comp_targetILNS1_3genE0ELNS1_11target_archE4294967295ELNS1_3gpuE0ELNS1_3repE0EEENS1_30default_config_static_selectorELNS0_4arch9wavefront6targetE1EEEvSM_, .Lfunc_end1361-_ZN7rocprim17ROCPRIM_400000_NS6detail17trampoline_kernelINS0_14default_configENS1_37merge_sort_block_sort_config_selectorIlNS0_10empty_typeEEEZNS1_21merge_sort_block_sortIS3_PlS8_PS5_S9_ZN2at6native12_GLOBAL__N_124unique_dim_cuda_templateItEESt5tupleIJNSA_6TensorESF_SF_EERKSF_lbbbEUlllE_EE10hipError_tT0_T1_T2_T3_mRjT4_P12ihipStream_tbNS1_7vsmem_tEEUlT_E_NS1_11comp_targetILNS1_3genE0ELNS1_11target_archE4294967295ELNS1_3gpuE0ELNS1_3repE0EEENS1_30default_config_static_selectorELNS0_4arch9wavefront6targetE1EEEvSM_
                                        ; -- End function
	.set _ZN7rocprim17ROCPRIM_400000_NS6detail17trampoline_kernelINS0_14default_configENS1_37merge_sort_block_sort_config_selectorIlNS0_10empty_typeEEEZNS1_21merge_sort_block_sortIS3_PlS8_PS5_S9_ZN2at6native12_GLOBAL__N_124unique_dim_cuda_templateItEESt5tupleIJNSA_6TensorESF_SF_EERKSF_lbbbEUlllE_EE10hipError_tT0_T1_T2_T3_mRjT4_P12ihipStream_tbNS1_7vsmem_tEEUlT_E_NS1_11comp_targetILNS1_3genE0ELNS1_11target_archE4294967295ELNS1_3gpuE0ELNS1_3repE0EEENS1_30default_config_static_selectorELNS0_4arch9wavefront6targetE1EEEvSM_.num_vgpr, 55
	.set _ZN7rocprim17ROCPRIM_400000_NS6detail17trampoline_kernelINS0_14default_configENS1_37merge_sort_block_sort_config_selectorIlNS0_10empty_typeEEEZNS1_21merge_sort_block_sortIS3_PlS8_PS5_S9_ZN2at6native12_GLOBAL__N_124unique_dim_cuda_templateItEESt5tupleIJNSA_6TensorESF_SF_EERKSF_lbbbEUlllE_EE10hipError_tT0_T1_T2_T3_mRjT4_P12ihipStream_tbNS1_7vsmem_tEEUlT_E_NS1_11comp_targetILNS1_3genE0ELNS1_11target_archE4294967295ELNS1_3gpuE0ELNS1_3repE0EEENS1_30default_config_static_selectorELNS0_4arch9wavefront6targetE1EEEvSM_.num_agpr, 0
	.set _ZN7rocprim17ROCPRIM_400000_NS6detail17trampoline_kernelINS0_14default_configENS1_37merge_sort_block_sort_config_selectorIlNS0_10empty_typeEEEZNS1_21merge_sort_block_sortIS3_PlS8_PS5_S9_ZN2at6native12_GLOBAL__N_124unique_dim_cuda_templateItEESt5tupleIJNSA_6TensorESF_SF_EERKSF_lbbbEUlllE_EE10hipError_tT0_T1_T2_T3_mRjT4_P12ihipStream_tbNS1_7vsmem_tEEUlT_E_NS1_11comp_targetILNS1_3genE0ELNS1_11target_archE4294967295ELNS1_3gpuE0ELNS1_3repE0EEENS1_30default_config_static_selectorELNS0_4arch9wavefront6targetE1EEEvSM_.numbered_sgpr, 67
	.set _ZN7rocprim17ROCPRIM_400000_NS6detail17trampoline_kernelINS0_14default_configENS1_37merge_sort_block_sort_config_selectorIlNS0_10empty_typeEEEZNS1_21merge_sort_block_sortIS3_PlS8_PS5_S9_ZN2at6native12_GLOBAL__N_124unique_dim_cuda_templateItEESt5tupleIJNSA_6TensorESF_SF_EERKSF_lbbbEUlllE_EE10hipError_tT0_T1_T2_T3_mRjT4_P12ihipStream_tbNS1_7vsmem_tEEUlT_E_NS1_11comp_targetILNS1_3genE0ELNS1_11target_archE4294967295ELNS1_3gpuE0ELNS1_3repE0EEENS1_30default_config_static_selectorELNS0_4arch9wavefront6targetE1EEEvSM_.num_named_barrier, 0
	.set _ZN7rocprim17ROCPRIM_400000_NS6detail17trampoline_kernelINS0_14default_configENS1_37merge_sort_block_sort_config_selectorIlNS0_10empty_typeEEEZNS1_21merge_sort_block_sortIS3_PlS8_PS5_S9_ZN2at6native12_GLOBAL__N_124unique_dim_cuda_templateItEESt5tupleIJNSA_6TensorESF_SF_EERKSF_lbbbEUlllE_EE10hipError_tT0_T1_T2_T3_mRjT4_P12ihipStream_tbNS1_7vsmem_tEEUlT_E_NS1_11comp_targetILNS1_3genE0ELNS1_11target_archE4294967295ELNS1_3gpuE0ELNS1_3repE0EEENS1_30default_config_static_selectorELNS0_4arch9wavefront6targetE1EEEvSM_.private_seg_size, 0
	.set _ZN7rocprim17ROCPRIM_400000_NS6detail17trampoline_kernelINS0_14default_configENS1_37merge_sort_block_sort_config_selectorIlNS0_10empty_typeEEEZNS1_21merge_sort_block_sortIS3_PlS8_PS5_S9_ZN2at6native12_GLOBAL__N_124unique_dim_cuda_templateItEESt5tupleIJNSA_6TensorESF_SF_EERKSF_lbbbEUlllE_EE10hipError_tT0_T1_T2_T3_mRjT4_P12ihipStream_tbNS1_7vsmem_tEEUlT_E_NS1_11comp_targetILNS1_3genE0ELNS1_11target_archE4294967295ELNS1_3gpuE0ELNS1_3repE0EEENS1_30default_config_static_selectorELNS0_4arch9wavefront6targetE1EEEvSM_.uses_vcc, 1
	.set _ZN7rocprim17ROCPRIM_400000_NS6detail17trampoline_kernelINS0_14default_configENS1_37merge_sort_block_sort_config_selectorIlNS0_10empty_typeEEEZNS1_21merge_sort_block_sortIS3_PlS8_PS5_S9_ZN2at6native12_GLOBAL__N_124unique_dim_cuda_templateItEESt5tupleIJNSA_6TensorESF_SF_EERKSF_lbbbEUlllE_EE10hipError_tT0_T1_T2_T3_mRjT4_P12ihipStream_tbNS1_7vsmem_tEEUlT_E_NS1_11comp_targetILNS1_3genE0ELNS1_11target_archE4294967295ELNS1_3gpuE0ELNS1_3repE0EEENS1_30default_config_static_selectorELNS0_4arch9wavefront6targetE1EEEvSM_.uses_flat_scratch, 0
	.set _ZN7rocprim17ROCPRIM_400000_NS6detail17trampoline_kernelINS0_14default_configENS1_37merge_sort_block_sort_config_selectorIlNS0_10empty_typeEEEZNS1_21merge_sort_block_sortIS3_PlS8_PS5_S9_ZN2at6native12_GLOBAL__N_124unique_dim_cuda_templateItEESt5tupleIJNSA_6TensorESF_SF_EERKSF_lbbbEUlllE_EE10hipError_tT0_T1_T2_T3_mRjT4_P12ihipStream_tbNS1_7vsmem_tEEUlT_E_NS1_11comp_targetILNS1_3genE0ELNS1_11target_archE4294967295ELNS1_3gpuE0ELNS1_3repE0EEENS1_30default_config_static_selectorELNS0_4arch9wavefront6targetE1EEEvSM_.has_dyn_sized_stack, 0
	.set _ZN7rocprim17ROCPRIM_400000_NS6detail17trampoline_kernelINS0_14default_configENS1_37merge_sort_block_sort_config_selectorIlNS0_10empty_typeEEEZNS1_21merge_sort_block_sortIS3_PlS8_PS5_S9_ZN2at6native12_GLOBAL__N_124unique_dim_cuda_templateItEESt5tupleIJNSA_6TensorESF_SF_EERKSF_lbbbEUlllE_EE10hipError_tT0_T1_T2_T3_mRjT4_P12ihipStream_tbNS1_7vsmem_tEEUlT_E_NS1_11comp_targetILNS1_3genE0ELNS1_11target_archE4294967295ELNS1_3gpuE0ELNS1_3repE0EEENS1_30default_config_static_selectorELNS0_4arch9wavefront6targetE1EEEvSM_.has_recursion, 0
	.set _ZN7rocprim17ROCPRIM_400000_NS6detail17trampoline_kernelINS0_14default_configENS1_37merge_sort_block_sort_config_selectorIlNS0_10empty_typeEEEZNS1_21merge_sort_block_sortIS3_PlS8_PS5_S9_ZN2at6native12_GLOBAL__N_124unique_dim_cuda_templateItEESt5tupleIJNSA_6TensorESF_SF_EERKSF_lbbbEUlllE_EE10hipError_tT0_T1_T2_T3_mRjT4_P12ihipStream_tbNS1_7vsmem_tEEUlT_E_NS1_11comp_targetILNS1_3genE0ELNS1_11target_archE4294967295ELNS1_3gpuE0ELNS1_3repE0EEENS1_30default_config_static_selectorELNS0_4arch9wavefront6targetE1EEEvSM_.has_indirect_call, 0
	.section	.AMDGPU.csdata,"",@progbits
; Kernel info:
; codeLenInByte = 60688
; TotalNumSgprs: 73
; NumVgprs: 55
; NumAgprs: 0
; TotalNumVgprs: 55
; ScratchSize: 0
; MemoryBound: 0
; FloatMode: 240
; IeeeMode: 1
; LDSByteSize: 16896 bytes/workgroup (compile time only)
; SGPRBlocks: 9
; VGPRBlocks: 6
; NumSGPRsForWavesPerEU: 73
; NumVGPRsForWavesPerEU: 55
; AccumOffset: 56
; Occupancy: 8
; WaveLimiterHint : 1
; COMPUTE_PGM_RSRC2:SCRATCH_EN: 0
; COMPUTE_PGM_RSRC2:USER_SGPR: 2
; COMPUTE_PGM_RSRC2:TRAP_HANDLER: 0
; COMPUTE_PGM_RSRC2:TGID_X_EN: 1
; COMPUTE_PGM_RSRC2:TGID_Y_EN: 1
; COMPUTE_PGM_RSRC2:TGID_Z_EN: 1
; COMPUTE_PGM_RSRC2:TIDIG_COMP_CNT: 2
; COMPUTE_PGM_RSRC3_GFX90A:ACCUM_OFFSET: 13
; COMPUTE_PGM_RSRC3_GFX90A:TG_SPLIT: 0
	.section	.text._ZN7rocprim17ROCPRIM_400000_NS6detail17trampoline_kernelINS0_14default_configENS1_37merge_sort_block_sort_config_selectorIlNS0_10empty_typeEEEZNS1_21merge_sort_block_sortIS3_PlS8_PS5_S9_ZN2at6native12_GLOBAL__N_124unique_dim_cuda_templateItEESt5tupleIJNSA_6TensorESF_SF_EERKSF_lbbbEUlllE_EE10hipError_tT0_T1_T2_T3_mRjT4_P12ihipStream_tbNS1_7vsmem_tEEUlT_E_NS1_11comp_targetILNS1_3genE5ELNS1_11target_archE942ELNS1_3gpuE9ELNS1_3repE0EEENS1_30default_config_static_selectorELNS0_4arch9wavefront6targetE1EEEvSM_,"axG",@progbits,_ZN7rocprim17ROCPRIM_400000_NS6detail17trampoline_kernelINS0_14default_configENS1_37merge_sort_block_sort_config_selectorIlNS0_10empty_typeEEEZNS1_21merge_sort_block_sortIS3_PlS8_PS5_S9_ZN2at6native12_GLOBAL__N_124unique_dim_cuda_templateItEESt5tupleIJNSA_6TensorESF_SF_EERKSF_lbbbEUlllE_EE10hipError_tT0_T1_T2_T3_mRjT4_P12ihipStream_tbNS1_7vsmem_tEEUlT_E_NS1_11comp_targetILNS1_3genE5ELNS1_11target_archE942ELNS1_3gpuE9ELNS1_3repE0EEENS1_30default_config_static_selectorELNS0_4arch9wavefront6targetE1EEEvSM_,comdat
	.globl	_ZN7rocprim17ROCPRIM_400000_NS6detail17trampoline_kernelINS0_14default_configENS1_37merge_sort_block_sort_config_selectorIlNS0_10empty_typeEEEZNS1_21merge_sort_block_sortIS3_PlS8_PS5_S9_ZN2at6native12_GLOBAL__N_124unique_dim_cuda_templateItEESt5tupleIJNSA_6TensorESF_SF_EERKSF_lbbbEUlllE_EE10hipError_tT0_T1_T2_T3_mRjT4_P12ihipStream_tbNS1_7vsmem_tEEUlT_E_NS1_11comp_targetILNS1_3genE5ELNS1_11target_archE942ELNS1_3gpuE9ELNS1_3repE0EEENS1_30default_config_static_selectorELNS0_4arch9wavefront6targetE1EEEvSM_ ; -- Begin function _ZN7rocprim17ROCPRIM_400000_NS6detail17trampoline_kernelINS0_14default_configENS1_37merge_sort_block_sort_config_selectorIlNS0_10empty_typeEEEZNS1_21merge_sort_block_sortIS3_PlS8_PS5_S9_ZN2at6native12_GLOBAL__N_124unique_dim_cuda_templateItEESt5tupleIJNSA_6TensorESF_SF_EERKSF_lbbbEUlllE_EE10hipError_tT0_T1_T2_T3_mRjT4_P12ihipStream_tbNS1_7vsmem_tEEUlT_E_NS1_11comp_targetILNS1_3genE5ELNS1_11target_archE942ELNS1_3gpuE9ELNS1_3repE0EEENS1_30default_config_static_selectorELNS0_4arch9wavefront6targetE1EEEvSM_
	.p2align	8
	.type	_ZN7rocprim17ROCPRIM_400000_NS6detail17trampoline_kernelINS0_14default_configENS1_37merge_sort_block_sort_config_selectorIlNS0_10empty_typeEEEZNS1_21merge_sort_block_sortIS3_PlS8_PS5_S9_ZN2at6native12_GLOBAL__N_124unique_dim_cuda_templateItEESt5tupleIJNSA_6TensorESF_SF_EERKSF_lbbbEUlllE_EE10hipError_tT0_T1_T2_T3_mRjT4_P12ihipStream_tbNS1_7vsmem_tEEUlT_E_NS1_11comp_targetILNS1_3genE5ELNS1_11target_archE942ELNS1_3gpuE9ELNS1_3repE0EEENS1_30default_config_static_selectorELNS0_4arch9wavefront6targetE1EEEvSM_,@function
_ZN7rocprim17ROCPRIM_400000_NS6detail17trampoline_kernelINS0_14default_configENS1_37merge_sort_block_sort_config_selectorIlNS0_10empty_typeEEEZNS1_21merge_sort_block_sortIS3_PlS8_PS5_S9_ZN2at6native12_GLOBAL__N_124unique_dim_cuda_templateItEESt5tupleIJNSA_6TensorESF_SF_EERKSF_lbbbEUlllE_EE10hipError_tT0_T1_T2_T3_mRjT4_P12ihipStream_tbNS1_7vsmem_tEEUlT_E_NS1_11comp_targetILNS1_3genE5ELNS1_11target_archE942ELNS1_3gpuE9ELNS1_3repE0EEENS1_30default_config_static_selectorELNS0_4arch9wavefront6targetE1EEEvSM_: ; @_ZN7rocprim17ROCPRIM_400000_NS6detail17trampoline_kernelINS0_14default_configENS1_37merge_sort_block_sort_config_selectorIlNS0_10empty_typeEEEZNS1_21merge_sort_block_sortIS3_PlS8_PS5_S9_ZN2at6native12_GLOBAL__N_124unique_dim_cuda_templateItEESt5tupleIJNSA_6TensorESF_SF_EERKSF_lbbbEUlllE_EE10hipError_tT0_T1_T2_T3_mRjT4_P12ihipStream_tbNS1_7vsmem_tEEUlT_E_NS1_11comp_targetILNS1_3genE5ELNS1_11target_archE942ELNS1_3gpuE9ELNS1_3repE0EEENS1_30default_config_static_selectorELNS0_4arch9wavefront6targetE1EEEvSM_
; %bb.0:
	.section	.rodata,"a",@progbits
	.p2align	6, 0x0
	.amdhsa_kernel _ZN7rocprim17ROCPRIM_400000_NS6detail17trampoline_kernelINS0_14default_configENS1_37merge_sort_block_sort_config_selectorIlNS0_10empty_typeEEEZNS1_21merge_sort_block_sortIS3_PlS8_PS5_S9_ZN2at6native12_GLOBAL__N_124unique_dim_cuda_templateItEESt5tupleIJNSA_6TensorESF_SF_EERKSF_lbbbEUlllE_EE10hipError_tT0_T1_T2_T3_mRjT4_P12ihipStream_tbNS1_7vsmem_tEEUlT_E_NS1_11comp_targetILNS1_3genE5ELNS1_11target_archE942ELNS1_3gpuE9ELNS1_3repE0EEENS1_30default_config_static_selectorELNS0_4arch9wavefront6targetE1EEEvSM_
		.amdhsa_group_segment_fixed_size 0
		.amdhsa_private_segment_fixed_size 0
		.amdhsa_kernarg_size 72
		.amdhsa_user_sgpr_count 2
		.amdhsa_user_sgpr_dispatch_ptr 0
		.amdhsa_user_sgpr_queue_ptr 0
		.amdhsa_user_sgpr_kernarg_segment_ptr 1
		.amdhsa_user_sgpr_dispatch_id 0
		.amdhsa_user_sgpr_kernarg_preload_length 0
		.amdhsa_user_sgpr_kernarg_preload_offset 0
		.amdhsa_user_sgpr_private_segment_size 0
		.amdhsa_uses_dynamic_stack 0
		.amdhsa_enable_private_segment 0
		.amdhsa_system_sgpr_workgroup_id_x 1
		.amdhsa_system_sgpr_workgroup_id_y 0
		.amdhsa_system_sgpr_workgroup_id_z 0
		.amdhsa_system_sgpr_workgroup_info 0
		.amdhsa_system_vgpr_workitem_id 0
		.amdhsa_next_free_vgpr 1
		.amdhsa_next_free_sgpr 0
		.amdhsa_accum_offset 4
		.amdhsa_reserve_vcc 0
		.amdhsa_float_round_mode_32 0
		.amdhsa_float_round_mode_16_64 0
		.amdhsa_float_denorm_mode_32 3
		.amdhsa_float_denorm_mode_16_64 3
		.amdhsa_dx10_clamp 1
		.amdhsa_ieee_mode 1
		.amdhsa_fp16_overflow 0
		.amdhsa_tg_split 0
		.amdhsa_exception_fp_ieee_invalid_op 0
		.amdhsa_exception_fp_denorm_src 0
		.amdhsa_exception_fp_ieee_div_zero 0
		.amdhsa_exception_fp_ieee_overflow 0
		.amdhsa_exception_fp_ieee_underflow 0
		.amdhsa_exception_fp_ieee_inexact 0
		.amdhsa_exception_int_div_zero 0
	.end_amdhsa_kernel
	.section	.text._ZN7rocprim17ROCPRIM_400000_NS6detail17trampoline_kernelINS0_14default_configENS1_37merge_sort_block_sort_config_selectorIlNS0_10empty_typeEEEZNS1_21merge_sort_block_sortIS3_PlS8_PS5_S9_ZN2at6native12_GLOBAL__N_124unique_dim_cuda_templateItEESt5tupleIJNSA_6TensorESF_SF_EERKSF_lbbbEUlllE_EE10hipError_tT0_T1_T2_T3_mRjT4_P12ihipStream_tbNS1_7vsmem_tEEUlT_E_NS1_11comp_targetILNS1_3genE5ELNS1_11target_archE942ELNS1_3gpuE9ELNS1_3repE0EEENS1_30default_config_static_selectorELNS0_4arch9wavefront6targetE1EEEvSM_,"axG",@progbits,_ZN7rocprim17ROCPRIM_400000_NS6detail17trampoline_kernelINS0_14default_configENS1_37merge_sort_block_sort_config_selectorIlNS0_10empty_typeEEEZNS1_21merge_sort_block_sortIS3_PlS8_PS5_S9_ZN2at6native12_GLOBAL__N_124unique_dim_cuda_templateItEESt5tupleIJNSA_6TensorESF_SF_EERKSF_lbbbEUlllE_EE10hipError_tT0_T1_T2_T3_mRjT4_P12ihipStream_tbNS1_7vsmem_tEEUlT_E_NS1_11comp_targetILNS1_3genE5ELNS1_11target_archE942ELNS1_3gpuE9ELNS1_3repE0EEENS1_30default_config_static_selectorELNS0_4arch9wavefront6targetE1EEEvSM_,comdat
.Lfunc_end1362:
	.size	_ZN7rocprim17ROCPRIM_400000_NS6detail17trampoline_kernelINS0_14default_configENS1_37merge_sort_block_sort_config_selectorIlNS0_10empty_typeEEEZNS1_21merge_sort_block_sortIS3_PlS8_PS5_S9_ZN2at6native12_GLOBAL__N_124unique_dim_cuda_templateItEESt5tupleIJNSA_6TensorESF_SF_EERKSF_lbbbEUlllE_EE10hipError_tT0_T1_T2_T3_mRjT4_P12ihipStream_tbNS1_7vsmem_tEEUlT_E_NS1_11comp_targetILNS1_3genE5ELNS1_11target_archE942ELNS1_3gpuE9ELNS1_3repE0EEENS1_30default_config_static_selectorELNS0_4arch9wavefront6targetE1EEEvSM_, .Lfunc_end1362-_ZN7rocprim17ROCPRIM_400000_NS6detail17trampoline_kernelINS0_14default_configENS1_37merge_sort_block_sort_config_selectorIlNS0_10empty_typeEEEZNS1_21merge_sort_block_sortIS3_PlS8_PS5_S9_ZN2at6native12_GLOBAL__N_124unique_dim_cuda_templateItEESt5tupleIJNSA_6TensorESF_SF_EERKSF_lbbbEUlllE_EE10hipError_tT0_T1_T2_T3_mRjT4_P12ihipStream_tbNS1_7vsmem_tEEUlT_E_NS1_11comp_targetILNS1_3genE5ELNS1_11target_archE942ELNS1_3gpuE9ELNS1_3repE0EEENS1_30default_config_static_selectorELNS0_4arch9wavefront6targetE1EEEvSM_
                                        ; -- End function
	.set _ZN7rocprim17ROCPRIM_400000_NS6detail17trampoline_kernelINS0_14default_configENS1_37merge_sort_block_sort_config_selectorIlNS0_10empty_typeEEEZNS1_21merge_sort_block_sortIS3_PlS8_PS5_S9_ZN2at6native12_GLOBAL__N_124unique_dim_cuda_templateItEESt5tupleIJNSA_6TensorESF_SF_EERKSF_lbbbEUlllE_EE10hipError_tT0_T1_T2_T3_mRjT4_P12ihipStream_tbNS1_7vsmem_tEEUlT_E_NS1_11comp_targetILNS1_3genE5ELNS1_11target_archE942ELNS1_3gpuE9ELNS1_3repE0EEENS1_30default_config_static_selectorELNS0_4arch9wavefront6targetE1EEEvSM_.num_vgpr, 0
	.set _ZN7rocprim17ROCPRIM_400000_NS6detail17trampoline_kernelINS0_14default_configENS1_37merge_sort_block_sort_config_selectorIlNS0_10empty_typeEEEZNS1_21merge_sort_block_sortIS3_PlS8_PS5_S9_ZN2at6native12_GLOBAL__N_124unique_dim_cuda_templateItEESt5tupleIJNSA_6TensorESF_SF_EERKSF_lbbbEUlllE_EE10hipError_tT0_T1_T2_T3_mRjT4_P12ihipStream_tbNS1_7vsmem_tEEUlT_E_NS1_11comp_targetILNS1_3genE5ELNS1_11target_archE942ELNS1_3gpuE9ELNS1_3repE0EEENS1_30default_config_static_selectorELNS0_4arch9wavefront6targetE1EEEvSM_.num_agpr, 0
	.set _ZN7rocprim17ROCPRIM_400000_NS6detail17trampoline_kernelINS0_14default_configENS1_37merge_sort_block_sort_config_selectorIlNS0_10empty_typeEEEZNS1_21merge_sort_block_sortIS3_PlS8_PS5_S9_ZN2at6native12_GLOBAL__N_124unique_dim_cuda_templateItEESt5tupleIJNSA_6TensorESF_SF_EERKSF_lbbbEUlllE_EE10hipError_tT0_T1_T2_T3_mRjT4_P12ihipStream_tbNS1_7vsmem_tEEUlT_E_NS1_11comp_targetILNS1_3genE5ELNS1_11target_archE942ELNS1_3gpuE9ELNS1_3repE0EEENS1_30default_config_static_selectorELNS0_4arch9wavefront6targetE1EEEvSM_.numbered_sgpr, 0
	.set _ZN7rocprim17ROCPRIM_400000_NS6detail17trampoline_kernelINS0_14default_configENS1_37merge_sort_block_sort_config_selectorIlNS0_10empty_typeEEEZNS1_21merge_sort_block_sortIS3_PlS8_PS5_S9_ZN2at6native12_GLOBAL__N_124unique_dim_cuda_templateItEESt5tupleIJNSA_6TensorESF_SF_EERKSF_lbbbEUlllE_EE10hipError_tT0_T1_T2_T3_mRjT4_P12ihipStream_tbNS1_7vsmem_tEEUlT_E_NS1_11comp_targetILNS1_3genE5ELNS1_11target_archE942ELNS1_3gpuE9ELNS1_3repE0EEENS1_30default_config_static_selectorELNS0_4arch9wavefront6targetE1EEEvSM_.num_named_barrier, 0
	.set _ZN7rocprim17ROCPRIM_400000_NS6detail17trampoline_kernelINS0_14default_configENS1_37merge_sort_block_sort_config_selectorIlNS0_10empty_typeEEEZNS1_21merge_sort_block_sortIS3_PlS8_PS5_S9_ZN2at6native12_GLOBAL__N_124unique_dim_cuda_templateItEESt5tupleIJNSA_6TensorESF_SF_EERKSF_lbbbEUlllE_EE10hipError_tT0_T1_T2_T3_mRjT4_P12ihipStream_tbNS1_7vsmem_tEEUlT_E_NS1_11comp_targetILNS1_3genE5ELNS1_11target_archE942ELNS1_3gpuE9ELNS1_3repE0EEENS1_30default_config_static_selectorELNS0_4arch9wavefront6targetE1EEEvSM_.private_seg_size, 0
	.set _ZN7rocprim17ROCPRIM_400000_NS6detail17trampoline_kernelINS0_14default_configENS1_37merge_sort_block_sort_config_selectorIlNS0_10empty_typeEEEZNS1_21merge_sort_block_sortIS3_PlS8_PS5_S9_ZN2at6native12_GLOBAL__N_124unique_dim_cuda_templateItEESt5tupleIJNSA_6TensorESF_SF_EERKSF_lbbbEUlllE_EE10hipError_tT0_T1_T2_T3_mRjT4_P12ihipStream_tbNS1_7vsmem_tEEUlT_E_NS1_11comp_targetILNS1_3genE5ELNS1_11target_archE942ELNS1_3gpuE9ELNS1_3repE0EEENS1_30default_config_static_selectorELNS0_4arch9wavefront6targetE1EEEvSM_.uses_vcc, 0
	.set _ZN7rocprim17ROCPRIM_400000_NS6detail17trampoline_kernelINS0_14default_configENS1_37merge_sort_block_sort_config_selectorIlNS0_10empty_typeEEEZNS1_21merge_sort_block_sortIS3_PlS8_PS5_S9_ZN2at6native12_GLOBAL__N_124unique_dim_cuda_templateItEESt5tupleIJNSA_6TensorESF_SF_EERKSF_lbbbEUlllE_EE10hipError_tT0_T1_T2_T3_mRjT4_P12ihipStream_tbNS1_7vsmem_tEEUlT_E_NS1_11comp_targetILNS1_3genE5ELNS1_11target_archE942ELNS1_3gpuE9ELNS1_3repE0EEENS1_30default_config_static_selectorELNS0_4arch9wavefront6targetE1EEEvSM_.uses_flat_scratch, 0
	.set _ZN7rocprim17ROCPRIM_400000_NS6detail17trampoline_kernelINS0_14default_configENS1_37merge_sort_block_sort_config_selectorIlNS0_10empty_typeEEEZNS1_21merge_sort_block_sortIS3_PlS8_PS5_S9_ZN2at6native12_GLOBAL__N_124unique_dim_cuda_templateItEESt5tupleIJNSA_6TensorESF_SF_EERKSF_lbbbEUlllE_EE10hipError_tT0_T1_T2_T3_mRjT4_P12ihipStream_tbNS1_7vsmem_tEEUlT_E_NS1_11comp_targetILNS1_3genE5ELNS1_11target_archE942ELNS1_3gpuE9ELNS1_3repE0EEENS1_30default_config_static_selectorELNS0_4arch9wavefront6targetE1EEEvSM_.has_dyn_sized_stack, 0
	.set _ZN7rocprim17ROCPRIM_400000_NS6detail17trampoline_kernelINS0_14default_configENS1_37merge_sort_block_sort_config_selectorIlNS0_10empty_typeEEEZNS1_21merge_sort_block_sortIS3_PlS8_PS5_S9_ZN2at6native12_GLOBAL__N_124unique_dim_cuda_templateItEESt5tupleIJNSA_6TensorESF_SF_EERKSF_lbbbEUlllE_EE10hipError_tT0_T1_T2_T3_mRjT4_P12ihipStream_tbNS1_7vsmem_tEEUlT_E_NS1_11comp_targetILNS1_3genE5ELNS1_11target_archE942ELNS1_3gpuE9ELNS1_3repE0EEENS1_30default_config_static_selectorELNS0_4arch9wavefront6targetE1EEEvSM_.has_recursion, 0
	.set _ZN7rocprim17ROCPRIM_400000_NS6detail17trampoline_kernelINS0_14default_configENS1_37merge_sort_block_sort_config_selectorIlNS0_10empty_typeEEEZNS1_21merge_sort_block_sortIS3_PlS8_PS5_S9_ZN2at6native12_GLOBAL__N_124unique_dim_cuda_templateItEESt5tupleIJNSA_6TensorESF_SF_EERKSF_lbbbEUlllE_EE10hipError_tT0_T1_T2_T3_mRjT4_P12ihipStream_tbNS1_7vsmem_tEEUlT_E_NS1_11comp_targetILNS1_3genE5ELNS1_11target_archE942ELNS1_3gpuE9ELNS1_3repE0EEENS1_30default_config_static_selectorELNS0_4arch9wavefront6targetE1EEEvSM_.has_indirect_call, 0
	.section	.AMDGPU.csdata,"",@progbits
; Kernel info:
; codeLenInByte = 0
; TotalNumSgprs: 6
; NumVgprs: 0
; NumAgprs: 0
; TotalNumVgprs: 0
; ScratchSize: 0
; MemoryBound: 0
; FloatMode: 240
; IeeeMode: 1
; LDSByteSize: 0 bytes/workgroup (compile time only)
; SGPRBlocks: 0
; VGPRBlocks: 0
; NumSGPRsForWavesPerEU: 6
; NumVGPRsForWavesPerEU: 1
; AccumOffset: 4
; Occupancy: 8
; WaveLimiterHint : 0
; COMPUTE_PGM_RSRC2:SCRATCH_EN: 0
; COMPUTE_PGM_RSRC2:USER_SGPR: 2
; COMPUTE_PGM_RSRC2:TRAP_HANDLER: 0
; COMPUTE_PGM_RSRC2:TGID_X_EN: 1
; COMPUTE_PGM_RSRC2:TGID_Y_EN: 0
; COMPUTE_PGM_RSRC2:TGID_Z_EN: 0
; COMPUTE_PGM_RSRC2:TIDIG_COMP_CNT: 0
; COMPUTE_PGM_RSRC3_GFX90A:ACCUM_OFFSET: 0
; COMPUTE_PGM_RSRC3_GFX90A:TG_SPLIT: 0
	.section	.text._ZN7rocprim17ROCPRIM_400000_NS6detail17trampoline_kernelINS0_14default_configENS1_37merge_sort_block_sort_config_selectorIlNS0_10empty_typeEEEZNS1_21merge_sort_block_sortIS3_PlS8_PS5_S9_ZN2at6native12_GLOBAL__N_124unique_dim_cuda_templateItEESt5tupleIJNSA_6TensorESF_SF_EERKSF_lbbbEUlllE_EE10hipError_tT0_T1_T2_T3_mRjT4_P12ihipStream_tbNS1_7vsmem_tEEUlT_E_NS1_11comp_targetILNS1_3genE4ELNS1_11target_archE910ELNS1_3gpuE8ELNS1_3repE0EEENS1_30default_config_static_selectorELNS0_4arch9wavefront6targetE1EEEvSM_,"axG",@progbits,_ZN7rocprim17ROCPRIM_400000_NS6detail17trampoline_kernelINS0_14default_configENS1_37merge_sort_block_sort_config_selectorIlNS0_10empty_typeEEEZNS1_21merge_sort_block_sortIS3_PlS8_PS5_S9_ZN2at6native12_GLOBAL__N_124unique_dim_cuda_templateItEESt5tupleIJNSA_6TensorESF_SF_EERKSF_lbbbEUlllE_EE10hipError_tT0_T1_T2_T3_mRjT4_P12ihipStream_tbNS1_7vsmem_tEEUlT_E_NS1_11comp_targetILNS1_3genE4ELNS1_11target_archE910ELNS1_3gpuE8ELNS1_3repE0EEENS1_30default_config_static_selectorELNS0_4arch9wavefront6targetE1EEEvSM_,comdat
	.globl	_ZN7rocprim17ROCPRIM_400000_NS6detail17trampoline_kernelINS0_14default_configENS1_37merge_sort_block_sort_config_selectorIlNS0_10empty_typeEEEZNS1_21merge_sort_block_sortIS3_PlS8_PS5_S9_ZN2at6native12_GLOBAL__N_124unique_dim_cuda_templateItEESt5tupleIJNSA_6TensorESF_SF_EERKSF_lbbbEUlllE_EE10hipError_tT0_T1_T2_T3_mRjT4_P12ihipStream_tbNS1_7vsmem_tEEUlT_E_NS1_11comp_targetILNS1_3genE4ELNS1_11target_archE910ELNS1_3gpuE8ELNS1_3repE0EEENS1_30default_config_static_selectorELNS0_4arch9wavefront6targetE1EEEvSM_ ; -- Begin function _ZN7rocprim17ROCPRIM_400000_NS6detail17trampoline_kernelINS0_14default_configENS1_37merge_sort_block_sort_config_selectorIlNS0_10empty_typeEEEZNS1_21merge_sort_block_sortIS3_PlS8_PS5_S9_ZN2at6native12_GLOBAL__N_124unique_dim_cuda_templateItEESt5tupleIJNSA_6TensorESF_SF_EERKSF_lbbbEUlllE_EE10hipError_tT0_T1_T2_T3_mRjT4_P12ihipStream_tbNS1_7vsmem_tEEUlT_E_NS1_11comp_targetILNS1_3genE4ELNS1_11target_archE910ELNS1_3gpuE8ELNS1_3repE0EEENS1_30default_config_static_selectorELNS0_4arch9wavefront6targetE1EEEvSM_
	.p2align	8
	.type	_ZN7rocprim17ROCPRIM_400000_NS6detail17trampoline_kernelINS0_14default_configENS1_37merge_sort_block_sort_config_selectorIlNS0_10empty_typeEEEZNS1_21merge_sort_block_sortIS3_PlS8_PS5_S9_ZN2at6native12_GLOBAL__N_124unique_dim_cuda_templateItEESt5tupleIJNSA_6TensorESF_SF_EERKSF_lbbbEUlllE_EE10hipError_tT0_T1_T2_T3_mRjT4_P12ihipStream_tbNS1_7vsmem_tEEUlT_E_NS1_11comp_targetILNS1_3genE4ELNS1_11target_archE910ELNS1_3gpuE8ELNS1_3repE0EEENS1_30default_config_static_selectorELNS0_4arch9wavefront6targetE1EEEvSM_,@function
_ZN7rocprim17ROCPRIM_400000_NS6detail17trampoline_kernelINS0_14default_configENS1_37merge_sort_block_sort_config_selectorIlNS0_10empty_typeEEEZNS1_21merge_sort_block_sortIS3_PlS8_PS5_S9_ZN2at6native12_GLOBAL__N_124unique_dim_cuda_templateItEESt5tupleIJNSA_6TensorESF_SF_EERKSF_lbbbEUlllE_EE10hipError_tT0_T1_T2_T3_mRjT4_P12ihipStream_tbNS1_7vsmem_tEEUlT_E_NS1_11comp_targetILNS1_3genE4ELNS1_11target_archE910ELNS1_3gpuE8ELNS1_3repE0EEENS1_30default_config_static_selectorELNS0_4arch9wavefront6targetE1EEEvSM_: ; @_ZN7rocprim17ROCPRIM_400000_NS6detail17trampoline_kernelINS0_14default_configENS1_37merge_sort_block_sort_config_selectorIlNS0_10empty_typeEEEZNS1_21merge_sort_block_sortIS3_PlS8_PS5_S9_ZN2at6native12_GLOBAL__N_124unique_dim_cuda_templateItEESt5tupleIJNSA_6TensorESF_SF_EERKSF_lbbbEUlllE_EE10hipError_tT0_T1_T2_T3_mRjT4_P12ihipStream_tbNS1_7vsmem_tEEUlT_E_NS1_11comp_targetILNS1_3genE4ELNS1_11target_archE910ELNS1_3gpuE8ELNS1_3repE0EEENS1_30default_config_static_selectorELNS0_4arch9wavefront6targetE1EEEvSM_
; %bb.0:
	.section	.rodata,"a",@progbits
	.p2align	6, 0x0
	.amdhsa_kernel _ZN7rocprim17ROCPRIM_400000_NS6detail17trampoline_kernelINS0_14default_configENS1_37merge_sort_block_sort_config_selectorIlNS0_10empty_typeEEEZNS1_21merge_sort_block_sortIS3_PlS8_PS5_S9_ZN2at6native12_GLOBAL__N_124unique_dim_cuda_templateItEESt5tupleIJNSA_6TensorESF_SF_EERKSF_lbbbEUlllE_EE10hipError_tT0_T1_T2_T3_mRjT4_P12ihipStream_tbNS1_7vsmem_tEEUlT_E_NS1_11comp_targetILNS1_3genE4ELNS1_11target_archE910ELNS1_3gpuE8ELNS1_3repE0EEENS1_30default_config_static_selectorELNS0_4arch9wavefront6targetE1EEEvSM_
		.amdhsa_group_segment_fixed_size 0
		.amdhsa_private_segment_fixed_size 0
		.amdhsa_kernarg_size 72
		.amdhsa_user_sgpr_count 2
		.amdhsa_user_sgpr_dispatch_ptr 0
		.amdhsa_user_sgpr_queue_ptr 0
		.amdhsa_user_sgpr_kernarg_segment_ptr 1
		.amdhsa_user_sgpr_dispatch_id 0
		.amdhsa_user_sgpr_kernarg_preload_length 0
		.amdhsa_user_sgpr_kernarg_preload_offset 0
		.amdhsa_user_sgpr_private_segment_size 0
		.amdhsa_uses_dynamic_stack 0
		.amdhsa_enable_private_segment 0
		.amdhsa_system_sgpr_workgroup_id_x 1
		.amdhsa_system_sgpr_workgroup_id_y 0
		.amdhsa_system_sgpr_workgroup_id_z 0
		.amdhsa_system_sgpr_workgroup_info 0
		.amdhsa_system_vgpr_workitem_id 0
		.amdhsa_next_free_vgpr 1
		.amdhsa_next_free_sgpr 0
		.amdhsa_accum_offset 4
		.amdhsa_reserve_vcc 0
		.amdhsa_float_round_mode_32 0
		.amdhsa_float_round_mode_16_64 0
		.amdhsa_float_denorm_mode_32 3
		.amdhsa_float_denorm_mode_16_64 3
		.amdhsa_dx10_clamp 1
		.amdhsa_ieee_mode 1
		.amdhsa_fp16_overflow 0
		.amdhsa_tg_split 0
		.amdhsa_exception_fp_ieee_invalid_op 0
		.amdhsa_exception_fp_denorm_src 0
		.amdhsa_exception_fp_ieee_div_zero 0
		.amdhsa_exception_fp_ieee_overflow 0
		.amdhsa_exception_fp_ieee_underflow 0
		.amdhsa_exception_fp_ieee_inexact 0
		.amdhsa_exception_int_div_zero 0
	.end_amdhsa_kernel
	.section	.text._ZN7rocprim17ROCPRIM_400000_NS6detail17trampoline_kernelINS0_14default_configENS1_37merge_sort_block_sort_config_selectorIlNS0_10empty_typeEEEZNS1_21merge_sort_block_sortIS3_PlS8_PS5_S9_ZN2at6native12_GLOBAL__N_124unique_dim_cuda_templateItEESt5tupleIJNSA_6TensorESF_SF_EERKSF_lbbbEUlllE_EE10hipError_tT0_T1_T2_T3_mRjT4_P12ihipStream_tbNS1_7vsmem_tEEUlT_E_NS1_11comp_targetILNS1_3genE4ELNS1_11target_archE910ELNS1_3gpuE8ELNS1_3repE0EEENS1_30default_config_static_selectorELNS0_4arch9wavefront6targetE1EEEvSM_,"axG",@progbits,_ZN7rocprim17ROCPRIM_400000_NS6detail17trampoline_kernelINS0_14default_configENS1_37merge_sort_block_sort_config_selectorIlNS0_10empty_typeEEEZNS1_21merge_sort_block_sortIS3_PlS8_PS5_S9_ZN2at6native12_GLOBAL__N_124unique_dim_cuda_templateItEESt5tupleIJNSA_6TensorESF_SF_EERKSF_lbbbEUlllE_EE10hipError_tT0_T1_T2_T3_mRjT4_P12ihipStream_tbNS1_7vsmem_tEEUlT_E_NS1_11comp_targetILNS1_3genE4ELNS1_11target_archE910ELNS1_3gpuE8ELNS1_3repE0EEENS1_30default_config_static_selectorELNS0_4arch9wavefront6targetE1EEEvSM_,comdat
.Lfunc_end1363:
	.size	_ZN7rocprim17ROCPRIM_400000_NS6detail17trampoline_kernelINS0_14default_configENS1_37merge_sort_block_sort_config_selectorIlNS0_10empty_typeEEEZNS1_21merge_sort_block_sortIS3_PlS8_PS5_S9_ZN2at6native12_GLOBAL__N_124unique_dim_cuda_templateItEESt5tupleIJNSA_6TensorESF_SF_EERKSF_lbbbEUlllE_EE10hipError_tT0_T1_T2_T3_mRjT4_P12ihipStream_tbNS1_7vsmem_tEEUlT_E_NS1_11comp_targetILNS1_3genE4ELNS1_11target_archE910ELNS1_3gpuE8ELNS1_3repE0EEENS1_30default_config_static_selectorELNS0_4arch9wavefront6targetE1EEEvSM_, .Lfunc_end1363-_ZN7rocprim17ROCPRIM_400000_NS6detail17trampoline_kernelINS0_14default_configENS1_37merge_sort_block_sort_config_selectorIlNS0_10empty_typeEEEZNS1_21merge_sort_block_sortIS3_PlS8_PS5_S9_ZN2at6native12_GLOBAL__N_124unique_dim_cuda_templateItEESt5tupleIJNSA_6TensorESF_SF_EERKSF_lbbbEUlllE_EE10hipError_tT0_T1_T2_T3_mRjT4_P12ihipStream_tbNS1_7vsmem_tEEUlT_E_NS1_11comp_targetILNS1_3genE4ELNS1_11target_archE910ELNS1_3gpuE8ELNS1_3repE0EEENS1_30default_config_static_selectorELNS0_4arch9wavefront6targetE1EEEvSM_
                                        ; -- End function
	.set _ZN7rocprim17ROCPRIM_400000_NS6detail17trampoline_kernelINS0_14default_configENS1_37merge_sort_block_sort_config_selectorIlNS0_10empty_typeEEEZNS1_21merge_sort_block_sortIS3_PlS8_PS5_S9_ZN2at6native12_GLOBAL__N_124unique_dim_cuda_templateItEESt5tupleIJNSA_6TensorESF_SF_EERKSF_lbbbEUlllE_EE10hipError_tT0_T1_T2_T3_mRjT4_P12ihipStream_tbNS1_7vsmem_tEEUlT_E_NS1_11comp_targetILNS1_3genE4ELNS1_11target_archE910ELNS1_3gpuE8ELNS1_3repE0EEENS1_30default_config_static_selectorELNS0_4arch9wavefront6targetE1EEEvSM_.num_vgpr, 0
	.set _ZN7rocprim17ROCPRIM_400000_NS6detail17trampoline_kernelINS0_14default_configENS1_37merge_sort_block_sort_config_selectorIlNS0_10empty_typeEEEZNS1_21merge_sort_block_sortIS3_PlS8_PS5_S9_ZN2at6native12_GLOBAL__N_124unique_dim_cuda_templateItEESt5tupleIJNSA_6TensorESF_SF_EERKSF_lbbbEUlllE_EE10hipError_tT0_T1_T2_T3_mRjT4_P12ihipStream_tbNS1_7vsmem_tEEUlT_E_NS1_11comp_targetILNS1_3genE4ELNS1_11target_archE910ELNS1_3gpuE8ELNS1_3repE0EEENS1_30default_config_static_selectorELNS0_4arch9wavefront6targetE1EEEvSM_.num_agpr, 0
	.set _ZN7rocprim17ROCPRIM_400000_NS6detail17trampoline_kernelINS0_14default_configENS1_37merge_sort_block_sort_config_selectorIlNS0_10empty_typeEEEZNS1_21merge_sort_block_sortIS3_PlS8_PS5_S9_ZN2at6native12_GLOBAL__N_124unique_dim_cuda_templateItEESt5tupleIJNSA_6TensorESF_SF_EERKSF_lbbbEUlllE_EE10hipError_tT0_T1_T2_T3_mRjT4_P12ihipStream_tbNS1_7vsmem_tEEUlT_E_NS1_11comp_targetILNS1_3genE4ELNS1_11target_archE910ELNS1_3gpuE8ELNS1_3repE0EEENS1_30default_config_static_selectorELNS0_4arch9wavefront6targetE1EEEvSM_.numbered_sgpr, 0
	.set _ZN7rocprim17ROCPRIM_400000_NS6detail17trampoline_kernelINS0_14default_configENS1_37merge_sort_block_sort_config_selectorIlNS0_10empty_typeEEEZNS1_21merge_sort_block_sortIS3_PlS8_PS5_S9_ZN2at6native12_GLOBAL__N_124unique_dim_cuda_templateItEESt5tupleIJNSA_6TensorESF_SF_EERKSF_lbbbEUlllE_EE10hipError_tT0_T1_T2_T3_mRjT4_P12ihipStream_tbNS1_7vsmem_tEEUlT_E_NS1_11comp_targetILNS1_3genE4ELNS1_11target_archE910ELNS1_3gpuE8ELNS1_3repE0EEENS1_30default_config_static_selectorELNS0_4arch9wavefront6targetE1EEEvSM_.num_named_barrier, 0
	.set _ZN7rocprim17ROCPRIM_400000_NS6detail17trampoline_kernelINS0_14default_configENS1_37merge_sort_block_sort_config_selectorIlNS0_10empty_typeEEEZNS1_21merge_sort_block_sortIS3_PlS8_PS5_S9_ZN2at6native12_GLOBAL__N_124unique_dim_cuda_templateItEESt5tupleIJNSA_6TensorESF_SF_EERKSF_lbbbEUlllE_EE10hipError_tT0_T1_T2_T3_mRjT4_P12ihipStream_tbNS1_7vsmem_tEEUlT_E_NS1_11comp_targetILNS1_3genE4ELNS1_11target_archE910ELNS1_3gpuE8ELNS1_3repE0EEENS1_30default_config_static_selectorELNS0_4arch9wavefront6targetE1EEEvSM_.private_seg_size, 0
	.set _ZN7rocprim17ROCPRIM_400000_NS6detail17trampoline_kernelINS0_14default_configENS1_37merge_sort_block_sort_config_selectorIlNS0_10empty_typeEEEZNS1_21merge_sort_block_sortIS3_PlS8_PS5_S9_ZN2at6native12_GLOBAL__N_124unique_dim_cuda_templateItEESt5tupleIJNSA_6TensorESF_SF_EERKSF_lbbbEUlllE_EE10hipError_tT0_T1_T2_T3_mRjT4_P12ihipStream_tbNS1_7vsmem_tEEUlT_E_NS1_11comp_targetILNS1_3genE4ELNS1_11target_archE910ELNS1_3gpuE8ELNS1_3repE0EEENS1_30default_config_static_selectorELNS0_4arch9wavefront6targetE1EEEvSM_.uses_vcc, 0
	.set _ZN7rocprim17ROCPRIM_400000_NS6detail17trampoline_kernelINS0_14default_configENS1_37merge_sort_block_sort_config_selectorIlNS0_10empty_typeEEEZNS1_21merge_sort_block_sortIS3_PlS8_PS5_S9_ZN2at6native12_GLOBAL__N_124unique_dim_cuda_templateItEESt5tupleIJNSA_6TensorESF_SF_EERKSF_lbbbEUlllE_EE10hipError_tT0_T1_T2_T3_mRjT4_P12ihipStream_tbNS1_7vsmem_tEEUlT_E_NS1_11comp_targetILNS1_3genE4ELNS1_11target_archE910ELNS1_3gpuE8ELNS1_3repE0EEENS1_30default_config_static_selectorELNS0_4arch9wavefront6targetE1EEEvSM_.uses_flat_scratch, 0
	.set _ZN7rocprim17ROCPRIM_400000_NS6detail17trampoline_kernelINS0_14default_configENS1_37merge_sort_block_sort_config_selectorIlNS0_10empty_typeEEEZNS1_21merge_sort_block_sortIS3_PlS8_PS5_S9_ZN2at6native12_GLOBAL__N_124unique_dim_cuda_templateItEESt5tupleIJNSA_6TensorESF_SF_EERKSF_lbbbEUlllE_EE10hipError_tT0_T1_T2_T3_mRjT4_P12ihipStream_tbNS1_7vsmem_tEEUlT_E_NS1_11comp_targetILNS1_3genE4ELNS1_11target_archE910ELNS1_3gpuE8ELNS1_3repE0EEENS1_30default_config_static_selectorELNS0_4arch9wavefront6targetE1EEEvSM_.has_dyn_sized_stack, 0
	.set _ZN7rocprim17ROCPRIM_400000_NS6detail17trampoline_kernelINS0_14default_configENS1_37merge_sort_block_sort_config_selectorIlNS0_10empty_typeEEEZNS1_21merge_sort_block_sortIS3_PlS8_PS5_S9_ZN2at6native12_GLOBAL__N_124unique_dim_cuda_templateItEESt5tupleIJNSA_6TensorESF_SF_EERKSF_lbbbEUlllE_EE10hipError_tT0_T1_T2_T3_mRjT4_P12ihipStream_tbNS1_7vsmem_tEEUlT_E_NS1_11comp_targetILNS1_3genE4ELNS1_11target_archE910ELNS1_3gpuE8ELNS1_3repE0EEENS1_30default_config_static_selectorELNS0_4arch9wavefront6targetE1EEEvSM_.has_recursion, 0
	.set _ZN7rocprim17ROCPRIM_400000_NS6detail17trampoline_kernelINS0_14default_configENS1_37merge_sort_block_sort_config_selectorIlNS0_10empty_typeEEEZNS1_21merge_sort_block_sortIS3_PlS8_PS5_S9_ZN2at6native12_GLOBAL__N_124unique_dim_cuda_templateItEESt5tupleIJNSA_6TensorESF_SF_EERKSF_lbbbEUlllE_EE10hipError_tT0_T1_T2_T3_mRjT4_P12ihipStream_tbNS1_7vsmem_tEEUlT_E_NS1_11comp_targetILNS1_3genE4ELNS1_11target_archE910ELNS1_3gpuE8ELNS1_3repE0EEENS1_30default_config_static_selectorELNS0_4arch9wavefront6targetE1EEEvSM_.has_indirect_call, 0
	.section	.AMDGPU.csdata,"",@progbits
; Kernel info:
; codeLenInByte = 0
; TotalNumSgprs: 6
; NumVgprs: 0
; NumAgprs: 0
; TotalNumVgprs: 0
; ScratchSize: 0
; MemoryBound: 0
; FloatMode: 240
; IeeeMode: 1
; LDSByteSize: 0 bytes/workgroup (compile time only)
; SGPRBlocks: 0
; VGPRBlocks: 0
; NumSGPRsForWavesPerEU: 6
; NumVGPRsForWavesPerEU: 1
; AccumOffset: 4
; Occupancy: 8
; WaveLimiterHint : 0
; COMPUTE_PGM_RSRC2:SCRATCH_EN: 0
; COMPUTE_PGM_RSRC2:USER_SGPR: 2
; COMPUTE_PGM_RSRC2:TRAP_HANDLER: 0
; COMPUTE_PGM_RSRC2:TGID_X_EN: 1
; COMPUTE_PGM_RSRC2:TGID_Y_EN: 0
; COMPUTE_PGM_RSRC2:TGID_Z_EN: 0
; COMPUTE_PGM_RSRC2:TIDIG_COMP_CNT: 0
; COMPUTE_PGM_RSRC3_GFX90A:ACCUM_OFFSET: 0
; COMPUTE_PGM_RSRC3_GFX90A:TG_SPLIT: 0
	.section	.text._ZN7rocprim17ROCPRIM_400000_NS6detail17trampoline_kernelINS0_14default_configENS1_37merge_sort_block_sort_config_selectorIlNS0_10empty_typeEEEZNS1_21merge_sort_block_sortIS3_PlS8_PS5_S9_ZN2at6native12_GLOBAL__N_124unique_dim_cuda_templateItEESt5tupleIJNSA_6TensorESF_SF_EERKSF_lbbbEUlllE_EE10hipError_tT0_T1_T2_T3_mRjT4_P12ihipStream_tbNS1_7vsmem_tEEUlT_E_NS1_11comp_targetILNS1_3genE3ELNS1_11target_archE908ELNS1_3gpuE7ELNS1_3repE0EEENS1_30default_config_static_selectorELNS0_4arch9wavefront6targetE1EEEvSM_,"axG",@progbits,_ZN7rocprim17ROCPRIM_400000_NS6detail17trampoline_kernelINS0_14default_configENS1_37merge_sort_block_sort_config_selectorIlNS0_10empty_typeEEEZNS1_21merge_sort_block_sortIS3_PlS8_PS5_S9_ZN2at6native12_GLOBAL__N_124unique_dim_cuda_templateItEESt5tupleIJNSA_6TensorESF_SF_EERKSF_lbbbEUlllE_EE10hipError_tT0_T1_T2_T3_mRjT4_P12ihipStream_tbNS1_7vsmem_tEEUlT_E_NS1_11comp_targetILNS1_3genE3ELNS1_11target_archE908ELNS1_3gpuE7ELNS1_3repE0EEENS1_30default_config_static_selectorELNS0_4arch9wavefront6targetE1EEEvSM_,comdat
	.globl	_ZN7rocprim17ROCPRIM_400000_NS6detail17trampoline_kernelINS0_14default_configENS1_37merge_sort_block_sort_config_selectorIlNS0_10empty_typeEEEZNS1_21merge_sort_block_sortIS3_PlS8_PS5_S9_ZN2at6native12_GLOBAL__N_124unique_dim_cuda_templateItEESt5tupleIJNSA_6TensorESF_SF_EERKSF_lbbbEUlllE_EE10hipError_tT0_T1_T2_T3_mRjT4_P12ihipStream_tbNS1_7vsmem_tEEUlT_E_NS1_11comp_targetILNS1_3genE3ELNS1_11target_archE908ELNS1_3gpuE7ELNS1_3repE0EEENS1_30default_config_static_selectorELNS0_4arch9wavefront6targetE1EEEvSM_ ; -- Begin function _ZN7rocprim17ROCPRIM_400000_NS6detail17trampoline_kernelINS0_14default_configENS1_37merge_sort_block_sort_config_selectorIlNS0_10empty_typeEEEZNS1_21merge_sort_block_sortIS3_PlS8_PS5_S9_ZN2at6native12_GLOBAL__N_124unique_dim_cuda_templateItEESt5tupleIJNSA_6TensorESF_SF_EERKSF_lbbbEUlllE_EE10hipError_tT0_T1_T2_T3_mRjT4_P12ihipStream_tbNS1_7vsmem_tEEUlT_E_NS1_11comp_targetILNS1_3genE3ELNS1_11target_archE908ELNS1_3gpuE7ELNS1_3repE0EEENS1_30default_config_static_selectorELNS0_4arch9wavefront6targetE1EEEvSM_
	.p2align	8
	.type	_ZN7rocprim17ROCPRIM_400000_NS6detail17trampoline_kernelINS0_14default_configENS1_37merge_sort_block_sort_config_selectorIlNS0_10empty_typeEEEZNS1_21merge_sort_block_sortIS3_PlS8_PS5_S9_ZN2at6native12_GLOBAL__N_124unique_dim_cuda_templateItEESt5tupleIJNSA_6TensorESF_SF_EERKSF_lbbbEUlllE_EE10hipError_tT0_T1_T2_T3_mRjT4_P12ihipStream_tbNS1_7vsmem_tEEUlT_E_NS1_11comp_targetILNS1_3genE3ELNS1_11target_archE908ELNS1_3gpuE7ELNS1_3repE0EEENS1_30default_config_static_selectorELNS0_4arch9wavefront6targetE1EEEvSM_,@function
_ZN7rocprim17ROCPRIM_400000_NS6detail17trampoline_kernelINS0_14default_configENS1_37merge_sort_block_sort_config_selectorIlNS0_10empty_typeEEEZNS1_21merge_sort_block_sortIS3_PlS8_PS5_S9_ZN2at6native12_GLOBAL__N_124unique_dim_cuda_templateItEESt5tupleIJNSA_6TensorESF_SF_EERKSF_lbbbEUlllE_EE10hipError_tT0_T1_T2_T3_mRjT4_P12ihipStream_tbNS1_7vsmem_tEEUlT_E_NS1_11comp_targetILNS1_3genE3ELNS1_11target_archE908ELNS1_3gpuE7ELNS1_3repE0EEENS1_30default_config_static_selectorELNS0_4arch9wavefront6targetE1EEEvSM_: ; @_ZN7rocprim17ROCPRIM_400000_NS6detail17trampoline_kernelINS0_14default_configENS1_37merge_sort_block_sort_config_selectorIlNS0_10empty_typeEEEZNS1_21merge_sort_block_sortIS3_PlS8_PS5_S9_ZN2at6native12_GLOBAL__N_124unique_dim_cuda_templateItEESt5tupleIJNSA_6TensorESF_SF_EERKSF_lbbbEUlllE_EE10hipError_tT0_T1_T2_T3_mRjT4_P12ihipStream_tbNS1_7vsmem_tEEUlT_E_NS1_11comp_targetILNS1_3genE3ELNS1_11target_archE908ELNS1_3gpuE7ELNS1_3repE0EEENS1_30default_config_static_selectorELNS0_4arch9wavefront6targetE1EEEvSM_
; %bb.0:
	.section	.rodata,"a",@progbits
	.p2align	6, 0x0
	.amdhsa_kernel _ZN7rocprim17ROCPRIM_400000_NS6detail17trampoline_kernelINS0_14default_configENS1_37merge_sort_block_sort_config_selectorIlNS0_10empty_typeEEEZNS1_21merge_sort_block_sortIS3_PlS8_PS5_S9_ZN2at6native12_GLOBAL__N_124unique_dim_cuda_templateItEESt5tupleIJNSA_6TensorESF_SF_EERKSF_lbbbEUlllE_EE10hipError_tT0_T1_T2_T3_mRjT4_P12ihipStream_tbNS1_7vsmem_tEEUlT_E_NS1_11comp_targetILNS1_3genE3ELNS1_11target_archE908ELNS1_3gpuE7ELNS1_3repE0EEENS1_30default_config_static_selectorELNS0_4arch9wavefront6targetE1EEEvSM_
		.amdhsa_group_segment_fixed_size 0
		.amdhsa_private_segment_fixed_size 0
		.amdhsa_kernarg_size 72
		.amdhsa_user_sgpr_count 2
		.amdhsa_user_sgpr_dispatch_ptr 0
		.amdhsa_user_sgpr_queue_ptr 0
		.amdhsa_user_sgpr_kernarg_segment_ptr 1
		.amdhsa_user_sgpr_dispatch_id 0
		.amdhsa_user_sgpr_kernarg_preload_length 0
		.amdhsa_user_sgpr_kernarg_preload_offset 0
		.amdhsa_user_sgpr_private_segment_size 0
		.amdhsa_uses_dynamic_stack 0
		.amdhsa_enable_private_segment 0
		.amdhsa_system_sgpr_workgroup_id_x 1
		.amdhsa_system_sgpr_workgroup_id_y 0
		.amdhsa_system_sgpr_workgroup_id_z 0
		.amdhsa_system_sgpr_workgroup_info 0
		.amdhsa_system_vgpr_workitem_id 0
		.amdhsa_next_free_vgpr 1
		.amdhsa_next_free_sgpr 0
		.amdhsa_accum_offset 4
		.amdhsa_reserve_vcc 0
		.amdhsa_float_round_mode_32 0
		.amdhsa_float_round_mode_16_64 0
		.amdhsa_float_denorm_mode_32 3
		.amdhsa_float_denorm_mode_16_64 3
		.amdhsa_dx10_clamp 1
		.amdhsa_ieee_mode 1
		.amdhsa_fp16_overflow 0
		.amdhsa_tg_split 0
		.amdhsa_exception_fp_ieee_invalid_op 0
		.amdhsa_exception_fp_denorm_src 0
		.amdhsa_exception_fp_ieee_div_zero 0
		.amdhsa_exception_fp_ieee_overflow 0
		.amdhsa_exception_fp_ieee_underflow 0
		.amdhsa_exception_fp_ieee_inexact 0
		.amdhsa_exception_int_div_zero 0
	.end_amdhsa_kernel
	.section	.text._ZN7rocprim17ROCPRIM_400000_NS6detail17trampoline_kernelINS0_14default_configENS1_37merge_sort_block_sort_config_selectorIlNS0_10empty_typeEEEZNS1_21merge_sort_block_sortIS3_PlS8_PS5_S9_ZN2at6native12_GLOBAL__N_124unique_dim_cuda_templateItEESt5tupleIJNSA_6TensorESF_SF_EERKSF_lbbbEUlllE_EE10hipError_tT0_T1_T2_T3_mRjT4_P12ihipStream_tbNS1_7vsmem_tEEUlT_E_NS1_11comp_targetILNS1_3genE3ELNS1_11target_archE908ELNS1_3gpuE7ELNS1_3repE0EEENS1_30default_config_static_selectorELNS0_4arch9wavefront6targetE1EEEvSM_,"axG",@progbits,_ZN7rocprim17ROCPRIM_400000_NS6detail17trampoline_kernelINS0_14default_configENS1_37merge_sort_block_sort_config_selectorIlNS0_10empty_typeEEEZNS1_21merge_sort_block_sortIS3_PlS8_PS5_S9_ZN2at6native12_GLOBAL__N_124unique_dim_cuda_templateItEESt5tupleIJNSA_6TensorESF_SF_EERKSF_lbbbEUlllE_EE10hipError_tT0_T1_T2_T3_mRjT4_P12ihipStream_tbNS1_7vsmem_tEEUlT_E_NS1_11comp_targetILNS1_3genE3ELNS1_11target_archE908ELNS1_3gpuE7ELNS1_3repE0EEENS1_30default_config_static_selectorELNS0_4arch9wavefront6targetE1EEEvSM_,comdat
.Lfunc_end1364:
	.size	_ZN7rocprim17ROCPRIM_400000_NS6detail17trampoline_kernelINS0_14default_configENS1_37merge_sort_block_sort_config_selectorIlNS0_10empty_typeEEEZNS1_21merge_sort_block_sortIS3_PlS8_PS5_S9_ZN2at6native12_GLOBAL__N_124unique_dim_cuda_templateItEESt5tupleIJNSA_6TensorESF_SF_EERKSF_lbbbEUlllE_EE10hipError_tT0_T1_T2_T3_mRjT4_P12ihipStream_tbNS1_7vsmem_tEEUlT_E_NS1_11comp_targetILNS1_3genE3ELNS1_11target_archE908ELNS1_3gpuE7ELNS1_3repE0EEENS1_30default_config_static_selectorELNS0_4arch9wavefront6targetE1EEEvSM_, .Lfunc_end1364-_ZN7rocprim17ROCPRIM_400000_NS6detail17trampoline_kernelINS0_14default_configENS1_37merge_sort_block_sort_config_selectorIlNS0_10empty_typeEEEZNS1_21merge_sort_block_sortIS3_PlS8_PS5_S9_ZN2at6native12_GLOBAL__N_124unique_dim_cuda_templateItEESt5tupleIJNSA_6TensorESF_SF_EERKSF_lbbbEUlllE_EE10hipError_tT0_T1_T2_T3_mRjT4_P12ihipStream_tbNS1_7vsmem_tEEUlT_E_NS1_11comp_targetILNS1_3genE3ELNS1_11target_archE908ELNS1_3gpuE7ELNS1_3repE0EEENS1_30default_config_static_selectorELNS0_4arch9wavefront6targetE1EEEvSM_
                                        ; -- End function
	.set _ZN7rocprim17ROCPRIM_400000_NS6detail17trampoline_kernelINS0_14default_configENS1_37merge_sort_block_sort_config_selectorIlNS0_10empty_typeEEEZNS1_21merge_sort_block_sortIS3_PlS8_PS5_S9_ZN2at6native12_GLOBAL__N_124unique_dim_cuda_templateItEESt5tupleIJNSA_6TensorESF_SF_EERKSF_lbbbEUlllE_EE10hipError_tT0_T1_T2_T3_mRjT4_P12ihipStream_tbNS1_7vsmem_tEEUlT_E_NS1_11comp_targetILNS1_3genE3ELNS1_11target_archE908ELNS1_3gpuE7ELNS1_3repE0EEENS1_30default_config_static_selectorELNS0_4arch9wavefront6targetE1EEEvSM_.num_vgpr, 0
	.set _ZN7rocprim17ROCPRIM_400000_NS6detail17trampoline_kernelINS0_14default_configENS1_37merge_sort_block_sort_config_selectorIlNS0_10empty_typeEEEZNS1_21merge_sort_block_sortIS3_PlS8_PS5_S9_ZN2at6native12_GLOBAL__N_124unique_dim_cuda_templateItEESt5tupleIJNSA_6TensorESF_SF_EERKSF_lbbbEUlllE_EE10hipError_tT0_T1_T2_T3_mRjT4_P12ihipStream_tbNS1_7vsmem_tEEUlT_E_NS1_11comp_targetILNS1_3genE3ELNS1_11target_archE908ELNS1_3gpuE7ELNS1_3repE0EEENS1_30default_config_static_selectorELNS0_4arch9wavefront6targetE1EEEvSM_.num_agpr, 0
	.set _ZN7rocprim17ROCPRIM_400000_NS6detail17trampoline_kernelINS0_14default_configENS1_37merge_sort_block_sort_config_selectorIlNS0_10empty_typeEEEZNS1_21merge_sort_block_sortIS3_PlS8_PS5_S9_ZN2at6native12_GLOBAL__N_124unique_dim_cuda_templateItEESt5tupleIJNSA_6TensorESF_SF_EERKSF_lbbbEUlllE_EE10hipError_tT0_T1_T2_T3_mRjT4_P12ihipStream_tbNS1_7vsmem_tEEUlT_E_NS1_11comp_targetILNS1_3genE3ELNS1_11target_archE908ELNS1_3gpuE7ELNS1_3repE0EEENS1_30default_config_static_selectorELNS0_4arch9wavefront6targetE1EEEvSM_.numbered_sgpr, 0
	.set _ZN7rocprim17ROCPRIM_400000_NS6detail17trampoline_kernelINS0_14default_configENS1_37merge_sort_block_sort_config_selectorIlNS0_10empty_typeEEEZNS1_21merge_sort_block_sortIS3_PlS8_PS5_S9_ZN2at6native12_GLOBAL__N_124unique_dim_cuda_templateItEESt5tupleIJNSA_6TensorESF_SF_EERKSF_lbbbEUlllE_EE10hipError_tT0_T1_T2_T3_mRjT4_P12ihipStream_tbNS1_7vsmem_tEEUlT_E_NS1_11comp_targetILNS1_3genE3ELNS1_11target_archE908ELNS1_3gpuE7ELNS1_3repE0EEENS1_30default_config_static_selectorELNS0_4arch9wavefront6targetE1EEEvSM_.num_named_barrier, 0
	.set _ZN7rocprim17ROCPRIM_400000_NS6detail17trampoline_kernelINS0_14default_configENS1_37merge_sort_block_sort_config_selectorIlNS0_10empty_typeEEEZNS1_21merge_sort_block_sortIS3_PlS8_PS5_S9_ZN2at6native12_GLOBAL__N_124unique_dim_cuda_templateItEESt5tupleIJNSA_6TensorESF_SF_EERKSF_lbbbEUlllE_EE10hipError_tT0_T1_T2_T3_mRjT4_P12ihipStream_tbNS1_7vsmem_tEEUlT_E_NS1_11comp_targetILNS1_3genE3ELNS1_11target_archE908ELNS1_3gpuE7ELNS1_3repE0EEENS1_30default_config_static_selectorELNS0_4arch9wavefront6targetE1EEEvSM_.private_seg_size, 0
	.set _ZN7rocprim17ROCPRIM_400000_NS6detail17trampoline_kernelINS0_14default_configENS1_37merge_sort_block_sort_config_selectorIlNS0_10empty_typeEEEZNS1_21merge_sort_block_sortIS3_PlS8_PS5_S9_ZN2at6native12_GLOBAL__N_124unique_dim_cuda_templateItEESt5tupleIJNSA_6TensorESF_SF_EERKSF_lbbbEUlllE_EE10hipError_tT0_T1_T2_T3_mRjT4_P12ihipStream_tbNS1_7vsmem_tEEUlT_E_NS1_11comp_targetILNS1_3genE3ELNS1_11target_archE908ELNS1_3gpuE7ELNS1_3repE0EEENS1_30default_config_static_selectorELNS0_4arch9wavefront6targetE1EEEvSM_.uses_vcc, 0
	.set _ZN7rocprim17ROCPRIM_400000_NS6detail17trampoline_kernelINS0_14default_configENS1_37merge_sort_block_sort_config_selectorIlNS0_10empty_typeEEEZNS1_21merge_sort_block_sortIS3_PlS8_PS5_S9_ZN2at6native12_GLOBAL__N_124unique_dim_cuda_templateItEESt5tupleIJNSA_6TensorESF_SF_EERKSF_lbbbEUlllE_EE10hipError_tT0_T1_T2_T3_mRjT4_P12ihipStream_tbNS1_7vsmem_tEEUlT_E_NS1_11comp_targetILNS1_3genE3ELNS1_11target_archE908ELNS1_3gpuE7ELNS1_3repE0EEENS1_30default_config_static_selectorELNS0_4arch9wavefront6targetE1EEEvSM_.uses_flat_scratch, 0
	.set _ZN7rocprim17ROCPRIM_400000_NS6detail17trampoline_kernelINS0_14default_configENS1_37merge_sort_block_sort_config_selectorIlNS0_10empty_typeEEEZNS1_21merge_sort_block_sortIS3_PlS8_PS5_S9_ZN2at6native12_GLOBAL__N_124unique_dim_cuda_templateItEESt5tupleIJNSA_6TensorESF_SF_EERKSF_lbbbEUlllE_EE10hipError_tT0_T1_T2_T3_mRjT4_P12ihipStream_tbNS1_7vsmem_tEEUlT_E_NS1_11comp_targetILNS1_3genE3ELNS1_11target_archE908ELNS1_3gpuE7ELNS1_3repE0EEENS1_30default_config_static_selectorELNS0_4arch9wavefront6targetE1EEEvSM_.has_dyn_sized_stack, 0
	.set _ZN7rocprim17ROCPRIM_400000_NS6detail17trampoline_kernelINS0_14default_configENS1_37merge_sort_block_sort_config_selectorIlNS0_10empty_typeEEEZNS1_21merge_sort_block_sortIS3_PlS8_PS5_S9_ZN2at6native12_GLOBAL__N_124unique_dim_cuda_templateItEESt5tupleIJNSA_6TensorESF_SF_EERKSF_lbbbEUlllE_EE10hipError_tT0_T1_T2_T3_mRjT4_P12ihipStream_tbNS1_7vsmem_tEEUlT_E_NS1_11comp_targetILNS1_3genE3ELNS1_11target_archE908ELNS1_3gpuE7ELNS1_3repE0EEENS1_30default_config_static_selectorELNS0_4arch9wavefront6targetE1EEEvSM_.has_recursion, 0
	.set _ZN7rocprim17ROCPRIM_400000_NS6detail17trampoline_kernelINS0_14default_configENS1_37merge_sort_block_sort_config_selectorIlNS0_10empty_typeEEEZNS1_21merge_sort_block_sortIS3_PlS8_PS5_S9_ZN2at6native12_GLOBAL__N_124unique_dim_cuda_templateItEESt5tupleIJNSA_6TensorESF_SF_EERKSF_lbbbEUlllE_EE10hipError_tT0_T1_T2_T3_mRjT4_P12ihipStream_tbNS1_7vsmem_tEEUlT_E_NS1_11comp_targetILNS1_3genE3ELNS1_11target_archE908ELNS1_3gpuE7ELNS1_3repE0EEENS1_30default_config_static_selectorELNS0_4arch9wavefront6targetE1EEEvSM_.has_indirect_call, 0
	.section	.AMDGPU.csdata,"",@progbits
; Kernel info:
; codeLenInByte = 0
; TotalNumSgprs: 6
; NumVgprs: 0
; NumAgprs: 0
; TotalNumVgprs: 0
; ScratchSize: 0
; MemoryBound: 0
; FloatMode: 240
; IeeeMode: 1
; LDSByteSize: 0 bytes/workgroup (compile time only)
; SGPRBlocks: 0
; VGPRBlocks: 0
; NumSGPRsForWavesPerEU: 6
; NumVGPRsForWavesPerEU: 1
; AccumOffset: 4
; Occupancy: 8
; WaveLimiterHint : 0
; COMPUTE_PGM_RSRC2:SCRATCH_EN: 0
; COMPUTE_PGM_RSRC2:USER_SGPR: 2
; COMPUTE_PGM_RSRC2:TRAP_HANDLER: 0
; COMPUTE_PGM_RSRC2:TGID_X_EN: 1
; COMPUTE_PGM_RSRC2:TGID_Y_EN: 0
; COMPUTE_PGM_RSRC2:TGID_Z_EN: 0
; COMPUTE_PGM_RSRC2:TIDIG_COMP_CNT: 0
; COMPUTE_PGM_RSRC3_GFX90A:ACCUM_OFFSET: 0
; COMPUTE_PGM_RSRC3_GFX90A:TG_SPLIT: 0
	.section	.text._ZN7rocprim17ROCPRIM_400000_NS6detail17trampoline_kernelINS0_14default_configENS1_37merge_sort_block_sort_config_selectorIlNS0_10empty_typeEEEZNS1_21merge_sort_block_sortIS3_PlS8_PS5_S9_ZN2at6native12_GLOBAL__N_124unique_dim_cuda_templateItEESt5tupleIJNSA_6TensorESF_SF_EERKSF_lbbbEUlllE_EE10hipError_tT0_T1_T2_T3_mRjT4_P12ihipStream_tbNS1_7vsmem_tEEUlT_E_NS1_11comp_targetILNS1_3genE2ELNS1_11target_archE906ELNS1_3gpuE6ELNS1_3repE0EEENS1_30default_config_static_selectorELNS0_4arch9wavefront6targetE1EEEvSM_,"axG",@progbits,_ZN7rocprim17ROCPRIM_400000_NS6detail17trampoline_kernelINS0_14default_configENS1_37merge_sort_block_sort_config_selectorIlNS0_10empty_typeEEEZNS1_21merge_sort_block_sortIS3_PlS8_PS5_S9_ZN2at6native12_GLOBAL__N_124unique_dim_cuda_templateItEESt5tupleIJNSA_6TensorESF_SF_EERKSF_lbbbEUlllE_EE10hipError_tT0_T1_T2_T3_mRjT4_P12ihipStream_tbNS1_7vsmem_tEEUlT_E_NS1_11comp_targetILNS1_3genE2ELNS1_11target_archE906ELNS1_3gpuE6ELNS1_3repE0EEENS1_30default_config_static_selectorELNS0_4arch9wavefront6targetE1EEEvSM_,comdat
	.globl	_ZN7rocprim17ROCPRIM_400000_NS6detail17trampoline_kernelINS0_14default_configENS1_37merge_sort_block_sort_config_selectorIlNS0_10empty_typeEEEZNS1_21merge_sort_block_sortIS3_PlS8_PS5_S9_ZN2at6native12_GLOBAL__N_124unique_dim_cuda_templateItEESt5tupleIJNSA_6TensorESF_SF_EERKSF_lbbbEUlllE_EE10hipError_tT0_T1_T2_T3_mRjT4_P12ihipStream_tbNS1_7vsmem_tEEUlT_E_NS1_11comp_targetILNS1_3genE2ELNS1_11target_archE906ELNS1_3gpuE6ELNS1_3repE0EEENS1_30default_config_static_selectorELNS0_4arch9wavefront6targetE1EEEvSM_ ; -- Begin function _ZN7rocprim17ROCPRIM_400000_NS6detail17trampoline_kernelINS0_14default_configENS1_37merge_sort_block_sort_config_selectorIlNS0_10empty_typeEEEZNS1_21merge_sort_block_sortIS3_PlS8_PS5_S9_ZN2at6native12_GLOBAL__N_124unique_dim_cuda_templateItEESt5tupleIJNSA_6TensorESF_SF_EERKSF_lbbbEUlllE_EE10hipError_tT0_T1_T2_T3_mRjT4_P12ihipStream_tbNS1_7vsmem_tEEUlT_E_NS1_11comp_targetILNS1_3genE2ELNS1_11target_archE906ELNS1_3gpuE6ELNS1_3repE0EEENS1_30default_config_static_selectorELNS0_4arch9wavefront6targetE1EEEvSM_
	.p2align	8
	.type	_ZN7rocprim17ROCPRIM_400000_NS6detail17trampoline_kernelINS0_14default_configENS1_37merge_sort_block_sort_config_selectorIlNS0_10empty_typeEEEZNS1_21merge_sort_block_sortIS3_PlS8_PS5_S9_ZN2at6native12_GLOBAL__N_124unique_dim_cuda_templateItEESt5tupleIJNSA_6TensorESF_SF_EERKSF_lbbbEUlllE_EE10hipError_tT0_T1_T2_T3_mRjT4_P12ihipStream_tbNS1_7vsmem_tEEUlT_E_NS1_11comp_targetILNS1_3genE2ELNS1_11target_archE906ELNS1_3gpuE6ELNS1_3repE0EEENS1_30default_config_static_selectorELNS0_4arch9wavefront6targetE1EEEvSM_,@function
_ZN7rocprim17ROCPRIM_400000_NS6detail17trampoline_kernelINS0_14default_configENS1_37merge_sort_block_sort_config_selectorIlNS0_10empty_typeEEEZNS1_21merge_sort_block_sortIS3_PlS8_PS5_S9_ZN2at6native12_GLOBAL__N_124unique_dim_cuda_templateItEESt5tupleIJNSA_6TensorESF_SF_EERKSF_lbbbEUlllE_EE10hipError_tT0_T1_T2_T3_mRjT4_P12ihipStream_tbNS1_7vsmem_tEEUlT_E_NS1_11comp_targetILNS1_3genE2ELNS1_11target_archE906ELNS1_3gpuE6ELNS1_3repE0EEENS1_30default_config_static_selectorELNS0_4arch9wavefront6targetE1EEEvSM_: ; @_ZN7rocprim17ROCPRIM_400000_NS6detail17trampoline_kernelINS0_14default_configENS1_37merge_sort_block_sort_config_selectorIlNS0_10empty_typeEEEZNS1_21merge_sort_block_sortIS3_PlS8_PS5_S9_ZN2at6native12_GLOBAL__N_124unique_dim_cuda_templateItEESt5tupleIJNSA_6TensorESF_SF_EERKSF_lbbbEUlllE_EE10hipError_tT0_T1_T2_T3_mRjT4_P12ihipStream_tbNS1_7vsmem_tEEUlT_E_NS1_11comp_targetILNS1_3genE2ELNS1_11target_archE906ELNS1_3gpuE6ELNS1_3repE0EEENS1_30default_config_static_selectorELNS0_4arch9wavefront6targetE1EEEvSM_
; %bb.0:
	.section	.rodata,"a",@progbits
	.p2align	6, 0x0
	.amdhsa_kernel _ZN7rocprim17ROCPRIM_400000_NS6detail17trampoline_kernelINS0_14default_configENS1_37merge_sort_block_sort_config_selectorIlNS0_10empty_typeEEEZNS1_21merge_sort_block_sortIS3_PlS8_PS5_S9_ZN2at6native12_GLOBAL__N_124unique_dim_cuda_templateItEESt5tupleIJNSA_6TensorESF_SF_EERKSF_lbbbEUlllE_EE10hipError_tT0_T1_T2_T3_mRjT4_P12ihipStream_tbNS1_7vsmem_tEEUlT_E_NS1_11comp_targetILNS1_3genE2ELNS1_11target_archE906ELNS1_3gpuE6ELNS1_3repE0EEENS1_30default_config_static_selectorELNS0_4arch9wavefront6targetE1EEEvSM_
		.amdhsa_group_segment_fixed_size 0
		.amdhsa_private_segment_fixed_size 0
		.amdhsa_kernarg_size 72
		.amdhsa_user_sgpr_count 2
		.amdhsa_user_sgpr_dispatch_ptr 0
		.amdhsa_user_sgpr_queue_ptr 0
		.amdhsa_user_sgpr_kernarg_segment_ptr 1
		.amdhsa_user_sgpr_dispatch_id 0
		.amdhsa_user_sgpr_kernarg_preload_length 0
		.amdhsa_user_sgpr_kernarg_preload_offset 0
		.amdhsa_user_sgpr_private_segment_size 0
		.amdhsa_uses_dynamic_stack 0
		.amdhsa_enable_private_segment 0
		.amdhsa_system_sgpr_workgroup_id_x 1
		.amdhsa_system_sgpr_workgroup_id_y 0
		.amdhsa_system_sgpr_workgroup_id_z 0
		.amdhsa_system_sgpr_workgroup_info 0
		.amdhsa_system_vgpr_workitem_id 0
		.amdhsa_next_free_vgpr 1
		.amdhsa_next_free_sgpr 0
		.amdhsa_accum_offset 4
		.amdhsa_reserve_vcc 0
		.amdhsa_float_round_mode_32 0
		.amdhsa_float_round_mode_16_64 0
		.amdhsa_float_denorm_mode_32 3
		.amdhsa_float_denorm_mode_16_64 3
		.amdhsa_dx10_clamp 1
		.amdhsa_ieee_mode 1
		.amdhsa_fp16_overflow 0
		.amdhsa_tg_split 0
		.amdhsa_exception_fp_ieee_invalid_op 0
		.amdhsa_exception_fp_denorm_src 0
		.amdhsa_exception_fp_ieee_div_zero 0
		.amdhsa_exception_fp_ieee_overflow 0
		.amdhsa_exception_fp_ieee_underflow 0
		.amdhsa_exception_fp_ieee_inexact 0
		.amdhsa_exception_int_div_zero 0
	.end_amdhsa_kernel
	.section	.text._ZN7rocprim17ROCPRIM_400000_NS6detail17trampoline_kernelINS0_14default_configENS1_37merge_sort_block_sort_config_selectorIlNS0_10empty_typeEEEZNS1_21merge_sort_block_sortIS3_PlS8_PS5_S9_ZN2at6native12_GLOBAL__N_124unique_dim_cuda_templateItEESt5tupleIJNSA_6TensorESF_SF_EERKSF_lbbbEUlllE_EE10hipError_tT0_T1_T2_T3_mRjT4_P12ihipStream_tbNS1_7vsmem_tEEUlT_E_NS1_11comp_targetILNS1_3genE2ELNS1_11target_archE906ELNS1_3gpuE6ELNS1_3repE0EEENS1_30default_config_static_selectorELNS0_4arch9wavefront6targetE1EEEvSM_,"axG",@progbits,_ZN7rocprim17ROCPRIM_400000_NS6detail17trampoline_kernelINS0_14default_configENS1_37merge_sort_block_sort_config_selectorIlNS0_10empty_typeEEEZNS1_21merge_sort_block_sortIS3_PlS8_PS5_S9_ZN2at6native12_GLOBAL__N_124unique_dim_cuda_templateItEESt5tupleIJNSA_6TensorESF_SF_EERKSF_lbbbEUlllE_EE10hipError_tT0_T1_T2_T3_mRjT4_P12ihipStream_tbNS1_7vsmem_tEEUlT_E_NS1_11comp_targetILNS1_3genE2ELNS1_11target_archE906ELNS1_3gpuE6ELNS1_3repE0EEENS1_30default_config_static_selectorELNS0_4arch9wavefront6targetE1EEEvSM_,comdat
.Lfunc_end1365:
	.size	_ZN7rocprim17ROCPRIM_400000_NS6detail17trampoline_kernelINS0_14default_configENS1_37merge_sort_block_sort_config_selectorIlNS0_10empty_typeEEEZNS1_21merge_sort_block_sortIS3_PlS8_PS5_S9_ZN2at6native12_GLOBAL__N_124unique_dim_cuda_templateItEESt5tupleIJNSA_6TensorESF_SF_EERKSF_lbbbEUlllE_EE10hipError_tT0_T1_T2_T3_mRjT4_P12ihipStream_tbNS1_7vsmem_tEEUlT_E_NS1_11comp_targetILNS1_3genE2ELNS1_11target_archE906ELNS1_3gpuE6ELNS1_3repE0EEENS1_30default_config_static_selectorELNS0_4arch9wavefront6targetE1EEEvSM_, .Lfunc_end1365-_ZN7rocprim17ROCPRIM_400000_NS6detail17trampoline_kernelINS0_14default_configENS1_37merge_sort_block_sort_config_selectorIlNS0_10empty_typeEEEZNS1_21merge_sort_block_sortIS3_PlS8_PS5_S9_ZN2at6native12_GLOBAL__N_124unique_dim_cuda_templateItEESt5tupleIJNSA_6TensorESF_SF_EERKSF_lbbbEUlllE_EE10hipError_tT0_T1_T2_T3_mRjT4_P12ihipStream_tbNS1_7vsmem_tEEUlT_E_NS1_11comp_targetILNS1_3genE2ELNS1_11target_archE906ELNS1_3gpuE6ELNS1_3repE0EEENS1_30default_config_static_selectorELNS0_4arch9wavefront6targetE1EEEvSM_
                                        ; -- End function
	.set _ZN7rocprim17ROCPRIM_400000_NS6detail17trampoline_kernelINS0_14default_configENS1_37merge_sort_block_sort_config_selectorIlNS0_10empty_typeEEEZNS1_21merge_sort_block_sortIS3_PlS8_PS5_S9_ZN2at6native12_GLOBAL__N_124unique_dim_cuda_templateItEESt5tupleIJNSA_6TensorESF_SF_EERKSF_lbbbEUlllE_EE10hipError_tT0_T1_T2_T3_mRjT4_P12ihipStream_tbNS1_7vsmem_tEEUlT_E_NS1_11comp_targetILNS1_3genE2ELNS1_11target_archE906ELNS1_3gpuE6ELNS1_3repE0EEENS1_30default_config_static_selectorELNS0_4arch9wavefront6targetE1EEEvSM_.num_vgpr, 0
	.set _ZN7rocprim17ROCPRIM_400000_NS6detail17trampoline_kernelINS0_14default_configENS1_37merge_sort_block_sort_config_selectorIlNS0_10empty_typeEEEZNS1_21merge_sort_block_sortIS3_PlS8_PS5_S9_ZN2at6native12_GLOBAL__N_124unique_dim_cuda_templateItEESt5tupleIJNSA_6TensorESF_SF_EERKSF_lbbbEUlllE_EE10hipError_tT0_T1_T2_T3_mRjT4_P12ihipStream_tbNS1_7vsmem_tEEUlT_E_NS1_11comp_targetILNS1_3genE2ELNS1_11target_archE906ELNS1_3gpuE6ELNS1_3repE0EEENS1_30default_config_static_selectorELNS0_4arch9wavefront6targetE1EEEvSM_.num_agpr, 0
	.set _ZN7rocprim17ROCPRIM_400000_NS6detail17trampoline_kernelINS0_14default_configENS1_37merge_sort_block_sort_config_selectorIlNS0_10empty_typeEEEZNS1_21merge_sort_block_sortIS3_PlS8_PS5_S9_ZN2at6native12_GLOBAL__N_124unique_dim_cuda_templateItEESt5tupleIJNSA_6TensorESF_SF_EERKSF_lbbbEUlllE_EE10hipError_tT0_T1_T2_T3_mRjT4_P12ihipStream_tbNS1_7vsmem_tEEUlT_E_NS1_11comp_targetILNS1_3genE2ELNS1_11target_archE906ELNS1_3gpuE6ELNS1_3repE0EEENS1_30default_config_static_selectorELNS0_4arch9wavefront6targetE1EEEvSM_.numbered_sgpr, 0
	.set _ZN7rocprim17ROCPRIM_400000_NS6detail17trampoline_kernelINS0_14default_configENS1_37merge_sort_block_sort_config_selectorIlNS0_10empty_typeEEEZNS1_21merge_sort_block_sortIS3_PlS8_PS5_S9_ZN2at6native12_GLOBAL__N_124unique_dim_cuda_templateItEESt5tupleIJNSA_6TensorESF_SF_EERKSF_lbbbEUlllE_EE10hipError_tT0_T1_T2_T3_mRjT4_P12ihipStream_tbNS1_7vsmem_tEEUlT_E_NS1_11comp_targetILNS1_3genE2ELNS1_11target_archE906ELNS1_3gpuE6ELNS1_3repE0EEENS1_30default_config_static_selectorELNS0_4arch9wavefront6targetE1EEEvSM_.num_named_barrier, 0
	.set _ZN7rocprim17ROCPRIM_400000_NS6detail17trampoline_kernelINS0_14default_configENS1_37merge_sort_block_sort_config_selectorIlNS0_10empty_typeEEEZNS1_21merge_sort_block_sortIS3_PlS8_PS5_S9_ZN2at6native12_GLOBAL__N_124unique_dim_cuda_templateItEESt5tupleIJNSA_6TensorESF_SF_EERKSF_lbbbEUlllE_EE10hipError_tT0_T1_T2_T3_mRjT4_P12ihipStream_tbNS1_7vsmem_tEEUlT_E_NS1_11comp_targetILNS1_3genE2ELNS1_11target_archE906ELNS1_3gpuE6ELNS1_3repE0EEENS1_30default_config_static_selectorELNS0_4arch9wavefront6targetE1EEEvSM_.private_seg_size, 0
	.set _ZN7rocprim17ROCPRIM_400000_NS6detail17trampoline_kernelINS0_14default_configENS1_37merge_sort_block_sort_config_selectorIlNS0_10empty_typeEEEZNS1_21merge_sort_block_sortIS3_PlS8_PS5_S9_ZN2at6native12_GLOBAL__N_124unique_dim_cuda_templateItEESt5tupleIJNSA_6TensorESF_SF_EERKSF_lbbbEUlllE_EE10hipError_tT0_T1_T2_T3_mRjT4_P12ihipStream_tbNS1_7vsmem_tEEUlT_E_NS1_11comp_targetILNS1_3genE2ELNS1_11target_archE906ELNS1_3gpuE6ELNS1_3repE0EEENS1_30default_config_static_selectorELNS0_4arch9wavefront6targetE1EEEvSM_.uses_vcc, 0
	.set _ZN7rocprim17ROCPRIM_400000_NS6detail17trampoline_kernelINS0_14default_configENS1_37merge_sort_block_sort_config_selectorIlNS0_10empty_typeEEEZNS1_21merge_sort_block_sortIS3_PlS8_PS5_S9_ZN2at6native12_GLOBAL__N_124unique_dim_cuda_templateItEESt5tupleIJNSA_6TensorESF_SF_EERKSF_lbbbEUlllE_EE10hipError_tT0_T1_T2_T3_mRjT4_P12ihipStream_tbNS1_7vsmem_tEEUlT_E_NS1_11comp_targetILNS1_3genE2ELNS1_11target_archE906ELNS1_3gpuE6ELNS1_3repE0EEENS1_30default_config_static_selectorELNS0_4arch9wavefront6targetE1EEEvSM_.uses_flat_scratch, 0
	.set _ZN7rocprim17ROCPRIM_400000_NS6detail17trampoline_kernelINS0_14default_configENS1_37merge_sort_block_sort_config_selectorIlNS0_10empty_typeEEEZNS1_21merge_sort_block_sortIS3_PlS8_PS5_S9_ZN2at6native12_GLOBAL__N_124unique_dim_cuda_templateItEESt5tupleIJNSA_6TensorESF_SF_EERKSF_lbbbEUlllE_EE10hipError_tT0_T1_T2_T3_mRjT4_P12ihipStream_tbNS1_7vsmem_tEEUlT_E_NS1_11comp_targetILNS1_3genE2ELNS1_11target_archE906ELNS1_3gpuE6ELNS1_3repE0EEENS1_30default_config_static_selectorELNS0_4arch9wavefront6targetE1EEEvSM_.has_dyn_sized_stack, 0
	.set _ZN7rocprim17ROCPRIM_400000_NS6detail17trampoline_kernelINS0_14default_configENS1_37merge_sort_block_sort_config_selectorIlNS0_10empty_typeEEEZNS1_21merge_sort_block_sortIS3_PlS8_PS5_S9_ZN2at6native12_GLOBAL__N_124unique_dim_cuda_templateItEESt5tupleIJNSA_6TensorESF_SF_EERKSF_lbbbEUlllE_EE10hipError_tT0_T1_T2_T3_mRjT4_P12ihipStream_tbNS1_7vsmem_tEEUlT_E_NS1_11comp_targetILNS1_3genE2ELNS1_11target_archE906ELNS1_3gpuE6ELNS1_3repE0EEENS1_30default_config_static_selectorELNS0_4arch9wavefront6targetE1EEEvSM_.has_recursion, 0
	.set _ZN7rocprim17ROCPRIM_400000_NS6detail17trampoline_kernelINS0_14default_configENS1_37merge_sort_block_sort_config_selectorIlNS0_10empty_typeEEEZNS1_21merge_sort_block_sortIS3_PlS8_PS5_S9_ZN2at6native12_GLOBAL__N_124unique_dim_cuda_templateItEESt5tupleIJNSA_6TensorESF_SF_EERKSF_lbbbEUlllE_EE10hipError_tT0_T1_T2_T3_mRjT4_P12ihipStream_tbNS1_7vsmem_tEEUlT_E_NS1_11comp_targetILNS1_3genE2ELNS1_11target_archE906ELNS1_3gpuE6ELNS1_3repE0EEENS1_30default_config_static_selectorELNS0_4arch9wavefront6targetE1EEEvSM_.has_indirect_call, 0
	.section	.AMDGPU.csdata,"",@progbits
; Kernel info:
; codeLenInByte = 0
; TotalNumSgprs: 6
; NumVgprs: 0
; NumAgprs: 0
; TotalNumVgprs: 0
; ScratchSize: 0
; MemoryBound: 0
; FloatMode: 240
; IeeeMode: 1
; LDSByteSize: 0 bytes/workgroup (compile time only)
; SGPRBlocks: 0
; VGPRBlocks: 0
; NumSGPRsForWavesPerEU: 6
; NumVGPRsForWavesPerEU: 1
; AccumOffset: 4
; Occupancy: 8
; WaveLimiterHint : 0
; COMPUTE_PGM_RSRC2:SCRATCH_EN: 0
; COMPUTE_PGM_RSRC2:USER_SGPR: 2
; COMPUTE_PGM_RSRC2:TRAP_HANDLER: 0
; COMPUTE_PGM_RSRC2:TGID_X_EN: 1
; COMPUTE_PGM_RSRC2:TGID_Y_EN: 0
; COMPUTE_PGM_RSRC2:TGID_Z_EN: 0
; COMPUTE_PGM_RSRC2:TIDIG_COMP_CNT: 0
; COMPUTE_PGM_RSRC3_GFX90A:ACCUM_OFFSET: 0
; COMPUTE_PGM_RSRC3_GFX90A:TG_SPLIT: 0
	.section	.text._ZN7rocprim17ROCPRIM_400000_NS6detail17trampoline_kernelINS0_14default_configENS1_37merge_sort_block_sort_config_selectorIlNS0_10empty_typeEEEZNS1_21merge_sort_block_sortIS3_PlS8_PS5_S9_ZN2at6native12_GLOBAL__N_124unique_dim_cuda_templateItEESt5tupleIJNSA_6TensorESF_SF_EERKSF_lbbbEUlllE_EE10hipError_tT0_T1_T2_T3_mRjT4_P12ihipStream_tbNS1_7vsmem_tEEUlT_E_NS1_11comp_targetILNS1_3genE10ELNS1_11target_archE1201ELNS1_3gpuE5ELNS1_3repE0EEENS1_30default_config_static_selectorELNS0_4arch9wavefront6targetE1EEEvSM_,"axG",@progbits,_ZN7rocprim17ROCPRIM_400000_NS6detail17trampoline_kernelINS0_14default_configENS1_37merge_sort_block_sort_config_selectorIlNS0_10empty_typeEEEZNS1_21merge_sort_block_sortIS3_PlS8_PS5_S9_ZN2at6native12_GLOBAL__N_124unique_dim_cuda_templateItEESt5tupleIJNSA_6TensorESF_SF_EERKSF_lbbbEUlllE_EE10hipError_tT0_T1_T2_T3_mRjT4_P12ihipStream_tbNS1_7vsmem_tEEUlT_E_NS1_11comp_targetILNS1_3genE10ELNS1_11target_archE1201ELNS1_3gpuE5ELNS1_3repE0EEENS1_30default_config_static_selectorELNS0_4arch9wavefront6targetE1EEEvSM_,comdat
	.globl	_ZN7rocprim17ROCPRIM_400000_NS6detail17trampoline_kernelINS0_14default_configENS1_37merge_sort_block_sort_config_selectorIlNS0_10empty_typeEEEZNS1_21merge_sort_block_sortIS3_PlS8_PS5_S9_ZN2at6native12_GLOBAL__N_124unique_dim_cuda_templateItEESt5tupleIJNSA_6TensorESF_SF_EERKSF_lbbbEUlllE_EE10hipError_tT0_T1_T2_T3_mRjT4_P12ihipStream_tbNS1_7vsmem_tEEUlT_E_NS1_11comp_targetILNS1_3genE10ELNS1_11target_archE1201ELNS1_3gpuE5ELNS1_3repE0EEENS1_30default_config_static_selectorELNS0_4arch9wavefront6targetE1EEEvSM_ ; -- Begin function _ZN7rocprim17ROCPRIM_400000_NS6detail17trampoline_kernelINS0_14default_configENS1_37merge_sort_block_sort_config_selectorIlNS0_10empty_typeEEEZNS1_21merge_sort_block_sortIS3_PlS8_PS5_S9_ZN2at6native12_GLOBAL__N_124unique_dim_cuda_templateItEESt5tupleIJNSA_6TensorESF_SF_EERKSF_lbbbEUlllE_EE10hipError_tT0_T1_T2_T3_mRjT4_P12ihipStream_tbNS1_7vsmem_tEEUlT_E_NS1_11comp_targetILNS1_3genE10ELNS1_11target_archE1201ELNS1_3gpuE5ELNS1_3repE0EEENS1_30default_config_static_selectorELNS0_4arch9wavefront6targetE1EEEvSM_
	.p2align	8
	.type	_ZN7rocprim17ROCPRIM_400000_NS6detail17trampoline_kernelINS0_14default_configENS1_37merge_sort_block_sort_config_selectorIlNS0_10empty_typeEEEZNS1_21merge_sort_block_sortIS3_PlS8_PS5_S9_ZN2at6native12_GLOBAL__N_124unique_dim_cuda_templateItEESt5tupleIJNSA_6TensorESF_SF_EERKSF_lbbbEUlllE_EE10hipError_tT0_T1_T2_T3_mRjT4_P12ihipStream_tbNS1_7vsmem_tEEUlT_E_NS1_11comp_targetILNS1_3genE10ELNS1_11target_archE1201ELNS1_3gpuE5ELNS1_3repE0EEENS1_30default_config_static_selectorELNS0_4arch9wavefront6targetE1EEEvSM_,@function
_ZN7rocprim17ROCPRIM_400000_NS6detail17trampoline_kernelINS0_14default_configENS1_37merge_sort_block_sort_config_selectorIlNS0_10empty_typeEEEZNS1_21merge_sort_block_sortIS3_PlS8_PS5_S9_ZN2at6native12_GLOBAL__N_124unique_dim_cuda_templateItEESt5tupleIJNSA_6TensorESF_SF_EERKSF_lbbbEUlllE_EE10hipError_tT0_T1_T2_T3_mRjT4_P12ihipStream_tbNS1_7vsmem_tEEUlT_E_NS1_11comp_targetILNS1_3genE10ELNS1_11target_archE1201ELNS1_3gpuE5ELNS1_3repE0EEENS1_30default_config_static_selectorELNS0_4arch9wavefront6targetE1EEEvSM_: ; @_ZN7rocprim17ROCPRIM_400000_NS6detail17trampoline_kernelINS0_14default_configENS1_37merge_sort_block_sort_config_selectorIlNS0_10empty_typeEEEZNS1_21merge_sort_block_sortIS3_PlS8_PS5_S9_ZN2at6native12_GLOBAL__N_124unique_dim_cuda_templateItEESt5tupleIJNSA_6TensorESF_SF_EERKSF_lbbbEUlllE_EE10hipError_tT0_T1_T2_T3_mRjT4_P12ihipStream_tbNS1_7vsmem_tEEUlT_E_NS1_11comp_targetILNS1_3genE10ELNS1_11target_archE1201ELNS1_3gpuE5ELNS1_3repE0EEENS1_30default_config_static_selectorELNS0_4arch9wavefront6targetE1EEEvSM_
; %bb.0:
	.section	.rodata,"a",@progbits
	.p2align	6, 0x0
	.amdhsa_kernel _ZN7rocprim17ROCPRIM_400000_NS6detail17trampoline_kernelINS0_14default_configENS1_37merge_sort_block_sort_config_selectorIlNS0_10empty_typeEEEZNS1_21merge_sort_block_sortIS3_PlS8_PS5_S9_ZN2at6native12_GLOBAL__N_124unique_dim_cuda_templateItEESt5tupleIJNSA_6TensorESF_SF_EERKSF_lbbbEUlllE_EE10hipError_tT0_T1_T2_T3_mRjT4_P12ihipStream_tbNS1_7vsmem_tEEUlT_E_NS1_11comp_targetILNS1_3genE10ELNS1_11target_archE1201ELNS1_3gpuE5ELNS1_3repE0EEENS1_30default_config_static_selectorELNS0_4arch9wavefront6targetE1EEEvSM_
		.amdhsa_group_segment_fixed_size 0
		.amdhsa_private_segment_fixed_size 0
		.amdhsa_kernarg_size 72
		.amdhsa_user_sgpr_count 2
		.amdhsa_user_sgpr_dispatch_ptr 0
		.amdhsa_user_sgpr_queue_ptr 0
		.amdhsa_user_sgpr_kernarg_segment_ptr 1
		.amdhsa_user_sgpr_dispatch_id 0
		.amdhsa_user_sgpr_kernarg_preload_length 0
		.amdhsa_user_sgpr_kernarg_preload_offset 0
		.amdhsa_user_sgpr_private_segment_size 0
		.amdhsa_uses_dynamic_stack 0
		.amdhsa_enable_private_segment 0
		.amdhsa_system_sgpr_workgroup_id_x 1
		.amdhsa_system_sgpr_workgroup_id_y 0
		.amdhsa_system_sgpr_workgroup_id_z 0
		.amdhsa_system_sgpr_workgroup_info 0
		.amdhsa_system_vgpr_workitem_id 0
		.amdhsa_next_free_vgpr 1
		.amdhsa_next_free_sgpr 0
		.amdhsa_accum_offset 4
		.amdhsa_reserve_vcc 0
		.amdhsa_float_round_mode_32 0
		.amdhsa_float_round_mode_16_64 0
		.amdhsa_float_denorm_mode_32 3
		.amdhsa_float_denorm_mode_16_64 3
		.amdhsa_dx10_clamp 1
		.amdhsa_ieee_mode 1
		.amdhsa_fp16_overflow 0
		.amdhsa_tg_split 0
		.amdhsa_exception_fp_ieee_invalid_op 0
		.amdhsa_exception_fp_denorm_src 0
		.amdhsa_exception_fp_ieee_div_zero 0
		.amdhsa_exception_fp_ieee_overflow 0
		.amdhsa_exception_fp_ieee_underflow 0
		.amdhsa_exception_fp_ieee_inexact 0
		.amdhsa_exception_int_div_zero 0
	.end_amdhsa_kernel
	.section	.text._ZN7rocprim17ROCPRIM_400000_NS6detail17trampoline_kernelINS0_14default_configENS1_37merge_sort_block_sort_config_selectorIlNS0_10empty_typeEEEZNS1_21merge_sort_block_sortIS3_PlS8_PS5_S9_ZN2at6native12_GLOBAL__N_124unique_dim_cuda_templateItEESt5tupleIJNSA_6TensorESF_SF_EERKSF_lbbbEUlllE_EE10hipError_tT0_T1_T2_T3_mRjT4_P12ihipStream_tbNS1_7vsmem_tEEUlT_E_NS1_11comp_targetILNS1_3genE10ELNS1_11target_archE1201ELNS1_3gpuE5ELNS1_3repE0EEENS1_30default_config_static_selectorELNS0_4arch9wavefront6targetE1EEEvSM_,"axG",@progbits,_ZN7rocprim17ROCPRIM_400000_NS6detail17trampoline_kernelINS0_14default_configENS1_37merge_sort_block_sort_config_selectorIlNS0_10empty_typeEEEZNS1_21merge_sort_block_sortIS3_PlS8_PS5_S9_ZN2at6native12_GLOBAL__N_124unique_dim_cuda_templateItEESt5tupleIJNSA_6TensorESF_SF_EERKSF_lbbbEUlllE_EE10hipError_tT0_T1_T2_T3_mRjT4_P12ihipStream_tbNS1_7vsmem_tEEUlT_E_NS1_11comp_targetILNS1_3genE10ELNS1_11target_archE1201ELNS1_3gpuE5ELNS1_3repE0EEENS1_30default_config_static_selectorELNS0_4arch9wavefront6targetE1EEEvSM_,comdat
.Lfunc_end1366:
	.size	_ZN7rocprim17ROCPRIM_400000_NS6detail17trampoline_kernelINS0_14default_configENS1_37merge_sort_block_sort_config_selectorIlNS0_10empty_typeEEEZNS1_21merge_sort_block_sortIS3_PlS8_PS5_S9_ZN2at6native12_GLOBAL__N_124unique_dim_cuda_templateItEESt5tupleIJNSA_6TensorESF_SF_EERKSF_lbbbEUlllE_EE10hipError_tT0_T1_T2_T3_mRjT4_P12ihipStream_tbNS1_7vsmem_tEEUlT_E_NS1_11comp_targetILNS1_3genE10ELNS1_11target_archE1201ELNS1_3gpuE5ELNS1_3repE0EEENS1_30default_config_static_selectorELNS0_4arch9wavefront6targetE1EEEvSM_, .Lfunc_end1366-_ZN7rocprim17ROCPRIM_400000_NS6detail17trampoline_kernelINS0_14default_configENS1_37merge_sort_block_sort_config_selectorIlNS0_10empty_typeEEEZNS1_21merge_sort_block_sortIS3_PlS8_PS5_S9_ZN2at6native12_GLOBAL__N_124unique_dim_cuda_templateItEESt5tupleIJNSA_6TensorESF_SF_EERKSF_lbbbEUlllE_EE10hipError_tT0_T1_T2_T3_mRjT4_P12ihipStream_tbNS1_7vsmem_tEEUlT_E_NS1_11comp_targetILNS1_3genE10ELNS1_11target_archE1201ELNS1_3gpuE5ELNS1_3repE0EEENS1_30default_config_static_selectorELNS0_4arch9wavefront6targetE1EEEvSM_
                                        ; -- End function
	.set _ZN7rocprim17ROCPRIM_400000_NS6detail17trampoline_kernelINS0_14default_configENS1_37merge_sort_block_sort_config_selectorIlNS0_10empty_typeEEEZNS1_21merge_sort_block_sortIS3_PlS8_PS5_S9_ZN2at6native12_GLOBAL__N_124unique_dim_cuda_templateItEESt5tupleIJNSA_6TensorESF_SF_EERKSF_lbbbEUlllE_EE10hipError_tT0_T1_T2_T3_mRjT4_P12ihipStream_tbNS1_7vsmem_tEEUlT_E_NS1_11comp_targetILNS1_3genE10ELNS1_11target_archE1201ELNS1_3gpuE5ELNS1_3repE0EEENS1_30default_config_static_selectorELNS0_4arch9wavefront6targetE1EEEvSM_.num_vgpr, 0
	.set _ZN7rocprim17ROCPRIM_400000_NS6detail17trampoline_kernelINS0_14default_configENS1_37merge_sort_block_sort_config_selectorIlNS0_10empty_typeEEEZNS1_21merge_sort_block_sortIS3_PlS8_PS5_S9_ZN2at6native12_GLOBAL__N_124unique_dim_cuda_templateItEESt5tupleIJNSA_6TensorESF_SF_EERKSF_lbbbEUlllE_EE10hipError_tT0_T1_T2_T3_mRjT4_P12ihipStream_tbNS1_7vsmem_tEEUlT_E_NS1_11comp_targetILNS1_3genE10ELNS1_11target_archE1201ELNS1_3gpuE5ELNS1_3repE0EEENS1_30default_config_static_selectorELNS0_4arch9wavefront6targetE1EEEvSM_.num_agpr, 0
	.set _ZN7rocprim17ROCPRIM_400000_NS6detail17trampoline_kernelINS0_14default_configENS1_37merge_sort_block_sort_config_selectorIlNS0_10empty_typeEEEZNS1_21merge_sort_block_sortIS3_PlS8_PS5_S9_ZN2at6native12_GLOBAL__N_124unique_dim_cuda_templateItEESt5tupleIJNSA_6TensorESF_SF_EERKSF_lbbbEUlllE_EE10hipError_tT0_T1_T2_T3_mRjT4_P12ihipStream_tbNS1_7vsmem_tEEUlT_E_NS1_11comp_targetILNS1_3genE10ELNS1_11target_archE1201ELNS1_3gpuE5ELNS1_3repE0EEENS1_30default_config_static_selectorELNS0_4arch9wavefront6targetE1EEEvSM_.numbered_sgpr, 0
	.set _ZN7rocprim17ROCPRIM_400000_NS6detail17trampoline_kernelINS0_14default_configENS1_37merge_sort_block_sort_config_selectorIlNS0_10empty_typeEEEZNS1_21merge_sort_block_sortIS3_PlS8_PS5_S9_ZN2at6native12_GLOBAL__N_124unique_dim_cuda_templateItEESt5tupleIJNSA_6TensorESF_SF_EERKSF_lbbbEUlllE_EE10hipError_tT0_T1_T2_T3_mRjT4_P12ihipStream_tbNS1_7vsmem_tEEUlT_E_NS1_11comp_targetILNS1_3genE10ELNS1_11target_archE1201ELNS1_3gpuE5ELNS1_3repE0EEENS1_30default_config_static_selectorELNS0_4arch9wavefront6targetE1EEEvSM_.num_named_barrier, 0
	.set _ZN7rocprim17ROCPRIM_400000_NS6detail17trampoline_kernelINS0_14default_configENS1_37merge_sort_block_sort_config_selectorIlNS0_10empty_typeEEEZNS1_21merge_sort_block_sortIS3_PlS8_PS5_S9_ZN2at6native12_GLOBAL__N_124unique_dim_cuda_templateItEESt5tupleIJNSA_6TensorESF_SF_EERKSF_lbbbEUlllE_EE10hipError_tT0_T1_T2_T3_mRjT4_P12ihipStream_tbNS1_7vsmem_tEEUlT_E_NS1_11comp_targetILNS1_3genE10ELNS1_11target_archE1201ELNS1_3gpuE5ELNS1_3repE0EEENS1_30default_config_static_selectorELNS0_4arch9wavefront6targetE1EEEvSM_.private_seg_size, 0
	.set _ZN7rocprim17ROCPRIM_400000_NS6detail17trampoline_kernelINS0_14default_configENS1_37merge_sort_block_sort_config_selectorIlNS0_10empty_typeEEEZNS1_21merge_sort_block_sortIS3_PlS8_PS5_S9_ZN2at6native12_GLOBAL__N_124unique_dim_cuda_templateItEESt5tupleIJNSA_6TensorESF_SF_EERKSF_lbbbEUlllE_EE10hipError_tT0_T1_T2_T3_mRjT4_P12ihipStream_tbNS1_7vsmem_tEEUlT_E_NS1_11comp_targetILNS1_3genE10ELNS1_11target_archE1201ELNS1_3gpuE5ELNS1_3repE0EEENS1_30default_config_static_selectorELNS0_4arch9wavefront6targetE1EEEvSM_.uses_vcc, 0
	.set _ZN7rocprim17ROCPRIM_400000_NS6detail17trampoline_kernelINS0_14default_configENS1_37merge_sort_block_sort_config_selectorIlNS0_10empty_typeEEEZNS1_21merge_sort_block_sortIS3_PlS8_PS5_S9_ZN2at6native12_GLOBAL__N_124unique_dim_cuda_templateItEESt5tupleIJNSA_6TensorESF_SF_EERKSF_lbbbEUlllE_EE10hipError_tT0_T1_T2_T3_mRjT4_P12ihipStream_tbNS1_7vsmem_tEEUlT_E_NS1_11comp_targetILNS1_3genE10ELNS1_11target_archE1201ELNS1_3gpuE5ELNS1_3repE0EEENS1_30default_config_static_selectorELNS0_4arch9wavefront6targetE1EEEvSM_.uses_flat_scratch, 0
	.set _ZN7rocprim17ROCPRIM_400000_NS6detail17trampoline_kernelINS0_14default_configENS1_37merge_sort_block_sort_config_selectorIlNS0_10empty_typeEEEZNS1_21merge_sort_block_sortIS3_PlS8_PS5_S9_ZN2at6native12_GLOBAL__N_124unique_dim_cuda_templateItEESt5tupleIJNSA_6TensorESF_SF_EERKSF_lbbbEUlllE_EE10hipError_tT0_T1_T2_T3_mRjT4_P12ihipStream_tbNS1_7vsmem_tEEUlT_E_NS1_11comp_targetILNS1_3genE10ELNS1_11target_archE1201ELNS1_3gpuE5ELNS1_3repE0EEENS1_30default_config_static_selectorELNS0_4arch9wavefront6targetE1EEEvSM_.has_dyn_sized_stack, 0
	.set _ZN7rocprim17ROCPRIM_400000_NS6detail17trampoline_kernelINS0_14default_configENS1_37merge_sort_block_sort_config_selectorIlNS0_10empty_typeEEEZNS1_21merge_sort_block_sortIS3_PlS8_PS5_S9_ZN2at6native12_GLOBAL__N_124unique_dim_cuda_templateItEESt5tupleIJNSA_6TensorESF_SF_EERKSF_lbbbEUlllE_EE10hipError_tT0_T1_T2_T3_mRjT4_P12ihipStream_tbNS1_7vsmem_tEEUlT_E_NS1_11comp_targetILNS1_3genE10ELNS1_11target_archE1201ELNS1_3gpuE5ELNS1_3repE0EEENS1_30default_config_static_selectorELNS0_4arch9wavefront6targetE1EEEvSM_.has_recursion, 0
	.set _ZN7rocprim17ROCPRIM_400000_NS6detail17trampoline_kernelINS0_14default_configENS1_37merge_sort_block_sort_config_selectorIlNS0_10empty_typeEEEZNS1_21merge_sort_block_sortIS3_PlS8_PS5_S9_ZN2at6native12_GLOBAL__N_124unique_dim_cuda_templateItEESt5tupleIJNSA_6TensorESF_SF_EERKSF_lbbbEUlllE_EE10hipError_tT0_T1_T2_T3_mRjT4_P12ihipStream_tbNS1_7vsmem_tEEUlT_E_NS1_11comp_targetILNS1_3genE10ELNS1_11target_archE1201ELNS1_3gpuE5ELNS1_3repE0EEENS1_30default_config_static_selectorELNS0_4arch9wavefront6targetE1EEEvSM_.has_indirect_call, 0
	.section	.AMDGPU.csdata,"",@progbits
; Kernel info:
; codeLenInByte = 0
; TotalNumSgprs: 6
; NumVgprs: 0
; NumAgprs: 0
; TotalNumVgprs: 0
; ScratchSize: 0
; MemoryBound: 0
; FloatMode: 240
; IeeeMode: 1
; LDSByteSize: 0 bytes/workgroup (compile time only)
; SGPRBlocks: 0
; VGPRBlocks: 0
; NumSGPRsForWavesPerEU: 6
; NumVGPRsForWavesPerEU: 1
; AccumOffset: 4
; Occupancy: 8
; WaveLimiterHint : 0
; COMPUTE_PGM_RSRC2:SCRATCH_EN: 0
; COMPUTE_PGM_RSRC2:USER_SGPR: 2
; COMPUTE_PGM_RSRC2:TRAP_HANDLER: 0
; COMPUTE_PGM_RSRC2:TGID_X_EN: 1
; COMPUTE_PGM_RSRC2:TGID_Y_EN: 0
; COMPUTE_PGM_RSRC2:TGID_Z_EN: 0
; COMPUTE_PGM_RSRC2:TIDIG_COMP_CNT: 0
; COMPUTE_PGM_RSRC3_GFX90A:ACCUM_OFFSET: 0
; COMPUTE_PGM_RSRC3_GFX90A:TG_SPLIT: 0
	.section	.text._ZN7rocprim17ROCPRIM_400000_NS6detail17trampoline_kernelINS0_14default_configENS1_37merge_sort_block_sort_config_selectorIlNS0_10empty_typeEEEZNS1_21merge_sort_block_sortIS3_PlS8_PS5_S9_ZN2at6native12_GLOBAL__N_124unique_dim_cuda_templateItEESt5tupleIJNSA_6TensorESF_SF_EERKSF_lbbbEUlllE_EE10hipError_tT0_T1_T2_T3_mRjT4_P12ihipStream_tbNS1_7vsmem_tEEUlT_E_NS1_11comp_targetILNS1_3genE10ELNS1_11target_archE1200ELNS1_3gpuE4ELNS1_3repE0EEENS1_30default_config_static_selectorELNS0_4arch9wavefront6targetE1EEEvSM_,"axG",@progbits,_ZN7rocprim17ROCPRIM_400000_NS6detail17trampoline_kernelINS0_14default_configENS1_37merge_sort_block_sort_config_selectorIlNS0_10empty_typeEEEZNS1_21merge_sort_block_sortIS3_PlS8_PS5_S9_ZN2at6native12_GLOBAL__N_124unique_dim_cuda_templateItEESt5tupleIJNSA_6TensorESF_SF_EERKSF_lbbbEUlllE_EE10hipError_tT0_T1_T2_T3_mRjT4_P12ihipStream_tbNS1_7vsmem_tEEUlT_E_NS1_11comp_targetILNS1_3genE10ELNS1_11target_archE1200ELNS1_3gpuE4ELNS1_3repE0EEENS1_30default_config_static_selectorELNS0_4arch9wavefront6targetE1EEEvSM_,comdat
	.globl	_ZN7rocprim17ROCPRIM_400000_NS6detail17trampoline_kernelINS0_14default_configENS1_37merge_sort_block_sort_config_selectorIlNS0_10empty_typeEEEZNS1_21merge_sort_block_sortIS3_PlS8_PS5_S9_ZN2at6native12_GLOBAL__N_124unique_dim_cuda_templateItEESt5tupleIJNSA_6TensorESF_SF_EERKSF_lbbbEUlllE_EE10hipError_tT0_T1_T2_T3_mRjT4_P12ihipStream_tbNS1_7vsmem_tEEUlT_E_NS1_11comp_targetILNS1_3genE10ELNS1_11target_archE1200ELNS1_3gpuE4ELNS1_3repE0EEENS1_30default_config_static_selectorELNS0_4arch9wavefront6targetE1EEEvSM_ ; -- Begin function _ZN7rocprim17ROCPRIM_400000_NS6detail17trampoline_kernelINS0_14default_configENS1_37merge_sort_block_sort_config_selectorIlNS0_10empty_typeEEEZNS1_21merge_sort_block_sortIS3_PlS8_PS5_S9_ZN2at6native12_GLOBAL__N_124unique_dim_cuda_templateItEESt5tupleIJNSA_6TensorESF_SF_EERKSF_lbbbEUlllE_EE10hipError_tT0_T1_T2_T3_mRjT4_P12ihipStream_tbNS1_7vsmem_tEEUlT_E_NS1_11comp_targetILNS1_3genE10ELNS1_11target_archE1200ELNS1_3gpuE4ELNS1_3repE0EEENS1_30default_config_static_selectorELNS0_4arch9wavefront6targetE1EEEvSM_
	.p2align	8
	.type	_ZN7rocprim17ROCPRIM_400000_NS6detail17trampoline_kernelINS0_14default_configENS1_37merge_sort_block_sort_config_selectorIlNS0_10empty_typeEEEZNS1_21merge_sort_block_sortIS3_PlS8_PS5_S9_ZN2at6native12_GLOBAL__N_124unique_dim_cuda_templateItEESt5tupleIJNSA_6TensorESF_SF_EERKSF_lbbbEUlllE_EE10hipError_tT0_T1_T2_T3_mRjT4_P12ihipStream_tbNS1_7vsmem_tEEUlT_E_NS1_11comp_targetILNS1_3genE10ELNS1_11target_archE1200ELNS1_3gpuE4ELNS1_3repE0EEENS1_30default_config_static_selectorELNS0_4arch9wavefront6targetE1EEEvSM_,@function
_ZN7rocprim17ROCPRIM_400000_NS6detail17trampoline_kernelINS0_14default_configENS1_37merge_sort_block_sort_config_selectorIlNS0_10empty_typeEEEZNS1_21merge_sort_block_sortIS3_PlS8_PS5_S9_ZN2at6native12_GLOBAL__N_124unique_dim_cuda_templateItEESt5tupleIJNSA_6TensorESF_SF_EERKSF_lbbbEUlllE_EE10hipError_tT0_T1_T2_T3_mRjT4_P12ihipStream_tbNS1_7vsmem_tEEUlT_E_NS1_11comp_targetILNS1_3genE10ELNS1_11target_archE1200ELNS1_3gpuE4ELNS1_3repE0EEENS1_30default_config_static_selectorELNS0_4arch9wavefront6targetE1EEEvSM_: ; @_ZN7rocprim17ROCPRIM_400000_NS6detail17trampoline_kernelINS0_14default_configENS1_37merge_sort_block_sort_config_selectorIlNS0_10empty_typeEEEZNS1_21merge_sort_block_sortIS3_PlS8_PS5_S9_ZN2at6native12_GLOBAL__N_124unique_dim_cuda_templateItEESt5tupleIJNSA_6TensorESF_SF_EERKSF_lbbbEUlllE_EE10hipError_tT0_T1_T2_T3_mRjT4_P12ihipStream_tbNS1_7vsmem_tEEUlT_E_NS1_11comp_targetILNS1_3genE10ELNS1_11target_archE1200ELNS1_3gpuE4ELNS1_3repE0EEENS1_30default_config_static_selectorELNS0_4arch9wavefront6targetE1EEEvSM_
; %bb.0:
	.section	.rodata,"a",@progbits
	.p2align	6, 0x0
	.amdhsa_kernel _ZN7rocprim17ROCPRIM_400000_NS6detail17trampoline_kernelINS0_14default_configENS1_37merge_sort_block_sort_config_selectorIlNS0_10empty_typeEEEZNS1_21merge_sort_block_sortIS3_PlS8_PS5_S9_ZN2at6native12_GLOBAL__N_124unique_dim_cuda_templateItEESt5tupleIJNSA_6TensorESF_SF_EERKSF_lbbbEUlllE_EE10hipError_tT0_T1_T2_T3_mRjT4_P12ihipStream_tbNS1_7vsmem_tEEUlT_E_NS1_11comp_targetILNS1_3genE10ELNS1_11target_archE1200ELNS1_3gpuE4ELNS1_3repE0EEENS1_30default_config_static_selectorELNS0_4arch9wavefront6targetE1EEEvSM_
		.amdhsa_group_segment_fixed_size 0
		.amdhsa_private_segment_fixed_size 0
		.amdhsa_kernarg_size 72
		.amdhsa_user_sgpr_count 2
		.amdhsa_user_sgpr_dispatch_ptr 0
		.amdhsa_user_sgpr_queue_ptr 0
		.amdhsa_user_sgpr_kernarg_segment_ptr 1
		.amdhsa_user_sgpr_dispatch_id 0
		.amdhsa_user_sgpr_kernarg_preload_length 0
		.amdhsa_user_sgpr_kernarg_preload_offset 0
		.amdhsa_user_sgpr_private_segment_size 0
		.amdhsa_uses_dynamic_stack 0
		.amdhsa_enable_private_segment 0
		.amdhsa_system_sgpr_workgroup_id_x 1
		.amdhsa_system_sgpr_workgroup_id_y 0
		.amdhsa_system_sgpr_workgroup_id_z 0
		.amdhsa_system_sgpr_workgroup_info 0
		.amdhsa_system_vgpr_workitem_id 0
		.amdhsa_next_free_vgpr 1
		.amdhsa_next_free_sgpr 0
		.amdhsa_accum_offset 4
		.amdhsa_reserve_vcc 0
		.amdhsa_float_round_mode_32 0
		.amdhsa_float_round_mode_16_64 0
		.amdhsa_float_denorm_mode_32 3
		.amdhsa_float_denorm_mode_16_64 3
		.amdhsa_dx10_clamp 1
		.amdhsa_ieee_mode 1
		.amdhsa_fp16_overflow 0
		.amdhsa_tg_split 0
		.amdhsa_exception_fp_ieee_invalid_op 0
		.amdhsa_exception_fp_denorm_src 0
		.amdhsa_exception_fp_ieee_div_zero 0
		.amdhsa_exception_fp_ieee_overflow 0
		.amdhsa_exception_fp_ieee_underflow 0
		.amdhsa_exception_fp_ieee_inexact 0
		.amdhsa_exception_int_div_zero 0
	.end_amdhsa_kernel
	.section	.text._ZN7rocprim17ROCPRIM_400000_NS6detail17trampoline_kernelINS0_14default_configENS1_37merge_sort_block_sort_config_selectorIlNS0_10empty_typeEEEZNS1_21merge_sort_block_sortIS3_PlS8_PS5_S9_ZN2at6native12_GLOBAL__N_124unique_dim_cuda_templateItEESt5tupleIJNSA_6TensorESF_SF_EERKSF_lbbbEUlllE_EE10hipError_tT0_T1_T2_T3_mRjT4_P12ihipStream_tbNS1_7vsmem_tEEUlT_E_NS1_11comp_targetILNS1_3genE10ELNS1_11target_archE1200ELNS1_3gpuE4ELNS1_3repE0EEENS1_30default_config_static_selectorELNS0_4arch9wavefront6targetE1EEEvSM_,"axG",@progbits,_ZN7rocprim17ROCPRIM_400000_NS6detail17trampoline_kernelINS0_14default_configENS1_37merge_sort_block_sort_config_selectorIlNS0_10empty_typeEEEZNS1_21merge_sort_block_sortIS3_PlS8_PS5_S9_ZN2at6native12_GLOBAL__N_124unique_dim_cuda_templateItEESt5tupleIJNSA_6TensorESF_SF_EERKSF_lbbbEUlllE_EE10hipError_tT0_T1_T2_T3_mRjT4_P12ihipStream_tbNS1_7vsmem_tEEUlT_E_NS1_11comp_targetILNS1_3genE10ELNS1_11target_archE1200ELNS1_3gpuE4ELNS1_3repE0EEENS1_30default_config_static_selectorELNS0_4arch9wavefront6targetE1EEEvSM_,comdat
.Lfunc_end1367:
	.size	_ZN7rocprim17ROCPRIM_400000_NS6detail17trampoline_kernelINS0_14default_configENS1_37merge_sort_block_sort_config_selectorIlNS0_10empty_typeEEEZNS1_21merge_sort_block_sortIS3_PlS8_PS5_S9_ZN2at6native12_GLOBAL__N_124unique_dim_cuda_templateItEESt5tupleIJNSA_6TensorESF_SF_EERKSF_lbbbEUlllE_EE10hipError_tT0_T1_T2_T3_mRjT4_P12ihipStream_tbNS1_7vsmem_tEEUlT_E_NS1_11comp_targetILNS1_3genE10ELNS1_11target_archE1200ELNS1_3gpuE4ELNS1_3repE0EEENS1_30default_config_static_selectorELNS0_4arch9wavefront6targetE1EEEvSM_, .Lfunc_end1367-_ZN7rocprim17ROCPRIM_400000_NS6detail17trampoline_kernelINS0_14default_configENS1_37merge_sort_block_sort_config_selectorIlNS0_10empty_typeEEEZNS1_21merge_sort_block_sortIS3_PlS8_PS5_S9_ZN2at6native12_GLOBAL__N_124unique_dim_cuda_templateItEESt5tupleIJNSA_6TensorESF_SF_EERKSF_lbbbEUlllE_EE10hipError_tT0_T1_T2_T3_mRjT4_P12ihipStream_tbNS1_7vsmem_tEEUlT_E_NS1_11comp_targetILNS1_3genE10ELNS1_11target_archE1200ELNS1_3gpuE4ELNS1_3repE0EEENS1_30default_config_static_selectorELNS0_4arch9wavefront6targetE1EEEvSM_
                                        ; -- End function
	.set _ZN7rocprim17ROCPRIM_400000_NS6detail17trampoline_kernelINS0_14default_configENS1_37merge_sort_block_sort_config_selectorIlNS0_10empty_typeEEEZNS1_21merge_sort_block_sortIS3_PlS8_PS5_S9_ZN2at6native12_GLOBAL__N_124unique_dim_cuda_templateItEESt5tupleIJNSA_6TensorESF_SF_EERKSF_lbbbEUlllE_EE10hipError_tT0_T1_T2_T3_mRjT4_P12ihipStream_tbNS1_7vsmem_tEEUlT_E_NS1_11comp_targetILNS1_3genE10ELNS1_11target_archE1200ELNS1_3gpuE4ELNS1_3repE0EEENS1_30default_config_static_selectorELNS0_4arch9wavefront6targetE1EEEvSM_.num_vgpr, 0
	.set _ZN7rocprim17ROCPRIM_400000_NS6detail17trampoline_kernelINS0_14default_configENS1_37merge_sort_block_sort_config_selectorIlNS0_10empty_typeEEEZNS1_21merge_sort_block_sortIS3_PlS8_PS5_S9_ZN2at6native12_GLOBAL__N_124unique_dim_cuda_templateItEESt5tupleIJNSA_6TensorESF_SF_EERKSF_lbbbEUlllE_EE10hipError_tT0_T1_T2_T3_mRjT4_P12ihipStream_tbNS1_7vsmem_tEEUlT_E_NS1_11comp_targetILNS1_3genE10ELNS1_11target_archE1200ELNS1_3gpuE4ELNS1_3repE0EEENS1_30default_config_static_selectorELNS0_4arch9wavefront6targetE1EEEvSM_.num_agpr, 0
	.set _ZN7rocprim17ROCPRIM_400000_NS6detail17trampoline_kernelINS0_14default_configENS1_37merge_sort_block_sort_config_selectorIlNS0_10empty_typeEEEZNS1_21merge_sort_block_sortIS3_PlS8_PS5_S9_ZN2at6native12_GLOBAL__N_124unique_dim_cuda_templateItEESt5tupleIJNSA_6TensorESF_SF_EERKSF_lbbbEUlllE_EE10hipError_tT0_T1_T2_T3_mRjT4_P12ihipStream_tbNS1_7vsmem_tEEUlT_E_NS1_11comp_targetILNS1_3genE10ELNS1_11target_archE1200ELNS1_3gpuE4ELNS1_3repE0EEENS1_30default_config_static_selectorELNS0_4arch9wavefront6targetE1EEEvSM_.numbered_sgpr, 0
	.set _ZN7rocprim17ROCPRIM_400000_NS6detail17trampoline_kernelINS0_14default_configENS1_37merge_sort_block_sort_config_selectorIlNS0_10empty_typeEEEZNS1_21merge_sort_block_sortIS3_PlS8_PS5_S9_ZN2at6native12_GLOBAL__N_124unique_dim_cuda_templateItEESt5tupleIJNSA_6TensorESF_SF_EERKSF_lbbbEUlllE_EE10hipError_tT0_T1_T2_T3_mRjT4_P12ihipStream_tbNS1_7vsmem_tEEUlT_E_NS1_11comp_targetILNS1_3genE10ELNS1_11target_archE1200ELNS1_3gpuE4ELNS1_3repE0EEENS1_30default_config_static_selectorELNS0_4arch9wavefront6targetE1EEEvSM_.num_named_barrier, 0
	.set _ZN7rocprim17ROCPRIM_400000_NS6detail17trampoline_kernelINS0_14default_configENS1_37merge_sort_block_sort_config_selectorIlNS0_10empty_typeEEEZNS1_21merge_sort_block_sortIS3_PlS8_PS5_S9_ZN2at6native12_GLOBAL__N_124unique_dim_cuda_templateItEESt5tupleIJNSA_6TensorESF_SF_EERKSF_lbbbEUlllE_EE10hipError_tT0_T1_T2_T3_mRjT4_P12ihipStream_tbNS1_7vsmem_tEEUlT_E_NS1_11comp_targetILNS1_3genE10ELNS1_11target_archE1200ELNS1_3gpuE4ELNS1_3repE0EEENS1_30default_config_static_selectorELNS0_4arch9wavefront6targetE1EEEvSM_.private_seg_size, 0
	.set _ZN7rocprim17ROCPRIM_400000_NS6detail17trampoline_kernelINS0_14default_configENS1_37merge_sort_block_sort_config_selectorIlNS0_10empty_typeEEEZNS1_21merge_sort_block_sortIS3_PlS8_PS5_S9_ZN2at6native12_GLOBAL__N_124unique_dim_cuda_templateItEESt5tupleIJNSA_6TensorESF_SF_EERKSF_lbbbEUlllE_EE10hipError_tT0_T1_T2_T3_mRjT4_P12ihipStream_tbNS1_7vsmem_tEEUlT_E_NS1_11comp_targetILNS1_3genE10ELNS1_11target_archE1200ELNS1_3gpuE4ELNS1_3repE0EEENS1_30default_config_static_selectorELNS0_4arch9wavefront6targetE1EEEvSM_.uses_vcc, 0
	.set _ZN7rocprim17ROCPRIM_400000_NS6detail17trampoline_kernelINS0_14default_configENS1_37merge_sort_block_sort_config_selectorIlNS0_10empty_typeEEEZNS1_21merge_sort_block_sortIS3_PlS8_PS5_S9_ZN2at6native12_GLOBAL__N_124unique_dim_cuda_templateItEESt5tupleIJNSA_6TensorESF_SF_EERKSF_lbbbEUlllE_EE10hipError_tT0_T1_T2_T3_mRjT4_P12ihipStream_tbNS1_7vsmem_tEEUlT_E_NS1_11comp_targetILNS1_3genE10ELNS1_11target_archE1200ELNS1_3gpuE4ELNS1_3repE0EEENS1_30default_config_static_selectorELNS0_4arch9wavefront6targetE1EEEvSM_.uses_flat_scratch, 0
	.set _ZN7rocprim17ROCPRIM_400000_NS6detail17trampoline_kernelINS0_14default_configENS1_37merge_sort_block_sort_config_selectorIlNS0_10empty_typeEEEZNS1_21merge_sort_block_sortIS3_PlS8_PS5_S9_ZN2at6native12_GLOBAL__N_124unique_dim_cuda_templateItEESt5tupleIJNSA_6TensorESF_SF_EERKSF_lbbbEUlllE_EE10hipError_tT0_T1_T2_T3_mRjT4_P12ihipStream_tbNS1_7vsmem_tEEUlT_E_NS1_11comp_targetILNS1_3genE10ELNS1_11target_archE1200ELNS1_3gpuE4ELNS1_3repE0EEENS1_30default_config_static_selectorELNS0_4arch9wavefront6targetE1EEEvSM_.has_dyn_sized_stack, 0
	.set _ZN7rocprim17ROCPRIM_400000_NS6detail17trampoline_kernelINS0_14default_configENS1_37merge_sort_block_sort_config_selectorIlNS0_10empty_typeEEEZNS1_21merge_sort_block_sortIS3_PlS8_PS5_S9_ZN2at6native12_GLOBAL__N_124unique_dim_cuda_templateItEESt5tupleIJNSA_6TensorESF_SF_EERKSF_lbbbEUlllE_EE10hipError_tT0_T1_T2_T3_mRjT4_P12ihipStream_tbNS1_7vsmem_tEEUlT_E_NS1_11comp_targetILNS1_3genE10ELNS1_11target_archE1200ELNS1_3gpuE4ELNS1_3repE0EEENS1_30default_config_static_selectorELNS0_4arch9wavefront6targetE1EEEvSM_.has_recursion, 0
	.set _ZN7rocprim17ROCPRIM_400000_NS6detail17trampoline_kernelINS0_14default_configENS1_37merge_sort_block_sort_config_selectorIlNS0_10empty_typeEEEZNS1_21merge_sort_block_sortIS3_PlS8_PS5_S9_ZN2at6native12_GLOBAL__N_124unique_dim_cuda_templateItEESt5tupleIJNSA_6TensorESF_SF_EERKSF_lbbbEUlllE_EE10hipError_tT0_T1_T2_T3_mRjT4_P12ihipStream_tbNS1_7vsmem_tEEUlT_E_NS1_11comp_targetILNS1_3genE10ELNS1_11target_archE1200ELNS1_3gpuE4ELNS1_3repE0EEENS1_30default_config_static_selectorELNS0_4arch9wavefront6targetE1EEEvSM_.has_indirect_call, 0
	.section	.AMDGPU.csdata,"",@progbits
; Kernel info:
; codeLenInByte = 0
; TotalNumSgprs: 6
; NumVgprs: 0
; NumAgprs: 0
; TotalNumVgprs: 0
; ScratchSize: 0
; MemoryBound: 0
; FloatMode: 240
; IeeeMode: 1
; LDSByteSize: 0 bytes/workgroup (compile time only)
; SGPRBlocks: 0
; VGPRBlocks: 0
; NumSGPRsForWavesPerEU: 6
; NumVGPRsForWavesPerEU: 1
; AccumOffset: 4
; Occupancy: 8
; WaveLimiterHint : 0
; COMPUTE_PGM_RSRC2:SCRATCH_EN: 0
; COMPUTE_PGM_RSRC2:USER_SGPR: 2
; COMPUTE_PGM_RSRC2:TRAP_HANDLER: 0
; COMPUTE_PGM_RSRC2:TGID_X_EN: 1
; COMPUTE_PGM_RSRC2:TGID_Y_EN: 0
; COMPUTE_PGM_RSRC2:TGID_Z_EN: 0
; COMPUTE_PGM_RSRC2:TIDIG_COMP_CNT: 0
; COMPUTE_PGM_RSRC3_GFX90A:ACCUM_OFFSET: 0
; COMPUTE_PGM_RSRC3_GFX90A:TG_SPLIT: 0
	.section	.text._ZN7rocprim17ROCPRIM_400000_NS6detail17trampoline_kernelINS0_14default_configENS1_37merge_sort_block_sort_config_selectorIlNS0_10empty_typeEEEZNS1_21merge_sort_block_sortIS3_PlS8_PS5_S9_ZN2at6native12_GLOBAL__N_124unique_dim_cuda_templateItEESt5tupleIJNSA_6TensorESF_SF_EERKSF_lbbbEUlllE_EE10hipError_tT0_T1_T2_T3_mRjT4_P12ihipStream_tbNS1_7vsmem_tEEUlT_E_NS1_11comp_targetILNS1_3genE9ELNS1_11target_archE1100ELNS1_3gpuE3ELNS1_3repE0EEENS1_30default_config_static_selectorELNS0_4arch9wavefront6targetE1EEEvSM_,"axG",@progbits,_ZN7rocprim17ROCPRIM_400000_NS6detail17trampoline_kernelINS0_14default_configENS1_37merge_sort_block_sort_config_selectorIlNS0_10empty_typeEEEZNS1_21merge_sort_block_sortIS3_PlS8_PS5_S9_ZN2at6native12_GLOBAL__N_124unique_dim_cuda_templateItEESt5tupleIJNSA_6TensorESF_SF_EERKSF_lbbbEUlllE_EE10hipError_tT0_T1_T2_T3_mRjT4_P12ihipStream_tbNS1_7vsmem_tEEUlT_E_NS1_11comp_targetILNS1_3genE9ELNS1_11target_archE1100ELNS1_3gpuE3ELNS1_3repE0EEENS1_30default_config_static_selectorELNS0_4arch9wavefront6targetE1EEEvSM_,comdat
	.globl	_ZN7rocprim17ROCPRIM_400000_NS6detail17trampoline_kernelINS0_14default_configENS1_37merge_sort_block_sort_config_selectorIlNS0_10empty_typeEEEZNS1_21merge_sort_block_sortIS3_PlS8_PS5_S9_ZN2at6native12_GLOBAL__N_124unique_dim_cuda_templateItEESt5tupleIJNSA_6TensorESF_SF_EERKSF_lbbbEUlllE_EE10hipError_tT0_T1_T2_T3_mRjT4_P12ihipStream_tbNS1_7vsmem_tEEUlT_E_NS1_11comp_targetILNS1_3genE9ELNS1_11target_archE1100ELNS1_3gpuE3ELNS1_3repE0EEENS1_30default_config_static_selectorELNS0_4arch9wavefront6targetE1EEEvSM_ ; -- Begin function _ZN7rocprim17ROCPRIM_400000_NS6detail17trampoline_kernelINS0_14default_configENS1_37merge_sort_block_sort_config_selectorIlNS0_10empty_typeEEEZNS1_21merge_sort_block_sortIS3_PlS8_PS5_S9_ZN2at6native12_GLOBAL__N_124unique_dim_cuda_templateItEESt5tupleIJNSA_6TensorESF_SF_EERKSF_lbbbEUlllE_EE10hipError_tT0_T1_T2_T3_mRjT4_P12ihipStream_tbNS1_7vsmem_tEEUlT_E_NS1_11comp_targetILNS1_3genE9ELNS1_11target_archE1100ELNS1_3gpuE3ELNS1_3repE0EEENS1_30default_config_static_selectorELNS0_4arch9wavefront6targetE1EEEvSM_
	.p2align	8
	.type	_ZN7rocprim17ROCPRIM_400000_NS6detail17trampoline_kernelINS0_14default_configENS1_37merge_sort_block_sort_config_selectorIlNS0_10empty_typeEEEZNS1_21merge_sort_block_sortIS3_PlS8_PS5_S9_ZN2at6native12_GLOBAL__N_124unique_dim_cuda_templateItEESt5tupleIJNSA_6TensorESF_SF_EERKSF_lbbbEUlllE_EE10hipError_tT0_T1_T2_T3_mRjT4_P12ihipStream_tbNS1_7vsmem_tEEUlT_E_NS1_11comp_targetILNS1_3genE9ELNS1_11target_archE1100ELNS1_3gpuE3ELNS1_3repE0EEENS1_30default_config_static_selectorELNS0_4arch9wavefront6targetE1EEEvSM_,@function
_ZN7rocprim17ROCPRIM_400000_NS6detail17trampoline_kernelINS0_14default_configENS1_37merge_sort_block_sort_config_selectorIlNS0_10empty_typeEEEZNS1_21merge_sort_block_sortIS3_PlS8_PS5_S9_ZN2at6native12_GLOBAL__N_124unique_dim_cuda_templateItEESt5tupleIJNSA_6TensorESF_SF_EERKSF_lbbbEUlllE_EE10hipError_tT0_T1_T2_T3_mRjT4_P12ihipStream_tbNS1_7vsmem_tEEUlT_E_NS1_11comp_targetILNS1_3genE9ELNS1_11target_archE1100ELNS1_3gpuE3ELNS1_3repE0EEENS1_30default_config_static_selectorELNS0_4arch9wavefront6targetE1EEEvSM_: ; @_ZN7rocprim17ROCPRIM_400000_NS6detail17trampoline_kernelINS0_14default_configENS1_37merge_sort_block_sort_config_selectorIlNS0_10empty_typeEEEZNS1_21merge_sort_block_sortIS3_PlS8_PS5_S9_ZN2at6native12_GLOBAL__N_124unique_dim_cuda_templateItEESt5tupleIJNSA_6TensorESF_SF_EERKSF_lbbbEUlllE_EE10hipError_tT0_T1_T2_T3_mRjT4_P12ihipStream_tbNS1_7vsmem_tEEUlT_E_NS1_11comp_targetILNS1_3genE9ELNS1_11target_archE1100ELNS1_3gpuE3ELNS1_3repE0EEENS1_30default_config_static_selectorELNS0_4arch9wavefront6targetE1EEEvSM_
; %bb.0:
	.section	.rodata,"a",@progbits
	.p2align	6, 0x0
	.amdhsa_kernel _ZN7rocprim17ROCPRIM_400000_NS6detail17trampoline_kernelINS0_14default_configENS1_37merge_sort_block_sort_config_selectorIlNS0_10empty_typeEEEZNS1_21merge_sort_block_sortIS3_PlS8_PS5_S9_ZN2at6native12_GLOBAL__N_124unique_dim_cuda_templateItEESt5tupleIJNSA_6TensorESF_SF_EERKSF_lbbbEUlllE_EE10hipError_tT0_T1_T2_T3_mRjT4_P12ihipStream_tbNS1_7vsmem_tEEUlT_E_NS1_11comp_targetILNS1_3genE9ELNS1_11target_archE1100ELNS1_3gpuE3ELNS1_3repE0EEENS1_30default_config_static_selectorELNS0_4arch9wavefront6targetE1EEEvSM_
		.amdhsa_group_segment_fixed_size 0
		.amdhsa_private_segment_fixed_size 0
		.amdhsa_kernarg_size 72
		.amdhsa_user_sgpr_count 2
		.amdhsa_user_sgpr_dispatch_ptr 0
		.amdhsa_user_sgpr_queue_ptr 0
		.amdhsa_user_sgpr_kernarg_segment_ptr 1
		.amdhsa_user_sgpr_dispatch_id 0
		.amdhsa_user_sgpr_kernarg_preload_length 0
		.amdhsa_user_sgpr_kernarg_preload_offset 0
		.amdhsa_user_sgpr_private_segment_size 0
		.amdhsa_uses_dynamic_stack 0
		.amdhsa_enable_private_segment 0
		.amdhsa_system_sgpr_workgroup_id_x 1
		.amdhsa_system_sgpr_workgroup_id_y 0
		.amdhsa_system_sgpr_workgroup_id_z 0
		.amdhsa_system_sgpr_workgroup_info 0
		.amdhsa_system_vgpr_workitem_id 0
		.amdhsa_next_free_vgpr 1
		.amdhsa_next_free_sgpr 0
		.amdhsa_accum_offset 4
		.amdhsa_reserve_vcc 0
		.amdhsa_float_round_mode_32 0
		.amdhsa_float_round_mode_16_64 0
		.amdhsa_float_denorm_mode_32 3
		.amdhsa_float_denorm_mode_16_64 3
		.amdhsa_dx10_clamp 1
		.amdhsa_ieee_mode 1
		.amdhsa_fp16_overflow 0
		.amdhsa_tg_split 0
		.amdhsa_exception_fp_ieee_invalid_op 0
		.amdhsa_exception_fp_denorm_src 0
		.amdhsa_exception_fp_ieee_div_zero 0
		.amdhsa_exception_fp_ieee_overflow 0
		.amdhsa_exception_fp_ieee_underflow 0
		.amdhsa_exception_fp_ieee_inexact 0
		.amdhsa_exception_int_div_zero 0
	.end_amdhsa_kernel
	.section	.text._ZN7rocprim17ROCPRIM_400000_NS6detail17trampoline_kernelINS0_14default_configENS1_37merge_sort_block_sort_config_selectorIlNS0_10empty_typeEEEZNS1_21merge_sort_block_sortIS3_PlS8_PS5_S9_ZN2at6native12_GLOBAL__N_124unique_dim_cuda_templateItEESt5tupleIJNSA_6TensorESF_SF_EERKSF_lbbbEUlllE_EE10hipError_tT0_T1_T2_T3_mRjT4_P12ihipStream_tbNS1_7vsmem_tEEUlT_E_NS1_11comp_targetILNS1_3genE9ELNS1_11target_archE1100ELNS1_3gpuE3ELNS1_3repE0EEENS1_30default_config_static_selectorELNS0_4arch9wavefront6targetE1EEEvSM_,"axG",@progbits,_ZN7rocprim17ROCPRIM_400000_NS6detail17trampoline_kernelINS0_14default_configENS1_37merge_sort_block_sort_config_selectorIlNS0_10empty_typeEEEZNS1_21merge_sort_block_sortIS3_PlS8_PS5_S9_ZN2at6native12_GLOBAL__N_124unique_dim_cuda_templateItEESt5tupleIJNSA_6TensorESF_SF_EERKSF_lbbbEUlllE_EE10hipError_tT0_T1_T2_T3_mRjT4_P12ihipStream_tbNS1_7vsmem_tEEUlT_E_NS1_11comp_targetILNS1_3genE9ELNS1_11target_archE1100ELNS1_3gpuE3ELNS1_3repE0EEENS1_30default_config_static_selectorELNS0_4arch9wavefront6targetE1EEEvSM_,comdat
.Lfunc_end1368:
	.size	_ZN7rocprim17ROCPRIM_400000_NS6detail17trampoline_kernelINS0_14default_configENS1_37merge_sort_block_sort_config_selectorIlNS0_10empty_typeEEEZNS1_21merge_sort_block_sortIS3_PlS8_PS5_S9_ZN2at6native12_GLOBAL__N_124unique_dim_cuda_templateItEESt5tupleIJNSA_6TensorESF_SF_EERKSF_lbbbEUlllE_EE10hipError_tT0_T1_T2_T3_mRjT4_P12ihipStream_tbNS1_7vsmem_tEEUlT_E_NS1_11comp_targetILNS1_3genE9ELNS1_11target_archE1100ELNS1_3gpuE3ELNS1_3repE0EEENS1_30default_config_static_selectorELNS0_4arch9wavefront6targetE1EEEvSM_, .Lfunc_end1368-_ZN7rocprim17ROCPRIM_400000_NS6detail17trampoline_kernelINS0_14default_configENS1_37merge_sort_block_sort_config_selectorIlNS0_10empty_typeEEEZNS1_21merge_sort_block_sortIS3_PlS8_PS5_S9_ZN2at6native12_GLOBAL__N_124unique_dim_cuda_templateItEESt5tupleIJNSA_6TensorESF_SF_EERKSF_lbbbEUlllE_EE10hipError_tT0_T1_T2_T3_mRjT4_P12ihipStream_tbNS1_7vsmem_tEEUlT_E_NS1_11comp_targetILNS1_3genE9ELNS1_11target_archE1100ELNS1_3gpuE3ELNS1_3repE0EEENS1_30default_config_static_selectorELNS0_4arch9wavefront6targetE1EEEvSM_
                                        ; -- End function
	.set _ZN7rocprim17ROCPRIM_400000_NS6detail17trampoline_kernelINS0_14default_configENS1_37merge_sort_block_sort_config_selectorIlNS0_10empty_typeEEEZNS1_21merge_sort_block_sortIS3_PlS8_PS5_S9_ZN2at6native12_GLOBAL__N_124unique_dim_cuda_templateItEESt5tupleIJNSA_6TensorESF_SF_EERKSF_lbbbEUlllE_EE10hipError_tT0_T1_T2_T3_mRjT4_P12ihipStream_tbNS1_7vsmem_tEEUlT_E_NS1_11comp_targetILNS1_3genE9ELNS1_11target_archE1100ELNS1_3gpuE3ELNS1_3repE0EEENS1_30default_config_static_selectorELNS0_4arch9wavefront6targetE1EEEvSM_.num_vgpr, 0
	.set _ZN7rocprim17ROCPRIM_400000_NS6detail17trampoline_kernelINS0_14default_configENS1_37merge_sort_block_sort_config_selectorIlNS0_10empty_typeEEEZNS1_21merge_sort_block_sortIS3_PlS8_PS5_S9_ZN2at6native12_GLOBAL__N_124unique_dim_cuda_templateItEESt5tupleIJNSA_6TensorESF_SF_EERKSF_lbbbEUlllE_EE10hipError_tT0_T1_T2_T3_mRjT4_P12ihipStream_tbNS1_7vsmem_tEEUlT_E_NS1_11comp_targetILNS1_3genE9ELNS1_11target_archE1100ELNS1_3gpuE3ELNS1_3repE0EEENS1_30default_config_static_selectorELNS0_4arch9wavefront6targetE1EEEvSM_.num_agpr, 0
	.set _ZN7rocprim17ROCPRIM_400000_NS6detail17trampoline_kernelINS0_14default_configENS1_37merge_sort_block_sort_config_selectorIlNS0_10empty_typeEEEZNS1_21merge_sort_block_sortIS3_PlS8_PS5_S9_ZN2at6native12_GLOBAL__N_124unique_dim_cuda_templateItEESt5tupleIJNSA_6TensorESF_SF_EERKSF_lbbbEUlllE_EE10hipError_tT0_T1_T2_T3_mRjT4_P12ihipStream_tbNS1_7vsmem_tEEUlT_E_NS1_11comp_targetILNS1_3genE9ELNS1_11target_archE1100ELNS1_3gpuE3ELNS1_3repE0EEENS1_30default_config_static_selectorELNS0_4arch9wavefront6targetE1EEEvSM_.numbered_sgpr, 0
	.set _ZN7rocprim17ROCPRIM_400000_NS6detail17trampoline_kernelINS0_14default_configENS1_37merge_sort_block_sort_config_selectorIlNS0_10empty_typeEEEZNS1_21merge_sort_block_sortIS3_PlS8_PS5_S9_ZN2at6native12_GLOBAL__N_124unique_dim_cuda_templateItEESt5tupleIJNSA_6TensorESF_SF_EERKSF_lbbbEUlllE_EE10hipError_tT0_T1_T2_T3_mRjT4_P12ihipStream_tbNS1_7vsmem_tEEUlT_E_NS1_11comp_targetILNS1_3genE9ELNS1_11target_archE1100ELNS1_3gpuE3ELNS1_3repE0EEENS1_30default_config_static_selectorELNS0_4arch9wavefront6targetE1EEEvSM_.num_named_barrier, 0
	.set _ZN7rocprim17ROCPRIM_400000_NS6detail17trampoline_kernelINS0_14default_configENS1_37merge_sort_block_sort_config_selectorIlNS0_10empty_typeEEEZNS1_21merge_sort_block_sortIS3_PlS8_PS5_S9_ZN2at6native12_GLOBAL__N_124unique_dim_cuda_templateItEESt5tupleIJNSA_6TensorESF_SF_EERKSF_lbbbEUlllE_EE10hipError_tT0_T1_T2_T3_mRjT4_P12ihipStream_tbNS1_7vsmem_tEEUlT_E_NS1_11comp_targetILNS1_3genE9ELNS1_11target_archE1100ELNS1_3gpuE3ELNS1_3repE0EEENS1_30default_config_static_selectorELNS0_4arch9wavefront6targetE1EEEvSM_.private_seg_size, 0
	.set _ZN7rocprim17ROCPRIM_400000_NS6detail17trampoline_kernelINS0_14default_configENS1_37merge_sort_block_sort_config_selectorIlNS0_10empty_typeEEEZNS1_21merge_sort_block_sortIS3_PlS8_PS5_S9_ZN2at6native12_GLOBAL__N_124unique_dim_cuda_templateItEESt5tupleIJNSA_6TensorESF_SF_EERKSF_lbbbEUlllE_EE10hipError_tT0_T1_T2_T3_mRjT4_P12ihipStream_tbNS1_7vsmem_tEEUlT_E_NS1_11comp_targetILNS1_3genE9ELNS1_11target_archE1100ELNS1_3gpuE3ELNS1_3repE0EEENS1_30default_config_static_selectorELNS0_4arch9wavefront6targetE1EEEvSM_.uses_vcc, 0
	.set _ZN7rocprim17ROCPRIM_400000_NS6detail17trampoline_kernelINS0_14default_configENS1_37merge_sort_block_sort_config_selectorIlNS0_10empty_typeEEEZNS1_21merge_sort_block_sortIS3_PlS8_PS5_S9_ZN2at6native12_GLOBAL__N_124unique_dim_cuda_templateItEESt5tupleIJNSA_6TensorESF_SF_EERKSF_lbbbEUlllE_EE10hipError_tT0_T1_T2_T3_mRjT4_P12ihipStream_tbNS1_7vsmem_tEEUlT_E_NS1_11comp_targetILNS1_3genE9ELNS1_11target_archE1100ELNS1_3gpuE3ELNS1_3repE0EEENS1_30default_config_static_selectorELNS0_4arch9wavefront6targetE1EEEvSM_.uses_flat_scratch, 0
	.set _ZN7rocprim17ROCPRIM_400000_NS6detail17trampoline_kernelINS0_14default_configENS1_37merge_sort_block_sort_config_selectorIlNS0_10empty_typeEEEZNS1_21merge_sort_block_sortIS3_PlS8_PS5_S9_ZN2at6native12_GLOBAL__N_124unique_dim_cuda_templateItEESt5tupleIJNSA_6TensorESF_SF_EERKSF_lbbbEUlllE_EE10hipError_tT0_T1_T2_T3_mRjT4_P12ihipStream_tbNS1_7vsmem_tEEUlT_E_NS1_11comp_targetILNS1_3genE9ELNS1_11target_archE1100ELNS1_3gpuE3ELNS1_3repE0EEENS1_30default_config_static_selectorELNS0_4arch9wavefront6targetE1EEEvSM_.has_dyn_sized_stack, 0
	.set _ZN7rocprim17ROCPRIM_400000_NS6detail17trampoline_kernelINS0_14default_configENS1_37merge_sort_block_sort_config_selectorIlNS0_10empty_typeEEEZNS1_21merge_sort_block_sortIS3_PlS8_PS5_S9_ZN2at6native12_GLOBAL__N_124unique_dim_cuda_templateItEESt5tupleIJNSA_6TensorESF_SF_EERKSF_lbbbEUlllE_EE10hipError_tT0_T1_T2_T3_mRjT4_P12ihipStream_tbNS1_7vsmem_tEEUlT_E_NS1_11comp_targetILNS1_3genE9ELNS1_11target_archE1100ELNS1_3gpuE3ELNS1_3repE0EEENS1_30default_config_static_selectorELNS0_4arch9wavefront6targetE1EEEvSM_.has_recursion, 0
	.set _ZN7rocprim17ROCPRIM_400000_NS6detail17trampoline_kernelINS0_14default_configENS1_37merge_sort_block_sort_config_selectorIlNS0_10empty_typeEEEZNS1_21merge_sort_block_sortIS3_PlS8_PS5_S9_ZN2at6native12_GLOBAL__N_124unique_dim_cuda_templateItEESt5tupleIJNSA_6TensorESF_SF_EERKSF_lbbbEUlllE_EE10hipError_tT0_T1_T2_T3_mRjT4_P12ihipStream_tbNS1_7vsmem_tEEUlT_E_NS1_11comp_targetILNS1_3genE9ELNS1_11target_archE1100ELNS1_3gpuE3ELNS1_3repE0EEENS1_30default_config_static_selectorELNS0_4arch9wavefront6targetE1EEEvSM_.has_indirect_call, 0
	.section	.AMDGPU.csdata,"",@progbits
; Kernel info:
; codeLenInByte = 0
; TotalNumSgprs: 6
; NumVgprs: 0
; NumAgprs: 0
; TotalNumVgprs: 0
; ScratchSize: 0
; MemoryBound: 0
; FloatMode: 240
; IeeeMode: 1
; LDSByteSize: 0 bytes/workgroup (compile time only)
; SGPRBlocks: 0
; VGPRBlocks: 0
; NumSGPRsForWavesPerEU: 6
; NumVGPRsForWavesPerEU: 1
; AccumOffset: 4
; Occupancy: 8
; WaveLimiterHint : 0
; COMPUTE_PGM_RSRC2:SCRATCH_EN: 0
; COMPUTE_PGM_RSRC2:USER_SGPR: 2
; COMPUTE_PGM_RSRC2:TRAP_HANDLER: 0
; COMPUTE_PGM_RSRC2:TGID_X_EN: 1
; COMPUTE_PGM_RSRC2:TGID_Y_EN: 0
; COMPUTE_PGM_RSRC2:TGID_Z_EN: 0
; COMPUTE_PGM_RSRC2:TIDIG_COMP_CNT: 0
; COMPUTE_PGM_RSRC3_GFX90A:ACCUM_OFFSET: 0
; COMPUTE_PGM_RSRC3_GFX90A:TG_SPLIT: 0
	.section	.text._ZN7rocprim17ROCPRIM_400000_NS6detail17trampoline_kernelINS0_14default_configENS1_37merge_sort_block_sort_config_selectorIlNS0_10empty_typeEEEZNS1_21merge_sort_block_sortIS3_PlS8_PS5_S9_ZN2at6native12_GLOBAL__N_124unique_dim_cuda_templateItEESt5tupleIJNSA_6TensorESF_SF_EERKSF_lbbbEUlllE_EE10hipError_tT0_T1_T2_T3_mRjT4_P12ihipStream_tbNS1_7vsmem_tEEUlT_E_NS1_11comp_targetILNS1_3genE8ELNS1_11target_archE1030ELNS1_3gpuE2ELNS1_3repE0EEENS1_30default_config_static_selectorELNS0_4arch9wavefront6targetE1EEEvSM_,"axG",@progbits,_ZN7rocprim17ROCPRIM_400000_NS6detail17trampoline_kernelINS0_14default_configENS1_37merge_sort_block_sort_config_selectorIlNS0_10empty_typeEEEZNS1_21merge_sort_block_sortIS3_PlS8_PS5_S9_ZN2at6native12_GLOBAL__N_124unique_dim_cuda_templateItEESt5tupleIJNSA_6TensorESF_SF_EERKSF_lbbbEUlllE_EE10hipError_tT0_T1_T2_T3_mRjT4_P12ihipStream_tbNS1_7vsmem_tEEUlT_E_NS1_11comp_targetILNS1_3genE8ELNS1_11target_archE1030ELNS1_3gpuE2ELNS1_3repE0EEENS1_30default_config_static_selectorELNS0_4arch9wavefront6targetE1EEEvSM_,comdat
	.globl	_ZN7rocprim17ROCPRIM_400000_NS6detail17trampoline_kernelINS0_14default_configENS1_37merge_sort_block_sort_config_selectorIlNS0_10empty_typeEEEZNS1_21merge_sort_block_sortIS3_PlS8_PS5_S9_ZN2at6native12_GLOBAL__N_124unique_dim_cuda_templateItEESt5tupleIJNSA_6TensorESF_SF_EERKSF_lbbbEUlllE_EE10hipError_tT0_T1_T2_T3_mRjT4_P12ihipStream_tbNS1_7vsmem_tEEUlT_E_NS1_11comp_targetILNS1_3genE8ELNS1_11target_archE1030ELNS1_3gpuE2ELNS1_3repE0EEENS1_30default_config_static_selectorELNS0_4arch9wavefront6targetE1EEEvSM_ ; -- Begin function _ZN7rocprim17ROCPRIM_400000_NS6detail17trampoline_kernelINS0_14default_configENS1_37merge_sort_block_sort_config_selectorIlNS0_10empty_typeEEEZNS1_21merge_sort_block_sortIS3_PlS8_PS5_S9_ZN2at6native12_GLOBAL__N_124unique_dim_cuda_templateItEESt5tupleIJNSA_6TensorESF_SF_EERKSF_lbbbEUlllE_EE10hipError_tT0_T1_T2_T3_mRjT4_P12ihipStream_tbNS1_7vsmem_tEEUlT_E_NS1_11comp_targetILNS1_3genE8ELNS1_11target_archE1030ELNS1_3gpuE2ELNS1_3repE0EEENS1_30default_config_static_selectorELNS0_4arch9wavefront6targetE1EEEvSM_
	.p2align	8
	.type	_ZN7rocprim17ROCPRIM_400000_NS6detail17trampoline_kernelINS0_14default_configENS1_37merge_sort_block_sort_config_selectorIlNS0_10empty_typeEEEZNS1_21merge_sort_block_sortIS3_PlS8_PS5_S9_ZN2at6native12_GLOBAL__N_124unique_dim_cuda_templateItEESt5tupleIJNSA_6TensorESF_SF_EERKSF_lbbbEUlllE_EE10hipError_tT0_T1_T2_T3_mRjT4_P12ihipStream_tbNS1_7vsmem_tEEUlT_E_NS1_11comp_targetILNS1_3genE8ELNS1_11target_archE1030ELNS1_3gpuE2ELNS1_3repE0EEENS1_30default_config_static_selectorELNS0_4arch9wavefront6targetE1EEEvSM_,@function
_ZN7rocprim17ROCPRIM_400000_NS6detail17trampoline_kernelINS0_14default_configENS1_37merge_sort_block_sort_config_selectorIlNS0_10empty_typeEEEZNS1_21merge_sort_block_sortIS3_PlS8_PS5_S9_ZN2at6native12_GLOBAL__N_124unique_dim_cuda_templateItEESt5tupleIJNSA_6TensorESF_SF_EERKSF_lbbbEUlllE_EE10hipError_tT0_T1_T2_T3_mRjT4_P12ihipStream_tbNS1_7vsmem_tEEUlT_E_NS1_11comp_targetILNS1_3genE8ELNS1_11target_archE1030ELNS1_3gpuE2ELNS1_3repE0EEENS1_30default_config_static_selectorELNS0_4arch9wavefront6targetE1EEEvSM_: ; @_ZN7rocprim17ROCPRIM_400000_NS6detail17trampoline_kernelINS0_14default_configENS1_37merge_sort_block_sort_config_selectorIlNS0_10empty_typeEEEZNS1_21merge_sort_block_sortIS3_PlS8_PS5_S9_ZN2at6native12_GLOBAL__N_124unique_dim_cuda_templateItEESt5tupleIJNSA_6TensorESF_SF_EERKSF_lbbbEUlllE_EE10hipError_tT0_T1_T2_T3_mRjT4_P12ihipStream_tbNS1_7vsmem_tEEUlT_E_NS1_11comp_targetILNS1_3genE8ELNS1_11target_archE1030ELNS1_3gpuE2ELNS1_3repE0EEENS1_30default_config_static_selectorELNS0_4arch9wavefront6targetE1EEEvSM_
; %bb.0:
	.section	.rodata,"a",@progbits
	.p2align	6, 0x0
	.amdhsa_kernel _ZN7rocprim17ROCPRIM_400000_NS6detail17trampoline_kernelINS0_14default_configENS1_37merge_sort_block_sort_config_selectorIlNS0_10empty_typeEEEZNS1_21merge_sort_block_sortIS3_PlS8_PS5_S9_ZN2at6native12_GLOBAL__N_124unique_dim_cuda_templateItEESt5tupleIJNSA_6TensorESF_SF_EERKSF_lbbbEUlllE_EE10hipError_tT0_T1_T2_T3_mRjT4_P12ihipStream_tbNS1_7vsmem_tEEUlT_E_NS1_11comp_targetILNS1_3genE8ELNS1_11target_archE1030ELNS1_3gpuE2ELNS1_3repE0EEENS1_30default_config_static_selectorELNS0_4arch9wavefront6targetE1EEEvSM_
		.amdhsa_group_segment_fixed_size 0
		.amdhsa_private_segment_fixed_size 0
		.amdhsa_kernarg_size 72
		.amdhsa_user_sgpr_count 2
		.amdhsa_user_sgpr_dispatch_ptr 0
		.amdhsa_user_sgpr_queue_ptr 0
		.amdhsa_user_sgpr_kernarg_segment_ptr 1
		.amdhsa_user_sgpr_dispatch_id 0
		.amdhsa_user_sgpr_kernarg_preload_length 0
		.amdhsa_user_sgpr_kernarg_preload_offset 0
		.amdhsa_user_sgpr_private_segment_size 0
		.amdhsa_uses_dynamic_stack 0
		.amdhsa_enable_private_segment 0
		.amdhsa_system_sgpr_workgroup_id_x 1
		.amdhsa_system_sgpr_workgroup_id_y 0
		.amdhsa_system_sgpr_workgroup_id_z 0
		.amdhsa_system_sgpr_workgroup_info 0
		.amdhsa_system_vgpr_workitem_id 0
		.amdhsa_next_free_vgpr 1
		.amdhsa_next_free_sgpr 0
		.amdhsa_accum_offset 4
		.amdhsa_reserve_vcc 0
		.amdhsa_float_round_mode_32 0
		.amdhsa_float_round_mode_16_64 0
		.amdhsa_float_denorm_mode_32 3
		.amdhsa_float_denorm_mode_16_64 3
		.amdhsa_dx10_clamp 1
		.amdhsa_ieee_mode 1
		.amdhsa_fp16_overflow 0
		.amdhsa_tg_split 0
		.amdhsa_exception_fp_ieee_invalid_op 0
		.amdhsa_exception_fp_denorm_src 0
		.amdhsa_exception_fp_ieee_div_zero 0
		.amdhsa_exception_fp_ieee_overflow 0
		.amdhsa_exception_fp_ieee_underflow 0
		.amdhsa_exception_fp_ieee_inexact 0
		.amdhsa_exception_int_div_zero 0
	.end_amdhsa_kernel
	.section	.text._ZN7rocprim17ROCPRIM_400000_NS6detail17trampoline_kernelINS0_14default_configENS1_37merge_sort_block_sort_config_selectorIlNS0_10empty_typeEEEZNS1_21merge_sort_block_sortIS3_PlS8_PS5_S9_ZN2at6native12_GLOBAL__N_124unique_dim_cuda_templateItEESt5tupleIJNSA_6TensorESF_SF_EERKSF_lbbbEUlllE_EE10hipError_tT0_T1_T2_T3_mRjT4_P12ihipStream_tbNS1_7vsmem_tEEUlT_E_NS1_11comp_targetILNS1_3genE8ELNS1_11target_archE1030ELNS1_3gpuE2ELNS1_3repE0EEENS1_30default_config_static_selectorELNS0_4arch9wavefront6targetE1EEEvSM_,"axG",@progbits,_ZN7rocprim17ROCPRIM_400000_NS6detail17trampoline_kernelINS0_14default_configENS1_37merge_sort_block_sort_config_selectorIlNS0_10empty_typeEEEZNS1_21merge_sort_block_sortIS3_PlS8_PS5_S9_ZN2at6native12_GLOBAL__N_124unique_dim_cuda_templateItEESt5tupleIJNSA_6TensorESF_SF_EERKSF_lbbbEUlllE_EE10hipError_tT0_T1_T2_T3_mRjT4_P12ihipStream_tbNS1_7vsmem_tEEUlT_E_NS1_11comp_targetILNS1_3genE8ELNS1_11target_archE1030ELNS1_3gpuE2ELNS1_3repE0EEENS1_30default_config_static_selectorELNS0_4arch9wavefront6targetE1EEEvSM_,comdat
.Lfunc_end1369:
	.size	_ZN7rocprim17ROCPRIM_400000_NS6detail17trampoline_kernelINS0_14default_configENS1_37merge_sort_block_sort_config_selectorIlNS0_10empty_typeEEEZNS1_21merge_sort_block_sortIS3_PlS8_PS5_S9_ZN2at6native12_GLOBAL__N_124unique_dim_cuda_templateItEESt5tupleIJNSA_6TensorESF_SF_EERKSF_lbbbEUlllE_EE10hipError_tT0_T1_T2_T3_mRjT4_P12ihipStream_tbNS1_7vsmem_tEEUlT_E_NS1_11comp_targetILNS1_3genE8ELNS1_11target_archE1030ELNS1_3gpuE2ELNS1_3repE0EEENS1_30default_config_static_selectorELNS0_4arch9wavefront6targetE1EEEvSM_, .Lfunc_end1369-_ZN7rocprim17ROCPRIM_400000_NS6detail17trampoline_kernelINS0_14default_configENS1_37merge_sort_block_sort_config_selectorIlNS0_10empty_typeEEEZNS1_21merge_sort_block_sortIS3_PlS8_PS5_S9_ZN2at6native12_GLOBAL__N_124unique_dim_cuda_templateItEESt5tupleIJNSA_6TensorESF_SF_EERKSF_lbbbEUlllE_EE10hipError_tT0_T1_T2_T3_mRjT4_P12ihipStream_tbNS1_7vsmem_tEEUlT_E_NS1_11comp_targetILNS1_3genE8ELNS1_11target_archE1030ELNS1_3gpuE2ELNS1_3repE0EEENS1_30default_config_static_selectorELNS0_4arch9wavefront6targetE1EEEvSM_
                                        ; -- End function
	.set _ZN7rocprim17ROCPRIM_400000_NS6detail17trampoline_kernelINS0_14default_configENS1_37merge_sort_block_sort_config_selectorIlNS0_10empty_typeEEEZNS1_21merge_sort_block_sortIS3_PlS8_PS5_S9_ZN2at6native12_GLOBAL__N_124unique_dim_cuda_templateItEESt5tupleIJNSA_6TensorESF_SF_EERKSF_lbbbEUlllE_EE10hipError_tT0_T1_T2_T3_mRjT4_P12ihipStream_tbNS1_7vsmem_tEEUlT_E_NS1_11comp_targetILNS1_3genE8ELNS1_11target_archE1030ELNS1_3gpuE2ELNS1_3repE0EEENS1_30default_config_static_selectorELNS0_4arch9wavefront6targetE1EEEvSM_.num_vgpr, 0
	.set _ZN7rocprim17ROCPRIM_400000_NS6detail17trampoline_kernelINS0_14default_configENS1_37merge_sort_block_sort_config_selectorIlNS0_10empty_typeEEEZNS1_21merge_sort_block_sortIS3_PlS8_PS5_S9_ZN2at6native12_GLOBAL__N_124unique_dim_cuda_templateItEESt5tupleIJNSA_6TensorESF_SF_EERKSF_lbbbEUlllE_EE10hipError_tT0_T1_T2_T3_mRjT4_P12ihipStream_tbNS1_7vsmem_tEEUlT_E_NS1_11comp_targetILNS1_3genE8ELNS1_11target_archE1030ELNS1_3gpuE2ELNS1_3repE0EEENS1_30default_config_static_selectorELNS0_4arch9wavefront6targetE1EEEvSM_.num_agpr, 0
	.set _ZN7rocprim17ROCPRIM_400000_NS6detail17trampoline_kernelINS0_14default_configENS1_37merge_sort_block_sort_config_selectorIlNS0_10empty_typeEEEZNS1_21merge_sort_block_sortIS3_PlS8_PS5_S9_ZN2at6native12_GLOBAL__N_124unique_dim_cuda_templateItEESt5tupleIJNSA_6TensorESF_SF_EERKSF_lbbbEUlllE_EE10hipError_tT0_T1_T2_T3_mRjT4_P12ihipStream_tbNS1_7vsmem_tEEUlT_E_NS1_11comp_targetILNS1_3genE8ELNS1_11target_archE1030ELNS1_3gpuE2ELNS1_3repE0EEENS1_30default_config_static_selectorELNS0_4arch9wavefront6targetE1EEEvSM_.numbered_sgpr, 0
	.set _ZN7rocprim17ROCPRIM_400000_NS6detail17trampoline_kernelINS0_14default_configENS1_37merge_sort_block_sort_config_selectorIlNS0_10empty_typeEEEZNS1_21merge_sort_block_sortIS3_PlS8_PS5_S9_ZN2at6native12_GLOBAL__N_124unique_dim_cuda_templateItEESt5tupleIJNSA_6TensorESF_SF_EERKSF_lbbbEUlllE_EE10hipError_tT0_T1_T2_T3_mRjT4_P12ihipStream_tbNS1_7vsmem_tEEUlT_E_NS1_11comp_targetILNS1_3genE8ELNS1_11target_archE1030ELNS1_3gpuE2ELNS1_3repE0EEENS1_30default_config_static_selectorELNS0_4arch9wavefront6targetE1EEEvSM_.num_named_barrier, 0
	.set _ZN7rocprim17ROCPRIM_400000_NS6detail17trampoline_kernelINS0_14default_configENS1_37merge_sort_block_sort_config_selectorIlNS0_10empty_typeEEEZNS1_21merge_sort_block_sortIS3_PlS8_PS5_S9_ZN2at6native12_GLOBAL__N_124unique_dim_cuda_templateItEESt5tupleIJNSA_6TensorESF_SF_EERKSF_lbbbEUlllE_EE10hipError_tT0_T1_T2_T3_mRjT4_P12ihipStream_tbNS1_7vsmem_tEEUlT_E_NS1_11comp_targetILNS1_3genE8ELNS1_11target_archE1030ELNS1_3gpuE2ELNS1_3repE0EEENS1_30default_config_static_selectorELNS0_4arch9wavefront6targetE1EEEvSM_.private_seg_size, 0
	.set _ZN7rocprim17ROCPRIM_400000_NS6detail17trampoline_kernelINS0_14default_configENS1_37merge_sort_block_sort_config_selectorIlNS0_10empty_typeEEEZNS1_21merge_sort_block_sortIS3_PlS8_PS5_S9_ZN2at6native12_GLOBAL__N_124unique_dim_cuda_templateItEESt5tupleIJNSA_6TensorESF_SF_EERKSF_lbbbEUlllE_EE10hipError_tT0_T1_T2_T3_mRjT4_P12ihipStream_tbNS1_7vsmem_tEEUlT_E_NS1_11comp_targetILNS1_3genE8ELNS1_11target_archE1030ELNS1_3gpuE2ELNS1_3repE0EEENS1_30default_config_static_selectorELNS0_4arch9wavefront6targetE1EEEvSM_.uses_vcc, 0
	.set _ZN7rocprim17ROCPRIM_400000_NS6detail17trampoline_kernelINS0_14default_configENS1_37merge_sort_block_sort_config_selectorIlNS0_10empty_typeEEEZNS1_21merge_sort_block_sortIS3_PlS8_PS5_S9_ZN2at6native12_GLOBAL__N_124unique_dim_cuda_templateItEESt5tupleIJNSA_6TensorESF_SF_EERKSF_lbbbEUlllE_EE10hipError_tT0_T1_T2_T3_mRjT4_P12ihipStream_tbNS1_7vsmem_tEEUlT_E_NS1_11comp_targetILNS1_3genE8ELNS1_11target_archE1030ELNS1_3gpuE2ELNS1_3repE0EEENS1_30default_config_static_selectorELNS0_4arch9wavefront6targetE1EEEvSM_.uses_flat_scratch, 0
	.set _ZN7rocprim17ROCPRIM_400000_NS6detail17trampoline_kernelINS0_14default_configENS1_37merge_sort_block_sort_config_selectorIlNS0_10empty_typeEEEZNS1_21merge_sort_block_sortIS3_PlS8_PS5_S9_ZN2at6native12_GLOBAL__N_124unique_dim_cuda_templateItEESt5tupleIJNSA_6TensorESF_SF_EERKSF_lbbbEUlllE_EE10hipError_tT0_T1_T2_T3_mRjT4_P12ihipStream_tbNS1_7vsmem_tEEUlT_E_NS1_11comp_targetILNS1_3genE8ELNS1_11target_archE1030ELNS1_3gpuE2ELNS1_3repE0EEENS1_30default_config_static_selectorELNS0_4arch9wavefront6targetE1EEEvSM_.has_dyn_sized_stack, 0
	.set _ZN7rocprim17ROCPRIM_400000_NS6detail17trampoline_kernelINS0_14default_configENS1_37merge_sort_block_sort_config_selectorIlNS0_10empty_typeEEEZNS1_21merge_sort_block_sortIS3_PlS8_PS5_S9_ZN2at6native12_GLOBAL__N_124unique_dim_cuda_templateItEESt5tupleIJNSA_6TensorESF_SF_EERKSF_lbbbEUlllE_EE10hipError_tT0_T1_T2_T3_mRjT4_P12ihipStream_tbNS1_7vsmem_tEEUlT_E_NS1_11comp_targetILNS1_3genE8ELNS1_11target_archE1030ELNS1_3gpuE2ELNS1_3repE0EEENS1_30default_config_static_selectorELNS0_4arch9wavefront6targetE1EEEvSM_.has_recursion, 0
	.set _ZN7rocprim17ROCPRIM_400000_NS6detail17trampoline_kernelINS0_14default_configENS1_37merge_sort_block_sort_config_selectorIlNS0_10empty_typeEEEZNS1_21merge_sort_block_sortIS3_PlS8_PS5_S9_ZN2at6native12_GLOBAL__N_124unique_dim_cuda_templateItEESt5tupleIJNSA_6TensorESF_SF_EERKSF_lbbbEUlllE_EE10hipError_tT0_T1_T2_T3_mRjT4_P12ihipStream_tbNS1_7vsmem_tEEUlT_E_NS1_11comp_targetILNS1_3genE8ELNS1_11target_archE1030ELNS1_3gpuE2ELNS1_3repE0EEENS1_30default_config_static_selectorELNS0_4arch9wavefront6targetE1EEEvSM_.has_indirect_call, 0
	.section	.AMDGPU.csdata,"",@progbits
; Kernel info:
; codeLenInByte = 0
; TotalNumSgprs: 6
; NumVgprs: 0
; NumAgprs: 0
; TotalNumVgprs: 0
; ScratchSize: 0
; MemoryBound: 0
; FloatMode: 240
; IeeeMode: 1
; LDSByteSize: 0 bytes/workgroup (compile time only)
; SGPRBlocks: 0
; VGPRBlocks: 0
; NumSGPRsForWavesPerEU: 6
; NumVGPRsForWavesPerEU: 1
; AccumOffset: 4
; Occupancy: 8
; WaveLimiterHint : 0
; COMPUTE_PGM_RSRC2:SCRATCH_EN: 0
; COMPUTE_PGM_RSRC2:USER_SGPR: 2
; COMPUTE_PGM_RSRC2:TRAP_HANDLER: 0
; COMPUTE_PGM_RSRC2:TGID_X_EN: 1
; COMPUTE_PGM_RSRC2:TGID_Y_EN: 0
; COMPUTE_PGM_RSRC2:TGID_Z_EN: 0
; COMPUTE_PGM_RSRC2:TIDIG_COMP_CNT: 0
; COMPUTE_PGM_RSRC3_GFX90A:ACCUM_OFFSET: 0
; COMPUTE_PGM_RSRC3_GFX90A:TG_SPLIT: 0
	.section	.text._ZN7rocprim17ROCPRIM_400000_NS6detail17trampoline_kernelINS0_14default_configENS1_38merge_sort_block_merge_config_selectorIlNS0_10empty_typeEEEZZNS1_27merge_sort_block_merge_implIS3_PlPS5_mZN2at6native12_GLOBAL__N_124unique_dim_cuda_templateItEESt5tupleIJNSA_6TensorESF_SF_EERKSF_lbbbEUlllE_EE10hipError_tT0_T1_T2_jT3_P12ihipStream_tbPNSt15iterator_traitsISL_E10value_typeEPNSR_ISM_E10value_typeEPSN_NS1_7vsmem_tEENKUlT_SL_SM_SN_E_clIS8_S8_S9_S9_EESK_S10_SL_SM_SN_EUlS10_E_NS1_11comp_targetILNS1_3genE0ELNS1_11target_archE4294967295ELNS1_3gpuE0ELNS1_3repE0EEENS1_48merge_mergepath_partition_config_static_selectorELNS0_4arch9wavefront6targetE1EEEvSM_,"axG",@progbits,_ZN7rocprim17ROCPRIM_400000_NS6detail17trampoline_kernelINS0_14default_configENS1_38merge_sort_block_merge_config_selectorIlNS0_10empty_typeEEEZZNS1_27merge_sort_block_merge_implIS3_PlPS5_mZN2at6native12_GLOBAL__N_124unique_dim_cuda_templateItEESt5tupleIJNSA_6TensorESF_SF_EERKSF_lbbbEUlllE_EE10hipError_tT0_T1_T2_jT3_P12ihipStream_tbPNSt15iterator_traitsISL_E10value_typeEPNSR_ISM_E10value_typeEPSN_NS1_7vsmem_tEENKUlT_SL_SM_SN_E_clIS8_S8_S9_S9_EESK_S10_SL_SM_SN_EUlS10_E_NS1_11comp_targetILNS1_3genE0ELNS1_11target_archE4294967295ELNS1_3gpuE0ELNS1_3repE0EEENS1_48merge_mergepath_partition_config_static_selectorELNS0_4arch9wavefront6targetE1EEEvSM_,comdat
	.globl	_ZN7rocprim17ROCPRIM_400000_NS6detail17trampoline_kernelINS0_14default_configENS1_38merge_sort_block_merge_config_selectorIlNS0_10empty_typeEEEZZNS1_27merge_sort_block_merge_implIS3_PlPS5_mZN2at6native12_GLOBAL__N_124unique_dim_cuda_templateItEESt5tupleIJNSA_6TensorESF_SF_EERKSF_lbbbEUlllE_EE10hipError_tT0_T1_T2_jT3_P12ihipStream_tbPNSt15iterator_traitsISL_E10value_typeEPNSR_ISM_E10value_typeEPSN_NS1_7vsmem_tEENKUlT_SL_SM_SN_E_clIS8_S8_S9_S9_EESK_S10_SL_SM_SN_EUlS10_E_NS1_11comp_targetILNS1_3genE0ELNS1_11target_archE4294967295ELNS1_3gpuE0ELNS1_3repE0EEENS1_48merge_mergepath_partition_config_static_selectorELNS0_4arch9wavefront6targetE1EEEvSM_ ; -- Begin function _ZN7rocprim17ROCPRIM_400000_NS6detail17trampoline_kernelINS0_14default_configENS1_38merge_sort_block_merge_config_selectorIlNS0_10empty_typeEEEZZNS1_27merge_sort_block_merge_implIS3_PlPS5_mZN2at6native12_GLOBAL__N_124unique_dim_cuda_templateItEESt5tupleIJNSA_6TensorESF_SF_EERKSF_lbbbEUlllE_EE10hipError_tT0_T1_T2_jT3_P12ihipStream_tbPNSt15iterator_traitsISL_E10value_typeEPNSR_ISM_E10value_typeEPSN_NS1_7vsmem_tEENKUlT_SL_SM_SN_E_clIS8_S8_S9_S9_EESK_S10_SL_SM_SN_EUlS10_E_NS1_11comp_targetILNS1_3genE0ELNS1_11target_archE4294967295ELNS1_3gpuE0ELNS1_3repE0EEENS1_48merge_mergepath_partition_config_static_selectorELNS0_4arch9wavefront6targetE1EEEvSM_
	.p2align	8
	.type	_ZN7rocprim17ROCPRIM_400000_NS6detail17trampoline_kernelINS0_14default_configENS1_38merge_sort_block_merge_config_selectorIlNS0_10empty_typeEEEZZNS1_27merge_sort_block_merge_implIS3_PlPS5_mZN2at6native12_GLOBAL__N_124unique_dim_cuda_templateItEESt5tupleIJNSA_6TensorESF_SF_EERKSF_lbbbEUlllE_EE10hipError_tT0_T1_T2_jT3_P12ihipStream_tbPNSt15iterator_traitsISL_E10value_typeEPNSR_ISM_E10value_typeEPSN_NS1_7vsmem_tEENKUlT_SL_SM_SN_E_clIS8_S8_S9_S9_EESK_S10_SL_SM_SN_EUlS10_E_NS1_11comp_targetILNS1_3genE0ELNS1_11target_archE4294967295ELNS1_3gpuE0ELNS1_3repE0EEENS1_48merge_mergepath_partition_config_static_selectorELNS0_4arch9wavefront6targetE1EEEvSM_,@function
_ZN7rocprim17ROCPRIM_400000_NS6detail17trampoline_kernelINS0_14default_configENS1_38merge_sort_block_merge_config_selectorIlNS0_10empty_typeEEEZZNS1_27merge_sort_block_merge_implIS3_PlPS5_mZN2at6native12_GLOBAL__N_124unique_dim_cuda_templateItEESt5tupleIJNSA_6TensorESF_SF_EERKSF_lbbbEUlllE_EE10hipError_tT0_T1_T2_jT3_P12ihipStream_tbPNSt15iterator_traitsISL_E10value_typeEPNSR_ISM_E10value_typeEPSN_NS1_7vsmem_tEENKUlT_SL_SM_SN_E_clIS8_S8_S9_S9_EESK_S10_SL_SM_SN_EUlS10_E_NS1_11comp_targetILNS1_3genE0ELNS1_11target_archE4294967295ELNS1_3gpuE0ELNS1_3repE0EEENS1_48merge_mergepath_partition_config_static_selectorELNS0_4arch9wavefront6targetE1EEEvSM_: ; @_ZN7rocprim17ROCPRIM_400000_NS6detail17trampoline_kernelINS0_14default_configENS1_38merge_sort_block_merge_config_selectorIlNS0_10empty_typeEEEZZNS1_27merge_sort_block_merge_implIS3_PlPS5_mZN2at6native12_GLOBAL__N_124unique_dim_cuda_templateItEESt5tupleIJNSA_6TensorESF_SF_EERKSF_lbbbEUlllE_EE10hipError_tT0_T1_T2_jT3_P12ihipStream_tbPNSt15iterator_traitsISL_E10value_typeEPNSR_ISM_E10value_typeEPSN_NS1_7vsmem_tEENKUlT_SL_SM_SN_E_clIS8_S8_S9_S9_EESK_S10_SL_SM_SN_EUlS10_E_NS1_11comp_targetILNS1_3genE0ELNS1_11target_archE4294967295ELNS1_3gpuE0ELNS1_3repE0EEENS1_48merge_mergepath_partition_config_static_selectorELNS0_4arch9wavefront6targetE1EEEvSM_
; %bb.0:
	s_load_dword s3, s[0:1], 0x0
	v_lshl_or_b32 v0, s2, 7, v0
	s_waitcnt lgkmcnt(0)
	v_cmp_gt_u32_e32 vcc, s3, v0
	s_and_saveexec_b64 s[2:3], vcc
	s_cbranch_execz .LBB1370_12
; %bb.1:
	s_load_dwordx4 s[12:15], s[0:1], 0x8
	s_load_dwordx8 s[4:11], s[0:1], 0x18
	v_mov_b32_e32 v5, 0
	v_mov_b32_e32 v7, v5
	s_waitcnt lgkmcnt(0)
	s_lshr_b64 s[0:1], s[12:13], 9
	s_and_b32 s0, s0, -2
	s_add_i32 s1, s0, -1
	s_sub_i32 s0, 0, s0
	v_and_b32_e32 v4, s0, v0
	v_lshlrev_b64 v[8:9], 10, v[4:5]
	v_mov_b32_e32 v1, s15
	v_cmp_lt_u64_e32 vcc, s[14:15], v[8:9]
	v_mov_b32_e32 v4, s14
	v_and_b32_e32 v6, s1, v0
	v_cndmask_b32_e32 v3, v9, v1, vcc
	v_cndmask_b32_e32 v2, v8, v4, vcc
	v_lshl_add_u64 v[8:9], v[8:9], 0, s[12:13]
	v_cmp_lt_u64_e32 vcc, s[14:15], v[8:9]
	s_nop 1
	v_cndmask_b32_e32 v11, v9, v1, vcc
	v_cndmask_b32_e32 v10, v8, v4, vcc
	v_lshl_add_u64 v[8:9], v[10:11], 0, s[12:13]
	v_cmp_lt_u64_e32 vcc, s[14:15], v[8:9]
	s_nop 1
	v_cndmask_b32_e32 v14, v8, v4, vcc
	v_cndmask_b32_e32 v1, v9, v1, vcc
	v_sub_co_u32_e32 v8, vcc, v14, v2
	v_lshlrev_b64 v[4:5], 10, v[6:7]
	s_nop 0
	v_subb_co_u32_e32 v9, vcc, v1, v3, vcc
	v_cmp_lt_u64_e32 vcc, v[8:9], v[4:5]
	s_nop 1
	v_cndmask_b32_e32 v13, v5, v9, vcc
	v_cndmask_b32_e32 v12, v4, v8, vcc
	v_sub_co_u32_e32 v6, vcc, v10, v2
	s_nop 1
	v_subb_co_u32_e32 v7, vcc, v11, v3, vcc
	v_sub_co_u32_e32 v4, vcc, v10, v14
	s_nop 1
	v_subb_co_u32_e32 v5, vcc, v11, v1, vcc
	v_lshl_add_u64 v[4:5], v[12:13], 0, v[4:5]
	v_cmp_gt_u64_e32 vcc, v[4:5], v[12:13]
	s_nop 1
	v_cndmask_b32_e64 v5, v5, 0, vcc
	v_cndmask_b32_e64 v4, v4, 0, vcc
	v_cmp_lt_u64_e32 vcc, v[12:13], v[6:7]
	s_nop 1
	v_cndmask_b32_e32 v7, v7, v13, vcc
	v_cndmask_b32_e32 v6, v6, v12, vcc
	v_cmp_lt_u64_e32 vcc, v[4:5], v[6:7]
	s_and_saveexec_b64 s[12:13], vcc
	s_cbranch_execz .LBB1370_11
; %bb.2:
	v_cmp_gt_i64_e64 s[0:1], s[6:7], 0
	v_lshl_add_u64 v[10:11], v[10:11], 3, s[4:5]
	v_lshl_add_u64 v[8:9], v[2:3], 3, s[4:5]
	v_cndmask_b32_e64 v1, 0, 1, s[0:1]
	v_lshl_add_u64 v[10:11], v[12:13], 3, v[10:11]
	s_mov_b64 s[14:15], 0
	s_lshl_b64 s[16:17], s[6:7], 1
	v_cmp_ne_u32_e64 s[0:1], 1, v1
	s_branch .LBB1370_5
.LBB1370_3:                             ;   in Loop: Header=BB1370_5 Depth=1
	s_or_b64 exec, exec, s[20:21]
.LBB1370_4:                             ;   in Loop: Header=BB1370_5 Depth=1
	v_lshl_add_u64 v[14:15], v[12:13], 0, 1
	v_cndmask_b32_e64 v7, v7, v13, s[18:19]
	v_cndmask_b32_e64 v6, v6, v12, s[18:19]
	;; [unrolled: 1-line block ×4, first 2 shown]
	v_cmp_ge_u64_e32 vcc, v[4:5], v[6:7]
	s_or_b64 s[14:15], vcc, s[14:15]
	s_andn2_b64 exec, exec, s[14:15]
	s_cbranch_execz .LBB1370_10
.LBB1370_5:                             ; =>This Loop Header: Depth=1
                                        ;     Child Loop BB1370_8 Depth 2
	v_lshl_add_u64 v[12:13], v[6:7], 0, v[4:5]
	v_lshrrev_b64 v[12:13], 1, v[12:13]
	s_and_b64 vcc, exec, s[0:1]
	s_mov_b64 s[18:19], 0
	s_cbranch_vccnz .LBB1370_4
; %bb.6:                                ;   in Loop: Header=BB1370_5 Depth=1
	v_not_b32_e32 v15, v13
	v_not_b32_e32 v14, v12
	v_lshl_add_u64 v[14:15], v[14:15], 3, v[10:11]
	v_lshl_add_u64 v[16:17], v[12:13], 3, v[8:9]
	global_load_dwordx2 v[14:15], v[14:15], off
	v_mov_b64_e32 v[18:19], s[8:9]
	global_load_dwordx2 v[16:17], v[16:17], off
	s_mov_b64 s[20:21], 0
	s_mov_b64 s[24:25], s[6:7]
                                        ; implicit-def: $sgpr18_sgpr19
                                        ; implicit-def: $sgpr22_sgpr23
                                        ; implicit-def: $sgpr2_sgpr3
                                        ; implicit-def: $sgpr26_sgpr27
	s_waitcnt vmcnt(1)
	v_mul_lo_u32 v1, s16, v15
	v_mul_lo_u32 v20, s17, v14
	v_mad_u64_u32 v[14:15], s[4:5], s16, v14, v[18:19]
	s_waitcnt vmcnt(0)
	v_mul_lo_u32 v21, s16, v17
	v_mul_lo_u32 v22, s17, v16
	v_mad_u64_u32 v[16:17], s[4:5], s16, v16, v[18:19]
	v_add3_u32 v15, v20, v15, v1
	v_add3_u32 v17, v22, v17, v21
	s_branch .LBB1370_8
.LBB1370_7:                             ;   in Loop: Header=BB1370_8 Depth=2
	s_or_b64 exec, exec, s[30:31]
	s_and_b64 s[4:5], exec, s[22:23]
	s_or_b64 s[20:21], s[4:5], s[20:21]
	s_andn2_b64 s[4:5], s[26:27], exec
	s_and_b64 s[26:27], s[28:29], exec
	s_or_b64 s[26:27], s[4:5], s[26:27]
	s_andn2_b64 s[4:5], s[18:19], exec
	s_and_b64 s[18:19], s[2:3], exec
	s_or_b64 s[18:19], s[4:5], s[18:19]
	s_andn2_b64 exec, exec, s[20:21]
	s_cbranch_execz .LBB1370_3
.LBB1370_8:                             ;   Parent Loop BB1370_5 Depth=1
                                        ; =>  This Inner Loop Header: Depth=2
	global_load_ushort v1, v[14:15], off
	global_load_ushort v18, v[16:17], off
	s_andn2_b64 s[30:31], s[2:3], exec
	s_or_b64 s[22:23], s[22:23], exec
	s_waitcnt vmcnt(0)
	v_cmp_le_u16_e64 s[2:3], v1, v18
	v_cmp_lt_u16_e32 vcc, v1, v18
	s_and_b64 s[2:3], s[2:3], s[26:27]
	s_or_b64 s[28:29], vcc, s[2:3]
	s_and_b64 s[2:3], s[28:29], exec
	v_cmp_eq_u16_e64 s[4:5], v1, v18
	s_or_b64 s[2:3], s[30:31], s[2:3]
	s_and_saveexec_b64 s[30:31], s[4:5]
	s_cbranch_execz .LBB1370_7
; %bb.9:                                ;   in Loop: Header=BB1370_8 Depth=2
	s_add_u32 s24, s24, -1
	s_addc_u32 s25, s25, -1
	s_cmp_eq_u64 s[24:25], 0
	s_cselect_b64 s[4:5], -1, 0
	s_andn2_b64 s[22:23], s[22:23], exec
	s_and_b64 s[4:5], s[4:5], exec
	v_lshl_add_u64 v[14:15], v[14:15], 0, 2
	v_lshl_add_u64 v[16:17], v[16:17], 0, 2
	s_andn2_b64 s[2:3], s[2:3], exec
	s_or_b64 s[22:23], s[22:23], s[4:5]
                                        ; implicit-def: $sgpr26_sgpr27
	s_branch .LBB1370_7
.LBB1370_10:
	s_or_b64 exec, exec, s[14:15]
.LBB1370_11:
	s_or_b64 exec, exec, s[12:13]
	v_mov_b32_e32 v6, s10
	v_mov_b32_e32 v7, s11
	;; [unrolled: 1-line block ×3, first 2 shown]
	v_lshl_add_u64 v[2:3], v[4:5], 0, v[2:3]
	v_lshl_add_u64 v[0:1], v[0:1], 3, v[6:7]
	global_store_dwordx2 v[0:1], v[2:3], off
.LBB1370_12:
	s_endpgm
	.section	.rodata,"a",@progbits
	.p2align	6, 0x0
	.amdhsa_kernel _ZN7rocprim17ROCPRIM_400000_NS6detail17trampoline_kernelINS0_14default_configENS1_38merge_sort_block_merge_config_selectorIlNS0_10empty_typeEEEZZNS1_27merge_sort_block_merge_implIS3_PlPS5_mZN2at6native12_GLOBAL__N_124unique_dim_cuda_templateItEESt5tupleIJNSA_6TensorESF_SF_EERKSF_lbbbEUlllE_EE10hipError_tT0_T1_T2_jT3_P12ihipStream_tbPNSt15iterator_traitsISL_E10value_typeEPNSR_ISM_E10value_typeEPSN_NS1_7vsmem_tEENKUlT_SL_SM_SN_E_clIS8_S8_S9_S9_EESK_S10_SL_SM_SN_EUlS10_E_NS1_11comp_targetILNS1_3genE0ELNS1_11target_archE4294967295ELNS1_3gpuE0ELNS1_3repE0EEENS1_48merge_mergepath_partition_config_static_selectorELNS0_4arch9wavefront6targetE1EEEvSM_
		.amdhsa_group_segment_fixed_size 0
		.amdhsa_private_segment_fixed_size 0
		.amdhsa_kernarg_size 56
		.amdhsa_user_sgpr_count 2
		.amdhsa_user_sgpr_dispatch_ptr 0
		.amdhsa_user_sgpr_queue_ptr 0
		.amdhsa_user_sgpr_kernarg_segment_ptr 1
		.amdhsa_user_sgpr_dispatch_id 0
		.amdhsa_user_sgpr_kernarg_preload_length 0
		.amdhsa_user_sgpr_kernarg_preload_offset 0
		.amdhsa_user_sgpr_private_segment_size 0
		.amdhsa_uses_dynamic_stack 0
		.amdhsa_enable_private_segment 0
		.amdhsa_system_sgpr_workgroup_id_x 1
		.amdhsa_system_sgpr_workgroup_id_y 0
		.amdhsa_system_sgpr_workgroup_id_z 0
		.amdhsa_system_sgpr_workgroup_info 0
		.amdhsa_system_vgpr_workitem_id 0
		.amdhsa_next_free_vgpr 23
		.amdhsa_next_free_sgpr 32
		.amdhsa_accum_offset 24
		.amdhsa_reserve_vcc 1
		.amdhsa_float_round_mode_32 0
		.amdhsa_float_round_mode_16_64 0
		.amdhsa_float_denorm_mode_32 3
		.amdhsa_float_denorm_mode_16_64 3
		.amdhsa_dx10_clamp 1
		.amdhsa_ieee_mode 1
		.amdhsa_fp16_overflow 0
		.amdhsa_tg_split 0
		.amdhsa_exception_fp_ieee_invalid_op 0
		.amdhsa_exception_fp_denorm_src 0
		.amdhsa_exception_fp_ieee_div_zero 0
		.amdhsa_exception_fp_ieee_overflow 0
		.amdhsa_exception_fp_ieee_underflow 0
		.amdhsa_exception_fp_ieee_inexact 0
		.amdhsa_exception_int_div_zero 0
	.end_amdhsa_kernel
	.section	.text._ZN7rocprim17ROCPRIM_400000_NS6detail17trampoline_kernelINS0_14default_configENS1_38merge_sort_block_merge_config_selectorIlNS0_10empty_typeEEEZZNS1_27merge_sort_block_merge_implIS3_PlPS5_mZN2at6native12_GLOBAL__N_124unique_dim_cuda_templateItEESt5tupleIJNSA_6TensorESF_SF_EERKSF_lbbbEUlllE_EE10hipError_tT0_T1_T2_jT3_P12ihipStream_tbPNSt15iterator_traitsISL_E10value_typeEPNSR_ISM_E10value_typeEPSN_NS1_7vsmem_tEENKUlT_SL_SM_SN_E_clIS8_S8_S9_S9_EESK_S10_SL_SM_SN_EUlS10_E_NS1_11comp_targetILNS1_3genE0ELNS1_11target_archE4294967295ELNS1_3gpuE0ELNS1_3repE0EEENS1_48merge_mergepath_partition_config_static_selectorELNS0_4arch9wavefront6targetE1EEEvSM_,"axG",@progbits,_ZN7rocprim17ROCPRIM_400000_NS6detail17trampoline_kernelINS0_14default_configENS1_38merge_sort_block_merge_config_selectorIlNS0_10empty_typeEEEZZNS1_27merge_sort_block_merge_implIS3_PlPS5_mZN2at6native12_GLOBAL__N_124unique_dim_cuda_templateItEESt5tupleIJNSA_6TensorESF_SF_EERKSF_lbbbEUlllE_EE10hipError_tT0_T1_T2_jT3_P12ihipStream_tbPNSt15iterator_traitsISL_E10value_typeEPNSR_ISM_E10value_typeEPSN_NS1_7vsmem_tEENKUlT_SL_SM_SN_E_clIS8_S8_S9_S9_EESK_S10_SL_SM_SN_EUlS10_E_NS1_11comp_targetILNS1_3genE0ELNS1_11target_archE4294967295ELNS1_3gpuE0ELNS1_3repE0EEENS1_48merge_mergepath_partition_config_static_selectorELNS0_4arch9wavefront6targetE1EEEvSM_,comdat
.Lfunc_end1370:
	.size	_ZN7rocprim17ROCPRIM_400000_NS6detail17trampoline_kernelINS0_14default_configENS1_38merge_sort_block_merge_config_selectorIlNS0_10empty_typeEEEZZNS1_27merge_sort_block_merge_implIS3_PlPS5_mZN2at6native12_GLOBAL__N_124unique_dim_cuda_templateItEESt5tupleIJNSA_6TensorESF_SF_EERKSF_lbbbEUlllE_EE10hipError_tT0_T1_T2_jT3_P12ihipStream_tbPNSt15iterator_traitsISL_E10value_typeEPNSR_ISM_E10value_typeEPSN_NS1_7vsmem_tEENKUlT_SL_SM_SN_E_clIS8_S8_S9_S9_EESK_S10_SL_SM_SN_EUlS10_E_NS1_11comp_targetILNS1_3genE0ELNS1_11target_archE4294967295ELNS1_3gpuE0ELNS1_3repE0EEENS1_48merge_mergepath_partition_config_static_selectorELNS0_4arch9wavefront6targetE1EEEvSM_, .Lfunc_end1370-_ZN7rocprim17ROCPRIM_400000_NS6detail17trampoline_kernelINS0_14default_configENS1_38merge_sort_block_merge_config_selectorIlNS0_10empty_typeEEEZZNS1_27merge_sort_block_merge_implIS3_PlPS5_mZN2at6native12_GLOBAL__N_124unique_dim_cuda_templateItEESt5tupleIJNSA_6TensorESF_SF_EERKSF_lbbbEUlllE_EE10hipError_tT0_T1_T2_jT3_P12ihipStream_tbPNSt15iterator_traitsISL_E10value_typeEPNSR_ISM_E10value_typeEPSN_NS1_7vsmem_tEENKUlT_SL_SM_SN_E_clIS8_S8_S9_S9_EESK_S10_SL_SM_SN_EUlS10_E_NS1_11comp_targetILNS1_3genE0ELNS1_11target_archE4294967295ELNS1_3gpuE0ELNS1_3repE0EEENS1_48merge_mergepath_partition_config_static_selectorELNS0_4arch9wavefront6targetE1EEEvSM_
                                        ; -- End function
	.set _ZN7rocprim17ROCPRIM_400000_NS6detail17trampoline_kernelINS0_14default_configENS1_38merge_sort_block_merge_config_selectorIlNS0_10empty_typeEEEZZNS1_27merge_sort_block_merge_implIS3_PlPS5_mZN2at6native12_GLOBAL__N_124unique_dim_cuda_templateItEESt5tupleIJNSA_6TensorESF_SF_EERKSF_lbbbEUlllE_EE10hipError_tT0_T1_T2_jT3_P12ihipStream_tbPNSt15iterator_traitsISL_E10value_typeEPNSR_ISM_E10value_typeEPSN_NS1_7vsmem_tEENKUlT_SL_SM_SN_E_clIS8_S8_S9_S9_EESK_S10_SL_SM_SN_EUlS10_E_NS1_11comp_targetILNS1_3genE0ELNS1_11target_archE4294967295ELNS1_3gpuE0ELNS1_3repE0EEENS1_48merge_mergepath_partition_config_static_selectorELNS0_4arch9wavefront6targetE1EEEvSM_.num_vgpr, 23
	.set _ZN7rocprim17ROCPRIM_400000_NS6detail17trampoline_kernelINS0_14default_configENS1_38merge_sort_block_merge_config_selectorIlNS0_10empty_typeEEEZZNS1_27merge_sort_block_merge_implIS3_PlPS5_mZN2at6native12_GLOBAL__N_124unique_dim_cuda_templateItEESt5tupleIJNSA_6TensorESF_SF_EERKSF_lbbbEUlllE_EE10hipError_tT0_T1_T2_jT3_P12ihipStream_tbPNSt15iterator_traitsISL_E10value_typeEPNSR_ISM_E10value_typeEPSN_NS1_7vsmem_tEENKUlT_SL_SM_SN_E_clIS8_S8_S9_S9_EESK_S10_SL_SM_SN_EUlS10_E_NS1_11comp_targetILNS1_3genE0ELNS1_11target_archE4294967295ELNS1_3gpuE0ELNS1_3repE0EEENS1_48merge_mergepath_partition_config_static_selectorELNS0_4arch9wavefront6targetE1EEEvSM_.num_agpr, 0
	.set _ZN7rocprim17ROCPRIM_400000_NS6detail17trampoline_kernelINS0_14default_configENS1_38merge_sort_block_merge_config_selectorIlNS0_10empty_typeEEEZZNS1_27merge_sort_block_merge_implIS3_PlPS5_mZN2at6native12_GLOBAL__N_124unique_dim_cuda_templateItEESt5tupleIJNSA_6TensorESF_SF_EERKSF_lbbbEUlllE_EE10hipError_tT0_T1_T2_jT3_P12ihipStream_tbPNSt15iterator_traitsISL_E10value_typeEPNSR_ISM_E10value_typeEPSN_NS1_7vsmem_tEENKUlT_SL_SM_SN_E_clIS8_S8_S9_S9_EESK_S10_SL_SM_SN_EUlS10_E_NS1_11comp_targetILNS1_3genE0ELNS1_11target_archE4294967295ELNS1_3gpuE0ELNS1_3repE0EEENS1_48merge_mergepath_partition_config_static_selectorELNS0_4arch9wavefront6targetE1EEEvSM_.numbered_sgpr, 32
	.set _ZN7rocprim17ROCPRIM_400000_NS6detail17trampoline_kernelINS0_14default_configENS1_38merge_sort_block_merge_config_selectorIlNS0_10empty_typeEEEZZNS1_27merge_sort_block_merge_implIS3_PlPS5_mZN2at6native12_GLOBAL__N_124unique_dim_cuda_templateItEESt5tupleIJNSA_6TensorESF_SF_EERKSF_lbbbEUlllE_EE10hipError_tT0_T1_T2_jT3_P12ihipStream_tbPNSt15iterator_traitsISL_E10value_typeEPNSR_ISM_E10value_typeEPSN_NS1_7vsmem_tEENKUlT_SL_SM_SN_E_clIS8_S8_S9_S9_EESK_S10_SL_SM_SN_EUlS10_E_NS1_11comp_targetILNS1_3genE0ELNS1_11target_archE4294967295ELNS1_3gpuE0ELNS1_3repE0EEENS1_48merge_mergepath_partition_config_static_selectorELNS0_4arch9wavefront6targetE1EEEvSM_.num_named_barrier, 0
	.set _ZN7rocprim17ROCPRIM_400000_NS6detail17trampoline_kernelINS0_14default_configENS1_38merge_sort_block_merge_config_selectorIlNS0_10empty_typeEEEZZNS1_27merge_sort_block_merge_implIS3_PlPS5_mZN2at6native12_GLOBAL__N_124unique_dim_cuda_templateItEESt5tupleIJNSA_6TensorESF_SF_EERKSF_lbbbEUlllE_EE10hipError_tT0_T1_T2_jT3_P12ihipStream_tbPNSt15iterator_traitsISL_E10value_typeEPNSR_ISM_E10value_typeEPSN_NS1_7vsmem_tEENKUlT_SL_SM_SN_E_clIS8_S8_S9_S9_EESK_S10_SL_SM_SN_EUlS10_E_NS1_11comp_targetILNS1_3genE0ELNS1_11target_archE4294967295ELNS1_3gpuE0ELNS1_3repE0EEENS1_48merge_mergepath_partition_config_static_selectorELNS0_4arch9wavefront6targetE1EEEvSM_.private_seg_size, 0
	.set _ZN7rocprim17ROCPRIM_400000_NS6detail17trampoline_kernelINS0_14default_configENS1_38merge_sort_block_merge_config_selectorIlNS0_10empty_typeEEEZZNS1_27merge_sort_block_merge_implIS3_PlPS5_mZN2at6native12_GLOBAL__N_124unique_dim_cuda_templateItEESt5tupleIJNSA_6TensorESF_SF_EERKSF_lbbbEUlllE_EE10hipError_tT0_T1_T2_jT3_P12ihipStream_tbPNSt15iterator_traitsISL_E10value_typeEPNSR_ISM_E10value_typeEPSN_NS1_7vsmem_tEENKUlT_SL_SM_SN_E_clIS8_S8_S9_S9_EESK_S10_SL_SM_SN_EUlS10_E_NS1_11comp_targetILNS1_3genE0ELNS1_11target_archE4294967295ELNS1_3gpuE0ELNS1_3repE0EEENS1_48merge_mergepath_partition_config_static_selectorELNS0_4arch9wavefront6targetE1EEEvSM_.uses_vcc, 1
	.set _ZN7rocprim17ROCPRIM_400000_NS6detail17trampoline_kernelINS0_14default_configENS1_38merge_sort_block_merge_config_selectorIlNS0_10empty_typeEEEZZNS1_27merge_sort_block_merge_implIS3_PlPS5_mZN2at6native12_GLOBAL__N_124unique_dim_cuda_templateItEESt5tupleIJNSA_6TensorESF_SF_EERKSF_lbbbEUlllE_EE10hipError_tT0_T1_T2_jT3_P12ihipStream_tbPNSt15iterator_traitsISL_E10value_typeEPNSR_ISM_E10value_typeEPSN_NS1_7vsmem_tEENKUlT_SL_SM_SN_E_clIS8_S8_S9_S9_EESK_S10_SL_SM_SN_EUlS10_E_NS1_11comp_targetILNS1_3genE0ELNS1_11target_archE4294967295ELNS1_3gpuE0ELNS1_3repE0EEENS1_48merge_mergepath_partition_config_static_selectorELNS0_4arch9wavefront6targetE1EEEvSM_.uses_flat_scratch, 0
	.set _ZN7rocprim17ROCPRIM_400000_NS6detail17trampoline_kernelINS0_14default_configENS1_38merge_sort_block_merge_config_selectorIlNS0_10empty_typeEEEZZNS1_27merge_sort_block_merge_implIS3_PlPS5_mZN2at6native12_GLOBAL__N_124unique_dim_cuda_templateItEESt5tupleIJNSA_6TensorESF_SF_EERKSF_lbbbEUlllE_EE10hipError_tT0_T1_T2_jT3_P12ihipStream_tbPNSt15iterator_traitsISL_E10value_typeEPNSR_ISM_E10value_typeEPSN_NS1_7vsmem_tEENKUlT_SL_SM_SN_E_clIS8_S8_S9_S9_EESK_S10_SL_SM_SN_EUlS10_E_NS1_11comp_targetILNS1_3genE0ELNS1_11target_archE4294967295ELNS1_3gpuE0ELNS1_3repE0EEENS1_48merge_mergepath_partition_config_static_selectorELNS0_4arch9wavefront6targetE1EEEvSM_.has_dyn_sized_stack, 0
	.set _ZN7rocprim17ROCPRIM_400000_NS6detail17trampoline_kernelINS0_14default_configENS1_38merge_sort_block_merge_config_selectorIlNS0_10empty_typeEEEZZNS1_27merge_sort_block_merge_implIS3_PlPS5_mZN2at6native12_GLOBAL__N_124unique_dim_cuda_templateItEESt5tupleIJNSA_6TensorESF_SF_EERKSF_lbbbEUlllE_EE10hipError_tT0_T1_T2_jT3_P12ihipStream_tbPNSt15iterator_traitsISL_E10value_typeEPNSR_ISM_E10value_typeEPSN_NS1_7vsmem_tEENKUlT_SL_SM_SN_E_clIS8_S8_S9_S9_EESK_S10_SL_SM_SN_EUlS10_E_NS1_11comp_targetILNS1_3genE0ELNS1_11target_archE4294967295ELNS1_3gpuE0ELNS1_3repE0EEENS1_48merge_mergepath_partition_config_static_selectorELNS0_4arch9wavefront6targetE1EEEvSM_.has_recursion, 0
	.set _ZN7rocprim17ROCPRIM_400000_NS6detail17trampoline_kernelINS0_14default_configENS1_38merge_sort_block_merge_config_selectorIlNS0_10empty_typeEEEZZNS1_27merge_sort_block_merge_implIS3_PlPS5_mZN2at6native12_GLOBAL__N_124unique_dim_cuda_templateItEESt5tupleIJNSA_6TensorESF_SF_EERKSF_lbbbEUlllE_EE10hipError_tT0_T1_T2_jT3_P12ihipStream_tbPNSt15iterator_traitsISL_E10value_typeEPNSR_ISM_E10value_typeEPSN_NS1_7vsmem_tEENKUlT_SL_SM_SN_E_clIS8_S8_S9_S9_EESK_S10_SL_SM_SN_EUlS10_E_NS1_11comp_targetILNS1_3genE0ELNS1_11target_archE4294967295ELNS1_3gpuE0ELNS1_3repE0EEENS1_48merge_mergepath_partition_config_static_selectorELNS0_4arch9wavefront6targetE1EEEvSM_.has_indirect_call, 0
	.section	.AMDGPU.csdata,"",@progbits
; Kernel info:
; codeLenInByte = 772
; TotalNumSgprs: 38
; NumVgprs: 23
; NumAgprs: 0
; TotalNumVgprs: 23
; ScratchSize: 0
; MemoryBound: 0
; FloatMode: 240
; IeeeMode: 1
; LDSByteSize: 0 bytes/workgroup (compile time only)
; SGPRBlocks: 4
; VGPRBlocks: 2
; NumSGPRsForWavesPerEU: 38
; NumVGPRsForWavesPerEU: 23
; AccumOffset: 24
; Occupancy: 8
; WaveLimiterHint : 0
; COMPUTE_PGM_RSRC2:SCRATCH_EN: 0
; COMPUTE_PGM_RSRC2:USER_SGPR: 2
; COMPUTE_PGM_RSRC2:TRAP_HANDLER: 0
; COMPUTE_PGM_RSRC2:TGID_X_EN: 1
; COMPUTE_PGM_RSRC2:TGID_Y_EN: 0
; COMPUTE_PGM_RSRC2:TGID_Z_EN: 0
; COMPUTE_PGM_RSRC2:TIDIG_COMP_CNT: 0
; COMPUTE_PGM_RSRC3_GFX90A:ACCUM_OFFSET: 5
; COMPUTE_PGM_RSRC3_GFX90A:TG_SPLIT: 0
	.section	.text._ZN7rocprim17ROCPRIM_400000_NS6detail17trampoline_kernelINS0_14default_configENS1_38merge_sort_block_merge_config_selectorIlNS0_10empty_typeEEEZZNS1_27merge_sort_block_merge_implIS3_PlPS5_mZN2at6native12_GLOBAL__N_124unique_dim_cuda_templateItEESt5tupleIJNSA_6TensorESF_SF_EERKSF_lbbbEUlllE_EE10hipError_tT0_T1_T2_jT3_P12ihipStream_tbPNSt15iterator_traitsISL_E10value_typeEPNSR_ISM_E10value_typeEPSN_NS1_7vsmem_tEENKUlT_SL_SM_SN_E_clIS8_S8_S9_S9_EESK_S10_SL_SM_SN_EUlS10_E_NS1_11comp_targetILNS1_3genE10ELNS1_11target_archE1201ELNS1_3gpuE5ELNS1_3repE0EEENS1_48merge_mergepath_partition_config_static_selectorELNS0_4arch9wavefront6targetE1EEEvSM_,"axG",@progbits,_ZN7rocprim17ROCPRIM_400000_NS6detail17trampoline_kernelINS0_14default_configENS1_38merge_sort_block_merge_config_selectorIlNS0_10empty_typeEEEZZNS1_27merge_sort_block_merge_implIS3_PlPS5_mZN2at6native12_GLOBAL__N_124unique_dim_cuda_templateItEESt5tupleIJNSA_6TensorESF_SF_EERKSF_lbbbEUlllE_EE10hipError_tT0_T1_T2_jT3_P12ihipStream_tbPNSt15iterator_traitsISL_E10value_typeEPNSR_ISM_E10value_typeEPSN_NS1_7vsmem_tEENKUlT_SL_SM_SN_E_clIS8_S8_S9_S9_EESK_S10_SL_SM_SN_EUlS10_E_NS1_11comp_targetILNS1_3genE10ELNS1_11target_archE1201ELNS1_3gpuE5ELNS1_3repE0EEENS1_48merge_mergepath_partition_config_static_selectorELNS0_4arch9wavefront6targetE1EEEvSM_,comdat
	.globl	_ZN7rocprim17ROCPRIM_400000_NS6detail17trampoline_kernelINS0_14default_configENS1_38merge_sort_block_merge_config_selectorIlNS0_10empty_typeEEEZZNS1_27merge_sort_block_merge_implIS3_PlPS5_mZN2at6native12_GLOBAL__N_124unique_dim_cuda_templateItEESt5tupleIJNSA_6TensorESF_SF_EERKSF_lbbbEUlllE_EE10hipError_tT0_T1_T2_jT3_P12ihipStream_tbPNSt15iterator_traitsISL_E10value_typeEPNSR_ISM_E10value_typeEPSN_NS1_7vsmem_tEENKUlT_SL_SM_SN_E_clIS8_S8_S9_S9_EESK_S10_SL_SM_SN_EUlS10_E_NS1_11comp_targetILNS1_3genE10ELNS1_11target_archE1201ELNS1_3gpuE5ELNS1_3repE0EEENS1_48merge_mergepath_partition_config_static_selectorELNS0_4arch9wavefront6targetE1EEEvSM_ ; -- Begin function _ZN7rocprim17ROCPRIM_400000_NS6detail17trampoline_kernelINS0_14default_configENS1_38merge_sort_block_merge_config_selectorIlNS0_10empty_typeEEEZZNS1_27merge_sort_block_merge_implIS3_PlPS5_mZN2at6native12_GLOBAL__N_124unique_dim_cuda_templateItEESt5tupleIJNSA_6TensorESF_SF_EERKSF_lbbbEUlllE_EE10hipError_tT0_T1_T2_jT3_P12ihipStream_tbPNSt15iterator_traitsISL_E10value_typeEPNSR_ISM_E10value_typeEPSN_NS1_7vsmem_tEENKUlT_SL_SM_SN_E_clIS8_S8_S9_S9_EESK_S10_SL_SM_SN_EUlS10_E_NS1_11comp_targetILNS1_3genE10ELNS1_11target_archE1201ELNS1_3gpuE5ELNS1_3repE0EEENS1_48merge_mergepath_partition_config_static_selectorELNS0_4arch9wavefront6targetE1EEEvSM_
	.p2align	8
	.type	_ZN7rocprim17ROCPRIM_400000_NS6detail17trampoline_kernelINS0_14default_configENS1_38merge_sort_block_merge_config_selectorIlNS0_10empty_typeEEEZZNS1_27merge_sort_block_merge_implIS3_PlPS5_mZN2at6native12_GLOBAL__N_124unique_dim_cuda_templateItEESt5tupleIJNSA_6TensorESF_SF_EERKSF_lbbbEUlllE_EE10hipError_tT0_T1_T2_jT3_P12ihipStream_tbPNSt15iterator_traitsISL_E10value_typeEPNSR_ISM_E10value_typeEPSN_NS1_7vsmem_tEENKUlT_SL_SM_SN_E_clIS8_S8_S9_S9_EESK_S10_SL_SM_SN_EUlS10_E_NS1_11comp_targetILNS1_3genE10ELNS1_11target_archE1201ELNS1_3gpuE5ELNS1_3repE0EEENS1_48merge_mergepath_partition_config_static_selectorELNS0_4arch9wavefront6targetE1EEEvSM_,@function
_ZN7rocprim17ROCPRIM_400000_NS6detail17trampoline_kernelINS0_14default_configENS1_38merge_sort_block_merge_config_selectorIlNS0_10empty_typeEEEZZNS1_27merge_sort_block_merge_implIS3_PlPS5_mZN2at6native12_GLOBAL__N_124unique_dim_cuda_templateItEESt5tupleIJNSA_6TensorESF_SF_EERKSF_lbbbEUlllE_EE10hipError_tT0_T1_T2_jT3_P12ihipStream_tbPNSt15iterator_traitsISL_E10value_typeEPNSR_ISM_E10value_typeEPSN_NS1_7vsmem_tEENKUlT_SL_SM_SN_E_clIS8_S8_S9_S9_EESK_S10_SL_SM_SN_EUlS10_E_NS1_11comp_targetILNS1_3genE10ELNS1_11target_archE1201ELNS1_3gpuE5ELNS1_3repE0EEENS1_48merge_mergepath_partition_config_static_selectorELNS0_4arch9wavefront6targetE1EEEvSM_: ; @_ZN7rocprim17ROCPRIM_400000_NS6detail17trampoline_kernelINS0_14default_configENS1_38merge_sort_block_merge_config_selectorIlNS0_10empty_typeEEEZZNS1_27merge_sort_block_merge_implIS3_PlPS5_mZN2at6native12_GLOBAL__N_124unique_dim_cuda_templateItEESt5tupleIJNSA_6TensorESF_SF_EERKSF_lbbbEUlllE_EE10hipError_tT0_T1_T2_jT3_P12ihipStream_tbPNSt15iterator_traitsISL_E10value_typeEPNSR_ISM_E10value_typeEPSN_NS1_7vsmem_tEENKUlT_SL_SM_SN_E_clIS8_S8_S9_S9_EESK_S10_SL_SM_SN_EUlS10_E_NS1_11comp_targetILNS1_3genE10ELNS1_11target_archE1201ELNS1_3gpuE5ELNS1_3repE0EEENS1_48merge_mergepath_partition_config_static_selectorELNS0_4arch9wavefront6targetE1EEEvSM_
; %bb.0:
	.section	.rodata,"a",@progbits
	.p2align	6, 0x0
	.amdhsa_kernel _ZN7rocprim17ROCPRIM_400000_NS6detail17trampoline_kernelINS0_14default_configENS1_38merge_sort_block_merge_config_selectorIlNS0_10empty_typeEEEZZNS1_27merge_sort_block_merge_implIS3_PlPS5_mZN2at6native12_GLOBAL__N_124unique_dim_cuda_templateItEESt5tupleIJNSA_6TensorESF_SF_EERKSF_lbbbEUlllE_EE10hipError_tT0_T1_T2_jT3_P12ihipStream_tbPNSt15iterator_traitsISL_E10value_typeEPNSR_ISM_E10value_typeEPSN_NS1_7vsmem_tEENKUlT_SL_SM_SN_E_clIS8_S8_S9_S9_EESK_S10_SL_SM_SN_EUlS10_E_NS1_11comp_targetILNS1_3genE10ELNS1_11target_archE1201ELNS1_3gpuE5ELNS1_3repE0EEENS1_48merge_mergepath_partition_config_static_selectorELNS0_4arch9wavefront6targetE1EEEvSM_
		.amdhsa_group_segment_fixed_size 0
		.amdhsa_private_segment_fixed_size 0
		.amdhsa_kernarg_size 56
		.amdhsa_user_sgpr_count 2
		.amdhsa_user_sgpr_dispatch_ptr 0
		.amdhsa_user_sgpr_queue_ptr 0
		.amdhsa_user_sgpr_kernarg_segment_ptr 1
		.amdhsa_user_sgpr_dispatch_id 0
		.amdhsa_user_sgpr_kernarg_preload_length 0
		.amdhsa_user_sgpr_kernarg_preload_offset 0
		.amdhsa_user_sgpr_private_segment_size 0
		.amdhsa_uses_dynamic_stack 0
		.amdhsa_enable_private_segment 0
		.amdhsa_system_sgpr_workgroup_id_x 1
		.amdhsa_system_sgpr_workgroup_id_y 0
		.amdhsa_system_sgpr_workgroup_id_z 0
		.amdhsa_system_sgpr_workgroup_info 0
		.amdhsa_system_vgpr_workitem_id 0
		.amdhsa_next_free_vgpr 1
		.amdhsa_next_free_sgpr 0
		.amdhsa_accum_offset 4
		.amdhsa_reserve_vcc 0
		.amdhsa_float_round_mode_32 0
		.amdhsa_float_round_mode_16_64 0
		.amdhsa_float_denorm_mode_32 3
		.amdhsa_float_denorm_mode_16_64 3
		.amdhsa_dx10_clamp 1
		.amdhsa_ieee_mode 1
		.amdhsa_fp16_overflow 0
		.amdhsa_tg_split 0
		.amdhsa_exception_fp_ieee_invalid_op 0
		.amdhsa_exception_fp_denorm_src 0
		.amdhsa_exception_fp_ieee_div_zero 0
		.amdhsa_exception_fp_ieee_overflow 0
		.amdhsa_exception_fp_ieee_underflow 0
		.amdhsa_exception_fp_ieee_inexact 0
		.amdhsa_exception_int_div_zero 0
	.end_amdhsa_kernel
	.section	.text._ZN7rocprim17ROCPRIM_400000_NS6detail17trampoline_kernelINS0_14default_configENS1_38merge_sort_block_merge_config_selectorIlNS0_10empty_typeEEEZZNS1_27merge_sort_block_merge_implIS3_PlPS5_mZN2at6native12_GLOBAL__N_124unique_dim_cuda_templateItEESt5tupleIJNSA_6TensorESF_SF_EERKSF_lbbbEUlllE_EE10hipError_tT0_T1_T2_jT3_P12ihipStream_tbPNSt15iterator_traitsISL_E10value_typeEPNSR_ISM_E10value_typeEPSN_NS1_7vsmem_tEENKUlT_SL_SM_SN_E_clIS8_S8_S9_S9_EESK_S10_SL_SM_SN_EUlS10_E_NS1_11comp_targetILNS1_3genE10ELNS1_11target_archE1201ELNS1_3gpuE5ELNS1_3repE0EEENS1_48merge_mergepath_partition_config_static_selectorELNS0_4arch9wavefront6targetE1EEEvSM_,"axG",@progbits,_ZN7rocprim17ROCPRIM_400000_NS6detail17trampoline_kernelINS0_14default_configENS1_38merge_sort_block_merge_config_selectorIlNS0_10empty_typeEEEZZNS1_27merge_sort_block_merge_implIS3_PlPS5_mZN2at6native12_GLOBAL__N_124unique_dim_cuda_templateItEESt5tupleIJNSA_6TensorESF_SF_EERKSF_lbbbEUlllE_EE10hipError_tT0_T1_T2_jT3_P12ihipStream_tbPNSt15iterator_traitsISL_E10value_typeEPNSR_ISM_E10value_typeEPSN_NS1_7vsmem_tEENKUlT_SL_SM_SN_E_clIS8_S8_S9_S9_EESK_S10_SL_SM_SN_EUlS10_E_NS1_11comp_targetILNS1_3genE10ELNS1_11target_archE1201ELNS1_3gpuE5ELNS1_3repE0EEENS1_48merge_mergepath_partition_config_static_selectorELNS0_4arch9wavefront6targetE1EEEvSM_,comdat
.Lfunc_end1371:
	.size	_ZN7rocprim17ROCPRIM_400000_NS6detail17trampoline_kernelINS0_14default_configENS1_38merge_sort_block_merge_config_selectorIlNS0_10empty_typeEEEZZNS1_27merge_sort_block_merge_implIS3_PlPS5_mZN2at6native12_GLOBAL__N_124unique_dim_cuda_templateItEESt5tupleIJNSA_6TensorESF_SF_EERKSF_lbbbEUlllE_EE10hipError_tT0_T1_T2_jT3_P12ihipStream_tbPNSt15iterator_traitsISL_E10value_typeEPNSR_ISM_E10value_typeEPSN_NS1_7vsmem_tEENKUlT_SL_SM_SN_E_clIS8_S8_S9_S9_EESK_S10_SL_SM_SN_EUlS10_E_NS1_11comp_targetILNS1_3genE10ELNS1_11target_archE1201ELNS1_3gpuE5ELNS1_3repE0EEENS1_48merge_mergepath_partition_config_static_selectorELNS0_4arch9wavefront6targetE1EEEvSM_, .Lfunc_end1371-_ZN7rocprim17ROCPRIM_400000_NS6detail17trampoline_kernelINS0_14default_configENS1_38merge_sort_block_merge_config_selectorIlNS0_10empty_typeEEEZZNS1_27merge_sort_block_merge_implIS3_PlPS5_mZN2at6native12_GLOBAL__N_124unique_dim_cuda_templateItEESt5tupleIJNSA_6TensorESF_SF_EERKSF_lbbbEUlllE_EE10hipError_tT0_T1_T2_jT3_P12ihipStream_tbPNSt15iterator_traitsISL_E10value_typeEPNSR_ISM_E10value_typeEPSN_NS1_7vsmem_tEENKUlT_SL_SM_SN_E_clIS8_S8_S9_S9_EESK_S10_SL_SM_SN_EUlS10_E_NS1_11comp_targetILNS1_3genE10ELNS1_11target_archE1201ELNS1_3gpuE5ELNS1_3repE0EEENS1_48merge_mergepath_partition_config_static_selectorELNS0_4arch9wavefront6targetE1EEEvSM_
                                        ; -- End function
	.set _ZN7rocprim17ROCPRIM_400000_NS6detail17trampoline_kernelINS0_14default_configENS1_38merge_sort_block_merge_config_selectorIlNS0_10empty_typeEEEZZNS1_27merge_sort_block_merge_implIS3_PlPS5_mZN2at6native12_GLOBAL__N_124unique_dim_cuda_templateItEESt5tupleIJNSA_6TensorESF_SF_EERKSF_lbbbEUlllE_EE10hipError_tT0_T1_T2_jT3_P12ihipStream_tbPNSt15iterator_traitsISL_E10value_typeEPNSR_ISM_E10value_typeEPSN_NS1_7vsmem_tEENKUlT_SL_SM_SN_E_clIS8_S8_S9_S9_EESK_S10_SL_SM_SN_EUlS10_E_NS1_11comp_targetILNS1_3genE10ELNS1_11target_archE1201ELNS1_3gpuE5ELNS1_3repE0EEENS1_48merge_mergepath_partition_config_static_selectorELNS0_4arch9wavefront6targetE1EEEvSM_.num_vgpr, 0
	.set _ZN7rocprim17ROCPRIM_400000_NS6detail17trampoline_kernelINS0_14default_configENS1_38merge_sort_block_merge_config_selectorIlNS0_10empty_typeEEEZZNS1_27merge_sort_block_merge_implIS3_PlPS5_mZN2at6native12_GLOBAL__N_124unique_dim_cuda_templateItEESt5tupleIJNSA_6TensorESF_SF_EERKSF_lbbbEUlllE_EE10hipError_tT0_T1_T2_jT3_P12ihipStream_tbPNSt15iterator_traitsISL_E10value_typeEPNSR_ISM_E10value_typeEPSN_NS1_7vsmem_tEENKUlT_SL_SM_SN_E_clIS8_S8_S9_S9_EESK_S10_SL_SM_SN_EUlS10_E_NS1_11comp_targetILNS1_3genE10ELNS1_11target_archE1201ELNS1_3gpuE5ELNS1_3repE0EEENS1_48merge_mergepath_partition_config_static_selectorELNS0_4arch9wavefront6targetE1EEEvSM_.num_agpr, 0
	.set _ZN7rocprim17ROCPRIM_400000_NS6detail17trampoline_kernelINS0_14default_configENS1_38merge_sort_block_merge_config_selectorIlNS0_10empty_typeEEEZZNS1_27merge_sort_block_merge_implIS3_PlPS5_mZN2at6native12_GLOBAL__N_124unique_dim_cuda_templateItEESt5tupleIJNSA_6TensorESF_SF_EERKSF_lbbbEUlllE_EE10hipError_tT0_T1_T2_jT3_P12ihipStream_tbPNSt15iterator_traitsISL_E10value_typeEPNSR_ISM_E10value_typeEPSN_NS1_7vsmem_tEENKUlT_SL_SM_SN_E_clIS8_S8_S9_S9_EESK_S10_SL_SM_SN_EUlS10_E_NS1_11comp_targetILNS1_3genE10ELNS1_11target_archE1201ELNS1_3gpuE5ELNS1_3repE0EEENS1_48merge_mergepath_partition_config_static_selectorELNS0_4arch9wavefront6targetE1EEEvSM_.numbered_sgpr, 0
	.set _ZN7rocprim17ROCPRIM_400000_NS6detail17trampoline_kernelINS0_14default_configENS1_38merge_sort_block_merge_config_selectorIlNS0_10empty_typeEEEZZNS1_27merge_sort_block_merge_implIS3_PlPS5_mZN2at6native12_GLOBAL__N_124unique_dim_cuda_templateItEESt5tupleIJNSA_6TensorESF_SF_EERKSF_lbbbEUlllE_EE10hipError_tT0_T1_T2_jT3_P12ihipStream_tbPNSt15iterator_traitsISL_E10value_typeEPNSR_ISM_E10value_typeEPSN_NS1_7vsmem_tEENKUlT_SL_SM_SN_E_clIS8_S8_S9_S9_EESK_S10_SL_SM_SN_EUlS10_E_NS1_11comp_targetILNS1_3genE10ELNS1_11target_archE1201ELNS1_3gpuE5ELNS1_3repE0EEENS1_48merge_mergepath_partition_config_static_selectorELNS0_4arch9wavefront6targetE1EEEvSM_.num_named_barrier, 0
	.set _ZN7rocprim17ROCPRIM_400000_NS6detail17trampoline_kernelINS0_14default_configENS1_38merge_sort_block_merge_config_selectorIlNS0_10empty_typeEEEZZNS1_27merge_sort_block_merge_implIS3_PlPS5_mZN2at6native12_GLOBAL__N_124unique_dim_cuda_templateItEESt5tupleIJNSA_6TensorESF_SF_EERKSF_lbbbEUlllE_EE10hipError_tT0_T1_T2_jT3_P12ihipStream_tbPNSt15iterator_traitsISL_E10value_typeEPNSR_ISM_E10value_typeEPSN_NS1_7vsmem_tEENKUlT_SL_SM_SN_E_clIS8_S8_S9_S9_EESK_S10_SL_SM_SN_EUlS10_E_NS1_11comp_targetILNS1_3genE10ELNS1_11target_archE1201ELNS1_3gpuE5ELNS1_3repE0EEENS1_48merge_mergepath_partition_config_static_selectorELNS0_4arch9wavefront6targetE1EEEvSM_.private_seg_size, 0
	.set _ZN7rocprim17ROCPRIM_400000_NS6detail17trampoline_kernelINS0_14default_configENS1_38merge_sort_block_merge_config_selectorIlNS0_10empty_typeEEEZZNS1_27merge_sort_block_merge_implIS3_PlPS5_mZN2at6native12_GLOBAL__N_124unique_dim_cuda_templateItEESt5tupleIJNSA_6TensorESF_SF_EERKSF_lbbbEUlllE_EE10hipError_tT0_T1_T2_jT3_P12ihipStream_tbPNSt15iterator_traitsISL_E10value_typeEPNSR_ISM_E10value_typeEPSN_NS1_7vsmem_tEENKUlT_SL_SM_SN_E_clIS8_S8_S9_S9_EESK_S10_SL_SM_SN_EUlS10_E_NS1_11comp_targetILNS1_3genE10ELNS1_11target_archE1201ELNS1_3gpuE5ELNS1_3repE0EEENS1_48merge_mergepath_partition_config_static_selectorELNS0_4arch9wavefront6targetE1EEEvSM_.uses_vcc, 0
	.set _ZN7rocprim17ROCPRIM_400000_NS6detail17trampoline_kernelINS0_14default_configENS1_38merge_sort_block_merge_config_selectorIlNS0_10empty_typeEEEZZNS1_27merge_sort_block_merge_implIS3_PlPS5_mZN2at6native12_GLOBAL__N_124unique_dim_cuda_templateItEESt5tupleIJNSA_6TensorESF_SF_EERKSF_lbbbEUlllE_EE10hipError_tT0_T1_T2_jT3_P12ihipStream_tbPNSt15iterator_traitsISL_E10value_typeEPNSR_ISM_E10value_typeEPSN_NS1_7vsmem_tEENKUlT_SL_SM_SN_E_clIS8_S8_S9_S9_EESK_S10_SL_SM_SN_EUlS10_E_NS1_11comp_targetILNS1_3genE10ELNS1_11target_archE1201ELNS1_3gpuE5ELNS1_3repE0EEENS1_48merge_mergepath_partition_config_static_selectorELNS0_4arch9wavefront6targetE1EEEvSM_.uses_flat_scratch, 0
	.set _ZN7rocprim17ROCPRIM_400000_NS6detail17trampoline_kernelINS0_14default_configENS1_38merge_sort_block_merge_config_selectorIlNS0_10empty_typeEEEZZNS1_27merge_sort_block_merge_implIS3_PlPS5_mZN2at6native12_GLOBAL__N_124unique_dim_cuda_templateItEESt5tupleIJNSA_6TensorESF_SF_EERKSF_lbbbEUlllE_EE10hipError_tT0_T1_T2_jT3_P12ihipStream_tbPNSt15iterator_traitsISL_E10value_typeEPNSR_ISM_E10value_typeEPSN_NS1_7vsmem_tEENKUlT_SL_SM_SN_E_clIS8_S8_S9_S9_EESK_S10_SL_SM_SN_EUlS10_E_NS1_11comp_targetILNS1_3genE10ELNS1_11target_archE1201ELNS1_3gpuE5ELNS1_3repE0EEENS1_48merge_mergepath_partition_config_static_selectorELNS0_4arch9wavefront6targetE1EEEvSM_.has_dyn_sized_stack, 0
	.set _ZN7rocprim17ROCPRIM_400000_NS6detail17trampoline_kernelINS0_14default_configENS1_38merge_sort_block_merge_config_selectorIlNS0_10empty_typeEEEZZNS1_27merge_sort_block_merge_implIS3_PlPS5_mZN2at6native12_GLOBAL__N_124unique_dim_cuda_templateItEESt5tupleIJNSA_6TensorESF_SF_EERKSF_lbbbEUlllE_EE10hipError_tT0_T1_T2_jT3_P12ihipStream_tbPNSt15iterator_traitsISL_E10value_typeEPNSR_ISM_E10value_typeEPSN_NS1_7vsmem_tEENKUlT_SL_SM_SN_E_clIS8_S8_S9_S9_EESK_S10_SL_SM_SN_EUlS10_E_NS1_11comp_targetILNS1_3genE10ELNS1_11target_archE1201ELNS1_3gpuE5ELNS1_3repE0EEENS1_48merge_mergepath_partition_config_static_selectorELNS0_4arch9wavefront6targetE1EEEvSM_.has_recursion, 0
	.set _ZN7rocprim17ROCPRIM_400000_NS6detail17trampoline_kernelINS0_14default_configENS1_38merge_sort_block_merge_config_selectorIlNS0_10empty_typeEEEZZNS1_27merge_sort_block_merge_implIS3_PlPS5_mZN2at6native12_GLOBAL__N_124unique_dim_cuda_templateItEESt5tupleIJNSA_6TensorESF_SF_EERKSF_lbbbEUlllE_EE10hipError_tT0_T1_T2_jT3_P12ihipStream_tbPNSt15iterator_traitsISL_E10value_typeEPNSR_ISM_E10value_typeEPSN_NS1_7vsmem_tEENKUlT_SL_SM_SN_E_clIS8_S8_S9_S9_EESK_S10_SL_SM_SN_EUlS10_E_NS1_11comp_targetILNS1_3genE10ELNS1_11target_archE1201ELNS1_3gpuE5ELNS1_3repE0EEENS1_48merge_mergepath_partition_config_static_selectorELNS0_4arch9wavefront6targetE1EEEvSM_.has_indirect_call, 0
	.section	.AMDGPU.csdata,"",@progbits
; Kernel info:
; codeLenInByte = 0
; TotalNumSgprs: 6
; NumVgprs: 0
; NumAgprs: 0
; TotalNumVgprs: 0
; ScratchSize: 0
; MemoryBound: 0
; FloatMode: 240
; IeeeMode: 1
; LDSByteSize: 0 bytes/workgroup (compile time only)
; SGPRBlocks: 0
; VGPRBlocks: 0
; NumSGPRsForWavesPerEU: 6
; NumVGPRsForWavesPerEU: 1
; AccumOffset: 4
; Occupancy: 8
; WaveLimiterHint : 0
; COMPUTE_PGM_RSRC2:SCRATCH_EN: 0
; COMPUTE_PGM_RSRC2:USER_SGPR: 2
; COMPUTE_PGM_RSRC2:TRAP_HANDLER: 0
; COMPUTE_PGM_RSRC2:TGID_X_EN: 1
; COMPUTE_PGM_RSRC2:TGID_Y_EN: 0
; COMPUTE_PGM_RSRC2:TGID_Z_EN: 0
; COMPUTE_PGM_RSRC2:TIDIG_COMP_CNT: 0
; COMPUTE_PGM_RSRC3_GFX90A:ACCUM_OFFSET: 0
; COMPUTE_PGM_RSRC3_GFX90A:TG_SPLIT: 0
	.section	.text._ZN7rocprim17ROCPRIM_400000_NS6detail17trampoline_kernelINS0_14default_configENS1_38merge_sort_block_merge_config_selectorIlNS0_10empty_typeEEEZZNS1_27merge_sort_block_merge_implIS3_PlPS5_mZN2at6native12_GLOBAL__N_124unique_dim_cuda_templateItEESt5tupleIJNSA_6TensorESF_SF_EERKSF_lbbbEUlllE_EE10hipError_tT0_T1_T2_jT3_P12ihipStream_tbPNSt15iterator_traitsISL_E10value_typeEPNSR_ISM_E10value_typeEPSN_NS1_7vsmem_tEENKUlT_SL_SM_SN_E_clIS8_S8_S9_S9_EESK_S10_SL_SM_SN_EUlS10_E_NS1_11comp_targetILNS1_3genE5ELNS1_11target_archE942ELNS1_3gpuE9ELNS1_3repE0EEENS1_48merge_mergepath_partition_config_static_selectorELNS0_4arch9wavefront6targetE1EEEvSM_,"axG",@progbits,_ZN7rocprim17ROCPRIM_400000_NS6detail17trampoline_kernelINS0_14default_configENS1_38merge_sort_block_merge_config_selectorIlNS0_10empty_typeEEEZZNS1_27merge_sort_block_merge_implIS3_PlPS5_mZN2at6native12_GLOBAL__N_124unique_dim_cuda_templateItEESt5tupleIJNSA_6TensorESF_SF_EERKSF_lbbbEUlllE_EE10hipError_tT0_T1_T2_jT3_P12ihipStream_tbPNSt15iterator_traitsISL_E10value_typeEPNSR_ISM_E10value_typeEPSN_NS1_7vsmem_tEENKUlT_SL_SM_SN_E_clIS8_S8_S9_S9_EESK_S10_SL_SM_SN_EUlS10_E_NS1_11comp_targetILNS1_3genE5ELNS1_11target_archE942ELNS1_3gpuE9ELNS1_3repE0EEENS1_48merge_mergepath_partition_config_static_selectorELNS0_4arch9wavefront6targetE1EEEvSM_,comdat
	.globl	_ZN7rocprim17ROCPRIM_400000_NS6detail17trampoline_kernelINS0_14default_configENS1_38merge_sort_block_merge_config_selectorIlNS0_10empty_typeEEEZZNS1_27merge_sort_block_merge_implIS3_PlPS5_mZN2at6native12_GLOBAL__N_124unique_dim_cuda_templateItEESt5tupleIJNSA_6TensorESF_SF_EERKSF_lbbbEUlllE_EE10hipError_tT0_T1_T2_jT3_P12ihipStream_tbPNSt15iterator_traitsISL_E10value_typeEPNSR_ISM_E10value_typeEPSN_NS1_7vsmem_tEENKUlT_SL_SM_SN_E_clIS8_S8_S9_S9_EESK_S10_SL_SM_SN_EUlS10_E_NS1_11comp_targetILNS1_3genE5ELNS1_11target_archE942ELNS1_3gpuE9ELNS1_3repE0EEENS1_48merge_mergepath_partition_config_static_selectorELNS0_4arch9wavefront6targetE1EEEvSM_ ; -- Begin function _ZN7rocprim17ROCPRIM_400000_NS6detail17trampoline_kernelINS0_14default_configENS1_38merge_sort_block_merge_config_selectorIlNS0_10empty_typeEEEZZNS1_27merge_sort_block_merge_implIS3_PlPS5_mZN2at6native12_GLOBAL__N_124unique_dim_cuda_templateItEESt5tupleIJNSA_6TensorESF_SF_EERKSF_lbbbEUlllE_EE10hipError_tT0_T1_T2_jT3_P12ihipStream_tbPNSt15iterator_traitsISL_E10value_typeEPNSR_ISM_E10value_typeEPSN_NS1_7vsmem_tEENKUlT_SL_SM_SN_E_clIS8_S8_S9_S9_EESK_S10_SL_SM_SN_EUlS10_E_NS1_11comp_targetILNS1_3genE5ELNS1_11target_archE942ELNS1_3gpuE9ELNS1_3repE0EEENS1_48merge_mergepath_partition_config_static_selectorELNS0_4arch9wavefront6targetE1EEEvSM_
	.p2align	8
	.type	_ZN7rocprim17ROCPRIM_400000_NS6detail17trampoline_kernelINS0_14default_configENS1_38merge_sort_block_merge_config_selectorIlNS0_10empty_typeEEEZZNS1_27merge_sort_block_merge_implIS3_PlPS5_mZN2at6native12_GLOBAL__N_124unique_dim_cuda_templateItEESt5tupleIJNSA_6TensorESF_SF_EERKSF_lbbbEUlllE_EE10hipError_tT0_T1_T2_jT3_P12ihipStream_tbPNSt15iterator_traitsISL_E10value_typeEPNSR_ISM_E10value_typeEPSN_NS1_7vsmem_tEENKUlT_SL_SM_SN_E_clIS8_S8_S9_S9_EESK_S10_SL_SM_SN_EUlS10_E_NS1_11comp_targetILNS1_3genE5ELNS1_11target_archE942ELNS1_3gpuE9ELNS1_3repE0EEENS1_48merge_mergepath_partition_config_static_selectorELNS0_4arch9wavefront6targetE1EEEvSM_,@function
_ZN7rocprim17ROCPRIM_400000_NS6detail17trampoline_kernelINS0_14default_configENS1_38merge_sort_block_merge_config_selectorIlNS0_10empty_typeEEEZZNS1_27merge_sort_block_merge_implIS3_PlPS5_mZN2at6native12_GLOBAL__N_124unique_dim_cuda_templateItEESt5tupleIJNSA_6TensorESF_SF_EERKSF_lbbbEUlllE_EE10hipError_tT0_T1_T2_jT3_P12ihipStream_tbPNSt15iterator_traitsISL_E10value_typeEPNSR_ISM_E10value_typeEPSN_NS1_7vsmem_tEENKUlT_SL_SM_SN_E_clIS8_S8_S9_S9_EESK_S10_SL_SM_SN_EUlS10_E_NS1_11comp_targetILNS1_3genE5ELNS1_11target_archE942ELNS1_3gpuE9ELNS1_3repE0EEENS1_48merge_mergepath_partition_config_static_selectorELNS0_4arch9wavefront6targetE1EEEvSM_: ; @_ZN7rocprim17ROCPRIM_400000_NS6detail17trampoline_kernelINS0_14default_configENS1_38merge_sort_block_merge_config_selectorIlNS0_10empty_typeEEEZZNS1_27merge_sort_block_merge_implIS3_PlPS5_mZN2at6native12_GLOBAL__N_124unique_dim_cuda_templateItEESt5tupleIJNSA_6TensorESF_SF_EERKSF_lbbbEUlllE_EE10hipError_tT0_T1_T2_jT3_P12ihipStream_tbPNSt15iterator_traitsISL_E10value_typeEPNSR_ISM_E10value_typeEPSN_NS1_7vsmem_tEENKUlT_SL_SM_SN_E_clIS8_S8_S9_S9_EESK_S10_SL_SM_SN_EUlS10_E_NS1_11comp_targetILNS1_3genE5ELNS1_11target_archE942ELNS1_3gpuE9ELNS1_3repE0EEENS1_48merge_mergepath_partition_config_static_selectorELNS0_4arch9wavefront6targetE1EEEvSM_
; %bb.0:
	.section	.rodata,"a",@progbits
	.p2align	6, 0x0
	.amdhsa_kernel _ZN7rocprim17ROCPRIM_400000_NS6detail17trampoline_kernelINS0_14default_configENS1_38merge_sort_block_merge_config_selectorIlNS0_10empty_typeEEEZZNS1_27merge_sort_block_merge_implIS3_PlPS5_mZN2at6native12_GLOBAL__N_124unique_dim_cuda_templateItEESt5tupleIJNSA_6TensorESF_SF_EERKSF_lbbbEUlllE_EE10hipError_tT0_T1_T2_jT3_P12ihipStream_tbPNSt15iterator_traitsISL_E10value_typeEPNSR_ISM_E10value_typeEPSN_NS1_7vsmem_tEENKUlT_SL_SM_SN_E_clIS8_S8_S9_S9_EESK_S10_SL_SM_SN_EUlS10_E_NS1_11comp_targetILNS1_3genE5ELNS1_11target_archE942ELNS1_3gpuE9ELNS1_3repE0EEENS1_48merge_mergepath_partition_config_static_selectorELNS0_4arch9wavefront6targetE1EEEvSM_
		.amdhsa_group_segment_fixed_size 0
		.amdhsa_private_segment_fixed_size 0
		.amdhsa_kernarg_size 56
		.amdhsa_user_sgpr_count 2
		.amdhsa_user_sgpr_dispatch_ptr 0
		.amdhsa_user_sgpr_queue_ptr 0
		.amdhsa_user_sgpr_kernarg_segment_ptr 1
		.amdhsa_user_sgpr_dispatch_id 0
		.amdhsa_user_sgpr_kernarg_preload_length 0
		.amdhsa_user_sgpr_kernarg_preload_offset 0
		.amdhsa_user_sgpr_private_segment_size 0
		.amdhsa_uses_dynamic_stack 0
		.amdhsa_enable_private_segment 0
		.amdhsa_system_sgpr_workgroup_id_x 1
		.amdhsa_system_sgpr_workgroup_id_y 0
		.amdhsa_system_sgpr_workgroup_id_z 0
		.amdhsa_system_sgpr_workgroup_info 0
		.amdhsa_system_vgpr_workitem_id 0
		.amdhsa_next_free_vgpr 1
		.amdhsa_next_free_sgpr 0
		.amdhsa_accum_offset 4
		.amdhsa_reserve_vcc 0
		.amdhsa_float_round_mode_32 0
		.amdhsa_float_round_mode_16_64 0
		.amdhsa_float_denorm_mode_32 3
		.amdhsa_float_denorm_mode_16_64 3
		.amdhsa_dx10_clamp 1
		.amdhsa_ieee_mode 1
		.amdhsa_fp16_overflow 0
		.amdhsa_tg_split 0
		.amdhsa_exception_fp_ieee_invalid_op 0
		.amdhsa_exception_fp_denorm_src 0
		.amdhsa_exception_fp_ieee_div_zero 0
		.amdhsa_exception_fp_ieee_overflow 0
		.amdhsa_exception_fp_ieee_underflow 0
		.amdhsa_exception_fp_ieee_inexact 0
		.amdhsa_exception_int_div_zero 0
	.end_amdhsa_kernel
	.section	.text._ZN7rocprim17ROCPRIM_400000_NS6detail17trampoline_kernelINS0_14default_configENS1_38merge_sort_block_merge_config_selectorIlNS0_10empty_typeEEEZZNS1_27merge_sort_block_merge_implIS3_PlPS5_mZN2at6native12_GLOBAL__N_124unique_dim_cuda_templateItEESt5tupleIJNSA_6TensorESF_SF_EERKSF_lbbbEUlllE_EE10hipError_tT0_T1_T2_jT3_P12ihipStream_tbPNSt15iterator_traitsISL_E10value_typeEPNSR_ISM_E10value_typeEPSN_NS1_7vsmem_tEENKUlT_SL_SM_SN_E_clIS8_S8_S9_S9_EESK_S10_SL_SM_SN_EUlS10_E_NS1_11comp_targetILNS1_3genE5ELNS1_11target_archE942ELNS1_3gpuE9ELNS1_3repE0EEENS1_48merge_mergepath_partition_config_static_selectorELNS0_4arch9wavefront6targetE1EEEvSM_,"axG",@progbits,_ZN7rocprim17ROCPRIM_400000_NS6detail17trampoline_kernelINS0_14default_configENS1_38merge_sort_block_merge_config_selectorIlNS0_10empty_typeEEEZZNS1_27merge_sort_block_merge_implIS3_PlPS5_mZN2at6native12_GLOBAL__N_124unique_dim_cuda_templateItEESt5tupleIJNSA_6TensorESF_SF_EERKSF_lbbbEUlllE_EE10hipError_tT0_T1_T2_jT3_P12ihipStream_tbPNSt15iterator_traitsISL_E10value_typeEPNSR_ISM_E10value_typeEPSN_NS1_7vsmem_tEENKUlT_SL_SM_SN_E_clIS8_S8_S9_S9_EESK_S10_SL_SM_SN_EUlS10_E_NS1_11comp_targetILNS1_3genE5ELNS1_11target_archE942ELNS1_3gpuE9ELNS1_3repE0EEENS1_48merge_mergepath_partition_config_static_selectorELNS0_4arch9wavefront6targetE1EEEvSM_,comdat
.Lfunc_end1372:
	.size	_ZN7rocprim17ROCPRIM_400000_NS6detail17trampoline_kernelINS0_14default_configENS1_38merge_sort_block_merge_config_selectorIlNS0_10empty_typeEEEZZNS1_27merge_sort_block_merge_implIS3_PlPS5_mZN2at6native12_GLOBAL__N_124unique_dim_cuda_templateItEESt5tupleIJNSA_6TensorESF_SF_EERKSF_lbbbEUlllE_EE10hipError_tT0_T1_T2_jT3_P12ihipStream_tbPNSt15iterator_traitsISL_E10value_typeEPNSR_ISM_E10value_typeEPSN_NS1_7vsmem_tEENKUlT_SL_SM_SN_E_clIS8_S8_S9_S9_EESK_S10_SL_SM_SN_EUlS10_E_NS1_11comp_targetILNS1_3genE5ELNS1_11target_archE942ELNS1_3gpuE9ELNS1_3repE0EEENS1_48merge_mergepath_partition_config_static_selectorELNS0_4arch9wavefront6targetE1EEEvSM_, .Lfunc_end1372-_ZN7rocprim17ROCPRIM_400000_NS6detail17trampoline_kernelINS0_14default_configENS1_38merge_sort_block_merge_config_selectorIlNS0_10empty_typeEEEZZNS1_27merge_sort_block_merge_implIS3_PlPS5_mZN2at6native12_GLOBAL__N_124unique_dim_cuda_templateItEESt5tupleIJNSA_6TensorESF_SF_EERKSF_lbbbEUlllE_EE10hipError_tT0_T1_T2_jT3_P12ihipStream_tbPNSt15iterator_traitsISL_E10value_typeEPNSR_ISM_E10value_typeEPSN_NS1_7vsmem_tEENKUlT_SL_SM_SN_E_clIS8_S8_S9_S9_EESK_S10_SL_SM_SN_EUlS10_E_NS1_11comp_targetILNS1_3genE5ELNS1_11target_archE942ELNS1_3gpuE9ELNS1_3repE0EEENS1_48merge_mergepath_partition_config_static_selectorELNS0_4arch9wavefront6targetE1EEEvSM_
                                        ; -- End function
	.set _ZN7rocprim17ROCPRIM_400000_NS6detail17trampoline_kernelINS0_14default_configENS1_38merge_sort_block_merge_config_selectorIlNS0_10empty_typeEEEZZNS1_27merge_sort_block_merge_implIS3_PlPS5_mZN2at6native12_GLOBAL__N_124unique_dim_cuda_templateItEESt5tupleIJNSA_6TensorESF_SF_EERKSF_lbbbEUlllE_EE10hipError_tT0_T1_T2_jT3_P12ihipStream_tbPNSt15iterator_traitsISL_E10value_typeEPNSR_ISM_E10value_typeEPSN_NS1_7vsmem_tEENKUlT_SL_SM_SN_E_clIS8_S8_S9_S9_EESK_S10_SL_SM_SN_EUlS10_E_NS1_11comp_targetILNS1_3genE5ELNS1_11target_archE942ELNS1_3gpuE9ELNS1_3repE0EEENS1_48merge_mergepath_partition_config_static_selectorELNS0_4arch9wavefront6targetE1EEEvSM_.num_vgpr, 0
	.set _ZN7rocprim17ROCPRIM_400000_NS6detail17trampoline_kernelINS0_14default_configENS1_38merge_sort_block_merge_config_selectorIlNS0_10empty_typeEEEZZNS1_27merge_sort_block_merge_implIS3_PlPS5_mZN2at6native12_GLOBAL__N_124unique_dim_cuda_templateItEESt5tupleIJNSA_6TensorESF_SF_EERKSF_lbbbEUlllE_EE10hipError_tT0_T1_T2_jT3_P12ihipStream_tbPNSt15iterator_traitsISL_E10value_typeEPNSR_ISM_E10value_typeEPSN_NS1_7vsmem_tEENKUlT_SL_SM_SN_E_clIS8_S8_S9_S9_EESK_S10_SL_SM_SN_EUlS10_E_NS1_11comp_targetILNS1_3genE5ELNS1_11target_archE942ELNS1_3gpuE9ELNS1_3repE0EEENS1_48merge_mergepath_partition_config_static_selectorELNS0_4arch9wavefront6targetE1EEEvSM_.num_agpr, 0
	.set _ZN7rocprim17ROCPRIM_400000_NS6detail17trampoline_kernelINS0_14default_configENS1_38merge_sort_block_merge_config_selectorIlNS0_10empty_typeEEEZZNS1_27merge_sort_block_merge_implIS3_PlPS5_mZN2at6native12_GLOBAL__N_124unique_dim_cuda_templateItEESt5tupleIJNSA_6TensorESF_SF_EERKSF_lbbbEUlllE_EE10hipError_tT0_T1_T2_jT3_P12ihipStream_tbPNSt15iterator_traitsISL_E10value_typeEPNSR_ISM_E10value_typeEPSN_NS1_7vsmem_tEENKUlT_SL_SM_SN_E_clIS8_S8_S9_S9_EESK_S10_SL_SM_SN_EUlS10_E_NS1_11comp_targetILNS1_3genE5ELNS1_11target_archE942ELNS1_3gpuE9ELNS1_3repE0EEENS1_48merge_mergepath_partition_config_static_selectorELNS0_4arch9wavefront6targetE1EEEvSM_.numbered_sgpr, 0
	.set _ZN7rocprim17ROCPRIM_400000_NS6detail17trampoline_kernelINS0_14default_configENS1_38merge_sort_block_merge_config_selectorIlNS0_10empty_typeEEEZZNS1_27merge_sort_block_merge_implIS3_PlPS5_mZN2at6native12_GLOBAL__N_124unique_dim_cuda_templateItEESt5tupleIJNSA_6TensorESF_SF_EERKSF_lbbbEUlllE_EE10hipError_tT0_T1_T2_jT3_P12ihipStream_tbPNSt15iterator_traitsISL_E10value_typeEPNSR_ISM_E10value_typeEPSN_NS1_7vsmem_tEENKUlT_SL_SM_SN_E_clIS8_S8_S9_S9_EESK_S10_SL_SM_SN_EUlS10_E_NS1_11comp_targetILNS1_3genE5ELNS1_11target_archE942ELNS1_3gpuE9ELNS1_3repE0EEENS1_48merge_mergepath_partition_config_static_selectorELNS0_4arch9wavefront6targetE1EEEvSM_.num_named_barrier, 0
	.set _ZN7rocprim17ROCPRIM_400000_NS6detail17trampoline_kernelINS0_14default_configENS1_38merge_sort_block_merge_config_selectorIlNS0_10empty_typeEEEZZNS1_27merge_sort_block_merge_implIS3_PlPS5_mZN2at6native12_GLOBAL__N_124unique_dim_cuda_templateItEESt5tupleIJNSA_6TensorESF_SF_EERKSF_lbbbEUlllE_EE10hipError_tT0_T1_T2_jT3_P12ihipStream_tbPNSt15iterator_traitsISL_E10value_typeEPNSR_ISM_E10value_typeEPSN_NS1_7vsmem_tEENKUlT_SL_SM_SN_E_clIS8_S8_S9_S9_EESK_S10_SL_SM_SN_EUlS10_E_NS1_11comp_targetILNS1_3genE5ELNS1_11target_archE942ELNS1_3gpuE9ELNS1_3repE0EEENS1_48merge_mergepath_partition_config_static_selectorELNS0_4arch9wavefront6targetE1EEEvSM_.private_seg_size, 0
	.set _ZN7rocprim17ROCPRIM_400000_NS6detail17trampoline_kernelINS0_14default_configENS1_38merge_sort_block_merge_config_selectorIlNS0_10empty_typeEEEZZNS1_27merge_sort_block_merge_implIS3_PlPS5_mZN2at6native12_GLOBAL__N_124unique_dim_cuda_templateItEESt5tupleIJNSA_6TensorESF_SF_EERKSF_lbbbEUlllE_EE10hipError_tT0_T1_T2_jT3_P12ihipStream_tbPNSt15iterator_traitsISL_E10value_typeEPNSR_ISM_E10value_typeEPSN_NS1_7vsmem_tEENKUlT_SL_SM_SN_E_clIS8_S8_S9_S9_EESK_S10_SL_SM_SN_EUlS10_E_NS1_11comp_targetILNS1_3genE5ELNS1_11target_archE942ELNS1_3gpuE9ELNS1_3repE0EEENS1_48merge_mergepath_partition_config_static_selectorELNS0_4arch9wavefront6targetE1EEEvSM_.uses_vcc, 0
	.set _ZN7rocprim17ROCPRIM_400000_NS6detail17trampoline_kernelINS0_14default_configENS1_38merge_sort_block_merge_config_selectorIlNS0_10empty_typeEEEZZNS1_27merge_sort_block_merge_implIS3_PlPS5_mZN2at6native12_GLOBAL__N_124unique_dim_cuda_templateItEESt5tupleIJNSA_6TensorESF_SF_EERKSF_lbbbEUlllE_EE10hipError_tT0_T1_T2_jT3_P12ihipStream_tbPNSt15iterator_traitsISL_E10value_typeEPNSR_ISM_E10value_typeEPSN_NS1_7vsmem_tEENKUlT_SL_SM_SN_E_clIS8_S8_S9_S9_EESK_S10_SL_SM_SN_EUlS10_E_NS1_11comp_targetILNS1_3genE5ELNS1_11target_archE942ELNS1_3gpuE9ELNS1_3repE0EEENS1_48merge_mergepath_partition_config_static_selectorELNS0_4arch9wavefront6targetE1EEEvSM_.uses_flat_scratch, 0
	.set _ZN7rocprim17ROCPRIM_400000_NS6detail17trampoline_kernelINS0_14default_configENS1_38merge_sort_block_merge_config_selectorIlNS0_10empty_typeEEEZZNS1_27merge_sort_block_merge_implIS3_PlPS5_mZN2at6native12_GLOBAL__N_124unique_dim_cuda_templateItEESt5tupleIJNSA_6TensorESF_SF_EERKSF_lbbbEUlllE_EE10hipError_tT0_T1_T2_jT3_P12ihipStream_tbPNSt15iterator_traitsISL_E10value_typeEPNSR_ISM_E10value_typeEPSN_NS1_7vsmem_tEENKUlT_SL_SM_SN_E_clIS8_S8_S9_S9_EESK_S10_SL_SM_SN_EUlS10_E_NS1_11comp_targetILNS1_3genE5ELNS1_11target_archE942ELNS1_3gpuE9ELNS1_3repE0EEENS1_48merge_mergepath_partition_config_static_selectorELNS0_4arch9wavefront6targetE1EEEvSM_.has_dyn_sized_stack, 0
	.set _ZN7rocprim17ROCPRIM_400000_NS6detail17trampoline_kernelINS0_14default_configENS1_38merge_sort_block_merge_config_selectorIlNS0_10empty_typeEEEZZNS1_27merge_sort_block_merge_implIS3_PlPS5_mZN2at6native12_GLOBAL__N_124unique_dim_cuda_templateItEESt5tupleIJNSA_6TensorESF_SF_EERKSF_lbbbEUlllE_EE10hipError_tT0_T1_T2_jT3_P12ihipStream_tbPNSt15iterator_traitsISL_E10value_typeEPNSR_ISM_E10value_typeEPSN_NS1_7vsmem_tEENKUlT_SL_SM_SN_E_clIS8_S8_S9_S9_EESK_S10_SL_SM_SN_EUlS10_E_NS1_11comp_targetILNS1_3genE5ELNS1_11target_archE942ELNS1_3gpuE9ELNS1_3repE0EEENS1_48merge_mergepath_partition_config_static_selectorELNS0_4arch9wavefront6targetE1EEEvSM_.has_recursion, 0
	.set _ZN7rocprim17ROCPRIM_400000_NS6detail17trampoline_kernelINS0_14default_configENS1_38merge_sort_block_merge_config_selectorIlNS0_10empty_typeEEEZZNS1_27merge_sort_block_merge_implIS3_PlPS5_mZN2at6native12_GLOBAL__N_124unique_dim_cuda_templateItEESt5tupleIJNSA_6TensorESF_SF_EERKSF_lbbbEUlllE_EE10hipError_tT0_T1_T2_jT3_P12ihipStream_tbPNSt15iterator_traitsISL_E10value_typeEPNSR_ISM_E10value_typeEPSN_NS1_7vsmem_tEENKUlT_SL_SM_SN_E_clIS8_S8_S9_S9_EESK_S10_SL_SM_SN_EUlS10_E_NS1_11comp_targetILNS1_3genE5ELNS1_11target_archE942ELNS1_3gpuE9ELNS1_3repE0EEENS1_48merge_mergepath_partition_config_static_selectorELNS0_4arch9wavefront6targetE1EEEvSM_.has_indirect_call, 0
	.section	.AMDGPU.csdata,"",@progbits
; Kernel info:
; codeLenInByte = 0
; TotalNumSgprs: 6
; NumVgprs: 0
; NumAgprs: 0
; TotalNumVgprs: 0
; ScratchSize: 0
; MemoryBound: 0
; FloatMode: 240
; IeeeMode: 1
; LDSByteSize: 0 bytes/workgroup (compile time only)
; SGPRBlocks: 0
; VGPRBlocks: 0
; NumSGPRsForWavesPerEU: 6
; NumVGPRsForWavesPerEU: 1
; AccumOffset: 4
; Occupancy: 8
; WaveLimiterHint : 0
; COMPUTE_PGM_RSRC2:SCRATCH_EN: 0
; COMPUTE_PGM_RSRC2:USER_SGPR: 2
; COMPUTE_PGM_RSRC2:TRAP_HANDLER: 0
; COMPUTE_PGM_RSRC2:TGID_X_EN: 1
; COMPUTE_PGM_RSRC2:TGID_Y_EN: 0
; COMPUTE_PGM_RSRC2:TGID_Z_EN: 0
; COMPUTE_PGM_RSRC2:TIDIG_COMP_CNT: 0
; COMPUTE_PGM_RSRC3_GFX90A:ACCUM_OFFSET: 0
; COMPUTE_PGM_RSRC3_GFX90A:TG_SPLIT: 0
	.section	.text._ZN7rocprim17ROCPRIM_400000_NS6detail17trampoline_kernelINS0_14default_configENS1_38merge_sort_block_merge_config_selectorIlNS0_10empty_typeEEEZZNS1_27merge_sort_block_merge_implIS3_PlPS5_mZN2at6native12_GLOBAL__N_124unique_dim_cuda_templateItEESt5tupleIJNSA_6TensorESF_SF_EERKSF_lbbbEUlllE_EE10hipError_tT0_T1_T2_jT3_P12ihipStream_tbPNSt15iterator_traitsISL_E10value_typeEPNSR_ISM_E10value_typeEPSN_NS1_7vsmem_tEENKUlT_SL_SM_SN_E_clIS8_S8_S9_S9_EESK_S10_SL_SM_SN_EUlS10_E_NS1_11comp_targetILNS1_3genE4ELNS1_11target_archE910ELNS1_3gpuE8ELNS1_3repE0EEENS1_48merge_mergepath_partition_config_static_selectorELNS0_4arch9wavefront6targetE1EEEvSM_,"axG",@progbits,_ZN7rocprim17ROCPRIM_400000_NS6detail17trampoline_kernelINS0_14default_configENS1_38merge_sort_block_merge_config_selectorIlNS0_10empty_typeEEEZZNS1_27merge_sort_block_merge_implIS3_PlPS5_mZN2at6native12_GLOBAL__N_124unique_dim_cuda_templateItEESt5tupleIJNSA_6TensorESF_SF_EERKSF_lbbbEUlllE_EE10hipError_tT0_T1_T2_jT3_P12ihipStream_tbPNSt15iterator_traitsISL_E10value_typeEPNSR_ISM_E10value_typeEPSN_NS1_7vsmem_tEENKUlT_SL_SM_SN_E_clIS8_S8_S9_S9_EESK_S10_SL_SM_SN_EUlS10_E_NS1_11comp_targetILNS1_3genE4ELNS1_11target_archE910ELNS1_3gpuE8ELNS1_3repE0EEENS1_48merge_mergepath_partition_config_static_selectorELNS0_4arch9wavefront6targetE1EEEvSM_,comdat
	.globl	_ZN7rocprim17ROCPRIM_400000_NS6detail17trampoline_kernelINS0_14default_configENS1_38merge_sort_block_merge_config_selectorIlNS0_10empty_typeEEEZZNS1_27merge_sort_block_merge_implIS3_PlPS5_mZN2at6native12_GLOBAL__N_124unique_dim_cuda_templateItEESt5tupleIJNSA_6TensorESF_SF_EERKSF_lbbbEUlllE_EE10hipError_tT0_T1_T2_jT3_P12ihipStream_tbPNSt15iterator_traitsISL_E10value_typeEPNSR_ISM_E10value_typeEPSN_NS1_7vsmem_tEENKUlT_SL_SM_SN_E_clIS8_S8_S9_S9_EESK_S10_SL_SM_SN_EUlS10_E_NS1_11comp_targetILNS1_3genE4ELNS1_11target_archE910ELNS1_3gpuE8ELNS1_3repE0EEENS1_48merge_mergepath_partition_config_static_selectorELNS0_4arch9wavefront6targetE1EEEvSM_ ; -- Begin function _ZN7rocprim17ROCPRIM_400000_NS6detail17trampoline_kernelINS0_14default_configENS1_38merge_sort_block_merge_config_selectorIlNS0_10empty_typeEEEZZNS1_27merge_sort_block_merge_implIS3_PlPS5_mZN2at6native12_GLOBAL__N_124unique_dim_cuda_templateItEESt5tupleIJNSA_6TensorESF_SF_EERKSF_lbbbEUlllE_EE10hipError_tT0_T1_T2_jT3_P12ihipStream_tbPNSt15iterator_traitsISL_E10value_typeEPNSR_ISM_E10value_typeEPSN_NS1_7vsmem_tEENKUlT_SL_SM_SN_E_clIS8_S8_S9_S9_EESK_S10_SL_SM_SN_EUlS10_E_NS1_11comp_targetILNS1_3genE4ELNS1_11target_archE910ELNS1_3gpuE8ELNS1_3repE0EEENS1_48merge_mergepath_partition_config_static_selectorELNS0_4arch9wavefront6targetE1EEEvSM_
	.p2align	8
	.type	_ZN7rocprim17ROCPRIM_400000_NS6detail17trampoline_kernelINS0_14default_configENS1_38merge_sort_block_merge_config_selectorIlNS0_10empty_typeEEEZZNS1_27merge_sort_block_merge_implIS3_PlPS5_mZN2at6native12_GLOBAL__N_124unique_dim_cuda_templateItEESt5tupleIJNSA_6TensorESF_SF_EERKSF_lbbbEUlllE_EE10hipError_tT0_T1_T2_jT3_P12ihipStream_tbPNSt15iterator_traitsISL_E10value_typeEPNSR_ISM_E10value_typeEPSN_NS1_7vsmem_tEENKUlT_SL_SM_SN_E_clIS8_S8_S9_S9_EESK_S10_SL_SM_SN_EUlS10_E_NS1_11comp_targetILNS1_3genE4ELNS1_11target_archE910ELNS1_3gpuE8ELNS1_3repE0EEENS1_48merge_mergepath_partition_config_static_selectorELNS0_4arch9wavefront6targetE1EEEvSM_,@function
_ZN7rocprim17ROCPRIM_400000_NS6detail17trampoline_kernelINS0_14default_configENS1_38merge_sort_block_merge_config_selectorIlNS0_10empty_typeEEEZZNS1_27merge_sort_block_merge_implIS3_PlPS5_mZN2at6native12_GLOBAL__N_124unique_dim_cuda_templateItEESt5tupleIJNSA_6TensorESF_SF_EERKSF_lbbbEUlllE_EE10hipError_tT0_T1_T2_jT3_P12ihipStream_tbPNSt15iterator_traitsISL_E10value_typeEPNSR_ISM_E10value_typeEPSN_NS1_7vsmem_tEENKUlT_SL_SM_SN_E_clIS8_S8_S9_S9_EESK_S10_SL_SM_SN_EUlS10_E_NS1_11comp_targetILNS1_3genE4ELNS1_11target_archE910ELNS1_3gpuE8ELNS1_3repE0EEENS1_48merge_mergepath_partition_config_static_selectorELNS0_4arch9wavefront6targetE1EEEvSM_: ; @_ZN7rocprim17ROCPRIM_400000_NS6detail17trampoline_kernelINS0_14default_configENS1_38merge_sort_block_merge_config_selectorIlNS0_10empty_typeEEEZZNS1_27merge_sort_block_merge_implIS3_PlPS5_mZN2at6native12_GLOBAL__N_124unique_dim_cuda_templateItEESt5tupleIJNSA_6TensorESF_SF_EERKSF_lbbbEUlllE_EE10hipError_tT0_T1_T2_jT3_P12ihipStream_tbPNSt15iterator_traitsISL_E10value_typeEPNSR_ISM_E10value_typeEPSN_NS1_7vsmem_tEENKUlT_SL_SM_SN_E_clIS8_S8_S9_S9_EESK_S10_SL_SM_SN_EUlS10_E_NS1_11comp_targetILNS1_3genE4ELNS1_11target_archE910ELNS1_3gpuE8ELNS1_3repE0EEENS1_48merge_mergepath_partition_config_static_selectorELNS0_4arch9wavefront6targetE1EEEvSM_
; %bb.0:
	.section	.rodata,"a",@progbits
	.p2align	6, 0x0
	.amdhsa_kernel _ZN7rocprim17ROCPRIM_400000_NS6detail17trampoline_kernelINS0_14default_configENS1_38merge_sort_block_merge_config_selectorIlNS0_10empty_typeEEEZZNS1_27merge_sort_block_merge_implIS3_PlPS5_mZN2at6native12_GLOBAL__N_124unique_dim_cuda_templateItEESt5tupleIJNSA_6TensorESF_SF_EERKSF_lbbbEUlllE_EE10hipError_tT0_T1_T2_jT3_P12ihipStream_tbPNSt15iterator_traitsISL_E10value_typeEPNSR_ISM_E10value_typeEPSN_NS1_7vsmem_tEENKUlT_SL_SM_SN_E_clIS8_S8_S9_S9_EESK_S10_SL_SM_SN_EUlS10_E_NS1_11comp_targetILNS1_3genE4ELNS1_11target_archE910ELNS1_3gpuE8ELNS1_3repE0EEENS1_48merge_mergepath_partition_config_static_selectorELNS0_4arch9wavefront6targetE1EEEvSM_
		.amdhsa_group_segment_fixed_size 0
		.amdhsa_private_segment_fixed_size 0
		.amdhsa_kernarg_size 56
		.amdhsa_user_sgpr_count 2
		.amdhsa_user_sgpr_dispatch_ptr 0
		.amdhsa_user_sgpr_queue_ptr 0
		.amdhsa_user_sgpr_kernarg_segment_ptr 1
		.amdhsa_user_sgpr_dispatch_id 0
		.amdhsa_user_sgpr_kernarg_preload_length 0
		.amdhsa_user_sgpr_kernarg_preload_offset 0
		.amdhsa_user_sgpr_private_segment_size 0
		.amdhsa_uses_dynamic_stack 0
		.amdhsa_enable_private_segment 0
		.amdhsa_system_sgpr_workgroup_id_x 1
		.amdhsa_system_sgpr_workgroup_id_y 0
		.amdhsa_system_sgpr_workgroup_id_z 0
		.amdhsa_system_sgpr_workgroup_info 0
		.amdhsa_system_vgpr_workitem_id 0
		.amdhsa_next_free_vgpr 1
		.amdhsa_next_free_sgpr 0
		.amdhsa_accum_offset 4
		.amdhsa_reserve_vcc 0
		.amdhsa_float_round_mode_32 0
		.amdhsa_float_round_mode_16_64 0
		.amdhsa_float_denorm_mode_32 3
		.amdhsa_float_denorm_mode_16_64 3
		.amdhsa_dx10_clamp 1
		.amdhsa_ieee_mode 1
		.amdhsa_fp16_overflow 0
		.amdhsa_tg_split 0
		.amdhsa_exception_fp_ieee_invalid_op 0
		.amdhsa_exception_fp_denorm_src 0
		.amdhsa_exception_fp_ieee_div_zero 0
		.amdhsa_exception_fp_ieee_overflow 0
		.amdhsa_exception_fp_ieee_underflow 0
		.amdhsa_exception_fp_ieee_inexact 0
		.amdhsa_exception_int_div_zero 0
	.end_amdhsa_kernel
	.section	.text._ZN7rocprim17ROCPRIM_400000_NS6detail17trampoline_kernelINS0_14default_configENS1_38merge_sort_block_merge_config_selectorIlNS0_10empty_typeEEEZZNS1_27merge_sort_block_merge_implIS3_PlPS5_mZN2at6native12_GLOBAL__N_124unique_dim_cuda_templateItEESt5tupleIJNSA_6TensorESF_SF_EERKSF_lbbbEUlllE_EE10hipError_tT0_T1_T2_jT3_P12ihipStream_tbPNSt15iterator_traitsISL_E10value_typeEPNSR_ISM_E10value_typeEPSN_NS1_7vsmem_tEENKUlT_SL_SM_SN_E_clIS8_S8_S9_S9_EESK_S10_SL_SM_SN_EUlS10_E_NS1_11comp_targetILNS1_3genE4ELNS1_11target_archE910ELNS1_3gpuE8ELNS1_3repE0EEENS1_48merge_mergepath_partition_config_static_selectorELNS0_4arch9wavefront6targetE1EEEvSM_,"axG",@progbits,_ZN7rocprim17ROCPRIM_400000_NS6detail17trampoline_kernelINS0_14default_configENS1_38merge_sort_block_merge_config_selectorIlNS0_10empty_typeEEEZZNS1_27merge_sort_block_merge_implIS3_PlPS5_mZN2at6native12_GLOBAL__N_124unique_dim_cuda_templateItEESt5tupleIJNSA_6TensorESF_SF_EERKSF_lbbbEUlllE_EE10hipError_tT0_T1_T2_jT3_P12ihipStream_tbPNSt15iterator_traitsISL_E10value_typeEPNSR_ISM_E10value_typeEPSN_NS1_7vsmem_tEENKUlT_SL_SM_SN_E_clIS8_S8_S9_S9_EESK_S10_SL_SM_SN_EUlS10_E_NS1_11comp_targetILNS1_3genE4ELNS1_11target_archE910ELNS1_3gpuE8ELNS1_3repE0EEENS1_48merge_mergepath_partition_config_static_selectorELNS0_4arch9wavefront6targetE1EEEvSM_,comdat
.Lfunc_end1373:
	.size	_ZN7rocprim17ROCPRIM_400000_NS6detail17trampoline_kernelINS0_14default_configENS1_38merge_sort_block_merge_config_selectorIlNS0_10empty_typeEEEZZNS1_27merge_sort_block_merge_implIS3_PlPS5_mZN2at6native12_GLOBAL__N_124unique_dim_cuda_templateItEESt5tupleIJNSA_6TensorESF_SF_EERKSF_lbbbEUlllE_EE10hipError_tT0_T1_T2_jT3_P12ihipStream_tbPNSt15iterator_traitsISL_E10value_typeEPNSR_ISM_E10value_typeEPSN_NS1_7vsmem_tEENKUlT_SL_SM_SN_E_clIS8_S8_S9_S9_EESK_S10_SL_SM_SN_EUlS10_E_NS1_11comp_targetILNS1_3genE4ELNS1_11target_archE910ELNS1_3gpuE8ELNS1_3repE0EEENS1_48merge_mergepath_partition_config_static_selectorELNS0_4arch9wavefront6targetE1EEEvSM_, .Lfunc_end1373-_ZN7rocprim17ROCPRIM_400000_NS6detail17trampoline_kernelINS0_14default_configENS1_38merge_sort_block_merge_config_selectorIlNS0_10empty_typeEEEZZNS1_27merge_sort_block_merge_implIS3_PlPS5_mZN2at6native12_GLOBAL__N_124unique_dim_cuda_templateItEESt5tupleIJNSA_6TensorESF_SF_EERKSF_lbbbEUlllE_EE10hipError_tT0_T1_T2_jT3_P12ihipStream_tbPNSt15iterator_traitsISL_E10value_typeEPNSR_ISM_E10value_typeEPSN_NS1_7vsmem_tEENKUlT_SL_SM_SN_E_clIS8_S8_S9_S9_EESK_S10_SL_SM_SN_EUlS10_E_NS1_11comp_targetILNS1_3genE4ELNS1_11target_archE910ELNS1_3gpuE8ELNS1_3repE0EEENS1_48merge_mergepath_partition_config_static_selectorELNS0_4arch9wavefront6targetE1EEEvSM_
                                        ; -- End function
	.set _ZN7rocprim17ROCPRIM_400000_NS6detail17trampoline_kernelINS0_14default_configENS1_38merge_sort_block_merge_config_selectorIlNS0_10empty_typeEEEZZNS1_27merge_sort_block_merge_implIS3_PlPS5_mZN2at6native12_GLOBAL__N_124unique_dim_cuda_templateItEESt5tupleIJNSA_6TensorESF_SF_EERKSF_lbbbEUlllE_EE10hipError_tT0_T1_T2_jT3_P12ihipStream_tbPNSt15iterator_traitsISL_E10value_typeEPNSR_ISM_E10value_typeEPSN_NS1_7vsmem_tEENKUlT_SL_SM_SN_E_clIS8_S8_S9_S9_EESK_S10_SL_SM_SN_EUlS10_E_NS1_11comp_targetILNS1_3genE4ELNS1_11target_archE910ELNS1_3gpuE8ELNS1_3repE0EEENS1_48merge_mergepath_partition_config_static_selectorELNS0_4arch9wavefront6targetE1EEEvSM_.num_vgpr, 0
	.set _ZN7rocprim17ROCPRIM_400000_NS6detail17trampoline_kernelINS0_14default_configENS1_38merge_sort_block_merge_config_selectorIlNS0_10empty_typeEEEZZNS1_27merge_sort_block_merge_implIS3_PlPS5_mZN2at6native12_GLOBAL__N_124unique_dim_cuda_templateItEESt5tupleIJNSA_6TensorESF_SF_EERKSF_lbbbEUlllE_EE10hipError_tT0_T1_T2_jT3_P12ihipStream_tbPNSt15iterator_traitsISL_E10value_typeEPNSR_ISM_E10value_typeEPSN_NS1_7vsmem_tEENKUlT_SL_SM_SN_E_clIS8_S8_S9_S9_EESK_S10_SL_SM_SN_EUlS10_E_NS1_11comp_targetILNS1_3genE4ELNS1_11target_archE910ELNS1_3gpuE8ELNS1_3repE0EEENS1_48merge_mergepath_partition_config_static_selectorELNS0_4arch9wavefront6targetE1EEEvSM_.num_agpr, 0
	.set _ZN7rocprim17ROCPRIM_400000_NS6detail17trampoline_kernelINS0_14default_configENS1_38merge_sort_block_merge_config_selectorIlNS0_10empty_typeEEEZZNS1_27merge_sort_block_merge_implIS3_PlPS5_mZN2at6native12_GLOBAL__N_124unique_dim_cuda_templateItEESt5tupleIJNSA_6TensorESF_SF_EERKSF_lbbbEUlllE_EE10hipError_tT0_T1_T2_jT3_P12ihipStream_tbPNSt15iterator_traitsISL_E10value_typeEPNSR_ISM_E10value_typeEPSN_NS1_7vsmem_tEENKUlT_SL_SM_SN_E_clIS8_S8_S9_S9_EESK_S10_SL_SM_SN_EUlS10_E_NS1_11comp_targetILNS1_3genE4ELNS1_11target_archE910ELNS1_3gpuE8ELNS1_3repE0EEENS1_48merge_mergepath_partition_config_static_selectorELNS0_4arch9wavefront6targetE1EEEvSM_.numbered_sgpr, 0
	.set _ZN7rocprim17ROCPRIM_400000_NS6detail17trampoline_kernelINS0_14default_configENS1_38merge_sort_block_merge_config_selectorIlNS0_10empty_typeEEEZZNS1_27merge_sort_block_merge_implIS3_PlPS5_mZN2at6native12_GLOBAL__N_124unique_dim_cuda_templateItEESt5tupleIJNSA_6TensorESF_SF_EERKSF_lbbbEUlllE_EE10hipError_tT0_T1_T2_jT3_P12ihipStream_tbPNSt15iterator_traitsISL_E10value_typeEPNSR_ISM_E10value_typeEPSN_NS1_7vsmem_tEENKUlT_SL_SM_SN_E_clIS8_S8_S9_S9_EESK_S10_SL_SM_SN_EUlS10_E_NS1_11comp_targetILNS1_3genE4ELNS1_11target_archE910ELNS1_3gpuE8ELNS1_3repE0EEENS1_48merge_mergepath_partition_config_static_selectorELNS0_4arch9wavefront6targetE1EEEvSM_.num_named_barrier, 0
	.set _ZN7rocprim17ROCPRIM_400000_NS6detail17trampoline_kernelINS0_14default_configENS1_38merge_sort_block_merge_config_selectorIlNS0_10empty_typeEEEZZNS1_27merge_sort_block_merge_implIS3_PlPS5_mZN2at6native12_GLOBAL__N_124unique_dim_cuda_templateItEESt5tupleIJNSA_6TensorESF_SF_EERKSF_lbbbEUlllE_EE10hipError_tT0_T1_T2_jT3_P12ihipStream_tbPNSt15iterator_traitsISL_E10value_typeEPNSR_ISM_E10value_typeEPSN_NS1_7vsmem_tEENKUlT_SL_SM_SN_E_clIS8_S8_S9_S9_EESK_S10_SL_SM_SN_EUlS10_E_NS1_11comp_targetILNS1_3genE4ELNS1_11target_archE910ELNS1_3gpuE8ELNS1_3repE0EEENS1_48merge_mergepath_partition_config_static_selectorELNS0_4arch9wavefront6targetE1EEEvSM_.private_seg_size, 0
	.set _ZN7rocprim17ROCPRIM_400000_NS6detail17trampoline_kernelINS0_14default_configENS1_38merge_sort_block_merge_config_selectorIlNS0_10empty_typeEEEZZNS1_27merge_sort_block_merge_implIS3_PlPS5_mZN2at6native12_GLOBAL__N_124unique_dim_cuda_templateItEESt5tupleIJNSA_6TensorESF_SF_EERKSF_lbbbEUlllE_EE10hipError_tT0_T1_T2_jT3_P12ihipStream_tbPNSt15iterator_traitsISL_E10value_typeEPNSR_ISM_E10value_typeEPSN_NS1_7vsmem_tEENKUlT_SL_SM_SN_E_clIS8_S8_S9_S9_EESK_S10_SL_SM_SN_EUlS10_E_NS1_11comp_targetILNS1_3genE4ELNS1_11target_archE910ELNS1_3gpuE8ELNS1_3repE0EEENS1_48merge_mergepath_partition_config_static_selectorELNS0_4arch9wavefront6targetE1EEEvSM_.uses_vcc, 0
	.set _ZN7rocprim17ROCPRIM_400000_NS6detail17trampoline_kernelINS0_14default_configENS1_38merge_sort_block_merge_config_selectorIlNS0_10empty_typeEEEZZNS1_27merge_sort_block_merge_implIS3_PlPS5_mZN2at6native12_GLOBAL__N_124unique_dim_cuda_templateItEESt5tupleIJNSA_6TensorESF_SF_EERKSF_lbbbEUlllE_EE10hipError_tT0_T1_T2_jT3_P12ihipStream_tbPNSt15iterator_traitsISL_E10value_typeEPNSR_ISM_E10value_typeEPSN_NS1_7vsmem_tEENKUlT_SL_SM_SN_E_clIS8_S8_S9_S9_EESK_S10_SL_SM_SN_EUlS10_E_NS1_11comp_targetILNS1_3genE4ELNS1_11target_archE910ELNS1_3gpuE8ELNS1_3repE0EEENS1_48merge_mergepath_partition_config_static_selectorELNS0_4arch9wavefront6targetE1EEEvSM_.uses_flat_scratch, 0
	.set _ZN7rocprim17ROCPRIM_400000_NS6detail17trampoline_kernelINS0_14default_configENS1_38merge_sort_block_merge_config_selectorIlNS0_10empty_typeEEEZZNS1_27merge_sort_block_merge_implIS3_PlPS5_mZN2at6native12_GLOBAL__N_124unique_dim_cuda_templateItEESt5tupleIJNSA_6TensorESF_SF_EERKSF_lbbbEUlllE_EE10hipError_tT0_T1_T2_jT3_P12ihipStream_tbPNSt15iterator_traitsISL_E10value_typeEPNSR_ISM_E10value_typeEPSN_NS1_7vsmem_tEENKUlT_SL_SM_SN_E_clIS8_S8_S9_S9_EESK_S10_SL_SM_SN_EUlS10_E_NS1_11comp_targetILNS1_3genE4ELNS1_11target_archE910ELNS1_3gpuE8ELNS1_3repE0EEENS1_48merge_mergepath_partition_config_static_selectorELNS0_4arch9wavefront6targetE1EEEvSM_.has_dyn_sized_stack, 0
	.set _ZN7rocprim17ROCPRIM_400000_NS6detail17trampoline_kernelINS0_14default_configENS1_38merge_sort_block_merge_config_selectorIlNS0_10empty_typeEEEZZNS1_27merge_sort_block_merge_implIS3_PlPS5_mZN2at6native12_GLOBAL__N_124unique_dim_cuda_templateItEESt5tupleIJNSA_6TensorESF_SF_EERKSF_lbbbEUlllE_EE10hipError_tT0_T1_T2_jT3_P12ihipStream_tbPNSt15iterator_traitsISL_E10value_typeEPNSR_ISM_E10value_typeEPSN_NS1_7vsmem_tEENKUlT_SL_SM_SN_E_clIS8_S8_S9_S9_EESK_S10_SL_SM_SN_EUlS10_E_NS1_11comp_targetILNS1_3genE4ELNS1_11target_archE910ELNS1_3gpuE8ELNS1_3repE0EEENS1_48merge_mergepath_partition_config_static_selectorELNS0_4arch9wavefront6targetE1EEEvSM_.has_recursion, 0
	.set _ZN7rocprim17ROCPRIM_400000_NS6detail17trampoline_kernelINS0_14default_configENS1_38merge_sort_block_merge_config_selectorIlNS0_10empty_typeEEEZZNS1_27merge_sort_block_merge_implIS3_PlPS5_mZN2at6native12_GLOBAL__N_124unique_dim_cuda_templateItEESt5tupleIJNSA_6TensorESF_SF_EERKSF_lbbbEUlllE_EE10hipError_tT0_T1_T2_jT3_P12ihipStream_tbPNSt15iterator_traitsISL_E10value_typeEPNSR_ISM_E10value_typeEPSN_NS1_7vsmem_tEENKUlT_SL_SM_SN_E_clIS8_S8_S9_S9_EESK_S10_SL_SM_SN_EUlS10_E_NS1_11comp_targetILNS1_3genE4ELNS1_11target_archE910ELNS1_3gpuE8ELNS1_3repE0EEENS1_48merge_mergepath_partition_config_static_selectorELNS0_4arch9wavefront6targetE1EEEvSM_.has_indirect_call, 0
	.section	.AMDGPU.csdata,"",@progbits
; Kernel info:
; codeLenInByte = 0
; TotalNumSgprs: 6
; NumVgprs: 0
; NumAgprs: 0
; TotalNumVgprs: 0
; ScratchSize: 0
; MemoryBound: 0
; FloatMode: 240
; IeeeMode: 1
; LDSByteSize: 0 bytes/workgroup (compile time only)
; SGPRBlocks: 0
; VGPRBlocks: 0
; NumSGPRsForWavesPerEU: 6
; NumVGPRsForWavesPerEU: 1
; AccumOffset: 4
; Occupancy: 8
; WaveLimiterHint : 0
; COMPUTE_PGM_RSRC2:SCRATCH_EN: 0
; COMPUTE_PGM_RSRC2:USER_SGPR: 2
; COMPUTE_PGM_RSRC2:TRAP_HANDLER: 0
; COMPUTE_PGM_RSRC2:TGID_X_EN: 1
; COMPUTE_PGM_RSRC2:TGID_Y_EN: 0
; COMPUTE_PGM_RSRC2:TGID_Z_EN: 0
; COMPUTE_PGM_RSRC2:TIDIG_COMP_CNT: 0
; COMPUTE_PGM_RSRC3_GFX90A:ACCUM_OFFSET: 0
; COMPUTE_PGM_RSRC3_GFX90A:TG_SPLIT: 0
	.section	.text._ZN7rocprim17ROCPRIM_400000_NS6detail17trampoline_kernelINS0_14default_configENS1_38merge_sort_block_merge_config_selectorIlNS0_10empty_typeEEEZZNS1_27merge_sort_block_merge_implIS3_PlPS5_mZN2at6native12_GLOBAL__N_124unique_dim_cuda_templateItEESt5tupleIJNSA_6TensorESF_SF_EERKSF_lbbbEUlllE_EE10hipError_tT0_T1_T2_jT3_P12ihipStream_tbPNSt15iterator_traitsISL_E10value_typeEPNSR_ISM_E10value_typeEPSN_NS1_7vsmem_tEENKUlT_SL_SM_SN_E_clIS8_S8_S9_S9_EESK_S10_SL_SM_SN_EUlS10_E_NS1_11comp_targetILNS1_3genE3ELNS1_11target_archE908ELNS1_3gpuE7ELNS1_3repE0EEENS1_48merge_mergepath_partition_config_static_selectorELNS0_4arch9wavefront6targetE1EEEvSM_,"axG",@progbits,_ZN7rocprim17ROCPRIM_400000_NS6detail17trampoline_kernelINS0_14default_configENS1_38merge_sort_block_merge_config_selectorIlNS0_10empty_typeEEEZZNS1_27merge_sort_block_merge_implIS3_PlPS5_mZN2at6native12_GLOBAL__N_124unique_dim_cuda_templateItEESt5tupleIJNSA_6TensorESF_SF_EERKSF_lbbbEUlllE_EE10hipError_tT0_T1_T2_jT3_P12ihipStream_tbPNSt15iterator_traitsISL_E10value_typeEPNSR_ISM_E10value_typeEPSN_NS1_7vsmem_tEENKUlT_SL_SM_SN_E_clIS8_S8_S9_S9_EESK_S10_SL_SM_SN_EUlS10_E_NS1_11comp_targetILNS1_3genE3ELNS1_11target_archE908ELNS1_3gpuE7ELNS1_3repE0EEENS1_48merge_mergepath_partition_config_static_selectorELNS0_4arch9wavefront6targetE1EEEvSM_,comdat
	.globl	_ZN7rocprim17ROCPRIM_400000_NS6detail17trampoline_kernelINS0_14default_configENS1_38merge_sort_block_merge_config_selectorIlNS0_10empty_typeEEEZZNS1_27merge_sort_block_merge_implIS3_PlPS5_mZN2at6native12_GLOBAL__N_124unique_dim_cuda_templateItEESt5tupleIJNSA_6TensorESF_SF_EERKSF_lbbbEUlllE_EE10hipError_tT0_T1_T2_jT3_P12ihipStream_tbPNSt15iterator_traitsISL_E10value_typeEPNSR_ISM_E10value_typeEPSN_NS1_7vsmem_tEENKUlT_SL_SM_SN_E_clIS8_S8_S9_S9_EESK_S10_SL_SM_SN_EUlS10_E_NS1_11comp_targetILNS1_3genE3ELNS1_11target_archE908ELNS1_3gpuE7ELNS1_3repE0EEENS1_48merge_mergepath_partition_config_static_selectorELNS0_4arch9wavefront6targetE1EEEvSM_ ; -- Begin function _ZN7rocprim17ROCPRIM_400000_NS6detail17trampoline_kernelINS0_14default_configENS1_38merge_sort_block_merge_config_selectorIlNS0_10empty_typeEEEZZNS1_27merge_sort_block_merge_implIS3_PlPS5_mZN2at6native12_GLOBAL__N_124unique_dim_cuda_templateItEESt5tupleIJNSA_6TensorESF_SF_EERKSF_lbbbEUlllE_EE10hipError_tT0_T1_T2_jT3_P12ihipStream_tbPNSt15iterator_traitsISL_E10value_typeEPNSR_ISM_E10value_typeEPSN_NS1_7vsmem_tEENKUlT_SL_SM_SN_E_clIS8_S8_S9_S9_EESK_S10_SL_SM_SN_EUlS10_E_NS1_11comp_targetILNS1_3genE3ELNS1_11target_archE908ELNS1_3gpuE7ELNS1_3repE0EEENS1_48merge_mergepath_partition_config_static_selectorELNS0_4arch9wavefront6targetE1EEEvSM_
	.p2align	8
	.type	_ZN7rocprim17ROCPRIM_400000_NS6detail17trampoline_kernelINS0_14default_configENS1_38merge_sort_block_merge_config_selectorIlNS0_10empty_typeEEEZZNS1_27merge_sort_block_merge_implIS3_PlPS5_mZN2at6native12_GLOBAL__N_124unique_dim_cuda_templateItEESt5tupleIJNSA_6TensorESF_SF_EERKSF_lbbbEUlllE_EE10hipError_tT0_T1_T2_jT3_P12ihipStream_tbPNSt15iterator_traitsISL_E10value_typeEPNSR_ISM_E10value_typeEPSN_NS1_7vsmem_tEENKUlT_SL_SM_SN_E_clIS8_S8_S9_S9_EESK_S10_SL_SM_SN_EUlS10_E_NS1_11comp_targetILNS1_3genE3ELNS1_11target_archE908ELNS1_3gpuE7ELNS1_3repE0EEENS1_48merge_mergepath_partition_config_static_selectorELNS0_4arch9wavefront6targetE1EEEvSM_,@function
_ZN7rocprim17ROCPRIM_400000_NS6detail17trampoline_kernelINS0_14default_configENS1_38merge_sort_block_merge_config_selectorIlNS0_10empty_typeEEEZZNS1_27merge_sort_block_merge_implIS3_PlPS5_mZN2at6native12_GLOBAL__N_124unique_dim_cuda_templateItEESt5tupleIJNSA_6TensorESF_SF_EERKSF_lbbbEUlllE_EE10hipError_tT0_T1_T2_jT3_P12ihipStream_tbPNSt15iterator_traitsISL_E10value_typeEPNSR_ISM_E10value_typeEPSN_NS1_7vsmem_tEENKUlT_SL_SM_SN_E_clIS8_S8_S9_S9_EESK_S10_SL_SM_SN_EUlS10_E_NS1_11comp_targetILNS1_3genE3ELNS1_11target_archE908ELNS1_3gpuE7ELNS1_3repE0EEENS1_48merge_mergepath_partition_config_static_selectorELNS0_4arch9wavefront6targetE1EEEvSM_: ; @_ZN7rocprim17ROCPRIM_400000_NS6detail17trampoline_kernelINS0_14default_configENS1_38merge_sort_block_merge_config_selectorIlNS0_10empty_typeEEEZZNS1_27merge_sort_block_merge_implIS3_PlPS5_mZN2at6native12_GLOBAL__N_124unique_dim_cuda_templateItEESt5tupleIJNSA_6TensorESF_SF_EERKSF_lbbbEUlllE_EE10hipError_tT0_T1_T2_jT3_P12ihipStream_tbPNSt15iterator_traitsISL_E10value_typeEPNSR_ISM_E10value_typeEPSN_NS1_7vsmem_tEENKUlT_SL_SM_SN_E_clIS8_S8_S9_S9_EESK_S10_SL_SM_SN_EUlS10_E_NS1_11comp_targetILNS1_3genE3ELNS1_11target_archE908ELNS1_3gpuE7ELNS1_3repE0EEENS1_48merge_mergepath_partition_config_static_selectorELNS0_4arch9wavefront6targetE1EEEvSM_
; %bb.0:
	.section	.rodata,"a",@progbits
	.p2align	6, 0x0
	.amdhsa_kernel _ZN7rocprim17ROCPRIM_400000_NS6detail17trampoline_kernelINS0_14default_configENS1_38merge_sort_block_merge_config_selectorIlNS0_10empty_typeEEEZZNS1_27merge_sort_block_merge_implIS3_PlPS5_mZN2at6native12_GLOBAL__N_124unique_dim_cuda_templateItEESt5tupleIJNSA_6TensorESF_SF_EERKSF_lbbbEUlllE_EE10hipError_tT0_T1_T2_jT3_P12ihipStream_tbPNSt15iterator_traitsISL_E10value_typeEPNSR_ISM_E10value_typeEPSN_NS1_7vsmem_tEENKUlT_SL_SM_SN_E_clIS8_S8_S9_S9_EESK_S10_SL_SM_SN_EUlS10_E_NS1_11comp_targetILNS1_3genE3ELNS1_11target_archE908ELNS1_3gpuE7ELNS1_3repE0EEENS1_48merge_mergepath_partition_config_static_selectorELNS0_4arch9wavefront6targetE1EEEvSM_
		.amdhsa_group_segment_fixed_size 0
		.amdhsa_private_segment_fixed_size 0
		.amdhsa_kernarg_size 56
		.amdhsa_user_sgpr_count 2
		.amdhsa_user_sgpr_dispatch_ptr 0
		.amdhsa_user_sgpr_queue_ptr 0
		.amdhsa_user_sgpr_kernarg_segment_ptr 1
		.amdhsa_user_sgpr_dispatch_id 0
		.amdhsa_user_sgpr_kernarg_preload_length 0
		.amdhsa_user_sgpr_kernarg_preload_offset 0
		.amdhsa_user_sgpr_private_segment_size 0
		.amdhsa_uses_dynamic_stack 0
		.amdhsa_enable_private_segment 0
		.amdhsa_system_sgpr_workgroup_id_x 1
		.amdhsa_system_sgpr_workgroup_id_y 0
		.amdhsa_system_sgpr_workgroup_id_z 0
		.amdhsa_system_sgpr_workgroup_info 0
		.amdhsa_system_vgpr_workitem_id 0
		.amdhsa_next_free_vgpr 1
		.amdhsa_next_free_sgpr 0
		.amdhsa_accum_offset 4
		.amdhsa_reserve_vcc 0
		.amdhsa_float_round_mode_32 0
		.amdhsa_float_round_mode_16_64 0
		.amdhsa_float_denorm_mode_32 3
		.amdhsa_float_denorm_mode_16_64 3
		.amdhsa_dx10_clamp 1
		.amdhsa_ieee_mode 1
		.amdhsa_fp16_overflow 0
		.amdhsa_tg_split 0
		.amdhsa_exception_fp_ieee_invalid_op 0
		.amdhsa_exception_fp_denorm_src 0
		.amdhsa_exception_fp_ieee_div_zero 0
		.amdhsa_exception_fp_ieee_overflow 0
		.amdhsa_exception_fp_ieee_underflow 0
		.amdhsa_exception_fp_ieee_inexact 0
		.amdhsa_exception_int_div_zero 0
	.end_amdhsa_kernel
	.section	.text._ZN7rocprim17ROCPRIM_400000_NS6detail17trampoline_kernelINS0_14default_configENS1_38merge_sort_block_merge_config_selectorIlNS0_10empty_typeEEEZZNS1_27merge_sort_block_merge_implIS3_PlPS5_mZN2at6native12_GLOBAL__N_124unique_dim_cuda_templateItEESt5tupleIJNSA_6TensorESF_SF_EERKSF_lbbbEUlllE_EE10hipError_tT0_T1_T2_jT3_P12ihipStream_tbPNSt15iterator_traitsISL_E10value_typeEPNSR_ISM_E10value_typeEPSN_NS1_7vsmem_tEENKUlT_SL_SM_SN_E_clIS8_S8_S9_S9_EESK_S10_SL_SM_SN_EUlS10_E_NS1_11comp_targetILNS1_3genE3ELNS1_11target_archE908ELNS1_3gpuE7ELNS1_3repE0EEENS1_48merge_mergepath_partition_config_static_selectorELNS0_4arch9wavefront6targetE1EEEvSM_,"axG",@progbits,_ZN7rocprim17ROCPRIM_400000_NS6detail17trampoline_kernelINS0_14default_configENS1_38merge_sort_block_merge_config_selectorIlNS0_10empty_typeEEEZZNS1_27merge_sort_block_merge_implIS3_PlPS5_mZN2at6native12_GLOBAL__N_124unique_dim_cuda_templateItEESt5tupleIJNSA_6TensorESF_SF_EERKSF_lbbbEUlllE_EE10hipError_tT0_T1_T2_jT3_P12ihipStream_tbPNSt15iterator_traitsISL_E10value_typeEPNSR_ISM_E10value_typeEPSN_NS1_7vsmem_tEENKUlT_SL_SM_SN_E_clIS8_S8_S9_S9_EESK_S10_SL_SM_SN_EUlS10_E_NS1_11comp_targetILNS1_3genE3ELNS1_11target_archE908ELNS1_3gpuE7ELNS1_3repE0EEENS1_48merge_mergepath_partition_config_static_selectorELNS0_4arch9wavefront6targetE1EEEvSM_,comdat
.Lfunc_end1374:
	.size	_ZN7rocprim17ROCPRIM_400000_NS6detail17trampoline_kernelINS0_14default_configENS1_38merge_sort_block_merge_config_selectorIlNS0_10empty_typeEEEZZNS1_27merge_sort_block_merge_implIS3_PlPS5_mZN2at6native12_GLOBAL__N_124unique_dim_cuda_templateItEESt5tupleIJNSA_6TensorESF_SF_EERKSF_lbbbEUlllE_EE10hipError_tT0_T1_T2_jT3_P12ihipStream_tbPNSt15iterator_traitsISL_E10value_typeEPNSR_ISM_E10value_typeEPSN_NS1_7vsmem_tEENKUlT_SL_SM_SN_E_clIS8_S8_S9_S9_EESK_S10_SL_SM_SN_EUlS10_E_NS1_11comp_targetILNS1_3genE3ELNS1_11target_archE908ELNS1_3gpuE7ELNS1_3repE0EEENS1_48merge_mergepath_partition_config_static_selectorELNS0_4arch9wavefront6targetE1EEEvSM_, .Lfunc_end1374-_ZN7rocprim17ROCPRIM_400000_NS6detail17trampoline_kernelINS0_14default_configENS1_38merge_sort_block_merge_config_selectorIlNS0_10empty_typeEEEZZNS1_27merge_sort_block_merge_implIS3_PlPS5_mZN2at6native12_GLOBAL__N_124unique_dim_cuda_templateItEESt5tupleIJNSA_6TensorESF_SF_EERKSF_lbbbEUlllE_EE10hipError_tT0_T1_T2_jT3_P12ihipStream_tbPNSt15iterator_traitsISL_E10value_typeEPNSR_ISM_E10value_typeEPSN_NS1_7vsmem_tEENKUlT_SL_SM_SN_E_clIS8_S8_S9_S9_EESK_S10_SL_SM_SN_EUlS10_E_NS1_11comp_targetILNS1_3genE3ELNS1_11target_archE908ELNS1_3gpuE7ELNS1_3repE0EEENS1_48merge_mergepath_partition_config_static_selectorELNS0_4arch9wavefront6targetE1EEEvSM_
                                        ; -- End function
	.set _ZN7rocprim17ROCPRIM_400000_NS6detail17trampoline_kernelINS0_14default_configENS1_38merge_sort_block_merge_config_selectorIlNS0_10empty_typeEEEZZNS1_27merge_sort_block_merge_implIS3_PlPS5_mZN2at6native12_GLOBAL__N_124unique_dim_cuda_templateItEESt5tupleIJNSA_6TensorESF_SF_EERKSF_lbbbEUlllE_EE10hipError_tT0_T1_T2_jT3_P12ihipStream_tbPNSt15iterator_traitsISL_E10value_typeEPNSR_ISM_E10value_typeEPSN_NS1_7vsmem_tEENKUlT_SL_SM_SN_E_clIS8_S8_S9_S9_EESK_S10_SL_SM_SN_EUlS10_E_NS1_11comp_targetILNS1_3genE3ELNS1_11target_archE908ELNS1_3gpuE7ELNS1_3repE0EEENS1_48merge_mergepath_partition_config_static_selectorELNS0_4arch9wavefront6targetE1EEEvSM_.num_vgpr, 0
	.set _ZN7rocprim17ROCPRIM_400000_NS6detail17trampoline_kernelINS0_14default_configENS1_38merge_sort_block_merge_config_selectorIlNS0_10empty_typeEEEZZNS1_27merge_sort_block_merge_implIS3_PlPS5_mZN2at6native12_GLOBAL__N_124unique_dim_cuda_templateItEESt5tupleIJNSA_6TensorESF_SF_EERKSF_lbbbEUlllE_EE10hipError_tT0_T1_T2_jT3_P12ihipStream_tbPNSt15iterator_traitsISL_E10value_typeEPNSR_ISM_E10value_typeEPSN_NS1_7vsmem_tEENKUlT_SL_SM_SN_E_clIS8_S8_S9_S9_EESK_S10_SL_SM_SN_EUlS10_E_NS1_11comp_targetILNS1_3genE3ELNS1_11target_archE908ELNS1_3gpuE7ELNS1_3repE0EEENS1_48merge_mergepath_partition_config_static_selectorELNS0_4arch9wavefront6targetE1EEEvSM_.num_agpr, 0
	.set _ZN7rocprim17ROCPRIM_400000_NS6detail17trampoline_kernelINS0_14default_configENS1_38merge_sort_block_merge_config_selectorIlNS0_10empty_typeEEEZZNS1_27merge_sort_block_merge_implIS3_PlPS5_mZN2at6native12_GLOBAL__N_124unique_dim_cuda_templateItEESt5tupleIJNSA_6TensorESF_SF_EERKSF_lbbbEUlllE_EE10hipError_tT0_T1_T2_jT3_P12ihipStream_tbPNSt15iterator_traitsISL_E10value_typeEPNSR_ISM_E10value_typeEPSN_NS1_7vsmem_tEENKUlT_SL_SM_SN_E_clIS8_S8_S9_S9_EESK_S10_SL_SM_SN_EUlS10_E_NS1_11comp_targetILNS1_3genE3ELNS1_11target_archE908ELNS1_3gpuE7ELNS1_3repE0EEENS1_48merge_mergepath_partition_config_static_selectorELNS0_4arch9wavefront6targetE1EEEvSM_.numbered_sgpr, 0
	.set _ZN7rocprim17ROCPRIM_400000_NS6detail17trampoline_kernelINS0_14default_configENS1_38merge_sort_block_merge_config_selectorIlNS0_10empty_typeEEEZZNS1_27merge_sort_block_merge_implIS3_PlPS5_mZN2at6native12_GLOBAL__N_124unique_dim_cuda_templateItEESt5tupleIJNSA_6TensorESF_SF_EERKSF_lbbbEUlllE_EE10hipError_tT0_T1_T2_jT3_P12ihipStream_tbPNSt15iterator_traitsISL_E10value_typeEPNSR_ISM_E10value_typeEPSN_NS1_7vsmem_tEENKUlT_SL_SM_SN_E_clIS8_S8_S9_S9_EESK_S10_SL_SM_SN_EUlS10_E_NS1_11comp_targetILNS1_3genE3ELNS1_11target_archE908ELNS1_3gpuE7ELNS1_3repE0EEENS1_48merge_mergepath_partition_config_static_selectorELNS0_4arch9wavefront6targetE1EEEvSM_.num_named_barrier, 0
	.set _ZN7rocprim17ROCPRIM_400000_NS6detail17trampoline_kernelINS0_14default_configENS1_38merge_sort_block_merge_config_selectorIlNS0_10empty_typeEEEZZNS1_27merge_sort_block_merge_implIS3_PlPS5_mZN2at6native12_GLOBAL__N_124unique_dim_cuda_templateItEESt5tupleIJNSA_6TensorESF_SF_EERKSF_lbbbEUlllE_EE10hipError_tT0_T1_T2_jT3_P12ihipStream_tbPNSt15iterator_traitsISL_E10value_typeEPNSR_ISM_E10value_typeEPSN_NS1_7vsmem_tEENKUlT_SL_SM_SN_E_clIS8_S8_S9_S9_EESK_S10_SL_SM_SN_EUlS10_E_NS1_11comp_targetILNS1_3genE3ELNS1_11target_archE908ELNS1_3gpuE7ELNS1_3repE0EEENS1_48merge_mergepath_partition_config_static_selectorELNS0_4arch9wavefront6targetE1EEEvSM_.private_seg_size, 0
	.set _ZN7rocprim17ROCPRIM_400000_NS6detail17trampoline_kernelINS0_14default_configENS1_38merge_sort_block_merge_config_selectorIlNS0_10empty_typeEEEZZNS1_27merge_sort_block_merge_implIS3_PlPS5_mZN2at6native12_GLOBAL__N_124unique_dim_cuda_templateItEESt5tupleIJNSA_6TensorESF_SF_EERKSF_lbbbEUlllE_EE10hipError_tT0_T1_T2_jT3_P12ihipStream_tbPNSt15iterator_traitsISL_E10value_typeEPNSR_ISM_E10value_typeEPSN_NS1_7vsmem_tEENKUlT_SL_SM_SN_E_clIS8_S8_S9_S9_EESK_S10_SL_SM_SN_EUlS10_E_NS1_11comp_targetILNS1_3genE3ELNS1_11target_archE908ELNS1_3gpuE7ELNS1_3repE0EEENS1_48merge_mergepath_partition_config_static_selectorELNS0_4arch9wavefront6targetE1EEEvSM_.uses_vcc, 0
	.set _ZN7rocprim17ROCPRIM_400000_NS6detail17trampoline_kernelINS0_14default_configENS1_38merge_sort_block_merge_config_selectorIlNS0_10empty_typeEEEZZNS1_27merge_sort_block_merge_implIS3_PlPS5_mZN2at6native12_GLOBAL__N_124unique_dim_cuda_templateItEESt5tupleIJNSA_6TensorESF_SF_EERKSF_lbbbEUlllE_EE10hipError_tT0_T1_T2_jT3_P12ihipStream_tbPNSt15iterator_traitsISL_E10value_typeEPNSR_ISM_E10value_typeEPSN_NS1_7vsmem_tEENKUlT_SL_SM_SN_E_clIS8_S8_S9_S9_EESK_S10_SL_SM_SN_EUlS10_E_NS1_11comp_targetILNS1_3genE3ELNS1_11target_archE908ELNS1_3gpuE7ELNS1_3repE0EEENS1_48merge_mergepath_partition_config_static_selectorELNS0_4arch9wavefront6targetE1EEEvSM_.uses_flat_scratch, 0
	.set _ZN7rocprim17ROCPRIM_400000_NS6detail17trampoline_kernelINS0_14default_configENS1_38merge_sort_block_merge_config_selectorIlNS0_10empty_typeEEEZZNS1_27merge_sort_block_merge_implIS3_PlPS5_mZN2at6native12_GLOBAL__N_124unique_dim_cuda_templateItEESt5tupleIJNSA_6TensorESF_SF_EERKSF_lbbbEUlllE_EE10hipError_tT0_T1_T2_jT3_P12ihipStream_tbPNSt15iterator_traitsISL_E10value_typeEPNSR_ISM_E10value_typeEPSN_NS1_7vsmem_tEENKUlT_SL_SM_SN_E_clIS8_S8_S9_S9_EESK_S10_SL_SM_SN_EUlS10_E_NS1_11comp_targetILNS1_3genE3ELNS1_11target_archE908ELNS1_3gpuE7ELNS1_3repE0EEENS1_48merge_mergepath_partition_config_static_selectorELNS0_4arch9wavefront6targetE1EEEvSM_.has_dyn_sized_stack, 0
	.set _ZN7rocprim17ROCPRIM_400000_NS6detail17trampoline_kernelINS0_14default_configENS1_38merge_sort_block_merge_config_selectorIlNS0_10empty_typeEEEZZNS1_27merge_sort_block_merge_implIS3_PlPS5_mZN2at6native12_GLOBAL__N_124unique_dim_cuda_templateItEESt5tupleIJNSA_6TensorESF_SF_EERKSF_lbbbEUlllE_EE10hipError_tT0_T1_T2_jT3_P12ihipStream_tbPNSt15iterator_traitsISL_E10value_typeEPNSR_ISM_E10value_typeEPSN_NS1_7vsmem_tEENKUlT_SL_SM_SN_E_clIS8_S8_S9_S9_EESK_S10_SL_SM_SN_EUlS10_E_NS1_11comp_targetILNS1_3genE3ELNS1_11target_archE908ELNS1_3gpuE7ELNS1_3repE0EEENS1_48merge_mergepath_partition_config_static_selectorELNS0_4arch9wavefront6targetE1EEEvSM_.has_recursion, 0
	.set _ZN7rocprim17ROCPRIM_400000_NS6detail17trampoline_kernelINS0_14default_configENS1_38merge_sort_block_merge_config_selectorIlNS0_10empty_typeEEEZZNS1_27merge_sort_block_merge_implIS3_PlPS5_mZN2at6native12_GLOBAL__N_124unique_dim_cuda_templateItEESt5tupleIJNSA_6TensorESF_SF_EERKSF_lbbbEUlllE_EE10hipError_tT0_T1_T2_jT3_P12ihipStream_tbPNSt15iterator_traitsISL_E10value_typeEPNSR_ISM_E10value_typeEPSN_NS1_7vsmem_tEENKUlT_SL_SM_SN_E_clIS8_S8_S9_S9_EESK_S10_SL_SM_SN_EUlS10_E_NS1_11comp_targetILNS1_3genE3ELNS1_11target_archE908ELNS1_3gpuE7ELNS1_3repE0EEENS1_48merge_mergepath_partition_config_static_selectorELNS0_4arch9wavefront6targetE1EEEvSM_.has_indirect_call, 0
	.section	.AMDGPU.csdata,"",@progbits
; Kernel info:
; codeLenInByte = 0
; TotalNumSgprs: 6
; NumVgprs: 0
; NumAgprs: 0
; TotalNumVgprs: 0
; ScratchSize: 0
; MemoryBound: 0
; FloatMode: 240
; IeeeMode: 1
; LDSByteSize: 0 bytes/workgroup (compile time only)
; SGPRBlocks: 0
; VGPRBlocks: 0
; NumSGPRsForWavesPerEU: 6
; NumVGPRsForWavesPerEU: 1
; AccumOffset: 4
; Occupancy: 8
; WaveLimiterHint : 0
; COMPUTE_PGM_RSRC2:SCRATCH_EN: 0
; COMPUTE_PGM_RSRC2:USER_SGPR: 2
; COMPUTE_PGM_RSRC2:TRAP_HANDLER: 0
; COMPUTE_PGM_RSRC2:TGID_X_EN: 1
; COMPUTE_PGM_RSRC2:TGID_Y_EN: 0
; COMPUTE_PGM_RSRC2:TGID_Z_EN: 0
; COMPUTE_PGM_RSRC2:TIDIG_COMP_CNT: 0
; COMPUTE_PGM_RSRC3_GFX90A:ACCUM_OFFSET: 0
; COMPUTE_PGM_RSRC3_GFX90A:TG_SPLIT: 0
	.section	.text._ZN7rocprim17ROCPRIM_400000_NS6detail17trampoline_kernelINS0_14default_configENS1_38merge_sort_block_merge_config_selectorIlNS0_10empty_typeEEEZZNS1_27merge_sort_block_merge_implIS3_PlPS5_mZN2at6native12_GLOBAL__N_124unique_dim_cuda_templateItEESt5tupleIJNSA_6TensorESF_SF_EERKSF_lbbbEUlllE_EE10hipError_tT0_T1_T2_jT3_P12ihipStream_tbPNSt15iterator_traitsISL_E10value_typeEPNSR_ISM_E10value_typeEPSN_NS1_7vsmem_tEENKUlT_SL_SM_SN_E_clIS8_S8_S9_S9_EESK_S10_SL_SM_SN_EUlS10_E_NS1_11comp_targetILNS1_3genE2ELNS1_11target_archE906ELNS1_3gpuE6ELNS1_3repE0EEENS1_48merge_mergepath_partition_config_static_selectorELNS0_4arch9wavefront6targetE1EEEvSM_,"axG",@progbits,_ZN7rocprim17ROCPRIM_400000_NS6detail17trampoline_kernelINS0_14default_configENS1_38merge_sort_block_merge_config_selectorIlNS0_10empty_typeEEEZZNS1_27merge_sort_block_merge_implIS3_PlPS5_mZN2at6native12_GLOBAL__N_124unique_dim_cuda_templateItEESt5tupleIJNSA_6TensorESF_SF_EERKSF_lbbbEUlllE_EE10hipError_tT0_T1_T2_jT3_P12ihipStream_tbPNSt15iterator_traitsISL_E10value_typeEPNSR_ISM_E10value_typeEPSN_NS1_7vsmem_tEENKUlT_SL_SM_SN_E_clIS8_S8_S9_S9_EESK_S10_SL_SM_SN_EUlS10_E_NS1_11comp_targetILNS1_3genE2ELNS1_11target_archE906ELNS1_3gpuE6ELNS1_3repE0EEENS1_48merge_mergepath_partition_config_static_selectorELNS0_4arch9wavefront6targetE1EEEvSM_,comdat
	.globl	_ZN7rocprim17ROCPRIM_400000_NS6detail17trampoline_kernelINS0_14default_configENS1_38merge_sort_block_merge_config_selectorIlNS0_10empty_typeEEEZZNS1_27merge_sort_block_merge_implIS3_PlPS5_mZN2at6native12_GLOBAL__N_124unique_dim_cuda_templateItEESt5tupleIJNSA_6TensorESF_SF_EERKSF_lbbbEUlllE_EE10hipError_tT0_T1_T2_jT3_P12ihipStream_tbPNSt15iterator_traitsISL_E10value_typeEPNSR_ISM_E10value_typeEPSN_NS1_7vsmem_tEENKUlT_SL_SM_SN_E_clIS8_S8_S9_S9_EESK_S10_SL_SM_SN_EUlS10_E_NS1_11comp_targetILNS1_3genE2ELNS1_11target_archE906ELNS1_3gpuE6ELNS1_3repE0EEENS1_48merge_mergepath_partition_config_static_selectorELNS0_4arch9wavefront6targetE1EEEvSM_ ; -- Begin function _ZN7rocprim17ROCPRIM_400000_NS6detail17trampoline_kernelINS0_14default_configENS1_38merge_sort_block_merge_config_selectorIlNS0_10empty_typeEEEZZNS1_27merge_sort_block_merge_implIS3_PlPS5_mZN2at6native12_GLOBAL__N_124unique_dim_cuda_templateItEESt5tupleIJNSA_6TensorESF_SF_EERKSF_lbbbEUlllE_EE10hipError_tT0_T1_T2_jT3_P12ihipStream_tbPNSt15iterator_traitsISL_E10value_typeEPNSR_ISM_E10value_typeEPSN_NS1_7vsmem_tEENKUlT_SL_SM_SN_E_clIS8_S8_S9_S9_EESK_S10_SL_SM_SN_EUlS10_E_NS1_11comp_targetILNS1_3genE2ELNS1_11target_archE906ELNS1_3gpuE6ELNS1_3repE0EEENS1_48merge_mergepath_partition_config_static_selectorELNS0_4arch9wavefront6targetE1EEEvSM_
	.p2align	8
	.type	_ZN7rocprim17ROCPRIM_400000_NS6detail17trampoline_kernelINS0_14default_configENS1_38merge_sort_block_merge_config_selectorIlNS0_10empty_typeEEEZZNS1_27merge_sort_block_merge_implIS3_PlPS5_mZN2at6native12_GLOBAL__N_124unique_dim_cuda_templateItEESt5tupleIJNSA_6TensorESF_SF_EERKSF_lbbbEUlllE_EE10hipError_tT0_T1_T2_jT3_P12ihipStream_tbPNSt15iterator_traitsISL_E10value_typeEPNSR_ISM_E10value_typeEPSN_NS1_7vsmem_tEENKUlT_SL_SM_SN_E_clIS8_S8_S9_S9_EESK_S10_SL_SM_SN_EUlS10_E_NS1_11comp_targetILNS1_3genE2ELNS1_11target_archE906ELNS1_3gpuE6ELNS1_3repE0EEENS1_48merge_mergepath_partition_config_static_selectorELNS0_4arch9wavefront6targetE1EEEvSM_,@function
_ZN7rocprim17ROCPRIM_400000_NS6detail17trampoline_kernelINS0_14default_configENS1_38merge_sort_block_merge_config_selectorIlNS0_10empty_typeEEEZZNS1_27merge_sort_block_merge_implIS3_PlPS5_mZN2at6native12_GLOBAL__N_124unique_dim_cuda_templateItEESt5tupleIJNSA_6TensorESF_SF_EERKSF_lbbbEUlllE_EE10hipError_tT0_T1_T2_jT3_P12ihipStream_tbPNSt15iterator_traitsISL_E10value_typeEPNSR_ISM_E10value_typeEPSN_NS1_7vsmem_tEENKUlT_SL_SM_SN_E_clIS8_S8_S9_S9_EESK_S10_SL_SM_SN_EUlS10_E_NS1_11comp_targetILNS1_3genE2ELNS1_11target_archE906ELNS1_3gpuE6ELNS1_3repE0EEENS1_48merge_mergepath_partition_config_static_selectorELNS0_4arch9wavefront6targetE1EEEvSM_: ; @_ZN7rocprim17ROCPRIM_400000_NS6detail17trampoline_kernelINS0_14default_configENS1_38merge_sort_block_merge_config_selectorIlNS0_10empty_typeEEEZZNS1_27merge_sort_block_merge_implIS3_PlPS5_mZN2at6native12_GLOBAL__N_124unique_dim_cuda_templateItEESt5tupleIJNSA_6TensorESF_SF_EERKSF_lbbbEUlllE_EE10hipError_tT0_T1_T2_jT3_P12ihipStream_tbPNSt15iterator_traitsISL_E10value_typeEPNSR_ISM_E10value_typeEPSN_NS1_7vsmem_tEENKUlT_SL_SM_SN_E_clIS8_S8_S9_S9_EESK_S10_SL_SM_SN_EUlS10_E_NS1_11comp_targetILNS1_3genE2ELNS1_11target_archE906ELNS1_3gpuE6ELNS1_3repE0EEENS1_48merge_mergepath_partition_config_static_selectorELNS0_4arch9wavefront6targetE1EEEvSM_
; %bb.0:
	.section	.rodata,"a",@progbits
	.p2align	6, 0x0
	.amdhsa_kernel _ZN7rocprim17ROCPRIM_400000_NS6detail17trampoline_kernelINS0_14default_configENS1_38merge_sort_block_merge_config_selectorIlNS0_10empty_typeEEEZZNS1_27merge_sort_block_merge_implIS3_PlPS5_mZN2at6native12_GLOBAL__N_124unique_dim_cuda_templateItEESt5tupleIJNSA_6TensorESF_SF_EERKSF_lbbbEUlllE_EE10hipError_tT0_T1_T2_jT3_P12ihipStream_tbPNSt15iterator_traitsISL_E10value_typeEPNSR_ISM_E10value_typeEPSN_NS1_7vsmem_tEENKUlT_SL_SM_SN_E_clIS8_S8_S9_S9_EESK_S10_SL_SM_SN_EUlS10_E_NS1_11comp_targetILNS1_3genE2ELNS1_11target_archE906ELNS1_3gpuE6ELNS1_3repE0EEENS1_48merge_mergepath_partition_config_static_selectorELNS0_4arch9wavefront6targetE1EEEvSM_
		.amdhsa_group_segment_fixed_size 0
		.amdhsa_private_segment_fixed_size 0
		.amdhsa_kernarg_size 56
		.amdhsa_user_sgpr_count 2
		.amdhsa_user_sgpr_dispatch_ptr 0
		.amdhsa_user_sgpr_queue_ptr 0
		.amdhsa_user_sgpr_kernarg_segment_ptr 1
		.amdhsa_user_sgpr_dispatch_id 0
		.amdhsa_user_sgpr_kernarg_preload_length 0
		.amdhsa_user_sgpr_kernarg_preload_offset 0
		.amdhsa_user_sgpr_private_segment_size 0
		.amdhsa_uses_dynamic_stack 0
		.amdhsa_enable_private_segment 0
		.amdhsa_system_sgpr_workgroup_id_x 1
		.amdhsa_system_sgpr_workgroup_id_y 0
		.amdhsa_system_sgpr_workgroup_id_z 0
		.amdhsa_system_sgpr_workgroup_info 0
		.amdhsa_system_vgpr_workitem_id 0
		.amdhsa_next_free_vgpr 1
		.amdhsa_next_free_sgpr 0
		.amdhsa_accum_offset 4
		.amdhsa_reserve_vcc 0
		.amdhsa_float_round_mode_32 0
		.amdhsa_float_round_mode_16_64 0
		.amdhsa_float_denorm_mode_32 3
		.amdhsa_float_denorm_mode_16_64 3
		.amdhsa_dx10_clamp 1
		.amdhsa_ieee_mode 1
		.amdhsa_fp16_overflow 0
		.amdhsa_tg_split 0
		.amdhsa_exception_fp_ieee_invalid_op 0
		.amdhsa_exception_fp_denorm_src 0
		.amdhsa_exception_fp_ieee_div_zero 0
		.amdhsa_exception_fp_ieee_overflow 0
		.amdhsa_exception_fp_ieee_underflow 0
		.amdhsa_exception_fp_ieee_inexact 0
		.amdhsa_exception_int_div_zero 0
	.end_amdhsa_kernel
	.section	.text._ZN7rocprim17ROCPRIM_400000_NS6detail17trampoline_kernelINS0_14default_configENS1_38merge_sort_block_merge_config_selectorIlNS0_10empty_typeEEEZZNS1_27merge_sort_block_merge_implIS3_PlPS5_mZN2at6native12_GLOBAL__N_124unique_dim_cuda_templateItEESt5tupleIJNSA_6TensorESF_SF_EERKSF_lbbbEUlllE_EE10hipError_tT0_T1_T2_jT3_P12ihipStream_tbPNSt15iterator_traitsISL_E10value_typeEPNSR_ISM_E10value_typeEPSN_NS1_7vsmem_tEENKUlT_SL_SM_SN_E_clIS8_S8_S9_S9_EESK_S10_SL_SM_SN_EUlS10_E_NS1_11comp_targetILNS1_3genE2ELNS1_11target_archE906ELNS1_3gpuE6ELNS1_3repE0EEENS1_48merge_mergepath_partition_config_static_selectorELNS0_4arch9wavefront6targetE1EEEvSM_,"axG",@progbits,_ZN7rocprim17ROCPRIM_400000_NS6detail17trampoline_kernelINS0_14default_configENS1_38merge_sort_block_merge_config_selectorIlNS0_10empty_typeEEEZZNS1_27merge_sort_block_merge_implIS3_PlPS5_mZN2at6native12_GLOBAL__N_124unique_dim_cuda_templateItEESt5tupleIJNSA_6TensorESF_SF_EERKSF_lbbbEUlllE_EE10hipError_tT0_T1_T2_jT3_P12ihipStream_tbPNSt15iterator_traitsISL_E10value_typeEPNSR_ISM_E10value_typeEPSN_NS1_7vsmem_tEENKUlT_SL_SM_SN_E_clIS8_S8_S9_S9_EESK_S10_SL_SM_SN_EUlS10_E_NS1_11comp_targetILNS1_3genE2ELNS1_11target_archE906ELNS1_3gpuE6ELNS1_3repE0EEENS1_48merge_mergepath_partition_config_static_selectorELNS0_4arch9wavefront6targetE1EEEvSM_,comdat
.Lfunc_end1375:
	.size	_ZN7rocprim17ROCPRIM_400000_NS6detail17trampoline_kernelINS0_14default_configENS1_38merge_sort_block_merge_config_selectorIlNS0_10empty_typeEEEZZNS1_27merge_sort_block_merge_implIS3_PlPS5_mZN2at6native12_GLOBAL__N_124unique_dim_cuda_templateItEESt5tupleIJNSA_6TensorESF_SF_EERKSF_lbbbEUlllE_EE10hipError_tT0_T1_T2_jT3_P12ihipStream_tbPNSt15iterator_traitsISL_E10value_typeEPNSR_ISM_E10value_typeEPSN_NS1_7vsmem_tEENKUlT_SL_SM_SN_E_clIS8_S8_S9_S9_EESK_S10_SL_SM_SN_EUlS10_E_NS1_11comp_targetILNS1_3genE2ELNS1_11target_archE906ELNS1_3gpuE6ELNS1_3repE0EEENS1_48merge_mergepath_partition_config_static_selectorELNS0_4arch9wavefront6targetE1EEEvSM_, .Lfunc_end1375-_ZN7rocprim17ROCPRIM_400000_NS6detail17trampoline_kernelINS0_14default_configENS1_38merge_sort_block_merge_config_selectorIlNS0_10empty_typeEEEZZNS1_27merge_sort_block_merge_implIS3_PlPS5_mZN2at6native12_GLOBAL__N_124unique_dim_cuda_templateItEESt5tupleIJNSA_6TensorESF_SF_EERKSF_lbbbEUlllE_EE10hipError_tT0_T1_T2_jT3_P12ihipStream_tbPNSt15iterator_traitsISL_E10value_typeEPNSR_ISM_E10value_typeEPSN_NS1_7vsmem_tEENKUlT_SL_SM_SN_E_clIS8_S8_S9_S9_EESK_S10_SL_SM_SN_EUlS10_E_NS1_11comp_targetILNS1_3genE2ELNS1_11target_archE906ELNS1_3gpuE6ELNS1_3repE0EEENS1_48merge_mergepath_partition_config_static_selectorELNS0_4arch9wavefront6targetE1EEEvSM_
                                        ; -- End function
	.set _ZN7rocprim17ROCPRIM_400000_NS6detail17trampoline_kernelINS0_14default_configENS1_38merge_sort_block_merge_config_selectorIlNS0_10empty_typeEEEZZNS1_27merge_sort_block_merge_implIS3_PlPS5_mZN2at6native12_GLOBAL__N_124unique_dim_cuda_templateItEESt5tupleIJNSA_6TensorESF_SF_EERKSF_lbbbEUlllE_EE10hipError_tT0_T1_T2_jT3_P12ihipStream_tbPNSt15iterator_traitsISL_E10value_typeEPNSR_ISM_E10value_typeEPSN_NS1_7vsmem_tEENKUlT_SL_SM_SN_E_clIS8_S8_S9_S9_EESK_S10_SL_SM_SN_EUlS10_E_NS1_11comp_targetILNS1_3genE2ELNS1_11target_archE906ELNS1_3gpuE6ELNS1_3repE0EEENS1_48merge_mergepath_partition_config_static_selectorELNS0_4arch9wavefront6targetE1EEEvSM_.num_vgpr, 0
	.set _ZN7rocprim17ROCPRIM_400000_NS6detail17trampoline_kernelINS0_14default_configENS1_38merge_sort_block_merge_config_selectorIlNS0_10empty_typeEEEZZNS1_27merge_sort_block_merge_implIS3_PlPS5_mZN2at6native12_GLOBAL__N_124unique_dim_cuda_templateItEESt5tupleIJNSA_6TensorESF_SF_EERKSF_lbbbEUlllE_EE10hipError_tT0_T1_T2_jT3_P12ihipStream_tbPNSt15iterator_traitsISL_E10value_typeEPNSR_ISM_E10value_typeEPSN_NS1_7vsmem_tEENKUlT_SL_SM_SN_E_clIS8_S8_S9_S9_EESK_S10_SL_SM_SN_EUlS10_E_NS1_11comp_targetILNS1_3genE2ELNS1_11target_archE906ELNS1_3gpuE6ELNS1_3repE0EEENS1_48merge_mergepath_partition_config_static_selectorELNS0_4arch9wavefront6targetE1EEEvSM_.num_agpr, 0
	.set _ZN7rocprim17ROCPRIM_400000_NS6detail17trampoline_kernelINS0_14default_configENS1_38merge_sort_block_merge_config_selectorIlNS0_10empty_typeEEEZZNS1_27merge_sort_block_merge_implIS3_PlPS5_mZN2at6native12_GLOBAL__N_124unique_dim_cuda_templateItEESt5tupleIJNSA_6TensorESF_SF_EERKSF_lbbbEUlllE_EE10hipError_tT0_T1_T2_jT3_P12ihipStream_tbPNSt15iterator_traitsISL_E10value_typeEPNSR_ISM_E10value_typeEPSN_NS1_7vsmem_tEENKUlT_SL_SM_SN_E_clIS8_S8_S9_S9_EESK_S10_SL_SM_SN_EUlS10_E_NS1_11comp_targetILNS1_3genE2ELNS1_11target_archE906ELNS1_3gpuE6ELNS1_3repE0EEENS1_48merge_mergepath_partition_config_static_selectorELNS0_4arch9wavefront6targetE1EEEvSM_.numbered_sgpr, 0
	.set _ZN7rocprim17ROCPRIM_400000_NS6detail17trampoline_kernelINS0_14default_configENS1_38merge_sort_block_merge_config_selectorIlNS0_10empty_typeEEEZZNS1_27merge_sort_block_merge_implIS3_PlPS5_mZN2at6native12_GLOBAL__N_124unique_dim_cuda_templateItEESt5tupleIJNSA_6TensorESF_SF_EERKSF_lbbbEUlllE_EE10hipError_tT0_T1_T2_jT3_P12ihipStream_tbPNSt15iterator_traitsISL_E10value_typeEPNSR_ISM_E10value_typeEPSN_NS1_7vsmem_tEENKUlT_SL_SM_SN_E_clIS8_S8_S9_S9_EESK_S10_SL_SM_SN_EUlS10_E_NS1_11comp_targetILNS1_3genE2ELNS1_11target_archE906ELNS1_3gpuE6ELNS1_3repE0EEENS1_48merge_mergepath_partition_config_static_selectorELNS0_4arch9wavefront6targetE1EEEvSM_.num_named_barrier, 0
	.set _ZN7rocprim17ROCPRIM_400000_NS6detail17trampoline_kernelINS0_14default_configENS1_38merge_sort_block_merge_config_selectorIlNS0_10empty_typeEEEZZNS1_27merge_sort_block_merge_implIS3_PlPS5_mZN2at6native12_GLOBAL__N_124unique_dim_cuda_templateItEESt5tupleIJNSA_6TensorESF_SF_EERKSF_lbbbEUlllE_EE10hipError_tT0_T1_T2_jT3_P12ihipStream_tbPNSt15iterator_traitsISL_E10value_typeEPNSR_ISM_E10value_typeEPSN_NS1_7vsmem_tEENKUlT_SL_SM_SN_E_clIS8_S8_S9_S9_EESK_S10_SL_SM_SN_EUlS10_E_NS1_11comp_targetILNS1_3genE2ELNS1_11target_archE906ELNS1_3gpuE6ELNS1_3repE0EEENS1_48merge_mergepath_partition_config_static_selectorELNS0_4arch9wavefront6targetE1EEEvSM_.private_seg_size, 0
	.set _ZN7rocprim17ROCPRIM_400000_NS6detail17trampoline_kernelINS0_14default_configENS1_38merge_sort_block_merge_config_selectorIlNS0_10empty_typeEEEZZNS1_27merge_sort_block_merge_implIS3_PlPS5_mZN2at6native12_GLOBAL__N_124unique_dim_cuda_templateItEESt5tupleIJNSA_6TensorESF_SF_EERKSF_lbbbEUlllE_EE10hipError_tT0_T1_T2_jT3_P12ihipStream_tbPNSt15iterator_traitsISL_E10value_typeEPNSR_ISM_E10value_typeEPSN_NS1_7vsmem_tEENKUlT_SL_SM_SN_E_clIS8_S8_S9_S9_EESK_S10_SL_SM_SN_EUlS10_E_NS1_11comp_targetILNS1_3genE2ELNS1_11target_archE906ELNS1_3gpuE6ELNS1_3repE0EEENS1_48merge_mergepath_partition_config_static_selectorELNS0_4arch9wavefront6targetE1EEEvSM_.uses_vcc, 0
	.set _ZN7rocprim17ROCPRIM_400000_NS6detail17trampoline_kernelINS0_14default_configENS1_38merge_sort_block_merge_config_selectorIlNS0_10empty_typeEEEZZNS1_27merge_sort_block_merge_implIS3_PlPS5_mZN2at6native12_GLOBAL__N_124unique_dim_cuda_templateItEESt5tupleIJNSA_6TensorESF_SF_EERKSF_lbbbEUlllE_EE10hipError_tT0_T1_T2_jT3_P12ihipStream_tbPNSt15iterator_traitsISL_E10value_typeEPNSR_ISM_E10value_typeEPSN_NS1_7vsmem_tEENKUlT_SL_SM_SN_E_clIS8_S8_S9_S9_EESK_S10_SL_SM_SN_EUlS10_E_NS1_11comp_targetILNS1_3genE2ELNS1_11target_archE906ELNS1_3gpuE6ELNS1_3repE0EEENS1_48merge_mergepath_partition_config_static_selectorELNS0_4arch9wavefront6targetE1EEEvSM_.uses_flat_scratch, 0
	.set _ZN7rocprim17ROCPRIM_400000_NS6detail17trampoline_kernelINS0_14default_configENS1_38merge_sort_block_merge_config_selectorIlNS0_10empty_typeEEEZZNS1_27merge_sort_block_merge_implIS3_PlPS5_mZN2at6native12_GLOBAL__N_124unique_dim_cuda_templateItEESt5tupleIJNSA_6TensorESF_SF_EERKSF_lbbbEUlllE_EE10hipError_tT0_T1_T2_jT3_P12ihipStream_tbPNSt15iterator_traitsISL_E10value_typeEPNSR_ISM_E10value_typeEPSN_NS1_7vsmem_tEENKUlT_SL_SM_SN_E_clIS8_S8_S9_S9_EESK_S10_SL_SM_SN_EUlS10_E_NS1_11comp_targetILNS1_3genE2ELNS1_11target_archE906ELNS1_3gpuE6ELNS1_3repE0EEENS1_48merge_mergepath_partition_config_static_selectorELNS0_4arch9wavefront6targetE1EEEvSM_.has_dyn_sized_stack, 0
	.set _ZN7rocprim17ROCPRIM_400000_NS6detail17trampoline_kernelINS0_14default_configENS1_38merge_sort_block_merge_config_selectorIlNS0_10empty_typeEEEZZNS1_27merge_sort_block_merge_implIS3_PlPS5_mZN2at6native12_GLOBAL__N_124unique_dim_cuda_templateItEESt5tupleIJNSA_6TensorESF_SF_EERKSF_lbbbEUlllE_EE10hipError_tT0_T1_T2_jT3_P12ihipStream_tbPNSt15iterator_traitsISL_E10value_typeEPNSR_ISM_E10value_typeEPSN_NS1_7vsmem_tEENKUlT_SL_SM_SN_E_clIS8_S8_S9_S9_EESK_S10_SL_SM_SN_EUlS10_E_NS1_11comp_targetILNS1_3genE2ELNS1_11target_archE906ELNS1_3gpuE6ELNS1_3repE0EEENS1_48merge_mergepath_partition_config_static_selectorELNS0_4arch9wavefront6targetE1EEEvSM_.has_recursion, 0
	.set _ZN7rocprim17ROCPRIM_400000_NS6detail17trampoline_kernelINS0_14default_configENS1_38merge_sort_block_merge_config_selectorIlNS0_10empty_typeEEEZZNS1_27merge_sort_block_merge_implIS3_PlPS5_mZN2at6native12_GLOBAL__N_124unique_dim_cuda_templateItEESt5tupleIJNSA_6TensorESF_SF_EERKSF_lbbbEUlllE_EE10hipError_tT0_T1_T2_jT3_P12ihipStream_tbPNSt15iterator_traitsISL_E10value_typeEPNSR_ISM_E10value_typeEPSN_NS1_7vsmem_tEENKUlT_SL_SM_SN_E_clIS8_S8_S9_S9_EESK_S10_SL_SM_SN_EUlS10_E_NS1_11comp_targetILNS1_3genE2ELNS1_11target_archE906ELNS1_3gpuE6ELNS1_3repE0EEENS1_48merge_mergepath_partition_config_static_selectorELNS0_4arch9wavefront6targetE1EEEvSM_.has_indirect_call, 0
	.section	.AMDGPU.csdata,"",@progbits
; Kernel info:
; codeLenInByte = 0
; TotalNumSgprs: 6
; NumVgprs: 0
; NumAgprs: 0
; TotalNumVgprs: 0
; ScratchSize: 0
; MemoryBound: 0
; FloatMode: 240
; IeeeMode: 1
; LDSByteSize: 0 bytes/workgroup (compile time only)
; SGPRBlocks: 0
; VGPRBlocks: 0
; NumSGPRsForWavesPerEU: 6
; NumVGPRsForWavesPerEU: 1
; AccumOffset: 4
; Occupancy: 8
; WaveLimiterHint : 0
; COMPUTE_PGM_RSRC2:SCRATCH_EN: 0
; COMPUTE_PGM_RSRC2:USER_SGPR: 2
; COMPUTE_PGM_RSRC2:TRAP_HANDLER: 0
; COMPUTE_PGM_RSRC2:TGID_X_EN: 1
; COMPUTE_PGM_RSRC2:TGID_Y_EN: 0
; COMPUTE_PGM_RSRC2:TGID_Z_EN: 0
; COMPUTE_PGM_RSRC2:TIDIG_COMP_CNT: 0
; COMPUTE_PGM_RSRC3_GFX90A:ACCUM_OFFSET: 0
; COMPUTE_PGM_RSRC3_GFX90A:TG_SPLIT: 0
	.section	.text._ZN7rocprim17ROCPRIM_400000_NS6detail17trampoline_kernelINS0_14default_configENS1_38merge_sort_block_merge_config_selectorIlNS0_10empty_typeEEEZZNS1_27merge_sort_block_merge_implIS3_PlPS5_mZN2at6native12_GLOBAL__N_124unique_dim_cuda_templateItEESt5tupleIJNSA_6TensorESF_SF_EERKSF_lbbbEUlllE_EE10hipError_tT0_T1_T2_jT3_P12ihipStream_tbPNSt15iterator_traitsISL_E10value_typeEPNSR_ISM_E10value_typeEPSN_NS1_7vsmem_tEENKUlT_SL_SM_SN_E_clIS8_S8_S9_S9_EESK_S10_SL_SM_SN_EUlS10_E_NS1_11comp_targetILNS1_3genE9ELNS1_11target_archE1100ELNS1_3gpuE3ELNS1_3repE0EEENS1_48merge_mergepath_partition_config_static_selectorELNS0_4arch9wavefront6targetE1EEEvSM_,"axG",@progbits,_ZN7rocprim17ROCPRIM_400000_NS6detail17trampoline_kernelINS0_14default_configENS1_38merge_sort_block_merge_config_selectorIlNS0_10empty_typeEEEZZNS1_27merge_sort_block_merge_implIS3_PlPS5_mZN2at6native12_GLOBAL__N_124unique_dim_cuda_templateItEESt5tupleIJNSA_6TensorESF_SF_EERKSF_lbbbEUlllE_EE10hipError_tT0_T1_T2_jT3_P12ihipStream_tbPNSt15iterator_traitsISL_E10value_typeEPNSR_ISM_E10value_typeEPSN_NS1_7vsmem_tEENKUlT_SL_SM_SN_E_clIS8_S8_S9_S9_EESK_S10_SL_SM_SN_EUlS10_E_NS1_11comp_targetILNS1_3genE9ELNS1_11target_archE1100ELNS1_3gpuE3ELNS1_3repE0EEENS1_48merge_mergepath_partition_config_static_selectorELNS0_4arch9wavefront6targetE1EEEvSM_,comdat
	.globl	_ZN7rocprim17ROCPRIM_400000_NS6detail17trampoline_kernelINS0_14default_configENS1_38merge_sort_block_merge_config_selectorIlNS0_10empty_typeEEEZZNS1_27merge_sort_block_merge_implIS3_PlPS5_mZN2at6native12_GLOBAL__N_124unique_dim_cuda_templateItEESt5tupleIJNSA_6TensorESF_SF_EERKSF_lbbbEUlllE_EE10hipError_tT0_T1_T2_jT3_P12ihipStream_tbPNSt15iterator_traitsISL_E10value_typeEPNSR_ISM_E10value_typeEPSN_NS1_7vsmem_tEENKUlT_SL_SM_SN_E_clIS8_S8_S9_S9_EESK_S10_SL_SM_SN_EUlS10_E_NS1_11comp_targetILNS1_3genE9ELNS1_11target_archE1100ELNS1_3gpuE3ELNS1_3repE0EEENS1_48merge_mergepath_partition_config_static_selectorELNS0_4arch9wavefront6targetE1EEEvSM_ ; -- Begin function _ZN7rocprim17ROCPRIM_400000_NS6detail17trampoline_kernelINS0_14default_configENS1_38merge_sort_block_merge_config_selectorIlNS0_10empty_typeEEEZZNS1_27merge_sort_block_merge_implIS3_PlPS5_mZN2at6native12_GLOBAL__N_124unique_dim_cuda_templateItEESt5tupleIJNSA_6TensorESF_SF_EERKSF_lbbbEUlllE_EE10hipError_tT0_T1_T2_jT3_P12ihipStream_tbPNSt15iterator_traitsISL_E10value_typeEPNSR_ISM_E10value_typeEPSN_NS1_7vsmem_tEENKUlT_SL_SM_SN_E_clIS8_S8_S9_S9_EESK_S10_SL_SM_SN_EUlS10_E_NS1_11comp_targetILNS1_3genE9ELNS1_11target_archE1100ELNS1_3gpuE3ELNS1_3repE0EEENS1_48merge_mergepath_partition_config_static_selectorELNS0_4arch9wavefront6targetE1EEEvSM_
	.p2align	8
	.type	_ZN7rocprim17ROCPRIM_400000_NS6detail17trampoline_kernelINS0_14default_configENS1_38merge_sort_block_merge_config_selectorIlNS0_10empty_typeEEEZZNS1_27merge_sort_block_merge_implIS3_PlPS5_mZN2at6native12_GLOBAL__N_124unique_dim_cuda_templateItEESt5tupleIJNSA_6TensorESF_SF_EERKSF_lbbbEUlllE_EE10hipError_tT0_T1_T2_jT3_P12ihipStream_tbPNSt15iterator_traitsISL_E10value_typeEPNSR_ISM_E10value_typeEPSN_NS1_7vsmem_tEENKUlT_SL_SM_SN_E_clIS8_S8_S9_S9_EESK_S10_SL_SM_SN_EUlS10_E_NS1_11comp_targetILNS1_3genE9ELNS1_11target_archE1100ELNS1_3gpuE3ELNS1_3repE0EEENS1_48merge_mergepath_partition_config_static_selectorELNS0_4arch9wavefront6targetE1EEEvSM_,@function
_ZN7rocprim17ROCPRIM_400000_NS6detail17trampoline_kernelINS0_14default_configENS1_38merge_sort_block_merge_config_selectorIlNS0_10empty_typeEEEZZNS1_27merge_sort_block_merge_implIS3_PlPS5_mZN2at6native12_GLOBAL__N_124unique_dim_cuda_templateItEESt5tupleIJNSA_6TensorESF_SF_EERKSF_lbbbEUlllE_EE10hipError_tT0_T1_T2_jT3_P12ihipStream_tbPNSt15iterator_traitsISL_E10value_typeEPNSR_ISM_E10value_typeEPSN_NS1_7vsmem_tEENKUlT_SL_SM_SN_E_clIS8_S8_S9_S9_EESK_S10_SL_SM_SN_EUlS10_E_NS1_11comp_targetILNS1_3genE9ELNS1_11target_archE1100ELNS1_3gpuE3ELNS1_3repE0EEENS1_48merge_mergepath_partition_config_static_selectorELNS0_4arch9wavefront6targetE1EEEvSM_: ; @_ZN7rocprim17ROCPRIM_400000_NS6detail17trampoline_kernelINS0_14default_configENS1_38merge_sort_block_merge_config_selectorIlNS0_10empty_typeEEEZZNS1_27merge_sort_block_merge_implIS3_PlPS5_mZN2at6native12_GLOBAL__N_124unique_dim_cuda_templateItEESt5tupleIJNSA_6TensorESF_SF_EERKSF_lbbbEUlllE_EE10hipError_tT0_T1_T2_jT3_P12ihipStream_tbPNSt15iterator_traitsISL_E10value_typeEPNSR_ISM_E10value_typeEPSN_NS1_7vsmem_tEENKUlT_SL_SM_SN_E_clIS8_S8_S9_S9_EESK_S10_SL_SM_SN_EUlS10_E_NS1_11comp_targetILNS1_3genE9ELNS1_11target_archE1100ELNS1_3gpuE3ELNS1_3repE0EEENS1_48merge_mergepath_partition_config_static_selectorELNS0_4arch9wavefront6targetE1EEEvSM_
; %bb.0:
	.section	.rodata,"a",@progbits
	.p2align	6, 0x0
	.amdhsa_kernel _ZN7rocprim17ROCPRIM_400000_NS6detail17trampoline_kernelINS0_14default_configENS1_38merge_sort_block_merge_config_selectorIlNS0_10empty_typeEEEZZNS1_27merge_sort_block_merge_implIS3_PlPS5_mZN2at6native12_GLOBAL__N_124unique_dim_cuda_templateItEESt5tupleIJNSA_6TensorESF_SF_EERKSF_lbbbEUlllE_EE10hipError_tT0_T1_T2_jT3_P12ihipStream_tbPNSt15iterator_traitsISL_E10value_typeEPNSR_ISM_E10value_typeEPSN_NS1_7vsmem_tEENKUlT_SL_SM_SN_E_clIS8_S8_S9_S9_EESK_S10_SL_SM_SN_EUlS10_E_NS1_11comp_targetILNS1_3genE9ELNS1_11target_archE1100ELNS1_3gpuE3ELNS1_3repE0EEENS1_48merge_mergepath_partition_config_static_selectorELNS0_4arch9wavefront6targetE1EEEvSM_
		.amdhsa_group_segment_fixed_size 0
		.amdhsa_private_segment_fixed_size 0
		.amdhsa_kernarg_size 56
		.amdhsa_user_sgpr_count 2
		.amdhsa_user_sgpr_dispatch_ptr 0
		.amdhsa_user_sgpr_queue_ptr 0
		.amdhsa_user_sgpr_kernarg_segment_ptr 1
		.amdhsa_user_sgpr_dispatch_id 0
		.amdhsa_user_sgpr_kernarg_preload_length 0
		.amdhsa_user_sgpr_kernarg_preload_offset 0
		.amdhsa_user_sgpr_private_segment_size 0
		.amdhsa_uses_dynamic_stack 0
		.amdhsa_enable_private_segment 0
		.amdhsa_system_sgpr_workgroup_id_x 1
		.amdhsa_system_sgpr_workgroup_id_y 0
		.amdhsa_system_sgpr_workgroup_id_z 0
		.amdhsa_system_sgpr_workgroup_info 0
		.amdhsa_system_vgpr_workitem_id 0
		.amdhsa_next_free_vgpr 1
		.amdhsa_next_free_sgpr 0
		.amdhsa_accum_offset 4
		.amdhsa_reserve_vcc 0
		.amdhsa_float_round_mode_32 0
		.amdhsa_float_round_mode_16_64 0
		.amdhsa_float_denorm_mode_32 3
		.amdhsa_float_denorm_mode_16_64 3
		.amdhsa_dx10_clamp 1
		.amdhsa_ieee_mode 1
		.amdhsa_fp16_overflow 0
		.amdhsa_tg_split 0
		.amdhsa_exception_fp_ieee_invalid_op 0
		.amdhsa_exception_fp_denorm_src 0
		.amdhsa_exception_fp_ieee_div_zero 0
		.amdhsa_exception_fp_ieee_overflow 0
		.amdhsa_exception_fp_ieee_underflow 0
		.amdhsa_exception_fp_ieee_inexact 0
		.amdhsa_exception_int_div_zero 0
	.end_amdhsa_kernel
	.section	.text._ZN7rocprim17ROCPRIM_400000_NS6detail17trampoline_kernelINS0_14default_configENS1_38merge_sort_block_merge_config_selectorIlNS0_10empty_typeEEEZZNS1_27merge_sort_block_merge_implIS3_PlPS5_mZN2at6native12_GLOBAL__N_124unique_dim_cuda_templateItEESt5tupleIJNSA_6TensorESF_SF_EERKSF_lbbbEUlllE_EE10hipError_tT0_T1_T2_jT3_P12ihipStream_tbPNSt15iterator_traitsISL_E10value_typeEPNSR_ISM_E10value_typeEPSN_NS1_7vsmem_tEENKUlT_SL_SM_SN_E_clIS8_S8_S9_S9_EESK_S10_SL_SM_SN_EUlS10_E_NS1_11comp_targetILNS1_3genE9ELNS1_11target_archE1100ELNS1_3gpuE3ELNS1_3repE0EEENS1_48merge_mergepath_partition_config_static_selectorELNS0_4arch9wavefront6targetE1EEEvSM_,"axG",@progbits,_ZN7rocprim17ROCPRIM_400000_NS6detail17trampoline_kernelINS0_14default_configENS1_38merge_sort_block_merge_config_selectorIlNS0_10empty_typeEEEZZNS1_27merge_sort_block_merge_implIS3_PlPS5_mZN2at6native12_GLOBAL__N_124unique_dim_cuda_templateItEESt5tupleIJNSA_6TensorESF_SF_EERKSF_lbbbEUlllE_EE10hipError_tT0_T1_T2_jT3_P12ihipStream_tbPNSt15iterator_traitsISL_E10value_typeEPNSR_ISM_E10value_typeEPSN_NS1_7vsmem_tEENKUlT_SL_SM_SN_E_clIS8_S8_S9_S9_EESK_S10_SL_SM_SN_EUlS10_E_NS1_11comp_targetILNS1_3genE9ELNS1_11target_archE1100ELNS1_3gpuE3ELNS1_3repE0EEENS1_48merge_mergepath_partition_config_static_selectorELNS0_4arch9wavefront6targetE1EEEvSM_,comdat
.Lfunc_end1376:
	.size	_ZN7rocprim17ROCPRIM_400000_NS6detail17trampoline_kernelINS0_14default_configENS1_38merge_sort_block_merge_config_selectorIlNS0_10empty_typeEEEZZNS1_27merge_sort_block_merge_implIS3_PlPS5_mZN2at6native12_GLOBAL__N_124unique_dim_cuda_templateItEESt5tupleIJNSA_6TensorESF_SF_EERKSF_lbbbEUlllE_EE10hipError_tT0_T1_T2_jT3_P12ihipStream_tbPNSt15iterator_traitsISL_E10value_typeEPNSR_ISM_E10value_typeEPSN_NS1_7vsmem_tEENKUlT_SL_SM_SN_E_clIS8_S8_S9_S9_EESK_S10_SL_SM_SN_EUlS10_E_NS1_11comp_targetILNS1_3genE9ELNS1_11target_archE1100ELNS1_3gpuE3ELNS1_3repE0EEENS1_48merge_mergepath_partition_config_static_selectorELNS0_4arch9wavefront6targetE1EEEvSM_, .Lfunc_end1376-_ZN7rocprim17ROCPRIM_400000_NS6detail17trampoline_kernelINS0_14default_configENS1_38merge_sort_block_merge_config_selectorIlNS0_10empty_typeEEEZZNS1_27merge_sort_block_merge_implIS3_PlPS5_mZN2at6native12_GLOBAL__N_124unique_dim_cuda_templateItEESt5tupleIJNSA_6TensorESF_SF_EERKSF_lbbbEUlllE_EE10hipError_tT0_T1_T2_jT3_P12ihipStream_tbPNSt15iterator_traitsISL_E10value_typeEPNSR_ISM_E10value_typeEPSN_NS1_7vsmem_tEENKUlT_SL_SM_SN_E_clIS8_S8_S9_S9_EESK_S10_SL_SM_SN_EUlS10_E_NS1_11comp_targetILNS1_3genE9ELNS1_11target_archE1100ELNS1_3gpuE3ELNS1_3repE0EEENS1_48merge_mergepath_partition_config_static_selectorELNS0_4arch9wavefront6targetE1EEEvSM_
                                        ; -- End function
	.set _ZN7rocprim17ROCPRIM_400000_NS6detail17trampoline_kernelINS0_14default_configENS1_38merge_sort_block_merge_config_selectorIlNS0_10empty_typeEEEZZNS1_27merge_sort_block_merge_implIS3_PlPS5_mZN2at6native12_GLOBAL__N_124unique_dim_cuda_templateItEESt5tupleIJNSA_6TensorESF_SF_EERKSF_lbbbEUlllE_EE10hipError_tT0_T1_T2_jT3_P12ihipStream_tbPNSt15iterator_traitsISL_E10value_typeEPNSR_ISM_E10value_typeEPSN_NS1_7vsmem_tEENKUlT_SL_SM_SN_E_clIS8_S8_S9_S9_EESK_S10_SL_SM_SN_EUlS10_E_NS1_11comp_targetILNS1_3genE9ELNS1_11target_archE1100ELNS1_3gpuE3ELNS1_3repE0EEENS1_48merge_mergepath_partition_config_static_selectorELNS0_4arch9wavefront6targetE1EEEvSM_.num_vgpr, 0
	.set _ZN7rocprim17ROCPRIM_400000_NS6detail17trampoline_kernelINS0_14default_configENS1_38merge_sort_block_merge_config_selectorIlNS0_10empty_typeEEEZZNS1_27merge_sort_block_merge_implIS3_PlPS5_mZN2at6native12_GLOBAL__N_124unique_dim_cuda_templateItEESt5tupleIJNSA_6TensorESF_SF_EERKSF_lbbbEUlllE_EE10hipError_tT0_T1_T2_jT3_P12ihipStream_tbPNSt15iterator_traitsISL_E10value_typeEPNSR_ISM_E10value_typeEPSN_NS1_7vsmem_tEENKUlT_SL_SM_SN_E_clIS8_S8_S9_S9_EESK_S10_SL_SM_SN_EUlS10_E_NS1_11comp_targetILNS1_3genE9ELNS1_11target_archE1100ELNS1_3gpuE3ELNS1_3repE0EEENS1_48merge_mergepath_partition_config_static_selectorELNS0_4arch9wavefront6targetE1EEEvSM_.num_agpr, 0
	.set _ZN7rocprim17ROCPRIM_400000_NS6detail17trampoline_kernelINS0_14default_configENS1_38merge_sort_block_merge_config_selectorIlNS0_10empty_typeEEEZZNS1_27merge_sort_block_merge_implIS3_PlPS5_mZN2at6native12_GLOBAL__N_124unique_dim_cuda_templateItEESt5tupleIJNSA_6TensorESF_SF_EERKSF_lbbbEUlllE_EE10hipError_tT0_T1_T2_jT3_P12ihipStream_tbPNSt15iterator_traitsISL_E10value_typeEPNSR_ISM_E10value_typeEPSN_NS1_7vsmem_tEENKUlT_SL_SM_SN_E_clIS8_S8_S9_S9_EESK_S10_SL_SM_SN_EUlS10_E_NS1_11comp_targetILNS1_3genE9ELNS1_11target_archE1100ELNS1_3gpuE3ELNS1_3repE0EEENS1_48merge_mergepath_partition_config_static_selectorELNS0_4arch9wavefront6targetE1EEEvSM_.numbered_sgpr, 0
	.set _ZN7rocprim17ROCPRIM_400000_NS6detail17trampoline_kernelINS0_14default_configENS1_38merge_sort_block_merge_config_selectorIlNS0_10empty_typeEEEZZNS1_27merge_sort_block_merge_implIS3_PlPS5_mZN2at6native12_GLOBAL__N_124unique_dim_cuda_templateItEESt5tupleIJNSA_6TensorESF_SF_EERKSF_lbbbEUlllE_EE10hipError_tT0_T1_T2_jT3_P12ihipStream_tbPNSt15iterator_traitsISL_E10value_typeEPNSR_ISM_E10value_typeEPSN_NS1_7vsmem_tEENKUlT_SL_SM_SN_E_clIS8_S8_S9_S9_EESK_S10_SL_SM_SN_EUlS10_E_NS1_11comp_targetILNS1_3genE9ELNS1_11target_archE1100ELNS1_3gpuE3ELNS1_3repE0EEENS1_48merge_mergepath_partition_config_static_selectorELNS0_4arch9wavefront6targetE1EEEvSM_.num_named_barrier, 0
	.set _ZN7rocprim17ROCPRIM_400000_NS6detail17trampoline_kernelINS0_14default_configENS1_38merge_sort_block_merge_config_selectorIlNS0_10empty_typeEEEZZNS1_27merge_sort_block_merge_implIS3_PlPS5_mZN2at6native12_GLOBAL__N_124unique_dim_cuda_templateItEESt5tupleIJNSA_6TensorESF_SF_EERKSF_lbbbEUlllE_EE10hipError_tT0_T1_T2_jT3_P12ihipStream_tbPNSt15iterator_traitsISL_E10value_typeEPNSR_ISM_E10value_typeEPSN_NS1_7vsmem_tEENKUlT_SL_SM_SN_E_clIS8_S8_S9_S9_EESK_S10_SL_SM_SN_EUlS10_E_NS1_11comp_targetILNS1_3genE9ELNS1_11target_archE1100ELNS1_3gpuE3ELNS1_3repE0EEENS1_48merge_mergepath_partition_config_static_selectorELNS0_4arch9wavefront6targetE1EEEvSM_.private_seg_size, 0
	.set _ZN7rocprim17ROCPRIM_400000_NS6detail17trampoline_kernelINS0_14default_configENS1_38merge_sort_block_merge_config_selectorIlNS0_10empty_typeEEEZZNS1_27merge_sort_block_merge_implIS3_PlPS5_mZN2at6native12_GLOBAL__N_124unique_dim_cuda_templateItEESt5tupleIJNSA_6TensorESF_SF_EERKSF_lbbbEUlllE_EE10hipError_tT0_T1_T2_jT3_P12ihipStream_tbPNSt15iterator_traitsISL_E10value_typeEPNSR_ISM_E10value_typeEPSN_NS1_7vsmem_tEENKUlT_SL_SM_SN_E_clIS8_S8_S9_S9_EESK_S10_SL_SM_SN_EUlS10_E_NS1_11comp_targetILNS1_3genE9ELNS1_11target_archE1100ELNS1_3gpuE3ELNS1_3repE0EEENS1_48merge_mergepath_partition_config_static_selectorELNS0_4arch9wavefront6targetE1EEEvSM_.uses_vcc, 0
	.set _ZN7rocprim17ROCPRIM_400000_NS6detail17trampoline_kernelINS0_14default_configENS1_38merge_sort_block_merge_config_selectorIlNS0_10empty_typeEEEZZNS1_27merge_sort_block_merge_implIS3_PlPS5_mZN2at6native12_GLOBAL__N_124unique_dim_cuda_templateItEESt5tupleIJNSA_6TensorESF_SF_EERKSF_lbbbEUlllE_EE10hipError_tT0_T1_T2_jT3_P12ihipStream_tbPNSt15iterator_traitsISL_E10value_typeEPNSR_ISM_E10value_typeEPSN_NS1_7vsmem_tEENKUlT_SL_SM_SN_E_clIS8_S8_S9_S9_EESK_S10_SL_SM_SN_EUlS10_E_NS1_11comp_targetILNS1_3genE9ELNS1_11target_archE1100ELNS1_3gpuE3ELNS1_3repE0EEENS1_48merge_mergepath_partition_config_static_selectorELNS0_4arch9wavefront6targetE1EEEvSM_.uses_flat_scratch, 0
	.set _ZN7rocprim17ROCPRIM_400000_NS6detail17trampoline_kernelINS0_14default_configENS1_38merge_sort_block_merge_config_selectorIlNS0_10empty_typeEEEZZNS1_27merge_sort_block_merge_implIS3_PlPS5_mZN2at6native12_GLOBAL__N_124unique_dim_cuda_templateItEESt5tupleIJNSA_6TensorESF_SF_EERKSF_lbbbEUlllE_EE10hipError_tT0_T1_T2_jT3_P12ihipStream_tbPNSt15iterator_traitsISL_E10value_typeEPNSR_ISM_E10value_typeEPSN_NS1_7vsmem_tEENKUlT_SL_SM_SN_E_clIS8_S8_S9_S9_EESK_S10_SL_SM_SN_EUlS10_E_NS1_11comp_targetILNS1_3genE9ELNS1_11target_archE1100ELNS1_3gpuE3ELNS1_3repE0EEENS1_48merge_mergepath_partition_config_static_selectorELNS0_4arch9wavefront6targetE1EEEvSM_.has_dyn_sized_stack, 0
	.set _ZN7rocprim17ROCPRIM_400000_NS6detail17trampoline_kernelINS0_14default_configENS1_38merge_sort_block_merge_config_selectorIlNS0_10empty_typeEEEZZNS1_27merge_sort_block_merge_implIS3_PlPS5_mZN2at6native12_GLOBAL__N_124unique_dim_cuda_templateItEESt5tupleIJNSA_6TensorESF_SF_EERKSF_lbbbEUlllE_EE10hipError_tT0_T1_T2_jT3_P12ihipStream_tbPNSt15iterator_traitsISL_E10value_typeEPNSR_ISM_E10value_typeEPSN_NS1_7vsmem_tEENKUlT_SL_SM_SN_E_clIS8_S8_S9_S9_EESK_S10_SL_SM_SN_EUlS10_E_NS1_11comp_targetILNS1_3genE9ELNS1_11target_archE1100ELNS1_3gpuE3ELNS1_3repE0EEENS1_48merge_mergepath_partition_config_static_selectorELNS0_4arch9wavefront6targetE1EEEvSM_.has_recursion, 0
	.set _ZN7rocprim17ROCPRIM_400000_NS6detail17trampoline_kernelINS0_14default_configENS1_38merge_sort_block_merge_config_selectorIlNS0_10empty_typeEEEZZNS1_27merge_sort_block_merge_implIS3_PlPS5_mZN2at6native12_GLOBAL__N_124unique_dim_cuda_templateItEESt5tupleIJNSA_6TensorESF_SF_EERKSF_lbbbEUlllE_EE10hipError_tT0_T1_T2_jT3_P12ihipStream_tbPNSt15iterator_traitsISL_E10value_typeEPNSR_ISM_E10value_typeEPSN_NS1_7vsmem_tEENKUlT_SL_SM_SN_E_clIS8_S8_S9_S9_EESK_S10_SL_SM_SN_EUlS10_E_NS1_11comp_targetILNS1_3genE9ELNS1_11target_archE1100ELNS1_3gpuE3ELNS1_3repE0EEENS1_48merge_mergepath_partition_config_static_selectorELNS0_4arch9wavefront6targetE1EEEvSM_.has_indirect_call, 0
	.section	.AMDGPU.csdata,"",@progbits
; Kernel info:
; codeLenInByte = 0
; TotalNumSgprs: 6
; NumVgprs: 0
; NumAgprs: 0
; TotalNumVgprs: 0
; ScratchSize: 0
; MemoryBound: 0
; FloatMode: 240
; IeeeMode: 1
; LDSByteSize: 0 bytes/workgroup (compile time only)
; SGPRBlocks: 0
; VGPRBlocks: 0
; NumSGPRsForWavesPerEU: 6
; NumVGPRsForWavesPerEU: 1
; AccumOffset: 4
; Occupancy: 8
; WaveLimiterHint : 0
; COMPUTE_PGM_RSRC2:SCRATCH_EN: 0
; COMPUTE_PGM_RSRC2:USER_SGPR: 2
; COMPUTE_PGM_RSRC2:TRAP_HANDLER: 0
; COMPUTE_PGM_RSRC2:TGID_X_EN: 1
; COMPUTE_PGM_RSRC2:TGID_Y_EN: 0
; COMPUTE_PGM_RSRC2:TGID_Z_EN: 0
; COMPUTE_PGM_RSRC2:TIDIG_COMP_CNT: 0
; COMPUTE_PGM_RSRC3_GFX90A:ACCUM_OFFSET: 0
; COMPUTE_PGM_RSRC3_GFX90A:TG_SPLIT: 0
	.section	.text._ZN7rocprim17ROCPRIM_400000_NS6detail17trampoline_kernelINS0_14default_configENS1_38merge_sort_block_merge_config_selectorIlNS0_10empty_typeEEEZZNS1_27merge_sort_block_merge_implIS3_PlPS5_mZN2at6native12_GLOBAL__N_124unique_dim_cuda_templateItEESt5tupleIJNSA_6TensorESF_SF_EERKSF_lbbbEUlllE_EE10hipError_tT0_T1_T2_jT3_P12ihipStream_tbPNSt15iterator_traitsISL_E10value_typeEPNSR_ISM_E10value_typeEPSN_NS1_7vsmem_tEENKUlT_SL_SM_SN_E_clIS8_S8_S9_S9_EESK_S10_SL_SM_SN_EUlS10_E_NS1_11comp_targetILNS1_3genE8ELNS1_11target_archE1030ELNS1_3gpuE2ELNS1_3repE0EEENS1_48merge_mergepath_partition_config_static_selectorELNS0_4arch9wavefront6targetE1EEEvSM_,"axG",@progbits,_ZN7rocprim17ROCPRIM_400000_NS6detail17trampoline_kernelINS0_14default_configENS1_38merge_sort_block_merge_config_selectorIlNS0_10empty_typeEEEZZNS1_27merge_sort_block_merge_implIS3_PlPS5_mZN2at6native12_GLOBAL__N_124unique_dim_cuda_templateItEESt5tupleIJNSA_6TensorESF_SF_EERKSF_lbbbEUlllE_EE10hipError_tT0_T1_T2_jT3_P12ihipStream_tbPNSt15iterator_traitsISL_E10value_typeEPNSR_ISM_E10value_typeEPSN_NS1_7vsmem_tEENKUlT_SL_SM_SN_E_clIS8_S8_S9_S9_EESK_S10_SL_SM_SN_EUlS10_E_NS1_11comp_targetILNS1_3genE8ELNS1_11target_archE1030ELNS1_3gpuE2ELNS1_3repE0EEENS1_48merge_mergepath_partition_config_static_selectorELNS0_4arch9wavefront6targetE1EEEvSM_,comdat
	.globl	_ZN7rocprim17ROCPRIM_400000_NS6detail17trampoline_kernelINS0_14default_configENS1_38merge_sort_block_merge_config_selectorIlNS0_10empty_typeEEEZZNS1_27merge_sort_block_merge_implIS3_PlPS5_mZN2at6native12_GLOBAL__N_124unique_dim_cuda_templateItEESt5tupleIJNSA_6TensorESF_SF_EERKSF_lbbbEUlllE_EE10hipError_tT0_T1_T2_jT3_P12ihipStream_tbPNSt15iterator_traitsISL_E10value_typeEPNSR_ISM_E10value_typeEPSN_NS1_7vsmem_tEENKUlT_SL_SM_SN_E_clIS8_S8_S9_S9_EESK_S10_SL_SM_SN_EUlS10_E_NS1_11comp_targetILNS1_3genE8ELNS1_11target_archE1030ELNS1_3gpuE2ELNS1_3repE0EEENS1_48merge_mergepath_partition_config_static_selectorELNS0_4arch9wavefront6targetE1EEEvSM_ ; -- Begin function _ZN7rocprim17ROCPRIM_400000_NS6detail17trampoline_kernelINS0_14default_configENS1_38merge_sort_block_merge_config_selectorIlNS0_10empty_typeEEEZZNS1_27merge_sort_block_merge_implIS3_PlPS5_mZN2at6native12_GLOBAL__N_124unique_dim_cuda_templateItEESt5tupleIJNSA_6TensorESF_SF_EERKSF_lbbbEUlllE_EE10hipError_tT0_T1_T2_jT3_P12ihipStream_tbPNSt15iterator_traitsISL_E10value_typeEPNSR_ISM_E10value_typeEPSN_NS1_7vsmem_tEENKUlT_SL_SM_SN_E_clIS8_S8_S9_S9_EESK_S10_SL_SM_SN_EUlS10_E_NS1_11comp_targetILNS1_3genE8ELNS1_11target_archE1030ELNS1_3gpuE2ELNS1_3repE0EEENS1_48merge_mergepath_partition_config_static_selectorELNS0_4arch9wavefront6targetE1EEEvSM_
	.p2align	8
	.type	_ZN7rocprim17ROCPRIM_400000_NS6detail17trampoline_kernelINS0_14default_configENS1_38merge_sort_block_merge_config_selectorIlNS0_10empty_typeEEEZZNS1_27merge_sort_block_merge_implIS3_PlPS5_mZN2at6native12_GLOBAL__N_124unique_dim_cuda_templateItEESt5tupleIJNSA_6TensorESF_SF_EERKSF_lbbbEUlllE_EE10hipError_tT0_T1_T2_jT3_P12ihipStream_tbPNSt15iterator_traitsISL_E10value_typeEPNSR_ISM_E10value_typeEPSN_NS1_7vsmem_tEENKUlT_SL_SM_SN_E_clIS8_S8_S9_S9_EESK_S10_SL_SM_SN_EUlS10_E_NS1_11comp_targetILNS1_3genE8ELNS1_11target_archE1030ELNS1_3gpuE2ELNS1_3repE0EEENS1_48merge_mergepath_partition_config_static_selectorELNS0_4arch9wavefront6targetE1EEEvSM_,@function
_ZN7rocprim17ROCPRIM_400000_NS6detail17trampoline_kernelINS0_14default_configENS1_38merge_sort_block_merge_config_selectorIlNS0_10empty_typeEEEZZNS1_27merge_sort_block_merge_implIS3_PlPS5_mZN2at6native12_GLOBAL__N_124unique_dim_cuda_templateItEESt5tupleIJNSA_6TensorESF_SF_EERKSF_lbbbEUlllE_EE10hipError_tT0_T1_T2_jT3_P12ihipStream_tbPNSt15iterator_traitsISL_E10value_typeEPNSR_ISM_E10value_typeEPSN_NS1_7vsmem_tEENKUlT_SL_SM_SN_E_clIS8_S8_S9_S9_EESK_S10_SL_SM_SN_EUlS10_E_NS1_11comp_targetILNS1_3genE8ELNS1_11target_archE1030ELNS1_3gpuE2ELNS1_3repE0EEENS1_48merge_mergepath_partition_config_static_selectorELNS0_4arch9wavefront6targetE1EEEvSM_: ; @_ZN7rocprim17ROCPRIM_400000_NS6detail17trampoline_kernelINS0_14default_configENS1_38merge_sort_block_merge_config_selectorIlNS0_10empty_typeEEEZZNS1_27merge_sort_block_merge_implIS3_PlPS5_mZN2at6native12_GLOBAL__N_124unique_dim_cuda_templateItEESt5tupleIJNSA_6TensorESF_SF_EERKSF_lbbbEUlllE_EE10hipError_tT0_T1_T2_jT3_P12ihipStream_tbPNSt15iterator_traitsISL_E10value_typeEPNSR_ISM_E10value_typeEPSN_NS1_7vsmem_tEENKUlT_SL_SM_SN_E_clIS8_S8_S9_S9_EESK_S10_SL_SM_SN_EUlS10_E_NS1_11comp_targetILNS1_3genE8ELNS1_11target_archE1030ELNS1_3gpuE2ELNS1_3repE0EEENS1_48merge_mergepath_partition_config_static_selectorELNS0_4arch9wavefront6targetE1EEEvSM_
; %bb.0:
	.section	.rodata,"a",@progbits
	.p2align	6, 0x0
	.amdhsa_kernel _ZN7rocprim17ROCPRIM_400000_NS6detail17trampoline_kernelINS0_14default_configENS1_38merge_sort_block_merge_config_selectorIlNS0_10empty_typeEEEZZNS1_27merge_sort_block_merge_implIS3_PlPS5_mZN2at6native12_GLOBAL__N_124unique_dim_cuda_templateItEESt5tupleIJNSA_6TensorESF_SF_EERKSF_lbbbEUlllE_EE10hipError_tT0_T1_T2_jT3_P12ihipStream_tbPNSt15iterator_traitsISL_E10value_typeEPNSR_ISM_E10value_typeEPSN_NS1_7vsmem_tEENKUlT_SL_SM_SN_E_clIS8_S8_S9_S9_EESK_S10_SL_SM_SN_EUlS10_E_NS1_11comp_targetILNS1_3genE8ELNS1_11target_archE1030ELNS1_3gpuE2ELNS1_3repE0EEENS1_48merge_mergepath_partition_config_static_selectorELNS0_4arch9wavefront6targetE1EEEvSM_
		.amdhsa_group_segment_fixed_size 0
		.amdhsa_private_segment_fixed_size 0
		.amdhsa_kernarg_size 56
		.amdhsa_user_sgpr_count 2
		.amdhsa_user_sgpr_dispatch_ptr 0
		.amdhsa_user_sgpr_queue_ptr 0
		.amdhsa_user_sgpr_kernarg_segment_ptr 1
		.amdhsa_user_sgpr_dispatch_id 0
		.amdhsa_user_sgpr_kernarg_preload_length 0
		.amdhsa_user_sgpr_kernarg_preload_offset 0
		.amdhsa_user_sgpr_private_segment_size 0
		.amdhsa_uses_dynamic_stack 0
		.amdhsa_enable_private_segment 0
		.amdhsa_system_sgpr_workgroup_id_x 1
		.amdhsa_system_sgpr_workgroup_id_y 0
		.amdhsa_system_sgpr_workgroup_id_z 0
		.amdhsa_system_sgpr_workgroup_info 0
		.amdhsa_system_vgpr_workitem_id 0
		.amdhsa_next_free_vgpr 1
		.amdhsa_next_free_sgpr 0
		.amdhsa_accum_offset 4
		.amdhsa_reserve_vcc 0
		.amdhsa_float_round_mode_32 0
		.amdhsa_float_round_mode_16_64 0
		.amdhsa_float_denorm_mode_32 3
		.amdhsa_float_denorm_mode_16_64 3
		.amdhsa_dx10_clamp 1
		.amdhsa_ieee_mode 1
		.amdhsa_fp16_overflow 0
		.amdhsa_tg_split 0
		.amdhsa_exception_fp_ieee_invalid_op 0
		.amdhsa_exception_fp_denorm_src 0
		.amdhsa_exception_fp_ieee_div_zero 0
		.amdhsa_exception_fp_ieee_overflow 0
		.amdhsa_exception_fp_ieee_underflow 0
		.amdhsa_exception_fp_ieee_inexact 0
		.amdhsa_exception_int_div_zero 0
	.end_amdhsa_kernel
	.section	.text._ZN7rocprim17ROCPRIM_400000_NS6detail17trampoline_kernelINS0_14default_configENS1_38merge_sort_block_merge_config_selectorIlNS0_10empty_typeEEEZZNS1_27merge_sort_block_merge_implIS3_PlPS5_mZN2at6native12_GLOBAL__N_124unique_dim_cuda_templateItEESt5tupleIJNSA_6TensorESF_SF_EERKSF_lbbbEUlllE_EE10hipError_tT0_T1_T2_jT3_P12ihipStream_tbPNSt15iterator_traitsISL_E10value_typeEPNSR_ISM_E10value_typeEPSN_NS1_7vsmem_tEENKUlT_SL_SM_SN_E_clIS8_S8_S9_S9_EESK_S10_SL_SM_SN_EUlS10_E_NS1_11comp_targetILNS1_3genE8ELNS1_11target_archE1030ELNS1_3gpuE2ELNS1_3repE0EEENS1_48merge_mergepath_partition_config_static_selectorELNS0_4arch9wavefront6targetE1EEEvSM_,"axG",@progbits,_ZN7rocprim17ROCPRIM_400000_NS6detail17trampoline_kernelINS0_14default_configENS1_38merge_sort_block_merge_config_selectorIlNS0_10empty_typeEEEZZNS1_27merge_sort_block_merge_implIS3_PlPS5_mZN2at6native12_GLOBAL__N_124unique_dim_cuda_templateItEESt5tupleIJNSA_6TensorESF_SF_EERKSF_lbbbEUlllE_EE10hipError_tT0_T1_T2_jT3_P12ihipStream_tbPNSt15iterator_traitsISL_E10value_typeEPNSR_ISM_E10value_typeEPSN_NS1_7vsmem_tEENKUlT_SL_SM_SN_E_clIS8_S8_S9_S9_EESK_S10_SL_SM_SN_EUlS10_E_NS1_11comp_targetILNS1_3genE8ELNS1_11target_archE1030ELNS1_3gpuE2ELNS1_3repE0EEENS1_48merge_mergepath_partition_config_static_selectorELNS0_4arch9wavefront6targetE1EEEvSM_,comdat
.Lfunc_end1377:
	.size	_ZN7rocprim17ROCPRIM_400000_NS6detail17trampoline_kernelINS0_14default_configENS1_38merge_sort_block_merge_config_selectorIlNS0_10empty_typeEEEZZNS1_27merge_sort_block_merge_implIS3_PlPS5_mZN2at6native12_GLOBAL__N_124unique_dim_cuda_templateItEESt5tupleIJNSA_6TensorESF_SF_EERKSF_lbbbEUlllE_EE10hipError_tT0_T1_T2_jT3_P12ihipStream_tbPNSt15iterator_traitsISL_E10value_typeEPNSR_ISM_E10value_typeEPSN_NS1_7vsmem_tEENKUlT_SL_SM_SN_E_clIS8_S8_S9_S9_EESK_S10_SL_SM_SN_EUlS10_E_NS1_11comp_targetILNS1_3genE8ELNS1_11target_archE1030ELNS1_3gpuE2ELNS1_3repE0EEENS1_48merge_mergepath_partition_config_static_selectorELNS0_4arch9wavefront6targetE1EEEvSM_, .Lfunc_end1377-_ZN7rocprim17ROCPRIM_400000_NS6detail17trampoline_kernelINS0_14default_configENS1_38merge_sort_block_merge_config_selectorIlNS0_10empty_typeEEEZZNS1_27merge_sort_block_merge_implIS3_PlPS5_mZN2at6native12_GLOBAL__N_124unique_dim_cuda_templateItEESt5tupleIJNSA_6TensorESF_SF_EERKSF_lbbbEUlllE_EE10hipError_tT0_T1_T2_jT3_P12ihipStream_tbPNSt15iterator_traitsISL_E10value_typeEPNSR_ISM_E10value_typeEPSN_NS1_7vsmem_tEENKUlT_SL_SM_SN_E_clIS8_S8_S9_S9_EESK_S10_SL_SM_SN_EUlS10_E_NS1_11comp_targetILNS1_3genE8ELNS1_11target_archE1030ELNS1_3gpuE2ELNS1_3repE0EEENS1_48merge_mergepath_partition_config_static_selectorELNS0_4arch9wavefront6targetE1EEEvSM_
                                        ; -- End function
	.set _ZN7rocprim17ROCPRIM_400000_NS6detail17trampoline_kernelINS0_14default_configENS1_38merge_sort_block_merge_config_selectorIlNS0_10empty_typeEEEZZNS1_27merge_sort_block_merge_implIS3_PlPS5_mZN2at6native12_GLOBAL__N_124unique_dim_cuda_templateItEESt5tupleIJNSA_6TensorESF_SF_EERKSF_lbbbEUlllE_EE10hipError_tT0_T1_T2_jT3_P12ihipStream_tbPNSt15iterator_traitsISL_E10value_typeEPNSR_ISM_E10value_typeEPSN_NS1_7vsmem_tEENKUlT_SL_SM_SN_E_clIS8_S8_S9_S9_EESK_S10_SL_SM_SN_EUlS10_E_NS1_11comp_targetILNS1_3genE8ELNS1_11target_archE1030ELNS1_3gpuE2ELNS1_3repE0EEENS1_48merge_mergepath_partition_config_static_selectorELNS0_4arch9wavefront6targetE1EEEvSM_.num_vgpr, 0
	.set _ZN7rocprim17ROCPRIM_400000_NS6detail17trampoline_kernelINS0_14default_configENS1_38merge_sort_block_merge_config_selectorIlNS0_10empty_typeEEEZZNS1_27merge_sort_block_merge_implIS3_PlPS5_mZN2at6native12_GLOBAL__N_124unique_dim_cuda_templateItEESt5tupleIJNSA_6TensorESF_SF_EERKSF_lbbbEUlllE_EE10hipError_tT0_T1_T2_jT3_P12ihipStream_tbPNSt15iterator_traitsISL_E10value_typeEPNSR_ISM_E10value_typeEPSN_NS1_7vsmem_tEENKUlT_SL_SM_SN_E_clIS8_S8_S9_S9_EESK_S10_SL_SM_SN_EUlS10_E_NS1_11comp_targetILNS1_3genE8ELNS1_11target_archE1030ELNS1_3gpuE2ELNS1_3repE0EEENS1_48merge_mergepath_partition_config_static_selectorELNS0_4arch9wavefront6targetE1EEEvSM_.num_agpr, 0
	.set _ZN7rocprim17ROCPRIM_400000_NS6detail17trampoline_kernelINS0_14default_configENS1_38merge_sort_block_merge_config_selectorIlNS0_10empty_typeEEEZZNS1_27merge_sort_block_merge_implIS3_PlPS5_mZN2at6native12_GLOBAL__N_124unique_dim_cuda_templateItEESt5tupleIJNSA_6TensorESF_SF_EERKSF_lbbbEUlllE_EE10hipError_tT0_T1_T2_jT3_P12ihipStream_tbPNSt15iterator_traitsISL_E10value_typeEPNSR_ISM_E10value_typeEPSN_NS1_7vsmem_tEENKUlT_SL_SM_SN_E_clIS8_S8_S9_S9_EESK_S10_SL_SM_SN_EUlS10_E_NS1_11comp_targetILNS1_3genE8ELNS1_11target_archE1030ELNS1_3gpuE2ELNS1_3repE0EEENS1_48merge_mergepath_partition_config_static_selectorELNS0_4arch9wavefront6targetE1EEEvSM_.numbered_sgpr, 0
	.set _ZN7rocprim17ROCPRIM_400000_NS6detail17trampoline_kernelINS0_14default_configENS1_38merge_sort_block_merge_config_selectorIlNS0_10empty_typeEEEZZNS1_27merge_sort_block_merge_implIS3_PlPS5_mZN2at6native12_GLOBAL__N_124unique_dim_cuda_templateItEESt5tupleIJNSA_6TensorESF_SF_EERKSF_lbbbEUlllE_EE10hipError_tT0_T1_T2_jT3_P12ihipStream_tbPNSt15iterator_traitsISL_E10value_typeEPNSR_ISM_E10value_typeEPSN_NS1_7vsmem_tEENKUlT_SL_SM_SN_E_clIS8_S8_S9_S9_EESK_S10_SL_SM_SN_EUlS10_E_NS1_11comp_targetILNS1_3genE8ELNS1_11target_archE1030ELNS1_3gpuE2ELNS1_3repE0EEENS1_48merge_mergepath_partition_config_static_selectorELNS0_4arch9wavefront6targetE1EEEvSM_.num_named_barrier, 0
	.set _ZN7rocprim17ROCPRIM_400000_NS6detail17trampoline_kernelINS0_14default_configENS1_38merge_sort_block_merge_config_selectorIlNS0_10empty_typeEEEZZNS1_27merge_sort_block_merge_implIS3_PlPS5_mZN2at6native12_GLOBAL__N_124unique_dim_cuda_templateItEESt5tupleIJNSA_6TensorESF_SF_EERKSF_lbbbEUlllE_EE10hipError_tT0_T1_T2_jT3_P12ihipStream_tbPNSt15iterator_traitsISL_E10value_typeEPNSR_ISM_E10value_typeEPSN_NS1_7vsmem_tEENKUlT_SL_SM_SN_E_clIS8_S8_S9_S9_EESK_S10_SL_SM_SN_EUlS10_E_NS1_11comp_targetILNS1_3genE8ELNS1_11target_archE1030ELNS1_3gpuE2ELNS1_3repE0EEENS1_48merge_mergepath_partition_config_static_selectorELNS0_4arch9wavefront6targetE1EEEvSM_.private_seg_size, 0
	.set _ZN7rocprim17ROCPRIM_400000_NS6detail17trampoline_kernelINS0_14default_configENS1_38merge_sort_block_merge_config_selectorIlNS0_10empty_typeEEEZZNS1_27merge_sort_block_merge_implIS3_PlPS5_mZN2at6native12_GLOBAL__N_124unique_dim_cuda_templateItEESt5tupleIJNSA_6TensorESF_SF_EERKSF_lbbbEUlllE_EE10hipError_tT0_T1_T2_jT3_P12ihipStream_tbPNSt15iterator_traitsISL_E10value_typeEPNSR_ISM_E10value_typeEPSN_NS1_7vsmem_tEENKUlT_SL_SM_SN_E_clIS8_S8_S9_S9_EESK_S10_SL_SM_SN_EUlS10_E_NS1_11comp_targetILNS1_3genE8ELNS1_11target_archE1030ELNS1_3gpuE2ELNS1_3repE0EEENS1_48merge_mergepath_partition_config_static_selectorELNS0_4arch9wavefront6targetE1EEEvSM_.uses_vcc, 0
	.set _ZN7rocprim17ROCPRIM_400000_NS6detail17trampoline_kernelINS0_14default_configENS1_38merge_sort_block_merge_config_selectorIlNS0_10empty_typeEEEZZNS1_27merge_sort_block_merge_implIS3_PlPS5_mZN2at6native12_GLOBAL__N_124unique_dim_cuda_templateItEESt5tupleIJNSA_6TensorESF_SF_EERKSF_lbbbEUlllE_EE10hipError_tT0_T1_T2_jT3_P12ihipStream_tbPNSt15iterator_traitsISL_E10value_typeEPNSR_ISM_E10value_typeEPSN_NS1_7vsmem_tEENKUlT_SL_SM_SN_E_clIS8_S8_S9_S9_EESK_S10_SL_SM_SN_EUlS10_E_NS1_11comp_targetILNS1_3genE8ELNS1_11target_archE1030ELNS1_3gpuE2ELNS1_3repE0EEENS1_48merge_mergepath_partition_config_static_selectorELNS0_4arch9wavefront6targetE1EEEvSM_.uses_flat_scratch, 0
	.set _ZN7rocprim17ROCPRIM_400000_NS6detail17trampoline_kernelINS0_14default_configENS1_38merge_sort_block_merge_config_selectorIlNS0_10empty_typeEEEZZNS1_27merge_sort_block_merge_implIS3_PlPS5_mZN2at6native12_GLOBAL__N_124unique_dim_cuda_templateItEESt5tupleIJNSA_6TensorESF_SF_EERKSF_lbbbEUlllE_EE10hipError_tT0_T1_T2_jT3_P12ihipStream_tbPNSt15iterator_traitsISL_E10value_typeEPNSR_ISM_E10value_typeEPSN_NS1_7vsmem_tEENKUlT_SL_SM_SN_E_clIS8_S8_S9_S9_EESK_S10_SL_SM_SN_EUlS10_E_NS1_11comp_targetILNS1_3genE8ELNS1_11target_archE1030ELNS1_3gpuE2ELNS1_3repE0EEENS1_48merge_mergepath_partition_config_static_selectorELNS0_4arch9wavefront6targetE1EEEvSM_.has_dyn_sized_stack, 0
	.set _ZN7rocprim17ROCPRIM_400000_NS6detail17trampoline_kernelINS0_14default_configENS1_38merge_sort_block_merge_config_selectorIlNS0_10empty_typeEEEZZNS1_27merge_sort_block_merge_implIS3_PlPS5_mZN2at6native12_GLOBAL__N_124unique_dim_cuda_templateItEESt5tupleIJNSA_6TensorESF_SF_EERKSF_lbbbEUlllE_EE10hipError_tT0_T1_T2_jT3_P12ihipStream_tbPNSt15iterator_traitsISL_E10value_typeEPNSR_ISM_E10value_typeEPSN_NS1_7vsmem_tEENKUlT_SL_SM_SN_E_clIS8_S8_S9_S9_EESK_S10_SL_SM_SN_EUlS10_E_NS1_11comp_targetILNS1_3genE8ELNS1_11target_archE1030ELNS1_3gpuE2ELNS1_3repE0EEENS1_48merge_mergepath_partition_config_static_selectorELNS0_4arch9wavefront6targetE1EEEvSM_.has_recursion, 0
	.set _ZN7rocprim17ROCPRIM_400000_NS6detail17trampoline_kernelINS0_14default_configENS1_38merge_sort_block_merge_config_selectorIlNS0_10empty_typeEEEZZNS1_27merge_sort_block_merge_implIS3_PlPS5_mZN2at6native12_GLOBAL__N_124unique_dim_cuda_templateItEESt5tupleIJNSA_6TensorESF_SF_EERKSF_lbbbEUlllE_EE10hipError_tT0_T1_T2_jT3_P12ihipStream_tbPNSt15iterator_traitsISL_E10value_typeEPNSR_ISM_E10value_typeEPSN_NS1_7vsmem_tEENKUlT_SL_SM_SN_E_clIS8_S8_S9_S9_EESK_S10_SL_SM_SN_EUlS10_E_NS1_11comp_targetILNS1_3genE8ELNS1_11target_archE1030ELNS1_3gpuE2ELNS1_3repE0EEENS1_48merge_mergepath_partition_config_static_selectorELNS0_4arch9wavefront6targetE1EEEvSM_.has_indirect_call, 0
	.section	.AMDGPU.csdata,"",@progbits
; Kernel info:
; codeLenInByte = 0
; TotalNumSgprs: 6
; NumVgprs: 0
; NumAgprs: 0
; TotalNumVgprs: 0
; ScratchSize: 0
; MemoryBound: 0
; FloatMode: 240
; IeeeMode: 1
; LDSByteSize: 0 bytes/workgroup (compile time only)
; SGPRBlocks: 0
; VGPRBlocks: 0
; NumSGPRsForWavesPerEU: 6
; NumVGPRsForWavesPerEU: 1
; AccumOffset: 4
; Occupancy: 8
; WaveLimiterHint : 0
; COMPUTE_PGM_RSRC2:SCRATCH_EN: 0
; COMPUTE_PGM_RSRC2:USER_SGPR: 2
; COMPUTE_PGM_RSRC2:TRAP_HANDLER: 0
; COMPUTE_PGM_RSRC2:TGID_X_EN: 1
; COMPUTE_PGM_RSRC2:TGID_Y_EN: 0
; COMPUTE_PGM_RSRC2:TGID_Z_EN: 0
; COMPUTE_PGM_RSRC2:TIDIG_COMP_CNT: 0
; COMPUTE_PGM_RSRC3_GFX90A:ACCUM_OFFSET: 0
; COMPUTE_PGM_RSRC3_GFX90A:TG_SPLIT: 0
	.section	.text._ZN7rocprim17ROCPRIM_400000_NS6detail17trampoline_kernelINS0_14default_configENS1_38merge_sort_block_merge_config_selectorIlNS0_10empty_typeEEEZZNS1_27merge_sort_block_merge_implIS3_PlPS5_mZN2at6native12_GLOBAL__N_124unique_dim_cuda_templateItEESt5tupleIJNSA_6TensorESF_SF_EERKSF_lbbbEUlllE_EE10hipError_tT0_T1_T2_jT3_P12ihipStream_tbPNSt15iterator_traitsISL_E10value_typeEPNSR_ISM_E10value_typeEPSN_NS1_7vsmem_tEENKUlT_SL_SM_SN_E_clIS8_S8_S9_S9_EESK_S10_SL_SM_SN_EUlS10_E0_NS1_11comp_targetILNS1_3genE0ELNS1_11target_archE4294967295ELNS1_3gpuE0ELNS1_3repE0EEENS1_38merge_mergepath_config_static_selectorELNS0_4arch9wavefront6targetE1EEEvSM_,"axG",@progbits,_ZN7rocprim17ROCPRIM_400000_NS6detail17trampoline_kernelINS0_14default_configENS1_38merge_sort_block_merge_config_selectorIlNS0_10empty_typeEEEZZNS1_27merge_sort_block_merge_implIS3_PlPS5_mZN2at6native12_GLOBAL__N_124unique_dim_cuda_templateItEESt5tupleIJNSA_6TensorESF_SF_EERKSF_lbbbEUlllE_EE10hipError_tT0_T1_T2_jT3_P12ihipStream_tbPNSt15iterator_traitsISL_E10value_typeEPNSR_ISM_E10value_typeEPSN_NS1_7vsmem_tEENKUlT_SL_SM_SN_E_clIS8_S8_S9_S9_EESK_S10_SL_SM_SN_EUlS10_E0_NS1_11comp_targetILNS1_3genE0ELNS1_11target_archE4294967295ELNS1_3gpuE0ELNS1_3repE0EEENS1_38merge_mergepath_config_static_selectorELNS0_4arch9wavefront6targetE1EEEvSM_,comdat
	.globl	_ZN7rocprim17ROCPRIM_400000_NS6detail17trampoline_kernelINS0_14default_configENS1_38merge_sort_block_merge_config_selectorIlNS0_10empty_typeEEEZZNS1_27merge_sort_block_merge_implIS3_PlPS5_mZN2at6native12_GLOBAL__N_124unique_dim_cuda_templateItEESt5tupleIJNSA_6TensorESF_SF_EERKSF_lbbbEUlllE_EE10hipError_tT0_T1_T2_jT3_P12ihipStream_tbPNSt15iterator_traitsISL_E10value_typeEPNSR_ISM_E10value_typeEPSN_NS1_7vsmem_tEENKUlT_SL_SM_SN_E_clIS8_S8_S9_S9_EESK_S10_SL_SM_SN_EUlS10_E0_NS1_11comp_targetILNS1_3genE0ELNS1_11target_archE4294967295ELNS1_3gpuE0ELNS1_3repE0EEENS1_38merge_mergepath_config_static_selectorELNS0_4arch9wavefront6targetE1EEEvSM_ ; -- Begin function _ZN7rocprim17ROCPRIM_400000_NS6detail17trampoline_kernelINS0_14default_configENS1_38merge_sort_block_merge_config_selectorIlNS0_10empty_typeEEEZZNS1_27merge_sort_block_merge_implIS3_PlPS5_mZN2at6native12_GLOBAL__N_124unique_dim_cuda_templateItEESt5tupleIJNSA_6TensorESF_SF_EERKSF_lbbbEUlllE_EE10hipError_tT0_T1_T2_jT3_P12ihipStream_tbPNSt15iterator_traitsISL_E10value_typeEPNSR_ISM_E10value_typeEPSN_NS1_7vsmem_tEENKUlT_SL_SM_SN_E_clIS8_S8_S9_S9_EESK_S10_SL_SM_SN_EUlS10_E0_NS1_11comp_targetILNS1_3genE0ELNS1_11target_archE4294967295ELNS1_3gpuE0ELNS1_3repE0EEENS1_38merge_mergepath_config_static_selectorELNS0_4arch9wavefront6targetE1EEEvSM_
	.p2align	8
	.type	_ZN7rocprim17ROCPRIM_400000_NS6detail17trampoline_kernelINS0_14default_configENS1_38merge_sort_block_merge_config_selectorIlNS0_10empty_typeEEEZZNS1_27merge_sort_block_merge_implIS3_PlPS5_mZN2at6native12_GLOBAL__N_124unique_dim_cuda_templateItEESt5tupleIJNSA_6TensorESF_SF_EERKSF_lbbbEUlllE_EE10hipError_tT0_T1_T2_jT3_P12ihipStream_tbPNSt15iterator_traitsISL_E10value_typeEPNSR_ISM_E10value_typeEPSN_NS1_7vsmem_tEENKUlT_SL_SM_SN_E_clIS8_S8_S9_S9_EESK_S10_SL_SM_SN_EUlS10_E0_NS1_11comp_targetILNS1_3genE0ELNS1_11target_archE4294967295ELNS1_3gpuE0ELNS1_3repE0EEENS1_38merge_mergepath_config_static_selectorELNS0_4arch9wavefront6targetE1EEEvSM_,@function
_ZN7rocprim17ROCPRIM_400000_NS6detail17trampoline_kernelINS0_14default_configENS1_38merge_sort_block_merge_config_selectorIlNS0_10empty_typeEEEZZNS1_27merge_sort_block_merge_implIS3_PlPS5_mZN2at6native12_GLOBAL__N_124unique_dim_cuda_templateItEESt5tupleIJNSA_6TensorESF_SF_EERKSF_lbbbEUlllE_EE10hipError_tT0_T1_T2_jT3_P12ihipStream_tbPNSt15iterator_traitsISL_E10value_typeEPNSR_ISM_E10value_typeEPSN_NS1_7vsmem_tEENKUlT_SL_SM_SN_E_clIS8_S8_S9_S9_EESK_S10_SL_SM_SN_EUlS10_E0_NS1_11comp_targetILNS1_3genE0ELNS1_11target_archE4294967295ELNS1_3gpuE0ELNS1_3repE0EEENS1_38merge_mergepath_config_static_selectorELNS0_4arch9wavefront6targetE1EEEvSM_: ; @_ZN7rocprim17ROCPRIM_400000_NS6detail17trampoline_kernelINS0_14default_configENS1_38merge_sort_block_merge_config_selectorIlNS0_10empty_typeEEEZZNS1_27merge_sort_block_merge_implIS3_PlPS5_mZN2at6native12_GLOBAL__N_124unique_dim_cuda_templateItEESt5tupleIJNSA_6TensorESF_SF_EERKSF_lbbbEUlllE_EE10hipError_tT0_T1_T2_jT3_P12ihipStream_tbPNSt15iterator_traitsISL_E10value_typeEPNSR_ISM_E10value_typeEPSN_NS1_7vsmem_tEENKUlT_SL_SM_SN_E_clIS8_S8_S9_S9_EESK_S10_SL_SM_SN_EUlS10_E0_NS1_11comp_targetILNS1_3genE0ELNS1_11target_archE4294967295ELNS1_3gpuE0ELNS1_3repE0EEENS1_38merge_mergepath_config_static_selectorELNS0_4arch9wavefront6targetE1EEEvSM_
; %bb.0:
	s_load_dwordx2 s[22:23], s[0:1], 0x58
	s_load_dword s5, s[0:1], 0x38
	s_add_u32 s18, s0, 0x58
	s_addc_u32 s19, s1, 0
	s_waitcnt lgkmcnt(0)
	s_mul_i32 s4, s23, s4
	s_add_i32 s3, s4, s3
	s_mul_i32 s3, s3, s22
	s_add_i32 s20, s3, s2
	s_cmp_ge_u32 s20, s5
	s_cbranch_scc1 .LBB1378_138
; %bb.1:
	s_load_dwordx2 s[12:13], s[0:1], 0x50
	s_load_dwordx4 s[4:7], s[0:1], 0x8
	s_load_dwordx4 s[8:11], s[0:1], 0x28
	s_mov_b32 s21, 0
	s_lshl_b64 s[14:15], s[20:21], 3
	s_waitcnt lgkmcnt(0)
	s_add_u32 s16, s12, s14
	s_addc_u32 s17, s13, s15
	s_load_dwordx4 s[12:15], s[16:17], 0x0
	s_lshr_b64 s[16:17], s[10:11], 9
	s_and_b32 s3, s16, -2
	s_sub_i32 s33, 0, s3
	s_and_b32 s26, s20, s33
	s_mov_b32 s27, s21
	s_lshl_b64 s[24:25], s[26:27], 10
	s_lshl_b64 s[16:17], s[20:21], 10
	s_sub_u32 s3, s16, s24
	s_subb_u32 s23, s17, s25
	s_lshl_b64 s[26:27], s[26:27], 11
	s_add_u32 s26, s26, s10
	s_addc_u32 s27, s27, s11
	s_add_u32 s3, s26, s3
	s_addc_u32 s23, s27, s23
	s_waitcnt lgkmcnt(0)
	s_sub_u32 s28, s3, s14
	s_subb_u32 s15, s23, s15
	s_add_u32 s28, s28, 0x400
	s_addc_u32 s29, s15, 0
	v_mov_b64_e32 v[2:3], s[28:29]
	v_cmp_lt_u64_e32 vcc, s[8:9], v[2:3]
	s_and_b64 s[30:31], vcc, exec
	s_cselect_b32 s15, s8, s28
	s_or_b32 s28, s20, s33
	s_cmp_lg_u32 s28, -1
	s_cbranch_scc1 .LBB1378_3
; %bb.2:
	s_sub_u32 s24, s26, s24
	s_subb_u32 s25, s27, s25
	v_mov_b64_e32 v[2:3], s[24:25]
	v_cmp_lt_u64_e32 vcc, s[8:9], v[2:3]
	s_and_b64 s[14:15], vcc, exec
	s_cselect_b32 s14, s8, s24
	s_add_u32 s10, s24, s10
	s_addc_u32 s11, s25, s11
	v_mov_b64_e32 v[2:3], s[10:11]
	v_cmp_lt_u64_e32 vcc, s[8:9], v[2:3]
	s_and_b64 s[24:25], vcc, exec
	s_cselect_b32 s15, s8, s10
.LBB1378_3:
	s_lshr_b64 s[24:25], s[8:9], 10
	s_cmp_lg_u64 s[24:25], s[20:21]
	s_cselect_b64 s[10:11], -1, 0
	s_sub_u32 s26, s3, s12
	s_subb_u32 s27, s23, s13
	v_mov_b64_e32 v[2:3], s[26:27]
	v_cmp_lt_u64_e32 vcc, s[8:9], v[2:3]
	s_and_b64 s[28:29], vcc, exec
	s_cselect_b32 s26, s8, s26
	s_cselect_b32 s27, s9, s27
	s_sub_i32 s9, s14, s12
	s_sub_i32 s23, s15, s26
	s_lshl_b64 s[12:13], s[12:13], 3
	s_add_u32 s12, s4, s12
	s_addc_u32 s13, s5, s13
	s_lshl_b64 s[14:15], s[26:27], 3
	s_add_u32 s4, s4, s14
	s_addc_u32 s5, s5, s15
	s_cmp_lt_u32 s2, s22
	v_mov_b32_e32 v19, 0
	s_cselect_b32 s2, 12, 18
	global_load_dword v1, v19, s[18:19] offset:14
	s_add_u32 s2, s18, s2
	s_addc_u32 s3, s19, 0
	global_load_ushort v2, v19, s[2:3]
	s_cmp_eq_u64 s[24:25], s[20:21]
	v_lshlrev_b32_e32 v18, 3, v0
	s_waitcnt vmcnt(1)
	v_lshrrev_b32_e32 v3, 16, v1
	v_and_b32_e32 v1, 0xffff, v1
	v_mul_lo_u32 v1, v1, v3
	s_waitcnt vmcnt(0)
	v_mul_lo_u32 v1, v1, v2
	s_cbranch_scc1 .LBB1378_5
; %bb.4:
	v_subrev_co_u32_e32 v4, vcc, s9, v0
	v_mov_b32_e32 v5, v19
	v_lshl_add_u64 v[2:3], s[12:13], 0, v[18:19]
	v_lshl_add_u64 v[4:5], v[4:5], 3, s[4:5]
	v_add_u32_e32 v6, v1, v0
	v_cndmask_b32_e32 v3, v5, v3, vcc
	v_cndmask_b32_e32 v2, v4, v2, vcc
	v_mov_b32_e32 v7, v19
	v_subrev_co_u32_e32 v8, vcc, s9, v6
	v_mov_b32_e32 v9, v19
	v_lshl_add_u64 v[4:5], v[6:7], 3, s[12:13]
	v_lshl_add_u64 v[8:9], v[8:9], 3, s[4:5]
	v_cndmask_b32_e32 v4, v8, v4, vcc
	v_add_u32_e32 v8, v6, v1
	v_cndmask_b32_e32 v5, v9, v5, vcc
	v_mov_b32_e32 v9, v19
	v_subrev_co_u32_e32 v10, vcc, s9, v8
	v_mov_b32_e32 v11, v19
	v_lshl_add_u64 v[6:7], v[8:9], 3, s[12:13]
	v_lshl_add_u64 v[10:11], v[10:11], 3, s[4:5]
	v_cndmask_b32_e32 v6, v10, v6, vcc
	v_add_u32_e32 v10, v8, v1
	;; [unrolled: 8-line block ×5, first 2 shown]
	v_cndmask_b32_e32 v13, v17, v13, vcc
	v_mov_b32_e32 v17, v19
	v_subrev_co_u32_e32 v20, vcc, s9, v16
	v_mov_b32_e32 v21, v19
	v_lshl_add_u64 v[14:15], v[16:17], 3, s[12:13]
	v_lshl_add_u64 v[20:21], v[20:21], 3, s[4:5]
	v_add_u32_e32 v16, v16, v1
	v_cndmask_b32_e32 v15, v21, v15, vcc
	v_cndmask_b32_e32 v14, v20, v14, vcc
	v_lshl_add_u64 v[20:21], v[16:17], 3, s[12:13]
	v_subrev_co_u32_e32 v16, vcc, s9, v16
	v_lshl_add_u64 v[16:17], v[16:17], 3, s[4:5]
	s_nop 0
	v_cndmask_b32_e32 v17, v17, v21, vcc
	v_cndmask_b32_e32 v16, v16, v20, vcc
	global_load_dwordx2 v[2:3], v[2:3], off
	s_add_i32 s33, s9, s23
	global_load_dwordx2 v[4:5], v[4:5], off
	s_nop 0
	global_load_dwordx2 v[6:7], v[6:7], off
	s_nop 0
	;; [unrolled: 2-line block ×6, first 2 shown]
	global_load_dwordx2 v[16:17], v[16:17], off
	s_cbranch_execz .LBB1378_6
	s_branch .LBB1378_23
.LBB1378_5:
                                        ; implicit-def: $vgpr2_vgpr3_vgpr4_vgpr5_vgpr6_vgpr7_vgpr8_vgpr9_vgpr10_vgpr11_vgpr12_vgpr13_vgpr14_vgpr15_vgpr16_vgpr17
                                        ; implicit-def: $sgpr33
.LBB1378_6:
	s_add_i32 s33, s9, s23
	s_waitcnt vmcnt(7)
	v_mov_b32_e32 v2, 0
	v_cmp_gt_u32_e32 vcc, s33, v0
	v_mov_b32_e32 v3, v2
	s_waitcnt vmcnt(6)
	v_mov_b32_e32 v4, v2
	v_mov_b32_e32 v5, v2
	s_waitcnt vmcnt(5)
	v_mov_b32_e32 v6, v2
	;; [unrolled: 3-line block ×7, first 2 shown]
	v_mov_b32_e32 v17, v2
	s_and_saveexec_b64 s[2:3], vcc
	s_cbranch_execz .LBB1378_8
; %bb.7:
	v_mov_b32_e32 v19, v2
	v_subrev_co_u32_e32 v6, vcc, s9, v0
	v_mov_b32_e32 v7, v2
	v_lshl_add_u64 v[4:5], s[12:13], 0, v[18:19]
	v_lshl_add_u64 v[6:7], v[6:7], 3, s[4:5]
	v_cndmask_b32_e32 v5, v7, v5, vcc
	v_cndmask_b32_e32 v4, v6, v4, vcc
	global_load_dwordx2 v[20:21], v[4:5], off
	v_mov_b32_e32 v22, v2
	v_mov_b32_e32 v23, v2
	;; [unrolled: 1-line block ×14, first 2 shown]
	s_waitcnt vmcnt(0)
	v_mov_b64_e32 v[2:3], v[20:21]
	v_mov_b64_e32 v[4:5], v[22:23]
	;; [unrolled: 1-line block ×8, first 2 shown]
.LBB1378_8:
	s_or_b64 exec, exec, s[2:3]
	v_add_u32_e32 v20, v1, v0
	v_cmp_gt_u32_e32 vcc, s33, v20
	s_and_saveexec_b64 s[2:3], vcc
	s_cbranch_execz .LBB1378_10
; %bb.9:
	v_mov_b32_e32 v21, 0
	v_subrev_co_u32_e32 v22, vcc, s9, v20
	v_mov_b32_e32 v23, v21
	v_lshl_add_u64 v[4:5], v[20:21], 3, s[12:13]
	v_lshl_add_u64 v[22:23], v[22:23], 3, s[4:5]
	v_cndmask_b32_e32 v5, v23, v5, vcc
	v_cndmask_b32_e32 v4, v22, v4, vcc
	global_load_dwordx2 v[4:5], v[4:5], off
.LBB1378_10:
	s_or_b64 exec, exec, s[2:3]
	v_add_u32_e32 v20, v20, v1
	v_cmp_gt_u32_e32 vcc, s33, v20
	s_and_saveexec_b64 s[2:3], vcc
	s_cbranch_execz .LBB1378_12
; %bb.11:
	v_mov_b32_e32 v21, 0
	v_subrev_co_u32_e32 v22, vcc, s9, v20
	v_mov_b32_e32 v23, v21
	v_lshl_add_u64 v[6:7], v[20:21], 3, s[12:13]
	v_lshl_add_u64 v[22:23], v[22:23], 3, s[4:5]
	v_cndmask_b32_e32 v7, v23, v7, vcc
	v_cndmask_b32_e32 v6, v22, v6, vcc
	global_load_dwordx2 v[6:7], v[6:7], off
.LBB1378_12:
	;; [unrolled: 15-line block ×6, first 2 shown]
	s_or_b64 exec, exec, s[2:3]
	v_add_u32_e32 v20, v20, v1
	v_cmp_gt_u32_e32 vcc, s33, v20
	s_and_saveexec_b64 s[2:3], vcc
	s_cbranch_execz .LBB1378_22
; %bb.21:
	v_mov_b32_e32 v21, 0
	v_lshl_add_u64 v[16:17], v[20:21], 3, s[12:13]
	v_subrev_co_u32_e32 v20, vcc, s9, v20
	v_lshl_add_u64 v[20:21], v[20:21], 3, s[4:5]
	s_nop 0
	v_cndmask_b32_e32 v17, v21, v17, vcc
	v_cndmask_b32_e32 v16, v20, v16, vcc
	global_load_dwordx2 v[16:17], v[16:17], off
.LBB1378_22:
	s_or_b64 exec, exec, s[2:3]
.LBB1378_23:
	s_load_dwordx4 s[12:15], s[0:1], 0x40
	v_min_u32_e32 v1, s33, v18
	v_sub_u32_e64 v24, v1, s23 clamp
	v_min_u32_e32 v19, s9, v1
	v_cmp_lt_u32_e32 vcc, v24, v19
	s_waitcnt vmcnt(0)
	ds_write2st64_b64 v18, v[2:3], v[4:5] offset1:2
	ds_write2st64_b64 v18, v[6:7], v[8:9] offset0:4 offset1:6
	ds_write2st64_b64 v18, v[10:11], v[12:13] offset0:8 offset1:10
	;; [unrolled: 1-line block ×3, first 2 shown]
	s_waitcnt lgkmcnt(0)
	s_barrier
	s_and_saveexec_b64 s[18:19], vcc
	s_cbranch_execz .LBB1378_33
; %bb.24:
	v_lshlrev_b32_e32 v20, 3, v1
	v_cmp_gt_i64_e64 s[0:1], s[12:13], 0
	v_lshl_add_u32 v25, s9, 3, v20
	s_mov_b64 s[20:21], 0
	v_cndmask_b32_e64 v20, 0, 1, s[0:1]
	s_lshl_b64 s[22:23], s[12:13], 1
	v_cmp_ne_u32_e64 s[0:1], 1, v20
	s_branch .LBB1378_27
.LBB1378_25:                            ;   in Loop: Header=BB1378_27 Depth=1
	s_or_b64 exec, exec, s[26:27]
.LBB1378_26:                            ;   in Loop: Header=BB1378_27 Depth=1
	v_add_u32_e32 v20, 1, v26
	v_cndmask_b32_e64 v19, v19, v26, s[24:25]
	v_cndmask_b32_e64 v24, v20, v24, s[24:25]
	v_cmp_ge_u32_e32 vcc, v24, v19
	s_or_b64 s[20:21], vcc, s[20:21]
	s_andn2_b64 exec, exec, s[20:21]
	s_cbranch_execz .LBB1378_32
.LBB1378_27:                            ; =>This Loop Header: Depth=1
                                        ;     Child Loop BB1378_30 Depth 2
	v_add_u32_e32 v20, v19, v24
	v_lshrrev_b32_e32 v26, 1, v20
	s_and_b64 vcc, exec, s[0:1]
	s_mov_b64 s[24:25], 0
	s_cbranch_vccnz .LBB1378_26
; %bb.28:                               ;   in Loop: Header=BB1378_27 Depth=1
	v_not_b32_e32 v20, v26
	v_lshl_add_u32 v20, v20, 3, v25
	ds_read_b64 v[20:21], v20
	v_lshlrev_b32_e32 v27, 3, v26
	ds_read_b64 v[28:29], v27
	v_mov_b64_e32 v[22:23], s[14:15]
	s_mov_b64 s[26:27], 0
	s_waitcnt lgkmcnt(1)
	v_mul_lo_u32 v27, s22, v21
	v_mul_lo_u32 v30, s23, v20
	v_mad_u64_u32 v[20:21], s[2:3], s22, v20, v[22:23]
	v_add3_u32 v21, v30, v21, v27
	s_waitcnt lgkmcnt(0)
	v_mul_lo_u32 v27, s22, v29
	v_mul_lo_u32 v29, s23, v28
	v_mad_u64_u32 v[22:23], s[2:3], s22, v28, v[22:23]
	v_add3_u32 v23, v29, v23, v27
	s_mov_b64 s[30:31], s[12:13]
                                        ; implicit-def: $sgpr24_sgpr25
                                        ; implicit-def: $sgpr28_sgpr29
                                        ; implicit-def: $sgpr2_sgpr3
                                        ; implicit-def: $sgpr34_sgpr35
	s_branch .LBB1378_30
.LBB1378_29:                            ;   in Loop: Header=BB1378_30 Depth=2
	s_or_b64 exec, exec, s[38:39]
	s_and_b64 s[4:5], exec, s[28:29]
	s_or_b64 s[26:27], s[4:5], s[26:27]
	s_andn2_b64 s[4:5], s[34:35], exec
	s_and_b64 s[34:35], s[36:37], exec
	s_or_b64 s[34:35], s[4:5], s[34:35]
	s_andn2_b64 s[4:5], s[24:25], exec
	s_and_b64 s[24:25], s[2:3], exec
	s_or_b64 s[24:25], s[4:5], s[24:25]
	s_andn2_b64 exec, exec, s[26:27]
	s_cbranch_execz .LBB1378_25
.LBB1378_30:                            ;   Parent Loop BB1378_27 Depth=1
                                        ; =>  This Inner Loop Header: Depth=2
	global_load_ushort v27, v[20:21], off
	global_load_ushort v28, v[22:23], off
	s_andn2_b64 s[38:39], s[2:3], exec
	s_or_b64 s[28:29], s[28:29], exec
	s_waitcnt vmcnt(0)
	v_cmp_le_u16_e64 s[2:3], v27, v28
	v_cmp_lt_u16_e32 vcc, v27, v28
	s_and_b64 s[2:3], s[2:3], s[34:35]
	s_or_b64 s[36:37], vcc, s[2:3]
	s_and_b64 s[2:3], s[36:37], exec
	v_cmp_eq_u16_e64 s[4:5], v27, v28
	s_or_b64 s[2:3], s[38:39], s[2:3]
	s_and_saveexec_b64 s[38:39], s[4:5]
	s_cbranch_execz .LBB1378_29
; %bb.31:                               ;   in Loop: Header=BB1378_30 Depth=2
	s_add_u32 s30, s30, -1
	s_addc_u32 s31, s31, -1
	s_cmp_eq_u64 s[30:31], 0
	s_cselect_b64 s[4:5], -1, 0
	s_andn2_b64 s[28:29], s[28:29], exec
	s_and_b64 s[4:5], s[4:5], exec
	v_lshl_add_u64 v[20:21], v[20:21], 0, 2
	v_lshl_add_u64 v[22:23], v[22:23], 0, 2
	s_andn2_b64 s[2:3], s[2:3], exec
	s_or_b64 s[28:29], s[28:29], s[4:5]
                                        ; implicit-def: $sgpr34_sgpr35
	s_branch .LBB1378_29
.LBB1378_32:
	s_or_b64 exec, exec, s[20:21]
.LBB1378_33:
	s_or_b64 exec, exec, s[18:19]
	v_sub_u32_e32 v1, v1, v24
	v_add_u32_e32 v20, s9, v1
	v_cmp_ge_u32_e32 vcc, s9, v24
	v_cmp_ge_u32_e64 s[0:1], s33, v20
	s_or_b64 s[0:1], vcc, s[0:1]
	s_and_saveexec_b64 s[4:5], s[0:1]
	s_cbranch_execz .LBB1378_124
; %bb.34:
	v_cmp_le_u32_e32 vcc, s9, v24
	v_cmp_gt_u32_e64 s[0:1], s9, v24
                                        ; implicit-def: $vgpr2_vgpr3
	s_and_saveexec_b64 s[2:3], s[0:1]
; %bb.35:
	v_lshlrev_b32_e32 v1, 3, v24
	ds_read_b64 v[2:3], v1
; %bb.36:
	s_or_b64 exec, exec, s[2:3]
	v_cmp_le_u32_e64 s[20:21], s33, v20
	v_cmp_gt_u32_e64 s[0:1], s33, v20
                                        ; implicit-def: $vgpr14_vgpr15
	s_and_saveexec_b64 s[2:3], s[0:1]
; %bb.37:
	v_lshlrev_b32_e32 v1, 3, v20
	ds_read_b64 v[14:15], v1
; %bb.38:
	s_or_b64 exec, exec, s[2:3]
	v_cmp_gt_i64_e64 s[18:19], s[12:13], 0
	s_nor_b64 s[0:1], vcc, s[20:21]
	s_and_saveexec_b64 s[22:23], s[0:1]
	s_cbranch_execz .LBB1378_47
; %bb.39:
	s_andn2_b64 vcc, exec, s[18:19]
	s_cbranch_vccnz .LBB1378_45
; %bb.40:
	s_waitcnt lgkmcnt(0)
	v_mul_lo_u32 v1, v15, s12
	v_mul_lo_u32 v6, v14, s13
	v_mad_u64_u32 v[4:5], s[0:1], v14, s12, 0
	v_add3_u32 v5, v5, v6, v1
	v_mul_lo_u32 v1, v3, s12
	v_mul_lo_u32 v8, v2, s13
	v_mad_u64_u32 v[6:7], s[0:1], v2, s12, 0
	v_add3_u32 v7, v7, v8, v1
	v_lshl_add_u64 v[4:5], v[4:5], 1, s[14:15]
	v_lshl_add_u64 v[6:7], v[6:7], 1, s[14:15]
	s_mov_b64 s[24:25], 0
	s_mov_b64 s[30:31], s[12:13]
                                        ; implicit-def: $sgpr26_sgpr27
                                        ; implicit-def: $sgpr28_sgpr29
                                        ; implicit-def: $sgpr0_sgpr1
                                        ; implicit-def: $sgpr34_sgpr35
	s_branch .LBB1378_42
.LBB1378_41:                            ;   in Loop: Header=BB1378_42 Depth=1
	s_or_b64 exec, exec, s[38:39]
	s_and_b64 s[2:3], exec, s[28:29]
	s_or_b64 s[24:25], s[2:3], s[24:25]
	s_andn2_b64 s[2:3], s[34:35], exec
	s_and_b64 s[34:35], s[36:37], exec
	s_or_b64 s[34:35], s[2:3], s[34:35]
	s_andn2_b64 s[2:3], s[26:27], exec
	s_and_b64 s[26:27], s[0:1], exec
	s_or_b64 s[26:27], s[2:3], s[26:27]
	s_andn2_b64 exec, exec, s[24:25]
	s_cbranch_execz .LBB1378_44
.LBB1378_42:                            ; =>This Inner Loop Header: Depth=1
	global_load_ushort v1, v[4:5], off
	global_load_ushort v8, v[6:7], off
	s_andn2_b64 s[38:39], s[0:1], exec
	s_or_b64 s[28:29], s[28:29], exec
	s_waitcnt vmcnt(0)
	v_cmp_le_u16_e64 s[0:1], v1, v8
	v_cmp_lt_u16_e32 vcc, v1, v8
	s_and_b64 s[0:1], s[0:1], s[34:35]
	s_or_b64 s[36:37], vcc, s[0:1]
	s_and_b64 s[0:1], s[36:37], exec
	v_cmp_eq_u16_e64 s[2:3], v1, v8
	s_or_b64 s[0:1], s[38:39], s[0:1]
	s_and_saveexec_b64 s[38:39], s[2:3]
	s_cbranch_execz .LBB1378_41
; %bb.43:                               ;   in Loop: Header=BB1378_42 Depth=1
	s_add_u32 s30, s30, -1
	s_addc_u32 s31, s31, -1
	s_cmp_eq_u64 s[30:31], 0
	s_cselect_b64 s[2:3], -1, 0
	s_andn2_b64 s[28:29], s[28:29], exec
	s_and_b64 s[2:3], s[2:3], exec
	v_lshl_add_u64 v[4:5], v[4:5], 0, 2
	v_lshl_add_u64 v[6:7], v[6:7], 0, 2
	s_andn2_b64 s[0:1], s[0:1], exec
	s_or_b64 s[28:29], s[28:29], s[2:3]
                                        ; implicit-def: $sgpr34_sgpr35
	s_branch .LBB1378_41
.LBB1378_44:
	s_or_b64 exec, exec, s[24:25]
	s_xor_b64 s[0:1], s[26:27], -1
	s_branch .LBB1378_46
.LBB1378_45:
	s_mov_b64 s[0:1], -1
.LBB1378_46:
	s_andn2_b64 s[2:3], s[20:21], exec
	s_and_b64 s[0:1], s[0:1], exec
	s_or_b64 s[20:21], s[2:3], s[0:1]
.LBB1378_47:
	s_or_b64 exec, exec, s[22:23]
	v_mov_b32_e32 v4, s33
	v_mov_b32_e32 v5, s9
	v_cndmask_b32_e64 v1, v20, v24, s[20:21]
	v_cndmask_b32_e64 v4, v4, v5, s[20:21]
	v_add_u32_e32 v6, 1, v1
	v_add_u32_e32 v1, -1, v4
	v_min_u32_e32 v1, v6, v1
	v_lshlrev_b32_e32 v1, 3, v1
	ds_read_b64 v[4:5], v1
	v_cndmask_b32_e64 v8, v6, v20, s[20:21]
	v_cndmask_b32_e64 v9, v24, v6, s[20:21]
	v_cmp_gt_u32_e32 vcc, s33, v8
	s_mov_b64 s[24:25], -1
	s_waitcnt lgkmcnt(0)
	v_cndmask_b32_e64 v1, v5, v15, s[20:21]
	v_cndmask_b32_e64 v16, v4, v14, s[20:21]
	;; [unrolled: 1-line block ×4, first 2 shown]
	s_mov_b64 s[22:23], -1
	s_and_saveexec_b64 s[26:27], vcc
	s_cbranch_execz .LBB1378_58
; %bb.48:
	v_cmp_gt_u32_e32 vcc, s9, v9
	s_mov_b64 s[0:1], 0
	s_and_saveexec_b64 s[22:23], vcc
	s_cbranch_execz .LBB1378_57
; %bb.49:
	s_andn2_b64 vcc, exec, s[18:19]
	s_cbranch_vccnz .LBB1378_55
; %bb.50:
	v_mul_lo_u32 v6, v1, s12
	v_mul_lo_u32 v7, v16, s13
	v_mad_u64_u32 v[4:5], s[0:1], v16, s12, 0
	v_add3_u32 v5, v5, v7, v6
	v_mul_lo_u32 v10, v17, s12
	v_mul_lo_u32 v11, v19, s13
	v_mad_u64_u32 v[6:7], s[0:1], v19, s12, 0
	v_add3_u32 v7, v7, v11, v10
	v_lshl_add_u64 v[4:5], v[4:5], 1, s[14:15]
	v_lshl_add_u64 v[6:7], v[6:7], 1, s[14:15]
	s_mov_b64 s[28:29], 0
	s_mov_b64 s[36:37], s[12:13]
                                        ; implicit-def: $sgpr30_sgpr31
                                        ; implicit-def: $sgpr34_sgpr35
                                        ; implicit-def: $sgpr0_sgpr1
                                        ; implicit-def: $sgpr38_sgpr39
	s_branch .LBB1378_52
.LBB1378_51:                            ;   in Loop: Header=BB1378_52 Depth=1
	s_or_b64 exec, exec, s[42:43]
	s_and_b64 s[2:3], exec, s[34:35]
	s_or_b64 s[28:29], s[2:3], s[28:29]
	s_andn2_b64 s[2:3], s[38:39], exec
	s_and_b64 s[38:39], s[40:41], exec
	s_or_b64 s[38:39], s[2:3], s[38:39]
	s_andn2_b64 s[2:3], s[30:31], exec
	s_and_b64 s[30:31], s[0:1], exec
	s_or_b64 s[30:31], s[2:3], s[30:31]
	s_andn2_b64 exec, exec, s[28:29]
	s_cbranch_execz .LBB1378_54
.LBB1378_52:                            ; =>This Inner Loop Header: Depth=1
	global_load_ushort v10, v[4:5], off
	global_load_ushort v11, v[6:7], off
	s_andn2_b64 s[42:43], s[0:1], exec
	s_or_b64 s[34:35], s[34:35], exec
	s_waitcnt vmcnt(0)
	v_cmp_le_u16_e64 s[0:1], v10, v11
	v_cmp_lt_u16_e32 vcc, v10, v11
	s_and_b64 s[0:1], s[0:1], s[38:39]
	s_or_b64 s[40:41], vcc, s[0:1]
	s_and_b64 s[0:1], s[40:41], exec
	v_cmp_eq_u16_e64 s[2:3], v10, v11
	s_or_b64 s[0:1], s[42:43], s[0:1]
	s_and_saveexec_b64 s[42:43], s[2:3]
	s_cbranch_execz .LBB1378_51
; %bb.53:                               ;   in Loop: Header=BB1378_52 Depth=1
	s_add_u32 s36, s36, -1
	s_addc_u32 s37, s37, -1
	s_cmp_eq_u64 s[36:37], 0
	s_cselect_b64 s[2:3], -1, 0
	s_andn2_b64 s[34:35], s[34:35], exec
	s_and_b64 s[2:3], s[2:3], exec
	v_lshl_add_u64 v[4:5], v[4:5], 0, 2
	v_lshl_add_u64 v[6:7], v[6:7], 0, 2
	s_andn2_b64 s[0:1], s[0:1], exec
	s_or_b64 s[34:35], s[34:35], s[2:3]
                                        ; implicit-def: $sgpr38_sgpr39
	s_branch .LBB1378_51
.LBB1378_54:
	s_or_b64 exec, exec, s[28:29]
	s_xor_b64 s[0:1], s[30:31], -1
	s_branch .LBB1378_56
.LBB1378_55:
	s_mov_b64 s[0:1], -1
.LBB1378_56:
	s_and_b64 s[0:1], s[0:1], exec
.LBB1378_57:
	s_or_b64 exec, exec, s[22:23]
	s_orn2_b64 s[22:23], s[0:1], exec
.LBB1378_58:
	s_or_b64 exec, exec, s[26:27]
	v_mov_b32_e32 v5, s33
	v_mov_b32_e32 v6, s9
	v_cndmask_b32_e64 v4, v8, v9, s[22:23]
	v_cndmask_b32_e64 v5, v5, v6, s[22:23]
	v_add_u32_e32 v6, 1, v4
	v_add_u32_e32 v4, -1, v5
	v_min_u32_e32 v4, v6, v4
	v_lshlrev_b32_e32 v4, 3, v4
	ds_read_b64 v[4:5], v4
	v_cndmask_b32_e64 v10, v6, v8, s[22:23]
	v_cndmask_b32_e64 v11, v9, v6, s[22:23]
	v_cmp_gt_u32_e32 vcc, s33, v10
	s_waitcnt lgkmcnt(0)
	v_cndmask_b32_e64 v20, v5, v1, s[22:23]
	v_cndmask_b32_e64 v21, v4, v16, s[22:23]
	;; [unrolled: 1-line block ×4, first 2 shown]
	s_and_saveexec_b64 s[26:27], vcc
	s_cbranch_execz .LBB1378_69
; %bb.59:
	v_cmp_gt_u32_e32 vcc, s9, v11
	s_mov_b64 s[0:1], 0
	s_and_saveexec_b64 s[24:25], vcc
	s_cbranch_execz .LBB1378_68
; %bb.60:
	s_andn2_b64 vcc, exec, s[18:19]
	s_cbranch_vccnz .LBB1378_66
; %bb.61:
	v_mul_lo_u32 v6, v20, s12
	v_mul_lo_u32 v7, v21, s13
	v_mad_u64_u32 v[4:5], s[0:1], v21, s12, 0
	v_add3_u32 v5, v5, v7, v6
	v_mul_lo_u32 v8, v22, s12
	v_mul_lo_u32 v9, v23, s13
	v_mad_u64_u32 v[6:7], s[0:1], v23, s12, 0
	v_add3_u32 v7, v7, v9, v8
	v_lshl_add_u64 v[4:5], v[4:5], 1, s[14:15]
	v_lshl_add_u64 v[6:7], v[6:7], 1, s[14:15]
	s_mov_b64 s[28:29], 0
	s_mov_b64 s[36:37], s[12:13]
                                        ; implicit-def: $sgpr30_sgpr31
                                        ; implicit-def: $sgpr34_sgpr35
                                        ; implicit-def: $sgpr0_sgpr1
                                        ; implicit-def: $sgpr38_sgpr39
	s_branch .LBB1378_63
.LBB1378_62:                            ;   in Loop: Header=BB1378_63 Depth=1
	s_or_b64 exec, exec, s[42:43]
	s_and_b64 s[2:3], exec, s[34:35]
	s_or_b64 s[28:29], s[2:3], s[28:29]
	s_andn2_b64 s[2:3], s[38:39], exec
	s_and_b64 s[38:39], s[40:41], exec
	s_or_b64 s[38:39], s[2:3], s[38:39]
	s_andn2_b64 s[2:3], s[30:31], exec
	s_and_b64 s[30:31], s[0:1], exec
	s_or_b64 s[30:31], s[2:3], s[30:31]
	s_andn2_b64 exec, exec, s[28:29]
	s_cbranch_execz .LBB1378_65
.LBB1378_63:                            ; =>This Inner Loop Header: Depth=1
	global_load_ushort v8, v[4:5], off
	global_load_ushort v9, v[6:7], off
	s_andn2_b64 s[42:43], s[0:1], exec
	s_or_b64 s[34:35], s[34:35], exec
	s_waitcnt vmcnt(0)
	v_cmp_le_u16_e64 s[0:1], v8, v9
	v_cmp_lt_u16_e32 vcc, v8, v9
	s_and_b64 s[0:1], s[0:1], s[38:39]
	s_or_b64 s[40:41], vcc, s[0:1]
	s_and_b64 s[0:1], s[40:41], exec
	v_cmp_eq_u16_e64 s[2:3], v8, v9
	s_or_b64 s[0:1], s[42:43], s[0:1]
	s_and_saveexec_b64 s[42:43], s[2:3]
	s_cbranch_execz .LBB1378_62
; %bb.64:                               ;   in Loop: Header=BB1378_63 Depth=1
	s_add_u32 s36, s36, -1
	s_addc_u32 s37, s37, -1
	s_cmp_eq_u64 s[36:37], 0
	s_cselect_b64 s[2:3], -1, 0
	s_andn2_b64 s[34:35], s[34:35], exec
	s_and_b64 s[2:3], s[2:3], exec
	v_lshl_add_u64 v[4:5], v[4:5], 0, 2
	v_lshl_add_u64 v[6:7], v[6:7], 0, 2
	s_andn2_b64 s[0:1], s[0:1], exec
	s_or_b64 s[34:35], s[34:35], s[2:3]
                                        ; implicit-def: $sgpr38_sgpr39
	s_branch .LBB1378_62
.LBB1378_65:
	s_or_b64 exec, exec, s[28:29]
	s_xor_b64 s[0:1], s[30:31], -1
	s_branch .LBB1378_67
.LBB1378_66:
	s_mov_b64 s[0:1], -1
.LBB1378_67:
	s_and_b64 s[0:1], s[0:1], exec
.LBB1378_68:
	s_or_b64 exec, exec, s[24:25]
	s_orn2_b64 s[24:25], s[0:1], exec
.LBB1378_69:
	s_or_b64 exec, exec, s[26:27]
	v_mov_b32_e32 v5, s33
	v_mov_b32_e32 v6, s9
	v_cndmask_b32_e64 v4, v10, v11, s[24:25]
	v_cndmask_b32_e64 v5, v5, v6, s[24:25]
	v_add_u32_e32 v6, 1, v4
	v_add_u32_e32 v4, -1, v5
	v_min_u32_e32 v4, v6, v4
	v_lshlrev_b32_e32 v4, 3, v4
	ds_read_b64 v[4:5], v4
	v_cndmask_b32_e64 v12, v6, v10, s[24:25]
	v_cndmask_b32_e64 v13, v11, v6, s[24:25]
	v_cmp_gt_u32_e32 vcc, s33, v12
	s_mov_b64 s[28:29], -1
	s_waitcnt lgkmcnt(0)
	v_cndmask_b32_e64 v8, v5, v20, s[24:25]
	v_cndmask_b32_e64 v24, v4, v21, s[24:25]
	v_cndmask_b32_e64 v9, v22, v5, s[24:25]
	v_cndmask_b32_e64 v25, v23, v4, s[24:25]
	s_mov_b64 s[26:27], -1
	s_and_saveexec_b64 s[30:31], vcc
	s_cbranch_execz .LBB1378_80
; %bb.70:
	v_cmp_gt_u32_e32 vcc, s9, v13
	s_mov_b64 s[0:1], 0
	s_and_saveexec_b64 s[26:27], vcc
	s_cbranch_execz .LBB1378_79
; %bb.71:
	s_andn2_b64 vcc, exec, s[18:19]
	s_cbranch_vccnz .LBB1378_77
; %bb.72:
	v_mul_lo_u32 v6, v8, s12
	v_mul_lo_u32 v7, v24, s13
	v_mad_u64_u32 v[4:5], s[0:1], v24, s12, 0
	v_add3_u32 v5, v5, v7, v6
	v_mul_lo_u32 v10, v9, s12
	v_mul_lo_u32 v11, v25, s13
	v_mad_u64_u32 v[6:7], s[0:1], v25, s12, 0
	v_add3_u32 v7, v7, v11, v10
	v_lshl_add_u64 v[4:5], v[4:5], 1, s[14:15]
	v_lshl_add_u64 v[6:7], v[6:7], 1, s[14:15]
	s_mov_b64 s[34:35], 0
	s_mov_b64 s[40:41], s[12:13]
                                        ; implicit-def: $sgpr36_sgpr37
                                        ; implicit-def: $sgpr38_sgpr39
                                        ; implicit-def: $sgpr0_sgpr1
                                        ; implicit-def: $sgpr42_sgpr43
	s_branch .LBB1378_74
.LBB1378_73:                            ;   in Loop: Header=BB1378_74 Depth=1
	s_or_b64 exec, exec, s[46:47]
	s_and_b64 s[2:3], exec, s[38:39]
	s_or_b64 s[34:35], s[2:3], s[34:35]
	s_andn2_b64 s[2:3], s[42:43], exec
	s_and_b64 s[42:43], s[44:45], exec
	s_or_b64 s[42:43], s[2:3], s[42:43]
	s_andn2_b64 s[2:3], s[36:37], exec
	s_and_b64 s[36:37], s[0:1], exec
	s_or_b64 s[36:37], s[2:3], s[36:37]
	s_andn2_b64 exec, exec, s[34:35]
	s_cbranch_execz .LBB1378_76
.LBB1378_74:                            ; =>This Inner Loop Header: Depth=1
	global_load_ushort v10, v[4:5], off
	global_load_ushort v11, v[6:7], off
	s_andn2_b64 s[46:47], s[0:1], exec
	s_or_b64 s[38:39], s[38:39], exec
	s_waitcnt vmcnt(0)
	v_cmp_le_u16_e64 s[0:1], v10, v11
	v_cmp_lt_u16_e32 vcc, v10, v11
	s_and_b64 s[0:1], s[0:1], s[42:43]
	s_or_b64 s[44:45], vcc, s[0:1]
	s_and_b64 s[0:1], s[44:45], exec
	v_cmp_eq_u16_e64 s[2:3], v10, v11
	s_or_b64 s[0:1], s[46:47], s[0:1]
	s_and_saveexec_b64 s[46:47], s[2:3]
	s_cbranch_execz .LBB1378_73
; %bb.75:                               ;   in Loop: Header=BB1378_74 Depth=1
	s_add_u32 s40, s40, -1
	s_addc_u32 s41, s41, -1
	s_cmp_eq_u64 s[40:41], 0
	s_cselect_b64 s[2:3], -1, 0
	s_andn2_b64 s[38:39], s[38:39], exec
	s_and_b64 s[2:3], s[2:3], exec
	v_lshl_add_u64 v[4:5], v[4:5], 0, 2
	v_lshl_add_u64 v[6:7], v[6:7], 0, 2
	s_andn2_b64 s[0:1], s[0:1], exec
	s_or_b64 s[38:39], s[38:39], s[2:3]
                                        ; implicit-def: $sgpr42_sgpr43
	s_branch .LBB1378_73
.LBB1378_76:
	s_or_b64 exec, exec, s[34:35]
	s_xor_b64 s[0:1], s[36:37], -1
	s_branch .LBB1378_78
.LBB1378_77:
	s_mov_b64 s[0:1], -1
.LBB1378_78:
	s_and_b64 s[0:1], s[0:1], exec
.LBB1378_79:
	s_or_b64 exec, exec, s[26:27]
	s_orn2_b64 s[26:27], s[0:1], exec
.LBB1378_80:
	s_or_b64 exec, exec, s[30:31]
	v_mov_b32_e32 v5, s33
	v_mov_b32_e32 v6, s9
	v_cndmask_b32_e64 v4, v12, v13, s[26:27]
	v_cndmask_b32_e64 v5, v5, v6, s[26:27]
	v_add_u32_e32 v6, 1, v4
	v_add_u32_e32 v4, -1, v5
	v_min_u32_e32 v4, v6, v4
	v_lshlrev_b32_e32 v4, 3, v4
	ds_read_b64 v[4:5], v4
	v_cndmask_b32_e64 v30, v6, v12, s[26:27]
	v_cndmask_b32_e64 v31, v13, v6, s[26:27]
	v_cmp_gt_u32_e32 vcc, s33, v30
	s_waitcnt lgkmcnt(0)
	v_cndmask_b32_e64 v10, v5, v8, s[26:27]
	v_cndmask_b32_e64 v26, v4, v24, s[26:27]
	;; [unrolled: 1-line block ×4, first 2 shown]
	s_and_saveexec_b64 s[30:31], vcc
	s_cbranch_execz .LBB1378_91
; %bb.81:
	v_cmp_gt_u32_e32 vcc, s9, v31
	s_mov_b64 s[0:1], 0
	s_and_saveexec_b64 s[28:29], vcc
	s_cbranch_execz .LBB1378_90
; %bb.82:
	s_andn2_b64 vcc, exec, s[18:19]
	s_cbranch_vccnz .LBB1378_88
; %bb.83:
	v_mul_lo_u32 v6, v10, s12
	v_mul_lo_u32 v7, v26, s13
	v_mad_u64_u32 v[4:5], s[0:1], v26, s12, 0
	v_add3_u32 v5, v5, v7, v6
	v_mul_lo_u32 v12, v11, s12
	v_mul_lo_u32 v13, v27, s13
	v_mad_u64_u32 v[6:7], s[0:1], v27, s12, 0
	v_add3_u32 v7, v7, v13, v12
	v_lshl_add_u64 v[4:5], v[4:5], 1, s[14:15]
	v_lshl_add_u64 v[6:7], v[6:7], 1, s[14:15]
	s_mov_b64 s[34:35], 0
	s_mov_b64 s[40:41], s[12:13]
                                        ; implicit-def: $sgpr36_sgpr37
                                        ; implicit-def: $sgpr38_sgpr39
                                        ; implicit-def: $sgpr0_sgpr1
                                        ; implicit-def: $sgpr42_sgpr43
	s_branch .LBB1378_85
.LBB1378_84:                            ;   in Loop: Header=BB1378_85 Depth=1
	s_or_b64 exec, exec, s[46:47]
	s_and_b64 s[2:3], exec, s[38:39]
	s_or_b64 s[34:35], s[2:3], s[34:35]
	s_andn2_b64 s[2:3], s[42:43], exec
	s_and_b64 s[42:43], s[44:45], exec
	s_or_b64 s[42:43], s[2:3], s[42:43]
	s_andn2_b64 s[2:3], s[36:37], exec
	s_and_b64 s[36:37], s[0:1], exec
	s_or_b64 s[36:37], s[2:3], s[36:37]
	s_andn2_b64 exec, exec, s[34:35]
	s_cbranch_execz .LBB1378_87
.LBB1378_85:                            ; =>This Inner Loop Header: Depth=1
	global_load_ushort v12, v[4:5], off
	global_load_ushort v13, v[6:7], off
	s_andn2_b64 s[46:47], s[0:1], exec
	s_or_b64 s[38:39], s[38:39], exec
	s_waitcnt vmcnt(0)
	v_cmp_le_u16_e64 s[0:1], v12, v13
	v_cmp_lt_u16_e32 vcc, v12, v13
	s_and_b64 s[0:1], s[0:1], s[42:43]
	s_or_b64 s[44:45], vcc, s[0:1]
	s_and_b64 s[0:1], s[44:45], exec
	v_cmp_eq_u16_e64 s[2:3], v12, v13
	s_or_b64 s[0:1], s[46:47], s[0:1]
	s_and_saveexec_b64 s[46:47], s[2:3]
	s_cbranch_execz .LBB1378_84
; %bb.86:                               ;   in Loop: Header=BB1378_85 Depth=1
	s_add_u32 s40, s40, -1
	s_addc_u32 s41, s41, -1
	s_cmp_eq_u64 s[40:41], 0
	s_cselect_b64 s[2:3], -1, 0
	s_andn2_b64 s[38:39], s[38:39], exec
	s_and_b64 s[2:3], s[2:3], exec
	v_lshl_add_u64 v[4:5], v[4:5], 0, 2
	v_lshl_add_u64 v[6:7], v[6:7], 0, 2
	s_andn2_b64 s[0:1], s[0:1], exec
	s_or_b64 s[38:39], s[38:39], s[2:3]
                                        ; implicit-def: $sgpr42_sgpr43
	s_branch .LBB1378_84
.LBB1378_87:
	s_or_b64 exec, exec, s[34:35]
	s_xor_b64 s[0:1], s[36:37], -1
	s_branch .LBB1378_89
.LBB1378_88:
	s_mov_b64 s[0:1], -1
.LBB1378_89:
	s_and_b64 s[0:1], s[0:1], exec
.LBB1378_90:
	s_or_b64 exec, exec, s[28:29]
	s_orn2_b64 s[28:29], s[0:1], exec
.LBB1378_91:
	s_or_b64 exec, exec, s[30:31]
	v_mov_b32_e32 v5, s33
	v_mov_b32_e32 v6, s9
	v_cndmask_b32_e64 v4, v30, v31, s[28:29]
	v_cndmask_b32_e64 v5, v5, v6, s[28:29]
	v_add_u32_e32 v6, 1, v4
	v_add_u32_e32 v4, -1, v5
	v_min_u32_e32 v4, v6, v4
	v_lshlrev_b32_e32 v4, 3, v4
	ds_read_b64 v[4:5], v4
	v_cndmask_b32_e64 v32, v6, v30, s[28:29]
	v_cndmask_b32_e64 v36, v31, v6, s[28:29]
	v_cmp_gt_u32_e32 vcc, s33, v32
	s_mov_b64 s[30:31], -1
	s_waitcnt lgkmcnt(0)
	v_cndmask_b32_e64 v12, v5, v10, s[28:29]
	v_cndmask_b32_e64 v28, v4, v26, s[28:29]
	;; [unrolled: 1-line block ×4, first 2 shown]
	s_mov_b64 s[34:35], -1
	s_and_saveexec_b64 s[36:37], vcc
	s_cbranch_execz .LBB1378_102
; %bb.92:
	v_cmp_gt_u32_e32 vcc, s9, v36
	s_mov_b64 s[0:1], 0
	s_and_saveexec_b64 s[34:35], vcc
	s_cbranch_execz .LBB1378_101
; %bb.93:
	s_andn2_b64 vcc, exec, s[18:19]
	s_cbranch_vccnz .LBB1378_99
; %bb.94:
	v_mul_lo_u32 v6, v12, s12
	v_mul_lo_u32 v7, v28, s13
	v_mad_u64_u32 v[4:5], s[0:1], v28, s12, 0
	v_add3_u32 v5, v5, v7, v6
	v_mul_lo_u32 v30, v13, s12
	v_mul_lo_u32 v31, v29, s13
	v_mad_u64_u32 v[6:7], s[0:1], v29, s12, 0
	v_add3_u32 v7, v7, v31, v30
	v_lshl_add_u64 v[4:5], v[4:5], 1, s[14:15]
	v_lshl_add_u64 v[6:7], v[6:7], 1, s[14:15]
	s_mov_b64 s[38:39], 0
	s_mov_b64 s[44:45], s[12:13]
                                        ; implicit-def: $sgpr40_sgpr41
                                        ; implicit-def: $sgpr42_sgpr43
                                        ; implicit-def: $sgpr0_sgpr1
                                        ; implicit-def: $sgpr46_sgpr47
	s_branch .LBB1378_96
.LBB1378_95:                            ;   in Loop: Header=BB1378_96 Depth=1
	s_or_b64 exec, exec, s[50:51]
	s_and_b64 s[2:3], exec, s[42:43]
	s_or_b64 s[38:39], s[2:3], s[38:39]
	s_andn2_b64 s[2:3], s[46:47], exec
	s_and_b64 s[46:47], s[48:49], exec
	s_or_b64 s[46:47], s[2:3], s[46:47]
	s_andn2_b64 s[2:3], s[40:41], exec
	s_and_b64 s[40:41], s[0:1], exec
	s_or_b64 s[40:41], s[2:3], s[40:41]
	s_andn2_b64 exec, exec, s[38:39]
	s_cbranch_execz .LBB1378_98
.LBB1378_96:                            ; =>This Inner Loop Header: Depth=1
	global_load_ushort v30, v[4:5], off
	global_load_ushort v31, v[6:7], off
	s_andn2_b64 s[50:51], s[0:1], exec
	s_or_b64 s[42:43], s[42:43], exec
	s_waitcnt vmcnt(0)
	v_cmp_le_u16_e64 s[0:1], v30, v31
	v_cmp_lt_u16_e32 vcc, v30, v31
	s_and_b64 s[0:1], s[0:1], s[46:47]
	s_or_b64 s[48:49], vcc, s[0:1]
	s_and_b64 s[0:1], s[48:49], exec
	v_cmp_eq_u16_e64 s[2:3], v30, v31
	s_or_b64 s[0:1], s[50:51], s[0:1]
	s_and_saveexec_b64 s[50:51], s[2:3]
	s_cbranch_execz .LBB1378_95
; %bb.97:                               ;   in Loop: Header=BB1378_96 Depth=1
	s_add_u32 s44, s44, -1
	s_addc_u32 s45, s45, -1
	s_cmp_eq_u64 s[44:45], 0
	s_cselect_b64 s[2:3], -1, 0
	s_andn2_b64 s[42:43], s[42:43], exec
	s_and_b64 s[2:3], s[2:3], exec
	v_lshl_add_u64 v[4:5], v[4:5], 0, 2
	v_lshl_add_u64 v[6:7], v[6:7], 0, 2
	s_andn2_b64 s[0:1], s[0:1], exec
	s_or_b64 s[42:43], s[42:43], s[2:3]
                                        ; implicit-def: $sgpr46_sgpr47
	s_branch .LBB1378_95
.LBB1378_98:
	s_or_b64 exec, exec, s[38:39]
	s_xor_b64 s[0:1], s[40:41], -1
	s_branch .LBB1378_100
.LBB1378_99:
	s_mov_b64 s[0:1], -1
.LBB1378_100:
	s_and_b64 s[0:1], s[0:1], exec
.LBB1378_101:
	s_or_b64 exec, exec, s[34:35]
	s_orn2_b64 s[34:35], s[0:1], exec
.LBB1378_102:
	s_or_b64 exec, exec, s[36:37]
	v_mov_b32_e32 v5, s33
	v_mov_b32_e32 v6, s9
	v_cndmask_b32_e64 v4, v32, v36, s[34:35]
	v_cndmask_b32_e64 v5, v5, v6, s[34:35]
	v_add_u32_e32 v6, 1, v4
	v_add_u32_e32 v4, -1, v5
	v_min_u32_e32 v4, v6, v4
	v_lshlrev_b32_e32 v4, 3, v4
	ds_read_b64 v[4:5], v4
	v_cndmask_b32_e64 v33, v6, v32, s[34:35]
	v_cndmask_b32_e64 v32, v36, v6, s[34:35]
	v_cmp_gt_u32_e32 vcc, s33, v33
	s_waitcnt lgkmcnt(0)
	v_cndmask_b32_e64 v30, v5, v12, s[34:35]
	v_cndmask_b32_e64 v31, v4, v28, s[34:35]
	;; [unrolled: 1-line block ×4, first 2 shown]
	s_and_saveexec_b64 s[36:37], vcc
	s_cbranch_execz .LBB1378_113
; %bb.103:
	v_cmp_gt_u32_e32 vcc, s9, v32
	s_mov_b64 s[0:1], 0
	s_and_saveexec_b64 s[30:31], vcc
	s_cbranch_execz .LBB1378_112
; %bb.104:
	s_andn2_b64 vcc, exec, s[18:19]
	s_cbranch_vccnz .LBB1378_110
; %bb.105:
	v_mul_lo_u32 v6, v30, s12
	v_mul_lo_u32 v7, v31, s13
	v_mad_u64_u32 v[4:5], s[0:1], v31, s12, 0
	v_add3_u32 v5, v5, v7, v6
	v_mul_lo_u32 v36, v34, s12
	v_mul_lo_u32 v37, v35, s13
	v_mad_u64_u32 v[6:7], s[0:1], v35, s12, 0
	v_add3_u32 v7, v7, v37, v36
	v_lshl_add_u64 v[4:5], v[4:5], 1, s[14:15]
	v_lshl_add_u64 v[6:7], v[6:7], 1, s[14:15]
	s_mov_b64 s[38:39], 0
	s_mov_b64 s[44:45], s[12:13]
                                        ; implicit-def: $sgpr40_sgpr41
                                        ; implicit-def: $sgpr42_sgpr43
                                        ; implicit-def: $sgpr0_sgpr1
                                        ; implicit-def: $sgpr46_sgpr47
	s_branch .LBB1378_107
.LBB1378_106:                           ;   in Loop: Header=BB1378_107 Depth=1
	s_or_b64 exec, exec, s[50:51]
	s_and_b64 s[2:3], exec, s[42:43]
	s_or_b64 s[38:39], s[2:3], s[38:39]
	s_andn2_b64 s[2:3], s[46:47], exec
	s_and_b64 s[46:47], s[48:49], exec
	s_or_b64 s[46:47], s[2:3], s[46:47]
	s_andn2_b64 s[2:3], s[40:41], exec
	s_and_b64 s[40:41], s[0:1], exec
	s_or_b64 s[40:41], s[2:3], s[40:41]
	s_andn2_b64 exec, exec, s[38:39]
	s_cbranch_execz .LBB1378_109
.LBB1378_107:                           ; =>This Inner Loop Header: Depth=1
	global_load_ushort v36, v[4:5], off
	global_load_ushort v37, v[6:7], off
	s_andn2_b64 s[50:51], s[0:1], exec
	s_or_b64 s[42:43], s[42:43], exec
	s_waitcnt vmcnt(0)
	v_cmp_le_u16_e64 s[0:1], v36, v37
	v_cmp_lt_u16_e32 vcc, v36, v37
	s_and_b64 s[0:1], s[0:1], s[46:47]
	s_or_b64 s[48:49], vcc, s[0:1]
	s_and_b64 s[0:1], s[48:49], exec
	v_cmp_eq_u16_e64 s[2:3], v36, v37
	s_or_b64 s[0:1], s[50:51], s[0:1]
	s_and_saveexec_b64 s[50:51], s[2:3]
	s_cbranch_execz .LBB1378_106
; %bb.108:                              ;   in Loop: Header=BB1378_107 Depth=1
	s_add_u32 s44, s44, -1
	s_addc_u32 s45, s45, -1
	s_cmp_eq_u64 s[44:45], 0
	s_cselect_b64 s[2:3], -1, 0
	s_andn2_b64 s[42:43], s[42:43], exec
	s_and_b64 s[2:3], s[2:3], exec
	v_lshl_add_u64 v[4:5], v[4:5], 0, 2
	v_lshl_add_u64 v[6:7], v[6:7], 0, 2
	s_andn2_b64 s[0:1], s[0:1], exec
	s_or_b64 s[42:43], s[42:43], s[2:3]
                                        ; implicit-def: $sgpr46_sgpr47
	s_branch .LBB1378_106
.LBB1378_109:
	s_or_b64 exec, exec, s[38:39]
	s_xor_b64 s[0:1], s[40:41], -1
	s_branch .LBB1378_111
.LBB1378_110:
	s_mov_b64 s[0:1], -1
.LBB1378_111:
	s_and_b64 s[0:1], s[0:1], exec
.LBB1378_112:
	s_or_b64 exec, exec, s[30:31]
	s_orn2_b64 s[30:31], s[0:1], exec
.LBB1378_113:
	s_or_b64 exec, exec, s[36:37]
	v_cndmask_b32_e64 v5, v1, v17, s[22:23]
	v_cndmask_b32_e64 v4, v16, v19, s[22:23]
	v_mov_b32_e32 v16, s33
	v_mov_b32_e32 v17, s9
	v_cndmask_b32_e64 v1, v33, v32, s[30:31]
	v_cndmask_b32_e64 v16, v16, v17, s[30:31]
	v_add_u32_e32 v1, 1, v1
	v_add_u32_e32 v16, -1, v16
	v_min_u32_e32 v16, v1, v16
	v_lshlrev_b32_e32 v16, 3, v16
	v_cndmask_b32_e64 v7, v20, v22, s[24:25]
	v_cndmask_b32_e64 v6, v21, v23, s[24:25]
	ds_read_b64 v[20:21], v16
	v_cndmask_b32_e64 v19, v1, v33, s[30:31]
	v_cndmask_b32_e64 v13, v12, v13, s[34:35]
	;; [unrolled: 1-line block ×11, first 2 shown]
	s_waitcnt lgkmcnt(0)
	v_cndmask_b32_e64 v17, v34, v21, s[30:31]
	v_cndmask_b32_e64 v16, v35, v20, s[30:31]
	v_cmp_gt_u32_e32 vcc, s33, v19
	s_and_saveexec_b64 s[20:21], vcc
	s_cbranch_execz .LBB1378_123
; %bb.114:
	v_cndmask_b32_e64 v1, v32, v1, s[30:31]
	v_cndmask_b32_e64 v21, v21, v30, s[30:31]
	v_cndmask_b32_e64 v20, v20, v31, s[30:31]
	v_cmp_gt_u32_e32 vcc, s9, v1
	s_and_saveexec_b64 s[22:23], vcc
	s_cbranch_execz .LBB1378_122
; %bb.115:
	s_andn2_b64 vcc, exec, s[18:19]
	s_cbranch_vccnz .LBB1378_121
; %bb.116:
	v_mul_lo_u32 v1, v21, s12
	v_mul_lo_u32 v19, v20, s13
	v_mad_u64_u32 v[22:23], s[0:1], v20, s12, 0
	v_add3_u32 v23, v23, v19, v1
	v_mul_lo_u32 v1, v17, s12
	v_mul_lo_u32 v19, v16, s13
	v_mad_u64_u32 v[24:25], s[0:1], v16, s12, 0
	v_add3_u32 v25, v25, v19, v1
	v_lshl_add_u64 v[22:23], v[22:23], 1, s[14:15]
	v_lshl_add_u64 v[24:25], v[24:25], 1, s[14:15]
	s_mov_b64 s[14:15], 0
                                        ; implicit-def: $sgpr18_sgpr19
                                        ; implicit-def: $sgpr24_sgpr25
                                        ; implicit-def: $sgpr0_sgpr1
                                        ; implicit-def: $sgpr26_sgpr27
	s_branch .LBB1378_118
.LBB1378_117:                           ;   in Loop: Header=BB1378_118 Depth=1
	s_or_b64 exec, exec, s[30:31]
	s_and_b64 s[2:3], exec, s[24:25]
	s_or_b64 s[14:15], s[2:3], s[14:15]
	s_andn2_b64 s[2:3], s[26:27], exec
	s_and_b64 s[26:27], s[28:29], exec
	s_or_b64 s[26:27], s[2:3], s[26:27]
	s_andn2_b64 s[2:3], s[18:19], exec
	s_and_b64 s[18:19], s[0:1], exec
	s_or_b64 s[18:19], s[2:3], s[18:19]
	s_andn2_b64 exec, exec, s[14:15]
	s_cbranch_execz .LBB1378_120
.LBB1378_118:                           ; =>This Inner Loop Header: Depth=1
	global_load_ushort v1, v[22:23], off
	global_load_ushort v19, v[24:25], off
	s_andn2_b64 s[30:31], s[0:1], exec
	s_or_b64 s[24:25], s[24:25], exec
	s_waitcnt vmcnt(0)
	v_cmp_le_u16_e64 s[0:1], v1, v19
	v_cmp_lt_u16_e32 vcc, v1, v19
	s_and_b64 s[0:1], s[0:1], s[26:27]
	s_or_b64 s[28:29], vcc, s[0:1]
	s_and_b64 s[0:1], s[28:29], exec
	v_cmp_eq_u16_e64 s[2:3], v1, v19
	s_or_b64 s[0:1], s[30:31], s[0:1]
	s_and_saveexec_b64 s[30:31], s[2:3]
	s_cbranch_execz .LBB1378_117
; %bb.119:                              ;   in Loop: Header=BB1378_118 Depth=1
	s_add_u32 s12, s12, -1
	s_addc_u32 s13, s13, -1
	s_cmp_eq_u64 s[12:13], 0
	s_cselect_b64 s[2:3], -1, 0
	s_andn2_b64 s[24:25], s[24:25], exec
	s_and_b64 s[2:3], s[2:3], exec
	v_lshl_add_u64 v[22:23], v[22:23], 0, 2
	v_lshl_add_u64 v[24:25], v[24:25], 0, 2
	s_andn2_b64 s[0:1], s[0:1], exec
	s_or_b64 s[24:25], s[24:25], s[2:3]
                                        ; implicit-def: $sgpr26_sgpr27
	s_branch .LBB1378_117
.LBB1378_120:
	s_or_b64 exec, exec, s[14:15]
	v_cndmask_b32_e64 v17, v17, v21, s[18:19]
	v_cndmask_b32_e64 v16, v16, v20, s[18:19]
.LBB1378_121:
	v_mov_b64_e32 v[20:21], v[16:17]
.LBB1378_122:
	s_or_b64 exec, exec, s[22:23]
	v_mov_b64_e32 v[16:17], v[20:21]
.LBB1378_123:
	s_or_b64 exec, exec, s[20:21]
.LBB1378_124:
	s_or_b64 exec, exec, s[4:5]
	v_lshrrev_b32_e32 v1, 2, v0
	v_lshlrev_b32_e32 v19, 3, v18
	v_lshl_add_u32 v19, v1, 3, v19
	v_and_b32_e32 v1, 24, v1
	v_or_b32_e32 v23, 0x80, v0
	v_add_u32_e32 v24, v1, v18
	v_lshrrev_b32_e32 v1, 2, v23
	v_and_b32_e32 v1, 56, v1
	v_or_b32_e32 v22, 0x100, v0
	s_barrier
	s_barrier
	ds_write2_b64 v19, v[2:3], v[4:5] offset1:1
	ds_write2_b64 v19, v[6:7], v[8:9] offset0:2 offset1:3
	ds_write2_b64 v19, v[10:11], v[12:13] offset0:4 offset1:5
	;; [unrolled: 1-line block ×3, first 2 shown]
	v_add_u32_e32 v4, v1, v18
	v_lshrrev_b32_e32 v1, 2, v22
	v_and_b32_e32 v1, 0x58, v1
	v_or_b32_e32 v21, 0x180, v0
	v_add_u32_e32 v5, v1, v18
	v_lshrrev_b32_e32 v1, 2, v21
	v_and_b32_e32 v1, 0x78, v1
	v_or_b32_e32 v20, 0x200, v0
	v_add_u32_e32 v6, v1, v18
	v_lshrrev_b32_e32 v1, 2, v20
	v_and_b32_e32 v1, 0x98, v1
	v_or_b32_e32 v17, 0x280, v0
	v_add_u32_e32 v7, v1, v18
	v_lshrrev_b32_e32 v1, 2, v17
	v_and_b32_e32 v1, 0xb8, v1
	v_or_b32_e32 v16, 0x300, v0
	v_add_u32_e32 v25, v1, v18
	v_lshrrev_b32_e32 v1, 2, v16
	v_and_b32_e32 v1, 0xd8, v1
	s_lshl_b64 s[0:1], s[16:17], 3
	v_add_u32_e32 v26, v1, v18
	v_or_b32_e32 v1, 0x380, v0
	s_add_u32 s0, s6, s0
	v_lshrrev_b32_e32 v2, 2, v1
	s_addc_u32 s1, s7, s1
	v_and_b32_e32 v2, 0xf8, v2
	v_mov_b32_e32 v19, 0
	v_add_u32_e32 v27, v2, v18
	v_lshl_add_u64 v[2:3], s[0:1], 0, v[18:19]
	s_and_b64 vcc, exec, s[10:11]
	s_waitcnt lgkmcnt(0)
	s_cbranch_vccz .LBB1378_126
; %bb.125:
	s_barrier
	ds_read_b64 v[8:9], v24
	ds_read_b64 v[10:11], v4 offset:1024
	ds_read_b64 v[12:13], v5 offset:2048
	ds_read_b64 v[14:15], v6 offset:3072
	ds_read_b64 v[28:29], v7 offset:4096
	ds_read_b64 v[30:31], v25 offset:5120
	ds_read_b64 v[32:33], v26 offset:6144
	ds_read_b64 v[18:19], v27 offset:7168
	s_waitcnt lgkmcnt(7)
	global_store_dwordx2 v[2:3], v[8:9], off
	s_waitcnt lgkmcnt(6)
	global_store_dwordx2 v[2:3], v[10:11], off offset:1024
	s_waitcnt lgkmcnt(5)
	global_store_dwordx2 v[2:3], v[12:13], off offset:2048
	;; [unrolled: 2-line block ×3, first 2 shown]
	v_add_co_u32_e32 v8, vcc, 0x1000, v2
	s_nop 1
	v_addc_co_u32_e32 v9, vcc, 0, v3, vcc
	s_waitcnt lgkmcnt(3)
	global_store_dwordx2 v[8:9], v[28:29], off
	s_waitcnt lgkmcnt(2)
	global_store_dwordx2 v[8:9], v[30:31], off offset:1024
	s_waitcnt lgkmcnt(1)
	global_store_dwordx2 v[8:9], v[32:33], off offset:2048
	s_mov_b64 s[0:1], -1
	s_cbranch_execz .LBB1378_127
	s_branch .LBB1378_136
.LBB1378_126:
	s_mov_b64 s[0:1], 0
                                        ; implicit-def: $vgpr18_vgpr19
.LBB1378_127:
	s_barrier
	s_waitcnt lgkmcnt(0)
	ds_read_b64 v[14:15], v4 offset:1024
	ds_read_b64 v[12:13], v5 offset:2048
	;; [unrolled: 1-line block ×7, first 2 shown]
	s_sub_i32 s2, s8, s16
	v_cmp_gt_u32_e32 vcc, s2, v0
	s_and_saveexec_b64 s[0:1], vcc
	s_cbranch_execnz .LBB1378_139
; %bb.128:
	s_or_b64 exec, exec, s[0:1]
	v_cmp_gt_u32_e32 vcc, s2, v23
	s_and_saveexec_b64 s[0:1], vcc
	s_cbranch_execnz .LBB1378_140
.LBB1378_129:
	s_or_b64 exec, exec, s[0:1]
	v_cmp_gt_u32_e32 vcc, s2, v22
	s_and_saveexec_b64 s[0:1], vcc
	s_cbranch_execnz .LBB1378_141
.LBB1378_130:
	s_or_b64 exec, exec, s[0:1]
	v_cmp_gt_u32_e32 vcc, s2, v21
	s_and_saveexec_b64 s[0:1], vcc
	s_cbranch_execnz .LBB1378_142
.LBB1378_131:
	s_or_b64 exec, exec, s[0:1]
	v_cmp_gt_u32_e32 vcc, s2, v20
	s_and_saveexec_b64 s[0:1], vcc
	s_cbranch_execnz .LBB1378_143
.LBB1378_132:
	s_or_b64 exec, exec, s[0:1]
	v_cmp_gt_u32_e32 vcc, s2, v17
	s_and_saveexec_b64 s[0:1], vcc
	s_cbranch_execnz .LBB1378_144
.LBB1378_133:
	s_or_b64 exec, exec, s[0:1]
	v_cmp_gt_u32_e32 vcc, s2, v16
	s_and_saveexec_b64 s[0:1], vcc
	s_cbranch_execz .LBB1378_135
.LBB1378_134:
	s_waitcnt lgkmcnt(2)
	v_add_co_u32_e32 v6, vcc, 0x1000, v2
	s_nop 1
	v_addc_co_u32_e32 v7, vcc, 0, v3, vcc
	s_waitcnt lgkmcnt(1)
	global_store_dwordx2 v[6:7], v[4:5], off offset:2048
.LBB1378_135:
	s_or_b64 exec, exec, s[0:1]
	v_cmp_gt_u32_e64 s[0:1], s2, v1
.LBB1378_136:
	s_and_saveexec_b64 s[2:3], s[0:1]
	s_cbranch_execz .LBB1378_138
; %bb.137:
	v_add_co_u32_e32 v0, vcc, 0x1000, v2
	s_nop 1
	v_addc_co_u32_e32 v1, vcc, 0, v3, vcc
	s_waitcnt lgkmcnt(0)
	global_store_dwordx2 v[0:1], v[18:19], off offset:3072
.LBB1378_138:
	s_endpgm
.LBB1378_139:
	ds_read_b64 v[24:25], v24
	s_waitcnt lgkmcnt(0)
	global_store_dwordx2 v[2:3], v[24:25], off
	s_or_b64 exec, exec, s[0:1]
	v_cmp_gt_u32_e32 vcc, s2, v23
	s_and_saveexec_b64 s[0:1], vcc
	s_cbranch_execz .LBB1378_129
.LBB1378_140:
	s_waitcnt lgkmcnt(6)
	global_store_dwordx2 v[2:3], v[14:15], off offset:1024
	s_or_b64 exec, exec, s[0:1]
	v_cmp_gt_u32_e32 vcc, s2, v22
	s_and_saveexec_b64 s[0:1], vcc
	s_cbranch_execz .LBB1378_130
.LBB1378_141:
	s_waitcnt lgkmcnt(5)
	global_store_dwordx2 v[2:3], v[12:13], off offset:2048
	s_or_b64 exec, exec, s[0:1]
	v_cmp_gt_u32_e32 vcc, s2, v21
	s_and_saveexec_b64 s[0:1], vcc
	s_cbranch_execz .LBB1378_131
.LBB1378_142:
	s_waitcnt lgkmcnt(4)
	global_store_dwordx2 v[2:3], v[10:11], off offset:3072
	s_or_b64 exec, exec, s[0:1]
	v_cmp_gt_u32_e32 vcc, s2, v20
	s_and_saveexec_b64 s[0:1], vcc
	s_cbranch_execz .LBB1378_132
.LBB1378_143:
	s_waitcnt lgkmcnt(4)
	v_add_co_u32_e32 v10, vcc, 0x1000, v2
	s_nop 1
	v_addc_co_u32_e32 v11, vcc, 0, v3, vcc
	s_waitcnt lgkmcnt(3)
	global_store_dwordx2 v[10:11], v[8:9], off
	s_or_b64 exec, exec, s[0:1]
	v_cmp_gt_u32_e32 vcc, s2, v17
	s_and_saveexec_b64 s[0:1], vcc
	s_cbranch_execz .LBB1378_133
.LBB1378_144:
	s_waitcnt lgkmcnt(3)
	v_add_co_u32_e32 v8, vcc, 0x1000, v2
	s_nop 1
	v_addc_co_u32_e32 v9, vcc, 0, v3, vcc
	s_waitcnt lgkmcnt(2)
	global_store_dwordx2 v[8:9], v[6:7], off offset:1024
	s_or_b64 exec, exec, s[0:1]
	v_cmp_gt_u32_e32 vcc, s2, v16
	s_and_saveexec_b64 s[0:1], vcc
	s_cbranch_execnz .LBB1378_134
	s_branch .LBB1378_135
	.section	.rodata,"a",@progbits
	.p2align	6, 0x0
	.amdhsa_kernel _ZN7rocprim17ROCPRIM_400000_NS6detail17trampoline_kernelINS0_14default_configENS1_38merge_sort_block_merge_config_selectorIlNS0_10empty_typeEEEZZNS1_27merge_sort_block_merge_implIS3_PlPS5_mZN2at6native12_GLOBAL__N_124unique_dim_cuda_templateItEESt5tupleIJNSA_6TensorESF_SF_EERKSF_lbbbEUlllE_EE10hipError_tT0_T1_T2_jT3_P12ihipStream_tbPNSt15iterator_traitsISL_E10value_typeEPNSR_ISM_E10value_typeEPSN_NS1_7vsmem_tEENKUlT_SL_SM_SN_E_clIS8_S8_S9_S9_EESK_S10_SL_SM_SN_EUlS10_E0_NS1_11comp_targetILNS1_3genE0ELNS1_11target_archE4294967295ELNS1_3gpuE0ELNS1_3repE0EEENS1_38merge_mergepath_config_static_selectorELNS0_4arch9wavefront6targetE1EEEvSM_
		.amdhsa_group_segment_fixed_size 8448
		.amdhsa_private_segment_fixed_size 0
		.amdhsa_kernarg_size 344
		.amdhsa_user_sgpr_count 2
		.amdhsa_user_sgpr_dispatch_ptr 0
		.amdhsa_user_sgpr_queue_ptr 0
		.amdhsa_user_sgpr_kernarg_segment_ptr 1
		.amdhsa_user_sgpr_dispatch_id 0
		.amdhsa_user_sgpr_kernarg_preload_length 0
		.amdhsa_user_sgpr_kernarg_preload_offset 0
		.amdhsa_user_sgpr_private_segment_size 0
		.amdhsa_uses_dynamic_stack 0
		.amdhsa_enable_private_segment 0
		.amdhsa_system_sgpr_workgroup_id_x 1
		.amdhsa_system_sgpr_workgroup_id_y 1
		.amdhsa_system_sgpr_workgroup_id_z 1
		.amdhsa_system_sgpr_workgroup_info 0
		.amdhsa_system_vgpr_workitem_id 0
		.amdhsa_next_free_vgpr 38
		.amdhsa_next_free_sgpr 52
		.amdhsa_accum_offset 40
		.amdhsa_reserve_vcc 1
		.amdhsa_float_round_mode_32 0
		.amdhsa_float_round_mode_16_64 0
		.amdhsa_float_denorm_mode_32 3
		.amdhsa_float_denorm_mode_16_64 3
		.amdhsa_dx10_clamp 1
		.amdhsa_ieee_mode 1
		.amdhsa_fp16_overflow 0
		.amdhsa_tg_split 0
		.amdhsa_exception_fp_ieee_invalid_op 0
		.amdhsa_exception_fp_denorm_src 0
		.amdhsa_exception_fp_ieee_div_zero 0
		.amdhsa_exception_fp_ieee_overflow 0
		.amdhsa_exception_fp_ieee_underflow 0
		.amdhsa_exception_fp_ieee_inexact 0
		.amdhsa_exception_int_div_zero 0
	.end_amdhsa_kernel
	.section	.text._ZN7rocprim17ROCPRIM_400000_NS6detail17trampoline_kernelINS0_14default_configENS1_38merge_sort_block_merge_config_selectorIlNS0_10empty_typeEEEZZNS1_27merge_sort_block_merge_implIS3_PlPS5_mZN2at6native12_GLOBAL__N_124unique_dim_cuda_templateItEESt5tupleIJNSA_6TensorESF_SF_EERKSF_lbbbEUlllE_EE10hipError_tT0_T1_T2_jT3_P12ihipStream_tbPNSt15iterator_traitsISL_E10value_typeEPNSR_ISM_E10value_typeEPSN_NS1_7vsmem_tEENKUlT_SL_SM_SN_E_clIS8_S8_S9_S9_EESK_S10_SL_SM_SN_EUlS10_E0_NS1_11comp_targetILNS1_3genE0ELNS1_11target_archE4294967295ELNS1_3gpuE0ELNS1_3repE0EEENS1_38merge_mergepath_config_static_selectorELNS0_4arch9wavefront6targetE1EEEvSM_,"axG",@progbits,_ZN7rocprim17ROCPRIM_400000_NS6detail17trampoline_kernelINS0_14default_configENS1_38merge_sort_block_merge_config_selectorIlNS0_10empty_typeEEEZZNS1_27merge_sort_block_merge_implIS3_PlPS5_mZN2at6native12_GLOBAL__N_124unique_dim_cuda_templateItEESt5tupleIJNSA_6TensorESF_SF_EERKSF_lbbbEUlllE_EE10hipError_tT0_T1_T2_jT3_P12ihipStream_tbPNSt15iterator_traitsISL_E10value_typeEPNSR_ISM_E10value_typeEPSN_NS1_7vsmem_tEENKUlT_SL_SM_SN_E_clIS8_S8_S9_S9_EESK_S10_SL_SM_SN_EUlS10_E0_NS1_11comp_targetILNS1_3genE0ELNS1_11target_archE4294967295ELNS1_3gpuE0ELNS1_3repE0EEENS1_38merge_mergepath_config_static_selectorELNS0_4arch9wavefront6targetE1EEEvSM_,comdat
.Lfunc_end1378:
	.size	_ZN7rocprim17ROCPRIM_400000_NS6detail17trampoline_kernelINS0_14default_configENS1_38merge_sort_block_merge_config_selectorIlNS0_10empty_typeEEEZZNS1_27merge_sort_block_merge_implIS3_PlPS5_mZN2at6native12_GLOBAL__N_124unique_dim_cuda_templateItEESt5tupleIJNSA_6TensorESF_SF_EERKSF_lbbbEUlllE_EE10hipError_tT0_T1_T2_jT3_P12ihipStream_tbPNSt15iterator_traitsISL_E10value_typeEPNSR_ISM_E10value_typeEPSN_NS1_7vsmem_tEENKUlT_SL_SM_SN_E_clIS8_S8_S9_S9_EESK_S10_SL_SM_SN_EUlS10_E0_NS1_11comp_targetILNS1_3genE0ELNS1_11target_archE4294967295ELNS1_3gpuE0ELNS1_3repE0EEENS1_38merge_mergepath_config_static_selectorELNS0_4arch9wavefront6targetE1EEEvSM_, .Lfunc_end1378-_ZN7rocprim17ROCPRIM_400000_NS6detail17trampoline_kernelINS0_14default_configENS1_38merge_sort_block_merge_config_selectorIlNS0_10empty_typeEEEZZNS1_27merge_sort_block_merge_implIS3_PlPS5_mZN2at6native12_GLOBAL__N_124unique_dim_cuda_templateItEESt5tupleIJNSA_6TensorESF_SF_EERKSF_lbbbEUlllE_EE10hipError_tT0_T1_T2_jT3_P12ihipStream_tbPNSt15iterator_traitsISL_E10value_typeEPNSR_ISM_E10value_typeEPSN_NS1_7vsmem_tEENKUlT_SL_SM_SN_E_clIS8_S8_S9_S9_EESK_S10_SL_SM_SN_EUlS10_E0_NS1_11comp_targetILNS1_3genE0ELNS1_11target_archE4294967295ELNS1_3gpuE0ELNS1_3repE0EEENS1_38merge_mergepath_config_static_selectorELNS0_4arch9wavefront6targetE1EEEvSM_
                                        ; -- End function
	.set _ZN7rocprim17ROCPRIM_400000_NS6detail17trampoline_kernelINS0_14default_configENS1_38merge_sort_block_merge_config_selectorIlNS0_10empty_typeEEEZZNS1_27merge_sort_block_merge_implIS3_PlPS5_mZN2at6native12_GLOBAL__N_124unique_dim_cuda_templateItEESt5tupleIJNSA_6TensorESF_SF_EERKSF_lbbbEUlllE_EE10hipError_tT0_T1_T2_jT3_P12ihipStream_tbPNSt15iterator_traitsISL_E10value_typeEPNSR_ISM_E10value_typeEPSN_NS1_7vsmem_tEENKUlT_SL_SM_SN_E_clIS8_S8_S9_S9_EESK_S10_SL_SM_SN_EUlS10_E0_NS1_11comp_targetILNS1_3genE0ELNS1_11target_archE4294967295ELNS1_3gpuE0ELNS1_3repE0EEENS1_38merge_mergepath_config_static_selectorELNS0_4arch9wavefront6targetE1EEEvSM_.num_vgpr, 38
	.set _ZN7rocprim17ROCPRIM_400000_NS6detail17trampoline_kernelINS0_14default_configENS1_38merge_sort_block_merge_config_selectorIlNS0_10empty_typeEEEZZNS1_27merge_sort_block_merge_implIS3_PlPS5_mZN2at6native12_GLOBAL__N_124unique_dim_cuda_templateItEESt5tupleIJNSA_6TensorESF_SF_EERKSF_lbbbEUlllE_EE10hipError_tT0_T1_T2_jT3_P12ihipStream_tbPNSt15iterator_traitsISL_E10value_typeEPNSR_ISM_E10value_typeEPSN_NS1_7vsmem_tEENKUlT_SL_SM_SN_E_clIS8_S8_S9_S9_EESK_S10_SL_SM_SN_EUlS10_E0_NS1_11comp_targetILNS1_3genE0ELNS1_11target_archE4294967295ELNS1_3gpuE0ELNS1_3repE0EEENS1_38merge_mergepath_config_static_selectorELNS0_4arch9wavefront6targetE1EEEvSM_.num_agpr, 0
	.set _ZN7rocprim17ROCPRIM_400000_NS6detail17trampoline_kernelINS0_14default_configENS1_38merge_sort_block_merge_config_selectorIlNS0_10empty_typeEEEZZNS1_27merge_sort_block_merge_implIS3_PlPS5_mZN2at6native12_GLOBAL__N_124unique_dim_cuda_templateItEESt5tupleIJNSA_6TensorESF_SF_EERKSF_lbbbEUlllE_EE10hipError_tT0_T1_T2_jT3_P12ihipStream_tbPNSt15iterator_traitsISL_E10value_typeEPNSR_ISM_E10value_typeEPSN_NS1_7vsmem_tEENKUlT_SL_SM_SN_E_clIS8_S8_S9_S9_EESK_S10_SL_SM_SN_EUlS10_E0_NS1_11comp_targetILNS1_3genE0ELNS1_11target_archE4294967295ELNS1_3gpuE0ELNS1_3repE0EEENS1_38merge_mergepath_config_static_selectorELNS0_4arch9wavefront6targetE1EEEvSM_.numbered_sgpr, 52
	.set _ZN7rocprim17ROCPRIM_400000_NS6detail17trampoline_kernelINS0_14default_configENS1_38merge_sort_block_merge_config_selectorIlNS0_10empty_typeEEEZZNS1_27merge_sort_block_merge_implIS3_PlPS5_mZN2at6native12_GLOBAL__N_124unique_dim_cuda_templateItEESt5tupleIJNSA_6TensorESF_SF_EERKSF_lbbbEUlllE_EE10hipError_tT0_T1_T2_jT3_P12ihipStream_tbPNSt15iterator_traitsISL_E10value_typeEPNSR_ISM_E10value_typeEPSN_NS1_7vsmem_tEENKUlT_SL_SM_SN_E_clIS8_S8_S9_S9_EESK_S10_SL_SM_SN_EUlS10_E0_NS1_11comp_targetILNS1_3genE0ELNS1_11target_archE4294967295ELNS1_3gpuE0ELNS1_3repE0EEENS1_38merge_mergepath_config_static_selectorELNS0_4arch9wavefront6targetE1EEEvSM_.num_named_barrier, 0
	.set _ZN7rocprim17ROCPRIM_400000_NS6detail17trampoline_kernelINS0_14default_configENS1_38merge_sort_block_merge_config_selectorIlNS0_10empty_typeEEEZZNS1_27merge_sort_block_merge_implIS3_PlPS5_mZN2at6native12_GLOBAL__N_124unique_dim_cuda_templateItEESt5tupleIJNSA_6TensorESF_SF_EERKSF_lbbbEUlllE_EE10hipError_tT0_T1_T2_jT3_P12ihipStream_tbPNSt15iterator_traitsISL_E10value_typeEPNSR_ISM_E10value_typeEPSN_NS1_7vsmem_tEENKUlT_SL_SM_SN_E_clIS8_S8_S9_S9_EESK_S10_SL_SM_SN_EUlS10_E0_NS1_11comp_targetILNS1_3genE0ELNS1_11target_archE4294967295ELNS1_3gpuE0ELNS1_3repE0EEENS1_38merge_mergepath_config_static_selectorELNS0_4arch9wavefront6targetE1EEEvSM_.private_seg_size, 0
	.set _ZN7rocprim17ROCPRIM_400000_NS6detail17trampoline_kernelINS0_14default_configENS1_38merge_sort_block_merge_config_selectorIlNS0_10empty_typeEEEZZNS1_27merge_sort_block_merge_implIS3_PlPS5_mZN2at6native12_GLOBAL__N_124unique_dim_cuda_templateItEESt5tupleIJNSA_6TensorESF_SF_EERKSF_lbbbEUlllE_EE10hipError_tT0_T1_T2_jT3_P12ihipStream_tbPNSt15iterator_traitsISL_E10value_typeEPNSR_ISM_E10value_typeEPSN_NS1_7vsmem_tEENKUlT_SL_SM_SN_E_clIS8_S8_S9_S9_EESK_S10_SL_SM_SN_EUlS10_E0_NS1_11comp_targetILNS1_3genE0ELNS1_11target_archE4294967295ELNS1_3gpuE0ELNS1_3repE0EEENS1_38merge_mergepath_config_static_selectorELNS0_4arch9wavefront6targetE1EEEvSM_.uses_vcc, 1
	.set _ZN7rocprim17ROCPRIM_400000_NS6detail17trampoline_kernelINS0_14default_configENS1_38merge_sort_block_merge_config_selectorIlNS0_10empty_typeEEEZZNS1_27merge_sort_block_merge_implIS3_PlPS5_mZN2at6native12_GLOBAL__N_124unique_dim_cuda_templateItEESt5tupleIJNSA_6TensorESF_SF_EERKSF_lbbbEUlllE_EE10hipError_tT0_T1_T2_jT3_P12ihipStream_tbPNSt15iterator_traitsISL_E10value_typeEPNSR_ISM_E10value_typeEPSN_NS1_7vsmem_tEENKUlT_SL_SM_SN_E_clIS8_S8_S9_S9_EESK_S10_SL_SM_SN_EUlS10_E0_NS1_11comp_targetILNS1_3genE0ELNS1_11target_archE4294967295ELNS1_3gpuE0ELNS1_3repE0EEENS1_38merge_mergepath_config_static_selectorELNS0_4arch9wavefront6targetE1EEEvSM_.uses_flat_scratch, 0
	.set _ZN7rocprim17ROCPRIM_400000_NS6detail17trampoline_kernelINS0_14default_configENS1_38merge_sort_block_merge_config_selectorIlNS0_10empty_typeEEEZZNS1_27merge_sort_block_merge_implIS3_PlPS5_mZN2at6native12_GLOBAL__N_124unique_dim_cuda_templateItEESt5tupleIJNSA_6TensorESF_SF_EERKSF_lbbbEUlllE_EE10hipError_tT0_T1_T2_jT3_P12ihipStream_tbPNSt15iterator_traitsISL_E10value_typeEPNSR_ISM_E10value_typeEPSN_NS1_7vsmem_tEENKUlT_SL_SM_SN_E_clIS8_S8_S9_S9_EESK_S10_SL_SM_SN_EUlS10_E0_NS1_11comp_targetILNS1_3genE0ELNS1_11target_archE4294967295ELNS1_3gpuE0ELNS1_3repE0EEENS1_38merge_mergepath_config_static_selectorELNS0_4arch9wavefront6targetE1EEEvSM_.has_dyn_sized_stack, 0
	.set _ZN7rocprim17ROCPRIM_400000_NS6detail17trampoline_kernelINS0_14default_configENS1_38merge_sort_block_merge_config_selectorIlNS0_10empty_typeEEEZZNS1_27merge_sort_block_merge_implIS3_PlPS5_mZN2at6native12_GLOBAL__N_124unique_dim_cuda_templateItEESt5tupleIJNSA_6TensorESF_SF_EERKSF_lbbbEUlllE_EE10hipError_tT0_T1_T2_jT3_P12ihipStream_tbPNSt15iterator_traitsISL_E10value_typeEPNSR_ISM_E10value_typeEPSN_NS1_7vsmem_tEENKUlT_SL_SM_SN_E_clIS8_S8_S9_S9_EESK_S10_SL_SM_SN_EUlS10_E0_NS1_11comp_targetILNS1_3genE0ELNS1_11target_archE4294967295ELNS1_3gpuE0ELNS1_3repE0EEENS1_38merge_mergepath_config_static_selectorELNS0_4arch9wavefront6targetE1EEEvSM_.has_recursion, 0
	.set _ZN7rocprim17ROCPRIM_400000_NS6detail17trampoline_kernelINS0_14default_configENS1_38merge_sort_block_merge_config_selectorIlNS0_10empty_typeEEEZZNS1_27merge_sort_block_merge_implIS3_PlPS5_mZN2at6native12_GLOBAL__N_124unique_dim_cuda_templateItEESt5tupleIJNSA_6TensorESF_SF_EERKSF_lbbbEUlllE_EE10hipError_tT0_T1_T2_jT3_P12ihipStream_tbPNSt15iterator_traitsISL_E10value_typeEPNSR_ISM_E10value_typeEPSN_NS1_7vsmem_tEENKUlT_SL_SM_SN_E_clIS8_S8_S9_S9_EESK_S10_SL_SM_SN_EUlS10_E0_NS1_11comp_targetILNS1_3genE0ELNS1_11target_archE4294967295ELNS1_3gpuE0ELNS1_3repE0EEENS1_38merge_mergepath_config_static_selectorELNS0_4arch9wavefront6targetE1EEEvSM_.has_indirect_call, 0
	.section	.AMDGPU.csdata,"",@progbits
; Kernel info:
; codeLenInByte = 6496
; TotalNumSgprs: 58
; NumVgprs: 38
; NumAgprs: 0
; TotalNumVgprs: 38
; ScratchSize: 0
; MemoryBound: 0
; FloatMode: 240
; IeeeMode: 1
; LDSByteSize: 8448 bytes/workgroup (compile time only)
; SGPRBlocks: 7
; VGPRBlocks: 4
; NumSGPRsForWavesPerEU: 58
; NumVGPRsForWavesPerEU: 38
; AccumOffset: 40
; Occupancy: 8
; WaveLimiterHint : 1
; COMPUTE_PGM_RSRC2:SCRATCH_EN: 0
; COMPUTE_PGM_RSRC2:USER_SGPR: 2
; COMPUTE_PGM_RSRC2:TRAP_HANDLER: 0
; COMPUTE_PGM_RSRC2:TGID_X_EN: 1
; COMPUTE_PGM_RSRC2:TGID_Y_EN: 1
; COMPUTE_PGM_RSRC2:TGID_Z_EN: 1
; COMPUTE_PGM_RSRC2:TIDIG_COMP_CNT: 0
; COMPUTE_PGM_RSRC3_GFX90A:ACCUM_OFFSET: 9
; COMPUTE_PGM_RSRC3_GFX90A:TG_SPLIT: 0
	.section	.text._ZN7rocprim17ROCPRIM_400000_NS6detail17trampoline_kernelINS0_14default_configENS1_38merge_sort_block_merge_config_selectorIlNS0_10empty_typeEEEZZNS1_27merge_sort_block_merge_implIS3_PlPS5_mZN2at6native12_GLOBAL__N_124unique_dim_cuda_templateItEESt5tupleIJNSA_6TensorESF_SF_EERKSF_lbbbEUlllE_EE10hipError_tT0_T1_T2_jT3_P12ihipStream_tbPNSt15iterator_traitsISL_E10value_typeEPNSR_ISM_E10value_typeEPSN_NS1_7vsmem_tEENKUlT_SL_SM_SN_E_clIS8_S8_S9_S9_EESK_S10_SL_SM_SN_EUlS10_E0_NS1_11comp_targetILNS1_3genE10ELNS1_11target_archE1201ELNS1_3gpuE5ELNS1_3repE0EEENS1_38merge_mergepath_config_static_selectorELNS0_4arch9wavefront6targetE1EEEvSM_,"axG",@progbits,_ZN7rocprim17ROCPRIM_400000_NS6detail17trampoline_kernelINS0_14default_configENS1_38merge_sort_block_merge_config_selectorIlNS0_10empty_typeEEEZZNS1_27merge_sort_block_merge_implIS3_PlPS5_mZN2at6native12_GLOBAL__N_124unique_dim_cuda_templateItEESt5tupleIJNSA_6TensorESF_SF_EERKSF_lbbbEUlllE_EE10hipError_tT0_T1_T2_jT3_P12ihipStream_tbPNSt15iterator_traitsISL_E10value_typeEPNSR_ISM_E10value_typeEPSN_NS1_7vsmem_tEENKUlT_SL_SM_SN_E_clIS8_S8_S9_S9_EESK_S10_SL_SM_SN_EUlS10_E0_NS1_11comp_targetILNS1_3genE10ELNS1_11target_archE1201ELNS1_3gpuE5ELNS1_3repE0EEENS1_38merge_mergepath_config_static_selectorELNS0_4arch9wavefront6targetE1EEEvSM_,comdat
	.globl	_ZN7rocprim17ROCPRIM_400000_NS6detail17trampoline_kernelINS0_14default_configENS1_38merge_sort_block_merge_config_selectorIlNS0_10empty_typeEEEZZNS1_27merge_sort_block_merge_implIS3_PlPS5_mZN2at6native12_GLOBAL__N_124unique_dim_cuda_templateItEESt5tupleIJNSA_6TensorESF_SF_EERKSF_lbbbEUlllE_EE10hipError_tT0_T1_T2_jT3_P12ihipStream_tbPNSt15iterator_traitsISL_E10value_typeEPNSR_ISM_E10value_typeEPSN_NS1_7vsmem_tEENKUlT_SL_SM_SN_E_clIS8_S8_S9_S9_EESK_S10_SL_SM_SN_EUlS10_E0_NS1_11comp_targetILNS1_3genE10ELNS1_11target_archE1201ELNS1_3gpuE5ELNS1_3repE0EEENS1_38merge_mergepath_config_static_selectorELNS0_4arch9wavefront6targetE1EEEvSM_ ; -- Begin function _ZN7rocprim17ROCPRIM_400000_NS6detail17trampoline_kernelINS0_14default_configENS1_38merge_sort_block_merge_config_selectorIlNS0_10empty_typeEEEZZNS1_27merge_sort_block_merge_implIS3_PlPS5_mZN2at6native12_GLOBAL__N_124unique_dim_cuda_templateItEESt5tupleIJNSA_6TensorESF_SF_EERKSF_lbbbEUlllE_EE10hipError_tT0_T1_T2_jT3_P12ihipStream_tbPNSt15iterator_traitsISL_E10value_typeEPNSR_ISM_E10value_typeEPSN_NS1_7vsmem_tEENKUlT_SL_SM_SN_E_clIS8_S8_S9_S9_EESK_S10_SL_SM_SN_EUlS10_E0_NS1_11comp_targetILNS1_3genE10ELNS1_11target_archE1201ELNS1_3gpuE5ELNS1_3repE0EEENS1_38merge_mergepath_config_static_selectorELNS0_4arch9wavefront6targetE1EEEvSM_
	.p2align	8
	.type	_ZN7rocprim17ROCPRIM_400000_NS6detail17trampoline_kernelINS0_14default_configENS1_38merge_sort_block_merge_config_selectorIlNS0_10empty_typeEEEZZNS1_27merge_sort_block_merge_implIS3_PlPS5_mZN2at6native12_GLOBAL__N_124unique_dim_cuda_templateItEESt5tupleIJNSA_6TensorESF_SF_EERKSF_lbbbEUlllE_EE10hipError_tT0_T1_T2_jT3_P12ihipStream_tbPNSt15iterator_traitsISL_E10value_typeEPNSR_ISM_E10value_typeEPSN_NS1_7vsmem_tEENKUlT_SL_SM_SN_E_clIS8_S8_S9_S9_EESK_S10_SL_SM_SN_EUlS10_E0_NS1_11comp_targetILNS1_3genE10ELNS1_11target_archE1201ELNS1_3gpuE5ELNS1_3repE0EEENS1_38merge_mergepath_config_static_selectorELNS0_4arch9wavefront6targetE1EEEvSM_,@function
_ZN7rocprim17ROCPRIM_400000_NS6detail17trampoline_kernelINS0_14default_configENS1_38merge_sort_block_merge_config_selectorIlNS0_10empty_typeEEEZZNS1_27merge_sort_block_merge_implIS3_PlPS5_mZN2at6native12_GLOBAL__N_124unique_dim_cuda_templateItEESt5tupleIJNSA_6TensorESF_SF_EERKSF_lbbbEUlllE_EE10hipError_tT0_T1_T2_jT3_P12ihipStream_tbPNSt15iterator_traitsISL_E10value_typeEPNSR_ISM_E10value_typeEPSN_NS1_7vsmem_tEENKUlT_SL_SM_SN_E_clIS8_S8_S9_S9_EESK_S10_SL_SM_SN_EUlS10_E0_NS1_11comp_targetILNS1_3genE10ELNS1_11target_archE1201ELNS1_3gpuE5ELNS1_3repE0EEENS1_38merge_mergepath_config_static_selectorELNS0_4arch9wavefront6targetE1EEEvSM_: ; @_ZN7rocprim17ROCPRIM_400000_NS6detail17trampoline_kernelINS0_14default_configENS1_38merge_sort_block_merge_config_selectorIlNS0_10empty_typeEEEZZNS1_27merge_sort_block_merge_implIS3_PlPS5_mZN2at6native12_GLOBAL__N_124unique_dim_cuda_templateItEESt5tupleIJNSA_6TensorESF_SF_EERKSF_lbbbEUlllE_EE10hipError_tT0_T1_T2_jT3_P12ihipStream_tbPNSt15iterator_traitsISL_E10value_typeEPNSR_ISM_E10value_typeEPSN_NS1_7vsmem_tEENKUlT_SL_SM_SN_E_clIS8_S8_S9_S9_EESK_S10_SL_SM_SN_EUlS10_E0_NS1_11comp_targetILNS1_3genE10ELNS1_11target_archE1201ELNS1_3gpuE5ELNS1_3repE0EEENS1_38merge_mergepath_config_static_selectorELNS0_4arch9wavefront6targetE1EEEvSM_
; %bb.0:
	.section	.rodata,"a",@progbits
	.p2align	6, 0x0
	.amdhsa_kernel _ZN7rocprim17ROCPRIM_400000_NS6detail17trampoline_kernelINS0_14default_configENS1_38merge_sort_block_merge_config_selectorIlNS0_10empty_typeEEEZZNS1_27merge_sort_block_merge_implIS3_PlPS5_mZN2at6native12_GLOBAL__N_124unique_dim_cuda_templateItEESt5tupleIJNSA_6TensorESF_SF_EERKSF_lbbbEUlllE_EE10hipError_tT0_T1_T2_jT3_P12ihipStream_tbPNSt15iterator_traitsISL_E10value_typeEPNSR_ISM_E10value_typeEPSN_NS1_7vsmem_tEENKUlT_SL_SM_SN_E_clIS8_S8_S9_S9_EESK_S10_SL_SM_SN_EUlS10_E0_NS1_11comp_targetILNS1_3genE10ELNS1_11target_archE1201ELNS1_3gpuE5ELNS1_3repE0EEENS1_38merge_mergepath_config_static_selectorELNS0_4arch9wavefront6targetE1EEEvSM_
		.amdhsa_group_segment_fixed_size 0
		.amdhsa_private_segment_fixed_size 0
		.amdhsa_kernarg_size 88
		.amdhsa_user_sgpr_count 2
		.amdhsa_user_sgpr_dispatch_ptr 0
		.amdhsa_user_sgpr_queue_ptr 0
		.amdhsa_user_sgpr_kernarg_segment_ptr 1
		.amdhsa_user_sgpr_dispatch_id 0
		.amdhsa_user_sgpr_kernarg_preload_length 0
		.amdhsa_user_sgpr_kernarg_preload_offset 0
		.amdhsa_user_sgpr_private_segment_size 0
		.amdhsa_uses_dynamic_stack 0
		.amdhsa_enable_private_segment 0
		.amdhsa_system_sgpr_workgroup_id_x 1
		.amdhsa_system_sgpr_workgroup_id_y 0
		.amdhsa_system_sgpr_workgroup_id_z 0
		.amdhsa_system_sgpr_workgroup_info 0
		.amdhsa_system_vgpr_workitem_id 0
		.amdhsa_next_free_vgpr 1
		.amdhsa_next_free_sgpr 0
		.amdhsa_accum_offset 4
		.amdhsa_reserve_vcc 0
		.amdhsa_float_round_mode_32 0
		.amdhsa_float_round_mode_16_64 0
		.amdhsa_float_denorm_mode_32 3
		.amdhsa_float_denorm_mode_16_64 3
		.amdhsa_dx10_clamp 1
		.amdhsa_ieee_mode 1
		.amdhsa_fp16_overflow 0
		.amdhsa_tg_split 0
		.amdhsa_exception_fp_ieee_invalid_op 0
		.amdhsa_exception_fp_denorm_src 0
		.amdhsa_exception_fp_ieee_div_zero 0
		.amdhsa_exception_fp_ieee_overflow 0
		.amdhsa_exception_fp_ieee_underflow 0
		.amdhsa_exception_fp_ieee_inexact 0
		.amdhsa_exception_int_div_zero 0
	.end_amdhsa_kernel
	.section	.text._ZN7rocprim17ROCPRIM_400000_NS6detail17trampoline_kernelINS0_14default_configENS1_38merge_sort_block_merge_config_selectorIlNS0_10empty_typeEEEZZNS1_27merge_sort_block_merge_implIS3_PlPS5_mZN2at6native12_GLOBAL__N_124unique_dim_cuda_templateItEESt5tupleIJNSA_6TensorESF_SF_EERKSF_lbbbEUlllE_EE10hipError_tT0_T1_T2_jT3_P12ihipStream_tbPNSt15iterator_traitsISL_E10value_typeEPNSR_ISM_E10value_typeEPSN_NS1_7vsmem_tEENKUlT_SL_SM_SN_E_clIS8_S8_S9_S9_EESK_S10_SL_SM_SN_EUlS10_E0_NS1_11comp_targetILNS1_3genE10ELNS1_11target_archE1201ELNS1_3gpuE5ELNS1_3repE0EEENS1_38merge_mergepath_config_static_selectorELNS0_4arch9wavefront6targetE1EEEvSM_,"axG",@progbits,_ZN7rocprim17ROCPRIM_400000_NS6detail17trampoline_kernelINS0_14default_configENS1_38merge_sort_block_merge_config_selectorIlNS0_10empty_typeEEEZZNS1_27merge_sort_block_merge_implIS3_PlPS5_mZN2at6native12_GLOBAL__N_124unique_dim_cuda_templateItEESt5tupleIJNSA_6TensorESF_SF_EERKSF_lbbbEUlllE_EE10hipError_tT0_T1_T2_jT3_P12ihipStream_tbPNSt15iterator_traitsISL_E10value_typeEPNSR_ISM_E10value_typeEPSN_NS1_7vsmem_tEENKUlT_SL_SM_SN_E_clIS8_S8_S9_S9_EESK_S10_SL_SM_SN_EUlS10_E0_NS1_11comp_targetILNS1_3genE10ELNS1_11target_archE1201ELNS1_3gpuE5ELNS1_3repE0EEENS1_38merge_mergepath_config_static_selectorELNS0_4arch9wavefront6targetE1EEEvSM_,comdat
.Lfunc_end1379:
	.size	_ZN7rocprim17ROCPRIM_400000_NS6detail17trampoline_kernelINS0_14default_configENS1_38merge_sort_block_merge_config_selectorIlNS0_10empty_typeEEEZZNS1_27merge_sort_block_merge_implIS3_PlPS5_mZN2at6native12_GLOBAL__N_124unique_dim_cuda_templateItEESt5tupleIJNSA_6TensorESF_SF_EERKSF_lbbbEUlllE_EE10hipError_tT0_T1_T2_jT3_P12ihipStream_tbPNSt15iterator_traitsISL_E10value_typeEPNSR_ISM_E10value_typeEPSN_NS1_7vsmem_tEENKUlT_SL_SM_SN_E_clIS8_S8_S9_S9_EESK_S10_SL_SM_SN_EUlS10_E0_NS1_11comp_targetILNS1_3genE10ELNS1_11target_archE1201ELNS1_3gpuE5ELNS1_3repE0EEENS1_38merge_mergepath_config_static_selectorELNS0_4arch9wavefront6targetE1EEEvSM_, .Lfunc_end1379-_ZN7rocprim17ROCPRIM_400000_NS6detail17trampoline_kernelINS0_14default_configENS1_38merge_sort_block_merge_config_selectorIlNS0_10empty_typeEEEZZNS1_27merge_sort_block_merge_implIS3_PlPS5_mZN2at6native12_GLOBAL__N_124unique_dim_cuda_templateItEESt5tupleIJNSA_6TensorESF_SF_EERKSF_lbbbEUlllE_EE10hipError_tT0_T1_T2_jT3_P12ihipStream_tbPNSt15iterator_traitsISL_E10value_typeEPNSR_ISM_E10value_typeEPSN_NS1_7vsmem_tEENKUlT_SL_SM_SN_E_clIS8_S8_S9_S9_EESK_S10_SL_SM_SN_EUlS10_E0_NS1_11comp_targetILNS1_3genE10ELNS1_11target_archE1201ELNS1_3gpuE5ELNS1_3repE0EEENS1_38merge_mergepath_config_static_selectorELNS0_4arch9wavefront6targetE1EEEvSM_
                                        ; -- End function
	.set _ZN7rocprim17ROCPRIM_400000_NS6detail17trampoline_kernelINS0_14default_configENS1_38merge_sort_block_merge_config_selectorIlNS0_10empty_typeEEEZZNS1_27merge_sort_block_merge_implIS3_PlPS5_mZN2at6native12_GLOBAL__N_124unique_dim_cuda_templateItEESt5tupleIJNSA_6TensorESF_SF_EERKSF_lbbbEUlllE_EE10hipError_tT0_T1_T2_jT3_P12ihipStream_tbPNSt15iterator_traitsISL_E10value_typeEPNSR_ISM_E10value_typeEPSN_NS1_7vsmem_tEENKUlT_SL_SM_SN_E_clIS8_S8_S9_S9_EESK_S10_SL_SM_SN_EUlS10_E0_NS1_11comp_targetILNS1_3genE10ELNS1_11target_archE1201ELNS1_3gpuE5ELNS1_3repE0EEENS1_38merge_mergepath_config_static_selectorELNS0_4arch9wavefront6targetE1EEEvSM_.num_vgpr, 0
	.set _ZN7rocprim17ROCPRIM_400000_NS6detail17trampoline_kernelINS0_14default_configENS1_38merge_sort_block_merge_config_selectorIlNS0_10empty_typeEEEZZNS1_27merge_sort_block_merge_implIS3_PlPS5_mZN2at6native12_GLOBAL__N_124unique_dim_cuda_templateItEESt5tupleIJNSA_6TensorESF_SF_EERKSF_lbbbEUlllE_EE10hipError_tT0_T1_T2_jT3_P12ihipStream_tbPNSt15iterator_traitsISL_E10value_typeEPNSR_ISM_E10value_typeEPSN_NS1_7vsmem_tEENKUlT_SL_SM_SN_E_clIS8_S8_S9_S9_EESK_S10_SL_SM_SN_EUlS10_E0_NS1_11comp_targetILNS1_3genE10ELNS1_11target_archE1201ELNS1_3gpuE5ELNS1_3repE0EEENS1_38merge_mergepath_config_static_selectorELNS0_4arch9wavefront6targetE1EEEvSM_.num_agpr, 0
	.set _ZN7rocprim17ROCPRIM_400000_NS6detail17trampoline_kernelINS0_14default_configENS1_38merge_sort_block_merge_config_selectorIlNS0_10empty_typeEEEZZNS1_27merge_sort_block_merge_implIS3_PlPS5_mZN2at6native12_GLOBAL__N_124unique_dim_cuda_templateItEESt5tupleIJNSA_6TensorESF_SF_EERKSF_lbbbEUlllE_EE10hipError_tT0_T1_T2_jT3_P12ihipStream_tbPNSt15iterator_traitsISL_E10value_typeEPNSR_ISM_E10value_typeEPSN_NS1_7vsmem_tEENKUlT_SL_SM_SN_E_clIS8_S8_S9_S9_EESK_S10_SL_SM_SN_EUlS10_E0_NS1_11comp_targetILNS1_3genE10ELNS1_11target_archE1201ELNS1_3gpuE5ELNS1_3repE0EEENS1_38merge_mergepath_config_static_selectorELNS0_4arch9wavefront6targetE1EEEvSM_.numbered_sgpr, 0
	.set _ZN7rocprim17ROCPRIM_400000_NS6detail17trampoline_kernelINS0_14default_configENS1_38merge_sort_block_merge_config_selectorIlNS0_10empty_typeEEEZZNS1_27merge_sort_block_merge_implIS3_PlPS5_mZN2at6native12_GLOBAL__N_124unique_dim_cuda_templateItEESt5tupleIJNSA_6TensorESF_SF_EERKSF_lbbbEUlllE_EE10hipError_tT0_T1_T2_jT3_P12ihipStream_tbPNSt15iterator_traitsISL_E10value_typeEPNSR_ISM_E10value_typeEPSN_NS1_7vsmem_tEENKUlT_SL_SM_SN_E_clIS8_S8_S9_S9_EESK_S10_SL_SM_SN_EUlS10_E0_NS1_11comp_targetILNS1_3genE10ELNS1_11target_archE1201ELNS1_3gpuE5ELNS1_3repE0EEENS1_38merge_mergepath_config_static_selectorELNS0_4arch9wavefront6targetE1EEEvSM_.num_named_barrier, 0
	.set _ZN7rocprim17ROCPRIM_400000_NS6detail17trampoline_kernelINS0_14default_configENS1_38merge_sort_block_merge_config_selectorIlNS0_10empty_typeEEEZZNS1_27merge_sort_block_merge_implIS3_PlPS5_mZN2at6native12_GLOBAL__N_124unique_dim_cuda_templateItEESt5tupleIJNSA_6TensorESF_SF_EERKSF_lbbbEUlllE_EE10hipError_tT0_T1_T2_jT3_P12ihipStream_tbPNSt15iterator_traitsISL_E10value_typeEPNSR_ISM_E10value_typeEPSN_NS1_7vsmem_tEENKUlT_SL_SM_SN_E_clIS8_S8_S9_S9_EESK_S10_SL_SM_SN_EUlS10_E0_NS1_11comp_targetILNS1_3genE10ELNS1_11target_archE1201ELNS1_3gpuE5ELNS1_3repE0EEENS1_38merge_mergepath_config_static_selectorELNS0_4arch9wavefront6targetE1EEEvSM_.private_seg_size, 0
	.set _ZN7rocprim17ROCPRIM_400000_NS6detail17trampoline_kernelINS0_14default_configENS1_38merge_sort_block_merge_config_selectorIlNS0_10empty_typeEEEZZNS1_27merge_sort_block_merge_implIS3_PlPS5_mZN2at6native12_GLOBAL__N_124unique_dim_cuda_templateItEESt5tupleIJNSA_6TensorESF_SF_EERKSF_lbbbEUlllE_EE10hipError_tT0_T1_T2_jT3_P12ihipStream_tbPNSt15iterator_traitsISL_E10value_typeEPNSR_ISM_E10value_typeEPSN_NS1_7vsmem_tEENKUlT_SL_SM_SN_E_clIS8_S8_S9_S9_EESK_S10_SL_SM_SN_EUlS10_E0_NS1_11comp_targetILNS1_3genE10ELNS1_11target_archE1201ELNS1_3gpuE5ELNS1_3repE0EEENS1_38merge_mergepath_config_static_selectorELNS0_4arch9wavefront6targetE1EEEvSM_.uses_vcc, 0
	.set _ZN7rocprim17ROCPRIM_400000_NS6detail17trampoline_kernelINS0_14default_configENS1_38merge_sort_block_merge_config_selectorIlNS0_10empty_typeEEEZZNS1_27merge_sort_block_merge_implIS3_PlPS5_mZN2at6native12_GLOBAL__N_124unique_dim_cuda_templateItEESt5tupleIJNSA_6TensorESF_SF_EERKSF_lbbbEUlllE_EE10hipError_tT0_T1_T2_jT3_P12ihipStream_tbPNSt15iterator_traitsISL_E10value_typeEPNSR_ISM_E10value_typeEPSN_NS1_7vsmem_tEENKUlT_SL_SM_SN_E_clIS8_S8_S9_S9_EESK_S10_SL_SM_SN_EUlS10_E0_NS1_11comp_targetILNS1_3genE10ELNS1_11target_archE1201ELNS1_3gpuE5ELNS1_3repE0EEENS1_38merge_mergepath_config_static_selectorELNS0_4arch9wavefront6targetE1EEEvSM_.uses_flat_scratch, 0
	.set _ZN7rocprim17ROCPRIM_400000_NS6detail17trampoline_kernelINS0_14default_configENS1_38merge_sort_block_merge_config_selectorIlNS0_10empty_typeEEEZZNS1_27merge_sort_block_merge_implIS3_PlPS5_mZN2at6native12_GLOBAL__N_124unique_dim_cuda_templateItEESt5tupleIJNSA_6TensorESF_SF_EERKSF_lbbbEUlllE_EE10hipError_tT0_T1_T2_jT3_P12ihipStream_tbPNSt15iterator_traitsISL_E10value_typeEPNSR_ISM_E10value_typeEPSN_NS1_7vsmem_tEENKUlT_SL_SM_SN_E_clIS8_S8_S9_S9_EESK_S10_SL_SM_SN_EUlS10_E0_NS1_11comp_targetILNS1_3genE10ELNS1_11target_archE1201ELNS1_3gpuE5ELNS1_3repE0EEENS1_38merge_mergepath_config_static_selectorELNS0_4arch9wavefront6targetE1EEEvSM_.has_dyn_sized_stack, 0
	.set _ZN7rocprim17ROCPRIM_400000_NS6detail17trampoline_kernelINS0_14default_configENS1_38merge_sort_block_merge_config_selectorIlNS0_10empty_typeEEEZZNS1_27merge_sort_block_merge_implIS3_PlPS5_mZN2at6native12_GLOBAL__N_124unique_dim_cuda_templateItEESt5tupleIJNSA_6TensorESF_SF_EERKSF_lbbbEUlllE_EE10hipError_tT0_T1_T2_jT3_P12ihipStream_tbPNSt15iterator_traitsISL_E10value_typeEPNSR_ISM_E10value_typeEPSN_NS1_7vsmem_tEENKUlT_SL_SM_SN_E_clIS8_S8_S9_S9_EESK_S10_SL_SM_SN_EUlS10_E0_NS1_11comp_targetILNS1_3genE10ELNS1_11target_archE1201ELNS1_3gpuE5ELNS1_3repE0EEENS1_38merge_mergepath_config_static_selectorELNS0_4arch9wavefront6targetE1EEEvSM_.has_recursion, 0
	.set _ZN7rocprim17ROCPRIM_400000_NS6detail17trampoline_kernelINS0_14default_configENS1_38merge_sort_block_merge_config_selectorIlNS0_10empty_typeEEEZZNS1_27merge_sort_block_merge_implIS3_PlPS5_mZN2at6native12_GLOBAL__N_124unique_dim_cuda_templateItEESt5tupleIJNSA_6TensorESF_SF_EERKSF_lbbbEUlllE_EE10hipError_tT0_T1_T2_jT3_P12ihipStream_tbPNSt15iterator_traitsISL_E10value_typeEPNSR_ISM_E10value_typeEPSN_NS1_7vsmem_tEENKUlT_SL_SM_SN_E_clIS8_S8_S9_S9_EESK_S10_SL_SM_SN_EUlS10_E0_NS1_11comp_targetILNS1_3genE10ELNS1_11target_archE1201ELNS1_3gpuE5ELNS1_3repE0EEENS1_38merge_mergepath_config_static_selectorELNS0_4arch9wavefront6targetE1EEEvSM_.has_indirect_call, 0
	.section	.AMDGPU.csdata,"",@progbits
; Kernel info:
; codeLenInByte = 0
; TotalNumSgprs: 6
; NumVgprs: 0
; NumAgprs: 0
; TotalNumVgprs: 0
; ScratchSize: 0
; MemoryBound: 0
; FloatMode: 240
; IeeeMode: 1
; LDSByteSize: 0 bytes/workgroup (compile time only)
; SGPRBlocks: 0
; VGPRBlocks: 0
; NumSGPRsForWavesPerEU: 6
; NumVGPRsForWavesPerEU: 1
; AccumOffset: 4
; Occupancy: 8
; WaveLimiterHint : 0
; COMPUTE_PGM_RSRC2:SCRATCH_EN: 0
; COMPUTE_PGM_RSRC2:USER_SGPR: 2
; COMPUTE_PGM_RSRC2:TRAP_HANDLER: 0
; COMPUTE_PGM_RSRC2:TGID_X_EN: 1
; COMPUTE_PGM_RSRC2:TGID_Y_EN: 0
; COMPUTE_PGM_RSRC2:TGID_Z_EN: 0
; COMPUTE_PGM_RSRC2:TIDIG_COMP_CNT: 0
; COMPUTE_PGM_RSRC3_GFX90A:ACCUM_OFFSET: 0
; COMPUTE_PGM_RSRC3_GFX90A:TG_SPLIT: 0
	.section	.text._ZN7rocprim17ROCPRIM_400000_NS6detail17trampoline_kernelINS0_14default_configENS1_38merge_sort_block_merge_config_selectorIlNS0_10empty_typeEEEZZNS1_27merge_sort_block_merge_implIS3_PlPS5_mZN2at6native12_GLOBAL__N_124unique_dim_cuda_templateItEESt5tupleIJNSA_6TensorESF_SF_EERKSF_lbbbEUlllE_EE10hipError_tT0_T1_T2_jT3_P12ihipStream_tbPNSt15iterator_traitsISL_E10value_typeEPNSR_ISM_E10value_typeEPSN_NS1_7vsmem_tEENKUlT_SL_SM_SN_E_clIS8_S8_S9_S9_EESK_S10_SL_SM_SN_EUlS10_E0_NS1_11comp_targetILNS1_3genE5ELNS1_11target_archE942ELNS1_3gpuE9ELNS1_3repE0EEENS1_38merge_mergepath_config_static_selectorELNS0_4arch9wavefront6targetE1EEEvSM_,"axG",@progbits,_ZN7rocprim17ROCPRIM_400000_NS6detail17trampoline_kernelINS0_14default_configENS1_38merge_sort_block_merge_config_selectorIlNS0_10empty_typeEEEZZNS1_27merge_sort_block_merge_implIS3_PlPS5_mZN2at6native12_GLOBAL__N_124unique_dim_cuda_templateItEESt5tupleIJNSA_6TensorESF_SF_EERKSF_lbbbEUlllE_EE10hipError_tT0_T1_T2_jT3_P12ihipStream_tbPNSt15iterator_traitsISL_E10value_typeEPNSR_ISM_E10value_typeEPSN_NS1_7vsmem_tEENKUlT_SL_SM_SN_E_clIS8_S8_S9_S9_EESK_S10_SL_SM_SN_EUlS10_E0_NS1_11comp_targetILNS1_3genE5ELNS1_11target_archE942ELNS1_3gpuE9ELNS1_3repE0EEENS1_38merge_mergepath_config_static_selectorELNS0_4arch9wavefront6targetE1EEEvSM_,comdat
	.globl	_ZN7rocprim17ROCPRIM_400000_NS6detail17trampoline_kernelINS0_14default_configENS1_38merge_sort_block_merge_config_selectorIlNS0_10empty_typeEEEZZNS1_27merge_sort_block_merge_implIS3_PlPS5_mZN2at6native12_GLOBAL__N_124unique_dim_cuda_templateItEESt5tupleIJNSA_6TensorESF_SF_EERKSF_lbbbEUlllE_EE10hipError_tT0_T1_T2_jT3_P12ihipStream_tbPNSt15iterator_traitsISL_E10value_typeEPNSR_ISM_E10value_typeEPSN_NS1_7vsmem_tEENKUlT_SL_SM_SN_E_clIS8_S8_S9_S9_EESK_S10_SL_SM_SN_EUlS10_E0_NS1_11comp_targetILNS1_3genE5ELNS1_11target_archE942ELNS1_3gpuE9ELNS1_3repE0EEENS1_38merge_mergepath_config_static_selectorELNS0_4arch9wavefront6targetE1EEEvSM_ ; -- Begin function _ZN7rocprim17ROCPRIM_400000_NS6detail17trampoline_kernelINS0_14default_configENS1_38merge_sort_block_merge_config_selectorIlNS0_10empty_typeEEEZZNS1_27merge_sort_block_merge_implIS3_PlPS5_mZN2at6native12_GLOBAL__N_124unique_dim_cuda_templateItEESt5tupleIJNSA_6TensorESF_SF_EERKSF_lbbbEUlllE_EE10hipError_tT0_T1_T2_jT3_P12ihipStream_tbPNSt15iterator_traitsISL_E10value_typeEPNSR_ISM_E10value_typeEPSN_NS1_7vsmem_tEENKUlT_SL_SM_SN_E_clIS8_S8_S9_S9_EESK_S10_SL_SM_SN_EUlS10_E0_NS1_11comp_targetILNS1_3genE5ELNS1_11target_archE942ELNS1_3gpuE9ELNS1_3repE0EEENS1_38merge_mergepath_config_static_selectorELNS0_4arch9wavefront6targetE1EEEvSM_
	.p2align	8
	.type	_ZN7rocprim17ROCPRIM_400000_NS6detail17trampoline_kernelINS0_14default_configENS1_38merge_sort_block_merge_config_selectorIlNS0_10empty_typeEEEZZNS1_27merge_sort_block_merge_implIS3_PlPS5_mZN2at6native12_GLOBAL__N_124unique_dim_cuda_templateItEESt5tupleIJNSA_6TensorESF_SF_EERKSF_lbbbEUlllE_EE10hipError_tT0_T1_T2_jT3_P12ihipStream_tbPNSt15iterator_traitsISL_E10value_typeEPNSR_ISM_E10value_typeEPSN_NS1_7vsmem_tEENKUlT_SL_SM_SN_E_clIS8_S8_S9_S9_EESK_S10_SL_SM_SN_EUlS10_E0_NS1_11comp_targetILNS1_3genE5ELNS1_11target_archE942ELNS1_3gpuE9ELNS1_3repE0EEENS1_38merge_mergepath_config_static_selectorELNS0_4arch9wavefront6targetE1EEEvSM_,@function
_ZN7rocprim17ROCPRIM_400000_NS6detail17trampoline_kernelINS0_14default_configENS1_38merge_sort_block_merge_config_selectorIlNS0_10empty_typeEEEZZNS1_27merge_sort_block_merge_implIS3_PlPS5_mZN2at6native12_GLOBAL__N_124unique_dim_cuda_templateItEESt5tupleIJNSA_6TensorESF_SF_EERKSF_lbbbEUlllE_EE10hipError_tT0_T1_T2_jT3_P12ihipStream_tbPNSt15iterator_traitsISL_E10value_typeEPNSR_ISM_E10value_typeEPSN_NS1_7vsmem_tEENKUlT_SL_SM_SN_E_clIS8_S8_S9_S9_EESK_S10_SL_SM_SN_EUlS10_E0_NS1_11comp_targetILNS1_3genE5ELNS1_11target_archE942ELNS1_3gpuE9ELNS1_3repE0EEENS1_38merge_mergepath_config_static_selectorELNS0_4arch9wavefront6targetE1EEEvSM_: ; @_ZN7rocprim17ROCPRIM_400000_NS6detail17trampoline_kernelINS0_14default_configENS1_38merge_sort_block_merge_config_selectorIlNS0_10empty_typeEEEZZNS1_27merge_sort_block_merge_implIS3_PlPS5_mZN2at6native12_GLOBAL__N_124unique_dim_cuda_templateItEESt5tupleIJNSA_6TensorESF_SF_EERKSF_lbbbEUlllE_EE10hipError_tT0_T1_T2_jT3_P12ihipStream_tbPNSt15iterator_traitsISL_E10value_typeEPNSR_ISM_E10value_typeEPSN_NS1_7vsmem_tEENKUlT_SL_SM_SN_E_clIS8_S8_S9_S9_EESK_S10_SL_SM_SN_EUlS10_E0_NS1_11comp_targetILNS1_3genE5ELNS1_11target_archE942ELNS1_3gpuE9ELNS1_3repE0EEENS1_38merge_mergepath_config_static_selectorELNS0_4arch9wavefront6targetE1EEEvSM_
; %bb.0:
	.section	.rodata,"a",@progbits
	.p2align	6, 0x0
	.amdhsa_kernel _ZN7rocprim17ROCPRIM_400000_NS6detail17trampoline_kernelINS0_14default_configENS1_38merge_sort_block_merge_config_selectorIlNS0_10empty_typeEEEZZNS1_27merge_sort_block_merge_implIS3_PlPS5_mZN2at6native12_GLOBAL__N_124unique_dim_cuda_templateItEESt5tupleIJNSA_6TensorESF_SF_EERKSF_lbbbEUlllE_EE10hipError_tT0_T1_T2_jT3_P12ihipStream_tbPNSt15iterator_traitsISL_E10value_typeEPNSR_ISM_E10value_typeEPSN_NS1_7vsmem_tEENKUlT_SL_SM_SN_E_clIS8_S8_S9_S9_EESK_S10_SL_SM_SN_EUlS10_E0_NS1_11comp_targetILNS1_3genE5ELNS1_11target_archE942ELNS1_3gpuE9ELNS1_3repE0EEENS1_38merge_mergepath_config_static_selectorELNS0_4arch9wavefront6targetE1EEEvSM_
		.amdhsa_group_segment_fixed_size 0
		.amdhsa_private_segment_fixed_size 0
		.amdhsa_kernarg_size 88
		.amdhsa_user_sgpr_count 2
		.amdhsa_user_sgpr_dispatch_ptr 0
		.amdhsa_user_sgpr_queue_ptr 0
		.amdhsa_user_sgpr_kernarg_segment_ptr 1
		.amdhsa_user_sgpr_dispatch_id 0
		.amdhsa_user_sgpr_kernarg_preload_length 0
		.amdhsa_user_sgpr_kernarg_preload_offset 0
		.amdhsa_user_sgpr_private_segment_size 0
		.amdhsa_uses_dynamic_stack 0
		.amdhsa_enable_private_segment 0
		.amdhsa_system_sgpr_workgroup_id_x 1
		.amdhsa_system_sgpr_workgroup_id_y 0
		.amdhsa_system_sgpr_workgroup_id_z 0
		.amdhsa_system_sgpr_workgroup_info 0
		.amdhsa_system_vgpr_workitem_id 0
		.amdhsa_next_free_vgpr 1
		.amdhsa_next_free_sgpr 0
		.amdhsa_accum_offset 4
		.amdhsa_reserve_vcc 0
		.amdhsa_float_round_mode_32 0
		.amdhsa_float_round_mode_16_64 0
		.amdhsa_float_denorm_mode_32 3
		.amdhsa_float_denorm_mode_16_64 3
		.amdhsa_dx10_clamp 1
		.amdhsa_ieee_mode 1
		.amdhsa_fp16_overflow 0
		.amdhsa_tg_split 0
		.amdhsa_exception_fp_ieee_invalid_op 0
		.amdhsa_exception_fp_denorm_src 0
		.amdhsa_exception_fp_ieee_div_zero 0
		.amdhsa_exception_fp_ieee_overflow 0
		.amdhsa_exception_fp_ieee_underflow 0
		.amdhsa_exception_fp_ieee_inexact 0
		.amdhsa_exception_int_div_zero 0
	.end_amdhsa_kernel
	.section	.text._ZN7rocprim17ROCPRIM_400000_NS6detail17trampoline_kernelINS0_14default_configENS1_38merge_sort_block_merge_config_selectorIlNS0_10empty_typeEEEZZNS1_27merge_sort_block_merge_implIS3_PlPS5_mZN2at6native12_GLOBAL__N_124unique_dim_cuda_templateItEESt5tupleIJNSA_6TensorESF_SF_EERKSF_lbbbEUlllE_EE10hipError_tT0_T1_T2_jT3_P12ihipStream_tbPNSt15iterator_traitsISL_E10value_typeEPNSR_ISM_E10value_typeEPSN_NS1_7vsmem_tEENKUlT_SL_SM_SN_E_clIS8_S8_S9_S9_EESK_S10_SL_SM_SN_EUlS10_E0_NS1_11comp_targetILNS1_3genE5ELNS1_11target_archE942ELNS1_3gpuE9ELNS1_3repE0EEENS1_38merge_mergepath_config_static_selectorELNS0_4arch9wavefront6targetE1EEEvSM_,"axG",@progbits,_ZN7rocprim17ROCPRIM_400000_NS6detail17trampoline_kernelINS0_14default_configENS1_38merge_sort_block_merge_config_selectorIlNS0_10empty_typeEEEZZNS1_27merge_sort_block_merge_implIS3_PlPS5_mZN2at6native12_GLOBAL__N_124unique_dim_cuda_templateItEESt5tupleIJNSA_6TensorESF_SF_EERKSF_lbbbEUlllE_EE10hipError_tT0_T1_T2_jT3_P12ihipStream_tbPNSt15iterator_traitsISL_E10value_typeEPNSR_ISM_E10value_typeEPSN_NS1_7vsmem_tEENKUlT_SL_SM_SN_E_clIS8_S8_S9_S9_EESK_S10_SL_SM_SN_EUlS10_E0_NS1_11comp_targetILNS1_3genE5ELNS1_11target_archE942ELNS1_3gpuE9ELNS1_3repE0EEENS1_38merge_mergepath_config_static_selectorELNS0_4arch9wavefront6targetE1EEEvSM_,comdat
.Lfunc_end1380:
	.size	_ZN7rocprim17ROCPRIM_400000_NS6detail17trampoline_kernelINS0_14default_configENS1_38merge_sort_block_merge_config_selectorIlNS0_10empty_typeEEEZZNS1_27merge_sort_block_merge_implIS3_PlPS5_mZN2at6native12_GLOBAL__N_124unique_dim_cuda_templateItEESt5tupleIJNSA_6TensorESF_SF_EERKSF_lbbbEUlllE_EE10hipError_tT0_T1_T2_jT3_P12ihipStream_tbPNSt15iterator_traitsISL_E10value_typeEPNSR_ISM_E10value_typeEPSN_NS1_7vsmem_tEENKUlT_SL_SM_SN_E_clIS8_S8_S9_S9_EESK_S10_SL_SM_SN_EUlS10_E0_NS1_11comp_targetILNS1_3genE5ELNS1_11target_archE942ELNS1_3gpuE9ELNS1_3repE0EEENS1_38merge_mergepath_config_static_selectorELNS0_4arch9wavefront6targetE1EEEvSM_, .Lfunc_end1380-_ZN7rocprim17ROCPRIM_400000_NS6detail17trampoline_kernelINS0_14default_configENS1_38merge_sort_block_merge_config_selectorIlNS0_10empty_typeEEEZZNS1_27merge_sort_block_merge_implIS3_PlPS5_mZN2at6native12_GLOBAL__N_124unique_dim_cuda_templateItEESt5tupleIJNSA_6TensorESF_SF_EERKSF_lbbbEUlllE_EE10hipError_tT0_T1_T2_jT3_P12ihipStream_tbPNSt15iterator_traitsISL_E10value_typeEPNSR_ISM_E10value_typeEPSN_NS1_7vsmem_tEENKUlT_SL_SM_SN_E_clIS8_S8_S9_S9_EESK_S10_SL_SM_SN_EUlS10_E0_NS1_11comp_targetILNS1_3genE5ELNS1_11target_archE942ELNS1_3gpuE9ELNS1_3repE0EEENS1_38merge_mergepath_config_static_selectorELNS0_4arch9wavefront6targetE1EEEvSM_
                                        ; -- End function
	.set _ZN7rocprim17ROCPRIM_400000_NS6detail17trampoline_kernelINS0_14default_configENS1_38merge_sort_block_merge_config_selectorIlNS0_10empty_typeEEEZZNS1_27merge_sort_block_merge_implIS3_PlPS5_mZN2at6native12_GLOBAL__N_124unique_dim_cuda_templateItEESt5tupleIJNSA_6TensorESF_SF_EERKSF_lbbbEUlllE_EE10hipError_tT0_T1_T2_jT3_P12ihipStream_tbPNSt15iterator_traitsISL_E10value_typeEPNSR_ISM_E10value_typeEPSN_NS1_7vsmem_tEENKUlT_SL_SM_SN_E_clIS8_S8_S9_S9_EESK_S10_SL_SM_SN_EUlS10_E0_NS1_11comp_targetILNS1_3genE5ELNS1_11target_archE942ELNS1_3gpuE9ELNS1_3repE0EEENS1_38merge_mergepath_config_static_selectorELNS0_4arch9wavefront6targetE1EEEvSM_.num_vgpr, 0
	.set _ZN7rocprim17ROCPRIM_400000_NS6detail17trampoline_kernelINS0_14default_configENS1_38merge_sort_block_merge_config_selectorIlNS0_10empty_typeEEEZZNS1_27merge_sort_block_merge_implIS3_PlPS5_mZN2at6native12_GLOBAL__N_124unique_dim_cuda_templateItEESt5tupleIJNSA_6TensorESF_SF_EERKSF_lbbbEUlllE_EE10hipError_tT0_T1_T2_jT3_P12ihipStream_tbPNSt15iterator_traitsISL_E10value_typeEPNSR_ISM_E10value_typeEPSN_NS1_7vsmem_tEENKUlT_SL_SM_SN_E_clIS8_S8_S9_S9_EESK_S10_SL_SM_SN_EUlS10_E0_NS1_11comp_targetILNS1_3genE5ELNS1_11target_archE942ELNS1_3gpuE9ELNS1_3repE0EEENS1_38merge_mergepath_config_static_selectorELNS0_4arch9wavefront6targetE1EEEvSM_.num_agpr, 0
	.set _ZN7rocprim17ROCPRIM_400000_NS6detail17trampoline_kernelINS0_14default_configENS1_38merge_sort_block_merge_config_selectorIlNS0_10empty_typeEEEZZNS1_27merge_sort_block_merge_implIS3_PlPS5_mZN2at6native12_GLOBAL__N_124unique_dim_cuda_templateItEESt5tupleIJNSA_6TensorESF_SF_EERKSF_lbbbEUlllE_EE10hipError_tT0_T1_T2_jT3_P12ihipStream_tbPNSt15iterator_traitsISL_E10value_typeEPNSR_ISM_E10value_typeEPSN_NS1_7vsmem_tEENKUlT_SL_SM_SN_E_clIS8_S8_S9_S9_EESK_S10_SL_SM_SN_EUlS10_E0_NS1_11comp_targetILNS1_3genE5ELNS1_11target_archE942ELNS1_3gpuE9ELNS1_3repE0EEENS1_38merge_mergepath_config_static_selectorELNS0_4arch9wavefront6targetE1EEEvSM_.numbered_sgpr, 0
	.set _ZN7rocprim17ROCPRIM_400000_NS6detail17trampoline_kernelINS0_14default_configENS1_38merge_sort_block_merge_config_selectorIlNS0_10empty_typeEEEZZNS1_27merge_sort_block_merge_implIS3_PlPS5_mZN2at6native12_GLOBAL__N_124unique_dim_cuda_templateItEESt5tupleIJNSA_6TensorESF_SF_EERKSF_lbbbEUlllE_EE10hipError_tT0_T1_T2_jT3_P12ihipStream_tbPNSt15iterator_traitsISL_E10value_typeEPNSR_ISM_E10value_typeEPSN_NS1_7vsmem_tEENKUlT_SL_SM_SN_E_clIS8_S8_S9_S9_EESK_S10_SL_SM_SN_EUlS10_E0_NS1_11comp_targetILNS1_3genE5ELNS1_11target_archE942ELNS1_3gpuE9ELNS1_3repE0EEENS1_38merge_mergepath_config_static_selectorELNS0_4arch9wavefront6targetE1EEEvSM_.num_named_barrier, 0
	.set _ZN7rocprim17ROCPRIM_400000_NS6detail17trampoline_kernelINS0_14default_configENS1_38merge_sort_block_merge_config_selectorIlNS0_10empty_typeEEEZZNS1_27merge_sort_block_merge_implIS3_PlPS5_mZN2at6native12_GLOBAL__N_124unique_dim_cuda_templateItEESt5tupleIJNSA_6TensorESF_SF_EERKSF_lbbbEUlllE_EE10hipError_tT0_T1_T2_jT3_P12ihipStream_tbPNSt15iterator_traitsISL_E10value_typeEPNSR_ISM_E10value_typeEPSN_NS1_7vsmem_tEENKUlT_SL_SM_SN_E_clIS8_S8_S9_S9_EESK_S10_SL_SM_SN_EUlS10_E0_NS1_11comp_targetILNS1_3genE5ELNS1_11target_archE942ELNS1_3gpuE9ELNS1_3repE0EEENS1_38merge_mergepath_config_static_selectorELNS0_4arch9wavefront6targetE1EEEvSM_.private_seg_size, 0
	.set _ZN7rocprim17ROCPRIM_400000_NS6detail17trampoline_kernelINS0_14default_configENS1_38merge_sort_block_merge_config_selectorIlNS0_10empty_typeEEEZZNS1_27merge_sort_block_merge_implIS3_PlPS5_mZN2at6native12_GLOBAL__N_124unique_dim_cuda_templateItEESt5tupleIJNSA_6TensorESF_SF_EERKSF_lbbbEUlllE_EE10hipError_tT0_T1_T2_jT3_P12ihipStream_tbPNSt15iterator_traitsISL_E10value_typeEPNSR_ISM_E10value_typeEPSN_NS1_7vsmem_tEENKUlT_SL_SM_SN_E_clIS8_S8_S9_S9_EESK_S10_SL_SM_SN_EUlS10_E0_NS1_11comp_targetILNS1_3genE5ELNS1_11target_archE942ELNS1_3gpuE9ELNS1_3repE0EEENS1_38merge_mergepath_config_static_selectorELNS0_4arch9wavefront6targetE1EEEvSM_.uses_vcc, 0
	.set _ZN7rocprim17ROCPRIM_400000_NS6detail17trampoline_kernelINS0_14default_configENS1_38merge_sort_block_merge_config_selectorIlNS0_10empty_typeEEEZZNS1_27merge_sort_block_merge_implIS3_PlPS5_mZN2at6native12_GLOBAL__N_124unique_dim_cuda_templateItEESt5tupleIJNSA_6TensorESF_SF_EERKSF_lbbbEUlllE_EE10hipError_tT0_T1_T2_jT3_P12ihipStream_tbPNSt15iterator_traitsISL_E10value_typeEPNSR_ISM_E10value_typeEPSN_NS1_7vsmem_tEENKUlT_SL_SM_SN_E_clIS8_S8_S9_S9_EESK_S10_SL_SM_SN_EUlS10_E0_NS1_11comp_targetILNS1_3genE5ELNS1_11target_archE942ELNS1_3gpuE9ELNS1_3repE0EEENS1_38merge_mergepath_config_static_selectorELNS0_4arch9wavefront6targetE1EEEvSM_.uses_flat_scratch, 0
	.set _ZN7rocprim17ROCPRIM_400000_NS6detail17trampoline_kernelINS0_14default_configENS1_38merge_sort_block_merge_config_selectorIlNS0_10empty_typeEEEZZNS1_27merge_sort_block_merge_implIS3_PlPS5_mZN2at6native12_GLOBAL__N_124unique_dim_cuda_templateItEESt5tupleIJNSA_6TensorESF_SF_EERKSF_lbbbEUlllE_EE10hipError_tT0_T1_T2_jT3_P12ihipStream_tbPNSt15iterator_traitsISL_E10value_typeEPNSR_ISM_E10value_typeEPSN_NS1_7vsmem_tEENKUlT_SL_SM_SN_E_clIS8_S8_S9_S9_EESK_S10_SL_SM_SN_EUlS10_E0_NS1_11comp_targetILNS1_3genE5ELNS1_11target_archE942ELNS1_3gpuE9ELNS1_3repE0EEENS1_38merge_mergepath_config_static_selectorELNS0_4arch9wavefront6targetE1EEEvSM_.has_dyn_sized_stack, 0
	.set _ZN7rocprim17ROCPRIM_400000_NS6detail17trampoline_kernelINS0_14default_configENS1_38merge_sort_block_merge_config_selectorIlNS0_10empty_typeEEEZZNS1_27merge_sort_block_merge_implIS3_PlPS5_mZN2at6native12_GLOBAL__N_124unique_dim_cuda_templateItEESt5tupleIJNSA_6TensorESF_SF_EERKSF_lbbbEUlllE_EE10hipError_tT0_T1_T2_jT3_P12ihipStream_tbPNSt15iterator_traitsISL_E10value_typeEPNSR_ISM_E10value_typeEPSN_NS1_7vsmem_tEENKUlT_SL_SM_SN_E_clIS8_S8_S9_S9_EESK_S10_SL_SM_SN_EUlS10_E0_NS1_11comp_targetILNS1_3genE5ELNS1_11target_archE942ELNS1_3gpuE9ELNS1_3repE0EEENS1_38merge_mergepath_config_static_selectorELNS0_4arch9wavefront6targetE1EEEvSM_.has_recursion, 0
	.set _ZN7rocprim17ROCPRIM_400000_NS6detail17trampoline_kernelINS0_14default_configENS1_38merge_sort_block_merge_config_selectorIlNS0_10empty_typeEEEZZNS1_27merge_sort_block_merge_implIS3_PlPS5_mZN2at6native12_GLOBAL__N_124unique_dim_cuda_templateItEESt5tupleIJNSA_6TensorESF_SF_EERKSF_lbbbEUlllE_EE10hipError_tT0_T1_T2_jT3_P12ihipStream_tbPNSt15iterator_traitsISL_E10value_typeEPNSR_ISM_E10value_typeEPSN_NS1_7vsmem_tEENKUlT_SL_SM_SN_E_clIS8_S8_S9_S9_EESK_S10_SL_SM_SN_EUlS10_E0_NS1_11comp_targetILNS1_3genE5ELNS1_11target_archE942ELNS1_3gpuE9ELNS1_3repE0EEENS1_38merge_mergepath_config_static_selectorELNS0_4arch9wavefront6targetE1EEEvSM_.has_indirect_call, 0
	.section	.AMDGPU.csdata,"",@progbits
; Kernel info:
; codeLenInByte = 0
; TotalNumSgprs: 6
; NumVgprs: 0
; NumAgprs: 0
; TotalNumVgprs: 0
; ScratchSize: 0
; MemoryBound: 0
; FloatMode: 240
; IeeeMode: 1
; LDSByteSize: 0 bytes/workgroup (compile time only)
; SGPRBlocks: 0
; VGPRBlocks: 0
; NumSGPRsForWavesPerEU: 6
; NumVGPRsForWavesPerEU: 1
; AccumOffset: 4
; Occupancy: 8
; WaveLimiterHint : 0
; COMPUTE_PGM_RSRC2:SCRATCH_EN: 0
; COMPUTE_PGM_RSRC2:USER_SGPR: 2
; COMPUTE_PGM_RSRC2:TRAP_HANDLER: 0
; COMPUTE_PGM_RSRC2:TGID_X_EN: 1
; COMPUTE_PGM_RSRC2:TGID_Y_EN: 0
; COMPUTE_PGM_RSRC2:TGID_Z_EN: 0
; COMPUTE_PGM_RSRC2:TIDIG_COMP_CNT: 0
; COMPUTE_PGM_RSRC3_GFX90A:ACCUM_OFFSET: 0
; COMPUTE_PGM_RSRC3_GFX90A:TG_SPLIT: 0
	.section	.text._ZN7rocprim17ROCPRIM_400000_NS6detail17trampoline_kernelINS0_14default_configENS1_38merge_sort_block_merge_config_selectorIlNS0_10empty_typeEEEZZNS1_27merge_sort_block_merge_implIS3_PlPS5_mZN2at6native12_GLOBAL__N_124unique_dim_cuda_templateItEESt5tupleIJNSA_6TensorESF_SF_EERKSF_lbbbEUlllE_EE10hipError_tT0_T1_T2_jT3_P12ihipStream_tbPNSt15iterator_traitsISL_E10value_typeEPNSR_ISM_E10value_typeEPSN_NS1_7vsmem_tEENKUlT_SL_SM_SN_E_clIS8_S8_S9_S9_EESK_S10_SL_SM_SN_EUlS10_E0_NS1_11comp_targetILNS1_3genE4ELNS1_11target_archE910ELNS1_3gpuE8ELNS1_3repE0EEENS1_38merge_mergepath_config_static_selectorELNS0_4arch9wavefront6targetE1EEEvSM_,"axG",@progbits,_ZN7rocprim17ROCPRIM_400000_NS6detail17trampoline_kernelINS0_14default_configENS1_38merge_sort_block_merge_config_selectorIlNS0_10empty_typeEEEZZNS1_27merge_sort_block_merge_implIS3_PlPS5_mZN2at6native12_GLOBAL__N_124unique_dim_cuda_templateItEESt5tupleIJNSA_6TensorESF_SF_EERKSF_lbbbEUlllE_EE10hipError_tT0_T1_T2_jT3_P12ihipStream_tbPNSt15iterator_traitsISL_E10value_typeEPNSR_ISM_E10value_typeEPSN_NS1_7vsmem_tEENKUlT_SL_SM_SN_E_clIS8_S8_S9_S9_EESK_S10_SL_SM_SN_EUlS10_E0_NS1_11comp_targetILNS1_3genE4ELNS1_11target_archE910ELNS1_3gpuE8ELNS1_3repE0EEENS1_38merge_mergepath_config_static_selectorELNS0_4arch9wavefront6targetE1EEEvSM_,comdat
	.globl	_ZN7rocprim17ROCPRIM_400000_NS6detail17trampoline_kernelINS0_14default_configENS1_38merge_sort_block_merge_config_selectorIlNS0_10empty_typeEEEZZNS1_27merge_sort_block_merge_implIS3_PlPS5_mZN2at6native12_GLOBAL__N_124unique_dim_cuda_templateItEESt5tupleIJNSA_6TensorESF_SF_EERKSF_lbbbEUlllE_EE10hipError_tT0_T1_T2_jT3_P12ihipStream_tbPNSt15iterator_traitsISL_E10value_typeEPNSR_ISM_E10value_typeEPSN_NS1_7vsmem_tEENKUlT_SL_SM_SN_E_clIS8_S8_S9_S9_EESK_S10_SL_SM_SN_EUlS10_E0_NS1_11comp_targetILNS1_3genE4ELNS1_11target_archE910ELNS1_3gpuE8ELNS1_3repE0EEENS1_38merge_mergepath_config_static_selectorELNS0_4arch9wavefront6targetE1EEEvSM_ ; -- Begin function _ZN7rocprim17ROCPRIM_400000_NS6detail17trampoline_kernelINS0_14default_configENS1_38merge_sort_block_merge_config_selectorIlNS0_10empty_typeEEEZZNS1_27merge_sort_block_merge_implIS3_PlPS5_mZN2at6native12_GLOBAL__N_124unique_dim_cuda_templateItEESt5tupleIJNSA_6TensorESF_SF_EERKSF_lbbbEUlllE_EE10hipError_tT0_T1_T2_jT3_P12ihipStream_tbPNSt15iterator_traitsISL_E10value_typeEPNSR_ISM_E10value_typeEPSN_NS1_7vsmem_tEENKUlT_SL_SM_SN_E_clIS8_S8_S9_S9_EESK_S10_SL_SM_SN_EUlS10_E0_NS1_11comp_targetILNS1_3genE4ELNS1_11target_archE910ELNS1_3gpuE8ELNS1_3repE0EEENS1_38merge_mergepath_config_static_selectorELNS0_4arch9wavefront6targetE1EEEvSM_
	.p2align	8
	.type	_ZN7rocprim17ROCPRIM_400000_NS6detail17trampoline_kernelINS0_14default_configENS1_38merge_sort_block_merge_config_selectorIlNS0_10empty_typeEEEZZNS1_27merge_sort_block_merge_implIS3_PlPS5_mZN2at6native12_GLOBAL__N_124unique_dim_cuda_templateItEESt5tupleIJNSA_6TensorESF_SF_EERKSF_lbbbEUlllE_EE10hipError_tT0_T1_T2_jT3_P12ihipStream_tbPNSt15iterator_traitsISL_E10value_typeEPNSR_ISM_E10value_typeEPSN_NS1_7vsmem_tEENKUlT_SL_SM_SN_E_clIS8_S8_S9_S9_EESK_S10_SL_SM_SN_EUlS10_E0_NS1_11comp_targetILNS1_3genE4ELNS1_11target_archE910ELNS1_3gpuE8ELNS1_3repE0EEENS1_38merge_mergepath_config_static_selectorELNS0_4arch9wavefront6targetE1EEEvSM_,@function
_ZN7rocprim17ROCPRIM_400000_NS6detail17trampoline_kernelINS0_14default_configENS1_38merge_sort_block_merge_config_selectorIlNS0_10empty_typeEEEZZNS1_27merge_sort_block_merge_implIS3_PlPS5_mZN2at6native12_GLOBAL__N_124unique_dim_cuda_templateItEESt5tupleIJNSA_6TensorESF_SF_EERKSF_lbbbEUlllE_EE10hipError_tT0_T1_T2_jT3_P12ihipStream_tbPNSt15iterator_traitsISL_E10value_typeEPNSR_ISM_E10value_typeEPSN_NS1_7vsmem_tEENKUlT_SL_SM_SN_E_clIS8_S8_S9_S9_EESK_S10_SL_SM_SN_EUlS10_E0_NS1_11comp_targetILNS1_3genE4ELNS1_11target_archE910ELNS1_3gpuE8ELNS1_3repE0EEENS1_38merge_mergepath_config_static_selectorELNS0_4arch9wavefront6targetE1EEEvSM_: ; @_ZN7rocprim17ROCPRIM_400000_NS6detail17trampoline_kernelINS0_14default_configENS1_38merge_sort_block_merge_config_selectorIlNS0_10empty_typeEEEZZNS1_27merge_sort_block_merge_implIS3_PlPS5_mZN2at6native12_GLOBAL__N_124unique_dim_cuda_templateItEESt5tupleIJNSA_6TensorESF_SF_EERKSF_lbbbEUlllE_EE10hipError_tT0_T1_T2_jT3_P12ihipStream_tbPNSt15iterator_traitsISL_E10value_typeEPNSR_ISM_E10value_typeEPSN_NS1_7vsmem_tEENKUlT_SL_SM_SN_E_clIS8_S8_S9_S9_EESK_S10_SL_SM_SN_EUlS10_E0_NS1_11comp_targetILNS1_3genE4ELNS1_11target_archE910ELNS1_3gpuE8ELNS1_3repE0EEENS1_38merge_mergepath_config_static_selectorELNS0_4arch9wavefront6targetE1EEEvSM_
; %bb.0:
	.section	.rodata,"a",@progbits
	.p2align	6, 0x0
	.amdhsa_kernel _ZN7rocprim17ROCPRIM_400000_NS6detail17trampoline_kernelINS0_14default_configENS1_38merge_sort_block_merge_config_selectorIlNS0_10empty_typeEEEZZNS1_27merge_sort_block_merge_implIS3_PlPS5_mZN2at6native12_GLOBAL__N_124unique_dim_cuda_templateItEESt5tupleIJNSA_6TensorESF_SF_EERKSF_lbbbEUlllE_EE10hipError_tT0_T1_T2_jT3_P12ihipStream_tbPNSt15iterator_traitsISL_E10value_typeEPNSR_ISM_E10value_typeEPSN_NS1_7vsmem_tEENKUlT_SL_SM_SN_E_clIS8_S8_S9_S9_EESK_S10_SL_SM_SN_EUlS10_E0_NS1_11comp_targetILNS1_3genE4ELNS1_11target_archE910ELNS1_3gpuE8ELNS1_3repE0EEENS1_38merge_mergepath_config_static_selectorELNS0_4arch9wavefront6targetE1EEEvSM_
		.amdhsa_group_segment_fixed_size 0
		.amdhsa_private_segment_fixed_size 0
		.amdhsa_kernarg_size 88
		.amdhsa_user_sgpr_count 2
		.amdhsa_user_sgpr_dispatch_ptr 0
		.amdhsa_user_sgpr_queue_ptr 0
		.amdhsa_user_sgpr_kernarg_segment_ptr 1
		.amdhsa_user_sgpr_dispatch_id 0
		.amdhsa_user_sgpr_kernarg_preload_length 0
		.amdhsa_user_sgpr_kernarg_preload_offset 0
		.amdhsa_user_sgpr_private_segment_size 0
		.amdhsa_uses_dynamic_stack 0
		.amdhsa_enable_private_segment 0
		.amdhsa_system_sgpr_workgroup_id_x 1
		.amdhsa_system_sgpr_workgroup_id_y 0
		.amdhsa_system_sgpr_workgroup_id_z 0
		.amdhsa_system_sgpr_workgroup_info 0
		.amdhsa_system_vgpr_workitem_id 0
		.amdhsa_next_free_vgpr 1
		.amdhsa_next_free_sgpr 0
		.amdhsa_accum_offset 4
		.amdhsa_reserve_vcc 0
		.amdhsa_float_round_mode_32 0
		.amdhsa_float_round_mode_16_64 0
		.amdhsa_float_denorm_mode_32 3
		.amdhsa_float_denorm_mode_16_64 3
		.amdhsa_dx10_clamp 1
		.amdhsa_ieee_mode 1
		.amdhsa_fp16_overflow 0
		.amdhsa_tg_split 0
		.amdhsa_exception_fp_ieee_invalid_op 0
		.amdhsa_exception_fp_denorm_src 0
		.amdhsa_exception_fp_ieee_div_zero 0
		.amdhsa_exception_fp_ieee_overflow 0
		.amdhsa_exception_fp_ieee_underflow 0
		.amdhsa_exception_fp_ieee_inexact 0
		.amdhsa_exception_int_div_zero 0
	.end_amdhsa_kernel
	.section	.text._ZN7rocprim17ROCPRIM_400000_NS6detail17trampoline_kernelINS0_14default_configENS1_38merge_sort_block_merge_config_selectorIlNS0_10empty_typeEEEZZNS1_27merge_sort_block_merge_implIS3_PlPS5_mZN2at6native12_GLOBAL__N_124unique_dim_cuda_templateItEESt5tupleIJNSA_6TensorESF_SF_EERKSF_lbbbEUlllE_EE10hipError_tT0_T1_T2_jT3_P12ihipStream_tbPNSt15iterator_traitsISL_E10value_typeEPNSR_ISM_E10value_typeEPSN_NS1_7vsmem_tEENKUlT_SL_SM_SN_E_clIS8_S8_S9_S9_EESK_S10_SL_SM_SN_EUlS10_E0_NS1_11comp_targetILNS1_3genE4ELNS1_11target_archE910ELNS1_3gpuE8ELNS1_3repE0EEENS1_38merge_mergepath_config_static_selectorELNS0_4arch9wavefront6targetE1EEEvSM_,"axG",@progbits,_ZN7rocprim17ROCPRIM_400000_NS6detail17trampoline_kernelINS0_14default_configENS1_38merge_sort_block_merge_config_selectorIlNS0_10empty_typeEEEZZNS1_27merge_sort_block_merge_implIS3_PlPS5_mZN2at6native12_GLOBAL__N_124unique_dim_cuda_templateItEESt5tupleIJNSA_6TensorESF_SF_EERKSF_lbbbEUlllE_EE10hipError_tT0_T1_T2_jT3_P12ihipStream_tbPNSt15iterator_traitsISL_E10value_typeEPNSR_ISM_E10value_typeEPSN_NS1_7vsmem_tEENKUlT_SL_SM_SN_E_clIS8_S8_S9_S9_EESK_S10_SL_SM_SN_EUlS10_E0_NS1_11comp_targetILNS1_3genE4ELNS1_11target_archE910ELNS1_3gpuE8ELNS1_3repE0EEENS1_38merge_mergepath_config_static_selectorELNS0_4arch9wavefront6targetE1EEEvSM_,comdat
.Lfunc_end1381:
	.size	_ZN7rocprim17ROCPRIM_400000_NS6detail17trampoline_kernelINS0_14default_configENS1_38merge_sort_block_merge_config_selectorIlNS0_10empty_typeEEEZZNS1_27merge_sort_block_merge_implIS3_PlPS5_mZN2at6native12_GLOBAL__N_124unique_dim_cuda_templateItEESt5tupleIJNSA_6TensorESF_SF_EERKSF_lbbbEUlllE_EE10hipError_tT0_T1_T2_jT3_P12ihipStream_tbPNSt15iterator_traitsISL_E10value_typeEPNSR_ISM_E10value_typeEPSN_NS1_7vsmem_tEENKUlT_SL_SM_SN_E_clIS8_S8_S9_S9_EESK_S10_SL_SM_SN_EUlS10_E0_NS1_11comp_targetILNS1_3genE4ELNS1_11target_archE910ELNS1_3gpuE8ELNS1_3repE0EEENS1_38merge_mergepath_config_static_selectorELNS0_4arch9wavefront6targetE1EEEvSM_, .Lfunc_end1381-_ZN7rocprim17ROCPRIM_400000_NS6detail17trampoline_kernelINS0_14default_configENS1_38merge_sort_block_merge_config_selectorIlNS0_10empty_typeEEEZZNS1_27merge_sort_block_merge_implIS3_PlPS5_mZN2at6native12_GLOBAL__N_124unique_dim_cuda_templateItEESt5tupleIJNSA_6TensorESF_SF_EERKSF_lbbbEUlllE_EE10hipError_tT0_T1_T2_jT3_P12ihipStream_tbPNSt15iterator_traitsISL_E10value_typeEPNSR_ISM_E10value_typeEPSN_NS1_7vsmem_tEENKUlT_SL_SM_SN_E_clIS8_S8_S9_S9_EESK_S10_SL_SM_SN_EUlS10_E0_NS1_11comp_targetILNS1_3genE4ELNS1_11target_archE910ELNS1_3gpuE8ELNS1_3repE0EEENS1_38merge_mergepath_config_static_selectorELNS0_4arch9wavefront6targetE1EEEvSM_
                                        ; -- End function
	.set _ZN7rocprim17ROCPRIM_400000_NS6detail17trampoline_kernelINS0_14default_configENS1_38merge_sort_block_merge_config_selectorIlNS0_10empty_typeEEEZZNS1_27merge_sort_block_merge_implIS3_PlPS5_mZN2at6native12_GLOBAL__N_124unique_dim_cuda_templateItEESt5tupleIJNSA_6TensorESF_SF_EERKSF_lbbbEUlllE_EE10hipError_tT0_T1_T2_jT3_P12ihipStream_tbPNSt15iterator_traitsISL_E10value_typeEPNSR_ISM_E10value_typeEPSN_NS1_7vsmem_tEENKUlT_SL_SM_SN_E_clIS8_S8_S9_S9_EESK_S10_SL_SM_SN_EUlS10_E0_NS1_11comp_targetILNS1_3genE4ELNS1_11target_archE910ELNS1_3gpuE8ELNS1_3repE0EEENS1_38merge_mergepath_config_static_selectorELNS0_4arch9wavefront6targetE1EEEvSM_.num_vgpr, 0
	.set _ZN7rocprim17ROCPRIM_400000_NS6detail17trampoline_kernelINS0_14default_configENS1_38merge_sort_block_merge_config_selectorIlNS0_10empty_typeEEEZZNS1_27merge_sort_block_merge_implIS3_PlPS5_mZN2at6native12_GLOBAL__N_124unique_dim_cuda_templateItEESt5tupleIJNSA_6TensorESF_SF_EERKSF_lbbbEUlllE_EE10hipError_tT0_T1_T2_jT3_P12ihipStream_tbPNSt15iterator_traitsISL_E10value_typeEPNSR_ISM_E10value_typeEPSN_NS1_7vsmem_tEENKUlT_SL_SM_SN_E_clIS8_S8_S9_S9_EESK_S10_SL_SM_SN_EUlS10_E0_NS1_11comp_targetILNS1_3genE4ELNS1_11target_archE910ELNS1_3gpuE8ELNS1_3repE0EEENS1_38merge_mergepath_config_static_selectorELNS0_4arch9wavefront6targetE1EEEvSM_.num_agpr, 0
	.set _ZN7rocprim17ROCPRIM_400000_NS6detail17trampoline_kernelINS0_14default_configENS1_38merge_sort_block_merge_config_selectorIlNS0_10empty_typeEEEZZNS1_27merge_sort_block_merge_implIS3_PlPS5_mZN2at6native12_GLOBAL__N_124unique_dim_cuda_templateItEESt5tupleIJNSA_6TensorESF_SF_EERKSF_lbbbEUlllE_EE10hipError_tT0_T1_T2_jT3_P12ihipStream_tbPNSt15iterator_traitsISL_E10value_typeEPNSR_ISM_E10value_typeEPSN_NS1_7vsmem_tEENKUlT_SL_SM_SN_E_clIS8_S8_S9_S9_EESK_S10_SL_SM_SN_EUlS10_E0_NS1_11comp_targetILNS1_3genE4ELNS1_11target_archE910ELNS1_3gpuE8ELNS1_3repE0EEENS1_38merge_mergepath_config_static_selectorELNS0_4arch9wavefront6targetE1EEEvSM_.numbered_sgpr, 0
	.set _ZN7rocprim17ROCPRIM_400000_NS6detail17trampoline_kernelINS0_14default_configENS1_38merge_sort_block_merge_config_selectorIlNS0_10empty_typeEEEZZNS1_27merge_sort_block_merge_implIS3_PlPS5_mZN2at6native12_GLOBAL__N_124unique_dim_cuda_templateItEESt5tupleIJNSA_6TensorESF_SF_EERKSF_lbbbEUlllE_EE10hipError_tT0_T1_T2_jT3_P12ihipStream_tbPNSt15iterator_traitsISL_E10value_typeEPNSR_ISM_E10value_typeEPSN_NS1_7vsmem_tEENKUlT_SL_SM_SN_E_clIS8_S8_S9_S9_EESK_S10_SL_SM_SN_EUlS10_E0_NS1_11comp_targetILNS1_3genE4ELNS1_11target_archE910ELNS1_3gpuE8ELNS1_3repE0EEENS1_38merge_mergepath_config_static_selectorELNS0_4arch9wavefront6targetE1EEEvSM_.num_named_barrier, 0
	.set _ZN7rocprim17ROCPRIM_400000_NS6detail17trampoline_kernelINS0_14default_configENS1_38merge_sort_block_merge_config_selectorIlNS0_10empty_typeEEEZZNS1_27merge_sort_block_merge_implIS3_PlPS5_mZN2at6native12_GLOBAL__N_124unique_dim_cuda_templateItEESt5tupleIJNSA_6TensorESF_SF_EERKSF_lbbbEUlllE_EE10hipError_tT0_T1_T2_jT3_P12ihipStream_tbPNSt15iterator_traitsISL_E10value_typeEPNSR_ISM_E10value_typeEPSN_NS1_7vsmem_tEENKUlT_SL_SM_SN_E_clIS8_S8_S9_S9_EESK_S10_SL_SM_SN_EUlS10_E0_NS1_11comp_targetILNS1_3genE4ELNS1_11target_archE910ELNS1_3gpuE8ELNS1_3repE0EEENS1_38merge_mergepath_config_static_selectorELNS0_4arch9wavefront6targetE1EEEvSM_.private_seg_size, 0
	.set _ZN7rocprim17ROCPRIM_400000_NS6detail17trampoline_kernelINS0_14default_configENS1_38merge_sort_block_merge_config_selectorIlNS0_10empty_typeEEEZZNS1_27merge_sort_block_merge_implIS3_PlPS5_mZN2at6native12_GLOBAL__N_124unique_dim_cuda_templateItEESt5tupleIJNSA_6TensorESF_SF_EERKSF_lbbbEUlllE_EE10hipError_tT0_T1_T2_jT3_P12ihipStream_tbPNSt15iterator_traitsISL_E10value_typeEPNSR_ISM_E10value_typeEPSN_NS1_7vsmem_tEENKUlT_SL_SM_SN_E_clIS8_S8_S9_S9_EESK_S10_SL_SM_SN_EUlS10_E0_NS1_11comp_targetILNS1_3genE4ELNS1_11target_archE910ELNS1_3gpuE8ELNS1_3repE0EEENS1_38merge_mergepath_config_static_selectorELNS0_4arch9wavefront6targetE1EEEvSM_.uses_vcc, 0
	.set _ZN7rocprim17ROCPRIM_400000_NS6detail17trampoline_kernelINS0_14default_configENS1_38merge_sort_block_merge_config_selectorIlNS0_10empty_typeEEEZZNS1_27merge_sort_block_merge_implIS3_PlPS5_mZN2at6native12_GLOBAL__N_124unique_dim_cuda_templateItEESt5tupleIJNSA_6TensorESF_SF_EERKSF_lbbbEUlllE_EE10hipError_tT0_T1_T2_jT3_P12ihipStream_tbPNSt15iterator_traitsISL_E10value_typeEPNSR_ISM_E10value_typeEPSN_NS1_7vsmem_tEENKUlT_SL_SM_SN_E_clIS8_S8_S9_S9_EESK_S10_SL_SM_SN_EUlS10_E0_NS1_11comp_targetILNS1_3genE4ELNS1_11target_archE910ELNS1_3gpuE8ELNS1_3repE0EEENS1_38merge_mergepath_config_static_selectorELNS0_4arch9wavefront6targetE1EEEvSM_.uses_flat_scratch, 0
	.set _ZN7rocprim17ROCPRIM_400000_NS6detail17trampoline_kernelINS0_14default_configENS1_38merge_sort_block_merge_config_selectorIlNS0_10empty_typeEEEZZNS1_27merge_sort_block_merge_implIS3_PlPS5_mZN2at6native12_GLOBAL__N_124unique_dim_cuda_templateItEESt5tupleIJNSA_6TensorESF_SF_EERKSF_lbbbEUlllE_EE10hipError_tT0_T1_T2_jT3_P12ihipStream_tbPNSt15iterator_traitsISL_E10value_typeEPNSR_ISM_E10value_typeEPSN_NS1_7vsmem_tEENKUlT_SL_SM_SN_E_clIS8_S8_S9_S9_EESK_S10_SL_SM_SN_EUlS10_E0_NS1_11comp_targetILNS1_3genE4ELNS1_11target_archE910ELNS1_3gpuE8ELNS1_3repE0EEENS1_38merge_mergepath_config_static_selectorELNS0_4arch9wavefront6targetE1EEEvSM_.has_dyn_sized_stack, 0
	.set _ZN7rocprim17ROCPRIM_400000_NS6detail17trampoline_kernelINS0_14default_configENS1_38merge_sort_block_merge_config_selectorIlNS0_10empty_typeEEEZZNS1_27merge_sort_block_merge_implIS3_PlPS5_mZN2at6native12_GLOBAL__N_124unique_dim_cuda_templateItEESt5tupleIJNSA_6TensorESF_SF_EERKSF_lbbbEUlllE_EE10hipError_tT0_T1_T2_jT3_P12ihipStream_tbPNSt15iterator_traitsISL_E10value_typeEPNSR_ISM_E10value_typeEPSN_NS1_7vsmem_tEENKUlT_SL_SM_SN_E_clIS8_S8_S9_S9_EESK_S10_SL_SM_SN_EUlS10_E0_NS1_11comp_targetILNS1_3genE4ELNS1_11target_archE910ELNS1_3gpuE8ELNS1_3repE0EEENS1_38merge_mergepath_config_static_selectorELNS0_4arch9wavefront6targetE1EEEvSM_.has_recursion, 0
	.set _ZN7rocprim17ROCPRIM_400000_NS6detail17trampoline_kernelINS0_14default_configENS1_38merge_sort_block_merge_config_selectorIlNS0_10empty_typeEEEZZNS1_27merge_sort_block_merge_implIS3_PlPS5_mZN2at6native12_GLOBAL__N_124unique_dim_cuda_templateItEESt5tupleIJNSA_6TensorESF_SF_EERKSF_lbbbEUlllE_EE10hipError_tT0_T1_T2_jT3_P12ihipStream_tbPNSt15iterator_traitsISL_E10value_typeEPNSR_ISM_E10value_typeEPSN_NS1_7vsmem_tEENKUlT_SL_SM_SN_E_clIS8_S8_S9_S9_EESK_S10_SL_SM_SN_EUlS10_E0_NS1_11comp_targetILNS1_3genE4ELNS1_11target_archE910ELNS1_3gpuE8ELNS1_3repE0EEENS1_38merge_mergepath_config_static_selectorELNS0_4arch9wavefront6targetE1EEEvSM_.has_indirect_call, 0
	.section	.AMDGPU.csdata,"",@progbits
; Kernel info:
; codeLenInByte = 0
; TotalNumSgprs: 6
; NumVgprs: 0
; NumAgprs: 0
; TotalNumVgprs: 0
; ScratchSize: 0
; MemoryBound: 0
; FloatMode: 240
; IeeeMode: 1
; LDSByteSize: 0 bytes/workgroup (compile time only)
; SGPRBlocks: 0
; VGPRBlocks: 0
; NumSGPRsForWavesPerEU: 6
; NumVGPRsForWavesPerEU: 1
; AccumOffset: 4
; Occupancy: 8
; WaveLimiterHint : 0
; COMPUTE_PGM_RSRC2:SCRATCH_EN: 0
; COMPUTE_PGM_RSRC2:USER_SGPR: 2
; COMPUTE_PGM_RSRC2:TRAP_HANDLER: 0
; COMPUTE_PGM_RSRC2:TGID_X_EN: 1
; COMPUTE_PGM_RSRC2:TGID_Y_EN: 0
; COMPUTE_PGM_RSRC2:TGID_Z_EN: 0
; COMPUTE_PGM_RSRC2:TIDIG_COMP_CNT: 0
; COMPUTE_PGM_RSRC3_GFX90A:ACCUM_OFFSET: 0
; COMPUTE_PGM_RSRC3_GFX90A:TG_SPLIT: 0
	.section	.text._ZN7rocprim17ROCPRIM_400000_NS6detail17trampoline_kernelINS0_14default_configENS1_38merge_sort_block_merge_config_selectorIlNS0_10empty_typeEEEZZNS1_27merge_sort_block_merge_implIS3_PlPS5_mZN2at6native12_GLOBAL__N_124unique_dim_cuda_templateItEESt5tupleIJNSA_6TensorESF_SF_EERKSF_lbbbEUlllE_EE10hipError_tT0_T1_T2_jT3_P12ihipStream_tbPNSt15iterator_traitsISL_E10value_typeEPNSR_ISM_E10value_typeEPSN_NS1_7vsmem_tEENKUlT_SL_SM_SN_E_clIS8_S8_S9_S9_EESK_S10_SL_SM_SN_EUlS10_E0_NS1_11comp_targetILNS1_3genE3ELNS1_11target_archE908ELNS1_3gpuE7ELNS1_3repE0EEENS1_38merge_mergepath_config_static_selectorELNS0_4arch9wavefront6targetE1EEEvSM_,"axG",@progbits,_ZN7rocprim17ROCPRIM_400000_NS6detail17trampoline_kernelINS0_14default_configENS1_38merge_sort_block_merge_config_selectorIlNS0_10empty_typeEEEZZNS1_27merge_sort_block_merge_implIS3_PlPS5_mZN2at6native12_GLOBAL__N_124unique_dim_cuda_templateItEESt5tupleIJNSA_6TensorESF_SF_EERKSF_lbbbEUlllE_EE10hipError_tT0_T1_T2_jT3_P12ihipStream_tbPNSt15iterator_traitsISL_E10value_typeEPNSR_ISM_E10value_typeEPSN_NS1_7vsmem_tEENKUlT_SL_SM_SN_E_clIS8_S8_S9_S9_EESK_S10_SL_SM_SN_EUlS10_E0_NS1_11comp_targetILNS1_3genE3ELNS1_11target_archE908ELNS1_3gpuE7ELNS1_3repE0EEENS1_38merge_mergepath_config_static_selectorELNS0_4arch9wavefront6targetE1EEEvSM_,comdat
	.globl	_ZN7rocprim17ROCPRIM_400000_NS6detail17trampoline_kernelINS0_14default_configENS1_38merge_sort_block_merge_config_selectorIlNS0_10empty_typeEEEZZNS1_27merge_sort_block_merge_implIS3_PlPS5_mZN2at6native12_GLOBAL__N_124unique_dim_cuda_templateItEESt5tupleIJNSA_6TensorESF_SF_EERKSF_lbbbEUlllE_EE10hipError_tT0_T1_T2_jT3_P12ihipStream_tbPNSt15iterator_traitsISL_E10value_typeEPNSR_ISM_E10value_typeEPSN_NS1_7vsmem_tEENKUlT_SL_SM_SN_E_clIS8_S8_S9_S9_EESK_S10_SL_SM_SN_EUlS10_E0_NS1_11comp_targetILNS1_3genE3ELNS1_11target_archE908ELNS1_3gpuE7ELNS1_3repE0EEENS1_38merge_mergepath_config_static_selectorELNS0_4arch9wavefront6targetE1EEEvSM_ ; -- Begin function _ZN7rocprim17ROCPRIM_400000_NS6detail17trampoline_kernelINS0_14default_configENS1_38merge_sort_block_merge_config_selectorIlNS0_10empty_typeEEEZZNS1_27merge_sort_block_merge_implIS3_PlPS5_mZN2at6native12_GLOBAL__N_124unique_dim_cuda_templateItEESt5tupleIJNSA_6TensorESF_SF_EERKSF_lbbbEUlllE_EE10hipError_tT0_T1_T2_jT3_P12ihipStream_tbPNSt15iterator_traitsISL_E10value_typeEPNSR_ISM_E10value_typeEPSN_NS1_7vsmem_tEENKUlT_SL_SM_SN_E_clIS8_S8_S9_S9_EESK_S10_SL_SM_SN_EUlS10_E0_NS1_11comp_targetILNS1_3genE3ELNS1_11target_archE908ELNS1_3gpuE7ELNS1_3repE0EEENS1_38merge_mergepath_config_static_selectorELNS0_4arch9wavefront6targetE1EEEvSM_
	.p2align	8
	.type	_ZN7rocprim17ROCPRIM_400000_NS6detail17trampoline_kernelINS0_14default_configENS1_38merge_sort_block_merge_config_selectorIlNS0_10empty_typeEEEZZNS1_27merge_sort_block_merge_implIS3_PlPS5_mZN2at6native12_GLOBAL__N_124unique_dim_cuda_templateItEESt5tupleIJNSA_6TensorESF_SF_EERKSF_lbbbEUlllE_EE10hipError_tT0_T1_T2_jT3_P12ihipStream_tbPNSt15iterator_traitsISL_E10value_typeEPNSR_ISM_E10value_typeEPSN_NS1_7vsmem_tEENKUlT_SL_SM_SN_E_clIS8_S8_S9_S9_EESK_S10_SL_SM_SN_EUlS10_E0_NS1_11comp_targetILNS1_3genE3ELNS1_11target_archE908ELNS1_3gpuE7ELNS1_3repE0EEENS1_38merge_mergepath_config_static_selectorELNS0_4arch9wavefront6targetE1EEEvSM_,@function
_ZN7rocprim17ROCPRIM_400000_NS6detail17trampoline_kernelINS0_14default_configENS1_38merge_sort_block_merge_config_selectorIlNS0_10empty_typeEEEZZNS1_27merge_sort_block_merge_implIS3_PlPS5_mZN2at6native12_GLOBAL__N_124unique_dim_cuda_templateItEESt5tupleIJNSA_6TensorESF_SF_EERKSF_lbbbEUlllE_EE10hipError_tT0_T1_T2_jT3_P12ihipStream_tbPNSt15iterator_traitsISL_E10value_typeEPNSR_ISM_E10value_typeEPSN_NS1_7vsmem_tEENKUlT_SL_SM_SN_E_clIS8_S8_S9_S9_EESK_S10_SL_SM_SN_EUlS10_E0_NS1_11comp_targetILNS1_3genE3ELNS1_11target_archE908ELNS1_3gpuE7ELNS1_3repE0EEENS1_38merge_mergepath_config_static_selectorELNS0_4arch9wavefront6targetE1EEEvSM_: ; @_ZN7rocprim17ROCPRIM_400000_NS6detail17trampoline_kernelINS0_14default_configENS1_38merge_sort_block_merge_config_selectorIlNS0_10empty_typeEEEZZNS1_27merge_sort_block_merge_implIS3_PlPS5_mZN2at6native12_GLOBAL__N_124unique_dim_cuda_templateItEESt5tupleIJNSA_6TensorESF_SF_EERKSF_lbbbEUlllE_EE10hipError_tT0_T1_T2_jT3_P12ihipStream_tbPNSt15iterator_traitsISL_E10value_typeEPNSR_ISM_E10value_typeEPSN_NS1_7vsmem_tEENKUlT_SL_SM_SN_E_clIS8_S8_S9_S9_EESK_S10_SL_SM_SN_EUlS10_E0_NS1_11comp_targetILNS1_3genE3ELNS1_11target_archE908ELNS1_3gpuE7ELNS1_3repE0EEENS1_38merge_mergepath_config_static_selectorELNS0_4arch9wavefront6targetE1EEEvSM_
; %bb.0:
	.section	.rodata,"a",@progbits
	.p2align	6, 0x0
	.amdhsa_kernel _ZN7rocprim17ROCPRIM_400000_NS6detail17trampoline_kernelINS0_14default_configENS1_38merge_sort_block_merge_config_selectorIlNS0_10empty_typeEEEZZNS1_27merge_sort_block_merge_implIS3_PlPS5_mZN2at6native12_GLOBAL__N_124unique_dim_cuda_templateItEESt5tupleIJNSA_6TensorESF_SF_EERKSF_lbbbEUlllE_EE10hipError_tT0_T1_T2_jT3_P12ihipStream_tbPNSt15iterator_traitsISL_E10value_typeEPNSR_ISM_E10value_typeEPSN_NS1_7vsmem_tEENKUlT_SL_SM_SN_E_clIS8_S8_S9_S9_EESK_S10_SL_SM_SN_EUlS10_E0_NS1_11comp_targetILNS1_3genE3ELNS1_11target_archE908ELNS1_3gpuE7ELNS1_3repE0EEENS1_38merge_mergepath_config_static_selectorELNS0_4arch9wavefront6targetE1EEEvSM_
		.amdhsa_group_segment_fixed_size 0
		.amdhsa_private_segment_fixed_size 0
		.amdhsa_kernarg_size 88
		.amdhsa_user_sgpr_count 2
		.amdhsa_user_sgpr_dispatch_ptr 0
		.amdhsa_user_sgpr_queue_ptr 0
		.amdhsa_user_sgpr_kernarg_segment_ptr 1
		.amdhsa_user_sgpr_dispatch_id 0
		.amdhsa_user_sgpr_kernarg_preload_length 0
		.amdhsa_user_sgpr_kernarg_preload_offset 0
		.amdhsa_user_sgpr_private_segment_size 0
		.amdhsa_uses_dynamic_stack 0
		.amdhsa_enable_private_segment 0
		.amdhsa_system_sgpr_workgroup_id_x 1
		.amdhsa_system_sgpr_workgroup_id_y 0
		.amdhsa_system_sgpr_workgroup_id_z 0
		.amdhsa_system_sgpr_workgroup_info 0
		.amdhsa_system_vgpr_workitem_id 0
		.amdhsa_next_free_vgpr 1
		.amdhsa_next_free_sgpr 0
		.amdhsa_accum_offset 4
		.amdhsa_reserve_vcc 0
		.amdhsa_float_round_mode_32 0
		.amdhsa_float_round_mode_16_64 0
		.amdhsa_float_denorm_mode_32 3
		.amdhsa_float_denorm_mode_16_64 3
		.amdhsa_dx10_clamp 1
		.amdhsa_ieee_mode 1
		.amdhsa_fp16_overflow 0
		.amdhsa_tg_split 0
		.amdhsa_exception_fp_ieee_invalid_op 0
		.amdhsa_exception_fp_denorm_src 0
		.amdhsa_exception_fp_ieee_div_zero 0
		.amdhsa_exception_fp_ieee_overflow 0
		.amdhsa_exception_fp_ieee_underflow 0
		.amdhsa_exception_fp_ieee_inexact 0
		.amdhsa_exception_int_div_zero 0
	.end_amdhsa_kernel
	.section	.text._ZN7rocprim17ROCPRIM_400000_NS6detail17trampoline_kernelINS0_14default_configENS1_38merge_sort_block_merge_config_selectorIlNS0_10empty_typeEEEZZNS1_27merge_sort_block_merge_implIS3_PlPS5_mZN2at6native12_GLOBAL__N_124unique_dim_cuda_templateItEESt5tupleIJNSA_6TensorESF_SF_EERKSF_lbbbEUlllE_EE10hipError_tT0_T1_T2_jT3_P12ihipStream_tbPNSt15iterator_traitsISL_E10value_typeEPNSR_ISM_E10value_typeEPSN_NS1_7vsmem_tEENKUlT_SL_SM_SN_E_clIS8_S8_S9_S9_EESK_S10_SL_SM_SN_EUlS10_E0_NS1_11comp_targetILNS1_3genE3ELNS1_11target_archE908ELNS1_3gpuE7ELNS1_3repE0EEENS1_38merge_mergepath_config_static_selectorELNS0_4arch9wavefront6targetE1EEEvSM_,"axG",@progbits,_ZN7rocprim17ROCPRIM_400000_NS6detail17trampoline_kernelINS0_14default_configENS1_38merge_sort_block_merge_config_selectorIlNS0_10empty_typeEEEZZNS1_27merge_sort_block_merge_implIS3_PlPS5_mZN2at6native12_GLOBAL__N_124unique_dim_cuda_templateItEESt5tupleIJNSA_6TensorESF_SF_EERKSF_lbbbEUlllE_EE10hipError_tT0_T1_T2_jT3_P12ihipStream_tbPNSt15iterator_traitsISL_E10value_typeEPNSR_ISM_E10value_typeEPSN_NS1_7vsmem_tEENKUlT_SL_SM_SN_E_clIS8_S8_S9_S9_EESK_S10_SL_SM_SN_EUlS10_E0_NS1_11comp_targetILNS1_3genE3ELNS1_11target_archE908ELNS1_3gpuE7ELNS1_3repE0EEENS1_38merge_mergepath_config_static_selectorELNS0_4arch9wavefront6targetE1EEEvSM_,comdat
.Lfunc_end1382:
	.size	_ZN7rocprim17ROCPRIM_400000_NS6detail17trampoline_kernelINS0_14default_configENS1_38merge_sort_block_merge_config_selectorIlNS0_10empty_typeEEEZZNS1_27merge_sort_block_merge_implIS3_PlPS5_mZN2at6native12_GLOBAL__N_124unique_dim_cuda_templateItEESt5tupleIJNSA_6TensorESF_SF_EERKSF_lbbbEUlllE_EE10hipError_tT0_T1_T2_jT3_P12ihipStream_tbPNSt15iterator_traitsISL_E10value_typeEPNSR_ISM_E10value_typeEPSN_NS1_7vsmem_tEENKUlT_SL_SM_SN_E_clIS8_S8_S9_S9_EESK_S10_SL_SM_SN_EUlS10_E0_NS1_11comp_targetILNS1_3genE3ELNS1_11target_archE908ELNS1_3gpuE7ELNS1_3repE0EEENS1_38merge_mergepath_config_static_selectorELNS0_4arch9wavefront6targetE1EEEvSM_, .Lfunc_end1382-_ZN7rocprim17ROCPRIM_400000_NS6detail17trampoline_kernelINS0_14default_configENS1_38merge_sort_block_merge_config_selectorIlNS0_10empty_typeEEEZZNS1_27merge_sort_block_merge_implIS3_PlPS5_mZN2at6native12_GLOBAL__N_124unique_dim_cuda_templateItEESt5tupleIJNSA_6TensorESF_SF_EERKSF_lbbbEUlllE_EE10hipError_tT0_T1_T2_jT3_P12ihipStream_tbPNSt15iterator_traitsISL_E10value_typeEPNSR_ISM_E10value_typeEPSN_NS1_7vsmem_tEENKUlT_SL_SM_SN_E_clIS8_S8_S9_S9_EESK_S10_SL_SM_SN_EUlS10_E0_NS1_11comp_targetILNS1_3genE3ELNS1_11target_archE908ELNS1_3gpuE7ELNS1_3repE0EEENS1_38merge_mergepath_config_static_selectorELNS0_4arch9wavefront6targetE1EEEvSM_
                                        ; -- End function
	.set _ZN7rocprim17ROCPRIM_400000_NS6detail17trampoline_kernelINS0_14default_configENS1_38merge_sort_block_merge_config_selectorIlNS0_10empty_typeEEEZZNS1_27merge_sort_block_merge_implIS3_PlPS5_mZN2at6native12_GLOBAL__N_124unique_dim_cuda_templateItEESt5tupleIJNSA_6TensorESF_SF_EERKSF_lbbbEUlllE_EE10hipError_tT0_T1_T2_jT3_P12ihipStream_tbPNSt15iterator_traitsISL_E10value_typeEPNSR_ISM_E10value_typeEPSN_NS1_7vsmem_tEENKUlT_SL_SM_SN_E_clIS8_S8_S9_S9_EESK_S10_SL_SM_SN_EUlS10_E0_NS1_11comp_targetILNS1_3genE3ELNS1_11target_archE908ELNS1_3gpuE7ELNS1_3repE0EEENS1_38merge_mergepath_config_static_selectorELNS0_4arch9wavefront6targetE1EEEvSM_.num_vgpr, 0
	.set _ZN7rocprim17ROCPRIM_400000_NS6detail17trampoline_kernelINS0_14default_configENS1_38merge_sort_block_merge_config_selectorIlNS0_10empty_typeEEEZZNS1_27merge_sort_block_merge_implIS3_PlPS5_mZN2at6native12_GLOBAL__N_124unique_dim_cuda_templateItEESt5tupleIJNSA_6TensorESF_SF_EERKSF_lbbbEUlllE_EE10hipError_tT0_T1_T2_jT3_P12ihipStream_tbPNSt15iterator_traitsISL_E10value_typeEPNSR_ISM_E10value_typeEPSN_NS1_7vsmem_tEENKUlT_SL_SM_SN_E_clIS8_S8_S9_S9_EESK_S10_SL_SM_SN_EUlS10_E0_NS1_11comp_targetILNS1_3genE3ELNS1_11target_archE908ELNS1_3gpuE7ELNS1_3repE0EEENS1_38merge_mergepath_config_static_selectorELNS0_4arch9wavefront6targetE1EEEvSM_.num_agpr, 0
	.set _ZN7rocprim17ROCPRIM_400000_NS6detail17trampoline_kernelINS0_14default_configENS1_38merge_sort_block_merge_config_selectorIlNS0_10empty_typeEEEZZNS1_27merge_sort_block_merge_implIS3_PlPS5_mZN2at6native12_GLOBAL__N_124unique_dim_cuda_templateItEESt5tupleIJNSA_6TensorESF_SF_EERKSF_lbbbEUlllE_EE10hipError_tT0_T1_T2_jT3_P12ihipStream_tbPNSt15iterator_traitsISL_E10value_typeEPNSR_ISM_E10value_typeEPSN_NS1_7vsmem_tEENKUlT_SL_SM_SN_E_clIS8_S8_S9_S9_EESK_S10_SL_SM_SN_EUlS10_E0_NS1_11comp_targetILNS1_3genE3ELNS1_11target_archE908ELNS1_3gpuE7ELNS1_3repE0EEENS1_38merge_mergepath_config_static_selectorELNS0_4arch9wavefront6targetE1EEEvSM_.numbered_sgpr, 0
	.set _ZN7rocprim17ROCPRIM_400000_NS6detail17trampoline_kernelINS0_14default_configENS1_38merge_sort_block_merge_config_selectorIlNS0_10empty_typeEEEZZNS1_27merge_sort_block_merge_implIS3_PlPS5_mZN2at6native12_GLOBAL__N_124unique_dim_cuda_templateItEESt5tupleIJNSA_6TensorESF_SF_EERKSF_lbbbEUlllE_EE10hipError_tT0_T1_T2_jT3_P12ihipStream_tbPNSt15iterator_traitsISL_E10value_typeEPNSR_ISM_E10value_typeEPSN_NS1_7vsmem_tEENKUlT_SL_SM_SN_E_clIS8_S8_S9_S9_EESK_S10_SL_SM_SN_EUlS10_E0_NS1_11comp_targetILNS1_3genE3ELNS1_11target_archE908ELNS1_3gpuE7ELNS1_3repE0EEENS1_38merge_mergepath_config_static_selectorELNS0_4arch9wavefront6targetE1EEEvSM_.num_named_barrier, 0
	.set _ZN7rocprim17ROCPRIM_400000_NS6detail17trampoline_kernelINS0_14default_configENS1_38merge_sort_block_merge_config_selectorIlNS0_10empty_typeEEEZZNS1_27merge_sort_block_merge_implIS3_PlPS5_mZN2at6native12_GLOBAL__N_124unique_dim_cuda_templateItEESt5tupleIJNSA_6TensorESF_SF_EERKSF_lbbbEUlllE_EE10hipError_tT0_T1_T2_jT3_P12ihipStream_tbPNSt15iterator_traitsISL_E10value_typeEPNSR_ISM_E10value_typeEPSN_NS1_7vsmem_tEENKUlT_SL_SM_SN_E_clIS8_S8_S9_S9_EESK_S10_SL_SM_SN_EUlS10_E0_NS1_11comp_targetILNS1_3genE3ELNS1_11target_archE908ELNS1_3gpuE7ELNS1_3repE0EEENS1_38merge_mergepath_config_static_selectorELNS0_4arch9wavefront6targetE1EEEvSM_.private_seg_size, 0
	.set _ZN7rocprim17ROCPRIM_400000_NS6detail17trampoline_kernelINS0_14default_configENS1_38merge_sort_block_merge_config_selectorIlNS0_10empty_typeEEEZZNS1_27merge_sort_block_merge_implIS3_PlPS5_mZN2at6native12_GLOBAL__N_124unique_dim_cuda_templateItEESt5tupleIJNSA_6TensorESF_SF_EERKSF_lbbbEUlllE_EE10hipError_tT0_T1_T2_jT3_P12ihipStream_tbPNSt15iterator_traitsISL_E10value_typeEPNSR_ISM_E10value_typeEPSN_NS1_7vsmem_tEENKUlT_SL_SM_SN_E_clIS8_S8_S9_S9_EESK_S10_SL_SM_SN_EUlS10_E0_NS1_11comp_targetILNS1_3genE3ELNS1_11target_archE908ELNS1_3gpuE7ELNS1_3repE0EEENS1_38merge_mergepath_config_static_selectorELNS0_4arch9wavefront6targetE1EEEvSM_.uses_vcc, 0
	.set _ZN7rocprim17ROCPRIM_400000_NS6detail17trampoline_kernelINS0_14default_configENS1_38merge_sort_block_merge_config_selectorIlNS0_10empty_typeEEEZZNS1_27merge_sort_block_merge_implIS3_PlPS5_mZN2at6native12_GLOBAL__N_124unique_dim_cuda_templateItEESt5tupleIJNSA_6TensorESF_SF_EERKSF_lbbbEUlllE_EE10hipError_tT0_T1_T2_jT3_P12ihipStream_tbPNSt15iterator_traitsISL_E10value_typeEPNSR_ISM_E10value_typeEPSN_NS1_7vsmem_tEENKUlT_SL_SM_SN_E_clIS8_S8_S9_S9_EESK_S10_SL_SM_SN_EUlS10_E0_NS1_11comp_targetILNS1_3genE3ELNS1_11target_archE908ELNS1_3gpuE7ELNS1_3repE0EEENS1_38merge_mergepath_config_static_selectorELNS0_4arch9wavefront6targetE1EEEvSM_.uses_flat_scratch, 0
	.set _ZN7rocprim17ROCPRIM_400000_NS6detail17trampoline_kernelINS0_14default_configENS1_38merge_sort_block_merge_config_selectorIlNS0_10empty_typeEEEZZNS1_27merge_sort_block_merge_implIS3_PlPS5_mZN2at6native12_GLOBAL__N_124unique_dim_cuda_templateItEESt5tupleIJNSA_6TensorESF_SF_EERKSF_lbbbEUlllE_EE10hipError_tT0_T1_T2_jT3_P12ihipStream_tbPNSt15iterator_traitsISL_E10value_typeEPNSR_ISM_E10value_typeEPSN_NS1_7vsmem_tEENKUlT_SL_SM_SN_E_clIS8_S8_S9_S9_EESK_S10_SL_SM_SN_EUlS10_E0_NS1_11comp_targetILNS1_3genE3ELNS1_11target_archE908ELNS1_3gpuE7ELNS1_3repE0EEENS1_38merge_mergepath_config_static_selectorELNS0_4arch9wavefront6targetE1EEEvSM_.has_dyn_sized_stack, 0
	.set _ZN7rocprim17ROCPRIM_400000_NS6detail17trampoline_kernelINS0_14default_configENS1_38merge_sort_block_merge_config_selectorIlNS0_10empty_typeEEEZZNS1_27merge_sort_block_merge_implIS3_PlPS5_mZN2at6native12_GLOBAL__N_124unique_dim_cuda_templateItEESt5tupleIJNSA_6TensorESF_SF_EERKSF_lbbbEUlllE_EE10hipError_tT0_T1_T2_jT3_P12ihipStream_tbPNSt15iterator_traitsISL_E10value_typeEPNSR_ISM_E10value_typeEPSN_NS1_7vsmem_tEENKUlT_SL_SM_SN_E_clIS8_S8_S9_S9_EESK_S10_SL_SM_SN_EUlS10_E0_NS1_11comp_targetILNS1_3genE3ELNS1_11target_archE908ELNS1_3gpuE7ELNS1_3repE0EEENS1_38merge_mergepath_config_static_selectorELNS0_4arch9wavefront6targetE1EEEvSM_.has_recursion, 0
	.set _ZN7rocprim17ROCPRIM_400000_NS6detail17trampoline_kernelINS0_14default_configENS1_38merge_sort_block_merge_config_selectorIlNS0_10empty_typeEEEZZNS1_27merge_sort_block_merge_implIS3_PlPS5_mZN2at6native12_GLOBAL__N_124unique_dim_cuda_templateItEESt5tupleIJNSA_6TensorESF_SF_EERKSF_lbbbEUlllE_EE10hipError_tT0_T1_T2_jT3_P12ihipStream_tbPNSt15iterator_traitsISL_E10value_typeEPNSR_ISM_E10value_typeEPSN_NS1_7vsmem_tEENKUlT_SL_SM_SN_E_clIS8_S8_S9_S9_EESK_S10_SL_SM_SN_EUlS10_E0_NS1_11comp_targetILNS1_3genE3ELNS1_11target_archE908ELNS1_3gpuE7ELNS1_3repE0EEENS1_38merge_mergepath_config_static_selectorELNS0_4arch9wavefront6targetE1EEEvSM_.has_indirect_call, 0
	.section	.AMDGPU.csdata,"",@progbits
; Kernel info:
; codeLenInByte = 0
; TotalNumSgprs: 6
; NumVgprs: 0
; NumAgprs: 0
; TotalNumVgprs: 0
; ScratchSize: 0
; MemoryBound: 0
; FloatMode: 240
; IeeeMode: 1
; LDSByteSize: 0 bytes/workgroup (compile time only)
; SGPRBlocks: 0
; VGPRBlocks: 0
; NumSGPRsForWavesPerEU: 6
; NumVGPRsForWavesPerEU: 1
; AccumOffset: 4
; Occupancy: 8
; WaveLimiterHint : 0
; COMPUTE_PGM_RSRC2:SCRATCH_EN: 0
; COMPUTE_PGM_RSRC2:USER_SGPR: 2
; COMPUTE_PGM_RSRC2:TRAP_HANDLER: 0
; COMPUTE_PGM_RSRC2:TGID_X_EN: 1
; COMPUTE_PGM_RSRC2:TGID_Y_EN: 0
; COMPUTE_PGM_RSRC2:TGID_Z_EN: 0
; COMPUTE_PGM_RSRC2:TIDIG_COMP_CNT: 0
; COMPUTE_PGM_RSRC3_GFX90A:ACCUM_OFFSET: 0
; COMPUTE_PGM_RSRC3_GFX90A:TG_SPLIT: 0
	.section	.text._ZN7rocprim17ROCPRIM_400000_NS6detail17trampoline_kernelINS0_14default_configENS1_38merge_sort_block_merge_config_selectorIlNS0_10empty_typeEEEZZNS1_27merge_sort_block_merge_implIS3_PlPS5_mZN2at6native12_GLOBAL__N_124unique_dim_cuda_templateItEESt5tupleIJNSA_6TensorESF_SF_EERKSF_lbbbEUlllE_EE10hipError_tT0_T1_T2_jT3_P12ihipStream_tbPNSt15iterator_traitsISL_E10value_typeEPNSR_ISM_E10value_typeEPSN_NS1_7vsmem_tEENKUlT_SL_SM_SN_E_clIS8_S8_S9_S9_EESK_S10_SL_SM_SN_EUlS10_E0_NS1_11comp_targetILNS1_3genE2ELNS1_11target_archE906ELNS1_3gpuE6ELNS1_3repE0EEENS1_38merge_mergepath_config_static_selectorELNS0_4arch9wavefront6targetE1EEEvSM_,"axG",@progbits,_ZN7rocprim17ROCPRIM_400000_NS6detail17trampoline_kernelINS0_14default_configENS1_38merge_sort_block_merge_config_selectorIlNS0_10empty_typeEEEZZNS1_27merge_sort_block_merge_implIS3_PlPS5_mZN2at6native12_GLOBAL__N_124unique_dim_cuda_templateItEESt5tupleIJNSA_6TensorESF_SF_EERKSF_lbbbEUlllE_EE10hipError_tT0_T1_T2_jT3_P12ihipStream_tbPNSt15iterator_traitsISL_E10value_typeEPNSR_ISM_E10value_typeEPSN_NS1_7vsmem_tEENKUlT_SL_SM_SN_E_clIS8_S8_S9_S9_EESK_S10_SL_SM_SN_EUlS10_E0_NS1_11comp_targetILNS1_3genE2ELNS1_11target_archE906ELNS1_3gpuE6ELNS1_3repE0EEENS1_38merge_mergepath_config_static_selectorELNS0_4arch9wavefront6targetE1EEEvSM_,comdat
	.globl	_ZN7rocprim17ROCPRIM_400000_NS6detail17trampoline_kernelINS0_14default_configENS1_38merge_sort_block_merge_config_selectorIlNS0_10empty_typeEEEZZNS1_27merge_sort_block_merge_implIS3_PlPS5_mZN2at6native12_GLOBAL__N_124unique_dim_cuda_templateItEESt5tupleIJNSA_6TensorESF_SF_EERKSF_lbbbEUlllE_EE10hipError_tT0_T1_T2_jT3_P12ihipStream_tbPNSt15iterator_traitsISL_E10value_typeEPNSR_ISM_E10value_typeEPSN_NS1_7vsmem_tEENKUlT_SL_SM_SN_E_clIS8_S8_S9_S9_EESK_S10_SL_SM_SN_EUlS10_E0_NS1_11comp_targetILNS1_3genE2ELNS1_11target_archE906ELNS1_3gpuE6ELNS1_3repE0EEENS1_38merge_mergepath_config_static_selectorELNS0_4arch9wavefront6targetE1EEEvSM_ ; -- Begin function _ZN7rocprim17ROCPRIM_400000_NS6detail17trampoline_kernelINS0_14default_configENS1_38merge_sort_block_merge_config_selectorIlNS0_10empty_typeEEEZZNS1_27merge_sort_block_merge_implIS3_PlPS5_mZN2at6native12_GLOBAL__N_124unique_dim_cuda_templateItEESt5tupleIJNSA_6TensorESF_SF_EERKSF_lbbbEUlllE_EE10hipError_tT0_T1_T2_jT3_P12ihipStream_tbPNSt15iterator_traitsISL_E10value_typeEPNSR_ISM_E10value_typeEPSN_NS1_7vsmem_tEENKUlT_SL_SM_SN_E_clIS8_S8_S9_S9_EESK_S10_SL_SM_SN_EUlS10_E0_NS1_11comp_targetILNS1_3genE2ELNS1_11target_archE906ELNS1_3gpuE6ELNS1_3repE0EEENS1_38merge_mergepath_config_static_selectorELNS0_4arch9wavefront6targetE1EEEvSM_
	.p2align	8
	.type	_ZN7rocprim17ROCPRIM_400000_NS6detail17trampoline_kernelINS0_14default_configENS1_38merge_sort_block_merge_config_selectorIlNS0_10empty_typeEEEZZNS1_27merge_sort_block_merge_implIS3_PlPS5_mZN2at6native12_GLOBAL__N_124unique_dim_cuda_templateItEESt5tupleIJNSA_6TensorESF_SF_EERKSF_lbbbEUlllE_EE10hipError_tT0_T1_T2_jT3_P12ihipStream_tbPNSt15iterator_traitsISL_E10value_typeEPNSR_ISM_E10value_typeEPSN_NS1_7vsmem_tEENKUlT_SL_SM_SN_E_clIS8_S8_S9_S9_EESK_S10_SL_SM_SN_EUlS10_E0_NS1_11comp_targetILNS1_3genE2ELNS1_11target_archE906ELNS1_3gpuE6ELNS1_3repE0EEENS1_38merge_mergepath_config_static_selectorELNS0_4arch9wavefront6targetE1EEEvSM_,@function
_ZN7rocprim17ROCPRIM_400000_NS6detail17trampoline_kernelINS0_14default_configENS1_38merge_sort_block_merge_config_selectorIlNS0_10empty_typeEEEZZNS1_27merge_sort_block_merge_implIS3_PlPS5_mZN2at6native12_GLOBAL__N_124unique_dim_cuda_templateItEESt5tupleIJNSA_6TensorESF_SF_EERKSF_lbbbEUlllE_EE10hipError_tT0_T1_T2_jT3_P12ihipStream_tbPNSt15iterator_traitsISL_E10value_typeEPNSR_ISM_E10value_typeEPSN_NS1_7vsmem_tEENKUlT_SL_SM_SN_E_clIS8_S8_S9_S9_EESK_S10_SL_SM_SN_EUlS10_E0_NS1_11comp_targetILNS1_3genE2ELNS1_11target_archE906ELNS1_3gpuE6ELNS1_3repE0EEENS1_38merge_mergepath_config_static_selectorELNS0_4arch9wavefront6targetE1EEEvSM_: ; @_ZN7rocprim17ROCPRIM_400000_NS6detail17trampoline_kernelINS0_14default_configENS1_38merge_sort_block_merge_config_selectorIlNS0_10empty_typeEEEZZNS1_27merge_sort_block_merge_implIS3_PlPS5_mZN2at6native12_GLOBAL__N_124unique_dim_cuda_templateItEESt5tupleIJNSA_6TensorESF_SF_EERKSF_lbbbEUlllE_EE10hipError_tT0_T1_T2_jT3_P12ihipStream_tbPNSt15iterator_traitsISL_E10value_typeEPNSR_ISM_E10value_typeEPSN_NS1_7vsmem_tEENKUlT_SL_SM_SN_E_clIS8_S8_S9_S9_EESK_S10_SL_SM_SN_EUlS10_E0_NS1_11comp_targetILNS1_3genE2ELNS1_11target_archE906ELNS1_3gpuE6ELNS1_3repE0EEENS1_38merge_mergepath_config_static_selectorELNS0_4arch9wavefront6targetE1EEEvSM_
; %bb.0:
	.section	.rodata,"a",@progbits
	.p2align	6, 0x0
	.amdhsa_kernel _ZN7rocprim17ROCPRIM_400000_NS6detail17trampoline_kernelINS0_14default_configENS1_38merge_sort_block_merge_config_selectorIlNS0_10empty_typeEEEZZNS1_27merge_sort_block_merge_implIS3_PlPS5_mZN2at6native12_GLOBAL__N_124unique_dim_cuda_templateItEESt5tupleIJNSA_6TensorESF_SF_EERKSF_lbbbEUlllE_EE10hipError_tT0_T1_T2_jT3_P12ihipStream_tbPNSt15iterator_traitsISL_E10value_typeEPNSR_ISM_E10value_typeEPSN_NS1_7vsmem_tEENKUlT_SL_SM_SN_E_clIS8_S8_S9_S9_EESK_S10_SL_SM_SN_EUlS10_E0_NS1_11comp_targetILNS1_3genE2ELNS1_11target_archE906ELNS1_3gpuE6ELNS1_3repE0EEENS1_38merge_mergepath_config_static_selectorELNS0_4arch9wavefront6targetE1EEEvSM_
		.amdhsa_group_segment_fixed_size 0
		.amdhsa_private_segment_fixed_size 0
		.amdhsa_kernarg_size 88
		.amdhsa_user_sgpr_count 2
		.amdhsa_user_sgpr_dispatch_ptr 0
		.amdhsa_user_sgpr_queue_ptr 0
		.amdhsa_user_sgpr_kernarg_segment_ptr 1
		.amdhsa_user_sgpr_dispatch_id 0
		.amdhsa_user_sgpr_kernarg_preload_length 0
		.amdhsa_user_sgpr_kernarg_preload_offset 0
		.amdhsa_user_sgpr_private_segment_size 0
		.amdhsa_uses_dynamic_stack 0
		.amdhsa_enable_private_segment 0
		.amdhsa_system_sgpr_workgroup_id_x 1
		.amdhsa_system_sgpr_workgroup_id_y 0
		.amdhsa_system_sgpr_workgroup_id_z 0
		.amdhsa_system_sgpr_workgroup_info 0
		.amdhsa_system_vgpr_workitem_id 0
		.amdhsa_next_free_vgpr 1
		.amdhsa_next_free_sgpr 0
		.amdhsa_accum_offset 4
		.amdhsa_reserve_vcc 0
		.amdhsa_float_round_mode_32 0
		.amdhsa_float_round_mode_16_64 0
		.amdhsa_float_denorm_mode_32 3
		.amdhsa_float_denorm_mode_16_64 3
		.amdhsa_dx10_clamp 1
		.amdhsa_ieee_mode 1
		.amdhsa_fp16_overflow 0
		.amdhsa_tg_split 0
		.amdhsa_exception_fp_ieee_invalid_op 0
		.amdhsa_exception_fp_denorm_src 0
		.amdhsa_exception_fp_ieee_div_zero 0
		.amdhsa_exception_fp_ieee_overflow 0
		.amdhsa_exception_fp_ieee_underflow 0
		.amdhsa_exception_fp_ieee_inexact 0
		.amdhsa_exception_int_div_zero 0
	.end_amdhsa_kernel
	.section	.text._ZN7rocprim17ROCPRIM_400000_NS6detail17trampoline_kernelINS0_14default_configENS1_38merge_sort_block_merge_config_selectorIlNS0_10empty_typeEEEZZNS1_27merge_sort_block_merge_implIS3_PlPS5_mZN2at6native12_GLOBAL__N_124unique_dim_cuda_templateItEESt5tupleIJNSA_6TensorESF_SF_EERKSF_lbbbEUlllE_EE10hipError_tT0_T1_T2_jT3_P12ihipStream_tbPNSt15iterator_traitsISL_E10value_typeEPNSR_ISM_E10value_typeEPSN_NS1_7vsmem_tEENKUlT_SL_SM_SN_E_clIS8_S8_S9_S9_EESK_S10_SL_SM_SN_EUlS10_E0_NS1_11comp_targetILNS1_3genE2ELNS1_11target_archE906ELNS1_3gpuE6ELNS1_3repE0EEENS1_38merge_mergepath_config_static_selectorELNS0_4arch9wavefront6targetE1EEEvSM_,"axG",@progbits,_ZN7rocprim17ROCPRIM_400000_NS6detail17trampoline_kernelINS0_14default_configENS1_38merge_sort_block_merge_config_selectorIlNS0_10empty_typeEEEZZNS1_27merge_sort_block_merge_implIS3_PlPS5_mZN2at6native12_GLOBAL__N_124unique_dim_cuda_templateItEESt5tupleIJNSA_6TensorESF_SF_EERKSF_lbbbEUlllE_EE10hipError_tT0_T1_T2_jT3_P12ihipStream_tbPNSt15iterator_traitsISL_E10value_typeEPNSR_ISM_E10value_typeEPSN_NS1_7vsmem_tEENKUlT_SL_SM_SN_E_clIS8_S8_S9_S9_EESK_S10_SL_SM_SN_EUlS10_E0_NS1_11comp_targetILNS1_3genE2ELNS1_11target_archE906ELNS1_3gpuE6ELNS1_3repE0EEENS1_38merge_mergepath_config_static_selectorELNS0_4arch9wavefront6targetE1EEEvSM_,comdat
.Lfunc_end1383:
	.size	_ZN7rocprim17ROCPRIM_400000_NS6detail17trampoline_kernelINS0_14default_configENS1_38merge_sort_block_merge_config_selectorIlNS0_10empty_typeEEEZZNS1_27merge_sort_block_merge_implIS3_PlPS5_mZN2at6native12_GLOBAL__N_124unique_dim_cuda_templateItEESt5tupleIJNSA_6TensorESF_SF_EERKSF_lbbbEUlllE_EE10hipError_tT0_T1_T2_jT3_P12ihipStream_tbPNSt15iterator_traitsISL_E10value_typeEPNSR_ISM_E10value_typeEPSN_NS1_7vsmem_tEENKUlT_SL_SM_SN_E_clIS8_S8_S9_S9_EESK_S10_SL_SM_SN_EUlS10_E0_NS1_11comp_targetILNS1_3genE2ELNS1_11target_archE906ELNS1_3gpuE6ELNS1_3repE0EEENS1_38merge_mergepath_config_static_selectorELNS0_4arch9wavefront6targetE1EEEvSM_, .Lfunc_end1383-_ZN7rocprim17ROCPRIM_400000_NS6detail17trampoline_kernelINS0_14default_configENS1_38merge_sort_block_merge_config_selectorIlNS0_10empty_typeEEEZZNS1_27merge_sort_block_merge_implIS3_PlPS5_mZN2at6native12_GLOBAL__N_124unique_dim_cuda_templateItEESt5tupleIJNSA_6TensorESF_SF_EERKSF_lbbbEUlllE_EE10hipError_tT0_T1_T2_jT3_P12ihipStream_tbPNSt15iterator_traitsISL_E10value_typeEPNSR_ISM_E10value_typeEPSN_NS1_7vsmem_tEENKUlT_SL_SM_SN_E_clIS8_S8_S9_S9_EESK_S10_SL_SM_SN_EUlS10_E0_NS1_11comp_targetILNS1_3genE2ELNS1_11target_archE906ELNS1_3gpuE6ELNS1_3repE0EEENS1_38merge_mergepath_config_static_selectorELNS0_4arch9wavefront6targetE1EEEvSM_
                                        ; -- End function
	.set _ZN7rocprim17ROCPRIM_400000_NS6detail17trampoline_kernelINS0_14default_configENS1_38merge_sort_block_merge_config_selectorIlNS0_10empty_typeEEEZZNS1_27merge_sort_block_merge_implIS3_PlPS5_mZN2at6native12_GLOBAL__N_124unique_dim_cuda_templateItEESt5tupleIJNSA_6TensorESF_SF_EERKSF_lbbbEUlllE_EE10hipError_tT0_T1_T2_jT3_P12ihipStream_tbPNSt15iterator_traitsISL_E10value_typeEPNSR_ISM_E10value_typeEPSN_NS1_7vsmem_tEENKUlT_SL_SM_SN_E_clIS8_S8_S9_S9_EESK_S10_SL_SM_SN_EUlS10_E0_NS1_11comp_targetILNS1_3genE2ELNS1_11target_archE906ELNS1_3gpuE6ELNS1_3repE0EEENS1_38merge_mergepath_config_static_selectorELNS0_4arch9wavefront6targetE1EEEvSM_.num_vgpr, 0
	.set _ZN7rocprim17ROCPRIM_400000_NS6detail17trampoline_kernelINS0_14default_configENS1_38merge_sort_block_merge_config_selectorIlNS0_10empty_typeEEEZZNS1_27merge_sort_block_merge_implIS3_PlPS5_mZN2at6native12_GLOBAL__N_124unique_dim_cuda_templateItEESt5tupleIJNSA_6TensorESF_SF_EERKSF_lbbbEUlllE_EE10hipError_tT0_T1_T2_jT3_P12ihipStream_tbPNSt15iterator_traitsISL_E10value_typeEPNSR_ISM_E10value_typeEPSN_NS1_7vsmem_tEENKUlT_SL_SM_SN_E_clIS8_S8_S9_S9_EESK_S10_SL_SM_SN_EUlS10_E0_NS1_11comp_targetILNS1_3genE2ELNS1_11target_archE906ELNS1_3gpuE6ELNS1_3repE0EEENS1_38merge_mergepath_config_static_selectorELNS0_4arch9wavefront6targetE1EEEvSM_.num_agpr, 0
	.set _ZN7rocprim17ROCPRIM_400000_NS6detail17trampoline_kernelINS0_14default_configENS1_38merge_sort_block_merge_config_selectorIlNS0_10empty_typeEEEZZNS1_27merge_sort_block_merge_implIS3_PlPS5_mZN2at6native12_GLOBAL__N_124unique_dim_cuda_templateItEESt5tupleIJNSA_6TensorESF_SF_EERKSF_lbbbEUlllE_EE10hipError_tT0_T1_T2_jT3_P12ihipStream_tbPNSt15iterator_traitsISL_E10value_typeEPNSR_ISM_E10value_typeEPSN_NS1_7vsmem_tEENKUlT_SL_SM_SN_E_clIS8_S8_S9_S9_EESK_S10_SL_SM_SN_EUlS10_E0_NS1_11comp_targetILNS1_3genE2ELNS1_11target_archE906ELNS1_3gpuE6ELNS1_3repE0EEENS1_38merge_mergepath_config_static_selectorELNS0_4arch9wavefront6targetE1EEEvSM_.numbered_sgpr, 0
	.set _ZN7rocprim17ROCPRIM_400000_NS6detail17trampoline_kernelINS0_14default_configENS1_38merge_sort_block_merge_config_selectorIlNS0_10empty_typeEEEZZNS1_27merge_sort_block_merge_implIS3_PlPS5_mZN2at6native12_GLOBAL__N_124unique_dim_cuda_templateItEESt5tupleIJNSA_6TensorESF_SF_EERKSF_lbbbEUlllE_EE10hipError_tT0_T1_T2_jT3_P12ihipStream_tbPNSt15iterator_traitsISL_E10value_typeEPNSR_ISM_E10value_typeEPSN_NS1_7vsmem_tEENKUlT_SL_SM_SN_E_clIS8_S8_S9_S9_EESK_S10_SL_SM_SN_EUlS10_E0_NS1_11comp_targetILNS1_3genE2ELNS1_11target_archE906ELNS1_3gpuE6ELNS1_3repE0EEENS1_38merge_mergepath_config_static_selectorELNS0_4arch9wavefront6targetE1EEEvSM_.num_named_barrier, 0
	.set _ZN7rocprim17ROCPRIM_400000_NS6detail17trampoline_kernelINS0_14default_configENS1_38merge_sort_block_merge_config_selectorIlNS0_10empty_typeEEEZZNS1_27merge_sort_block_merge_implIS3_PlPS5_mZN2at6native12_GLOBAL__N_124unique_dim_cuda_templateItEESt5tupleIJNSA_6TensorESF_SF_EERKSF_lbbbEUlllE_EE10hipError_tT0_T1_T2_jT3_P12ihipStream_tbPNSt15iterator_traitsISL_E10value_typeEPNSR_ISM_E10value_typeEPSN_NS1_7vsmem_tEENKUlT_SL_SM_SN_E_clIS8_S8_S9_S9_EESK_S10_SL_SM_SN_EUlS10_E0_NS1_11comp_targetILNS1_3genE2ELNS1_11target_archE906ELNS1_3gpuE6ELNS1_3repE0EEENS1_38merge_mergepath_config_static_selectorELNS0_4arch9wavefront6targetE1EEEvSM_.private_seg_size, 0
	.set _ZN7rocprim17ROCPRIM_400000_NS6detail17trampoline_kernelINS0_14default_configENS1_38merge_sort_block_merge_config_selectorIlNS0_10empty_typeEEEZZNS1_27merge_sort_block_merge_implIS3_PlPS5_mZN2at6native12_GLOBAL__N_124unique_dim_cuda_templateItEESt5tupleIJNSA_6TensorESF_SF_EERKSF_lbbbEUlllE_EE10hipError_tT0_T1_T2_jT3_P12ihipStream_tbPNSt15iterator_traitsISL_E10value_typeEPNSR_ISM_E10value_typeEPSN_NS1_7vsmem_tEENKUlT_SL_SM_SN_E_clIS8_S8_S9_S9_EESK_S10_SL_SM_SN_EUlS10_E0_NS1_11comp_targetILNS1_3genE2ELNS1_11target_archE906ELNS1_3gpuE6ELNS1_3repE0EEENS1_38merge_mergepath_config_static_selectorELNS0_4arch9wavefront6targetE1EEEvSM_.uses_vcc, 0
	.set _ZN7rocprim17ROCPRIM_400000_NS6detail17trampoline_kernelINS0_14default_configENS1_38merge_sort_block_merge_config_selectorIlNS0_10empty_typeEEEZZNS1_27merge_sort_block_merge_implIS3_PlPS5_mZN2at6native12_GLOBAL__N_124unique_dim_cuda_templateItEESt5tupleIJNSA_6TensorESF_SF_EERKSF_lbbbEUlllE_EE10hipError_tT0_T1_T2_jT3_P12ihipStream_tbPNSt15iterator_traitsISL_E10value_typeEPNSR_ISM_E10value_typeEPSN_NS1_7vsmem_tEENKUlT_SL_SM_SN_E_clIS8_S8_S9_S9_EESK_S10_SL_SM_SN_EUlS10_E0_NS1_11comp_targetILNS1_3genE2ELNS1_11target_archE906ELNS1_3gpuE6ELNS1_3repE0EEENS1_38merge_mergepath_config_static_selectorELNS0_4arch9wavefront6targetE1EEEvSM_.uses_flat_scratch, 0
	.set _ZN7rocprim17ROCPRIM_400000_NS6detail17trampoline_kernelINS0_14default_configENS1_38merge_sort_block_merge_config_selectorIlNS0_10empty_typeEEEZZNS1_27merge_sort_block_merge_implIS3_PlPS5_mZN2at6native12_GLOBAL__N_124unique_dim_cuda_templateItEESt5tupleIJNSA_6TensorESF_SF_EERKSF_lbbbEUlllE_EE10hipError_tT0_T1_T2_jT3_P12ihipStream_tbPNSt15iterator_traitsISL_E10value_typeEPNSR_ISM_E10value_typeEPSN_NS1_7vsmem_tEENKUlT_SL_SM_SN_E_clIS8_S8_S9_S9_EESK_S10_SL_SM_SN_EUlS10_E0_NS1_11comp_targetILNS1_3genE2ELNS1_11target_archE906ELNS1_3gpuE6ELNS1_3repE0EEENS1_38merge_mergepath_config_static_selectorELNS0_4arch9wavefront6targetE1EEEvSM_.has_dyn_sized_stack, 0
	.set _ZN7rocprim17ROCPRIM_400000_NS6detail17trampoline_kernelINS0_14default_configENS1_38merge_sort_block_merge_config_selectorIlNS0_10empty_typeEEEZZNS1_27merge_sort_block_merge_implIS3_PlPS5_mZN2at6native12_GLOBAL__N_124unique_dim_cuda_templateItEESt5tupleIJNSA_6TensorESF_SF_EERKSF_lbbbEUlllE_EE10hipError_tT0_T1_T2_jT3_P12ihipStream_tbPNSt15iterator_traitsISL_E10value_typeEPNSR_ISM_E10value_typeEPSN_NS1_7vsmem_tEENKUlT_SL_SM_SN_E_clIS8_S8_S9_S9_EESK_S10_SL_SM_SN_EUlS10_E0_NS1_11comp_targetILNS1_3genE2ELNS1_11target_archE906ELNS1_3gpuE6ELNS1_3repE0EEENS1_38merge_mergepath_config_static_selectorELNS0_4arch9wavefront6targetE1EEEvSM_.has_recursion, 0
	.set _ZN7rocprim17ROCPRIM_400000_NS6detail17trampoline_kernelINS0_14default_configENS1_38merge_sort_block_merge_config_selectorIlNS0_10empty_typeEEEZZNS1_27merge_sort_block_merge_implIS3_PlPS5_mZN2at6native12_GLOBAL__N_124unique_dim_cuda_templateItEESt5tupleIJNSA_6TensorESF_SF_EERKSF_lbbbEUlllE_EE10hipError_tT0_T1_T2_jT3_P12ihipStream_tbPNSt15iterator_traitsISL_E10value_typeEPNSR_ISM_E10value_typeEPSN_NS1_7vsmem_tEENKUlT_SL_SM_SN_E_clIS8_S8_S9_S9_EESK_S10_SL_SM_SN_EUlS10_E0_NS1_11comp_targetILNS1_3genE2ELNS1_11target_archE906ELNS1_3gpuE6ELNS1_3repE0EEENS1_38merge_mergepath_config_static_selectorELNS0_4arch9wavefront6targetE1EEEvSM_.has_indirect_call, 0
	.section	.AMDGPU.csdata,"",@progbits
; Kernel info:
; codeLenInByte = 0
; TotalNumSgprs: 6
; NumVgprs: 0
; NumAgprs: 0
; TotalNumVgprs: 0
; ScratchSize: 0
; MemoryBound: 0
; FloatMode: 240
; IeeeMode: 1
; LDSByteSize: 0 bytes/workgroup (compile time only)
; SGPRBlocks: 0
; VGPRBlocks: 0
; NumSGPRsForWavesPerEU: 6
; NumVGPRsForWavesPerEU: 1
; AccumOffset: 4
; Occupancy: 8
; WaveLimiterHint : 0
; COMPUTE_PGM_RSRC2:SCRATCH_EN: 0
; COMPUTE_PGM_RSRC2:USER_SGPR: 2
; COMPUTE_PGM_RSRC2:TRAP_HANDLER: 0
; COMPUTE_PGM_RSRC2:TGID_X_EN: 1
; COMPUTE_PGM_RSRC2:TGID_Y_EN: 0
; COMPUTE_PGM_RSRC2:TGID_Z_EN: 0
; COMPUTE_PGM_RSRC2:TIDIG_COMP_CNT: 0
; COMPUTE_PGM_RSRC3_GFX90A:ACCUM_OFFSET: 0
; COMPUTE_PGM_RSRC3_GFX90A:TG_SPLIT: 0
	.section	.text._ZN7rocprim17ROCPRIM_400000_NS6detail17trampoline_kernelINS0_14default_configENS1_38merge_sort_block_merge_config_selectorIlNS0_10empty_typeEEEZZNS1_27merge_sort_block_merge_implIS3_PlPS5_mZN2at6native12_GLOBAL__N_124unique_dim_cuda_templateItEESt5tupleIJNSA_6TensorESF_SF_EERKSF_lbbbEUlllE_EE10hipError_tT0_T1_T2_jT3_P12ihipStream_tbPNSt15iterator_traitsISL_E10value_typeEPNSR_ISM_E10value_typeEPSN_NS1_7vsmem_tEENKUlT_SL_SM_SN_E_clIS8_S8_S9_S9_EESK_S10_SL_SM_SN_EUlS10_E0_NS1_11comp_targetILNS1_3genE9ELNS1_11target_archE1100ELNS1_3gpuE3ELNS1_3repE0EEENS1_38merge_mergepath_config_static_selectorELNS0_4arch9wavefront6targetE1EEEvSM_,"axG",@progbits,_ZN7rocprim17ROCPRIM_400000_NS6detail17trampoline_kernelINS0_14default_configENS1_38merge_sort_block_merge_config_selectorIlNS0_10empty_typeEEEZZNS1_27merge_sort_block_merge_implIS3_PlPS5_mZN2at6native12_GLOBAL__N_124unique_dim_cuda_templateItEESt5tupleIJNSA_6TensorESF_SF_EERKSF_lbbbEUlllE_EE10hipError_tT0_T1_T2_jT3_P12ihipStream_tbPNSt15iterator_traitsISL_E10value_typeEPNSR_ISM_E10value_typeEPSN_NS1_7vsmem_tEENKUlT_SL_SM_SN_E_clIS8_S8_S9_S9_EESK_S10_SL_SM_SN_EUlS10_E0_NS1_11comp_targetILNS1_3genE9ELNS1_11target_archE1100ELNS1_3gpuE3ELNS1_3repE0EEENS1_38merge_mergepath_config_static_selectorELNS0_4arch9wavefront6targetE1EEEvSM_,comdat
	.globl	_ZN7rocprim17ROCPRIM_400000_NS6detail17trampoline_kernelINS0_14default_configENS1_38merge_sort_block_merge_config_selectorIlNS0_10empty_typeEEEZZNS1_27merge_sort_block_merge_implIS3_PlPS5_mZN2at6native12_GLOBAL__N_124unique_dim_cuda_templateItEESt5tupleIJNSA_6TensorESF_SF_EERKSF_lbbbEUlllE_EE10hipError_tT0_T1_T2_jT3_P12ihipStream_tbPNSt15iterator_traitsISL_E10value_typeEPNSR_ISM_E10value_typeEPSN_NS1_7vsmem_tEENKUlT_SL_SM_SN_E_clIS8_S8_S9_S9_EESK_S10_SL_SM_SN_EUlS10_E0_NS1_11comp_targetILNS1_3genE9ELNS1_11target_archE1100ELNS1_3gpuE3ELNS1_3repE0EEENS1_38merge_mergepath_config_static_selectorELNS0_4arch9wavefront6targetE1EEEvSM_ ; -- Begin function _ZN7rocprim17ROCPRIM_400000_NS6detail17trampoline_kernelINS0_14default_configENS1_38merge_sort_block_merge_config_selectorIlNS0_10empty_typeEEEZZNS1_27merge_sort_block_merge_implIS3_PlPS5_mZN2at6native12_GLOBAL__N_124unique_dim_cuda_templateItEESt5tupleIJNSA_6TensorESF_SF_EERKSF_lbbbEUlllE_EE10hipError_tT0_T1_T2_jT3_P12ihipStream_tbPNSt15iterator_traitsISL_E10value_typeEPNSR_ISM_E10value_typeEPSN_NS1_7vsmem_tEENKUlT_SL_SM_SN_E_clIS8_S8_S9_S9_EESK_S10_SL_SM_SN_EUlS10_E0_NS1_11comp_targetILNS1_3genE9ELNS1_11target_archE1100ELNS1_3gpuE3ELNS1_3repE0EEENS1_38merge_mergepath_config_static_selectorELNS0_4arch9wavefront6targetE1EEEvSM_
	.p2align	8
	.type	_ZN7rocprim17ROCPRIM_400000_NS6detail17trampoline_kernelINS0_14default_configENS1_38merge_sort_block_merge_config_selectorIlNS0_10empty_typeEEEZZNS1_27merge_sort_block_merge_implIS3_PlPS5_mZN2at6native12_GLOBAL__N_124unique_dim_cuda_templateItEESt5tupleIJNSA_6TensorESF_SF_EERKSF_lbbbEUlllE_EE10hipError_tT0_T1_T2_jT3_P12ihipStream_tbPNSt15iterator_traitsISL_E10value_typeEPNSR_ISM_E10value_typeEPSN_NS1_7vsmem_tEENKUlT_SL_SM_SN_E_clIS8_S8_S9_S9_EESK_S10_SL_SM_SN_EUlS10_E0_NS1_11comp_targetILNS1_3genE9ELNS1_11target_archE1100ELNS1_3gpuE3ELNS1_3repE0EEENS1_38merge_mergepath_config_static_selectorELNS0_4arch9wavefront6targetE1EEEvSM_,@function
_ZN7rocprim17ROCPRIM_400000_NS6detail17trampoline_kernelINS0_14default_configENS1_38merge_sort_block_merge_config_selectorIlNS0_10empty_typeEEEZZNS1_27merge_sort_block_merge_implIS3_PlPS5_mZN2at6native12_GLOBAL__N_124unique_dim_cuda_templateItEESt5tupleIJNSA_6TensorESF_SF_EERKSF_lbbbEUlllE_EE10hipError_tT0_T1_T2_jT3_P12ihipStream_tbPNSt15iterator_traitsISL_E10value_typeEPNSR_ISM_E10value_typeEPSN_NS1_7vsmem_tEENKUlT_SL_SM_SN_E_clIS8_S8_S9_S9_EESK_S10_SL_SM_SN_EUlS10_E0_NS1_11comp_targetILNS1_3genE9ELNS1_11target_archE1100ELNS1_3gpuE3ELNS1_3repE0EEENS1_38merge_mergepath_config_static_selectorELNS0_4arch9wavefront6targetE1EEEvSM_: ; @_ZN7rocprim17ROCPRIM_400000_NS6detail17trampoline_kernelINS0_14default_configENS1_38merge_sort_block_merge_config_selectorIlNS0_10empty_typeEEEZZNS1_27merge_sort_block_merge_implIS3_PlPS5_mZN2at6native12_GLOBAL__N_124unique_dim_cuda_templateItEESt5tupleIJNSA_6TensorESF_SF_EERKSF_lbbbEUlllE_EE10hipError_tT0_T1_T2_jT3_P12ihipStream_tbPNSt15iterator_traitsISL_E10value_typeEPNSR_ISM_E10value_typeEPSN_NS1_7vsmem_tEENKUlT_SL_SM_SN_E_clIS8_S8_S9_S9_EESK_S10_SL_SM_SN_EUlS10_E0_NS1_11comp_targetILNS1_3genE9ELNS1_11target_archE1100ELNS1_3gpuE3ELNS1_3repE0EEENS1_38merge_mergepath_config_static_selectorELNS0_4arch9wavefront6targetE1EEEvSM_
; %bb.0:
	.section	.rodata,"a",@progbits
	.p2align	6, 0x0
	.amdhsa_kernel _ZN7rocprim17ROCPRIM_400000_NS6detail17trampoline_kernelINS0_14default_configENS1_38merge_sort_block_merge_config_selectorIlNS0_10empty_typeEEEZZNS1_27merge_sort_block_merge_implIS3_PlPS5_mZN2at6native12_GLOBAL__N_124unique_dim_cuda_templateItEESt5tupleIJNSA_6TensorESF_SF_EERKSF_lbbbEUlllE_EE10hipError_tT0_T1_T2_jT3_P12ihipStream_tbPNSt15iterator_traitsISL_E10value_typeEPNSR_ISM_E10value_typeEPSN_NS1_7vsmem_tEENKUlT_SL_SM_SN_E_clIS8_S8_S9_S9_EESK_S10_SL_SM_SN_EUlS10_E0_NS1_11comp_targetILNS1_3genE9ELNS1_11target_archE1100ELNS1_3gpuE3ELNS1_3repE0EEENS1_38merge_mergepath_config_static_selectorELNS0_4arch9wavefront6targetE1EEEvSM_
		.amdhsa_group_segment_fixed_size 0
		.amdhsa_private_segment_fixed_size 0
		.amdhsa_kernarg_size 88
		.amdhsa_user_sgpr_count 2
		.amdhsa_user_sgpr_dispatch_ptr 0
		.amdhsa_user_sgpr_queue_ptr 0
		.amdhsa_user_sgpr_kernarg_segment_ptr 1
		.amdhsa_user_sgpr_dispatch_id 0
		.amdhsa_user_sgpr_kernarg_preload_length 0
		.amdhsa_user_sgpr_kernarg_preload_offset 0
		.amdhsa_user_sgpr_private_segment_size 0
		.amdhsa_uses_dynamic_stack 0
		.amdhsa_enable_private_segment 0
		.amdhsa_system_sgpr_workgroup_id_x 1
		.amdhsa_system_sgpr_workgroup_id_y 0
		.amdhsa_system_sgpr_workgroup_id_z 0
		.amdhsa_system_sgpr_workgroup_info 0
		.amdhsa_system_vgpr_workitem_id 0
		.amdhsa_next_free_vgpr 1
		.amdhsa_next_free_sgpr 0
		.amdhsa_accum_offset 4
		.amdhsa_reserve_vcc 0
		.amdhsa_float_round_mode_32 0
		.amdhsa_float_round_mode_16_64 0
		.amdhsa_float_denorm_mode_32 3
		.amdhsa_float_denorm_mode_16_64 3
		.amdhsa_dx10_clamp 1
		.amdhsa_ieee_mode 1
		.amdhsa_fp16_overflow 0
		.amdhsa_tg_split 0
		.amdhsa_exception_fp_ieee_invalid_op 0
		.amdhsa_exception_fp_denorm_src 0
		.amdhsa_exception_fp_ieee_div_zero 0
		.amdhsa_exception_fp_ieee_overflow 0
		.amdhsa_exception_fp_ieee_underflow 0
		.amdhsa_exception_fp_ieee_inexact 0
		.amdhsa_exception_int_div_zero 0
	.end_amdhsa_kernel
	.section	.text._ZN7rocprim17ROCPRIM_400000_NS6detail17trampoline_kernelINS0_14default_configENS1_38merge_sort_block_merge_config_selectorIlNS0_10empty_typeEEEZZNS1_27merge_sort_block_merge_implIS3_PlPS5_mZN2at6native12_GLOBAL__N_124unique_dim_cuda_templateItEESt5tupleIJNSA_6TensorESF_SF_EERKSF_lbbbEUlllE_EE10hipError_tT0_T1_T2_jT3_P12ihipStream_tbPNSt15iterator_traitsISL_E10value_typeEPNSR_ISM_E10value_typeEPSN_NS1_7vsmem_tEENKUlT_SL_SM_SN_E_clIS8_S8_S9_S9_EESK_S10_SL_SM_SN_EUlS10_E0_NS1_11comp_targetILNS1_3genE9ELNS1_11target_archE1100ELNS1_3gpuE3ELNS1_3repE0EEENS1_38merge_mergepath_config_static_selectorELNS0_4arch9wavefront6targetE1EEEvSM_,"axG",@progbits,_ZN7rocprim17ROCPRIM_400000_NS6detail17trampoline_kernelINS0_14default_configENS1_38merge_sort_block_merge_config_selectorIlNS0_10empty_typeEEEZZNS1_27merge_sort_block_merge_implIS3_PlPS5_mZN2at6native12_GLOBAL__N_124unique_dim_cuda_templateItEESt5tupleIJNSA_6TensorESF_SF_EERKSF_lbbbEUlllE_EE10hipError_tT0_T1_T2_jT3_P12ihipStream_tbPNSt15iterator_traitsISL_E10value_typeEPNSR_ISM_E10value_typeEPSN_NS1_7vsmem_tEENKUlT_SL_SM_SN_E_clIS8_S8_S9_S9_EESK_S10_SL_SM_SN_EUlS10_E0_NS1_11comp_targetILNS1_3genE9ELNS1_11target_archE1100ELNS1_3gpuE3ELNS1_3repE0EEENS1_38merge_mergepath_config_static_selectorELNS0_4arch9wavefront6targetE1EEEvSM_,comdat
.Lfunc_end1384:
	.size	_ZN7rocprim17ROCPRIM_400000_NS6detail17trampoline_kernelINS0_14default_configENS1_38merge_sort_block_merge_config_selectorIlNS0_10empty_typeEEEZZNS1_27merge_sort_block_merge_implIS3_PlPS5_mZN2at6native12_GLOBAL__N_124unique_dim_cuda_templateItEESt5tupleIJNSA_6TensorESF_SF_EERKSF_lbbbEUlllE_EE10hipError_tT0_T1_T2_jT3_P12ihipStream_tbPNSt15iterator_traitsISL_E10value_typeEPNSR_ISM_E10value_typeEPSN_NS1_7vsmem_tEENKUlT_SL_SM_SN_E_clIS8_S8_S9_S9_EESK_S10_SL_SM_SN_EUlS10_E0_NS1_11comp_targetILNS1_3genE9ELNS1_11target_archE1100ELNS1_3gpuE3ELNS1_3repE0EEENS1_38merge_mergepath_config_static_selectorELNS0_4arch9wavefront6targetE1EEEvSM_, .Lfunc_end1384-_ZN7rocprim17ROCPRIM_400000_NS6detail17trampoline_kernelINS0_14default_configENS1_38merge_sort_block_merge_config_selectorIlNS0_10empty_typeEEEZZNS1_27merge_sort_block_merge_implIS3_PlPS5_mZN2at6native12_GLOBAL__N_124unique_dim_cuda_templateItEESt5tupleIJNSA_6TensorESF_SF_EERKSF_lbbbEUlllE_EE10hipError_tT0_T1_T2_jT3_P12ihipStream_tbPNSt15iterator_traitsISL_E10value_typeEPNSR_ISM_E10value_typeEPSN_NS1_7vsmem_tEENKUlT_SL_SM_SN_E_clIS8_S8_S9_S9_EESK_S10_SL_SM_SN_EUlS10_E0_NS1_11comp_targetILNS1_3genE9ELNS1_11target_archE1100ELNS1_3gpuE3ELNS1_3repE0EEENS1_38merge_mergepath_config_static_selectorELNS0_4arch9wavefront6targetE1EEEvSM_
                                        ; -- End function
	.set _ZN7rocprim17ROCPRIM_400000_NS6detail17trampoline_kernelINS0_14default_configENS1_38merge_sort_block_merge_config_selectorIlNS0_10empty_typeEEEZZNS1_27merge_sort_block_merge_implIS3_PlPS5_mZN2at6native12_GLOBAL__N_124unique_dim_cuda_templateItEESt5tupleIJNSA_6TensorESF_SF_EERKSF_lbbbEUlllE_EE10hipError_tT0_T1_T2_jT3_P12ihipStream_tbPNSt15iterator_traitsISL_E10value_typeEPNSR_ISM_E10value_typeEPSN_NS1_7vsmem_tEENKUlT_SL_SM_SN_E_clIS8_S8_S9_S9_EESK_S10_SL_SM_SN_EUlS10_E0_NS1_11comp_targetILNS1_3genE9ELNS1_11target_archE1100ELNS1_3gpuE3ELNS1_3repE0EEENS1_38merge_mergepath_config_static_selectorELNS0_4arch9wavefront6targetE1EEEvSM_.num_vgpr, 0
	.set _ZN7rocprim17ROCPRIM_400000_NS6detail17trampoline_kernelINS0_14default_configENS1_38merge_sort_block_merge_config_selectorIlNS0_10empty_typeEEEZZNS1_27merge_sort_block_merge_implIS3_PlPS5_mZN2at6native12_GLOBAL__N_124unique_dim_cuda_templateItEESt5tupleIJNSA_6TensorESF_SF_EERKSF_lbbbEUlllE_EE10hipError_tT0_T1_T2_jT3_P12ihipStream_tbPNSt15iterator_traitsISL_E10value_typeEPNSR_ISM_E10value_typeEPSN_NS1_7vsmem_tEENKUlT_SL_SM_SN_E_clIS8_S8_S9_S9_EESK_S10_SL_SM_SN_EUlS10_E0_NS1_11comp_targetILNS1_3genE9ELNS1_11target_archE1100ELNS1_3gpuE3ELNS1_3repE0EEENS1_38merge_mergepath_config_static_selectorELNS0_4arch9wavefront6targetE1EEEvSM_.num_agpr, 0
	.set _ZN7rocprim17ROCPRIM_400000_NS6detail17trampoline_kernelINS0_14default_configENS1_38merge_sort_block_merge_config_selectorIlNS0_10empty_typeEEEZZNS1_27merge_sort_block_merge_implIS3_PlPS5_mZN2at6native12_GLOBAL__N_124unique_dim_cuda_templateItEESt5tupleIJNSA_6TensorESF_SF_EERKSF_lbbbEUlllE_EE10hipError_tT0_T1_T2_jT3_P12ihipStream_tbPNSt15iterator_traitsISL_E10value_typeEPNSR_ISM_E10value_typeEPSN_NS1_7vsmem_tEENKUlT_SL_SM_SN_E_clIS8_S8_S9_S9_EESK_S10_SL_SM_SN_EUlS10_E0_NS1_11comp_targetILNS1_3genE9ELNS1_11target_archE1100ELNS1_3gpuE3ELNS1_3repE0EEENS1_38merge_mergepath_config_static_selectorELNS0_4arch9wavefront6targetE1EEEvSM_.numbered_sgpr, 0
	.set _ZN7rocprim17ROCPRIM_400000_NS6detail17trampoline_kernelINS0_14default_configENS1_38merge_sort_block_merge_config_selectorIlNS0_10empty_typeEEEZZNS1_27merge_sort_block_merge_implIS3_PlPS5_mZN2at6native12_GLOBAL__N_124unique_dim_cuda_templateItEESt5tupleIJNSA_6TensorESF_SF_EERKSF_lbbbEUlllE_EE10hipError_tT0_T1_T2_jT3_P12ihipStream_tbPNSt15iterator_traitsISL_E10value_typeEPNSR_ISM_E10value_typeEPSN_NS1_7vsmem_tEENKUlT_SL_SM_SN_E_clIS8_S8_S9_S9_EESK_S10_SL_SM_SN_EUlS10_E0_NS1_11comp_targetILNS1_3genE9ELNS1_11target_archE1100ELNS1_3gpuE3ELNS1_3repE0EEENS1_38merge_mergepath_config_static_selectorELNS0_4arch9wavefront6targetE1EEEvSM_.num_named_barrier, 0
	.set _ZN7rocprim17ROCPRIM_400000_NS6detail17trampoline_kernelINS0_14default_configENS1_38merge_sort_block_merge_config_selectorIlNS0_10empty_typeEEEZZNS1_27merge_sort_block_merge_implIS3_PlPS5_mZN2at6native12_GLOBAL__N_124unique_dim_cuda_templateItEESt5tupleIJNSA_6TensorESF_SF_EERKSF_lbbbEUlllE_EE10hipError_tT0_T1_T2_jT3_P12ihipStream_tbPNSt15iterator_traitsISL_E10value_typeEPNSR_ISM_E10value_typeEPSN_NS1_7vsmem_tEENKUlT_SL_SM_SN_E_clIS8_S8_S9_S9_EESK_S10_SL_SM_SN_EUlS10_E0_NS1_11comp_targetILNS1_3genE9ELNS1_11target_archE1100ELNS1_3gpuE3ELNS1_3repE0EEENS1_38merge_mergepath_config_static_selectorELNS0_4arch9wavefront6targetE1EEEvSM_.private_seg_size, 0
	.set _ZN7rocprim17ROCPRIM_400000_NS6detail17trampoline_kernelINS0_14default_configENS1_38merge_sort_block_merge_config_selectorIlNS0_10empty_typeEEEZZNS1_27merge_sort_block_merge_implIS3_PlPS5_mZN2at6native12_GLOBAL__N_124unique_dim_cuda_templateItEESt5tupleIJNSA_6TensorESF_SF_EERKSF_lbbbEUlllE_EE10hipError_tT0_T1_T2_jT3_P12ihipStream_tbPNSt15iterator_traitsISL_E10value_typeEPNSR_ISM_E10value_typeEPSN_NS1_7vsmem_tEENKUlT_SL_SM_SN_E_clIS8_S8_S9_S9_EESK_S10_SL_SM_SN_EUlS10_E0_NS1_11comp_targetILNS1_3genE9ELNS1_11target_archE1100ELNS1_3gpuE3ELNS1_3repE0EEENS1_38merge_mergepath_config_static_selectorELNS0_4arch9wavefront6targetE1EEEvSM_.uses_vcc, 0
	.set _ZN7rocprim17ROCPRIM_400000_NS6detail17trampoline_kernelINS0_14default_configENS1_38merge_sort_block_merge_config_selectorIlNS0_10empty_typeEEEZZNS1_27merge_sort_block_merge_implIS3_PlPS5_mZN2at6native12_GLOBAL__N_124unique_dim_cuda_templateItEESt5tupleIJNSA_6TensorESF_SF_EERKSF_lbbbEUlllE_EE10hipError_tT0_T1_T2_jT3_P12ihipStream_tbPNSt15iterator_traitsISL_E10value_typeEPNSR_ISM_E10value_typeEPSN_NS1_7vsmem_tEENKUlT_SL_SM_SN_E_clIS8_S8_S9_S9_EESK_S10_SL_SM_SN_EUlS10_E0_NS1_11comp_targetILNS1_3genE9ELNS1_11target_archE1100ELNS1_3gpuE3ELNS1_3repE0EEENS1_38merge_mergepath_config_static_selectorELNS0_4arch9wavefront6targetE1EEEvSM_.uses_flat_scratch, 0
	.set _ZN7rocprim17ROCPRIM_400000_NS6detail17trampoline_kernelINS0_14default_configENS1_38merge_sort_block_merge_config_selectorIlNS0_10empty_typeEEEZZNS1_27merge_sort_block_merge_implIS3_PlPS5_mZN2at6native12_GLOBAL__N_124unique_dim_cuda_templateItEESt5tupleIJNSA_6TensorESF_SF_EERKSF_lbbbEUlllE_EE10hipError_tT0_T1_T2_jT3_P12ihipStream_tbPNSt15iterator_traitsISL_E10value_typeEPNSR_ISM_E10value_typeEPSN_NS1_7vsmem_tEENKUlT_SL_SM_SN_E_clIS8_S8_S9_S9_EESK_S10_SL_SM_SN_EUlS10_E0_NS1_11comp_targetILNS1_3genE9ELNS1_11target_archE1100ELNS1_3gpuE3ELNS1_3repE0EEENS1_38merge_mergepath_config_static_selectorELNS0_4arch9wavefront6targetE1EEEvSM_.has_dyn_sized_stack, 0
	.set _ZN7rocprim17ROCPRIM_400000_NS6detail17trampoline_kernelINS0_14default_configENS1_38merge_sort_block_merge_config_selectorIlNS0_10empty_typeEEEZZNS1_27merge_sort_block_merge_implIS3_PlPS5_mZN2at6native12_GLOBAL__N_124unique_dim_cuda_templateItEESt5tupleIJNSA_6TensorESF_SF_EERKSF_lbbbEUlllE_EE10hipError_tT0_T1_T2_jT3_P12ihipStream_tbPNSt15iterator_traitsISL_E10value_typeEPNSR_ISM_E10value_typeEPSN_NS1_7vsmem_tEENKUlT_SL_SM_SN_E_clIS8_S8_S9_S9_EESK_S10_SL_SM_SN_EUlS10_E0_NS1_11comp_targetILNS1_3genE9ELNS1_11target_archE1100ELNS1_3gpuE3ELNS1_3repE0EEENS1_38merge_mergepath_config_static_selectorELNS0_4arch9wavefront6targetE1EEEvSM_.has_recursion, 0
	.set _ZN7rocprim17ROCPRIM_400000_NS6detail17trampoline_kernelINS0_14default_configENS1_38merge_sort_block_merge_config_selectorIlNS0_10empty_typeEEEZZNS1_27merge_sort_block_merge_implIS3_PlPS5_mZN2at6native12_GLOBAL__N_124unique_dim_cuda_templateItEESt5tupleIJNSA_6TensorESF_SF_EERKSF_lbbbEUlllE_EE10hipError_tT0_T1_T2_jT3_P12ihipStream_tbPNSt15iterator_traitsISL_E10value_typeEPNSR_ISM_E10value_typeEPSN_NS1_7vsmem_tEENKUlT_SL_SM_SN_E_clIS8_S8_S9_S9_EESK_S10_SL_SM_SN_EUlS10_E0_NS1_11comp_targetILNS1_3genE9ELNS1_11target_archE1100ELNS1_3gpuE3ELNS1_3repE0EEENS1_38merge_mergepath_config_static_selectorELNS0_4arch9wavefront6targetE1EEEvSM_.has_indirect_call, 0
	.section	.AMDGPU.csdata,"",@progbits
; Kernel info:
; codeLenInByte = 0
; TotalNumSgprs: 6
; NumVgprs: 0
; NumAgprs: 0
; TotalNumVgprs: 0
; ScratchSize: 0
; MemoryBound: 0
; FloatMode: 240
; IeeeMode: 1
; LDSByteSize: 0 bytes/workgroup (compile time only)
; SGPRBlocks: 0
; VGPRBlocks: 0
; NumSGPRsForWavesPerEU: 6
; NumVGPRsForWavesPerEU: 1
; AccumOffset: 4
; Occupancy: 8
; WaveLimiterHint : 0
; COMPUTE_PGM_RSRC2:SCRATCH_EN: 0
; COMPUTE_PGM_RSRC2:USER_SGPR: 2
; COMPUTE_PGM_RSRC2:TRAP_HANDLER: 0
; COMPUTE_PGM_RSRC2:TGID_X_EN: 1
; COMPUTE_PGM_RSRC2:TGID_Y_EN: 0
; COMPUTE_PGM_RSRC2:TGID_Z_EN: 0
; COMPUTE_PGM_RSRC2:TIDIG_COMP_CNT: 0
; COMPUTE_PGM_RSRC3_GFX90A:ACCUM_OFFSET: 0
; COMPUTE_PGM_RSRC3_GFX90A:TG_SPLIT: 0
	.section	.text._ZN7rocprim17ROCPRIM_400000_NS6detail17trampoline_kernelINS0_14default_configENS1_38merge_sort_block_merge_config_selectorIlNS0_10empty_typeEEEZZNS1_27merge_sort_block_merge_implIS3_PlPS5_mZN2at6native12_GLOBAL__N_124unique_dim_cuda_templateItEESt5tupleIJNSA_6TensorESF_SF_EERKSF_lbbbEUlllE_EE10hipError_tT0_T1_T2_jT3_P12ihipStream_tbPNSt15iterator_traitsISL_E10value_typeEPNSR_ISM_E10value_typeEPSN_NS1_7vsmem_tEENKUlT_SL_SM_SN_E_clIS8_S8_S9_S9_EESK_S10_SL_SM_SN_EUlS10_E0_NS1_11comp_targetILNS1_3genE8ELNS1_11target_archE1030ELNS1_3gpuE2ELNS1_3repE0EEENS1_38merge_mergepath_config_static_selectorELNS0_4arch9wavefront6targetE1EEEvSM_,"axG",@progbits,_ZN7rocprim17ROCPRIM_400000_NS6detail17trampoline_kernelINS0_14default_configENS1_38merge_sort_block_merge_config_selectorIlNS0_10empty_typeEEEZZNS1_27merge_sort_block_merge_implIS3_PlPS5_mZN2at6native12_GLOBAL__N_124unique_dim_cuda_templateItEESt5tupleIJNSA_6TensorESF_SF_EERKSF_lbbbEUlllE_EE10hipError_tT0_T1_T2_jT3_P12ihipStream_tbPNSt15iterator_traitsISL_E10value_typeEPNSR_ISM_E10value_typeEPSN_NS1_7vsmem_tEENKUlT_SL_SM_SN_E_clIS8_S8_S9_S9_EESK_S10_SL_SM_SN_EUlS10_E0_NS1_11comp_targetILNS1_3genE8ELNS1_11target_archE1030ELNS1_3gpuE2ELNS1_3repE0EEENS1_38merge_mergepath_config_static_selectorELNS0_4arch9wavefront6targetE1EEEvSM_,comdat
	.globl	_ZN7rocprim17ROCPRIM_400000_NS6detail17trampoline_kernelINS0_14default_configENS1_38merge_sort_block_merge_config_selectorIlNS0_10empty_typeEEEZZNS1_27merge_sort_block_merge_implIS3_PlPS5_mZN2at6native12_GLOBAL__N_124unique_dim_cuda_templateItEESt5tupleIJNSA_6TensorESF_SF_EERKSF_lbbbEUlllE_EE10hipError_tT0_T1_T2_jT3_P12ihipStream_tbPNSt15iterator_traitsISL_E10value_typeEPNSR_ISM_E10value_typeEPSN_NS1_7vsmem_tEENKUlT_SL_SM_SN_E_clIS8_S8_S9_S9_EESK_S10_SL_SM_SN_EUlS10_E0_NS1_11comp_targetILNS1_3genE8ELNS1_11target_archE1030ELNS1_3gpuE2ELNS1_3repE0EEENS1_38merge_mergepath_config_static_selectorELNS0_4arch9wavefront6targetE1EEEvSM_ ; -- Begin function _ZN7rocprim17ROCPRIM_400000_NS6detail17trampoline_kernelINS0_14default_configENS1_38merge_sort_block_merge_config_selectorIlNS0_10empty_typeEEEZZNS1_27merge_sort_block_merge_implIS3_PlPS5_mZN2at6native12_GLOBAL__N_124unique_dim_cuda_templateItEESt5tupleIJNSA_6TensorESF_SF_EERKSF_lbbbEUlllE_EE10hipError_tT0_T1_T2_jT3_P12ihipStream_tbPNSt15iterator_traitsISL_E10value_typeEPNSR_ISM_E10value_typeEPSN_NS1_7vsmem_tEENKUlT_SL_SM_SN_E_clIS8_S8_S9_S9_EESK_S10_SL_SM_SN_EUlS10_E0_NS1_11comp_targetILNS1_3genE8ELNS1_11target_archE1030ELNS1_3gpuE2ELNS1_3repE0EEENS1_38merge_mergepath_config_static_selectorELNS0_4arch9wavefront6targetE1EEEvSM_
	.p2align	8
	.type	_ZN7rocprim17ROCPRIM_400000_NS6detail17trampoline_kernelINS0_14default_configENS1_38merge_sort_block_merge_config_selectorIlNS0_10empty_typeEEEZZNS1_27merge_sort_block_merge_implIS3_PlPS5_mZN2at6native12_GLOBAL__N_124unique_dim_cuda_templateItEESt5tupleIJNSA_6TensorESF_SF_EERKSF_lbbbEUlllE_EE10hipError_tT0_T1_T2_jT3_P12ihipStream_tbPNSt15iterator_traitsISL_E10value_typeEPNSR_ISM_E10value_typeEPSN_NS1_7vsmem_tEENKUlT_SL_SM_SN_E_clIS8_S8_S9_S9_EESK_S10_SL_SM_SN_EUlS10_E0_NS1_11comp_targetILNS1_3genE8ELNS1_11target_archE1030ELNS1_3gpuE2ELNS1_3repE0EEENS1_38merge_mergepath_config_static_selectorELNS0_4arch9wavefront6targetE1EEEvSM_,@function
_ZN7rocprim17ROCPRIM_400000_NS6detail17trampoline_kernelINS0_14default_configENS1_38merge_sort_block_merge_config_selectorIlNS0_10empty_typeEEEZZNS1_27merge_sort_block_merge_implIS3_PlPS5_mZN2at6native12_GLOBAL__N_124unique_dim_cuda_templateItEESt5tupleIJNSA_6TensorESF_SF_EERKSF_lbbbEUlllE_EE10hipError_tT0_T1_T2_jT3_P12ihipStream_tbPNSt15iterator_traitsISL_E10value_typeEPNSR_ISM_E10value_typeEPSN_NS1_7vsmem_tEENKUlT_SL_SM_SN_E_clIS8_S8_S9_S9_EESK_S10_SL_SM_SN_EUlS10_E0_NS1_11comp_targetILNS1_3genE8ELNS1_11target_archE1030ELNS1_3gpuE2ELNS1_3repE0EEENS1_38merge_mergepath_config_static_selectorELNS0_4arch9wavefront6targetE1EEEvSM_: ; @_ZN7rocprim17ROCPRIM_400000_NS6detail17trampoline_kernelINS0_14default_configENS1_38merge_sort_block_merge_config_selectorIlNS0_10empty_typeEEEZZNS1_27merge_sort_block_merge_implIS3_PlPS5_mZN2at6native12_GLOBAL__N_124unique_dim_cuda_templateItEESt5tupleIJNSA_6TensorESF_SF_EERKSF_lbbbEUlllE_EE10hipError_tT0_T1_T2_jT3_P12ihipStream_tbPNSt15iterator_traitsISL_E10value_typeEPNSR_ISM_E10value_typeEPSN_NS1_7vsmem_tEENKUlT_SL_SM_SN_E_clIS8_S8_S9_S9_EESK_S10_SL_SM_SN_EUlS10_E0_NS1_11comp_targetILNS1_3genE8ELNS1_11target_archE1030ELNS1_3gpuE2ELNS1_3repE0EEENS1_38merge_mergepath_config_static_selectorELNS0_4arch9wavefront6targetE1EEEvSM_
; %bb.0:
	.section	.rodata,"a",@progbits
	.p2align	6, 0x0
	.amdhsa_kernel _ZN7rocprim17ROCPRIM_400000_NS6detail17trampoline_kernelINS0_14default_configENS1_38merge_sort_block_merge_config_selectorIlNS0_10empty_typeEEEZZNS1_27merge_sort_block_merge_implIS3_PlPS5_mZN2at6native12_GLOBAL__N_124unique_dim_cuda_templateItEESt5tupleIJNSA_6TensorESF_SF_EERKSF_lbbbEUlllE_EE10hipError_tT0_T1_T2_jT3_P12ihipStream_tbPNSt15iterator_traitsISL_E10value_typeEPNSR_ISM_E10value_typeEPSN_NS1_7vsmem_tEENKUlT_SL_SM_SN_E_clIS8_S8_S9_S9_EESK_S10_SL_SM_SN_EUlS10_E0_NS1_11comp_targetILNS1_3genE8ELNS1_11target_archE1030ELNS1_3gpuE2ELNS1_3repE0EEENS1_38merge_mergepath_config_static_selectorELNS0_4arch9wavefront6targetE1EEEvSM_
		.amdhsa_group_segment_fixed_size 0
		.amdhsa_private_segment_fixed_size 0
		.amdhsa_kernarg_size 88
		.amdhsa_user_sgpr_count 2
		.amdhsa_user_sgpr_dispatch_ptr 0
		.amdhsa_user_sgpr_queue_ptr 0
		.amdhsa_user_sgpr_kernarg_segment_ptr 1
		.amdhsa_user_sgpr_dispatch_id 0
		.amdhsa_user_sgpr_kernarg_preload_length 0
		.amdhsa_user_sgpr_kernarg_preload_offset 0
		.amdhsa_user_sgpr_private_segment_size 0
		.amdhsa_uses_dynamic_stack 0
		.amdhsa_enable_private_segment 0
		.amdhsa_system_sgpr_workgroup_id_x 1
		.amdhsa_system_sgpr_workgroup_id_y 0
		.amdhsa_system_sgpr_workgroup_id_z 0
		.amdhsa_system_sgpr_workgroup_info 0
		.amdhsa_system_vgpr_workitem_id 0
		.amdhsa_next_free_vgpr 1
		.amdhsa_next_free_sgpr 0
		.amdhsa_accum_offset 4
		.amdhsa_reserve_vcc 0
		.amdhsa_float_round_mode_32 0
		.amdhsa_float_round_mode_16_64 0
		.amdhsa_float_denorm_mode_32 3
		.amdhsa_float_denorm_mode_16_64 3
		.amdhsa_dx10_clamp 1
		.amdhsa_ieee_mode 1
		.amdhsa_fp16_overflow 0
		.amdhsa_tg_split 0
		.amdhsa_exception_fp_ieee_invalid_op 0
		.amdhsa_exception_fp_denorm_src 0
		.amdhsa_exception_fp_ieee_div_zero 0
		.amdhsa_exception_fp_ieee_overflow 0
		.amdhsa_exception_fp_ieee_underflow 0
		.amdhsa_exception_fp_ieee_inexact 0
		.amdhsa_exception_int_div_zero 0
	.end_amdhsa_kernel
	.section	.text._ZN7rocprim17ROCPRIM_400000_NS6detail17trampoline_kernelINS0_14default_configENS1_38merge_sort_block_merge_config_selectorIlNS0_10empty_typeEEEZZNS1_27merge_sort_block_merge_implIS3_PlPS5_mZN2at6native12_GLOBAL__N_124unique_dim_cuda_templateItEESt5tupleIJNSA_6TensorESF_SF_EERKSF_lbbbEUlllE_EE10hipError_tT0_T1_T2_jT3_P12ihipStream_tbPNSt15iterator_traitsISL_E10value_typeEPNSR_ISM_E10value_typeEPSN_NS1_7vsmem_tEENKUlT_SL_SM_SN_E_clIS8_S8_S9_S9_EESK_S10_SL_SM_SN_EUlS10_E0_NS1_11comp_targetILNS1_3genE8ELNS1_11target_archE1030ELNS1_3gpuE2ELNS1_3repE0EEENS1_38merge_mergepath_config_static_selectorELNS0_4arch9wavefront6targetE1EEEvSM_,"axG",@progbits,_ZN7rocprim17ROCPRIM_400000_NS6detail17trampoline_kernelINS0_14default_configENS1_38merge_sort_block_merge_config_selectorIlNS0_10empty_typeEEEZZNS1_27merge_sort_block_merge_implIS3_PlPS5_mZN2at6native12_GLOBAL__N_124unique_dim_cuda_templateItEESt5tupleIJNSA_6TensorESF_SF_EERKSF_lbbbEUlllE_EE10hipError_tT0_T1_T2_jT3_P12ihipStream_tbPNSt15iterator_traitsISL_E10value_typeEPNSR_ISM_E10value_typeEPSN_NS1_7vsmem_tEENKUlT_SL_SM_SN_E_clIS8_S8_S9_S9_EESK_S10_SL_SM_SN_EUlS10_E0_NS1_11comp_targetILNS1_3genE8ELNS1_11target_archE1030ELNS1_3gpuE2ELNS1_3repE0EEENS1_38merge_mergepath_config_static_selectorELNS0_4arch9wavefront6targetE1EEEvSM_,comdat
.Lfunc_end1385:
	.size	_ZN7rocprim17ROCPRIM_400000_NS6detail17trampoline_kernelINS0_14default_configENS1_38merge_sort_block_merge_config_selectorIlNS0_10empty_typeEEEZZNS1_27merge_sort_block_merge_implIS3_PlPS5_mZN2at6native12_GLOBAL__N_124unique_dim_cuda_templateItEESt5tupleIJNSA_6TensorESF_SF_EERKSF_lbbbEUlllE_EE10hipError_tT0_T1_T2_jT3_P12ihipStream_tbPNSt15iterator_traitsISL_E10value_typeEPNSR_ISM_E10value_typeEPSN_NS1_7vsmem_tEENKUlT_SL_SM_SN_E_clIS8_S8_S9_S9_EESK_S10_SL_SM_SN_EUlS10_E0_NS1_11comp_targetILNS1_3genE8ELNS1_11target_archE1030ELNS1_3gpuE2ELNS1_3repE0EEENS1_38merge_mergepath_config_static_selectorELNS0_4arch9wavefront6targetE1EEEvSM_, .Lfunc_end1385-_ZN7rocprim17ROCPRIM_400000_NS6detail17trampoline_kernelINS0_14default_configENS1_38merge_sort_block_merge_config_selectorIlNS0_10empty_typeEEEZZNS1_27merge_sort_block_merge_implIS3_PlPS5_mZN2at6native12_GLOBAL__N_124unique_dim_cuda_templateItEESt5tupleIJNSA_6TensorESF_SF_EERKSF_lbbbEUlllE_EE10hipError_tT0_T1_T2_jT3_P12ihipStream_tbPNSt15iterator_traitsISL_E10value_typeEPNSR_ISM_E10value_typeEPSN_NS1_7vsmem_tEENKUlT_SL_SM_SN_E_clIS8_S8_S9_S9_EESK_S10_SL_SM_SN_EUlS10_E0_NS1_11comp_targetILNS1_3genE8ELNS1_11target_archE1030ELNS1_3gpuE2ELNS1_3repE0EEENS1_38merge_mergepath_config_static_selectorELNS0_4arch9wavefront6targetE1EEEvSM_
                                        ; -- End function
	.set _ZN7rocprim17ROCPRIM_400000_NS6detail17trampoline_kernelINS0_14default_configENS1_38merge_sort_block_merge_config_selectorIlNS0_10empty_typeEEEZZNS1_27merge_sort_block_merge_implIS3_PlPS5_mZN2at6native12_GLOBAL__N_124unique_dim_cuda_templateItEESt5tupleIJNSA_6TensorESF_SF_EERKSF_lbbbEUlllE_EE10hipError_tT0_T1_T2_jT3_P12ihipStream_tbPNSt15iterator_traitsISL_E10value_typeEPNSR_ISM_E10value_typeEPSN_NS1_7vsmem_tEENKUlT_SL_SM_SN_E_clIS8_S8_S9_S9_EESK_S10_SL_SM_SN_EUlS10_E0_NS1_11comp_targetILNS1_3genE8ELNS1_11target_archE1030ELNS1_3gpuE2ELNS1_3repE0EEENS1_38merge_mergepath_config_static_selectorELNS0_4arch9wavefront6targetE1EEEvSM_.num_vgpr, 0
	.set _ZN7rocprim17ROCPRIM_400000_NS6detail17trampoline_kernelINS0_14default_configENS1_38merge_sort_block_merge_config_selectorIlNS0_10empty_typeEEEZZNS1_27merge_sort_block_merge_implIS3_PlPS5_mZN2at6native12_GLOBAL__N_124unique_dim_cuda_templateItEESt5tupleIJNSA_6TensorESF_SF_EERKSF_lbbbEUlllE_EE10hipError_tT0_T1_T2_jT3_P12ihipStream_tbPNSt15iterator_traitsISL_E10value_typeEPNSR_ISM_E10value_typeEPSN_NS1_7vsmem_tEENKUlT_SL_SM_SN_E_clIS8_S8_S9_S9_EESK_S10_SL_SM_SN_EUlS10_E0_NS1_11comp_targetILNS1_3genE8ELNS1_11target_archE1030ELNS1_3gpuE2ELNS1_3repE0EEENS1_38merge_mergepath_config_static_selectorELNS0_4arch9wavefront6targetE1EEEvSM_.num_agpr, 0
	.set _ZN7rocprim17ROCPRIM_400000_NS6detail17trampoline_kernelINS0_14default_configENS1_38merge_sort_block_merge_config_selectorIlNS0_10empty_typeEEEZZNS1_27merge_sort_block_merge_implIS3_PlPS5_mZN2at6native12_GLOBAL__N_124unique_dim_cuda_templateItEESt5tupleIJNSA_6TensorESF_SF_EERKSF_lbbbEUlllE_EE10hipError_tT0_T1_T2_jT3_P12ihipStream_tbPNSt15iterator_traitsISL_E10value_typeEPNSR_ISM_E10value_typeEPSN_NS1_7vsmem_tEENKUlT_SL_SM_SN_E_clIS8_S8_S9_S9_EESK_S10_SL_SM_SN_EUlS10_E0_NS1_11comp_targetILNS1_3genE8ELNS1_11target_archE1030ELNS1_3gpuE2ELNS1_3repE0EEENS1_38merge_mergepath_config_static_selectorELNS0_4arch9wavefront6targetE1EEEvSM_.numbered_sgpr, 0
	.set _ZN7rocprim17ROCPRIM_400000_NS6detail17trampoline_kernelINS0_14default_configENS1_38merge_sort_block_merge_config_selectorIlNS0_10empty_typeEEEZZNS1_27merge_sort_block_merge_implIS3_PlPS5_mZN2at6native12_GLOBAL__N_124unique_dim_cuda_templateItEESt5tupleIJNSA_6TensorESF_SF_EERKSF_lbbbEUlllE_EE10hipError_tT0_T1_T2_jT3_P12ihipStream_tbPNSt15iterator_traitsISL_E10value_typeEPNSR_ISM_E10value_typeEPSN_NS1_7vsmem_tEENKUlT_SL_SM_SN_E_clIS8_S8_S9_S9_EESK_S10_SL_SM_SN_EUlS10_E0_NS1_11comp_targetILNS1_3genE8ELNS1_11target_archE1030ELNS1_3gpuE2ELNS1_3repE0EEENS1_38merge_mergepath_config_static_selectorELNS0_4arch9wavefront6targetE1EEEvSM_.num_named_barrier, 0
	.set _ZN7rocprim17ROCPRIM_400000_NS6detail17trampoline_kernelINS0_14default_configENS1_38merge_sort_block_merge_config_selectorIlNS0_10empty_typeEEEZZNS1_27merge_sort_block_merge_implIS3_PlPS5_mZN2at6native12_GLOBAL__N_124unique_dim_cuda_templateItEESt5tupleIJNSA_6TensorESF_SF_EERKSF_lbbbEUlllE_EE10hipError_tT0_T1_T2_jT3_P12ihipStream_tbPNSt15iterator_traitsISL_E10value_typeEPNSR_ISM_E10value_typeEPSN_NS1_7vsmem_tEENKUlT_SL_SM_SN_E_clIS8_S8_S9_S9_EESK_S10_SL_SM_SN_EUlS10_E0_NS1_11comp_targetILNS1_3genE8ELNS1_11target_archE1030ELNS1_3gpuE2ELNS1_3repE0EEENS1_38merge_mergepath_config_static_selectorELNS0_4arch9wavefront6targetE1EEEvSM_.private_seg_size, 0
	.set _ZN7rocprim17ROCPRIM_400000_NS6detail17trampoline_kernelINS0_14default_configENS1_38merge_sort_block_merge_config_selectorIlNS0_10empty_typeEEEZZNS1_27merge_sort_block_merge_implIS3_PlPS5_mZN2at6native12_GLOBAL__N_124unique_dim_cuda_templateItEESt5tupleIJNSA_6TensorESF_SF_EERKSF_lbbbEUlllE_EE10hipError_tT0_T1_T2_jT3_P12ihipStream_tbPNSt15iterator_traitsISL_E10value_typeEPNSR_ISM_E10value_typeEPSN_NS1_7vsmem_tEENKUlT_SL_SM_SN_E_clIS8_S8_S9_S9_EESK_S10_SL_SM_SN_EUlS10_E0_NS1_11comp_targetILNS1_3genE8ELNS1_11target_archE1030ELNS1_3gpuE2ELNS1_3repE0EEENS1_38merge_mergepath_config_static_selectorELNS0_4arch9wavefront6targetE1EEEvSM_.uses_vcc, 0
	.set _ZN7rocprim17ROCPRIM_400000_NS6detail17trampoline_kernelINS0_14default_configENS1_38merge_sort_block_merge_config_selectorIlNS0_10empty_typeEEEZZNS1_27merge_sort_block_merge_implIS3_PlPS5_mZN2at6native12_GLOBAL__N_124unique_dim_cuda_templateItEESt5tupleIJNSA_6TensorESF_SF_EERKSF_lbbbEUlllE_EE10hipError_tT0_T1_T2_jT3_P12ihipStream_tbPNSt15iterator_traitsISL_E10value_typeEPNSR_ISM_E10value_typeEPSN_NS1_7vsmem_tEENKUlT_SL_SM_SN_E_clIS8_S8_S9_S9_EESK_S10_SL_SM_SN_EUlS10_E0_NS1_11comp_targetILNS1_3genE8ELNS1_11target_archE1030ELNS1_3gpuE2ELNS1_3repE0EEENS1_38merge_mergepath_config_static_selectorELNS0_4arch9wavefront6targetE1EEEvSM_.uses_flat_scratch, 0
	.set _ZN7rocprim17ROCPRIM_400000_NS6detail17trampoline_kernelINS0_14default_configENS1_38merge_sort_block_merge_config_selectorIlNS0_10empty_typeEEEZZNS1_27merge_sort_block_merge_implIS3_PlPS5_mZN2at6native12_GLOBAL__N_124unique_dim_cuda_templateItEESt5tupleIJNSA_6TensorESF_SF_EERKSF_lbbbEUlllE_EE10hipError_tT0_T1_T2_jT3_P12ihipStream_tbPNSt15iterator_traitsISL_E10value_typeEPNSR_ISM_E10value_typeEPSN_NS1_7vsmem_tEENKUlT_SL_SM_SN_E_clIS8_S8_S9_S9_EESK_S10_SL_SM_SN_EUlS10_E0_NS1_11comp_targetILNS1_3genE8ELNS1_11target_archE1030ELNS1_3gpuE2ELNS1_3repE0EEENS1_38merge_mergepath_config_static_selectorELNS0_4arch9wavefront6targetE1EEEvSM_.has_dyn_sized_stack, 0
	.set _ZN7rocprim17ROCPRIM_400000_NS6detail17trampoline_kernelINS0_14default_configENS1_38merge_sort_block_merge_config_selectorIlNS0_10empty_typeEEEZZNS1_27merge_sort_block_merge_implIS3_PlPS5_mZN2at6native12_GLOBAL__N_124unique_dim_cuda_templateItEESt5tupleIJNSA_6TensorESF_SF_EERKSF_lbbbEUlllE_EE10hipError_tT0_T1_T2_jT3_P12ihipStream_tbPNSt15iterator_traitsISL_E10value_typeEPNSR_ISM_E10value_typeEPSN_NS1_7vsmem_tEENKUlT_SL_SM_SN_E_clIS8_S8_S9_S9_EESK_S10_SL_SM_SN_EUlS10_E0_NS1_11comp_targetILNS1_3genE8ELNS1_11target_archE1030ELNS1_3gpuE2ELNS1_3repE0EEENS1_38merge_mergepath_config_static_selectorELNS0_4arch9wavefront6targetE1EEEvSM_.has_recursion, 0
	.set _ZN7rocprim17ROCPRIM_400000_NS6detail17trampoline_kernelINS0_14default_configENS1_38merge_sort_block_merge_config_selectorIlNS0_10empty_typeEEEZZNS1_27merge_sort_block_merge_implIS3_PlPS5_mZN2at6native12_GLOBAL__N_124unique_dim_cuda_templateItEESt5tupleIJNSA_6TensorESF_SF_EERKSF_lbbbEUlllE_EE10hipError_tT0_T1_T2_jT3_P12ihipStream_tbPNSt15iterator_traitsISL_E10value_typeEPNSR_ISM_E10value_typeEPSN_NS1_7vsmem_tEENKUlT_SL_SM_SN_E_clIS8_S8_S9_S9_EESK_S10_SL_SM_SN_EUlS10_E0_NS1_11comp_targetILNS1_3genE8ELNS1_11target_archE1030ELNS1_3gpuE2ELNS1_3repE0EEENS1_38merge_mergepath_config_static_selectorELNS0_4arch9wavefront6targetE1EEEvSM_.has_indirect_call, 0
	.section	.AMDGPU.csdata,"",@progbits
; Kernel info:
; codeLenInByte = 0
; TotalNumSgprs: 6
; NumVgprs: 0
; NumAgprs: 0
; TotalNumVgprs: 0
; ScratchSize: 0
; MemoryBound: 0
; FloatMode: 240
; IeeeMode: 1
; LDSByteSize: 0 bytes/workgroup (compile time only)
; SGPRBlocks: 0
; VGPRBlocks: 0
; NumSGPRsForWavesPerEU: 6
; NumVGPRsForWavesPerEU: 1
; AccumOffset: 4
; Occupancy: 8
; WaveLimiterHint : 0
; COMPUTE_PGM_RSRC2:SCRATCH_EN: 0
; COMPUTE_PGM_RSRC2:USER_SGPR: 2
; COMPUTE_PGM_RSRC2:TRAP_HANDLER: 0
; COMPUTE_PGM_RSRC2:TGID_X_EN: 1
; COMPUTE_PGM_RSRC2:TGID_Y_EN: 0
; COMPUTE_PGM_RSRC2:TGID_Z_EN: 0
; COMPUTE_PGM_RSRC2:TIDIG_COMP_CNT: 0
; COMPUTE_PGM_RSRC3_GFX90A:ACCUM_OFFSET: 0
; COMPUTE_PGM_RSRC3_GFX90A:TG_SPLIT: 0
	.section	.text._ZN7rocprim17ROCPRIM_400000_NS6detail17trampoline_kernelINS0_14default_configENS1_38merge_sort_block_merge_config_selectorIlNS0_10empty_typeEEEZZNS1_27merge_sort_block_merge_implIS3_PlPS5_mZN2at6native12_GLOBAL__N_124unique_dim_cuda_templateItEESt5tupleIJNSA_6TensorESF_SF_EERKSF_lbbbEUlllE_EE10hipError_tT0_T1_T2_jT3_P12ihipStream_tbPNSt15iterator_traitsISL_E10value_typeEPNSR_ISM_E10value_typeEPSN_NS1_7vsmem_tEENKUlT_SL_SM_SN_E_clIS8_S8_S9_S9_EESK_S10_SL_SM_SN_EUlS10_E1_NS1_11comp_targetILNS1_3genE0ELNS1_11target_archE4294967295ELNS1_3gpuE0ELNS1_3repE0EEENS1_36merge_oddeven_config_static_selectorELNS0_4arch9wavefront6targetE1EEEvSM_,"axG",@progbits,_ZN7rocprim17ROCPRIM_400000_NS6detail17trampoline_kernelINS0_14default_configENS1_38merge_sort_block_merge_config_selectorIlNS0_10empty_typeEEEZZNS1_27merge_sort_block_merge_implIS3_PlPS5_mZN2at6native12_GLOBAL__N_124unique_dim_cuda_templateItEESt5tupleIJNSA_6TensorESF_SF_EERKSF_lbbbEUlllE_EE10hipError_tT0_T1_T2_jT3_P12ihipStream_tbPNSt15iterator_traitsISL_E10value_typeEPNSR_ISM_E10value_typeEPSN_NS1_7vsmem_tEENKUlT_SL_SM_SN_E_clIS8_S8_S9_S9_EESK_S10_SL_SM_SN_EUlS10_E1_NS1_11comp_targetILNS1_3genE0ELNS1_11target_archE4294967295ELNS1_3gpuE0ELNS1_3repE0EEENS1_36merge_oddeven_config_static_selectorELNS0_4arch9wavefront6targetE1EEEvSM_,comdat
	.globl	_ZN7rocprim17ROCPRIM_400000_NS6detail17trampoline_kernelINS0_14default_configENS1_38merge_sort_block_merge_config_selectorIlNS0_10empty_typeEEEZZNS1_27merge_sort_block_merge_implIS3_PlPS5_mZN2at6native12_GLOBAL__N_124unique_dim_cuda_templateItEESt5tupleIJNSA_6TensorESF_SF_EERKSF_lbbbEUlllE_EE10hipError_tT0_T1_T2_jT3_P12ihipStream_tbPNSt15iterator_traitsISL_E10value_typeEPNSR_ISM_E10value_typeEPSN_NS1_7vsmem_tEENKUlT_SL_SM_SN_E_clIS8_S8_S9_S9_EESK_S10_SL_SM_SN_EUlS10_E1_NS1_11comp_targetILNS1_3genE0ELNS1_11target_archE4294967295ELNS1_3gpuE0ELNS1_3repE0EEENS1_36merge_oddeven_config_static_selectorELNS0_4arch9wavefront6targetE1EEEvSM_ ; -- Begin function _ZN7rocprim17ROCPRIM_400000_NS6detail17trampoline_kernelINS0_14default_configENS1_38merge_sort_block_merge_config_selectorIlNS0_10empty_typeEEEZZNS1_27merge_sort_block_merge_implIS3_PlPS5_mZN2at6native12_GLOBAL__N_124unique_dim_cuda_templateItEESt5tupleIJNSA_6TensorESF_SF_EERKSF_lbbbEUlllE_EE10hipError_tT0_T1_T2_jT3_P12ihipStream_tbPNSt15iterator_traitsISL_E10value_typeEPNSR_ISM_E10value_typeEPSN_NS1_7vsmem_tEENKUlT_SL_SM_SN_E_clIS8_S8_S9_S9_EESK_S10_SL_SM_SN_EUlS10_E1_NS1_11comp_targetILNS1_3genE0ELNS1_11target_archE4294967295ELNS1_3gpuE0ELNS1_3repE0EEENS1_36merge_oddeven_config_static_selectorELNS0_4arch9wavefront6targetE1EEEvSM_
	.p2align	8
	.type	_ZN7rocprim17ROCPRIM_400000_NS6detail17trampoline_kernelINS0_14default_configENS1_38merge_sort_block_merge_config_selectorIlNS0_10empty_typeEEEZZNS1_27merge_sort_block_merge_implIS3_PlPS5_mZN2at6native12_GLOBAL__N_124unique_dim_cuda_templateItEESt5tupleIJNSA_6TensorESF_SF_EERKSF_lbbbEUlllE_EE10hipError_tT0_T1_T2_jT3_P12ihipStream_tbPNSt15iterator_traitsISL_E10value_typeEPNSR_ISM_E10value_typeEPSN_NS1_7vsmem_tEENKUlT_SL_SM_SN_E_clIS8_S8_S9_S9_EESK_S10_SL_SM_SN_EUlS10_E1_NS1_11comp_targetILNS1_3genE0ELNS1_11target_archE4294967295ELNS1_3gpuE0ELNS1_3repE0EEENS1_36merge_oddeven_config_static_selectorELNS0_4arch9wavefront6targetE1EEEvSM_,@function
_ZN7rocprim17ROCPRIM_400000_NS6detail17trampoline_kernelINS0_14default_configENS1_38merge_sort_block_merge_config_selectorIlNS0_10empty_typeEEEZZNS1_27merge_sort_block_merge_implIS3_PlPS5_mZN2at6native12_GLOBAL__N_124unique_dim_cuda_templateItEESt5tupleIJNSA_6TensorESF_SF_EERKSF_lbbbEUlllE_EE10hipError_tT0_T1_T2_jT3_P12ihipStream_tbPNSt15iterator_traitsISL_E10value_typeEPNSR_ISM_E10value_typeEPSN_NS1_7vsmem_tEENKUlT_SL_SM_SN_E_clIS8_S8_S9_S9_EESK_S10_SL_SM_SN_EUlS10_E1_NS1_11comp_targetILNS1_3genE0ELNS1_11target_archE4294967295ELNS1_3gpuE0ELNS1_3repE0EEENS1_36merge_oddeven_config_static_selectorELNS0_4arch9wavefront6targetE1EEEvSM_: ; @_ZN7rocprim17ROCPRIM_400000_NS6detail17trampoline_kernelINS0_14default_configENS1_38merge_sort_block_merge_config_selectorIlNS0_10empty_typeEEEZZNS1_27merge_sort_block_merge_implIS3_PlPS5_mZN2at6native12_GLOBAL__N_124unique_dim_cuda_templateItEESt5tupleIJNSA_6TensorESF_SF_EERKSF_lbbbEUlllE_EE10hipError_tT0_T1_T2_jT3_P12ihipStream_tbPNSt15iterator_traitsISL_E10value_typeEPNSR_ISM_E10value_typeEPSN_NS1_7vsmem_tEENKUlT_SL_SM_SN_E_clIS8_S8_S9_S9_EESK_S10_SL_SM_SN_EUlS10_E1_NS1_11comp_targetILNS1_3genE0ELNS1_11target_archE4294967295ELNS1_3gpuE0ELNS1_3repE0EEENS1_36merge_oddeven_config_static_selectorELNS0_4arch9wavefront6targetE1EEEvSM_
; %bb.0:
	s_load_dword s22, s[0:1], 0x20
	s_waitcnt lgkmcnt(0)
	s_lshr_b32 s3, s22, 8
	s_cmp_lg_u32 s2, s3
	s_cselect_b64 s[12:13], -1, 0
	s_cmp_eq_u32 s2, s3
	s_cselect_b64 s[6:7], -1, 0
	s_lshl_b32 s20, s2, 8
	s_sub_i32 s3, s22, s20
	v_cmp_gt_u32_e64 s[4:5], s3, v0
	s_or_b64 s[8:9], s[12:13], s[4:5]
	s_and_saveexec_b64 s[10:11], s[8:9]
	s_cbranch_execz .LBB1386_54
; %bb.1:
	s_load_dwordx4 s[8:11], s[0:1], 0x0
	s_load_dword s23, s[0:1], 0x28
	s_mov_b32 s21, 0
	s_lshl_b64 s[14:15], s[20:21], 3
	v_lshlrev_b32_e32 v1, 3, v0
	s_waitcnt lgkmcnt(0)
	s_add_u32 s14, s8, s14
	s_addc_u32 s15, s9, s15
	global_load_dwordx2 v[2:3], v1, s[14:15]
	s_lshr_b32 s3, s23, 8
	s_sub_i32 s14, 0, s3
	s_and_b32 s2, s2, s14
	s_and_b32 s3, s2, s3
	s_cmp_lg_u32 s3, 0
	s_cselect_b64 s[16:17], -1, 0
	s_lshl_b32 s21, s2, 8
	s_sub_i32 s2, 0, s23
	s_cmp_eq_u32 s3, 0
	s_cselect_b32 s33, s23, s2
	s_add_i32 s33, s33, s21
	s_cmp_lt_u32 s33, s22
	s_cbranch_scc1 .LBB1386_3
; %bb.2:
	v_add_u32_e32 v4, s20, v0
	v_cmp_gt_u32_e32 vcc, s22, v4
	s_or_b64 s[12:13], vcc, s[12:13]
	s_and_b64 s[18:19], s[12:13], exec
	s_cbranch_execz .LBB1386_4
	s_branch .LBB1386_52
.LBB1386_3:
	s_mov_b64 s[18:19], 0
                                        ; implicit-def: $vgpr4
.LBB1386_4:
	s_load_dwordx4 s[12:15], s[0:1], 0x30
	s_min_u32 s44, s33, s22
	s_add_i32 s0, s44, s23
	s_min_u32 s45, s0, s22
	s_min_u32 s0, s21, s44
	v_add_u32_e32 v0, s20, v0
	s_add_i32 s21, s21, s44
	v_subrev_u32_e32 v0, s21, v0
	v_add_u32_e32 v14, s0, v0
	s_waitcnt lgkmcnt(0)
	v_cmp_gt_i64_e64 s[20:21], s[12:13], 0
	s_and_b64 vcc, exec, s[6:7]
	s_cbranch_vccz .LBB1386_26
; %bb.5:
                                        ; implicit-def: $vgpr4
	s_and_saveexec_b64 s[22:23], s[4:5]
	s_cbranch_execz .LBB1386_29
; %bb.6:
	s_cmp_ge_u32 s33, s45
	v_mov_b32_e32 v15, s44
	s_cbranch_scc1 .LBB1386_28
; %bb.7:
	s_waitcnt vmcnt(0)
	v_mul_lo_u32 v0, v3, s12
	v_mul_lo_u32 v1, v2, s13
	v_mad_u64_u32 v[4:5], s[0:1], v2, s12, 0
	v_cndmask_b32_e64 v6, 0, 1, s[16:17]
	v_add3_u32 v5, v5, v1, v0
	v_cmp_ne_u32_e64 s[0:1], 1, v6
	v_cndmask_b32_e64 v6, 0, 1, s[20:21]
	v_mov_b64_e32 v[0:1], s[14:15]
	v_lshl_add_u64 v[4:5], v[4:5], 1, s[14:15]
	s_lshl_b64 s[26:27], s[12:13], 1
	s_mov_b64 s[24:25], 0
	v_mov_b32_e32 v16, s45
	v_mov_b32_e32 v15, s44
	;; [unrolled: 1-line block ×3, first 2 shown]
	v_cmp_ne_u32_e64 s[2:3], 1, v6
	s_branch .LBB1386_10
.LBB1386_8:                             ;   in Loop: Header=BB1386_10 Depth=1
	s_or_b64 exec, exec, s[30:31]
.LBB1386_9:                             ;   in Loop: Header=BB1386_10 Depth=1
	s_waitcnt vmcnt(0)
	v_add_u32_e32 v8, 1, v6
	v_cndmask_b32_e64 v16, v6, v16, s[28:29]
	v_cndmask_b32_e64 v15, v15, v8, s[28:29]
	v_cmp_ge_u32_e32 vcc, v15, v16
	s_or_b64 s[24:25], vcc, s[24:25]
	s_andn2_b64 exec, exec, s[24:25]
	s_cbranch_execz .LBB1386_27
.LBB1386_10:                            ; =>This Loop Header: Depth=1
                                        ;     Child Loop BB1386_14 Depth 2
                                        ;     Child Loop BB1386_23 Depth 2
	v_add_u32_e32 v6, v15, v16
	v_lshrrev_b32_e32 v6, 1, v6
	v_lshl_add_u64 v[8:9], v[6:7], 3, s[8:9]
	global_load_dwordx2 v[8:9], v[8:9], off
	s_and_b64 vcc, exec, s[0:1]
	s_mov_b64 s[4:5], -1
                                        ; implicit-def: $sgpr28_sgpr29
	s_cbranch_vccnz .LBB1386_19
; %bb.11:                               ;   in Loop: Header=BB1386_10 Depth=1
	s_and_b64 vcc, exec, s[2:3]
	s_cbranch_vccnz .LBB1386_17
; %bb.12:                               ;   in Loop: Header=BB1386_10 Depth=1
	s_waitcnt vmcnt(0)
	v_mad_u64_u32 v[10:11], s[4:5], s26, v8, v[0:1]
	v_mul_lo_u32 v12, s26, v9
	v_mul_lo_u32 v13, s27, v8
	v_add3_u32 v11, v13, v11, v12
	s_mov_b64 s[28:29], 0
	s_mov_b64 s[36:37], s[12:13]
	v_mov_b64_e32 v[12:13], v[4:5]
                                        ; implicit-def: $sgpr30_sgpr31
                                        ; implicit-def: $sgpr34_sgpr35
                                        ; implicit-def: $sgpr4_sgpr5
                                        ; implicit-def: $sgpr38_sgpr39
	s_branch .LBB1386_14
.LBB1386_13:                            ;   in Loop: Header=BB1386_14 Depth=2
	s_or_b64 exec, exec, s[42:43]
	s_and_b64 s[6:7], exec, s[34:35]
	s_or_b64 s[28:29], s[6:7], s[28:29]
	s_andn2_b64 s[6:7], s[38:39], exec
	s_and_b64 s[38:39], s[40:41], exec
	s_or_b64 s[38:39], s[6:7], s[38:39]
	s_andn2_b64 s[6:7], s[30:31], exec
	s_and_b64 s[30:31], s[4:5], exec
	s_or_b64 s[30:31], s[6:7], s[30:31]
	s_andn2_b64 exec, exec, s[28:29]
	s_cbranch_execz .LBB1386_16
.LBB1386_14:                            ;   Parent Loop BB1386_10 Depth=1
                                        ; =>  This Inner Loop Header: Depth=2
	global_load_ushort v17, v[12:13], off
	global_load_ushort v18, v[10:11], off
	s_andn2_b64 s[42:43], s[4:5], exec
	s_or_b64 s[34:35], s[34:35], exec
	s_waitcnt vmcnt(0)
	v_cmp_le_u16_e64 s[4:5], v17, v18
	v_cmp_lt_u16_e32 vcc, v17, v18
	s_and_b64 s[4:5], s[4:5], s[38:39]
	s_or_b64 s[40:41], vcc, s[4:5]
	s_and_b64 s[4:5], s[40:41], exec
	v_cmp_eq_u16_e64 s[6:7], v17, v18
	s_or_b64 s[4:5], s[42:43], s[4:5]
	s_and_saveexec_b64 s[42:43], s[6:7]
	s_cbranch_execz .LBB1386_13
; %bb.15:                               ;   in Loop: Header=BB1386_14 Depth=2
	s_add_u32 s36, s36, -1
	s_addc_u32 s37, s37, -1
	s_cmp_eq_u64 s[36:37], 0
	s_cselect_b64 s[6:7], -1, 0
	s_andn2_b64 s[34:35], s[34:35], exec
	s_and_b64 s[6:7], s[6:7], exec
	v_lshl_add_u64 v[12:13], v[12:13], 0, 2
	v_lshl_add_u64 v[10:11], v[10:11], 0, 2
	s_andn2_b64 s[4:5], s[4:5], exec
	s_or_b64 s[34:35], s[34:35], s[6:7]
                                        ; implicit-def: $sgpr38_sgpr39
	s_branch .LBB1386_13
.LBB1386_16:                            ;   in Loop: Header=BB1386_10 Depth=1
	s_or_b64 exec, exec, s[28:29]
	s_xor_b64 s[28:29], s[30:31], -1
	s_branch .LBB1386_18
.LBB1386_17:                            ;   in Loop: Header=BB1386_10 Depth=1
	s_mov_b64 s[28:29], -1
.LBB1386_18:                            ;   in Loop: Header=BB1386_10 Depth=1
	s_mov_b64 s[4:5], 0
.LBB1386_19:                            ;   in Loop: Header=BB1386_10 Depth=1
	s_andn2_b64 vcc, exec, s[4:5]
	s_cbranch_vccnz .LBB1386_9
; %bb.20:                               ;   in Loop: Header=BB1386_10 Depth=1
	s_and_b64 vcc, exec, s[2:3]
	s_cbranch_vccnz .LBB1386_25
; %bb.21:                               ;   in Loop: Header=BB1386_10 Depth=1
	s_waitcnt vmcnt(0)
	v_mad_u64_u32 v[10:11], s[4:5], s26, v8, v[0:1]
	v_mul_lo_u32 v9, s26, v9
	v_mul_lo_u32 v8, s27, v8
	v_add3_u32 v11, v8, v11, v9
	s_mov_b64 s[30:31], 0
	s_mov_b64 s[36:37], s[12:13]
	v_mov_b64_e32 v[8:9], v[4:5]
                                        ; implicit-def: $sgpr28_sgpr29
                                        ; implicit-def: $sgpr34_sgpr35
                                        ; implicit-def: $sgpr4_sgpr5
                                        ; implicit-def: $sgpr38_sgpr39
	s_branch .LBB1386_23
.LBB1386_22:                            ;   in Loop: Header=BB1386_23 Depth=2
	s_or_b64 exec, exec, s[42:43]
	s_and_b64 s[6:7], exec, s[34:35]
	s_or_b64 s[30:31], s[6:7], s[30:31]
	s_andn2_b64 s[6:7], s[38:39], exec
	s_and_b64 s[38:39], s[40:41], exec
	s_or_b64 s[38:39], s[6:7], s[38:39]
	s_andn2_b64 s[6:7], s[28:29], exec
	s_and_b64 s[28:29], s[4:5], exec
	s_or_b64 s[28:29], s[6:7], s[28:29]
	s_andn2_b64 exec, exec, s[30:31]
	s_cbranch_execz .LBB1386_8
.LBB1386_23:                            ;   Parent Loop BB1386_10 Depth=1
                                        ; =>  This Inner Loop Header: Depth=2
	global_load_ushort v12, v[10:11], off
	global_load_ushort v13, v[8:9], off
	s_andn2_b64 s[42:43], s[4:5], exec
	s_or_b64 s[34:35], s[34:35], exec
	s_waitcnt vmcnt(0)
	v_cmp_le_u16_e64 s[4:5], v12, v13
	v_cmp_lt_u16_e32 vcc, v12, v13
	s_and_b64 s[4:5], s[4:5], s[38:39]
	s_or_b64 s[40:41], vcc, s[4:5]
	s_and_b64 s[4:5], s[40:41], exec
	v_cmp_eq_u16_e64 s[6:7], v12, v13
	s_or_b64 s[4:5], s[42:43], s[4:5]
	s_and_saveexec_b64 s[42:43], s[6:7]
	s_cbranch_execz .LBB1386_22
; %bb.24:                               ;   in Loop: Header=BB1386_23 Depth=2
	s_add_u32 s36, s36, -1
	s_addc_u32 s37, s37, -1
	s_cmp_eq_u64 s[36:37], 0
	s_cselect_b64 s[6:7], -1, 0
	s_andn2_b64 s[34:35], s[34:35], exec
	s_and_b64 s[6:7], s[6:7], exec
	v_lshl_add_u64 v[10:11], v[10:11], 0, 2
	v_lshl_add_u64 v[8:9], v[8:9], 0, 2
	s_andn2_b64 s[4:5], s[4:5], exec
	s_or_b64 s[34:35], s[34:35], s[6:7]
                                        ; implicit-def: $sgpr38_sgpr39
	s_branch .LBB1386_22
.LBB1386_25:                            ;   in Loop: Header=BB1386_10 Depth=1
	s_mov_b64 s[28:29], 0
	s_branch .LBB1386_9
.LBB1386_26:
                                        ; implicit-def: $vgpr4
	s_cbranch_execnz .LBB1386_30
	s_branch .LBB1386_52
.LBB1386_27:
	s_or_b64 exec, exec, s[24:25]
.LBB1386_28:
	v_add_u32_e32 v4, v15, v14
	s_or_b64 s[18:19], s[18:19], exec
.LBB1386_29:
	s_or_b64 exec, exec, s[22:23]
	s_branch .LBB1386_52
.LBB1386_30:
	s_cmp_ge_u32 s33, s45
	v_mov_b32_e32 v15, s44
	s_cbranch_scc1 .LBB1386_51
; %bb.31:
	s_waitcnt vmcnt(0)
	v_mul_lo_u32 v0, v3, s12
	v_mul_lo_u32 v1, v2, s13
	v_mad_u64_u32 v[4:5], s[0:1], v2, s12, 0
	v_cndmask_b32_e64 v6, 0, 1, s[16:17]
	v_add3_u32 v5, v5, v1, v0
	v_cmp_ne_u32_e64 s[0:1], 1, v6
	v_cndmask_b32_e64 v6, 0, 1, s[20:21]
	v_mov_b64_e32 v[0:1], s[14:15]
	v_lshl_add_u64 v[4:5], v[4:5], 1, s[14:15]
	s_lshl_b64 s[18:19], s[12:13], 1
	s_mov_b64 s[14:15], 0
	v_mov_b32_e32 v16, s45
	v_mov_b32_e32 v15, s44
	;; [unrolled: 1-line block ×3, first 2 shown]
	v_cmp_ne_u32_e64 s[2:3], 1, v6
	s_branch .LBB1386_34
.LBB1386_32:                            ;   in Loop: Header=BB1386_34 Depth=1
	s_or_b64 exec, exec, s[20:21]
.LBB1386_33:                            ;   in Loop: Header=BB1386_34 Depth=1
	s_waitcnt vmcnt(0)
	v_add_u32_e32 v8, 1, v6
	v_cndmask_b32_e64 v16, v6, v16, s[16:17]
	v_cndmask_b32_e64 v15, v15, v8, s[16:17]
	v_cmp_ge_u32_e32 vcc, v15, v16
	s_or_b64 s[14:15], vcc, s[14:15]
	s_andn2_b64 exec, exec, s[14:15]
	s_cbranch_execz .LBB1386_50
.LBB1386_34:                            ; =>This Loop Header: Depth=1
                                        ;     Child Loop BB1386_38 Depth 2
                                        ;     Child Loop BB1386_47 Depth 2
	v_add_u32_e32 v6, v15, v16
	v_lshrrev_b32_e32 v6, 1, v6
	v_lshl_add_u64 v[8:9], v[6:7], 3, s[8:9]
	global_load_dwordx2 v[8:9], v[8:9], off
	s_and_b64 vcc, exec, s[0:1]
	s_mov_b64 s[4:5], -1
                                        ; implicit-def: $sgpr16_sgpr17
	s_cbranch_vccnz .LBB1386_43
; %bb.35:                               ;   in Loop: Header=BB1386_34 Depth=1
	s_and_b64 vcc, exec, s[2:3]
	s_cbranch_vccnz .LBB1386_41
; %bb.36:                               ;   in Loop: Header=BB1386_34 Depth=1
	s_waitcnt vmcnt(0)
	v_mad_u64_u32 v[10:11], s[4:5], s18, v8, v[0:1]
	v_mul_lo_u32 v12, s18, v9
	v_mul_lo_u32 v13, s19, v8
	v_add3_u32 v11, v13, v11, v12
	s_mov_b64 s[16:17], 0
	s_mov_b64 s[24:25], s[12:13]
	v_mov_b64_e32 v[12:13], v[4:5]
                                        ; implicit-def: $sgpr20_sgpr21
                                        ; implicit-def: $sgpr22_sgpr23
                                        ; implicit-def: $sgpr4_sgpr5
                                        ; implicit-def: $sgpr26_sgpr27
	s_branch .LBB1386_38
.LBB1386_37:                            ;   in Loop: Header=BB1386_38 Depth=2
	s_or_b64 exec, exec, s[30:31]
	s_and_b64 s[6:7], exec, s[22:23]
	s_or_b64 s[16:17], s[6:7], s[16:17]
	s_andn2_b64 s[6:7], s[26:27], exec
	s_and_b64 s[26:27], s[28:29], exec
	s_or_b64 s[26:27], s[6:7], s[26:27]
	s_andn2_b64 s[6:7], s[20:21], exec
	s_and_b64 s[20:21], s[4:5], exec
	s_or_b64 s[20:21], s[6:7], s[20:21]
	s_andn2_b64 exec, exec, s[16:17]
	s_cbranch_execz .LBB1386_40
.LBB1386_38:                            ;   Parent Loop BB1386_34 Depth=1
                                        ; =>  This Inner Loop Header: Depth=2
	global_load_ushort v17, v[12:13], off
	global_load_ushort v18, v[10:11], off
	s_andn2_b64 s[30:31], s[4:5], exec
	s_or_b64 s[22:23], s[22:23], exec
	s_waitcnt vmcnt(0)
	v_cmp_le_u16_e64 s[4:5], v17, v18
	v_cmp_lt_u16_e32 vcc, v17, v18
	s_and_b64 s[4:5], s[4:5], s[26:27]
	s_or_b64 s[28:29], vcc, s[4:5]
	s_and_b64 s[4:5], s[28:29], exec
	v_cmp_eq_u16_e64 s[6:7], v17, v18
	s_or_b64 s[4:5], s[30:31], s[4:5]
	s_and_saveexec_b64 s[30:31], s[6:7]
	s_cbranch_execz .LBB1386_37
; %bb.39:                               ;   in Loop: Header=BB1386_38 Depth=2
	s_add_u32 s24, s24, -1
	s_addc_u32 s25, s25, -1
	s_cmp_eq_u64 s[24:25], 0
	s_cselect_b64 s[6:7], -1, 0
	s_andn2_b64 s[22:23], s[22:23], exec
	s_and_b64 s[6:7], s[6:7], exec
	v_lshl_add_u64 v[12:13], v[12:13], 0, 2
	v_lshl_add_u64 v[10:11], v[10:11], 0, 2
	s_andn2_b64 s[4:5], s[4:5], exec
	s_or_b64 s[22:23], s[22:23], s[6:7]
                                        ; implicit-def: $sgpr26_sgpr27
	s_branch .LBB1386_37
.LBB1386_40:                            ;   in Loop: Header=BB1386_34 Depth=1
	s_or_b64 exec, exec, s[16:17]
	s_xor_b64 s[16:17], s[20:21], -1
	s_branch .LBB1386_42
.LBB1386_41:                            ;   in Loop: Header=BB1386_34 Depth=1
	s_mov_b64 s[16:17], -1
.LBB1386_42:                            ;   in Loop: Header=BB1386_34 Depth=1
	s_mov_b64 s[4:5], 0
.LBB1386_43:                            ;   in Loop: Header=BB1386_34 Depth=1
	s_andn2_b64 vcc, exec, s[4:5]
	s_cbranch_vccnz .LBB1386_33
; %bb.44:                               ;   in Loop: Header=BB1386_34 Depth=1
	s_and_b64 vcc, exec, s[2:3]
	s_cbranch_vccnz .LBB1386_49
; %bb.45:                               ;   in Loop: Header=BB1386_34 Depth=1
	s_waitcnt vmcnt(0)
	v_mad_u64_u32 v[10:11], s[4:5], s18, v8, v[0:1]
	v_mul_lo_u32 v9, s18, v9
	v_mul_lo_u32 v8, s19, v8
	v_add3_u32 v11, v8, v11, v9
	s_mov_b64 s[20:21], 0
	s_mov_b64 s[24:25], s[12:13]
	v_mov_b64_e32 v[8:9], v[4:5]
                                        ; implicit-def: $sgpr16_sgpr17
                                        ; implicit-def: $sgpr22_sgpr23
                                        ; implicit-def: $sgpr4_sgpr5
                                        ; implicit-def: $sgpr26_sgpr27
	s_branch .LBB1386_47
.LBB1386_46:                            ;   in Loop: Header=BB1386_47 Depth=2
	s_or_b64 exec, exec, s[30:31]
	s_and_b64 s[6:7], exec, s[22:23]
	s_or_b64 s[20:21], s[6:7], s[20:21]
	s_andn2_b64 s[6:7], s[26:27], exec
	s_and_b64 s[26:27], s[28:29], exec
	s_or_b64 s[26:27], s[6:7], s[26:27]
	s_andn2_b64 s[6:7], s[16:17], exec
	s_and_b64 s[16:17], s[4:5], exec
	s_or_b64 s[16:17], s[6:7], s[16:17]
	s_andn2_b64 exec, exec, s[20:21]
	s_cbranch_execz .LBB1386_32
.LBB1386_47:                            ;   Parent Loop BB1386_34 Depth=1
                                        ; =>  This Inner Loop Header: Depth=2
	global_load_ushort v12, v[10:11], off
	global_load_ushort v13, v[8:9], off
	s_andn2_b64 s[30:31], s[4:5], exec
	s_or_b64 s[22:23], s[22:23], exec
	s_waitcnt vmcnt(0)
	v_cmp_le_u16_e64 s[4:5], v12, v13
	v_cmp_lt_u16_e32 vcc, v12, v13
	s_and_b64 s[4:5], s[4:5], s[26:27]
	s_or_b64 s[28:29], vcc, s[4:5]
	s_and_b64 s[4:5], s[28:29], exec
	v_cmp_eq_u16_e64 s[6:7], v12, v13
	s_or_b64 s[4:5], s[30:31], s[4:5]
	s_and_saveexec_b64 s[30:31], s[6:7]
	s_cbranch_execz .LBB1386_46
; %bb.48:                               ;   in Loop: Header=BB1386_47 Depth=2
	s_add_u32 s24, s24, -1
	s_addc_u32 s25, s25, -1
	s_cmp_eq_u64 s[24:25], 0
	s_cselect_b64 s[6:7], -1, 0
	s_andn2_b64 s[22:23], s[22:23], exec
	s_and_b64 s[6:7], s[6:7], exec
	v_lshl_add_u64 v[10:11], v[10:11], 0, 2
	v_lshl_add_u64 v[8:9], v[8:9], 0, 2
	s_andn2_b64 s[4:5], s[4:5], exec
	s_or_b64 s[22:23], s[22:23], s[6:7]
                                        ; implicit-def: $sgpr26_sgpr27
	s_branch .LBB1386_46
.LBB1386_49:                            ;   in Loop: Header=BB1386_34 Depth=1
	s_mov_b64 s[16:17], 0
	s_branch .LBB1386_33
.LBB1386_50:
	s_or_b64 exec, exec, s[14:15]
.LBB1386_51:
	v_add_u32_e32 v4, v15, v14
	s_mov_b64 s[18:19], -1
.LBB1386_52:
	s_and_b64 exec, exec, s[18:19]
	s_cbranch_execz .LBB1386_54
; %bb.53:
	v_mov_b32_e32 v0, s10
	v_mov_b32_e32 v1, s11
	;; [unrolled: 1-line block ×3, first 2 shown]
	v_lshl_add_u64 v[0:1], v[4:5], 3, v[0:1]
	s_waitcnt vmcnt(0)
	global_store_dwordx2 v[0:1], v[2:3], off
.LBB1386_54:
	s_endpgm
	.section	.rodata,"a",@progbits
	.p2align	6, 0x0
	.amdhsa_kernel _ZN7rocprim17ROCPRIM_400000_NS6detail17trampoline_kernelINS0_14default_configENS1_38merge_sort_block_merge_config_selectorIlNS0_10empty_typeEEEZZNS1_27merge_sort_block_merge_implIS3_PlPS5_mZN2at6native12_GLOBAL__N_124unique_dim_cuda_templateItEESt5tupleIJNSA_6TensorESF_SF_EERKSF_lbbbEUlllE_EE10hipError_tT0_T1_T2_jT3_P12ihipStream_tbPNSt15iterator_traitsISL_E10value_typeEPNSR_ISM_E10value_typeEPSN_NS1_7vsmem_tEENKUlT_SL_SM_SN_E_clIS8_S8_S9_S9_EESK_S10_SL_SM_SN_EUlS10_E1_NS1_11comp_targetILNS1_3genE0ELNS1_11target_archE4294967295ELNS1_3gpuE0ELNS1_3repE0EEENS1_36merge_oddeven_config_static_selectorELNS0_4arch9wavefront6targetE1EEEvSM_
		.amdhsa_group_segment_fixed_size 0
		.amdhsa_private_segment_fixed_size 0
		.amdhsa_kernarg_size 64
		.amdhsa_user_sgpr_count 2
		.amdhsa_user_sgpr_dispatch_ptr 0
		.amdhsa_user_sgpr_queue_ptr 0
		.amdhsa_user_sgpr_kernarg_segment_ptr 1
		.amdhsa_user_sgpr_dispatch_id 0
		.amdhsa_user_sgpr_kernarg_preload_length 0
		.amdhsa_user_sgpr_kernarg_preload_offset 0
		.amdhsa_user_sgpr_private_segment_size 0
		.amdhsa_uses_dynamic_stack 0
		.amdhsa_enable_private_segment 0
		.amdhsa_system_sgpr_workgroup_id_x 1
		.amdhsa_system_sgpr_workgroup_id_y 0
		.amdhsa_system_sgpr_workgroup_id_z 0
		.amdhsa_system_sgpr_workgroup_info 0
		.amdhsa_system_vgpr_workitem_id 0
		.amdhsa_next_free_vgpr 19
		.amdhsa_next_free_sgpr 46
		.amdhsa_accum_offset 20
		.amdhsa_reserve_vcc 1
		.amdhsa_float_round_mode_32 0
		.amdhsa_float_round_mode_16_64 0
		.amdhsa_float_denorm_mode_32 3
		.amdhsa_float_denorm_mode_16_64 3
		.amdhsa_dx10_clamp 1
		.amdhsa_ieee_mode 1
		.amdhsa_fp16_overflow 0
		.amdhsa_tg_split 0
		.amdhsa_exception_fp_ieee_invalid_op 0
		.amdhsa_exception_fp_denorm_src 0
		.amdhsa_exception_fp_ieee_div_zero 0
		.amdhsa_exception_fp_ieee_overflow 0
		.amdhsa_exception_fp_ieee_underflow 0
		.amdhsa_exception_fp_ieee_inexact 0
		.amdhsa_exception_int_div_zero 0
	.end_amdhsa_kernel
	.section	.text._ZN7rocprim17ROCPRIM_400000_NS6detail17trampoline_kernelINS0_14default_configENS1_38merge_sort_block_merge_config_selectorIlNS0_10empty_typeEEEZZNS1_27merge_sort_block_merge_implIS3_PlPS5_mZN2at6native12_GLOBAL__N_124unique_dim_cuda_templateItEESt5tupleIJNSA_6TensorESF_SF_EERKSF_lbbbEUlllE_EE10hipError_tT0_T1_T2_jT3_P12ihipStream_tbPNSt15iterator_traitsISL_E10value_typeEPNSR_ISM_E10value_typeEPSN_NS1_7vsmem_tEENKUlT_SL_SM_SN_E_clIS8_S8_S9_S9_EESK_S10_SL_SM_SN_EUlS10_E1_NS1_11comp_targetILNS1_3genE0ELNS1_11target_archE4294967295ELNS1_3gpuE0ELNS1_3repE0EEENS1_36merge_oddeven_config_static_selectorELNS0_4arch9wavefront6targetE1EEEvSM_,"axG",@progbits,_ZN7rocprim17ROCPRIM_400000_NS6detail17trampoline_kernelINS0_14default_configENS1_38merge_sort_block_merge_config_selectorIlNS0_10empty_typeEEEZZNS1_27merge_sort_block_merge_implIS3_PlPS5_mZN2at6native12_GLOBAL__N_124unique_dim_cuda_templateItEESt5tupleIJNSA_6TensorESF_SF_EERKSF_lbbbEUlllE_EE10hipError_tT0_T1_T2_jT3_P12ihipStream_tbPNSt15iterator_traitsISL_E10value_typeEPNSR_ISM_E10value_typeEPSN_NS1_7vsmem_tEENKUlT_SL_SM_SN_E_clIS8_S8_S9_S9_EESK_S10_SL_SM_SN_EUlS10_E1_NS1_11comp_targetILNS1_3genE0ELNS1_11target_archE4294967295ELNS1_3gpuE0ELNS1_3repE0EEENS1_36merge_oddeven_config_static_selectorELNS0_4arch9wavefront6targetE1EEEvSM_,comdat
.Lfunc_end1386:
	.size	_ZN7rocprim17ROCPRIM_400000_NS6detail17trampoline_kernelINS0_14default_configENS1_38merge_sort_block_merge_config_selectorIlNS0_10empty_typeEEEZZNS1_27merge_sort_block_merge_implIS3_PlPS5_mZN2at6native12_GLOBAL__N_124unique_dim_cuda_templateItEESt5tupleIJNSA_6TensorESF_SF_EERKSF_lbbbEUlllE_EE10hipError_tT0_T1_T2_jT3_P12ihipStream_tbPNSt15iterator_traitsISL_E10value_typeEPNSR_ISM_E10value_typeEPSN_NS1_7vsmem_tEENKUlT_SL_SM_SN_E_clIS8_S8_S9_S9_EESK_S10_SL_SM_SN_EUlS10_E1_NS1_11comp_targetILNS1_3genE0ELNS1_11target_archE4294967295ELNS1_3gpuE0ELNS1_3repE0EEENS1_36merge_oddeven_config_static_selectorELNS0_4arch9wavefront6targetE1EEEvSM_, .Lfunc_end1386-_ZN7rocprim17ROCPRIM_400000_NS6detail17trampoline_kernelINS0_14default_configENS1_38merge_sort_block_merge_config_selectorIlNS0_10empty_typeEEEZZNS1_27merge_sort_block_merge_implIS3_PlPS5_mZN2at6native12_GLOBAL__N_124unique_dim_cuda_templateItEESt5tupleIJNSA_6TensorESF_SF_EERKSF_lbbbEUlllE_EE10hipError_tT0_T1_T2_jT3_P12ihipStream_tbPNSt15iterator_traitsISL_E10value_typeEPNSR_ISM_E10value_typeEPSN_NS1_7vsmem_tEENKUlT_SL_SM_SN_E_clIS8_S8_S9_S9_EESK_S10_SL_SM_SN_EUlS10_E1_NS1_11comp_targetILNS1_3genE0ELNS1_11target_archE4294967295ELNS1_3gpuE0ELNS1_3repE0EEENS1_36merge_oddeven_config_static_selectorELNS0_4arch9wavefront6targetE1EEEvSM_
                                        ; -- End function
	.set _ZN7rocprim17ROCPRIM_400000_NS6detail17trampoline_kernelINS0_14default_configENS1_38merge_sort_block_merge_config_selectorIlNS0_10empty_typeEEEZZNS1_27merge_sort_block_merge_implIS3_PlPS5_mZN2at6native12_GLOBAL__N_124unique_dim_cuda_templateItEESt5tupleIJNSA_6TensorESF_SF_EERKSF_lbbbEUlllE_EE10hipError_tT0_T1_T2_jT3_P12ihipStream_tbPNSt15iterator_traitsISL_E10value_typeEPNSR_ISM_E10value_typeEPSN_NS1_7vsmem_tEENKUlT_SL_SM_SN_E_clIS8_S8_S9_S9_EESK_S10_SL_SM_SN_EUlS10_E1_NS1_11comp_targetILNS1_3genE0ELNS1_11target_archE4294967295ELNS1_3gpuE0ELNS1_3repE0EEENS1_36merge_oddeven_config_static_selectorELNS0_4arch9wavefront6targetE1EEEvSM_.num_vgpr, 19
	.set _ZN7rocprim17ROCPRIM_400000_NS6detail17trampoline_kernelINS0_14default_configENS1_38merge_sort_block_merge_config_selectorIlNS0_10empty_typeEEEZZNS1_27merge_sort_block_merge_implIS3_PlPS5_mZN2at6native12_GLOBAL__N_124unique_dim_cuda_templateItEESt5tupleIJNSA_6TensorESF_SF_EERKSF_lbbbEUlllE_EE10hipError_tT0_T1_T2_jT3_P12ihipStream_tbPNSt15iterator_traitsISL_E10value_typeEPNSR_ISM_E10value_typeEPSN_NS1_7vsmem_tEENKUlT_SL_SM_SN_E_clIS8_S8_S9_S9_EESK_S10_SL_SM_SN_EUlS10_E1_NS1_11comp_targetILNS1_3genE0ELNS1_11target_archE4294967295ELNS1_3gpuE0ELNS1_3repE0EEENS1_36merge_oddeven_config_static_selectorELNS0_4arch9wavefront6targetE1EEEvSM_.num_agpr, 0
	.set _ZN7rocprim17ROCPRIM_400000_NS6detail17trampoline_kernelINS0_14default_configENS1_38merge_sort_block_merge_config_selectorIlNS0_10empty_typeEEEZZNS1_27merge_sort_block_merge_implIS3_PlPS5_mZN2at6native12_GLOBAL__N_124unique_dim_cuda_templateItEESt5tupleIJNSA_6TensorESF_SF_EERKSF_lbbbEUlllE_EE10hipError_tT0_T1_T2_jT3_P12ihipStream_tbPNSt15iterator_traitsISL_E10value_typeEPNSR_ISM_E10value_typeEPSN_NS1_7vsmem_tEENKUlT_SL_SM_SN_E_clIS8_S8_S9_S9_EESK_S10_SL_SM_SN_EUlS10_E1_NS1_11comp_targetILNS1_3genE0ELNS1_11target_archE4294967295ELNS1_3gpuE0ELNS1_3repE0EEENS1_36merge_oddeven_config_static_selectorELNS0_4arch9wavefront6targetE1EEEvSM_.numbered_sgpr, 46
	.set _ZN7rocprim17ROCPRIM_400000_NS6detail17trampoline_kernelINS0_14default_configENS1_38merge_sort_block_merge_config_selectorIlNS0_10empty_typeEEEZZNS1_27merge_sort_block_merge_implIS3_PlPS5_mZN2at6native12_GLOBAL__N_124unique_dim_cuda_templateItEESt5tupleIJNSA_6TensorESF_SF_EERKSF_lbbbEUlllE_EE10hipError_tT0_T1_T2_jT3_P12ihipStream_tbPNSt15iterator_traitsISL_E10value_typeEPNSR_ISM_E10value_typeEPSN_NS1_7vsmem_tEENKUlT_SL_SM_SN_E_clIS8_S8_S9_S9_EESK_S10_SL_SM_SN_EUlS10_E1_NS1_11comp_targetILNS1_3genE0ELNS1_11target_archE4294967295ELNS1_3gpuE0ELNS1_3repE0EEENS1_36merge_oddeven_config_static_selectorELNS0_4arch9wavefront6targetE1EEEvSM_.num_named_barrier, 0
	.set _ZN7rocprim17ROCPRIM_400000_NS6detail17trampoline_kernelINS0_14default_configENS1_38merge_sort_block_merge_config_selectorIlNS0_10empty_typeEEEZZNS1_27merge_sort_block_merge_implIS3_PlPS5_mZN2at6native12_GLOBAL__N_124unique_dim_cuda_templateItEESt5tupleIJNSA_6TensorESF_SF_EERKSF_lbbbEUlllE_EE10hipError_tT0_T1_T2_jT3_P12ihipStream_tbPNSt15iterator_traitsISL_E10value_typeEPNSR_ISM_E10value_typeEPSN_NS1_7vsmem_tEENKUlT_SL_SM_SN_E_clIS8_S8_S9_S9_EESK_S10_SL_SM_SN_EUlS10_E1_NS1_11comp_targetILNS1_3genE0ELNS1_11target_archE4294967295ELNS1_3gpuE0ELNS1_3repE0EEENS1_36merge_oddeven_config_static_selectorELNS0_4arch9wavefront6targetE1EEEvSM_.private_seg_size, 0
	.set _ZN7rocprim17ROCPRIM_400000_NS6detail17trampoline_kernelINS0_14default_configENS1_38merge_sort_block_merge_config_selectorIlNS0_10empty_typeEEEZZNS1_27merge_sort_block_merge_implIS3_PlPS5_mZN2at6native12_GLOBAL__N_124unique_dim_cuda_templateItEESt5tupleIJNSA_6TensorESF_SF_EERKSF_lbbbEUlllE_EE10hipError_tT0_T1_T2_jT3_P12ihipStream_tbPNSt15iterator_traitsISL_E10value_typeEPNSR_ISM_E10value_typeEPSN_NS1_7vsmem_tEENKUlT_SL_SM_SN_E_clIS8_S8_S9_S9_EESK_S10_SL_SM_SN_EUlS10_E1_NS1_11comp_targetILNS1_3genE0ELNS1_11target_archE4294967295ELNS1_3gpuE0ELNS1_3repE0EEENS1_36merge_oddeven_config_static_selectorELNS0_4arch9wavefront6targetE1EEEvSM_.uses_vcc, 1
	.set _ZN7rocprim17ROCPRIM_400000_NS6detail17trampoline_kernelINS0_14default_configENS1_38merge_sort_block_merge_config_selectorIlNS0_10empty_typeEEEZZNS1_27merge_sort_block_merge_implIS3_PlPS5_mZN2at6native12_GLOBAL__N_124unique_dim_cuda_templateItEESt5tupleIJNSA_6TensorESF_SF_EERKSF_lbbbEUlllE_EE10hipError_tT0_T1_T2_jT3_P12ihipStream_tbPNSt15iterator_traitsISL_E10value_typeEPNSR_ISM_E10value_typeEPSN_NS1_7vsmem_tEENKUlT_SL_SM_SN_E_clIS8_S8_S9_S9_EESK_S10_SL_SM_SN_EUlS10_E1_NS1_11comp_targetILNS1_3genE0ELNS1_11target_archE4294967295ELNS1_3gpuE0ELNS1_3repE0EEENS1_36merge_oddeven_config_static_selectorELNS0_4arch9wavefront6targetE1EEEvSM_.uses_flat_scratch, 0
	.set _ZN7rocprim17ROCPRIM_400000_NS6detail17trampoline_kernelINS0_14default_configENS1_38merge_sort_block_merge_config_selectorIlNS0_10empty_typeEEEZZNS1_27merge_sort_block_merge_implIS3_PlPS5_mZN2at6native12_GLOBAL__N_124unique_dim_cuda_templateItEESt5tupleIJNSA_6TensorESF_SF_EERKSF_lbbbEUlllE_EE10hipError_tT0_T1_T2_jT3_P12ihipStream_tbPNSt15iterator_traitsISL_E10value_typeEPNSR_ISM_E10value_typeEPSN_NS1_7vsmem_tEENKUlT_SL_SM_SN_E_clIS8_S8_S9_S9_EESK_S10_SL_SM_SN_EUlS10_E1_NS1_11comp_targetILNS1_3genE0ELNS1_11target_archE4294967295ELNS1_3gpuE0ELNS1_3repE0EEENS1_36merge_oddeven_config_static_selectorELNS0_4arch9wavefront6targetE1EEEvSM_.has_dyn_sized_stack, 0
	.set _ZN7rocprim17ROCPRIM_400000_NS6detail17trampoline_kernelINS0_14default_configENS1_38merge_sort_block_merge_config_selectorIlNS0_10empty_typeEEEZZNS1_27merge_sort_block_merge_implIS3_PlPS5_mZN2at6native12_GLOBAL__N_124unique_dim_cuda_templateItEESt5tupleIJNSA_6TensorESF_SF_EERKSF_lbbbEUlllE_EE10hipError_tT0_T1_T2_jT3_P12ihipStream_tbPNSt15iterator_traitsISL_E10value_typeEPNSR_ISM_E10value_typeEPSN_NS1_7vsmem_tEENKUlT_SL_SM_SN_E_clIS8_S8_S9_S9_EESK_S10_SL_SM_SN_EUlS10_E1_NS1_11comp_targetILNS1_3genE0ELNS1_11target_archE4294967295ELNS1_3gpuE0ELNS1_3repE0EEENS1_36merge_oddeven_config_static_selectorELNS0_4arch9wavefront6targetE1EEEvSM_.has_recursion, 0
	.set _ZN7rocprim17ROCPRIM_400000_NS6detail17trampoline_kernelINS0_14default_configENS1_38merge_sort_block_merge_config_selectorIlNS0_10empty_typeEEEZZNS1_27merge_sort_block_merge_implIS3_PlPS5_mZN2at6native12_GLOBAL__N_124unique_dim_cuda_templateItEESt5tupleIJNSA_6TensorESF_SF_EERKSF_lbbbEUlllE_EE10hipError_tT0_T1_T2_jT3_P12ihipStream_tbPNSt15iterator_traitsISL_E10value_typeEPNSR_ISM_E10value_typeEPSN_NS1_7vsmem_tEENKUlT_SL_SM_SN_E_clIS8_S8_S9_S9_EESK_S10_SL_SM_SN_EUlS10_E1_NS1_11comp_targetILNS1_3genE0ELNS1_11target_archE4294967295ELNS1_3gpuE0ELNS1_3repE0EEENS1_36merge_oddeven_config_static_selectorELNS0_4arch9wavefront6targetE1EEEvSM_.has_indirect_call, 0
	.section	.AMDGPU.csdata,"",@progbits
; Kernel info:
; codeLenInByte = 1716
; TotalNumSgprs: 52
; NumVgprs: 19
; NumAgprs: 0
; TotalNumVgprs: 19
; ScratchSize: 0
; MemoryBound: 0
; FloatMode: 240
; IeeeMode: 1
; LDSByteSize: 0 bytes/workgroup (compile time only)
; SGPRBlocks: 6
; VGPRBlocks: 2
; NumSGPRsForWavesPerEU: 52
; NumVGPRsForWavesPerEU: 19
; AccumOffset: 20
; Occupancy: 8
; WaveLimiterHint : 0
; COMPUTE_PGM_RSRC2:SCRATCH_EN: 0
; COMPUTE_PGM_RSRC2:USER_SGPR: 2
; COMPUTE_PGM_RSRC2:TRAP_HANDLER: 0
; COMPUTE_PGM_RSRC2:TGID_X_EN: 1
; COMPUTE_PGM_RSRC2:TGID_Y_EN: 0
; COMPUTE_PGM_RSRC2:TGID_Z_EN: 0
; COMPUTE_PGM_RSRC2:TIDIG_COMP_CNT: 0
; COMPUTE_PGM_RSRC3_GFX90A:ACCUM_OFFSET: 4
; COMPUTE_PGM_RSRC3_GFX90A:TG_SPLIT: 0
	.section	.text._ZN7rocprim17ROCPRIM_400000_NS6detail17trampoline_kernelINS0_14default_configENS1_38merge_sort_block_merge_config_selectorIlNS0_10empty_typeEEEZZNS1_27merge_sort_block_merge_implIS3_PlPS5_mZN2at6native12_GLOBAL__N_124unique_dim_cuda_templateItEESt5tupleIJNSA_6TensorESF_SF_EERKSF_lbbbEUlllE_EE10hipError_tT0_T1_T2_jT3_P12ihipStream_tbPNSt15iterator_traitsISL_E10value_typeEPNSR_ISM_E10value_typeEPSN_NS1_7vsmem_tEENKUlT_SL_SM_SN_E_clIS8_S8_S9_S9_EESK_S10_SL_SM_SN_EUlS10_E1_NS1_11comp_targetILNS1_3genE10ELNS1_11target_archE1201ELNS1_3gpuE5ELNS1_3repE0EEENS1_36merge_oddeven_config_static_selectorELNS0_4arch9wavefront6targetE1EEEvSM_,"axG",@progbits,_ZN7rocprim17ROCPRIM_400000_NS6detail17trampoline_kernelINS0_14default_configENS1_38merge_sort_block_merge_config_selectorIlNS0_10empty_typeEEEZZNS1_27merge_sort_block_merge_implIS3_PlPS5_mZN2at6native12_GLOBAL__N_124unique_dim_cuda_templateItEESt5tupleIJNSA_6TensorESF_SF_EERKSF_lbbbEUlllE_EE10hipError_tT0_T1_T2_jT3_P12ihipStream_tbPNSt15iterator_traitsISL_E10value_typeEPNSR_ISM_E10value_typeEPSN_NS1_7vsmem_tEENKUlT_SL_SM_SN_E_clIS8_S8_S9_S9_EESK_S10_SL_SM_SN_EUlS10_E1_NS1_11comp_targetILNS1_3genE10ELNS1_11target_archE1201ELNS1_3gpuE5ELNS1_3repE0EEENS1_36merge_oddeven_config_static_selectorELNS0_4arch9wavefront6targetE1EEEvSM_,comdat
	.globl	_ZN7rocprim17ROCPRIM_400000_NS6detail17trampoline_kernelINS0_14default_configENS1_38merge_sort_block_merge_config_selectorIlNS0_10empty_typeEEEZZNS1_27merge_sort_block_merge_implIS3_PlPS5_mZN2at6native12_GLOBAL__N_124unique_dim_cuda_templateItEESt5tupleIJNSA_6TensorESF_SF_EERKSF_lbbbEUlllE_EE10hipError_tT0_T1_T2_jT3_P12ihipStream_tbPNSt15iterator_traitsISL_E10value_typeEPNSR_ISM_E10value_typeEPSN_NS1_7vsmem_tEENKUlT_SL_SM_SN_E_clIS8_S8_S9_S9_EESK_S10_SL_SM_SN_EUlS10_E1_NS1_11comp_targetILNS1_3genE10ELNS1_11target_archE1201ELNS1_3gpuE5ELNS1_3repE0EEENS1_36merge_oddeven_config_static_selectorELNS0_4arch9wavefront6targetE1EEEvSM_ ; -- Begin function _ZN7rocprim17ROCPRIM_400000_NS6detail17trampoline_kernelINS0_14default_configENS1_38merge_sort_block_merge_config_selectorIlNS0_10empty_typeEEEZZNS1_27merge_sort_block_merge_implIS3_PlPS5_mZN2at6native12_GLOBAL__N_124unique_dim_cuda_templateItEESt5tupleIJNSA_6TensorESF_SF_EERKSF_lbbbEUlllE_EE10hipError_tT0_T1_T2_jT3_P12ihipStream_tbPNSt15iterator_traitsISL_E10value_typeEPNSR_ISM_E10value_typeEPSN_NS1_7vsmem_tEENKUlT_SL_SM_SN_E_clIS8_S8_S9_S9_EESK_S10_SL_SM_SN_EUlS10_E1_NS1_11comp_targetILNS1_3genE10ELNS1_11target_archE1201ELNS1_3gpuE5ELNS1_3repE0EEENS1_36merge_oddeven_config_static_selectorELNS0_4arch9wavefront6targetE1EEEvSM_
	.p2align	8
	.type	_ZN7rocprim17ROCPRIM_400000_NS6detail17trampoline_kernelINS0_14default_configENS1_38merge_sort_block_merge_config_selectorIlNS0_10empty_typeEEEZZNS1_27merge_sort_block_merge_implIS3_PlPS5_mZN2at6native12_GLOBAL__N_124unique_dim_cuda_templateItEESt5tupleIJNSA_6TensorESF_SF_EERKSF_lbbbEUlllE_EE10hipError_tT0_T1_T2_jT3_P12ihipStream_tbPNSt15iterator_traitsISL_E10value_typeEPNSR_ISM_E10value_typeEPSN_NS1_7vsmem_tEENKUlT_SL_SM_SN_E_clIS8_S8_S9_S9_EESK_S10_SL_SM_SN_EUlS10_E1_NS1_11comp_targetILNS1_3genE10ELNS1_11target_archE1201ELNS1_3gpuE5ELNS1_3repE0EEENS1_36merge_oddeven_config_static_selectorELNS0_4arch9wavefront6targetE1EEEvSM_,@function
_ZN7rocprim17ROCPRIM_400000_NS6detail17trampoline_kernelINS0_14default_configENS1_38merge_sort_block_merge_config_selectorIlNS0_10empty_typeEEEZZNS1_27merge_sort_block_merge_implIS3_PlPS5_mZN2at6native12_GLOBAL__N_124unique_dim_cuda_templateItEESt5tupleIJNSA_6TensorESF_SF_EERKSF_lbbbEUlllE_EE10hipError_tT0_T1_T2_jT3_P12ihipStream_tbPNSt15iterator_traitsISL_E10value_typeEPNSR_ISM_E10value_typeEPSN_NS1_7vsmem_tEENKUlT_SL_SM_SN_E_clIS8_S8_S9_S9_EESK_S10_SL_SM_SN_EUlS10_E1_NS1_11comp_targetILNS1_3genE10ELNS1_11target_archE1201ELNS1_3gpuE5ELNS1_3repE0EEENS1_36merge_oddeven_config_static_selectorELNS0_4arch9wavefront6targetE1EEEvSM_: ; @_ZN7rocprim17ROCPRIM_400000_NS6detail17trampoline_kernelINS0_14default_configENS1_38merge_sort_block_merge_config_selectorIlNS0_10empty_typeEEEZZNS1_27merge_sort_block_merge_implIS3_PlPS5_mZN2at6native12_GLOBAL__N_124unique_dim_cuda_templateItEESt5tupleIJNSA_6TensorESF_SF_EERKSF_lbbbEUlllE_EE10hipError_tT0_T1_T2_jT3_P12ihipStream_tbPNSt15iterator_traitsISL_E10value_typeEPNSR_ISM_E10value_typeEPSN_NS1_7vsmem_tEENKUlT_SL_SM_SN_E_clIS8_S8_S9_S9_EESK_S10_SL_SM_SN_EUlS10_E1_NS1_11comp_targetILNS1_3genE10ELNS1_11target_archE1201ELNS1_3gpuE5ELNS1_3repE0EEENS1_36merge_oddeven_config_static_selectorELNS0_4arch9wavefront6targetE1EEEvSM_
; %bb.0:
	.section	.rodata,"a",@progbits
	.p2align	6, 0x0
	.amdhsa_kernel _ZN7rocprim17ROCPRIM_400000_NS6detail17trampoline_kernelINS0_14default_configENS1_38merge_sort_block_merge_config_selectorIlNS0_10empty_typeEEEZZNS1_27merge_sort_block_merge_implIS3_PlPS5_mZN2at6native12_GLOBAL__N_124unique_dim_cuda_templateItEESt5tupleIJNSA_6TensorESF_SF_EERKSF_lbbbEUlllE_EE10hipError_tT0_T1_T2_jT3_P12ihipStream_tbPNSt15iterator_traitsISL_E10value_typeEPNSR_ISM_E10value_typeEPSN_NS1_7vsmem_tEENKUlT_SL_SM_SN_E_clIS8_S8_S9_S9_EESK_S10_SL_SM_SN_EUlS10_E1_NS1_11comp_targetILNS1_3genE10ELNS1_11target_archE1201ELNS1_3gpuE5ELNS1_3repE0EEENS1_36merge_oddeven_config_static_selectorELNS0_4arch9wavefront6targetE1EEEvSM_
		.amdhsa_group_segment_fixed_size 0
		.amdhsa_private_segment_fixed_size 0
		.amdhsa_kernarg_size 64
		.amdhsa_user_sgpr_count 2
		.amdhsa_user_sgpr_dispatch_ptr 0
		.amdhsa_user_sgpr_queue_ptr 0
		.amdhsa_user_sgpr_kernarg_segment_ptr 1
		.amdhsa_user_sgpr_dispatch_id 0
		.amdhsa_user_sgpr_kernarg_preload_length 0
		.amdhsa_user_sgpr_kernarg_preload_offset 0
		.amdhsa_user_sgpr_private_segment_size 0
		.amdhsa_uses_dynamic_stack 0
		.amdhsa_enable_private_segment 0
		.amdhsa_system_sgpr_workgroup_id_x 1
		.amdhsa_system_sgpr_workgroup_id_y 0
		.amdhsa_system_sgpr_workgroup_id_z 0
		.amdhsa_system_sgpr_workgroup_info 0
		.amdhsa_system_vgpr_workitem_id 0
		.amdhsa_next_free_vgpr 1
		.amdhsa_next_free_sgpr 0
		.amdhsa_accum_offset 4
		.amdhsa_reserve_vcc 0
		.amdhsa_float_round_mode_32 0
		.amdhsa_float_round_mode_16_64 0
		.amdhsa_float_denorm_mode_32 3
		.amdhsa_float_denorm_mode_16_64 3
		.amdhsa_dx10_clamp 1
		.amdhsa_ieee_mode 1
		.amdhsa_fp16_overflow 0
		.amdhsa_tg_split 0
		.amdhsa_exception_fp_ieee_invalid_op 0
		.amdhsa_exception_fp_denorm_src 0
		.amdhsa_exception_fp_ieee_div_zero 0
		.amdhsa_exception_fp_ieee_overflow 0
		.amdhsa_exception_fp_ieee_underflow 0
		.amdhsa_exception_fp_ieee_inexact 0
		.amdhsa_exception_int_div_zero 0
	.end_amdhsa_kernel
	.section	.text._ZN7rocprim17ROCPRIM_400000_NS6detail17trampoline_kernelINS0_14default_configENS1_38merge_sort_block_merge_config_selectorIlNS0_10empty_typeEEEZZNS1_27merge_sort_block_merge_implIS3_PlPS5_mZN2at6native12_GLOBAL__N_124unique_dim_cuda_templateItEESt5tupleIJNSA_6TensorESF_SF_EERKSF_lbbbEUlllE_EE10hipError_tT0_T1_T2_jT3_P12ihipStream_tbPNSt15iterator_traitsISL_E10value_typeEPNSR_ISM_E10value_typeEPSN_NS1_7vsmem_tEENKUlT_SL_SM_SN_E_clIS8_S8_S9_S9_EESK_S10_SL_SM_SN_EUlS10_E1_NS1_11comp_targetILNS1_3genE10ELNS1_11target_archE1201ELNS1_3gpuE5ELNS1_3repE0EEENS1_36merge_oddeven_config_static_selectorELNS0_4arch9wavefront6targetE1EEEvSM_,"axG",@progbits,_ZN7rocprim17ROCPRIM_400000_NS6detail17trampoline_kernelINS0_14default_configENS1_38merge_sort_block_merge_config_selectorIlNS0_10empty_typeEEEZZNS1_27merge_sort_block_merge_implIS3_PlPS5_mZN2at6native12_GLOBAL__N_124unique_dim_cuda_templateItEESt5tupleIJNSA_6TensorESF_SF_EERKSF_lbbbEUlllE_EE10hipError_tT0_T1_T2_jT3_P12ihipStream_tbPNSt15iterator_traitsISL_E10value_typeEPNSR_ISM_E10value_typeEPSN_NS1_7vsmem_tEENKUlT_SL_SM_SN_E_clIS8_S8_S9_S9_EESK_S10_SL_SM_SN_EUlS10_E1_NS1_11comp_targetILNS1_3genE10ELNS1_11target_archE1201ELNS1_3gpuE5ELNS1_3repE0EEENS1_36merge_oddeven_config_static_selectorELNS0_4arch9wavefront6targetE1EEEvSM_,comdat
.Lfunc_end1387:
	.size	_ZN7rocprim17ROCPRIM_400000_NS6detail17trampoline_kernelINS0_14default_configENS1_38merge_sort_block_merge_config_selectorIlNS0_10empty_typeEEEZZNS1_27merge_sort_block_merge_implIS3_PlPS5_mZN2at6native12_GLOBAL__N_124unique_dim_cuda_templateItEESt5tupleIJNSA_6TensorESF_SF_EERKSF_lbbbEUlllE_EE10hipError_tT0_T1_T2_jT3_P12ihipStream_tbPNSt15iterator_traitsISL_E10value_typeEPNSR_ISM_E10value_typeEPSN_NS1_7vsmem_tEENKUlT_SL_SM_SN_E_clIS8_S8_S9_S9_EESK_S10_SL_SM_SN_EUlS10_E1_NS1_11comp_targetILNS1_3genE10ELNS1_11target_archE1201ELNS1_3gpuE5ELNS1_3repE0EEENS1_36merge_oddeven_config_static_selectorELNS0_4arch9wavefront6targetE1EEEvSM_, .Lfunc_end1387-_ZN7rocprim17ROCPRIM_400000_NS6detail17trampoline_kernelINS0_14default_configENS1_38merge_sort_block_merge_config_selectorIlNS0_10empty_typeEEEZZNS1_27merge_sort_block_merge_implIS3_PlPS5_mZN2at6native12_GLOBAL__N_124unique_dim_cuda_templateItEESt5tupleIJNSA_6TensorESF_SF_EERKSF_lbbbEUlllE_EE10hipError_tT0_T1_T2_jT3_P12ihipStream_tbPNSt15iterator_traitsISL_E10value_typeEPNSR_ISM_E10value_typeEPSN_NS1_7vsmem_tEENKUlT_SL_SM_SN_E_clIS8_S8_S9_S9_EESK_S10_SL_SM_SN_EUlS10_E1_NS1_11comp_targetILNS1_3genE10ELNS1_11target_archE1201ELNS1_3gpuE5ELNS1_3repE0EEENS1_36merge_oddeven_config_static_selectorELNS0_4arch9wavefront6targetE1EEEvSM_
                                        ; -- End function
	.set _ZN7rocprim17ROCPRIM_400000_NS6detail17trampoline_kernelINS0_14default_configENS1_38merge_sort_block_merge_config_selectorIlNS0_10empty_typeEEEZZNS1_27merge_sort_block_merge_implIS3_PlPS5_mZN2at6native12_GLOBAL__N_124unique_dim_cuda_templateItEESt5tupleIJNSA_6TensorESF_SF_EERKSF_lbbbEUlllE_EE10hipError_tT0_T1_T2_jT3_P12ihipStream_tbPNSt15iterator_traitsISL_E10value_typeEPNSR_ISM_E10value_typeEPSN_NS1_7vsmem_tEENKUlT_SL_SM_SN_E_clIS8_S8_S9_S9_EESK_S10_SL_SM_SN_EUlS10_E1_NS1_11comp_targetILNS1_3genE10ELNS1_11target_archE1201ELNS1_3gpuE5ELNS1_3repE0EEENS1_36merge_oddeven_config_static_selectorELNS0_4arch9wavefront6targetE1EEEvSM_.num_vgpr, 0
	.set _ZN7rocprim17ROCPRIM_400000_NS6detail17trampoline_kernelINS0_14default_configENS1_38merge_sort_block_merge_config_selectorIlNS0_10empty_typeEEEZZNS1_27merge_sort_block_merge_implIS3_PlPS5_mZN2at6native12_GLOBAL__N_124unique_dim_cuda_templateItEESt5tupleIJNSA_6TensorESF_SF_EERKSF_lbbbEUlllE_EE10hipError_tT0_T1_T2_jT3_P12ihipStream_tbPNSt15iterator_traitsISL_E10value_typeEPNSR_ISM_E10value_typeEPSN_NS1_7vsmem_tEENKUlT_SL_SM_SN_E_clIS8_S8_S9_S9_EESK_S10_SL_SM_SN_EUlS10_E1_NS1_11comp_targetILNS1_3genE10ELNS1_11target_archE1201ELNS1_3gpuE5ELNS1_3repE0EEENS1_36merge_oddeven_config_static_selectorELNS0_4arch9wavefront6targetE1EEEvSM_.num_agpr, 0
	.set _ZN7rocprim17ROCPRIM_400000_NS6detail17trampoline_kernelINS0_14default_configENS1_38merge_sort_block_merge_config_selectorIlNS0_10empty_typeEEEZZNS1_27merge_sort_block_merge_implIS3_PlPS5_mZN2at6native12_GLOBAL__N_124unique_dim_cuda_templateItEESt5tupleIJNSA_6TensorESF_SF_EERKSF_lbbbEUlllE_EE10hipError_tT0_T1_T2_jT3_P12ihipStream_tbPNSt15iterator_traitsISL_E10value_typeEPNSR_ISM_E10value_typeEPSN_NS1_7vsmem_tEENKUlT_SL_SM_SN_E_clIS8_S8_S9_S9_EESK_S10_SL_SM_SN_EUlS10_E1_NS1_11comp_targetILNS1_3genE10ELNS1_11target_archE1201ELNS1_3gpuE5ELNS1_3repE0EEENS1_36merge_oddeven_config_static_selectorELNS0_4arch9wavefront6targetE1EEEvSM_.numbered_sgpr, 0
	.set _ZN7rocprim17ROCPRIM_400000_NS6detail17trampoline_kernelINS0_14default_configENS1_38merge_sort_block_merge_config_selectorIlNS0_10empty_typeEEEZZNS1_27merge_sort_block_merge_implIS3_PlPS5_mZN2at6native12_GLOBAL__N_124unique_dim_cuda_templateItEESt5tupleIJNSA_6TensorESF_SF_EERKSF_lbbbEUlllE_EE10hipError_tT0_T1_T2_jT3_P12ihipStream_tbPNSt15iterator_traitsISL_E10value_typeEPNSR_ISM_E10value_typeEPSN_NS1_7vsmem_tEENKUlT_SL_SM_SN_E_clIS8_S8_S9_S9_EESK_S10_SL_SM_SN_EUlS10_E1_NS1_11comp_targetILNS1_3genE10ELNS1_11target_archE1201ELNS1_3gpuE5ELNS1_3repE0EEENS1_36merge_oddeven_config_static_selectorELNS0_4arch9wavefront6targetE1EEEvSM_.num_named_barrier, 0
	.set _ZN7rocprim17ROCPRIM_400000_NS6detail17trampoline_kernelINS0_14default_configENS1_38merge_sort_block_merge_config_selectorIlNS0_10empty_typeEEEZZNS1_27merge_sort_block_merge_implIS3_PlPS5_mZN2at6native12_GLOBAL__N_124unique_dim_cuda_templateItEESt5tupleIJNSA_6TensorESF_SF_EERKSF_lbbbEUlllE_EE10hipError_tT0_T1_T2_jT3_P12ihipStream_tbPNSt15iterator_traitsISL_E10value_typeEPNSR_ISM_E10value_typeEPSN_NS1_7vsmem_tEENKUlT_SL_SM_SN_E_clIS8_S8_S9_S9_EESK_S10_SL_SM_SN_EUlS10_E1_NS1_11comp_targetILNS1_3genE10ELNS1_11target_archE1201ELNS1_3gpuE5ELNS1_3repE0EEENS1_36merge_oddeven_config_static_selectorELNS0_4arch9wavefront6targetE1EEEvSM_.private_seg_size, 0
	.set _ZN7rocprim17ROCPRIM_400000_NS6detail17trampoline_kernelINS0_14default_configENS1_38merge_sort_block_merge_config_selectorIlNS0_10empty_typeEEEZZNS1_27merge_sort_block_merge_implIS3_PlPS5_mZN2at6native12_GLOBAL__N_124unique_dim_cuda_templateItEESt5tupleIJNSA_6TensorESF_SF_EERKSF_lbbbEUlllE_EE10hipError_tT0_T1_T2_jT3_P12ihipStream_tbPNSt15iterator_traitsISL_E10value_typeEPNSR_ISM_E10value_typeEPSN_NS1_7vsmem_tEENKUlT_SL_SM_SN_E_clIS8_S8_S9_S9_EESK_S10_SL_SM_SN_EUlS10_E1_NS1_11comp_targetILNS1_3genE10ELNS1_11target_archE1201ELNS1_3gpuE5ELNS1_3repE0EEENS1_36merge_oddeven_config_static_selectorELNS0_4arch9wavefront6targetE1EEEvSM_.uses_vcc, 0
	.set _ZN7rocprim17ROCPRIM_400000_NS6detail17trampoline_kernelINS0_14default_configENS1_38merge_sort_block_merge_config_selectorIlNS0_10empty_typeEEEZZNS1_27merge_sort_block_merge_implIS3_PlPS5_mZN2at6native12_GLOBAL__N_124unique_dim_cuda_templateItEESt5tupleIJNSA_6TensorESF_SF_EERKSF_lbbbEUlllE_EE10hipError_tT0_T1_T2_jT3_P12ihipStream_tbPNSt15iterator_traitsISL_E10value_typeEPNSR_ISM_E10value_typeEPSN_NS1_7vsmem_tEENKUlT_SL_SM_SN_E_clIS8_S8_S9_S9_EESK_S10_SL_SM_SN_EUlS10_E1_NS1_11comp_targetILNS1_3genE10ELNS1_11target_archE1201ELNS1_3gpuE5ELNS1_3repE0EEENS1_36merge_oddeven_config_static_selectorELNS0_4arch9wavefront6targetE1EEEvSM_.uses_flat_scratch, 0
	.set _ZN7rocprim17ROCPRIM_400000_NS6detail17trampoline_kernelINS0_14default_configENS1_38merge_sort_block_merge_config_selectorIlNS0_10empty_typeEEEZZNS1_27merge_sort_block_merge_implIS3_PlPS5_mZN2at6native12_GLOBAL__N_124unique_dim_cuda_templateItEESt5tupleIJNSA_6TensorESF_SF_EERKSF_lbbbEUlllE_EE10hipError_tT0_T1_T2_jT3_P12ihipStream_tbPNSt15iterator_traitsISL_E10value_typeEPNSR_ISM_E10value_typeEPSN_NS1_7vsmem_tEENKUlT_SL_SM_SN_E_clIS8_S8_S9_S9_EESK_S10_SL_SM_SN_EUlS10_E1_NS1_11comp_targetILNS1_3genE10ELNS1_11target_archE1201ELNS1_3gpuE5ELNS1_3repE0EEENS1_36merge_oddeven_config_static_selectorELNS0_4arch9wavefront6targetE1EEEvSM_.has_dyn_sized_stack, 0
	.set _ZN7rocprim17ROCPRIM_400000_NS6detail17trampoline_kernelINS0_14default_configENS1_38merge_sort_block_merge_config_selectorIlNS0_10empty_typeEEEZZNS1_27merge_sort_block_merge_implIS3_PlPS5_mZN2at6native12_GLOBAL__N_124unique_dim_cuda_templateItEESt5tupleIJNSA_6TensorESF_SF_EERKSF_lbbbEUlllE_EE10hipError_tT0_T1_T2_jT3_P12ihipStream_tbPNSt15iterator_traitsISL_E10value_typeEPNSR_ISM_E10value_typeEPSN_NS1_7vsmem_tEENKUlT_SL_SM_SN_E_clIS8_S8_S9_S9_EESK_S10_SL_SM_SN_EUlS10_E1_NS1_11comp_targetILNS1_3genE10ELNS1_11target_archE1201ELNS1_3gpuE5ELNS1_3repE0EEENS1_36merge_oddeven_config_static_selectorELNS0_4arch9wavefront6targetE1EEEvSM_.has_recursion, 0
	.set _ZN7rocprim17ROCPRIM_400000_NS6detail17trampoline_kernelINS0_14default_configENS1_38merge_sort_block_merge_config_selectorIlNS0_10empty_typeEEEZZNS1_27merge_sort_block_merge_implIS3_PlPS5_mZN2at6native12_GLOBAL__N_124unique_dim_cuda_templateItEESt5tupleIJNSA_6TensorESF_SF_EERKSF_lbbbEUlllE_EE10hipError_tT0_T1_T2_jT3_P12ihipStream_tbPNSt15iterator_traitsISL_E10value_typeEPNSR_ISM_E10value_typeEPSN_NS1_7vsmem_tEENKUlT_SL_SM_SN_E_clIS8_S8_S9_S9_EESK_S10_SL_SM_SN_EUlS10_E1_NS1_11comp_targetILNS1_3genE10ELNS1_11target_archE1201ELNS1_3gpuE5ELNS1_3repE0EEENS1_36merge_oddeven_config_static_selectorELNS0_4arch9wavefront6targetE1EEEvSM_.has_indirect_call, 0
	.section	.AMDGPU.csdata,"",@progbits
; Kernel info:
; codeLenInByte = 0
; TotalNumSgprs: 6
; NumVgprs: 0
; NumAgprs: 0
; TotalNumVgprs: 0
; ScratchSize: 0
; MemoryBound: 0
; FloatMode: 240
; IeeeMode: 1
; LDSByteSize: 0 bytes/workgroup (compile time only)
; SGPRBlocks: 0
; VGPRBlocks: 0
; NumSGPRsForWavesPerEU: 6
; NumVGPRsForWavesPerEU: 1
; AccumOffset: 4
; Occupancy: 8
; WaveLimiterHint : 0
; COMPUTE_PGM_RSRC2:SCRATCH_EN: 0
; COMPUTE_PGM_RSRC2:USER_SGPR: 2
; COMPUTE_PGM_RSRC2:TRAP_HANDLER: 0
; COMPUTE_PGM_RSRC2:TGID_X_EN: 1
; COMPUTE_PGM_RSRC2:TGID_Y_EN: 0
; COMPUTE_PGM_RSRC2:TGID_Z_EN: 0
; COMPUTE_PGM_RSRC2:TIDIG_COMP_CNT: 0
; COMPUTE_PGM_RSRC3_GFX90A:ACCUM_OFFSET: 0
; COMPUTE_PGM_RSRC3_GFX90A:TG_SPLIT: 0
	.section	.text._ZN7rocprim17ROCPRIM_400000_NS6detail17trampoline_kernelINS0_14default_configENS1_38merge_sort_block_merge_config_selectorIlNS0_10empty_typeEEEZZNS1_27merge_sort_block_merge_implIS3_PlPS5_mZN2at6native12_GLOBAL__N_124unique_dim_cuda_templateItEESt5tupleIJNSA_6TensorESF_SF_EERKSF_lbbbEUlllE_EE10hipError_tT0_T1_T2_jT3_P12ihipStream_tbPNSt15iterator_traitsISL_E10value_typeEPNSR_ISM_E10value_typeEPSN_NS1_7vsmem_tEENKUlT_SL_SM_SN_E_clIS8_S8_S9_S9_EESK_S10_SL_SM_SN_EUlS10_E1_NS1_11comp_targetILNS1_3genE5ELNS1_11target_archE942ELNS1_3gpuE9ELNS1_3repE0EEENS1_36merge_oddeven_config_static_selectorELNS0_4arch9wavefront6targetE1EEEvSM_,"axG",@progbits,_ZN7rocprim17ROCPRIM_400000_NS6detail17trampoline_kernelINS0_14default_configENS1_38merge_sort_block_merge_config_selectorIlNS0_10empty_typeEEEZZNS1_27merge_sort_block_merge_implIS3_PlPS5_mZN2at6native12_GLOBAL__N_124unique_dim_cuda_templateItEESt5tupleIJNSA_6TensorESF_SF_EERKSF_lbbbEUlllE_EE10hipError_tT0_T1_T2_jT3_P12ihipStream_tbPNSt15iterator_traitsISL_E10value_typeEPNSR_ISM_E10value_typeEPSN_NS1_7vsmem_tEENKUlT_SL_SM_SN_E_clIS8_S8_S9_S9_EESK_S10_SL_SM_SN_EUlS10_E1_NS1_11comp_targetILNS1_3genE5ELNS1_11target_archE942ELNS1_3gpuE9ELNS1_3repE0EEENS1_36merge_oddeven_config_static_selectorELNS0_4arch9wavefront6targetE1EEEvSM_,comdat
	.globl	_ZN7rocprim17ROCPRIM_400000_NS6detail17trampoline_kernelINS0_14default_configENS1_38merge_sort_block_merge_config_selectorIlNS0_10empty_typeEEEZZNS1_27merge_sort_block_merge_implIS3_PlPS5_mZN2at6native12_GLOBAL__N_124unique_dim_cuda_templateItEESt5tupleIJNSA_6TensorESF_SF_EERKSF_lbbbEUlllE_EE10hipError_tT0_T1_T2_jT3_P12ihipStream_tbPNSt15iterator_traitsISL_E10value_typeEPNSR_ISM_E10value_typeEPSN_NS1_7vsmem_tEENKUlT_SL_SM_SN_E_clIS8_S8_S9_S9_EESK_S10_SL_SM_SN_EUlS10_E1_NS1_11comp_targetILNS1_3genE5ELNS1_11target_archE942ELNS1_3gpuE9ELNS1_3repE0EEENS1_36merge_oddeven_config_static_selectorELNS0_4arch9wavefront6targetE1EEEvSM_ ; -- Begin function _ZN7rocprim17ROCPRIM_400000_NS6detail17trampoline_kernelINS0_14default_configENS1_38merge_sort_block_merge_config_selectorIlNS0_10empty_typeEEEZZNS1_27merge_sort_block_merge_implIS3_PlPS5_mZN2at6native12_GLOBAL__N_124unique_dim_cuda_templateItEESt5tupleIJNSA_6TensorESF_SF_EERKSF_lbbbEUlllE_EE10hipError_tT0_T1_T2_jT3_P12ihipStream_tbPNSt15iterator_traitsISL_E10value_typeEPNSR_ISM_E10value_typeEPSN_NS1_7vsmem_tEENKUlT_SL_SM_SN_E_clIS8_S8_S9_S9_EESK_S10_SL_SM_SN_EUlS10_E1_NS1_11comp_targetILNS1_3genE5ELNS1_11target_archE942ELNS1_3gpuE9ELNS1_3repE0EEENS1_36merge_oddeven_config_static_selectorELNS0_4arch9wavefront6targetE1EEEvSM_
	.p2align	8
	.type	_ZN7rocprim17ROCPRIM_400000_NS6detail17trampoline_kernelINS0_14default_configENS1_38merge_sort_block_merge_config_selectorIlNS0_10empty_typeEEEZZNS1_27merge_sort_block_merge_implIS3_PlPS5_mZN2at6native12_GLOBAL__N_124unique_dim_cuda_templateItEESt5tupleIJNSA_6TensorESF_SF_EERKSF_lbbbEUlllE_EE10hipError_tT0_T1_T2_jT3_P12ihipStream_tbPNSt15iterator_traitsISL_E10value_typeEPNSR_ISM_E10value_typeEPSN_NS1_7vsmem_tEENKUlT_SL_SM_SN_E_clIS8_S8_S9_S9_EESK_S10_SL_SM_SN_EUlS10_E1_NS1_11comp_targetILNS1_3genE5ELNS1_11target_archE942ELNS1_3gpuE9ELNS1_3repE0EEENS1_36merge_oddeven_config_static_selectorELNS0_4arch9wavefront6targetE1EEEvSM_,@function
_ZN7rocprim17ROCPRIM_400000_NS6detail17trampoline_kernelINS0_14default_configENS1_38merge_sort_block_merge_config_selectorIlNS0_10empty_typeEEEZZNS1_27merge_sort_block_merge_implIS3_PlPS5_mZN2at6native12_GLOBAL__N_124unique_dim_cuda_templateItEESt5tupleIJNSA_6TensorESF_SF_EERKSF_lbbbEUlllE_EE10hipError_tT0_T1_T2_jT3_P12ihipStream_tbPNSt15iterator_traitsISL_E10value_typeEPNSR_ISM_E10value_typeEPSN_NS1_7vsmem_tEENKUlT_SL_SM_SN_E_clIS8_S8_S9_S9_EESK_S10_SL_SM_SN_EUlS10_E1_NS1_11comp_targetILNS1_3genE5ELNS1_11target_archE942ELNS1_3gpuE9ELNS1_3repE0EEENS1_36merge_oddeven_config_static_selectorELNS0_4arch9wavefront6targetE1EEEvSM_: ; @_ZN7rocprim17ROCPRIM_400000_NS6detail17trampoline_kernelINS0_14default_configENS1_38merge_sort_block_merge_config_selectorIlNS0_10empty_typeEEEZZNS1_27merge_sort_block_merge_implIS3_PlPS5_mZN2at6native12_GLOBAL__N_124unique_dim_cuda_templateItEESt5tupleIJNSA_6TensorESF_SF_EERKSF_lbbbEUlllE_EE10hipError_tT0_T1_T2_jT3_P12ihipStream_tbPNSt15iterator_traitsISL_E10value_typeEPNSR_ISM_E10value_typeEPSN_NS1_7vsmem_tEENKUlT_SL_SM_SN_E_clIS8_S8_S9_S9_EESK_S10_SL_SM_SN_EUlS10_E1_NS1_11comp_targetILNS1_3genE5ELNS1_11target_archE942ELNS1_3gpuE9ELNS1_3repE0EEENS1_36merge_oddeven_config_static_selectorELNS0_4arch9wavefront6targetE1EEEvSM_
; %bb.0:
	.section	.rodata,"a",@progbits
	.p2align	6, 0x0
	.amdhsa_kernel _ZN7rocprim17ROCPRIM_400000_NS6detail17trampoline_kernelINS0_14default_configENS1_38merge_sort_block_merge_config_selectorIlNS0_10empty_typeEEEZZNS1_27merge_sort_block_merge_implIS3_PlPS5_mZN2at6native12_GLOBAL__N_124unique_dim_cuda_templateItEESt5tupleIJNSA_6TensorESF_SF_EERKSF_lbbbEUlllE_EE10hipError_tT0_T1_T2_jT3_P12ihipStream_tbPNSt15iterator_traitsISL_E10value_typeEPNSR_ISM_E10value_typeEPSN_NS1_7vsmem_tEENKUlT_SL_SM_SN_E_clIS8_S8_S9_S9_EESK_S10_SL_SM_SN_EUlS10_E1_NS1_11comp_targetILNS1_3genE5ELNS1_11target_archE942ELNS1_3gpuE9ELNS1_3repE0EEENS1_36merge_oddeven_config_static_selectorELNS0_4arch9wavefront6targetE1EEEvSM_
		.amdhsa_group_segment_fixed_size 0
		.amdhsa_private_segment_fixed_size 0
		.amdhsa_kernarg_size 64
		.amdhsa_user_sgpr_count 2
		.amdhsa_user_sgpr_dispatch_ptr 0
		.amdhsa_user_sgpr_queue_ptr 0
		.amdhsa_user_sgpr_kernarg_segment_ptr 1
		.amdhsa_user_sgpr_dispatch_id 0
		.amdhsa_user_sgpr_kernarg_preload_length 0
		.amdhsa_user_sgpr_kernarg_preload_offset 0
		.amdhsa_user_sgpr_private_segment_size 0
		.amdhsa_uses_dynamic_stack 0
		.amdhsa_enable_private_segment 0
		.amdhsa_system_sgpr_workgroup_id_x 1
		.amdhsa_system_sgpr_workgroup_id_y 0
		.amdhsa_system_sgpr_workgroup_id_z 0
		.amdhsa_system_sgpr_workgroup_info 0
		.amdhsa_system_vgpr_workitem_id 0
		.amdhsa_next_free_vgpr 1
		.amdhsa_next_free_sgpr 0
		.amdhsa_accum_offset 4
		.amdhsa_reserve_vcc 0
		.amdhsa_float_round_mode_32 0
		.amdhsa_float_round_mode_16_64 0
		.amdhsa_float_denorm_mode_32 3
		.amdhsa_float_denorm_mode_16_64 3
		.amdhsa_dx10_clamp 1
		.amdhsa_ieee_mode 1
		.amdhsa_fp16_overflow 0
		.amdhsa_tg_split 0
		.amdhsa_exception_fp_ieee_invalid_op 0
		.amdhsa_exception_fp_denorm_src 0
		.amdhsa_exception_fp_ieee_div_zero 0
		.amdhsa_exception_fp_ieee_overflow 0
		.amdhsa_exception_fp_ieee_underflow 0
		.amdhsa_exception_fp_ieee_inexact 0
		.amdhsa_exception_int_div_zero 0
	.end_amdhsa_kernel
	.section	.text._ZN7rocprim17ROCPRIM_400000_NS6detail17trampoline_kernelINS0_14default_configENS1_38merge_sort_block_merge_config_selectorIlNS0_10empty_typeEEEZZNS1_27merge_sort_block_merge_implIS3_PlPS5_mZN2at6native12_GLOBAL__N_124unique_dim_cuda_templateItEESt5tupleIJNSA_6TensorESF_SF_EERKSF_lbbbEUlllE_EE10hipError_tT0_T1_T2_jT3_P12ihipStream_tbPNSt15iterator_traitsISL_E10value_typeEPNSR_ISM_E10value_typeEPSN_NS1_7vsmem_tEENKUlT_SL_SM_SN_E_clIS8_S8_S9_S9_EESK_S10_SL_SM_SN_EUlS10_E1_NS1_11comp_targetILNS1_3genE5ELNS1_11target_archE942ELNS1_3gpuE9ELNS1_3repE0EEENS1_36merge_oddeven_config_static_selectorELNS0_4arch9wavefront6targetE1EEEvSM_,"axG",@progbits,_ZN7rocprim17ROCPRIM_400000_NS6detail17trampoline_kernelINS0_14default_configENS1_38merge_sort_block_merge_config_selectorIlNS0_10empty_typeEEEZZNS1_27merge_sort_block_merge_implIS3_PlPS5_mZN2at6native12_GLOBAL__N_124unique_dim_cuda_templateItEESt5tupleIJNSA_6TensorESF_SF_EERKSF_lbbbEUlllE_EE10hipError_tT0_T1_T2_jT3_P12ihipStream_tbPNSt15iterator_traitsISL_E10value_typeEPNSR_ISM_E10value_typeEPSN_NS1_7vsmem_tEENKUlT_SL_SM_SN_E_clIS8_S8_S9_S9_EESK_S10_SL_SM_SN_EUlS10_E1_NS1_11comp_targetILNS1_3genE5ELNS1_11target_archE942ELNS1_3gpuE9ELNS1_3repE0EEENS1_36merge_oddeven_config_static_selectorELNS0_4arch9wavefront6targetE1EEEvSM_,comdat
.Lfunc_end1388:
	.size	_ZN7rocprim17ROCPRIM_400000_NS6detail17trampoline_kernelINS0_14default_configENS1_38merge_sort_block_merge_config_selectorIlNS0_10empty_typeEEEZZNS1_27merge_sort_block_merge_implIS3_PlPS5_mZN2at6native12_GLOBAL__N_124unique_dim_cuda_templateItEESt5tupleIJNSA_6TensorESF_SF_EERKSF_lbbbEUlllE_EE10hipError_tT0_T1_T2_jT3_P12ihipStream_tbPNSt15iterator_traitsISL_E10value_typeEPNSR_ISM_E10value_typeEPSN_NS1_7vsmem_tEENKUlT_SL_SM_SN_E_clIS8_S8_S9_S9_EESK_S10_SL_SM_SN_EUlS10_E1_NS1_11comp_targetILNS1_3genE5ELNS1_11target_archE942ELNS1_3gpuE9ELNS1_3repE0EEENS1_36merge_oddeven_config_static_selectorELNS0_4arch9wavefront6targetE1EEEvSM_, .Lfunc_end1388-_ZN7rocprim17ROCPRIM_400000_NS6detail17trampoline_kernelINS0_14default_configENS1_38merge_sort_block_merge_config_selectorIlNS0_10empty_typeEEEZZNS1_27merge_sort_block_merge_implIS3_PlPS5_mZN2at6native12_GLOBAL__N_124unique_dim_cuda_templateItEESt5tupleIJNSA_6TensorESF_SF_EERKSF_lbbbEUlllE_EE10hipError_tT0_T1_T2_jT3_P12ihipStream_tbPNSt15iterator_traitsISL_E10value_typeEPNSR_ISM_E10value_typeEPSN_NS1_7vsmem_tEENKUlT_SL_SM_SN_E_clIS8_S8_S9_S9_EESK_S10_SL_SM_SN_EUlS10_E1_NS1_11comp_targetILNS1_3genE5ELNS1_11target_archE942ELNS1_3gpuE9ELNS1_3repE0EEENS1_36merge_oddeven_config_static_selectorELNS0_4arch9wavefront6targetE1EEEvSM_
                                        ; -- End function
	.set _ZN7rocprim17ROCPRIM_400000_NS6detail17trampoline_kernelINS0_14default_configENS1_38merge_sort_block_merge_config_selectorIlNS0_10empty_typeEEEZZNS1_27merge_sort_block_merge_implIS3_PlPS5_mZN2at6native12_GLOBAL__N_124unique_dim_cuda_templateItEESt5tupleIJNSA_6TensorESF_SF_EERKSF_lbbbEUlllE_EE10hipError_tT0_T1_T2_jT3_P12ihipStream_tbPNSt15iterator_traitsISL_E10value_typeEPNSR_ISM_E10value_typeEPSN_NS1_7vsmem_tEENKUlT_SL_SM_SN_E_clIS8_S8_S9_S9_EESK_S10_SL_SM_SN_EUlS10_E1_NS1_11comp_targetILNS1_3genE5ELNS1_11target_archE942ELNS1_3gpuE9ELNS1_3repE0EEENS1_36merge_oddeven_config_static_selectorELNS0_4arch9wavefront6targetE1EEEvSM_.num_vgpr, 0
	.set _ZN7rocprim17ROCPRIM_400000_NS6detail17trampoline_kernelINS0_14default_configENS1_38merge_sort_block_merge_config_selectorIlNS0_10empty_typeEEEZZNS1_27merge_sort_block_merge_implIS3_PlPS5_mZN2at6native12_GLOBAL__N_124unique_dim_cuda_templateItEESt5tupleIJNSA_6TensorESF_SF_EERKSF_lbbbEUlllE_EE10hipError_tT0_T1_T2_jT3_P12ihipStream_tbPNSt15iterator_traitsISL_E10value_typeEPNSR_ISM_E10value_typeEPSN_NS1_7vsmem_tEENKUlT_SL_SM_SN_E_clIS8_S8_S9_S9_EESK_S10_SL_SM_SN_EUlS10_E1_NS1_11comp_targetILNS1_3genE5ELNS1_11target_archE942ELNS1_3gpuE9ELNS1_3repE0EEENS1_36merge_oddeven_config_static_selectorELNS0_4arch9wavefront6targetE1EEEvSM_.num_agpr, 0
	.set _ZN7rocprim17ROCPRIM_400000_NS6detail17trampoline_kernelINS0_14default_configENS1_38merge_sort_block_merge_config_selectorIlNS0_10empty_typeEEEZZNS1_27merge_sort_block_merge_implIS3_PlPS5_mZN2at6native12_GLOBAL__N_124unique_dim_cuda_templateItEESt5tupleIJNSA_6TensorESF_SF_EERKSF_lbbbEUlllE_EE10hipError_tT0_T1_T2_jT3_P12ihipStream_tbPNSt15iterator_traitsISL_E10value_typeEPNSR_ISM_E10value_typeEPSN_NS1_7vsmem_tEENKUlT_SL_SM_SN_E_clIS8_S8_S9_S9_EESK_S10_SL_SM_SN_EUlS10_E1_NS1_11comp_targetILNS1_3genE5ELNS1_11target_archE942ELNS1_3gpuE9ELNS1_3repE0EEENS1_36merge_oddeven_config_static_selectorELNS0_4arch9wavefront6targetE1EEEvSM_.numbered_sgpr, 0
	.set _ZN7rocprim17ROCPRIM_400000_NS6detail17trampoline_kernelINS0_14default_configENS1_38merge_sort_block_merge_config_selectorIlNS0_10empty_typeEEEZZNS1_27merge_sort_block_merge_implIS3_PlPS5_mZN2at6native12_GLOBAL__N_124unique_dim_cuda_templateItEESt5tupleIJNSA_6TensorESF_SF_EERKSF_lbbbEUlllE_EE10hipError_tT0_T1_T2_jT3_P12ihipStream_tbPNSt15iterator_traitsISL_E10value_typeEPNSR_ISM_E10value_typeEPSN_NS1_7vsmem_tEENKUlT_SL_SM_SN_E_clIS8_S8_S9_S9_EESK_S10_SL_SM_SN_EUlS10_E1_NS1_11comp_targetILNS1_3genE5ELNS1_11target_archE942ELNS1_3gpuE9ELNS1_3repE0EEENS1_36merge_oddeven_config_static_selectorELNS0_4arch9wavefront6targetE1EEEvSM_.num_named_barrier, 0
	.set _ZN7rocprim17ROCPRIM_400000_NS6detail17trampoline_kernelINS0_14default_configENS1_38merge_sort_block_merge_config_selectorIlNS0_10empty_typeEEEZZNS1_27merge_sort_block_merge_implIS3_PlPS5_mZN2at6native12_GLOBAL__N_124unique_dim_cuda_templateItEESt5tupleIJNSA_6TensorESF_SF_EERKSF_lbbbEUlllE_EE10hipError_tT0_T1_T2_jT3_P12ihipStream_tbPNSt15iterator_traitsISL_E10value_typeEPNSR_ISM_E10value_typeEPSN_NS1_7vsmem_tEENKUlT_SL_SM_SN_E_clIS8_S8_S9_S9_EESK_S10_SL_SM_SN_EUlS10_E1_NS1_11comp_targetILNS1_3genE5ELNS1_11target_archE942ELNS1_3gpuE9ELNS1_3repE0EEENS1_36merge_oddeven_config_static_selectorELNS0_4arch9wavefront6targetE1EEEvSM_.private_seg_size, 0
	.set _ZN7rocprim17ROCPRIM_400000_NS6detail17trampoline_kernelINS0_14default_configENS1_38merge_sort_block_merge_config_selectorIlNS0_10empty_typeEEEZZNS1_27merge_sort_block_merge_implIS3_PlPS5_mZN2at6native12_GLOBAL__N_124unique_dim_cuda_templateItEESt5tupleIJNSA_6TensorESF_SF_EERKSF_lbbbEUlllE_EE10hipError_tT0_T1_T2_jT3_P12ihipStream_tbPNSt15iterator_traitsISL_E10value_typeEPNSR_ISM_E10value_typeEPSN_NS1_7vsmem_tEENKUlT_SL_SM_SN_E_clIS8_S8_S9_S9_EESK_S10_SL_SM_SN_EUlS10_E1_NS1_11comp_targetILNS1_3genE5ELNS1_11target_archE942ELNS1_3gpuE9ELNS1_3repE0EEENS1_36merge_oddeven_config_static_selectorELNS0_4arch9wavefront6targetE1EEEvSM_.uses_vcc, 0
	.set _ZN7rocprim17ROCPRIM_400000_NS6detail17trampoline_kernelINS0_14default_configENS1_38merge_sort_block_merge_config_selectorIlNS0_10empty_typeEEEZZNS1_27merge_sort_block_merge_implIS3_PlPS5_mZN2at6native12_GLOBAL__N_124unique_dim_cuda_templateItEESt5tupleIJNSA_6TensorESF_SF_EERKSF_lbbbEUlllE_EE10hipError_tT0_T1_T2_jT3_P12ihipStream_tbPNSt15iterator_traitsISL_E10value_typeEPNSR_ISM_E10value_typeEPSN_NS1_7vsmem_tEENKUlT_SL_SM_SN_E_clIS8_S8_S9_S9_EESK_S10_SL_SM_SN_EUlS10_E1_NS1_11comp_targetILNS1_3genE5ELNS1_11target_archE942ELNS1_3gpuE9ELNS1_3repE0EEENS1_36merge_oddeven_config_static_selectorELNS0_4arch9wavefront6targetE1EEEvSM_.uses_flat_scratch, 0
	.set _ZN7rocprim17ROCPRIM_400000_NS6detail17trampoline_kernelINS0_14default_configENS1_38merge_sort_block_merge_config_selectorIlNS0_10empty_typeEEEZZNS1_27merge_sort_block_merge_implIS3_PlPS5_mZN2at6native12_GLOBAL__N_124unique_dim_cuda_templateItEESt5tupleIJNSA_6TensorESF_SF_EERKSF_lbbbEUlllE_EE10hipError_tT0_T1_T2_jT3_P12ihipStream_tbPNSt15iterator_traitsISL_E10value_typeEPNSR_ISM_E10value_typeEPSN_NS1_7vsmem_tEENKUlT_SL_SM_SN_E_clIS8_S8_S9_S9_EESK_S10_SL_SM_SN_EUlS10_E1_NS1_11comp_targetILNS1_3genE5ELNS1_11target_archE942ELNS1_3gpuE9ELNS1_3repE0EEENS1_36merge_oddeven_config_static_selectorELNS0_4arch9wavefront6targetE1EEEvSM_.has_dyn_sized_stack, 0
	.set _ZN7rocprim17ROCPRIM_400000_NS6detail17trampoline_kernelINS0_14default_configENS1_38merge_sort_block_merge_config_selectorIlNS0_10empty_typeEEEZZNS1_27merge_sort_block_merge_implIS3_PlPS5_mZN2at6native12_GLOBAL__N_124unique_dim_cuda_templateItEESt5tupleIJNSA_6TensorESF_SF_EERKSF_lbbbEUlllE_EE10hipError_tT0_T1_T2_jT3_P12ihipStream_tbPNSt15iterator_traitsISL_E10value_typeEPNSR_ISM_E10value_typeEPSN_NS1_7vsmem_tEENKUlT_SL_SM_SN_E_clIS8_S8_S9_S9_EESK_S10_SL_SM_SN_EUlS10_E1_NS1_11comp_targetILNS1_3genE5ELNS1_11target_archE942ELNS1_3gpuE9ELNS1_3repE0EEENS1_36merge_oddeven_config_static_selectorELNS0_4arch9wavefront6targetE1EEEvSM_.has_recursion, 0
	.set _ZN7rocprim17ROCPRIM_400000_NS6detail17trampoline_kernelINS0_14default_configENS1_38merge_sort_block_merge_config_selectorIlNS0_10empty_typeEEEZZNS1_27merge_sort_block_merge_implIS3_PlPS5_mZN2at6native12_GLOBAL__N_124unique_dim_cuda_templateItEESt5tupleIJNSA_6TensorESF_SF_EERKSF_lbbbEUlllE_EE10hipError_tT0_T1_T2_jT3_P12ihipStream_tbPNSt15iterator_traitsISL_E10value_typeEPNSR_ISM_E10value_typeEPSN_NS1_7vsmem_tEENKUlT_SL_SM_SN_E_clIS8_S8_S9_S9_EESK_S10_SL_SM_SN_EUlS10_E1_NS1_11comp_targetILNS1_3genE5ELNS1_11target_archE942ELNS1_3gpuE9ELNS1_3repE0EEENS1_36merge_oddeven_config_static_selectorELNS0_4arch9wavefront6targetE1EEEvSM_.has_indirect_call, 0
	.section	.AMDGPU.csdata,"",@progbits
; Kernel info:
; codeLenInByte = 0
; TotalNumSgprs: 6
; NumVgprs: 0
; NumAgprs: 0
; TotalNumVgprs: 0
; ScratchSize: 0
; MemoryBound: 0
; FloatMode: 240
; IeeeMode: 1
; LDSByteSize: 0 bytes/workgroup (compile time only)
; SGPRBlocks: 0
; VGPRBlocks: 0
; NumSGPRsForWavesPerEU: 6
; NumVGPRsForWavesPerEU: 1
; AccumOffset: 4
; Occupancy: 8
; WaveLimiterHint : 0
; COMPUTE_PGM_RSRC2:SCRATCH_EN: 0
; COMPUTE_PGM_RSRC2:USER_SGPR: 2
; COMPUTE_PGM_RSRC2:TRAP_HANDLER: 0
; COMPUTE_PGM_RSRC2:TGID_X_EN: 1
; COMPUTE_PGM_RSRC2:TGID_Y_EN: 0
; COMPUTE_PGM_RSRC2:TGID_Z_EN: 0
; COMPUTE_PGM_RSRC2:TIDIG_COMP_CNT: 0
; COMPUTE_PGM_RSRC3_GFX90A:ACCUM_OFFSET: 0
; COMPUTE_PGM_RSRC3_GFX90A:TG_SPLIT: 0
	.section	.text._ZN7rocprim17ROCPRIM_400000_NS6detail17trampoline_kernelINS0_14default_configENS1_38merge_sort_block_merge_config_selectorIlNS0_10empty_typeEEEZZNS1_27merge_sort_block_merge_implIS3_PlPS5_mZN2at6native12_GLOBAL__N_124unique_dim_cuda_templateItEESt5tupleIJNSA_6TensorESF_SF_EERKSF_lbbbEUlllE_EE10hipError_tT0_T1_T2_jT3_P12ihipStream_tbPNSt15iterator_traitsISL_E10value_typeEPNSR_ISM_E10value_typeEPSN_NS1_7vsmem_tEENKUlT_SL_SM_SN_E_clIS8_S8_S9_S9_EESK_S10_SL_SM_SN_EUlS10_E1_NS1_11comp_targetILNS1_3genE4ELNS1_11target_archE910ELNS1_3gpuE8ELNS1_3repE0EEENS1_36merge_oddeven_config_static_selectorELNS0_4arch9wavefront6targetE1EEEvSM_,"axG",@progbits,_ZN7rocprim17ROCPRIM_400000_NS6detail17trampoline_kernelINS0_14default_configENS1_38merge_sort_block_merge_config_selectorIlNS0_10empty_typeEEEZZNS1_27merge_sort_block_merge_implIS3_PlPS5_mZN2at6native12_GLOBAL__N_124unique_dim_cuda_templateItEESt5tupleIJNSA_6TensorESF_SF_EERKSF_lbbbEUlllE_EE10hipError_tT0_T1_T2_jT3_P12ihipStream_tbPNSt15iterator_traitsISL_E10value_typeEPNSR_ISM_E10value_typeEPSN_NS1_7vsmem_tEENKUlT_SL_SM_SN_E_clIS8_S8_S9_S9_EESK_S10_SL_SM_SN_EUlS10_E1_NS1_11comp_targetILNS1_3genE4ELNS1_11target_archE910ELNS1_3gpuE8ELNS1_3repE0EEENS1_36merge_oddeven_config_static_selectorELNS0_4arch9wavefront6targetE1EEEvSM_,comdat
	.globl	_ZN7rocprim17ROCPRIM_400000_NS6detail17trampoline_kernelINS0_14default_configENS1_38merge_sort_block_merge_config_selectorIlNS0_10empty_typeEEEZZNS1_27merge_sort_block_merge_implIS3_PlPS5_mZN2at6native12_GLOBAL__N_124unique_dim_cuda_templateItEESt5tupleIJNSA_6TensorESF_SF_EERKSF_lbbbEUlllE_EE10hipError_tT0_T1_T2_jT3_P12ihipStream_tbPNSt15iterator_traitsISL_E10value_typeEPNSR_ISM_E10value_typeEPSN_NS1_7vsmem_tEENKUlT_SL_SM_SN_E_clIS8_S8_S9_S9_EESK_S10_SL_SM_SN_EUlS10_E1_NS1_11comp_targetILNS1_3genE4ELNS1_11target_archE910ELNS1_3gpuE8ELNS1_3repE0EEENS1_36merge_oddeven_config_static_selectorELNS0_4arch9wavefront6targetE1EEEvSM_ ; -- Begin function _ZN7rocprim17ROCPRIM_400000_NS6detail17trampoline_kernelINS0_14default_configENS1_38merge_sort_block_merge_config_selectorIlNS0_10empty_typeEEEZZNS1_27merge_sort_block_merge_implIS3_PlPS5_mZN2at6native12_GLOBAL__N_124unique_dim_cuda_templateItEESt5tupleIJNSA_6TensorESF_SF_EERKSF_lbbbEUlllE_EE10hipError_tT0_T1_T2_jT3_P12ihipStream_tbPNSt15iterator_traitsISL_E10value_typeEPNSR_ISM_E10value_typeEPSN_NS1_7vsmem_tEENKUlT_SL_SM_SN_E_clIS8_S8_S9_S9_EESK_S10_SL_SM_SN_EUlS10_E1_NS1_11comp_targetILNS1_3genE4ELNS1_11target_archE910ELNS1_3gpuE8ELNS1_3repE0EEENS1_36merge_oddeven_config_static_selectorELNS0_4arch9wavefront6targetE1EEEvSM_
	.p2align	8
	.type	_ZN7rocprim17ROCPRIM_400000_NS6detail17trampoline_kernelINS0_14default_configENS1_38merge_sort_block_merge_config_selectorIlNS0_10empty_typeEEEZZNS1_27merge_sort_block_merge_implIS3_PlPS5_mZN2at6native12_GLOBAL__N_124unique_dim_cuda_templateItEESt5tupleIJNSA_6TensorESF_SF_EERKSF_lbbbEUlllE_EE10hipError_tT0_T1_T2_jT3_P12ihipStream_tbPNSt15iterator_traitsISL_E10value_typeEPNSR_ISM_E10value_typeEPSN_NS1_7vsmem_tEENKUlT_SL_SM_SN_E_clIS8_S8_S9_S9_EESK_S10_SL_SM_SN_EUlS10_E1_NS1_11comp_targetILNS1_3genE4ELNS1_11target_archE910ELNS1_3gpuE8ELNS1_3repE0EEENS1_36merge_oddeven_config_static_selectorELNS0_4arch9wavefront6targetE1EEEvSM_,@function
_ZN7rocprim17ROCPRIM_400000_NS6detail17trampoline_kernelINS0_14default_configENS1_38merge_sort_block_merge_config_selectorIlNS0_10empty_typeEEEZZNS1_27merge_sort_block_merge_implIS3_PlPS5_mZN2at6native12_GLOBAL__N_124unique_dim_cuda_templateItEESt5tupleIJNSA_6TensorESF_SF_EERKSF_lbbbEUlllE_EE10hipError_tT0_T1_T2_jT3_P12ihipStream_tbPNSt15iterator_traitsISL_E10value_typeEPNSR_ISM_E10value_typeEPSN_NS1_7vsmem_tEENKUlT_SL_SM_SN_E_clIS8_S8_S9_S9_EESK_S10_SL_SM_SN_EUlS10_E1_NS1_11comp_targetILNS1_3genE4ELNS1_11target_archE910ELNS1_3gpuE8ELNS1_3repE0EEENS1_36merge_oddeven_config_static_selectorELNS0_4arch9wavefront6targetE1EEEvSM_: ; @_ZN7rocprim17ROCPRIM_400000_NS6detail17trampoline_kernelINS0_14default_configENS1_38merge_sort_block_merge_config_selectorIlNS0_10empty_typeEEEZZNS1_27merge_sort_block_merge_implIS3_PlPS5_mZN2at6native12_GLOBAL__N_124unique_dim_cuda_templateItEESt5tupleIJNSA_6TensorESF_SF_EERKSF_lbbbEUlllE_EE10hipError_tT0_T1_T2_jT3_P12ihipStream_tbPNSt15iterator_traitsISL_E10value_typeEPNSR_ISM_E10value_typeEPSN_NS1_7vsmem_tEENKUlT_SL_SM_SN_E_clIS8_S8_S9_S9_EESK_S10_SL_SM_SN_EUlS10_E1_NS1_11comp_targetILNS1_3genE4ELNS1_11target_archE910ELNS1_3gpuE8ELNS1_3repE0EEENS1_36merge_oddeven_config_static_selectorELNS0_4arch9wavefront6targetE1EEEvSM_
; %bb.0:
	.section	.rodata,"a",@progbits
	.p2align	6, 0x0
	.amdhsa_kernel _ZN7rocprim17ROCPRIM_400000_NS6detail17trampoline_kernelINS0_14default_configENS1_38merge_sort_block_merge_config_selectorIlNS0_10empty_typeEEEZZNS1_27merge_sort_block_merge_implIS3_PlPS5_mZN2at6native12_GLOBAL__N_124unique_dim_cuda_templateItEESt5tupleIJNSA_6TensorESF_SF_EERKSF_lbbbEUlllE_EE10hipError_tT0_T1_T2_jT3_P12ihipStream_tbPNSt15iterator_traitsISL_E10value_typeEPNSR_ISM_E10value_typeEPSN_NS1_7vsmem_tEENKUlT_SL_SM_SN_E_clIS8_S8_S9_S9_EESK_S10_SL_SM_SN_EUlS10_E1_NS1_11comp_targetILNS1_3genE4ELNS1_11target_archE910ELNS1_3gpuE8ELNS1_3repE0EEENS1_36merge_oddeven_config_static_selectorELNS0_4arch9wavefront6targetE1EEEvSM_
		.amdhsa_group_segment_fixed_size 0
		.amdhsa_private_segment_fixed_size 0
		.amdhsa_kernarg_size 64
		.amdhsa_user_sgpr_count 2
		.amdhsa_user_sgpr_dispatch_ptr 0
		.amdhsa_user_sgpr_queue_ptr 0
		.amdhsa_user_sgpr_kernarg_segment_ptr 1
		.amdhsa_user_sgpr_dispatch_id 0
		.amdhsa_user_sgpr_kernarg_preload_length 0
		.amdhsa_user_sgpr_kernarg_preload_offset 0
		.amdhsa_user_sgpr_private_segment_size 0
		.amdhsa_uses_dynamic_stack 0
		.amdhsa_enable_private_segment 0
		.amdhsa_system_sgpr_workgroup_id_x 1
		.amdhsa_system_sgpr_workgroup_id_y 0
		.amdhsa_system_sgpr_workgroup_id_z 0
		.amdhsa_system_sgpr_workgroup_info 0
		.amdhsa_system_vgpr_workitem_id 0
		.amdhsa_next_free_vgpr 1
		.amdhsa_next_free_sgpr 0
		.amdhsa_accum_offset 4
		.amdhsa_reserve_vcc 0
		.amdhsa_float_round_mode_32 0
		.amdhsa_float_round_mode_16_64 0
		.amdhsa_float_denorm_mode_32 3
		.amdhsa_float_denorm_mode_16_64 3
		.amdhsa_dx10_clamp 1
		.amdhsa_ieee_mode 1
		.amdhsa_fp16_overflow 0
		.amdhsa_tg_split 0
		.amdhsa_exception_fp_ieee_invalid_op 0
		.amdhsa_exception_fp_denorm_src 0
		.amdhsa_exception_fp_ieee_div_zero 0
		.amdhsa_exception_fp_ieee_overflow 0
		.amdhsa_exception_fp_ieee_underflow 0
		.amdhsa_exception_fp_ieee_inexact 0
		.amdhsa_exception_int_div_zero 0
	.end_amdhsa_kernel
	.section	.text._ZN7rocprim17ROCPRIM_400000_NS6detail17trampoline_kernelINS0_14default_configENS1_38merge_sort_block_merge_config_selectorIlNS0_10empty_typeEEEZZNS1_27merge_sort_block_merge_implIS3_PlPS5_mZN2at6native12_GLOBAL__N_124unique_dim_cuda_templateItEESt5tupleIJNSA_6TensorESF_SF_EERKSF_lbbbEUlllE_EE10hipError_tT0_T1_T2_jT3_P12ihipStream_tbPNSt15iterator_traitsISL_E10value_typeEPNSR_ISM_E10value_typeEPSN_NS1_7vsmem_tEENKUlT_SL_SM_SN_E_clIS8_S8_S9_S9_EESK_S10_SL_SM_SN_EUlS10_E1_NS1_11comp_targetILNS1_3genE4ELNS1_11target_archE910ELNS1_3gpuE8ELNS1_3repE0EEENS1_36merge_oddeven_config_static_selectorELNS0_4arch9wavefront6targetE1EEEvSM_,"axG",@progbits,_ZN7rocprim17ROCPRIM_400000_NS6detail17trampoline_kernelINS0_14default_configENS1_38merge_sort_block_merge_config_selectorIlNS0_10empty_typeEEEZZNS1_27merge_sort_block_merge_implIS3_PlPS5_mZN2at6native12_GLOBAL__N_124unique_dim_cuda_templateItEESt5tupleIJNSA_6TensorESF_SF_EERKSF_lbbbEUlllE_EE10hipError_tT0_T1_T2_jT3_P12ihipStream_tbPNSt15iterator_traitsISL_E10value_typeEPNSR_ISM_E10value_typeEPSN_NS1_7vsmem_tEENKUlT_SL_SM_SN_E_clIS8_S8_S9_S9_EESK_S10_SL_SM_SN_EUlS10_E1_NS1_11comp_targetILNS1_3genE4ELNS1_11target_archE910ELNS1_3gpuE8ELNS1_3repE0EEENS1_36merge_oddeven_config_static_selectorELNS0_4arch9wavefront6targetE1EEEvSM_,comdat
.Lfunc_end1389:
	.size	_ZN7rocprim17ROCPRIM_400000_NS6detail17trampoline_kernelINS0_14default_configENS1_38merge_sort_block_merge_config_selectorIlNS0_10empty_typeEEEZZNS1_27merge_sort_block_merge_implIS3_PlPS5_mZN2at6native12_GLOBAL__N_124unique_dim_cuda_templateItEESt5tupleIJNSA_6TensorESF_SF_EERKSF_lbbbEUlllE_EE10hipError_tT0_T1_T2_jT3_P12ihipStream_tbPNSt15iterator_traitsISL_E10value_typeEPNSR_ISM_E10value_typeEPSN_NS1_7vsmem_tEENKUlT_SL_SM_SN_E_clIS8_S8_S9_S9_EESK_S10_SL_SM_SN_EUlS10_E1_NS1_11comp_targetILNS1_3genE4ELNS1_11target_archE910ELNS1_3gpuE8ELNS1_3repE0EEENS1_36merge_oddeven_config_static_selectorELNS0_4arch9wavefront6targetE1EEEvSM_, .Lfunc_end1389-_ZN7rocprim17ROCPRIM_400000_NS6detail17trampoline_kernelINS0_14default_configENS1_38merge_sort_block_merge_config_selectorIlNS0_10empty_typeEEEZZNS1_27merge_sort_block_merge_implIS3_PlPS5_mZN2at6native12_GLOBAL__N_124unique_dim_cuda_templateItEESt5tupleIJNSA_6TensorESF_SF_EERKSF_lbbbEUlllE_EE10hipError_tT0_T1_T2_jT3_P12ihipStream_tbPNSt15iterator_traitsISL_E10value_typeEPNSR_ISM_E10value_typeEPSN_NS1_7vsmem_tEENKUlT_SL_SM_SN_E_clIS8_S8_S9_S9_EESK_S10_SL_SM_SN_EUlS10_E1_NS1_11comp_targetILNS1_3genE4ELNS1_11target_archE910ELNS1_3gpuE8ELNS1_3repE0EEENS1_36merge_oddeven_config_static_selectorELNS0_4arch9wavefront6targetE1EEEvSM_
                                        ; -- End function
	.set _ZN7rocprim17ROCPRIM_400000_NS6detail17trampoline_kernelINS0_14default_configENS1_38merge_sort_block_merge_config_selectorIlNS0_10empty_typeEEEZZNS1_27merge_sort_block_merge_implIS3_PlPS5_mZN2at6native12_GLOBAL__N_124unique_dim_cuda_templateItEESt5tupleIJNSA_6TensorESF_SF_EERKSF_lbbbEUlllE_EE10hipError_tT0_T1_T2_jT3_P12ihipStream_tbPNSt15iterator_traitsISL_E10value_typeEPNSR_ISM_E10value_typeEPSN_NS1_7vsmem_tEENKUlT_SL_SM_SN_E_clIS8_S8_S9_S9_EESK_S10_SL_SM_SN_EUlS10_E1_NS1_11comp_targetILNS1_3genE4ELNS1_11target_archE910ELNS1_3gpuE8ELNS1_3repE0EEENS1_36merge_oddeven_config_static_selectorELNS0_4arch9wavefront6targetE1EEEvSM_.num_vgpr, 0
	.set _ZN7rocprim17ROCPRIM_400000_NS6detail17trampoline_kernelINS0_14default_configENS1_38merge_sort_block_merge_config_selectorIlNS0_10empty_typeEEEZZNS1_27merge_sort_block_merge_implIS3_PlPS5_mZN2at6native12_GLOBAL__N_124unique_dim_cuda_templateItEESt5tupleIJNSA_6TensorESF_SF_EERKSF_lbbbEUlllE_EE10hipError_tT0_T1_T2_jT3_P12ihipStream_tbPNSt15iterator_traitsISL_E10value_typeEPNSR_ISM_E10value_typeEPSN_NS1_7vsmem_tEENKUlT_SL_SM_SN_E_clIS8_S8_S9_S9_EESK_S10_SL_SM_SN_EUlS10_E1_NS1_11comp_targetILNS1_3genE4ELNS1_11target_archE910ELNS1_3gpuE8ELNS1_3repE0EEENS1_36merge_oddeven_config_static_selectorELNS0_4arch9wavefront6targetE1EEEvSM_.num_agpr, 0
	.set _ZN7rocprim17ROCPRIM_400000_NS6detail17trampoline_kernelINS0_14default_configENS1_38merge_sort_block_merge_config_selectorIlNS0_10empty_typeEEEZZNS1_27merge_sort_block_merge_implIS3_PlPS5_mZN2at6native12_GLOBAL__N_124unique_dim_cuda_templateItEESt5tupleIJNSA_6TensorESF_SF_EERKSF_lbbbEUlllE_EE10hipError_tT0_T1_T2_jT3_P12ihipStream_tbPNSt15iterator_traitsISL_E10value_typeEPNSR_ISM_E10value_typeEPSN_NS1_7vsmem_tEENKUlT_SL_SM_SN_E_clIS8_S8_S9_S9_EESK_S10_SL_SM_SN_EUlS10_E1_NS1_11comp_targetILNS1_3genE4ELNS1_11target_archE910ELNS1_3gpuE8ELNS1_3repE0EEENS1_36merge_oddeven_config_static_selectorELNS0_4arch9wavefront6targetE1EEEvSM_.numbered_sgpr, 0
	.set _ZN7rocprim17ROCPRIM_400000_NS6detail17trampoline_kernelINS0_14default_configENS1_38merge_sort_block_merge_config_selectorIlNS0_10empty_typeEEEZZNS1_27merge_sort_block_merge_implIS3_PlPS5_mZN2at6native12_GLOBAL__N_124unique_dim_cuda_templateItEESt5tupleIJNSA_6TensorESF_SF_EERKSF_lbbbEUlllE_EE10hipError_tT0_T1_T2_jT3_P12ihipStream_tbPNSt15iterator_traitsISL_E10value_typeEPNSR_ISM_E10value_typeEPSN_NS1_7vsmem_tEENKUlT_SL_SM_SN_E_clIS8_S8_S9_S9_EESK_S10_SL_SM_SN_EUlS10_E1_NS1_11comp_targetILNS1_3genE4ELNS1_11target_archE910ELNS1_3gpuE8ELNS1_3repE0EEENS1_36merge_oddeven_config_static_selectorELNS0_4arch9wavefront6targetE1EEEvSM_.num_named_barrier, 0
	.set _ZN7rocprim17ROCPRIM_400000_NS6detail17trampoline_kernelINS0_14default_configENS1_38merge_sort_block_merge_config_selectorIlNS0_10empty_typeEEEZZNS1_27merge_sort_block_merge_implIS3_PlPS5_mZN2at6native12_GLOBAL__N_124unique_dim_cuda_templateItEESt5tupleIJNSA_6TensorESF_SF_EERKSF_lbbbEUlllE_EE10hipError_tT0_T1_T2_jT3_P12ihipStream_tbPNSt15iterator_traitsISL_E10value_typeEPNSR_ISM_E10value_typeEPSN_NS1_7vsmem_tEENKUlT_SL_SM_SN_E_clIS8_S8_S9_S9_EESK_S10_SL_SM_SN_EUlS10_E1_NS1_11comp_targetILNS1_3genE4ELNS1_11target_archE910ELNS1_3gpuE8ELNS1_3repE0EEENS1_36merge_oddeven_config_static_selectorELNS0_4arch9wavefront6targetE1EEEvSM_.private_seg_size, 0
	.set _ZN7rocprim17ROCPRIM_400000_NS6detail17trampoline_kernelINS0_14default_configENS1_38merge_sort_block_merge_config_selectorIlNS0_10empty_typeEEEZZNS1_27merge_sort_block_merge_implIS3_PlPS5_mZN2at6native12_GLOBAL__N_124unique_dim_cuda_templateItEESt5tupleIJNSA_6TensorESF_SF_EERKSF_lbbbEUlllE_EE10hipError_tT0_T1_T2_jT3_P12ihipStream_tbPNSt15iterator_traitsISL_E10value_typeEPNSR_ISM_E10value_typeEPSN_NS1_7vsmem_tEENKUlT_SL_SM_SN_E_clIS8_S8_S9_S9_EESK_S10_SL_SM_SN_EUlS10_E1_NS1_11comp_targetILNS1_3genE4ELNS1_11target_archE910ELNS1_3gpuE8ELNS1_3repE0EEENS1_36merge_oddeven_config_static_selectorELNS0_4arch9wavefront6targetE1EEEvSM_.uses_vcc, 0
	.set _ZN7rocprim17ROCPRIM_400000_NS6detail17trampoline_kernelINS0_14default_configENS1_38merge_sort_block_merge_config_selectorIlNS0_10empty_typeEEEZZNS1_27merge_sort_block_merge_implIS3_PlPS5_mZN2at6native12_GLOBAL__N_124unique_dim_cuda_templateItEESt5tupleIJNSA_6TensorESF_SF_EERKSF_lbbbEUlllE_EE10hipError_tT0_T1_T2_jT3_P12ihipStream_tbPNSt15iterator_traitsISL_E10value_typeEPNSR_ISM_E10value_typeEPSN_NS1_7vsmem_tEENKUlT_SL_SM_SN_E_clIS8_S8_S9_S9_EESK_S10_SL_SM_SN_EUlS10_E1_NS1_11comp_targetILNS1_3genE4ELNS1_11target_archE910ELNS1_3gpuE8ELNS1_3repE0EEENS1_36merge_oddeven_config_static_selectorELNS0_4arch9wavefront6targetE1EEEvSM_.uses_flat_scratch, 0
	.set _ZN7rocprim17ROCPRIM_400000_NS6detail17trampoline_kernelINS0_14default_configENS1_38merge_sort_block_merge_config_selectorIlNS0_10empty_typeEEEZZNS1_27merge_sort_block_merge_implIS3_PlPS5_mZN2at6native12_GLOBAL__N_124unique_dim_cuda_templateItEESt5tupleIJNSA_6TensorESF_SF_EERKSF_lbbbEUlllE_EE10hipError_tT0_T1_T2_jT3_P12ihipStream_tbPNSt15iterator_traitsISL_E10value_typeEPNSR_ISM_E10value_typeEPSN_NS1_7vsmem_tEENKUlT_SL_SM_SN_E_clIS8_S8_S9_S9_EESK_S10_SL_SM_SN_EUlS10_E1_NS1_11comp_targetILNS1_3genE4ELNS1_11target_archE910ELNS1_3gpuE8ELNS1_3repE0EEENS1_36merge_oddeven_config_static_selectorELNS0_4arch9wavefront6targetE1EEEvSM_.has_dyn_sized_stack, 0
	.set _ZN7rocprim17ROCPRIM_400000_NS6detail17trampoline_kernelINS0_14default_configENS1_38merge_sort_block_merge_config_selectorIlNS0_10empty_typeEEEZZNS1_27merge_sort_block_merge_implIS3_PlPS5_mZN2at6native12_GLOBAL__N_124unique_dim_cuda_templateItEESt5tupleIJNSA_6TensorESF_SF_EERKSF_lbbbEUlllE_EE10hipError_tT0_T1_T2_jT3_P12ihipStream_tbPNSt15iterator_traitsISL_E10value_typeEPNSR_ISM_E10value_typeEPSN_NS1_7vsmem_tEENKUlT_SL_SM_SN_E_clIS8_S8_S9_S9_EESK_S10_SL_SM_SN_EUlS10_E1_NS1_11comp_targetILNS1_3genE4ELNS1_11target_archE910ELNS1_3gpuE8ELNS1_3repE0EEENS1_36merge_oddeven_config_static_selectorELNS0_4arch9wavefront6targetE1EEEvSM_.has_recursion, 0
	.set _ZN7rocprim17ROCPRIM_400000_NS6detail17trampoline_kernelINS0_14default_configENS1_38merge_sort_block_merge_config_selectorIlNS0_10empty_typeEEEZZNS1_27merge_sort_block_merge_implIS3_PlPS5_mZN2at6native12_GLOBAL__N_124unique_dim_cuda_templateItEESt5tupleIJNSA_6TensorESF_SF_EERKSF_lbbbEUlllE_EE10hipError_tT0_T1_T2_jT3_P12ihipStream_tbPNSt15iterator_traitsISL_E10value_typeEPNSR_ISM_E10value_typeEPSN_NS1_7vsmem_tEENKUlT_SL_SM_SN_E_clIS8_S8_S9_S9_EESK_S10_SL_SM_SN_EUlS10_E1_NS1_11comp_targetILNS1_3genE4ELNS1_11target_archE910ELNS1_3gpuE8ELNS1_3repE0EEENS1_36merge_oddeven_config_static_selectorELNS0_4arch9wavefront6targetE1EEEvSM_.has_indirect_call, 0
	.section	.AMDGPU.csdata,"",@progbits
; Kernel info:
; codeLenInByte = 0
; TotalNumSgprs: 6
; NumVgprs: 0
; NumAgprs: 0
; TotalNumVgprs: 0
; ScratchSize: 0
; MemoryBound: 0
; FloatMode: 240
; IeeeMode: 1
; LDSByteSize: 0 bytes/workgroup (compile time only)
; SGPRBlocks: 0
; VGPRBlocks: 0
; NumSGPRsForWavesPerEU: 6
; NumVGPRsForWavesPerEU: 1
; AccumOffset: 4
; Occupancy: 8
; WaveLimiterHint : 0
; COMPUTE_PGM_RSRC2:SCRATCH_EN: 0
; COMPUTE_PGM_RSRC2:USER_SGPR: 2
; COMPUTE_PGM_RSRC2:TRAP_HANDLER: 0
; COMPUTE_PGM_RSRC2:TGID_X_EN: 1
; COMPUTE_PGM_RSRC2:TGID_Y_EN: 0
; COMPUTE_PGM_RSRC2:TGID_Z_EN: 0
; COMPUTE_PGM_RSRC2:TIDIG_COMP_CNT: 0
; COMPUTE_PGM_RSRC3_GFX90A:ACCUM_OFFSET: 0
; COMPUTE_PGM_RSRC3_GFX90A:TG_SPLIT: 0
	.section	.text._ZN7rocprim17ROCPRIM_400000_NS6detail17trampoline_kernelINS0_14default_configENS1_38merge_sort_block_merge_config_selectorIlNS0_10empty_typeEEEZZNS1_27merge_sort_block_merge_implIS3_PlPS5_mZN2at6native12_GLOBAL__N_124unique_dim_cuda_templateItEESt5tupleIJNSA_6TensorESF_SF_EERKSF_lbbbEUlllE_EE10hipError_tT0_T1_T2_jT3_P12ihipStream_tbPNSt15iterator_traitsISL_E10value_typeEPNSR_ISM_E10value_typeEPSN_NS1_7vsmem_tEENKUlT_SL_SM_SN_E_clIS8_S8_S9_S9_EESK_S10_SL_SM_SN_EUlS10_E1_NS1_11comp_targetILNS1_3genE3ELNS1_11target_archE908ELNS1_3gpuE7ELNS1_3repE0EEENS1_36merge_oddeven_config_static_selectorELNS0_4arch9wavefront6targetE1EEEvSM_,"axG",@progbits,_ZN7rocprim17ROCPRIM_400000_NS6detail17trampoline_kernelINS0_14default_configENS1_38merge_sort_block_merge_config_selectorIlNS0_10empty_typeEEEZZNS1_27merge_sort_block_merge_implIS3_PlPS5_mZN2at6native12_GLOBAL__N_124unique_dim_cuda_templateItEESt5tupleIJNSA_6TensorESF_SF_EERKSF_lbbbEUlllE_EE10hipError_tT0_T1_T2_jT3_P12ihipStream_tbPNSt15iterator_traitsISL_E10value_typeEPNSR_ISM_E10value_typeEPSN_NS1_7vsmem_tEENKUlT_SL_SM_SN_E_clIS8_S8_S9_S9_EESK_S10_SL_SM_SN_EUlS10_E1_NS1_11comp_targetILNS1_3genE3ELNS1_11target_archE908ELNS1_3gpuE7ELNS1_3repE0EEENS1_36merge_oddeven_config_static_selectorELNS0_4arch9wavefront6targetE1EEEvSM_,comdat
	.globl	_ZN7rocprim17ROCPRIM_400000_NS6detail17trampoline_kernelINS0_14default_configENS1_38merge_sort_block_merge_config_selectorIlNS0_10empty_typeEEEZZNS1_27merge_sort_block_merge_implIS3_PlPS5_mZN2at6native12_GLOBAL__N_124unique_dim_cuda_templateItEESt5tupleIJNSA_6TensorESF_SF_EERKSF_lbbbEUlllE_EE10hipError_tT0_T1_T2_jT3_P12ihipStream_tbPNSt15iterator_traitsISL_E10value_typeEPNSR_ISM_E10value_typeEPSN_NS1_7vsmem_tEENKUlT_SL_SM_SN_E_clIS8_S8_S9_S9_EESK_S10_SL_SM_SN_EUlS10_E1_NS1_11comp_targetILNS1_3genE3ELNS1_11target_archE908ELNS1_3gpuE7ELNS1_3repE0EEENS1_36merge_oddeven_config_static_selectorELNS0_4arch9wavefront6targetE1EEEvSM_ ; -- Begin function _ZN7rocprim17ROCPRIM_400000_NS6detail17trampoline_kernelINS0_14default_configENS1_38merge_sort_block_merge_config_selectorIlNS0_10empty_typeEEEZZNS1_27merge_sort_block_merge_implIS3_PlPS5_mZN2at6native12_GLOBAL__N_124unique_dim_cuda_templateItEESt5tupleIJNSA_6TensorESF_SF_EERKSF_lbbbEUlllE_EE10hipError_tT0_T1_T2_jT3_P12ihipStream_tbPNSt15iterator_traitsISL_E10value_typeEPNSR_ISM_E10value_typeEPSN_NS1_7vsmem_tEENKUlT_SL_SM_SN_E_clIS8_S8_S9_S9_EESK_S10_SL_SM_SN_EUlS10_E1_NS1_11comp_targetILNS1_3genE3ELNS1_11target_archE908ELNS1_3gpuE7ELNS1_3repE0EEENS1_36merge_oddeven_config_static_selectorELNS0_4arch9wavefront6targetE1EEEvSM_
	.p2align	8
	.type	_ZN7rocprim17ROCPRIM_400000_NS6detail17trampoline_kernelINS0_14default_configENS1_38merge_sort_block_merge_config_selectorIlNS0_10empty_typeEEEZZNS1_27merge_sort_block_merge_implIS3_PlPS5_mZN2at6native12_GLOBAL__N_124unique_dim_cuda_templateItEESt5tupleIJNSA_6TensorESF_SF_EERKSF_lbbbEUlllE_EE10hipError_tT0_T1_T2_jT3_P12ihipStream_tbPNSt15iterator_traitsISL_E10value_typeEPNSR_ISM_E10value_typeEPSN_NS1_7vsmem_tEENKUlT_SL_SM_SN_E_clIS8_S8_S9_S9_EESK_S10_SL_SM_SN_EUlS10_E1_NS1_11comp_targetILNS1_3genE3ELNS1_11target_archE908ELNS1_3gpuE7ELNS1_3repE0EEENS1_36merge_oddeven_config_static_selectorELNS0_4arch9wavefront6targetE1EEEvSM_,@function
_ZN7rocprim17ROCPRIM_400000_NS6detail17trampoline_kernelINS0_14default_configENS1_38merge_sort_block_merge_config_selectorIlNS0_10empty_typeEEEZZNS1_27merge_sort_block_merge_implIS3_PlPS5_mZN2at6native12_GLOBAL__N_124unique_dim_cuda_templateItEESt5tupleIJNSA_6TensorESF_SF_EERKSF_lbbbEUlllE_EE10hipError_tT0_T1_T2_jT3_P12ihipStream_tbPNSt15iterator_traitsISL_E10value_typeEPNSR_ISM_E10value_typeEPSN_NS1_7vsmem_tEENKUlT_SL_SM_SN_E_clIS8_S8_S9_S9_EESK_S10_SL_SM_SN_EUlS10_E1_NS1_11comp_targetILNS1_3genE3ELNS1_11target_archE908ELNS1_3gpuE7ELNS1_3repE0EEENS1_36merge_oddeven_config_static_selectorELNS0_4arch9wavefront6targetE1EEEvSM_: ; @_ZN7rocprim17ROCPRIM_400000_NS6detail17trampoline_kernelINS0_14default_configENS1_38merge_sort_block_merge_config_selectorIlNS0_10empty_typeEEEZZNS1_27merge_sort_block_merge_implIS3_PlPS5_mZN2at6native12_GLOBAL__N_124unique_dim_cuda_templateItEESt5tupleIJNSA_6TensorESF_SF_EERKSF_lbbbEUlllE_EE10hipError_tT0_T1_T2_jT3_P12ihipStream_tbPNSt15iterator_traitsISL_E10value_typeEPNSR_ISM_E10value_typeEPSN_NS1_7vsmem_tEENKUlT_SL_SM_SN_E_clIS8_S8_S9_S9_EESK_S10_SL_SM_SN_EUlS10_E1_NS1_11comp_targetILNS1_3genE3ELNS1_11target_archE908ELNS1_3gpuE7ELNS1_3repE0EEENS1_36merge_oddeven_config_static_selectorELNS0_4arch9wavefront6targetE1EEEvSM_
; %bb.0:
	.section	.rodata,"a",@progbits
	.p2align	6, 0x0
	.amdhsa_kernel _ZN7rocprim17ROCPRIM_400000_NS6detail17trampoline_kernelINS0_14default_configENS1_38merge_sort_block_merge_config_selectorIlNS0_10empty_typeEEEZZNS1_27merge_sort_block_merge_implIS3_PlPS5_mZN2at6native12_GLOBAL__N_124unique_dim_cuda_templateItEESt5tupleIJNSA_6TensorESF_SF_EERKSF_lbbbEUlllE_EE10hipError_tT0_T1_T2_jT3_P12ihipStream_tbPNSt15iterator_traitsISL_E10value_typeEPNSR_ISM_E10value_typeEPSN_NS1_7vsmem_tEENKUlT_SL_SM_SN_E_clIS8_S8_S9_S9_EESK_S10_SL_SM_SN_EUlS10_E1_NS1_11comp_targetILNS1_3genE3ELNS1_11target_archE908ELNS1_3gpuE7ELNS1_3repE0EEENS1_36merge_oddeven_config_static_selectorELNS0_4arch9wavefront6targetE1EEEvSM_
		.amdhsa_group_segment_fixed_size 0
		.amdhsa_private_segment_fixed_size 0
		.amdhsa_kernarg_size 64
		.amdhsa_user_sgpr_count 2
		.amdhsa_user_sgpr_dispatch_ptr 0
		.amdhsa_user_sgpr_queue_ptr 0
		.amdhsa_user_sgpr_kernarg_segment_ptr 1
		.amdhsa_user_sgpr_dispatch_id 0
		.amdhsa_user_sgpr_kernarg_preload_length 0
		.amdhsa_user_sgpr_kernarg_preload_offset 0
		.amdhsa_user_sgpr_private_segment_size 0
		.amdhsa_uses_dynamic_stack 0
		.amdhsa_enable_private_segment 0
		.amdhsa_system_sgpr_workgroup_id_x 1
		.amdhsa_system_sgpr_workgroup_id_y 0
		.amdhsa_system_sgpr_workgroup_id_z 0
		.amdhsa_system_sgpr_workgroup_info 0
		.amdhsa_system_vgpr_workitem_id 0
		.amdhsa_next_free_vgpr 1
		.amdhsa_next_free_sgpr 0
		.amdhsa_accum_offset 4
		.amdhsa_reserve_vcc 0
		.amdhsa_float_round_mode_32 0
		.amdhsa_float_round_mode_16_64 0
		.amdhsa_float_denorm_mode_32 3
		.amdhsa_float_denorm_mode_16_64 3
		.amdhsa_dx10_clamp 1
		.amdhsa_ieee_mode 1
		.amdhsa_fp16_overflow 0
		.amdhsa_tg_split 0
		.amdhsa_exception_fp_ieee_invalid_op 0
		.amdhsa_exception_fp_denorm_src 0
		.amdhsa_exception_fp_ieee_div_zero 0
		.amdhsa_exception_fp_ieee_overflow 0
		.amdhsa_exception_fp_ieee_underflow 0
		.amdhsa_exception_fp_ieee_inexact 0
		.amdhsa_exception_int_div_zero 0
	.end_amdhsa_kernel
	.section	.text._ZN7rocprim17ROCPRIM_400000_NS6detail17trampoline_kernelINS0_14default_configENS1_38merge_sort_block_merge_config_selectorIlNS0_10empty_typeEEEZZNS1_27merge_sort_block_merge_implIS3_PlPS5_mZN2at6native12_GLOBAL__N_124unique_dim_cuda_templateItEESt5tupleIJNSA_6TensorESF_SF_EERKSF_lbbbEUlllE_EE10hipError_tT0_T1_T2_jT3_P12ihipStream_tbPNSt15iterator_traitsISL_E10value_typeEPNSR_ISM_E10value_typeEPSN_NS1_7vsmem_tEENKUlT_SL_SM_SN_E_clIS8_S8_S9_S9_EESK_S10_SL_SM_SN_EUlS10_E1_NS1_11comp_targetILNS1_3genE3ELNS1_11target_archE908ELNS1_3gpuE7ELNS1_3repE0EEENS1_36merge_oddeven_config_static_selectorELNS0_4arch9wavefront6targetE1EEEvSM_,"axG",@progbits,_ZN7rocprim17ROCPRIM_400000_NS6detail17trampoline_kernelINS0_14default_configENS1_38merge_sort_block_merge_config_selectorIlNS0_10empty_typeEEEZZNS1_27merge_sort_block_merge_implIS3_PlPS5_mZN2at6native12_GLOBAL__N_124unique_dim_cuda_templateItEESt5tupleIJNSA_6TensorESF_SF_EERKSF_lbbbEUlllE_EE10hipError_tT0_T1_T2_jT3_P12ihipStream_tbPNSt15iterator_traitsISL_E10value_typeEPNSR_ISM_E10value_typeEPSN_NS1_7vsmem_tEENKUlT_SL_SM_SN_E_clIS8_S8_S9_S9_EESK_S10_SL_SM_SN_EUlS10_E1_NS1_11comp_targetILNS1_3genE3ELNS1_11target_archE908ELNS1_3gpuE7ELNS1_3repE0EEENS1_36merge_oddeven_config_static_selectorELNS0_4arch9wavefront6targetE1EEEvSM_,comdat
.Lfunc_end1390:
	.size	_ZN7rocprim17ROCPRIM_400000_NS6detail17trampoline_kernelINS0_14default_configENS1_38merge_sort_block_merge_config_selectorIlNS0_10empty_typeEEEZZNS1_27merge_sort_block_merge_implIS3_PlPS5_mZN2at6native12_GLOBAL__N_124unique_dim_cuda_templateItEESt5tupleIJNSA_6TensorESF_SF_EERKSF_lbbbEUlllE_EE10hipError_tT0_T1_T2_jT3_P12ihipStream_tbPNSt15iterator_traitsISL_E10value_typeEPNSR_ISM_E10value_typeEPSN_NS1_7vsmem_tEENKUlT_SL_SM_SN_E_clIS8_S8_S9_S9_EESK_S10_SL_SM_SN_EUlS10_E1_NS1_11comp_targetILNS1_3genE3ELNS1_11target_archE908ELNS1_3gpuE7ELNS1_3repE0EEENS1_36merge_oddeven_config_static_selectorELNS0_4arch9wavefront6targetE1EEEvSM_, .Lfunc_end1390-_ZN7rocprim17ROCPRIM_400000_NS6detail17trampoline_kernelINS0_14default_configENS1_38merge_sort_block_merge_config_selectorIlNS0_10empty_typeEEEZZNS1_27merge_sort_block_merge_implIS3_PlPS5_mZN2at6native12_GLOBAL__N_124unique_dim_cuda_templateItEESt5tupleIJNSA_6TensorESF_SF_EERKSF_lbbbEUlllE_EE10hipError_tT0_T1_T2_jT3_P12ihipStream_tbPNSt15iterator_traitsISL_E10value_typeEPNSR_ISM_E10value_typeEPSN_NS1_7vsmem_tEENKUlT_SL_SM_SN_E_clIS8_S8_S9_S9_EESK_S10_SL_SM_SN_EUlS10_E1_NS1_11comp_targetILNS1_3genE3ELNS1_11target_archE908ELNS1_3gpuE7ELNS1_3repE0EEENS1_36merge_oddeven_config_static_selectorELNS0_4arch9wavefront6targetE1EEEvSM_
                                        ; -- End function
	.set _ZN7rocprim17ROCPRIM_400000_NS6detail17trampoline_kernelINS0_14default_configENS1_38merge_sort_block_merge_config_selectorIlNS0_10empty_typeEEEZZNS1_27merge_sort_block_merge_implIS3_PlPS5_mZN2at6native12_GLOBAL__N_124unique_dim_cuda_templateItEESt5tupleIJNSA_6TensorESF_SF_EERKSF_lbbbEUlllE_EE10hipError_tT0_T1_T2_jT3_P12ihipStream_tbPNSt15iterator_traitsISL_E10value_typeEPNSR_ISM_E10value_typeEPSN_NS1_7vsmem_tEENKUlT_SL_SM_SN_E_clIS8_S8_S9_S9_EESK_S10_SL_SM_SN_EUlS10_E1_NS1_11comp_targetILNS1_3genE3ELNS1_11target_archE908ELNS1_3gpuE7ELNS1_3repE0EEENS1_36merge_oddeven_config_static_selectorELNS0_4arch9wavefront6targetE1EEEvSM_.num_vgpr, 0
	.set _ZN7rocprim17ROCPRIM_400000_NS6detail17trampoline_kernelINS0_14default_configENS1_38merge_sort_block_merge_config_selectorIlNS0_10empty_typeEEEZZNS1_27merge_sort_block_merge_implIS3_PlPS5_mZN2at6native12_GLOBAL__N_124unique_dim_cuda_templateItEESt5tupleIJNSA_6TensorESF_SF_EERKSF_lbbbEUlllE_EE10hipError_tT0_T1_T2_jT3_P12ihipStream_tbPNSt15iterator_traitsISL_E10value_typeEPNSR_ISM_E10value_typeEPSN_NS1_7vsmem_tEENKUlT_SL_SM_SN_E_clIS8_S8_S9_S9_EESK_S10_SL_SM_SN_EUlS10_E1_NS1_11comp_targetILNS1_3genE3ELNS1_11target_archE908ELNS1_3gpuE7ELNS1_3repE0EEENS1_36merge_oddeven_config_static_selectorELNS0_4arch9wavefront6targetE1EEEvSM_.num_agpr, 0
	.set _ZN7rocprim17ROCPRIM_400000_NS6detail17trampoline_kernelINS0_14default_configENS1_38merge_sort_block_merge_config_selectorIlNS0_10empty_typeEEEZZNS1_27merge_sort_block_merge_implIS3_PlPS5_mZN2at6native12_GLOBAL__N_124unique_dim_cuda_templateItEESt5tupleIJNSA_6TensorESF_SF_EERKSF_lbbbEUlllE_EE10hipError_tT0_T1_T2_jT3_P12ihipStream_tbPNSt15iterator_traitsISL_E10value_typeEPNSR_ISM_E10value_typeEPSN_NS1_7vsmem_tEENKUlT_SL_SM_SN_E_clIS8_S8_S9_S9_EESK_S10_SL_SM_SN_EUlS10_E1_NS1_11comp_targetILNS1_3genE3ELNS1_11target_archE908ELNS1_3gpuE7ELNS1_3repE0EEENS1_36merge_oddeven_config_static_selectorELNS0_4arch9wavefront6targetE1EEEvSM_.numbered_sgpr, 0
	.set _ZN7rocprim17ROCPRIM_400000_NS6detail17trampoline_kernelINS0_14default_configENS1_38merge_sort_block_merge_config_selectorIlNS0_10empty_typeEEEZZNS1_27merge_sort_block_merge_implIS3_PlPS5_mZN2at6native12_GLOBAL__N_124unique_dim_cuda_templateItEESt5tupleIJNSA_6TensorESF_SF_EERKSF_lbbbEUlllE_EE10hipError_tT0_T1_T2_jT3_P12ihipStream_tbPNSt15iterator_traitsISL_E10value_typeEPNSR_ISM_E10value_typeEPSN_NS1_7vsmem_tEENKUlT_SL_SM_SN_E_clIS8_S8_S9_S9_EESK_S10_SL_SM_SN_EUlS10_E1_NS1_11comp_targetILNS1_3genE3ELNS1_11target_archE908ELNS1_3gpuE7ELNS1_3repE0EEENS1_36merge_oddeven_config_static_selectorELNS0_4arch9wavefront6targetE1EEEvSM_.num_named_barrier, 0
	.set _ZN7rocprim17ROCPRIM_400000_NS6detail17trampoline_kernelINS0_14default_configENS1_38merge_sort_block_merge_config_selectorIlNS0_10empty_typeEEEZZNS1_27merge_sort_block_merge_implIS3_PlPS5_mZN2at6native12_GLOBAL__N_124unique_dim_cuda_templateItEESt5tupleIJNSA_6TensorESF_SF_EERKSF_lbbbEUlllE_EE10hipError_tT0_T1_T2_jT3_P12ihipStream_tbPNSt15iterator_traitsISL_E10value_typeEPNSR_ISM_E10value_typeEPSN_NS1_7vsmem_tEENKUlT_SL_SM_SN_E_clIS8_S8_S9_S9_EESK_S10_SL_SM_SN_EUlS10_E1_NS1_11comp_targetILNS1_3genE3ELNS1_11target_archE908ELNS1_3gpuE7ELNS1_3repE0EEENS1_36merge_oddeven_config_static_selectorELNS0_4arch9wavefront6targetE1EEEvSM_.private_seg_size, 0
	.set _ZN7rocprim17ROCPRIM_400000_NS6detail17trampoline_kernelINS0_14default_configENS1_38merge_sort_block_merge_config_selectorIlNS0_10empty_typeEEEZZNS1_27merge_sort_block_merge_implIS3_PlPS5_mZN2at6native12_GLOBAL__N_124unique_dim_cuda_templateItEESt5tupleIJNSA_6TensorESF_SF_EERKSF_lbbbEUlllE_EE10hipError_tT0_T1_T2_jT3_P12ihipStream_tbPNSt15iterator_traitsISL_E10value_typeEPNSR_ISM_E10value_typeEPSN_NS1_7vsmem_tEENKUlT_SL_SM_SN_E_clIS8_S8_S9_S9_EESK_S10_SL_SM_SN_EUlS10_E1_NS1_11comp_targetILNS1_3genE3ELNS1_11target_archE908ELNS1_3gpuE7ELNS1_3repE0EEENS1_36merge_oddeven_config_static_selectorELNS0_4arch9wavefront6targetE1EEEvSM_.uses_vcc, 0
	.set _ZN7rocprim17ROCPRIM_400000_NS6detail17trampoline_kernelINS0_14default_configENS1_38merge_sort_block_merge_config_selectorIlNS0_10empty_typeEEEZZNS1_27merge_sort_block_merge_implIS3_PlPS5_mZN2at6native12_GLOBAL__N_124unique_dim_cuda_templateItEESt5tupleIJNSA_6TensorESF_SF_EERKSF_lbbbEUlllE_EE10hipError_tT0_T1_T2_jT3_P12ihipStream_tbPNSt15iterator_traitsISL_E10value_typeEPNSR_ISM_E10value_typeEPSN_NS1_7vsmem_tEENKUlT_SL_SM_SN_E_clIS8_S8_S9_S9_EESK_S10_SL_SM_SN_EUlS10_E1_NS1_11comp_targetILNS1_3genE3ELNS1_11target_archE908ELNS1_3gpuE7ELNS1_3repE0EEENS1_36merge_oddeven_config_static_selectorELNS0_4arch9wavefront6targetE1EEEvSM_.uses_flat_scratch, 0
	.set _ZN7rocprim17ROCPRIM_400000_NS6detail17trampoline_kernelINS0_14default_configENS1_38merge_sort_block_merge_config_selectorIlNS0_10empty_typeEEEZZNS1_27merge_sort_block_merge_implIS3_PlPS5_mZN2at6native12_GLOBAL__N_124unique_dim_cuda_templateItEESt5tupleIJNSA_6TensorESF_SF_EERKSF_lbbbEUlllE_EE10hipError_tT0_T1_T2_jT3_P12ihipStream_tbPNSt15iterator_traitsISL_E10value_typeEPNSR_ISM_E10value_typeEPSN_NS1_7vsmem_tEENKUlT_SL_SM_SN_E_clIS8_S8_S9_S9_EESK_S10_SL_SM_SN_EUlS10_E1_NS1_11comp_targetILNS1_3genE3ELNS1_11target_archE908ELNS1_3gpuE7ELNS1_3repE0EEENS1_36merge_oddeven_config_static_selectorELNS0_4arch9wavefront6targetE1EEEvSM_.has_dyn_sized_stack, 0
	.set _ZN7rocprim17ROCPRIM_400000_NS6detail17trampoline_kernelINS0_14default_configENS1_38merge_sort_block_merge_config_selectorIlNS0_10empty_typeEEEZZNS1_27merge_sort_block_merge_implIS3_PlPS5_mZN2at6native12_GLOBAL__N_124unique_dim_cuda_templateItEESt5tupleIJNSA_6TensorESF_SF_EERKSF_lbbbEUlllE_EE10hipError_tT0_T1_T2_jT3_P12ihipStream_tbPNSt15iterator_traitsISL_E10value_typeEPNSR_ISM_E10value_typeEPSN_NS1_7vsmem_tEENKUlT_SL_SM_SN_E_clIS8_S8_S9_S9_EESK_S10_SL_SM_SN_EUlS10_E1_NS1_11comp_targetILNS1_3genE3ELNS1_11target_archE908ELNS1_3gpuE7ELNS1_3repE0EEENS1_36merge_oddeven_config_static_selectorELNS0_4arch9wavefront6targetE1EEEvSM_.has_recursion, 0
	.set _ZN7rocprim17ROCPRIM_400000_NS6detail17trampoline_kernelINS0_14default_configENS1_38merge_sort_block_merge_config_selectorIlNS0_10empty_typeEEEZZNS1_27merge_sort_block_merge_implIS3_PlPS5_mZN2at6native12_GLOBAL__N_124unique_dim_cuda_templateItEESt5tupleIJNSA_6TensorESF_SF_EERKSF_lbbbEUlllE_EE10hipError_tT0_T1_T2_jT3_P12ihipStream_tbPNSt15iterator_traitsISL_E10value_typeEPNSR_ISM_E10value_typeEPSN_NS1_7vsmem_tEENKUlT_SL_SM_SN_E_clIS8_S8_S9_S9_EESK_S10_SL_SM_SN_EUlS10_E1_NS1_11comp_targetILNS1_3genE3ELNS1_11target_archE908ELNS1_3gpuE7ELNS1_3repE0EEENS1_36merge_oddeven_config_static_selectorELNS0_4arch9wavefront6targetE1EEEvSM_.has_indirect_call, 0
	.section	.AMDGPU.csdata,"",@progbits
; Kernel info:
; codeLenInByte = 0
; TotalNumSgprs: 6
; NumVgprs: 0
; NumAgprs: 0
; TotalNumVgprs: 0
; ScratchSize: 0
; MemoryBound: 0
; FloatMode: 240
; IeeeMode: 1
; LDSByteSize: 0 bytes/workgroup (compile time only)
; SGPRBlocks: 0
; VGPRBlocks: 0
; NumSGPRsForWavesPerEU: 6
; NumVGPRsForWavesPerEU: 1
; AccumOffset: 4
; Occupancy: 8
; WaveLimiterHint : 0
; COMPUTE_PGM_RSRC2:SCRATCH_EN: 0
; COMPUTE_PGM_RSRC2:USER_SGPR: 2
; COMPUTE_PGM_RSRC2:TRAP_HANDLER: 0
; COMPUTE_PGM_RSRC2:TGID_X_EN: 1
; COMPUTE_PGM_RSRC2:TGID_Y_EN: 0
; COMPUTE_PGM_RSRC2:TGID_Z_EN: 0
; COMPUTE_PGM_RSRC2:TIDIG_COMP_CNT: 0
; COMPUTE_PGM_RSRC3_GFX90A:ACCUM_OFFSET: 0
; COMPUTE_PGM_RSRC3_GFX90A:TG_SPLIT: 0
	.section	.text._ZN7rocprim17ROCPRIM_400000_NS6detail17trampoline_kernelINS0_14default_configENS1_38merge_sort_block_merge_config_selectorIlNS0_10empty_typeEEEZZNS1_27merge_sort_block_merge_implIS3_PlPS5_mZN2at6native12_GLOBAL__N_124unique_dim_cuda_templateItEESt5tupleIJNSA_6TensorESF_SF_EERKSF_lbbbEUlllE_EE10hipError_tT0_T1_T2_jT3_P12ihipStream_tbPNSt15iterator_traitsISL_E10value_typeEPNSR_ISM_E10value_typeEPSN_NS1_7vsmem_tEENKUlT_SL_SM_SN_E_clIS8_S8_S9_S9_EESK_S10_SL_SM_SN_EUlS10_E1_NS1_11comp_targetILNS1_3genE2ELNS1_11target_archE906ELNS1_3gpuE6ELNS1_3repE0EEENS1_36merge_oddeven_config_static_selectorELNS0_4arch9wavefront6targetE1EEEvSM_,"axG",@progbits,_ZN7rocprim17ROCPRIM_400000_NS6detail17trampoline_kernelINS0_14default_configENS1_38merge_sort_block_merge_config_selectorIlNS0_10empty_typeEEEZZNS1_27merge_sort_block_merge_implIS3_PlPS5_mZN2at6native12_GLOBAL__N_124unique_dim_cuda_templateItEESt5tupleIJNSA_6TensorESF_SF_EERKSF_lbbbEUlllE_EE10hipError_tT0_T1_T2_jT3_P12ihipStream_tbPNSt15iterator_traitsISL_E10value_typeEPNSR_ISM_E10value_typeEPSN_NS1_7vsmem_tEENKUlT_SL_SM_SN_E_clIS8_S8_S9_S9_EESK_S10_SL_SM_SN_EUlS10_E1_NS1_11comp_targetILNS1_3genE2ELNS1_11target_archE906ELNS1_3gpuE6ELNS1_3repE0EEENS1_36merge_oddeven_config_static_selectorELNS0_4arch9wavefront6targetE1EEEvSM_,comdat
	.globl	_ZN7rocprim17ROCPRIM_400000_NS6detail17trampoline_kernelINS0_14default_configENS1_38merge_sort_block_merge_config_selectorIlNS0_10empty_typeEEEZZNS1_27merge_sort_block_merge_implIS3_PlPS5_mZN2at6native12_GLOBAL__N_124unique_dim_cuda_templateItEESt5tupleIJNSA_6TensorESF_SF_EERKSF_lbbbEUlllE_EE10hipError_tT0_T1_T2_jT3_P12ihipStream_tbPNSt15iterator_traitsISL_E10value_typeEPNSR_ISM_E10value_typeEPSN_NS1_7vsmem_tEENKUlT_SL_SM_SN_E_clIS8_S8_S9_S9_EESK_S10_SL_SM_SN_EUlS10_E1_NS1_11comp_targetILNS1_3genE2ELNS1_11target_archE906ELNS1_3gpuE6ELNS1_3repE0EEENS1_36merge_oddeven_config_static_selectorELNS0_4arch9wavefront6targetE1EEEvSM_ ; -- Begin function _ZN7rocprim17ROCPRIM_400000_NS6detail17trampoline_kernelINS0_14default_configENS1_38merge_sort_block_merge_config_selectorIlNS0_10empty_typeEEEZZNS1_27merge_sort_block_merge_implIS3_PlPS5_mZN2at6native12_GLOBAL__N_124unique_dim_cuda_templateItEESt5tupleIJNSA_6TensorESF_SF_EERKSF_lbbbEUlllE_EE10hipError_tT0_T1_T2_jT3_P12ihipStream_tbPNSt15iterator_traitsISL_E10value_typeEPNSR_ISM_E10value_typeEPSN_NS1_7vsmem_tEENKUlT_SL_SM_SN_E_clIS8_S8_S9_S9_EESK_S10_SL_SM_SN_EUlS10_E1_NS1_11comp_targetILNS1_3genE2ELNS1_11target_archE906ELNS1_3gpuE6ELNS1_3repE0EEENS1_36merge_oddeven_config_static_selectorELNS0_4arch9wavefront6targetE1EEEvSM_
	.p2align	8
	.type	_ZN7rocprim17ROCPRIM_400000_NS6detail17trampoline_kernelINS0_14default_configENS1_38merge_sort_block_merge_config_selectorIlNS0_10empty_typeEEEZZNS1_27merge_sort_block_merge_implIS3_PlPS5_mZN2at6native12_GLOBAL__N_124unique_dim_cuda_templateItEESt5tupleIJNSA_6TensorESF_SF_EERKSF_lbbbEUlllE_EE10hipError_tT0_T1_T2_jT3_P12ihipStream_tbPNSt15iterator_traitsISL_E10value_typeEPNSR_ISM_E10value_typeEPSN_NS1_7vsmem_tEENKUlT_SL_SM_SN_E_clIS8_S8_S9_S9_EESK_S10_SL_SM_SN_EUlS10_E1_NS1_11comp_targetILNS1_3genE2ELNS1_11target_archE906ELNS1_3gpuE6ELNS1_3repE0EEENS1_36merge_oddeven_config_static_selectorELNS0_4arch9wavefront6targetE1EEEvSM_,@function
_ZN7rocprim17ROCPRIM_400000_NS6detail17trampoline_kernelINS0_14default_configENS1_38merge_sort_block_merge_config_selectorIlNS0_10empty_typeEEEZZNS1_27merge_sort_block_merge_implIS3_PlPS5_mZN2at6native12_GLOBAL__N_124unique_dim_cuda_templateItEESt5tupleIJNSA_6TensorESF_SF_EERKSF_lbbbEUlllE_EE10hipError_tT0_T1_T2_jT3_P12ihipStream_tbPNSt15iterator_traitsISL_E10value_typeEPNSR_ISM_E10value_typeEPSN_NS1_7vsmem_tEENKUlT_SL_SM_SN_E_clIS8_S8_S9_S9_EESK_S10_SL_SM_SN_EUlS10_E1_NS1_11comp_targetILNS1_3genE2ELNS1_11target_archE906ELNS1_3gpuE6ELNS1_3repE0EEENS1_36merge_oddeven_config_static_selectorELNS0_4arch9wavefront6targetE1EEEvSM_: ; @_ZN7rocprim17ROCPRIM_400000_NS6detail17trampoline_kernelINS0_14default_configENS1_38merge_sort_block_merge_config_selectorIlNS0_10empty_typeEEEZZNS1_27merge_sort_block_merge_implIS3_PlPS5_mZN2at6native12_GLOBAL__N_124unique_dim_cuda_templateItEESt5tupleIJNSA_6TensorESF_SF_EERKSF_lbbbEUlllE_EE10hipError_tT0_T1_T2_jT3_P12ihipStream_tbPNSt15iterator_traitsISL_E10value_typeEPNSR_ISM_E10value_typeEPSN_NS1_7vsmem_tEENKUlT_SL_SM_SN_E_clIS8_S8_S9_S9_EESK_S10_SL_SM_SN_EUlS10_E1_NS1_11comp_targetILNS1_3genE2ELNS1_11target_archE906ELNS1_3gpuE6ELNS1_3repE0EEENS1_36merge_oddeven_config_static_selectorELNS0_4arch9wavefront6targetE1EEEvSM_
; %bb.0:
	.section	.rodata,"a",@progbits
	.p2align	6, 0x0
	.amdhsa_kernel _ZN7rocprim17ROCPRIM_400000_NS6detail17trampoline_kernelINS0_14default_configENS1_38merge_sort_block_merge_config_selectorIlNS0_10empty_typeEEEZZNS1_27merge_sort_block_merge_implIS3_PlPS5_mZN2at6native12_GLOBAL__N_124unique_dim_cuda_templateItEESt5tupleIJNSA_6TensorESF_SF_EERKSF_lbbbEUlllE_EE10hipError_tT0_T1_T2_jT3_P12ihipStream_tbPNSt15iterator_traitsISL_E10value_typeEPNSR_ISM_E10value_typeEPSN_NS1_7vsmem_tEENKUlT_SL_SM_SN_E_clIS8_S8_S9_S9_EESK_S10_SL_SM_SN_EUlS10_E1_NS1_11comp_targetILNS1_3genE2ELNS1_11target_archE906ELNS1_3gpuE6ELNS1_3repE0EEENS1_36merge_oddeven_config_static_selectorELNS0_4arch9wavefront6targetE1EEEvSM_
		.amdhsa_group_segment_fixed_size 0
		.amdhsa_private_segment_fixed_size 0
		.amdhsa_kernarg_size 64
		.amdhsa_user_sgpr_count 2
		.amdhsa_user_sgpr_dispatch_ptr 0
		.amdhsa_user_sgpr_queue_ptr 0
		.amdhsa_user_sgpr_kernarg_segment_ptr 1
		.amdhsa_user_sgpr_dispatch_id 0
		.amdhsa_user_sgpr_kernarg_preload_length 0
		.amdhsa_user_sgpr_kernarg_preload_offset 0
		.amdhsa_user_sgpr_private_segment_size 0
		.amdhsa_uses_dynamic_stack 0
		.amdhsa_enable_private_segment 0
		.amdhsa_system_sgpr_workgroup_id_x 1
		.amdhsa_system_sgpr_workgroup_id_y 0
		.amdhsa_system_sgpr_workgroup_id_z 0
		.amdhsa_system_sgpr_workgroup_info 0
		.amdhsa_system_vgpr_workitem_id 0
		.amdhsa_next_free_vgpr 1
		.amdhsa_next_free_sgpr 0
		.amdhsa_accum_offset 4
		.amdhsa_reserve_vcc 0
		.amdhsa_float_round_mode_32 0
		.amdhsa_float_round_mode_16_64 0
		.amdhsa_float_denorm_mode_32 3
		.amdhsa_float_denorm_mode_16_64 3
		.amdhsa_dx10_clamp 1
		.amdhsa_ieee_mode 1
		.amdhsa_fp16_overflow 0
		.amdhsa_tg_split 0
		.amdhsa_exception_fp_ieee_invalid_op 0
		.amdhsa_exception_fp_denorm_src 0
		.amdhsa_exception_fp_ieee_div_zero 0
		.amdhsa_exception_fp_ieee_overflow 0
		.amdhsa_exception_fp_ieee_underflow 0
		.amdhsa_exception_fp_ieee_inexact 0
		.amdhsa_exception_int_div_zero 0
	.end_amdhsa_kernel
	.section	.text._ZN7rocprim17ROCPRIM_400000_NS6detail17trampoline_kernelINS0_14default_configENS1_38merge_sort_block_merge_config_selectorIlNS0_10empty_typeEEEZZNS1_27merge_sort_block_merge_implIS3_PlPS5_mZN2at6native12_GLOBAL__N_124unique_dim_cuda_templateItEESt5tupleIJNSA_6TensorESF_SF_EERKSF_lbbbEUlllE_EE10hipError_tT0_T1_T2_jT3_P12ihipStream_tbPNSt15iterator_traitsISL_E10value_typeEPNSR_ISM_E10value_typeEPSN_NS1_7vsmem_tEENKUlT_SL_SM_SN_E_clIS8_S8_S9_S9_EESK_S10_SL_SM_SN_EUlS10_E1_NS1_11comp_targetILNS1_3genE2ELNS1_11target_archE906ELNS1_3gpuE6ELNS1_3repE0EEENS1_36merge_oddeven_config_static_selectorELNS0_4arch9wavefront6targetE1EEEvSM_,"axG",@progbits,_ZN7rocprim17ROCPRIM_400000_NS6detail17trampoline_kernelINS0_14default_configENS1_38merge_sort_block_merge_config_selectorIlNS0_10empty_typeEEEZZNS1_27merge_sort_block_merge_implIS3_PlPS5_mZN2at6native12_GLOBAL__N_124unique_dim_cuda_templateItEESt5tupleIJNSA_6TensorESF_SF_EERKSF_lbbbEUlllE_EE10hipError_tT0_T1_T2_jT3_P12ihipStream_tbPNSt15iterator_traitsISL_E10value_typeEPNSR_ISM_E10value_typeEPSN_NS1_7vsmem_tEENKUlT_SL_SM_SN_E_clIS8_S8_S9_S9_EESK_S10_SL_SM_SN_EUlS10_E1_NS1_11comp_targetILNS1_3genE2ELNS1_11target_archE906ELNS1_3gpuE6ELNS1_3repE0EEENS1_36merge_oddeven_config_static_selectorELNS0_4arch9wavefront6targetE1EEEvSM_,comdat
.Lfunc_end1391:
	.size	_ZN7rocprim17ROCPRIM_400000_NS6detail17trampoline_kernelINS0_14default_configENS1_38merge_sort_block_merge_config_selectorIlNS0_10empty_typeEEEZZNS1_27merge_sort_block_merge_implIS3_PlPS5_mZN2at6native12_GLOBAL__N_124unique_dim_cuda_templateItEESt5tupleIJNSA_6TensorESF_SF_EERKSF_lbbbEUlllE_EE10hipError_tT0_T1_T2_jT3_P12ihipStream_tbPNSt15iterator_traitsISL_E10value_typeEPNSR_ISM_E10value_typeEPSN_NS1_7vsmem_tEENKUlT_SL_SM_SN_E_clIS8_S8_S9_S9_EESK_S10_SL_SM_SN_EUlS10_E1_NS1_11comp_targetILNS1_3genE2ELNS1_11target_archE906ELNS1_3gpuE6ELNS1_3repE0EEENS1_36merge_oddeven_config_static_selectorELNS0_4arch9wavefront6targetE1EEEvSM_, .Lfunc_end1391-_ZN7rocprim17ROCPRIM_400000_NS6detail17trampoline_kernelINS0_14default_configENS1_38merge_sort_block_merge_config_selectorIlNS0_10empty_typeEEEZZNS1_27merge_sort_block_merge_implIS3_PlPS5_mZN2at6native12_GLOBAL__N_124unique_dim_cuda_templateItEESt5tupleIJNSA_6TensorESF_SF_EERKSF_lbbbEUlllE_EE10hipError_tT0_T1_T2_jT3_P12ihipStream_tbPNSt15iterator_traitsISL_E10value_typeEPNSR_ISM_E10value_typeEPSN_NS1_7vsmem_tEENKUlT_SL_SM_SN_E_clIS8_S8_S9_S9_EESK_S10_SL_SM_SN_EUlS10_E1_NS1_11comp_targetILNS1_3genE2ELNS1_11target_archE906ELNS1_3gpuE6ELNS1_3repE0EEENS1_36merge_oddeven_config_static_selectorELNS0_4arch9wavefront6targetE1EEEvSM_
                                        ; -- End function
	.set _ZN7rocprim17ROCPRIM_400000_NS6detail17trampoline_kernelINS0_14default_configENS1_38merge_sort_block_merge_config_selectorIlNS0_10empty_typeEEEZZNS1_27merge_sort_block_merge_implIS3_PlPS5_mZN2at6native12_GLOBAL__N_124unique_dim_cuda_templateItEESt5tupleIJNSA_6TensorESF_SF_EERKSF_lbbbEUlllE_EE10hipError_tT0_T1_T2_jT3_P12ihipStream_tbPNSt15iterator_traitsISL_E10value_typeEPNSR_ISM_E10value_typeEPSN_NS1_7vsmem_tEENKUlT_SL_SM_SN_E_clIS8_S8_S9_S9_EESK_S10_SL_SM_SN_EUlS10_E1_NS1_11comp_targetILNS1_3genE2ELNS1_11target_archE906ELNS1_3gpuE6ELNS1_3repE0EEENS1_36merge_oddeven_config_static_selectorELNS0_4arch9wavefront6targetE1EEEvSM_.num_vgpr, 0
	.set _ZN7rocprim17ROCPRIM_400000_NS6detail17trampoline_kernelINS0_14default_configENS1_38merge_sort_block_merge_config_selectorIlNS0_10empty_typeEEEZZNS1_27merge_sort_block_merge_implIS3_PlPS5_mZN2at6native12_GLOBAL__N_124unique_dim_cuda_templateItEESt5tupleIJNSA_6TensorESF_SF_EERKSF_lbbbEUlllE_EE10hipError_tT0_T1_T2_jT3_P12ihipStream_tbPNSt15iterator_traitsISL_E10value_typeEPNSR_ISM_E10value_typeEPSN_NS1_7vsmem_tEENKUlT_SL_SM_SN_E_clIS8_S8_S9_S9_EESK_S10_SL_SM_SN_EUlS10_E1_NS1_11comp_targetILNS1_3genE2ELNS1_11target_archE906ELNS1_3gpuE6ELNS1_3repE0EEENS1_36merge_oddeven_config_static_selectorELNS0_4arch9wavefront6targetE1EEEvSM_.num_agpr, 0
	.set _ZN7rocprim17ROCPRIM_400000_NS6detail17trampoline_kernelINS0_14default_configENS1_38merge_sort_block_merge_config_selectorIlNS0_10empty_typeEEEZZNS1_27merge_sort_block_merge_implIS3_PlPS5_mZN2at6native12_GLOBAL__N_124unique_dim_cuda_templateItEESt5tupleIJNSA_6TensorESF_SF_EERKSF_lbbbEUlllE_EE10hipError_tT0_T1_T2_jT3_P12ihipStream_tbPNSt15iterator_traitsISL_E10value_typeEPNSR_ISM_E10value_typeEPSN_NS1_7vsmem_tEENKUlT_SL_SM_SN_E_clIS8_S8_S9_S9_EESK_S10_SL_SM_SN_EUlS10_E1_NS1_11comp_targetILNS1_3genE2ELNS1_11target_archE906ELNS1_3gpuE6ELNS1_3repE0EEENS1_36merge_oddeven_config_static_selectorELNS0_4arch9wavefront6targetE1EEEvSM_.numbered_sgpr, 0
	.set _ZN7rocprim17ROCPRIM_400000_NS6detail17trampoline_kernelINS0_14default_configENS1_38merge_sort_block_merge_config_selectorIlNS0_10empty_typeEEEZZNS1_27merge_sort_block_merge_implIS3_PlPS5_mZN2at6native12_GLOBAL__N_124unique_dim_cuda_templateItEESt5tupleIJNSA_6TensorESF_SF_EERKSF_lbbbEUlllE_EE10hipError_tT0_T1_T2_jT3_P12ihipStream_tbPNSt15iterator_traitsISL_E10value_typeEPNSR_ISM_E10value_typeEPSN_NS1_7vsmem_tEENKUlT_SL_SM_SN_E_clIS8_S8_S9_S9_EESK_S10_SL_SM_SN_EUlS10_E1_NS1_11comp_targetILNS1_3genE2ELNS1_11target_archE906ELNS1_3gpuE6ELNS1_3repE0EEENS1_36merge_oddeven_config_static_selectorELNS0_4arch9wavefront6targetE1EEEvSM_.num_named_barrier, 0
	.set _ZN7rocprim17ROCPRIM_400000_NS6detail17trampoline_kernelINS0_14default_configENS1_38merge_sort_block_merge_config_selectorIlNS0_10empty_typeEEEZZNS1_27merge_sort_block_merge_implIS3_PlPS5_mZN2at6native12_GLOBAL__N_124unique_dim_cuda_templateItEESt5tupleIJNSA_6TensorESF_SF_EERKSF_lbbbEUlllE_EE10hipError_tT0_T1_T2_jT3_P12ihipStream_tbPNSt15iterator_traitsISL_E10value_typeEPNSR_ISM_E10value_typeEPSN_NS1_7vsmem_tEENKUlT_SL_SM_SN_E_clIS8_S8_S9_S9_EESK_S10_SL_SM_SN_EUlS10_E1_NS1_11comp_targetILNS1_3genE2ELNS1_11target_archE906ELNS1_3gpuE6ELNS1_3repE0EEENS1_36merge_oddeven_config_static_selectorELNS0_4arch9wavefront6targetE1EEEvSM_.private_seg_size, 0
	.set _ZN7rocprim17ROCPRIM_400000_NS6detail17trampoline_kernelINS0_14default_configENS1_38merge_sort_block_merge_config_selectorIlNS0_10empty_typeEEEZZNS1_27merge_sort_block_merge_implIS3_PlPS5_mZN2at6native12_GLOBAL__N_124unique_dim_cuda_templateItEESt5tupleIJNSA_6TensorESF_SF_EERKSF_lbbbEUlllE_EE10hipError_tT0_T1_T2_jT3_P12ihipStream_tbPNSt15iterator_traitsISL_E10value_typeEPNSR_ISM_E10value_typeEPSN_NS1_7vsmem_tEENKUlT_SL_SM_SN_E_clIS8_S8_S9_S9_EESK_S10_SL_SM_SN_EUlS10_E1_NS1_11comp_targetILNS1_3genE2ELNS1_11target_archE906ELNS1_3gpuE6ELNS1_3repE0EEENS1_36merge_oddeven_config_static_selectorELNS0_4arch9wavefront6targetE1EEEvSM_.uses_vcc, 0
	.set _ZN7rocprim17ROCPRIM_400000_NS6detail17trampoline_kernelINS0_14default_configENS1_38merge_sort_block_merge_config_selectorIlNS0_10empty_typeEEEZZNS1_27merge_sort_block_merge_implIS3_PlPS5_mZN2at6native12_GLOBAL__N_124unique_dim_cuda_templateItEESt5tupleIJNSA_6TensorESF_SF_EERKSF_lbbbEUlllE_EE10hipError_tT0_T1_T2_jT3_P12ihipStream_tbPNSt15iterator_traitsISL_E10value_typeEPNSR_ISM_E10value_typeEPSN_NS1_7vsmem_tEENKUlT_SL_SM_SN_E_clIS8_S8_S9_S9_EESK_S10_SL_SM_SN_EUlS10_E1_NS1_11comp_targetILNS1_3genE2ELNS1_11target_archE906ELNS1_3gpuE6ELNS1_3repE0EEENS1_36merge_oddeven_config_static_selectorELNS0_4arch9wavefront6targetE1EEEvSM_.uses_flat_scratch, 0
	.set _ZN7rocprim17ROCPRIM_400000_NS6detail17trampoline_kernelINS0_14default_configENS1_38merge_sort_block_merge_config_selectorIlNS0_10empty_typeEEEZZNS1_27merge_sort_block_merge_implIS3_PlPS5_mZN2at6native12_GLOBAL__N_124unique_dim_cuda_templateItEESt5tupleIJNSA_6TensorESF_SF_EERKSF_lbbbEUlllE_EE10hipError_tT0_T1_T2_jT3_P12ihipStream_tbPNSt15iterator_traitsISL_E10value_typeEPNSR_ISM_E10value_typeEPSN_NS1_7vsmem_tEENKUlT_SL_SM_SN_E_clIS8_S8_S9_S9_EESK_S10_SL_SM_SN_EUlS10_E1_NS1_11comp_targetILNS1_3genE2ELNS1_11target_archE906ELNS1_3gpuE6ELNS1_3repE0EEENS1_36merge_oddeven_config_static_selectorELNS0_4arch9wavefront6targetE1EEEvSM_.has_dyn_sized_stack, 0
	.set _ZN7rocprim17ROCPRIM_400000_NS6detail17trampoline_kernelINS0_14default_configENS1_38merge_sort_block_merge_config_selectorIlNS0_10empty_typeEEEZZNS1_27merge_sort_block_merge_implIS3_PlPS5_mZN2at6native12_GLOBAL__N_124unique_dim_cuda_templateItEESt5tupleIJNSA_6TensorESF_SF_EERKSF_lbbbEUlllE_EE10hipError_tT0_T1_T2_jT3_P12ihipStream_tbPNSt15iterator_traitsISL_E10value_typeEPNSR_ISM_E10value_typeEPSN_NS1_7vsmem_tEENKUlT_SL_SM_SN_E_clIS8_S8_S9_S9_EESK_S10_SL_SM_SN_EUlS10_E1_NS1_11comp_targetILNS1_3genE2ELNS1_11target_archE906ELNS1_3gpuE6ELNS1_3repE0EEENS1_36merge_oddeven_config_static_selectorELNS0_4arch9wavefront6targetE1EEEvSM_.has_recursion, 0
	.set _ZN7rocprim17ROCPRIM_400000_NS6detail17trampoline_kernelINS0_14default_configENS1_38merge_sort_block_merge_config_selectorIlNS0_10empty_typeEEEZZNS1_27merge_sort_block_merge_implIS3_PlPS5_mZN2at6native12_GLOBAL__N_124unique_dim_cuda_templateItEESt5tupleIJNSA_6TensorESF_SF_EERKSF_lbbbEUlllE_EE10hipError_tT0_T1_T2_jT3_P12ihipStream_tbPNSt15iterator_traitsISL_E10value_typeEPNSR_ISM_E10value_typeEPSN_NS1_7vsmem_tEENKUlT_SL_SM_SN_E_clIS8_S8_S9_S9_EESK_S10_SL_SM_SN_EUlS10_E1_NS1_11comp_targetILNS1_3genE2ELNS1_11target_archE906ELNS1_3gpuE6ELNS1_3repE0EEENS1_36merge_oddeven_config_static_selectorELNS0_4arch9wavefront6targetE1EEEvSM_.has_indirect_call, 0
	.section	.AMDGPU.csdata,"",@progbits
; Kernel info:
; codeLenInByte = 0
; TotalNumSgprs: 6
; NumVgprs: 0
; NumAgprs: 0
; TotalNumVgprs: 0
; ScratchSize: 0
; MemoryBound: 0
; FloatMode: 240
; IeeeMode: 1
; LDSByteSize: 0 bytes/workgroup (compile time only)
; SGPRBlocks: 0
; VGPRBlocks: 0
; NumSGPRsForWavesPerEU: 6
; NumVGPRsForWavesPerEU: 1
; AccumOffset: 4
; Occupancy: 8
; WaveLimiterHint : 0
; COMPUTE_PGM_RSRC2:SCRATCH_EN: 0
; COMPUTE_PGM_RSRC2:USER_SGPR: 2
; COMPUTE_PGM_RSRC2:TRAP_HANDLER: 0
; COMPUTE_PGM_RSRC2:TGID_X_EN: 1
; COMPUTE_PGM_RSRC2:TGID_Y_EN: 0
; COMPUTE_PGM_RSRC2:TGID_Z_EN: 0
; COMPUTE_PGM_RSRC2:TIDIG_COMP_CNT: 0
; COMPUTE_PGM_RSRC3_GFX90A:ACCUM_OFFSET: 0
; COMPUTE_PGM_RSRC3_GFX90A:TG_SPLIT: 0
	.section	.text._ZN7rocprim17ROCPRIM_400000_NS6detail17trampoline_kernelINS0_14default_configENS1_38merge_sort_block_merge_config_selectorIlNS0_10empty_typeEEEZZNS1_27merge_sort_block_merge_implIS3_PlPS5_mZN2at6native12_GLOBAL__N_124unique_dim_cuda_templateItEESt5tupleIJNSA_6TensorESF_SF_EERKSF_lbbbEUlllE_EE10hipError_tT0_T1_T2_jT3_P12ihipStream_tbPNSt15iterator_traitsISL_E10value_typeEPNSR_ISM_E10value_typeEPSN_NS1_7vsmem_tEENKUlT_SL_SM_SN_E_clIS8_S8_S9_S9_EESK_S10_SL_SM_SN_EUlS10_E1_NS1_11comp_targetILNS1_3genE9ELNS1_11target_archE1100ELNS1_3gpuE3ELNS1_3repE0EEENS1_36merge_oddeven_config_static_selectorELNS0_4arch9wavefront6targetE1EEEvSM_,"axG",@progbits,_ZN7rocprim17ROCPRIM_400000_NS6detail17trampoline_kernelINS0_14default_configENS1_38merge_sort_block_merge_config_selectorIlNS0_10empty_typeEEEZZNS1_27merge_sort_block_merge_implIS3_PlPS5_mZN2at6native12_GLOBAL__N_124unique_dim_cuda_templateItEESt5tupleIJNSA_6TensorESF_SF_EERKSF_lbbbEUlllE_EE10hipError_tT0_T1_T2_jT3_P12ihipStream_tbPNSt15iterator_traitsISL_E10value_typeEPNSR_ISM_E10value_typeEPSN_NS1_7vsmem_tEENKUlT_SL_SM_SN_E_clIS8_S8_S9_S9_EESK_S10_SL_SM_SN_EUlS10_E1_NS1_11comp_targetILNS1_3genE9ELNS1_11target_archE1100ELNS1_3gpuE3ELNS1_3repE0EEENS1_36merge_oddeven_config_static_selectorELNS0_4arch9wavefront6targetE1EEEvSM_,comdat
	.globl	_ZN7rocprim17ROCPRIM_400000_NS6detail17trampoline_kernelINS0_14default_configENS1_38merge_sort_block_merge_config_selectorIlNS0_10empty_typeEEEZZNS1_27merge_sort_block_merge_implIS3_PlPS5_mZN2at6native12_GLOBAL__N_124unique_dim_cuda_templateItEESt5tupleIJNSA_6TensorESF_SF_EERKSF_lbbbEUlllE_EE10hipError_tT0_T1_T2_jT3_P12ihipStream_tbPNSt15iterator_traitsISL_E10value_typeEPNSR_ISM_E10value_typeEPSN_NS1_7vsmem_tEENKUlT_SL_SM_SN_E_clIS8_S8_S9_S9_EESK_S10_SL_SM_SN_EUlS10_E1_NS1_11comp_targetILNS1_3genE9ELNS1_11target_archE1100ELNS1_3gpuE3ELNS1_3repE0EEENS1_36merge_oddeven_config_static_selectorELNS0_4arch9wavefront6targetE1EEEvSM_ ; -- Begin function _ZN7rocprim17ROCPRIM_400000_NS6detail17trampoline_kernelINS0_14default_configENS1_38merge_sort_block_merge_config_selectorIlNS0_10empty_typeEEEZZNS1_27merge_sort_block_merge_implIS3_PlPS5_mZN2at6native12_GLOBAL__N_124unique_dim_cuda_templateItEESt5tupleIJNSA_6TensorESF_SF_EERKSF_lbbbEUlllE_EE10hipError_tT0_T1_T2_jT3_P12ihipStream_tbPNSt15iterator_traitsISL_E10value_typeEPNSR_ISM_E10value_typeEPSN_NS1_7vsmem_tEENKUlT_SL_SM_SN_E_clIS8_S8_S9_S9_EESK_S10_SL_SM_SN_EUlS10_E1_NS1_11comp_targetILNS1_3genE9ELNS1_11target_archE1100ELNS1_3gpuE3ELNS1_3repE0EEENS1_36merge_oddeven_config_static_selectorELNS0_4arch9wavefront6targetE1EEEvSM_
	.p2align	8
	.type	_ZN7rocprim17ROCPRIM_400000_NS6detail17trampoline_kernelINS0_14default_configENS1_38merge_sort_block_merge_config_selectorIlNS0_10empty_typeEEEZZNS1_27merge_sort_block_merge_implIS3_PlPS5_mZN2at6native12_GLOBAL__N_124unique_dim_cuda_templateItEESt5tupleIJNSA_6TensorESF_SF_EERKSF_lbbbEUlllE_EE10hipError_tT0_T1_T2_jT3_P12ihipStream_tbPNSt15iterator_traitsISL_E10value_typeEPNSR_ISM_E10value_typeEPSN_NS1_7vsmem_tEENKUlT_SL_SM_SN_E_clIS8_S8_S9_S9_EESK_S10_SL_SM_SN_EUlS10_E1_NS1_11comp_targetILNS1_3genE9ELNS1_11target_archE1100ELNS1_3gpuE3ELNS1_3repE0EEENS1_36merge_oddeven_config_static_selectorELNS0_4arch9wavefront6targetE1EEEvSM_,@function
_ZN7rocprim17ROCPRIM_400000_NS6detail17trampoline_kernelINS0_14default_configENS1_38merge_sort_block_merge_config_selectorIlNS0_10empty_typeEEEZZNS1_27merge_sort_block_merge_implIS3_PlPS5_mZN2at6native12_GLOBAL__N_124unique_dim_cuda_templateItEESt5tupleIJNSA_6TensorESF_SF_EERKSF_lbbbEUlllE_EE10hipError_tT0_T1_T2_jT3_P12ihipStream_tbPNSt15iterator_traitsISL_E10value_typeEPNSR_ISM_E10value_typeEPSN_NS1_7vsmem_tEENKUlT_SL_SM_SN_E_clIS8_S8_S9_S9_EESK_S10_SL_SM_SN_EUlS10_E1_NS1_11comp_targetILNS1_3genE9ELNS1_11target_archE1100ELNS1_3gpuE3ELNS1_3repE0EEENS1_36merge_oddeven_config_static_selectorELNS0_4arch9wavefront6targetE1EEEvSM_: ; @_ZN7rocprim17ROCPRIM_400000_NS6detail17trampoline_kernelINS0_14default_configENS1_38merge_sort_block_merge_config_selectorIlNS0_10empty_typeEEEZZNS1_27merge_sort_block_merge_implIS3_PlPS5_mZN2at6native12_GLOBAL__N_124unique_dim_cuda_templateItEESt5tupleIJNSA_6TensorESF_SF_EERKSF_lbbbEUlllE_EE10hipError_tT0_T1_T2_jT3_P12ihipStream_tbPNSt15iterator_traitsISL_E10value_typeEPNSR_ISM_E10value_typeEPSN_NS1_7vsmem_tEENKUlT_SL_SM_SN_E_clIS8_S8_S9_S9_EESK_S10_SL_SM_SN_EUlS10_E1_NS1_11comp_targetILNS1_3genE9ELNS1_11target_archE1100ELNS1_3gpuE3ELNS1_3repE0EEENS1_36merge_oddeven_config_static_selectorELNS0_4arch9wavefront6targetE1EEEvSM_
; %bb.0:
	.section	.rodata,"a",@progbits
	.p2align	6, 0x0
	.amdhsa_kernel _ZN7rocprim17ROCPRIM_400000_NS6detail17trampoline_kernelINS0_14default_configENS1_38merge_sort_block_merge_config_selectorIlNS0_10empty_typeEEEZZNS1_27merge_sort_block_merge_implIS3_PlPS5_mZN2at6native12_GLOBAL__N_124unique_dim_cuda_templateItEESt5tupleIJNSA_6TensorESF_SF_EERKSF_lbbbEUlllE_EE10hipError_tT0_T1_T2_jT3_P12ihipStream_tbPNSt15iterator_traitsISL_E10value_typeEPNSR_ISM_E10value_typeEPSN_NS1_7vsmem_tEENKUlT_SL_SM_SN_E_clIS8_S8_S9_S9_EESK_S10_SL_SM_SN_EUlS10_E1_NS1_11comp_targetILNS1_3genE9ELNS1_11target_archE1100ELNS1_3gpuE3ELNS1_3repE0EEENS1_36merge_oddeven_config_static_selectorELNS0_4arch9wavefront6targetE1EEEvSM_
		.amdhsa_group_segment_fixed_size 0
		.amdhsa_private_segment_fixed_size 0
		.amdhsa_kernarg_size 64
		.amdhsa_user_sgpr_count 2
		.amdhsa_user_sgpr_dispatch_ptr 0
		.amdhsa_user_sgpr_queue_ptr 0
		.amdhsa_user_sgpr_kernarg_segment_ptr 1
		.amdhsa_user_sgpr_dispatch_id 0
		.amdhsa_user_sgpr_kernarg_preload_length 0
		.amdhsa_user_sgpr_kernarg_preload_offset 0
		.amdhsa_user_sgpr_private_segment_size 0
		.amdhsa_uses_dynamic_stack 0
		.amdhsa_enable_private_segment 0
		.amdhsa_system_sgpr_workgroup_id_x 1
		.amdhsa_system_sgpr_workgroup_id_y 0
		.amdhsa_system_sgpr_workgroup_id_z 0
		.amdhsa_system_sgpr_workgroup_info 0
		.amdhsa_system_vgpr_workitem_id 0
		.amdhsa_next_free_vgpr 1
		.amdhsa_next_free_sgpr 0
		.amdhsa_accum_offset 4
		.amdhsa_reserve_vcc 0
		.amdhsa_float_round_mode_32 0
		.amdhsa_float_round_mode_16_64 0
		.amdhsa_float_denorm_mode_32 3
		.amdhsa_float_denorm_mode_16_64 3
		.amdhsa_dx10_clamp 1
		.amdhsa_ieee_mode 1
		.amdhsa_fp16_overflow 0
		.amdhsa_tg_split 0
		.amdhsa_exception_fp_ieee_invalid_op 0
		.amdhsa_exception_fp_denorm_src 0
		.amdhsa_exception_fp_ieee_div_zero 0
		.amdhsa_exception_fp_ieee_overflow 0
		.amdhsa_exception_fp_ieee_underflow 0
		.amdhsa_exception_fp_ieee_inexact 0
		.amdhsa_exception_int_div_zero 0
	.end_amdhsa_kernel
	.section	.text._ZN7rocprim17ROCPRIM_400000_NS6detail17trampoline_kernelINS0_14default_configENS1_38merge_sort_block_merge_config_selectorIlNS0_10empty_typeEEEZZNS1_27merge_sort_block_merge_implIS3_PlPS5_mZN2at6native12_GLOBAL__N_124unique_dim_cuda_templateItEESt5tupleIJNSA_6TensorESF_SF_EERKSF_lbbbEUlllE_EE10hipError_tT0_T1_T2_jT3_P12ihipStream_tbPNSt15iterator_traitsISL_E10value_typeEPNSR_ISM_E10value_typeEPSN_NS1_7vsmem_tEENKUlT_SL_SM_SN_E_clIS8_S8_S9_S9_EESK_S10_SL_SM_SN_EUlS10_E1_NS1_11comp_targetILNS1_3genE9ELNS1_11target_archE1100ELNS1_3gpuE3ELNS1_3repE0EEENS1_36merge_oddeven_config_static_selectorELNS0_4arch9wavefront6targetE1EEEvSM_,"axG",@progbits,_ZN7rocprim17ROCPRIM_400000_NS6detail17trampoline_kernelINS0_14default_configENS1_38merge_sort_block_merge_config_selectorIlNS0_10empty_typeEEEZZNS1_27merge_sort_block_merge_implIS3_PlPS5_mZN2at6native12_GLOBAL__N_124unique_dim_cuda_templateItEESt5tupleIJNSA_6TensorESF_SF_EERKSF_lbbbEUlllE_EE10hipError_tT0_T1_T2_jT3_P12ihipStream_tbPNSt15iterator_traitsISL_E10value_typeEPNSR_ISM_E10value_typeEPSN_NS1_7vsmem_tEENKUlT_SL_SM_SN_E_clIS8_S8_S9_S9_EESK_S10_SL_SM_SN_EUlS10_E1_NS1_11comp_targetILNS1_3genE9ELNS1_11target_archE1100ELNS1_3gpuE3ELNS1_3repE0EEENS1_36merge_oddeven_config_static_selectorELNS0_4arch9wavefront6targetE1EEEvSM_,comdat
.Lfunc_end1392:
	.size	_ZN7rocprim17ROCPRIM_400000_NS6detail17trampoline_kernelINS0_14default_configENS1_38merge_sort_block_merge_config_selectorIlNS0_10empty_typeEEEZZNS1_27merge_sort_block_merge_implIS3_PlPS5_mZN2at6native12_GLOBAL__N_124unique_dim_cuda_templateItEESt5tupleIJNSA_6TensorESF_SF_EERKSF_lbbbEUlllE_EE10hipError_tT0_T1_T2_jT3_P12ihipStream_tbPNSt15iterator_traitsISL_E10value_typeEPNSR_ISM_E10value_typeEPSN_NS1_7vsmem_tEENKUlT_SL_SM_SN_E_clIS8_S8_S9_S9_EESK_S10_SL_SM_SN_EUlS10_E1_NS1_11comp_targetILNS1_3genE9ELNS1_11target_archE1100ELNS1_3gpuE3ELNS1_3repE0EEENS1_36merge_oddeven_config_static_selectorELNS0_4arch9wavefront6targetE1EEEvSM_, .Lfunc_end1392-_ZN7rocprim17ROCPRIM_400000_NS6detail17trampoline_kernelINS0_14default_configENS1_38merge_sort_block_merge_config_selectorIlNS0_10empty_typeEEEZZNS1_27merge_sort_block_merge_implIS3_PlPS5_mZN2at6native12_GLOBAL__N_124unique_dim_cuda_templateItEESt5tupleIJNSA_6TensorESF_SF_EERKSF_lbbbEUlllE_EE10hipError_tT0_T1_T2_jT3_P12ihipStream_tbPNSt15iterator_traitsISL_E10value_typeEPNSR_ISM_E10value_typeEPSN_NS1_7vsmem_tEENKUlT_SL_SM_SN_E_clIS8_S8_S9_S9_EESK_S10_SL_SM_SN_EUlS10_E1_NS1_11comp_targetILNS1_3genE9ELNS1_11target_archE1100ELNS1_3gpuE3ELNS1_3repE0EEENS1_36merge_oddeven_config_static_selectorELNS0_4arch9wavefront6targetE1EEEvSM_
                                        ; -- End function
	.set _ZN7rocprim17ROCPRIM_400000_NS6detail17trampoline_kernelINS0_14default_configENS1_38merge_sort_block_merge_config_selectorIlNS0_10empty_typeEEEZZNS1_27merge_sort_block_merge_implIS3_PlPS5_mZN2at6native12_GLOBAL__N_124unique_dim_cuda_templateItEESt5tupleIJNSA_6TensorESF_SF_EERKSF_lbbbEUlllE_EE10hipError_tT0_T1_T2_jT3_P12ihipStream_tbPNSt15iterator_traitsISL_E10value_typeEPNSR_ISM_E10value_typeEPSN_NS1_7vsmem_tEENKUlT_SL_SM_SN_E_clIS8_S8_S9_S9_EESK_S10_SL_SM_SN_EUlS10_E1_NS1_11comp_targetILNS1_3genE9ELNS1_11target_archE1100ELNS1_3gpuE3ELNS1_3repE0EEENS1_36merge_oddeven_config_static_selectorELNS0_4arch9wavefront6targetE1EEEvSM_.num_vgpr, 0
	.set _ZN7rocprim17ROCPRIM_400000_NS6detail17trampoline_kernelINS0_14default_configENS1_38merge_sort_block_merge_config_selectorIlNS0_10empty_typeEEEZZNS1_27merge_sort_block_merge_implIS3_PlPS5_mZN2at6native12_GLOBAL__N_124unique_dim_cuda_templateItEESt5tupleIJNSA_6TensorESF_SF_EERKSF_lbbbEUlllE_EE10hipError_tT0_T1_T2_jT3_P12ihipStream_tbPNSt15iterator_traitsISL_E10value_typeEPNSR_ISM_E10value_typeEPSN_NS1_7vsmem_tEENKUlT_SL_SM_SN_E_clIS8_S8_S9_S9_EESK_S10_SL_SM_SN_EUlS10_E1_NS1_11comp_targetILNS1_3genE9ELNS1_11target_archE1100ELNS1_3gpuE3ELNS1_3repE0EEENS1_36merge_oddeven_config_static_selectorELNS0_4arch9wavefront6targetE1EEEvSM_.num_agpr, 0
	.set _ZN7rocprim17ROCPRIM_400000_NS6detail17trampoline_kernelINS0_14default_configENS1_38merge_sort_block_merge_config_selectorIlNS0_10empty_typeEEEZZNS1_27merge_sort_block_merge_implIS3_PlPS5_mZN2at6native12_GLOBAL__N_124unique_dim_cuda_templateItEESt5tupleIJNSA_6TensorESF_SF_EERKSF_lbbbEUlllE_EE10hipError_tT0_T1_T2_jT3_P12ihipStream_tbPNSt15iterator_traitsISL_E10value_typeEPNSR_ISM_E10value_typeEPSN_NS1_7vsmem_tEENKUlT_SL_SM_SN_E_clIS8_S8_S9_S9_EESK_S10_SL_SM_SN_EUlS10_E1_NS1_11comp_targetILNS1_3genE9ELNS1_11target_archE1100ELNS1_3gpuE3ELNS1_3repE0EEENS1_36merge_oddeven_config_static_selectorELNS0_4arch9wavefront6targetE1EEEvSM_.numbered_sgpr, 0
	.set _ZN7rocprim17ROCPRIM_400000_NS6detail17trampoline_kernelINS0_14default_configENS1_38merge_sort_block_merge_config_selectorIlNS0_10empty_typeEEEZZNS1_27merge_sort_block_merge_implIS3_PlPS5_mZN2at6native12_GLOBAL__N_124unique_dim_cuda_templateItEESt5tupleIJNSA_6TensorESF_SF_EERKSF_lbbbEUlllE_EE10hipError_tT0_T1_T2_jT3_P12ihipStream_tbPNSt15iterator_traitsISL_E10value_typeEPNSR_ISM_E10value_typeEPSN_NS1_7vsmem_tEENKUlT_SL_SM_SN_E_clIS8_S8_S9_S9_EESK_S10_SL_SM_SN_EUlS10_E1_NS1_11comp_targetILNS1_3genE9ELNS1_11target_archE1100ELNS1_3gpuE3ELNS1_3repE0EEENS1_36merge_oddeven_config_static_selectorELNS0_4arch9wavefront6targetE1EEEvSM_.num_named_barrier, 0
	.set _ZN7rocprim17ROCPRIM_400000_NS6detail17trampoline_kernelINS0_14default_configENS1_38merge_sort_block_merge_config_selectorIlNS0_10empty_typeEEEZZNS1_27merge_sort_block_merge_implIS3_PlPS5_mZN2at6native12_GLOBAL__N_124unique_dim_cuda_templateItEESt5tupleIJNSA_6TensorESF_SF_EERKSF_lbbbEUlllE_EE10hipError_tT0_T1_T2_jT3_P12ihipStream_tbPNSt15iterator_traitsISL_E10value_typeEPNSR_ISM_E10value_typeEPSN_NS1_7vsmem_tEENKUlT_SL_SM_SN_E_clIS8_S8_S9_S9_EESK_S10_SL_SM_SN_EUlS10_E1_NS1_11comp_targetILNS1_3genE9ELNS1_11target_archE1100ELNS1_3gpuE3ELNS1_3repE0EEENS1_36merge_oddeven_config_static_selectorELNS0_4arch9wavefront6targetE1EEEvSM_.private_seg_size, 0
	.set _ZN7rocprim17ROCPRIM_400000_NS6detail17trampoline_kernelINS0_14default_configENS1_38merge_sort_block_merge_config_selectorIlNS0_10empty_typeEEEZZNS1_27merge_sort_block_merge_implIS3_PlPS5_mZN2at6native12_GLOBAL__N_124unique_dim_cuda_templateItEESt5tupleIJNSA_6TensorESF_SF_EERKSF_lbbbEUlllE_EE10hipError_tT0_T1_T2_jT3_P12ihipStream_tbPNSt15iterator_traitsISL_E10value_typeEPNSR_ISM_E10value_typeEPSN_NS1_7vsmem_tEENKUlT_SL_SM_SN_E_clIS8_S8_S9_S9_EESK_S10_SL_SM_SN_EUlS10_E1_NS1_11comp_targetILNS1_3genE9ELNS1_11target_archE1100ELNS1_3gpuE3ELNS1_3repE0EEENS1_36merge_oddeven_config_static_selectorELNS0_4arch9wavefront6targetE1EEEvSM_.uses_vcc, 0
	.set _ZN7rocprim17ROCPRIM_400000_NS6detail17trampoline_kernelINS0_14default_configENS1_38merge_sort_block_merge_config_selectorIlNS0_10empty_typeEEEZZNS1_27merge_sort_block_merge_implIS3_PlPS5_mZN2at6native12_GLOBAL__N_124unique_dim_cuda_templateItEESt5tupleIJNSA_6TensorESF_SF_EERKSF_lbbbEUlllE_EE10hipError_tT0_T1_T2_jT3_P12ihipStream_tbPNSt15iterator_traitsISL_E10value_typeEPNSR_ISM_E10value_typeEPSN_NS1_7vsmem_tEENKUlT_SL_SM_SN_E_clIS8_S8_S9_S9_EESK_S10_SL_SM_SN_EUlS10_E1_NS1_11comp_targetILNS1_3genE9ELNS1_11target_archE1100ELNS1_3gpuE3ELNS1_3repE0EEENS1_36merge_oddeven_config_static_selectorELNS0_4arch9wavefront6targetE1EEEvSM_.uses_flat_scratch, 0
	.set _ZN7rocprim17ROCPRIM_400000_NS6detail17trampoline_kernelINS0_14default_configENS1_38merge_sort_block_merge_config_selectorIlNS0_10empty_typeEEEZZNS1_27merge_sort_block_merge_implIS3_PlPS5_mZN2at6native12_GLOBAL__N_124unique_dim_cuda_templateItEESt5tupleIJNSA_6TensorESF_SF_EERKSF_lbbbEUlllE_EE10hipError_tT0_T1_T2_jT3_P12ihipStream_tbPNSt15iterator_traitsISL_E10value_typeEPNSR_ISM_E10value_typeEPSN_NS1_7vsmem_tEENKUlT_SL_SM_SN_E_clIS8_S8_S9_S9_EESK_S10_SL_SM_SN_EUlS10_E1_NS1_11comp_targetILNS1_3genE9ELNS1_11target_archE1100ELNS1_3gpuE3ELNS1_3repE0EEENS1_36merge_oddeven_config_static_selectorELNS0_4arch9wavefront6targetE1EEEvSM_.has_dyn_sized_stack, 0
	.set _ZN7rocprim17ROCPRIM_400000_NS6detail17trampoline_kernelINS0_14default_configENS1_38merge_sort_block_merge_config_selectorIlNS0_10empty_typeEEEZZNS1_27merge_sort_block_merge_implIS3_PlPS5_mZN2at6native12_GLOBAL__N_124unique_dim_cuda_templateItEESt5tupleIJNSA_6TensorESF_SF_EERKSF_lbbbEUlllE_EE10hipError_tT0_T1_T2_jT3_P12ihipStream_tbPNSt15iterator_traitsISL_E10value_typeEPNSR_ISM_E10value_typeEPSN_NS1_7vsmem_tEENKUlT_SL_SM_SN_E_clIS8_S8_S9_S9_EESK_S10_SL_SM_SN_EUlS10_E1_NS1_11comp_targetILNS1_3genE9ELNS1_11target_archE1100ELNS1_3gpuE3ELNS1_3repE0EEENS1_36merge_oddeven_config_static_selectorELNS0_4arch9wavefront6targetE1EEEvSM_.has_recursion, 0
	.set _ZN7rocprim17ROCPRIM_400000_NS6detail17trampoline_kernelINS0_14default_configENS1_38merge_sort_block_merge_config_selectorIlNS0_10empty_typeEEEZZNS1_27merge_sort_block_merge_implIS3_PlPS5_mZN2at6native12_GLOBAL__N_124unique_dim_cuda_templateItEESt5tupleIJNSA_6TensorESF_SF_EERKSF_lbbbEUlllE_EE10hipError_tT0_T1_T2_jT3_P12ihipStream_tbPNSt15iterator_traitsISL_E10value_typeEPNSR_ISM_E10value_typeEPSN_NS1_7vsmem_tEENKUlT_SL_SM_SN_E_clIS8_S8_S9_S9_EESK_S10_SL_SM_SN_EUlS10_E1_NS1_11comp_targetILNS1_3genE9ELNS1_11target_archE1100ELNS1_3gpuE3ELNS1_3repE0EEENS1_36merge_oddeven_config_static_selectorELNS0_4arch9wavefront6targetE1EEEvSM_.has_indirect_call, 0
	.section	.AMDGPU.csdata,"",@progbits
; Kernel info:
; codeLenInByte = 0
; TotalNumSgprs: 6
; NumVgprs: 0
; NumAgprs: 0
; TotalNumVgprs: 0
; ScratchSize: 0
; MemoryBound: 0
; FloatMode: 240
; IeeeMode: 1
; LDSByteSize: 0 bytes/workgroup (compile time only)
; SGPRBlocks: 0
; VGPRBlocks: 0
; NumSGPRsForWavesPerEU: 6
; NumVGPRsForWavesPerEU: 1
; AccumOffset: 4
; Occupancy: 8
; WaveLimiterHint : 0
; COMPUTE_PGM_RSRC2:SCRATCH_EN: 0
; COMPUTE_PGM_RSRC2:USER_SGPR: 2
; COMPUTE_PGM_RSRC2:TRAP_HANDLER: 0
; COMPUTE_PGM_RSRC2:TGID_X_EN: 1
; COMPUTE_PGM_RSRC2:TGID_Y_EN: 0
; COMPUTE_PGM_RSRC2:TGID_Z_EN: 0
; COMPUTE_PGM_RSRC2:TIDIG_COMP_CNT: 0
; COMPUTE_PGM_RSRC3_GFX90A:ACCUM_OFFSET: 0
; COMPUTE_PGM_RSRC3_GFX90A:TG_SPLIT: 0
	.section	.text._ZN7rocprim17ROCPRIM_400000_NS6detail17trampoline_kernelINS0_14default_configENS1_38merge_sort_block_merge_config_selectorIlNS0_10empty_typeEEEZZNS1_27merge_sort_block_merge_implIS3_PlPS5_mZN2at6native12_GLOBAL__N_124unique_dim_cuda_templateItEESt5tupleIJNSA_6TensorESF_SF_EERKSF_lbbbEUlllE_EE10hipError_tT0_T1_T2_jT3_P12ihipStream_tbPNSt15iterator_traitsISL_E10value_typeEPNSR_ISM_E10value_typeEPSN_NS1_7vsmem_tEENKUlT_SL_SM_SN_E_clIS8_S8_S9_S9_EESK_S10_SL_SM_SN_EUlS10_E1_NS1_11comp_targetILNS1_3genE8ELNS1_11target_archE1030ELNS1_3gpuE2ELNS1_3repE0EEENS1_36merge_oddeven_config_static_selectorELNS0_4arch9wavefront6targetE1EEEvSM_,"axG",@progbits,_ZN7rocprim17ROCPRIM_400000_NS6detail17trampoline_kernelINS0_14default_configENS1_38merge_sort_block_merge_config_selectorIlNS0_10empty_typeEEEZZNS1_27merge_sort_block_merge_implIS3_PlPS5_mZN2at6native12_GLOBAL__N_124unique_dim_cuda_templateItEESt5tupleIJNSA_6TensorESF_SF_EERKSF_lbbbEUlllE_EE10hipError_tT0_T1_T2_jT3_P12ihipStream_tbPNSt15iterator_traitsISL_E10value_typeEPNSR_ISM_E10value_typeEPSN_NS1_7vsmem_tEENKUlT_SL_SM_SN_E_clIS8_S8_S9_S9_EESK_S10_SL_SM_SN_EUlS10_E1_NS1_11comp_targetILNS1_3genE8ELNS1_11target_archE1030ELNS1_3gpuE2ELNS1_3repE0EEENS1_36merge_oddeven_config_static_selectorELNS0_4arch9wavefront6targetE1EEEvSM_,comdat
	.globl	_ZN7rocprim17ROCPRIM_400000_NS6detail17trampoline_kernelINS0_14default_configENS1_38merge_sort_block_merge_config_selectorIlNS0_10empty_typeEEEZZNS1_27merge_sort_block_merge_implIS3_PlPS5_mZN2at6native12_GLOBAL__N_124unique_dim_cuda_templateItEESt5tupleIJNSA_6TensorESF_SF_EERKSF_lbbbEUlllE_EE10hipError_tT0_T1_T2_jT3_P12ihipStream_tbPNSt15iterator_traitsISL_E10value_typeEPNSR_ISM_E10value_typeEPSN_NS1_7vsmem_tEENKUlT_SL_SM_SN_E_clIS8_S8_S9_S9_EESK_S10_SL_SM_SN_EUlS10_E1_NS1_11comp_targetILNS1_3genE8ELNS1_11target_archE1030ELNS1_3gpuE2ELNS1_3repE0EEENS1_36merge_oddeven_config_static_selectorELNS0_4arch9wavefront6targetE1EEEvSM_ ; -- Begin function _ZN7rocprim17ROCPRIM_400000_NS6detail17trampoline_kernelINS0_14default_configENS1_38merge_sort_block_merge_config_selectorIlNS0_10empty_typeEEEZZNS1_27merge_sort_block_merge_implIS3_PlPS5_mZN2at6native12_GLOBAL__N_124unique_dim_cuda_templateItEESt5tupleIJNSA_6TensorESF_SF_EERKSF_lbbbEUlllE_EE10hipError_tT0_T1_T2_jT3_P12ihipStream_tbPNSt15iterator_traitsISL_E10value_typeEPNSR_ISM_E10value_typeEPSN_NS1_7vsmem_tEENKUlT_SL_SM_SN_E_clIS8_S8_S9_S9_EESK_S10_SL_SM_SN_EUlS10_E1_NS1_11comp_targetILNS1_3genE8ELNS1_11target_archE1030ELNS1_3gpuE2ELNS1_3repE0EEENS1_36merge_oddeven_config_static_selectorELNS0_4arch9wavefront6targetE1EEEvSM_
	.p2align	8
	.type	_ZN7rocprim17ROCPRIM_400000_NS6detail17trampoline_kernelINS0_14default_configENS1_38merge_sort_block_merge_config_selectorIlNS0_10empty_typeEEEZZNS1_27merge_sort_block_merge_implIS3_PlPS5_mZN2at6native12_GLOBAL__N_124unique_dim_cuda_templateItEESt5tupleIJNSA_6TensorESF_SF_EERKSF_lbbbEUlllE_EE10hipError_tT0_T1_T2_jT3_P12ihipStream_tbPNSt15iterator_traitsISL_E10value_typeEPNSR_ISM_E10value_typeEPSN_NS1_7vsmem_tEENKUlT_SL_SM_SN_E_clIS8_S8_S9_S9_EESK_S10_SL_SM_SN_EUlS10_E1_NS1_11comp_targetILNS1_3genE8ELNS1_11target_archE1030ELNS1_3gpuE2ELNS1_3repE0EEENS1_36merge_oddeven_config_static_selectorELNS0_4arch9wavefront6targetE1EEEvSM_,@function
_ZN7rocprim17ROCPRIM_400000_NS6detail17trampoline_kernelINS0_14default_configENS1_38merge_sort_block_merge_config_selectorIlNS0_10empty_typeEEEZZNS1_27merge_sort_block_merge_implIS3_PlPS5_mZN2at6native12_GLOBAL__N_124unique_dim_cuda_templateItEESt5tupleIJNSA_6TensorESF_SF_EERKSF_lbbbEUlllE_EE10hipError_tT0_T1_T2_jT3_P12ihipStream_tbPNSt15iterator_traitsISL_E10value_typeEPNSR_ISM_E10value_typeEPSN_NS1_7vsmem_tEENKUlT_SL_SM_SN_E_clIS8_S8_S9_S9_EESK_S10_SL_SM_SN_EUlS10_E1_NS1_11comp_targetILNS1_3genE8ELNS1_11target_archE1030ELNS1_3gpuE2ELNS1_3repE0EEENS1_36merge_oddeven_config_static_selectorELNS0_4arch9wavefront6targetE1EEEvSM_: ; @_ZN7rocprim17ROCPRIM_400000_NS6detail17trampoline_kernelINS0_14default_configENS1_38merge_sort_block_merge_config_selectorIlNS0_10empty_typeEEEZZNS1_27merge_sort_block_merge_implIS3_PlPS5_mZN2at6native12_GLOBAL__N_124unique_dim_cuda_templateItEESt5tupleIJNSA_6TensorESF_SF_EERKSF_lbbbEUlllE_EE10hipError_tT0_T1_T2_jT3_P12ihipStream_tbPNSt15iterator_traitsISL_E10value_typeEPNSR_ISM_E10value_typeEPSN_NS1_7vsmem_tEENKUlT_SL_SM_SN_E_clIS8_S8_S9_S9_EESK_S10_SL_SM_SN_EUlS10_E1_NS1_11comp_targetILNS1_3genE8ELNS1_11target_archE1030ELNS1_3gpuE2ELNS1_3repE0EEENS1_36merge_oddeven_config_static_selectorELNS0_4arch9wavefront6targetE1EEEvSM_
; %bb.0:
	.section	.rodata,"a",@progbits
	.p2align	6, 0x0
	.amdhsa_kernel _ZN7rocprim17ROCPRIM_400000_NS6detail17trampoline_kernelINS0_14default_configENS1_38merge_sort_block_merge_config_selectorIlNS0_10empty_typeEEEZZNS1_27merge_sort_block_merge_implIS3_PlPS5_mZN2at6native12_GLOBAL__N_124unique_dim_cuda_templateItEESt5tupleIJNSA_6TensorESF_SF_EERKSF_lbbbEUlllE_EE10hipError_tT0_T1_T2_jT3_P12ihipStream_tbPNSt15iterator_traitsISL_E10value_typeEPNSR_ISM_E10value_typeEPSN_NS1_7vsmem_tEENKUlT_SL_SM_SN_E_clIS8_S8_S9_S9_EESK_S10_SL_SM_SN_EUlS10_E1_NS1_11comp_targetILNS1_3genE8ELNS1_11target_archE1030ELNS1_3gpuE2ELNS1_3repE0EEENS1_36merge_oddeven_config_static_selectorELNS0_4arch9wavefront6targetE1EEEvSM_
		.amdhsa_group_segment_fixed_size 0
		.amdhsa_private_segment_fixed_size 0
		.amdhsa_kernarg_size 64
		.amdhsa_user_sgpr_count 2
		.amdhsa_user_sgpr_dispatch_ptr 0
		.amdhsa_user_sgpr_queue_ptr 0
		.amdhsa_user_sgpr_kernarg_segment_ptr 1
		.amdhsa_user_sgpr_dispatch_id 0
		.amdhsa_user_sgpr_kernarg_preload_length 0
		.amdhsa_user_sgpr_kernarg_preload_offset 0
		.amdhsa_user_sgpr_private_segment_size 0
		.amdhsa_uses_dynamic_stack 0
		.amdhsa_enable_private_segment 0
		.amdhsa_system_sgpr_workgroup_id_x 1
		.amdhsa_system_sgpr_workgroup_id_y 0
		.amdhsa_system_sgpr_workgroup_id_z 0
		.amdhsa_system_sgpr_workgroup_info 0
		.amdhsa_system_vgpr_workitem_id 0
		.amdhsa_next_free_vgpr 1
		.amdhsa_next_free_sgpr 0
		.amdhsa_accum_offset 4
		.amdhsa_reserve_vcc 0
		.amdhsa_float_round_mode_32 0
		.amdhsa_float_round_mode_16_64 0
		.amdhsa_float_denorm_mode_32 3
		.amdhsa_float_denorm_mode_16_64 3
		.amdhsa_dx10_clamp 1
		.amdhsa_ieee_mode 1
		.amdhsa_fp16_overflow 0
		.amdhsa_tg_split 0
		.amdhsa_exception_fp_ieee_invalid_op 0
		.amdhsa_exception_fp_denorm_src 0
		.amdhsa_exception_fp_ieee_div_zero 0
		.amdhsa_exception_fp_ieee_overflow 0
		.amdhsa_exception_fp_ieee_underflow 0
		.amdhsa_exception_fp_ieee_inexact 0
		.amdhsa_exception_int_div_zero 0
	.end_amdhsa_kernel
	.section	.text._ZN7rocprim17ROCPRIM_400000_NS6detail17trampoline_kernelINS0_14default_configENS1_38merge_sort_block_merge_config_selectorIlNS0_10empty_typeEEEZZNS1_27merge_sort_block_merge_implIS3_PlPS5_mZN2at6native12_GLOBAL__N_124unique_dim_cuda_templateItEESt5tupleIJNSA_6TensorESF_SF_EERKSF_lbbbEUlllE_EE10hipError_tT0_T1_T2_jT3_P12ihipStream_tbPNSt15iterator_traitsISL_E10value_typeEPNSR_ISM_E10value_typeEPSN_NS1_7vsmem_tEENKUlT_SL_SM_SN_E_clIS8_S8_S9_S9_EESK_S10_SL_SM_SN_EUlS10_E1_NS1_11comp_targetILNS1_3genE8ELNS1_11target_archE1030ELNS1_3gpuE2ELNS1_3repE0EEENS1_36merge_oddeven_config_static_selectorELNS0_4arch9wavefront6targetE1EEEvSM_,"axG",@progbits,_ZN7rocprim17ROCPRIM_400000_NS6detail17trampoline_kernelINS0_14default_configENS1_38merge_sort_block_merge_config_selectorIlNS0_10empty_typeEEEZZNS1_27merge_sort_block_merge_implIS3_PlPS5_mZN2at6native12_GLOBAL__N_124unique_dim_cuda_templateItEESt5tupleIJNSA_6TensorESF_SF_EERKSF_lbbbEUlllE_EE10hipError_tT0_T1_T2_jT3_P12ihipStream_tbPNSt15iterator_traitsISL_E10value_typeEPNSR_ISM_E10value_typeEPSN_NS1_7vsmem_tEENKUlT_SL_SM_SN_E_clIS8_S8_S9_S9_EESK_S10_SL_SM_SN_EUlS10_E1_NS1_11comp_targetILNS1_3genE8ELNS1_11target_archE1030ELNS1_3gpuE2ELNS1_3repE0EEENS1_36merge_oddeven_config_static_selectorELNS0_4arch9wavefront6targetE1EEEvSM_,comdat
.Lfunc_end1393:
	.size	_ZN7rocprim17ROCPRIM_400000_NS6detail17trampoline_kernelINS0_14default_configENS1_38merge_sort_block_merge_config_selectorIlNS0_10empty_typeEEEZZNS1_27merge_sort_block_merge_implIS3_PlPS5_mZN2at6native12_GLOBAL__N_124unique_dim_cuda_templateItEESt5tupleIJNSA_6TensorESF_SF_EERKSF_lbbbEUlllE_EE10hipError_tT0_T1_T2_jT3_P12ihipStream_tbPNSt15iterator_traitsISL_E10value_typeEPNSR_ISM_E10value_typeEPSN_NS1_7vsmem_tEENKUlT_SL_SM_SN_E_clIS8_S8_S9_S9_EESK_S10_SL_SM_SN_EUlS10_E1_NS1_11comp_targetILNS1_3genE8ELNS1_11target_archE1030ELNS1_3gpuE2ELNS1_3repE0EEENS1_36merge_oddeven_config_static_selectorELNS0_4arch9wavefront6targetE1EEEvSM_, .Lfunc_end1393-_ZN7rocprim17ROCPRIM_400000_NS6detail17trampoline_kernelINS0_14default_configENS1_38merge_sort_block_merge_config_selectorIlNS0_10empty_typeEEEZZNS1_27merge_sort_block_merge_implIS3_PlPS5_mZN2at6native12_GLOBAL__N_124unique_dim_cuda_templateItEESt5tupleIJNSA_6TensorESF_SF_EERKSF_lbbbEUlllE_EE10hipError_tT0_T1_T2_jT3_P12ihipStream_tbPNSt15iterator_traitsISL_E10value_typeEPNSR_ISM_E10value_typeEPSN_NS1_7vsmem_tEENKUlT_SL_SM_SN_E_clIS8_S8_S9_S9_EESK_S10_SL_SM_SN_EUlS10_E1_NS1_11comp_targetILNS1_3genE8ELNS1_11target_archE1030ELNS1_3gpuE2ELNS1_3repE0EEENS1_36merge_oddeven_config_static_selectorELNS0_4arch9wavefront6targetE1EEEvSM_
                                        ; -- End function
	.set _ZN7rocprim17ROCPRIM_400000_NS6detail17trampoline_kernelINS0_14default_configENS1_38merge_sort_block_merge_config_selectorIlNS0_10empty_typeEEEZZNS1_27merge_sort_block_merge_implIS3_PlPS5_mZN2at6native12_GLOBAL__N_124unique_dim_cuda_templateItEESt5tupleIJNSA_6TensorESF_SF_EERKSF_lbbbEUlllE_EE10hipError_tT0_T1_T2_jT3_P12ihipStream_tbPNSt15iterator_traitsISL_E10value_typeEPNSR_ISM_E10value_typeEPSN_NS1_7vsmem_tEENKUlT_SL_SM_SN_E_clIS8_S8_S9_S9_EESK_S10_SL_SM_SN_EUlS10_E1_NS1_11comp_targetILNS1_3genE8ELNS1_11target_archE1030ELNS1_3gpuE2ELNS1_3repE0EEENS1_36merge_oddeven_config_static_selectorELNS0_4arch9wavefront6targetE1EEEvSM_.num_vgpr, 0
	.set _ZN7rocprim17ROCPRIM_400000_NS6detail17trampoline_kernelINS0_14default_configENS1_38merge_sort_block_merge_config_selectorIlNS0_10empty_typeEEEZZNS1_27merge_sort_block_merge_implIS3_PlPS5_mZN2at6native12_GLOBAL__N_124unique_dim_cuda_templateItEESt5tupleIJNSA_6TensorESF_SF_EERKSF_lbbbEUlllE_EE10hipError_tT0_T1_T2_jT3_P12ihipStream_tbPNSt15iterator_traitsISL_E10value_typeEPNSR_ISM_E10value_typeEPSN_NS1_7vsmem_tEENKUlT_SL_SM_SN_E_clIS8_S8_S9_S9_EESK_S10_SL_SM_SN_EUlS10_E1_NS1_11comp_targetILNS1_3genE8ELNS1_11target_archE1030ELNS1_3gpuE2ELNS1_3repE0EEENS1_36merge_oddeven_config_static_selectorELNS0_4arch9wavefront6targetE1EEEvSM_.num_agpr, 0
	.set _ZN7rocprim17ROCPRIM_400000_NS6detail17trampoline_kernelINS0_14default_configENS1_38merge_sort_block_merge_config_selectorIlNS0_10empty_typeEEEZZNS1_27merge_sort_block_merge_implIS3_PlPS5_mZN2at6native12_GLOBAL__N_124unique_dim_cuda_templateItEESt5tupleIJNSA_6TensorESF_SF_EERKSF_lbbbEUlllE_EE10hipError_tT0_T1_T2_jT3_P12ihipStream_tbPNSt15iterator_traitsISL_E10value_typeEPNSR_ISM_E10value_typeEPSN_NS1_7vsmem_tEENKUlT_SL_SM_SN_E_clIS8_S8_S9_S9_EESK_S10_SL_SM_SN_EUlS10_E1_NS1_11comp_targetILNS1_3genE8ELNS1_11target_archE1030ELNS1_3gpuE2ELNS1_3repE0EEENS1_36merge_oddeven_config_static_selectorELNS0_4arch9wavefront6targetE1EEEvSM_.numbered_sgpr, 0
	.set _ZN7rocprim17ROCPRIM_400000_NS6detail17trampoline_kernelINS0_14default_configENS1_38merge_sort_block_merge_config_selectorIlNS0_10empty_typeEEEZZNS1_27merge_sort_block_merge_implIS3_PlPS5_mZN2at6native12_GLOBAL__N_124unique_dim_cuda_templateItEESt5tupleIJNSA_6TensorESF_SF_EERKSF_lbbbEUlllE_EE10hipError_tT0_T1_T2_jT3_P12ihipStream_tbPNSt15iterator_traitsISL_E10value_typeEPNSR_ISM_E10value_typeEPSN_NS1_7vsmem_tEENKUlT_SL_SM_SN_E_clIS8_S8_S9_S9_EESK_S10_SL_SM_SN_EUlS10_E1_NS1_11comp_targetILNS1_3genE8ELNS1_11target_archE1030ELNS1_3gpuE2ELNS1_3repE0EEENS1_36merge_oddeven_config_static_selectorELNS0_4arch9wavefront6targetE1EEEvSM_.num_named_barrier, 0
	.set _ZN7rocprim17ROCPRIM_400000_NS6detail17trampoline_kernelINS0_14default_configENS1_38merge_sort_block_merge_config_selectorIlNS0_10empty_typeEEEZZNS1_27merge_sort_block_merge_implIS3_PlPS5_mZN2at6native12_GLOBAL__N_124unique_dim_cuda_templateItEESt5tupleIJNSA_6TensorESF_SF_EERKSF_lbbbEUlllE_EE10hipError_tT0_T1_T2_jT3_P12ihipStream_tbPNSt15iterator_traitsISL_E10value_typeEPNSR_ISM_E10value_typeEPSN_NS1_7vsmem_tEENKUlT_SL_SM_SN_E_clIS8_S8_S9_S9_EESK_S10_SL_SM_SN_EUlS10_E1_NS1_11comp_targetILNS1_3genE8ELNS1_11target_archE1030ELNS1_3gpuE2ELNS1_3repE0EEENS1_36merge_oddeven_config_static_selectorELNS0_4arch9wavefront6targetE1EEEvSM_.private_seg_size, 0
	.set _ZN7rocprim17ROCPRIM_400000_NS6detail17trampoline_kernelINS0_14default_configENS1_38merge_sort_block_merge_config_selectorIlNS0_10empty_typeEEEZZNS1_27merge_sort_block_merge_implIS3_PlPS5_mZN2at6native12_GLOBAL__N_124unique_dim_cuda_templateItEESt5tupleIJNSA_6TensorESF_SF_EERKSF_lbbbEUlllE_EE10hipError_tT0_T1_T2_jT3_P12ihipStream_tbPNSt15iterator_traitsISL_E10value_typeEPNSR_ISM_E10value_typeEPSN_NS1_7vsmem_tEENKUlT_SL_SM_SN_E_clIS8_S8_S9_S9_EESK_S10_SL_SM_SN_EUlS10_E1_NS1_11comp_targetILNS1_3genE8ELNS1_11target_archE1030ELNS1_3gpuE2ELNS1_3repE0EEENS1_36merge_oddeven_config_static_selectorELNS0_4arch9wavefront6targetE1EEEvSM_.uses_vcc, 0
	.set _ZN7rocprim17ROCPRIM_400000_NS6detail17trampoline_kernelINS0_14default_configENS1_38merge_sort_block_merge_config_selectorIlNS0_10empty_typeEEEZZNS1_27merge_sort_block_merge_implIS3_PlPS5_mZN2at6native12_GLOBAL__N_124unique_dim_cuda_templateItEESt5tupleIJNSA_6TensorESF_SF_EERKSF_lbbbEUlllE_EE10hipError_tT0_T1_T2_jT3_P12ihipStream_tbPNSt15iterator_traitsISL_E10value_typeEPNSR_ISM_E10value_typeEPSN_NS1_7vsmem_tEENKUlT_SL_SM_SN_E_clIS8_S8_S9_S9_EESK_S10_SL_SM_SN_EUlS10_E1_NS1_11comp_targetILNS1_3genE8ELNS1_11target_archE1030ELNS1_3gpuE2ELNS1_3repE0EEENS1_36merge_oddeven_config_static_selectorELNS0_4arch9wavefront6targetE1EEEvSM_.uses_flat_scratch, 0
	.set _ZN7rocprim17ROCPRIM_400000_NS6detail17trampoline_kernelINS0_14default_configENS1_38merge_sort_block_merge_config_selectorIlNS0_10empty_typeEEEZZNS1_27merge_sort_block_merge_implIS3_PlPS5_mZN2at6native12_GLOBAL__N_124unique_dim_cuda_templateItEESt5tupleIJNSA_6TensorESF_SF_EERKSF_lbbbEUlllE_EE10hipError_tT0_T1_T2_jT3_P12ihipStream_tbPNSt15iterator_traitsISL_E10value_typeEPNSR_ISM_E10value_typeEPSN_NS1_7vsmem_tEENKUlT_SL_SM_SN_E_clIS8_S8_S9_S9_EESK_S10_SL_SM_SN_EUlS10_E1_NS1_11comp_targetILNS1_3genE8ELNS1_11target_archE1030ELNS1_3gpuE2ELNS1_3repE0EEENS1_36merge_oddeven_config_static_selectorELNS0_4arch9wavefront6targetE1EEEvSM_.has_dyn_sized_stack, 0
	.set _ZN7rocprim17ROCPRIM_400000_NS6detail17trampoline_kernelINS0_14default_configENS1_38merge_sort_block_merge_config_selectorIlNS0_10empty_typeEEEZZNS1_27merge_sort_block_merge_implIS3_PlPS5_mZN2at6native12_GLOBAL__N_124unique_dim_cuda_templateItEESt5tupleIJNSA_6TensorESF_SF_EERKSF_lbbbEUlllE_EE10hipError_tT0_T1_T2_jT3_P12ihipStream_tbPNSt15iterator_traitsISL_E10value_typeEPNSR_ISM_E10value_typeEPSN_NS1_7vsmem_tEENKUlT_SL_SM_SN_E_clIS8_S8_S9_S9_EESK_S10_SL_SM_SN_EUlS10_E1_NS1_11comp_targetILNS1_3genE8ELNS1_11target_archE1030ELNS1_3gpuE2ELNS1_3repE0EEENS1_36merge_oddeven_config_static_selectorELNS0_4arch9wavefront6targetE1EEEvSM_.has_recursion, 0
	.set _ZN7rocprim17ROCPRIM_400000_NS6detail17trampoline_kernelINS0_14default_configENS1_38merge_sort_block_merge_config_selectorIlNS0_10empty_typeEEEZZNS1_27merge_sort_block_merge_implIS3_PlPS5_mZN2at6native12_GLOBAL__N_124unique_dim_cuda_templateItEESt5tupleIJNSA_6TensorESF_SF_EERKSF_lbbbEUlllE_EE10hipError_tT0_T1_T2_jT3_P12ihipStream_tbPNSt15iterator_traitsISL_E10value_typeEPNSR_ISM_E10value_typeEPSN_NS1_7vsmem_tEENKUlT_SL_SM_SN_E_clIS8_S8_S9_S9_EESK_S10_SL_SM_SN_EUlS10_E1_NS1_11comp_targetILNS1_3genE8ELNS1_11target_archE1030ELNS1_3gpuE2ELNS1_3repE0EEENS1_36merge_oddeven_config_static_selectorELNS0_4arch9wavefront6targetE1EEEvSM_.has_indirect_call, 0
	.section	.AMDGPU.csdata,"",@progbits
; Kernel info:
; codeLenInByte = 0
; TotalNumSgprs: 6
; NumVgprs: 0
; NumAgprs: 0
; TotalNumVgprs: 0
; ScratchSize: 0
; MemoryBound: 0
; FloatMode: 240
; IeeeMode: 1
; LDSByteSize: 0 bytes/workgroup (compile time only)
; SGPRBlocks: 0
; VGPRBlocks: 0
; NumSGPRsForWavesPerEU: 6
; NumVGPRsForWavesPerEU: 1
; AccumOffset: 4
; Occupancy: 8
; WaveLimiterHint : 0
; COMPUTE_PGM_RSRC2:SCRATCH_EN: 0
; COMPUTE_PGM_RSRC2:USER_SGPR: 2
; COMPUTE_PGM_RSRC2:TRAP_HANDLER: 0
; COMPUTE_PGM_RSRC2:TGID_X_EN: 1
; COMPUTE_PGM_RSRC2:TGID_Y_EN: 0
; COMPUTE_PGM_RSRC2:TGID_Z_EN: 0
; COMPUTE_PGM_RSRC2:TIDIG_COMP_CNT: 0
; COMPUTE_PGM_RSRC3_GFX90A:ACCUM_OFFSET: 0
; COMPUTE_PGM_RSRC3_GFX90A:TG_SPLIT: 0
	.section	.text._ZN7rocprim17ROCPRIM_400000_NS6detail17trampoline_kernelINS0_14default_configENS1_35adjacent_difference_config_selectorILb0ElEEZNS1_24adjacent_difference_implIS3_Lb0ELb0EPlS7_ZN2at6native12_GLOBAL__N_124unique_dim_cuda_templateItEESt5tupleIJNS8_6TensorESD_SD_EERKSD_lbbbEUlllE1_EE10hipError_tPvRmT2_T3_mT4_P12ihipStream_tbEUlT_E_NS1_11comp_targetILNS1_3genE0ELNS1_11target_archE4294967295ELNS1_3gpuE0ELNS1_3repE0EEENS1_30default_config_static_selectorELNS0_4arch9wavefront6targetE1EEEvT1_,"axG",@progbits,_ZN7rocprim17ROCPRIM_400000_NS6detail17trampoline_kernelINS0_14default_configENS1_35adjacent_difference_config_selectorILb0ElEEZNS1_24adjacent_difference_implIS3_Lb0ELb0EPlS7_ZN2at6native12_GLOBAL__N_124unique_dim_cuda_templateItEESt5tupleIJNS8_6TensorESD_SD_EERKSD_lbbbEUlllE1_EE10hipError_tPvRmT2_T3_mT4_P12ihipStream_tbEUlT_E_NS1_11comp_targetILNS1_3genE0ELNS1_11target_archE4294967295ELNS1_3gpuE0ELNS1_3repE0EEENS1_30default_config_static_selectorELNS0_4arch9wavefront6targetE1EEEvT1_,comdat
	.globl	_ZN7rocprim17ROCPRIM_400000_NS6detail17trampoline_kernelINS0_14default_configENS1_35adjacent_difference_config_selectorILb0ElEEZNS1_24adjacent_difference_implIS3_Lb0ELb0EPlS7_ZN2at6native12_GLOBAL__N_124unique_dim_cuda_templateItEESt5tupleIJNS8_6TensorESD_SD_EERKSD_lbbbEUlllE1_EE10hipError_tPvRmT2_T3_mT4_P12ihipStream_tbEUlT_E_NS1_11comp_targetILNS1_3genE0ELNS1_11target_archE4294967295ELNS1_3gpuE0ELNS1_3repE0EEENS1_30default_config_static_selectorELNS0_4arch9wavefront6targetE1EEEvT1_ ; -- Begin function _ZN7rocprim17ROCPRIM_400000_NS6detail17trampoline_kernelINS0_14default_configENS1_35adjacent_difference_config_selectorILb0ElEEZNS1_24adjacent_difference_implIS3_Lb0ELb0EPlS7_ZN2at6native12_GLOBAL__N_124unique_dim_cuda_templateItEESt5tupleIJNS8_6TensorESD_SD_EERKSD_lbbbEUlllE1_EE10hipError_tPvRmT2_T3_mT4_P12ihipStream_tbEUlT_E_NS1_11comp_targetILNS1_3genE0ELNS1_11target_archE4294967295ELNS1_3gpuE0ELNS1_3repE0EEENS1_30default_config_static_selectorELNS0_4arch9wavefront6targetE1EEEvT1_
	.p2align	8
	.type	_ZN7rocprim17ROCPRIM_400000_NS6detail17trampoline_kernelINS0_14default_configENS1_35adjacent_difference_config_selectorILb0ElEEZNS1_24adjacent_difference_implIS3_Lb0ELb0EPlS7_ZN2at6native12_GLOBAL__N_124unique_dim_cuda_templateItEESt5tupleIJNS8_6TensorESD_SD_EERKSD_lbbbEUlllE1_EE10hipError_tPvRmT2_T3_mT4_P12ihipStream_tbEUlT_E_NS1_11comp_targetILNS1_3genE0ELNS1_11target_archE4294967295ELNS1_3gpuE0ELNS1_3repE0EEENS1_30default_config_static_selectorELNS0_4arch9wavefront6targetE1EEEvT1_,@function
_ZN7rocprim17ROCPRIM_400000_NS6detail17trampoline_kernelINS0_14default_configENS1_35adjacent_difference_config_selectorILb0ElEEZNS1_24adjacent_difference_implIS3_Lb0ELb0EPlS7_ZN2at6native12_GLOBAL__N_124unique_dim_cuda_templateItEESt5tupleIJNS8_6TensorESD_SD_EERKSD_lbbbEUlllE1_EE10hipError_tPvRmT2_T3_mT4_P12ihipStream_tbEUlT_E_NS1_11comp_targetILNS1_3genE0ELNS1_11target_archE4294967295ELNS1_3gpuE0ELNS1_3repE0EEENS1_30default_config_static_selectorELNS0_4arch9wavefront6targetE1EEEvT1_: ; @_ZN7rocprim17ROCPRIM_400000_NS6detail17trampoline_kernelINS0_14default_configENS1_35adjacent_difference_config_selectorILb0ElEEZNS1_24adjacent_difference_implIS3_Lb0ELb0EPlS7_ZN2at6native12_GLOBAL__N_124unique_dim_cuda_templateItEESt5tupleIJNS8_6TensorESD_SD_EERKSD_lbbbEUlllE1_EE10hipError_tPvRmT2_T3_mT4_P12ihipStream_tbEUlT_E_NS1_11comp_targetILNS1_3genE0ELNS1_11target_archE4294967295ELNS1_3gpuE0ELNS1_3repE0EEENS1_30default_config_static_selectorELNS0_4arch9wavefront6targetE1EEEvT1_
; %bb.0:
	s_load_dwordx8 s[4:11], s[0:1], 0x0
	s_load_dwordx4 s[12:15], s[0:1], 0x20
	s_load_dwordx2 s[16:17], s[0:1], 0x38
	s_mov_b32 s19, 0
	s_mov_b64 s[20:21], -1
	s_waitcnt lgkmcnt(0)
	s_lshl_b64 s[6:7], s[6:7], 3
	s_add_u32 s22, s4, s6
	s_addc_u32 s23, s5, s7
	s_lshl_b32 s4, s2, 7
	s_lshr_b64 s[0:1], s[10:11], 7
	s_and_b32 s18, s10, 0x7f
	s_cmp_lg_u64 s[18:19], 0
	s_cselect_b64 s[18:19], -1, 0
	v_cndmask_b32_e64 v1, 0, 1, s[18:19]
	s_nop 0
	v_readfirstlane_b32 s3, v1
	s_add_u32 s18, s0, s3
	s_addc_u32 s19, s1, 0
	s_add_u32 s2, s16, s2
	s_addc_u32 s3, s17, 0
	s_add_u32 s16, s18, -1
	s_addc_u32 s17, s19, -1
	v_mov_b64_e32 v[2:3], s[16:17]
	v_cmp_ge_u64_e64 s[0:1], s[2:3], v[2:3]
	s_and_b64 vcc, exec, s[0:1]
                                        ; implicit-def: $vgpr1
	s_cbranch_vccz .LBB1394_4
; %bb.1:
	s_lshl_b32 s5, s16, 7
	s_sub_i32 s5, s10, s5
	v_cmp_gt_u32_e32 vcc, s5, v0
                                        ; implicit-def: $vgpr2_vgpr3
	s_and_saveexec_b64 s[20:21], vcc
	s_cbranch_execz .LBB1394_3
; %bb.2:
	s_mov_b32 s5, 0
	s_lshl_b64 s[24:25], s[4:5], 3
	s_add_u32 s24, s22, s24
	s_addc_u32 s25, s23, s25
	v_lshlrev_b32_e32 v1, 3, v0
	global_load_dwordx2 v[2:3], v1, s[24:25]
.LBB1394_3:
	s_or_b64 exec, exec, s[20:21]
	v_lshlrev_b32_e32 v1, 3, v0
	s_mov_b64 s[20:21], 0
	s_waitcnt vmcnt(0)
	ds_write_b64 v1, v[2:3]
	s_waitcnt lgkmcnt(0)
	s_barrier
.LBB1394_4:
	s_and_b64 vcc, exec, s[20:21]
	s_cbranch_vccz .LBB1394_6
; %bb.5:
	s_mov_b32 s5, 0
	s_lshl_b64 s[20:21], s[4:5], 3
	s_add_u32 s20, s22, s20
	s_addc_u32 s21, s23, s21
	v_lshlrev_b32_e32 v1, 3, v0
	global_load_dwordx2 v[2:3], v1, s[20:21]
	s_waitcnt vmcnt(0)
	ds_write_b64 v1, v[2:3]
	s_waitcnt lgkmcnt(0)
	s_barrier
.LBB1394_6:
	ds_read_b64 v[2:3], v1
	s_cmp_eq_u64 s[2:3], 0
	s_waitcnt lgkmcnt(0)
	s_barrier
	s_cbranch_scc1 .LBB1394_15
; %bb.7:
	s_mov_b32 s5, 0
	s_lshl_b64 s[20:21], s[4:5], 3
	s_add_u32 s5, s22, s20
	s_addc_u32 s11, s23, s21
	s_add_u32 s20, s5, -8
	s_addc_u32 s21, s11, -1
	s_load_dwordx2 s[20:21], s[20:21], 0x0
	s_cmp_eq_u64 s[2:3], s[16:17]
	s_cbranch_scc1 .LBB1394_16
; %bb.8:
	v_lshlrev_b32_e32 v1, 3, v0
	v_cmp_ne_u32_e32 vcc, 0, v0
	s_waitcnt lgkmcnt(0)
	v_mov_b64_e32 v[6:7], s[20:21]
	ds_write_b64 v1, v[2:3]
	s_waitcnt lgkmcnt(0)
	s_barrier
	s_and_saveexec_b64 s[22:23], vcc
; %bb.9:
	v_add_u32_e32 v1, -8, v1
	ds_read_b64 v[6:7], v1
; %bb.10:
	s_or_b64 exec, exec, s[22:23]
	v_cmp_lt_i64_e64 s[22:23], s[12:13], 1
	s_and_b64 vcc, exec, s[22:23]
	s_cbranch_vccnz .LBB1394_18
; %bb.11:
	v_mul_lo_u32 v1, v3, s12
	v_mul_lo_u32 v8, v2, s13
	v_mad_u64_u32 v[4:5], s[22:23], v2, s12, 0
	v_add3_u32 v5, v5, v8, v1
	s_waitcnt lgkmcnt(0)
	v_mul_lo_u32 v1, v7, s12
	v_mul_lo_u32 v8, v6, s13
	v_mad_u64_u32 v[6:7], s[22:23], v6, s12, 0
	v_add3_u32 v7, v7, v8, v1
	v_lshl_add_u64 v[4:5], v[4:5], 1, s[14:15]
	v_lshl_add_u64 v[6:7], v[6:7], 1, s[14:15]
	s_mov_b64 s[22:23], 0
	s_mov_b64 s[24:25], s[12:13]
                                        ; implicit-def: $sgpr26_sgpr27
	s_branch .LBB1394_13
.LBB1394_12:                            ;   in Loop: Header=BB1394_13 Depth=1
	s_or_b64 exec, exec, s[28:29]
	s_and_b64 s[28:29], exec, s[26:27]
	s_or_b64 s[22:23], s[28:29], s[22:23]
	s_andn2_b64 exec, exec, s[22:23]
	s_cbranch_execz .LBB1394_17
.LBB1394_13:                            ; =>This Inner Loop Header: Depth=1
	global_load_ushort v1, v[4:5], off
	global_load_ushort v10, v[6:7], off
	v_mov_b64_e32 v[8:9], 1
	s_or_b64 s[26:27], s[26:27], exec
	s_waitcnt vmcnt(0)
	v_cmp_eq_u16_e32 vcc, v1, v10
	s_and_saveexec_b64 s[28:29], vcc
	s_cbranch_execz .LBB1394_12
; %bb.14:                               ;   in Loop: Header=BB1394_13 Depth=1
	s_add_u32 s24, s24, -1
	s_addc_u32 s25, s25, -1
	s_cmp_eq_u64 s[24:25], 0
	s_cselect_b64 s[30:31], -1, 0
	s_andn2_b64 s[26:27], s[26:27], exec
	s_and_b64 s[30:31], s[30:31], exec
	v_lshl_add_u64 v[4:5], v[4:5], 0, 2
	v_lshl_add_u64 v[6:7], v[6:7], 0, 2
	v_mov_b64_e32 v[8:9], 0
	s_or_b64 s[26:27], s[26:27], s[30:31]
	s_branch .LBB1394_12
.LBB1394_15:
                                        ; implicit-def: $vgpr8_vgpr9
	s_branch .LBB1394_31
.LBB1394_16:
                                        ; implicit-def: $vgpr8_vgpr9
	s_cbranch_execnz .LBB1394_19
	s_branch .LBB1394_30
.LBB1394_17:
	s_or_b64 exec, exec, s[22:23]
	s_branch .LBB1394_30
.LBB1394_18:
	v_mov_b64_e32 v[8:9], 0
	s_branch .LBB1394_30
.LBB1394_19:
	v_lshlrev_b32_e32 v1, 3, v0
	v_cmp_ne_u32_e32 vcc, 0, v0
	s_waitcnt lgkmcnt(0)
	v_mov_b64_e32 v[6:7], s[20:21]
	ds_write_b64 v1, v[2:3]
	s_waitcnt lgkmcnt(0)
	s_barrier
	s_and_saveexec_b64 s[20:21], vcc
; %bb.20:
	v_add_u32_e32 v1, -8, v1
	ds_read_b64 v[6:7], v1
; %bb.21:
	s_or_b64 exec, exec, s[20:21]
	s_lshl_b32 s2, s2, 7
	s_sub_i32 s2, s10, s2
	v_cmp_gt_u32_e32 vcc, s2, v0
	v_mov_b64_e32 v[8:9], v[2:3]
	s_and_saveexec_b64 s[2:3], vcc
	s_cbranch_execz .LBB1394_29
; %bb.22:
	v_cmp_lt_i64_e64 s[20:21], s[12:13], 1
	s_and_b64 vcc, exec, s[20:21]
	s_cbranch_vccnz .LBB1394_28
; %bb.23:
	v_mul_lo_u32 v1, v3, s12
	v_mul_lo_u32 v8, v2, s13
	v_mad_u64_u32 v[4:5], s[20:21], v2, s12, 0
	v_add3_u32 v5, v5, v8, v1
	s_waitcnt lgkmcnt(0)
	v_mul_lo_u32 v1, v7, s12
	v_mul_lo_u32 v8, v6, s13
	v_mad_u64_u32 v[6:7], s[20:21], v6, s12, 0
	v_add3_u32 v7, v7, v8, v1
	v_lshl_add_u64 v[4:5], v[4:5], 1, s[14:15]
	v_lshl_add_u64 v[6:7], v[6:7], 1, s[14:15]
	s_mov_b64 s[20:21], 0
	s_mov_b64 s[22:23], s[12:13]
                                        ; implicit-def: $sgpr24_sgpr25
	s_branch .LBB1394_25
.LBB1394_24:                            ;   in Loop: Header=BB1394_25 Depth=1
	s_or_b64 exec, exec, s[26:27]
	s_and_b64 s[26:27], exec, s[24:25]
	s_or_b64 s[20:21], s[26:27], s[20:21]
	s_andn2_b64 exec, exec, s[20:21]
	s_cbranch_execz .LBB1394_27
.LBB1394_25:                            ; =>This Inner Loop Header: Depth=1
	global_load_ushort v1, v[4:5], off
	global_load_ushort v10, v[6:7], off
	v_mov_b64_e32 v[8:9], 1
	s_or_b64 s[24:25], s[24:25], exec
	s_waitcnt vmcnt(0)
	v_cmp_eq_u16_e32 vcc, v1, v10
	s_and_saveexec_b64 s[26:27], vcc
	s_cbranch_execz .LBB1394_24
; %bb.26:                               ;   in Loop: Header=BB1394_25 Depth=1
	s_add_u32 s22, s22, -1
	s_addc_u32 s23, s23, -1
	s_cmp_eq_u64 s[22:23], 0
	s_cselect_b64 s[28:29], -1, 0
	s_andn2_b64 s[24:25], s[24:25], exec
	s_and_b64 s[28:29], s[28:29], exec
	v_lshl_add_u64 v[4:5], v[4:5], 0, 2
	v_lshl_add_u64 v[6:7], v[6:7], 0, 2
	v_mov_b64_e32 v[8:9], 0
	s_or_b64 s[24:25], s[24:25], s[28:29]
	s_branch .LBB1394_24
.LBB1394_27:
	s_or_b64 exec, exec, s[20:21]
	s_branch .LBB1394_29
.LBB1394_28:
	v_mov_b64_e32 v[8:9], 0
.LBB1394_29:
	s_or_b64 exec, exec, s[2:3]
.LBB1394_30:
	s_cbranch_execnz .LBB1394_51
.LBB1394_31:
	s_cmp_eq_u64 s[18:19], 1
	v_cmp_ne_u32_e32 vcc, 0, v0
	s_cbranch_scc1 .LBB1394_38
; %bb.32:
	v_lshlrev_b32_e32 v1, 3, v0
	v_mov_b64_e32 v[8:9], v[2:3]
	ds_write_b64 v1, v[2:3]
	s_waitcnt lgkmcnt(0)
	s_barrier
	s_and_saveexec_b64 s[2:3], vcc
	s_cbranch_execz .LBB1394_41
; %bb.33:
	v_cmp_lt_i64_e64 s[18:19], s[12:13], 1
	s_and_b64 vcc, exec, s[18:19]
	s_cbranch_vccnz .LBB1394_40
; %bb.34:
	v_add_u32_e32 v1, -8, v1
	ds_read_b64 v[6:7], v1
	v_mul_lo_u32 v1, v3, s12
	v_mul_lo_u32 v8, v2, s13
	v_mad_u64_u32 v[4:5], s[18:19], v2, s12, 0
	v_add3_u32 v5, v5, v8, v1
	s_waitcnt lgkmcnt(0)
	v_mul_lo_u32 v1, s13, v6
	v_mul_lo_u32 v8, s12, v7
	v_mad_u64_u32 v[6:7], s[18:19], s12, v6, 0
	v_add3_u32 v7, v7, v8, v1
	v_lshl_add_u64 v[4:5], v[4:5], 1, s[14:15]
	v_lshl_add_u64 v[6:7], v[6:7], 1, s[14:15]
	s_mov_b64 s[18:19], 0
	s_mov_b64 s[20:21], s[12:13]
                                        ; implicit-def: $sgpr22_sgpr23
	s_branch .LBB1394_36
.LBB1394_35:                            ;   in Loop: Header=BB1394_36 Depth=1
	s_or_b64 exec, exec, s[24:25]
	s_and_b64 s[24:25], exec, s[22:23]
	s_or_b64 s[18:19], s[24:25], s[18:19]
	s_andn2_b64 exec, exec, s[18:19]
	s_cbranch_execz .LBB1394_39
.LBB1394_36:                            ; =>This Inner Loop Header: Depth=1
	global_load_ushort v1, v[4:5], off
	global_load_ushort v10, v[6:7], off
	v_mov_b64_e32 v[8:9], 1
	s_or_b64 s[22:23], s[22:23], exec
	s_waitcnt vmcnt(0)
	v_cmp_eq_u16_e32 vcc, v1, v10
	s_and_saveexec_b64 s[24:25], vcc
	s_cbranch_execz .LBB1394_35
; %bb.37:                               ;   in Loop: Header=BB1394_36 Depth=1
	s_add_u32 s20, s20, -1
	s_addc_u32 s21, s21, -1
	s_cmp_eq_u64 s[20:21], 0
	s_cselect_b64 s[26:27], -1, 0
	s_andn2_b64 s[22:23], s[22:23], exec
	s_and_b64 s[26:27], s[26:27], exec
	v_lshl_add_u64 v[4:5], v[4:5], 0, 2
	v_lshl_add_u64 v[6:7], v[6:7], 0, 2
	v_mov_b64_e32 v[8:9], 0
	s_or_b64 s[22:23], s[22:23], s[26:27]
	s_branch .LBB1394_35
.LBB1394_38:
                                        ; implicit-def: $vgpr8_vgpr9
	s_branch .LBB1394_42
.LBB1394_39:
	s_or_b64 exec, exec, s[18:19]
	s_branch .LBB1394_41
.LBB1394_40:
	v_mov_b64_e32 v[8:9], 0
.LBB1394_41:
	s_or_b64 exec, exec, s[2:3]
	s_cbranch_execnz .LBB1394_51
.LBB1394_42:
	v_cmp_ne_u32_e32 vcc, 0, v0
	v_cmp_gt_u32_e64 s[2:3], s10, v0
	v_lshlrev_b32_e32 v1, 3, v0
	s_and_b64 s[18:19], vcc, s[2:3]
	ds_write_b64 v1, v[2:3]
	s_waitcnt lgkmcnt(0)
	s_barrier
	s_and_saveexec_b64 s[2:3], s[18:19]
	s_cbranch_execz .LBB1394_50
; %bb.43:
	v_cmp_lt_i64_e64 s[18:19], s[12:13], 1
	s_and_b64 vcc, exec, s[18:19]
	s_cbranch_vccnz .LBB1394_49
; %bb.44:
	v_add_u32_e32 v1, -8, v1
	ds_read_b64 v[6:7], v1
	v_mul_lo_u32 v1, v3, s12
	v_mul_lo_u32 v4, v2, s13
	v_mad_u64_u32 v[2:3], s[18:19], v2, s12, 0
	v_add3_u32 v3, v3, v4, v1
	v_lshl_add_u64 v[4:5], v[2:3], 1, s[14:15]
	s_waitcnt lgkmcnt(0)
	v_mul_lo_u32 v1, s13, v6
	v_mul_lo_u32 v7, s12, v7
	v_mad_u64_u32 v[2:3], s[18:19], s12, v6, 0
	v_add3_u32 v3, v3, v7, v1
	v_lshl_add_u64 v[6:7], v[2:3], 1, s[14:15]
	s_mov_b64 s[14:15], 0
                                        ; implicit-def: $sgpr18_sgpr19
	s_branch .LBB1394_46
.LBB1394_45:                            ;   in Loop: Header=BB1394_46 Depth=1
	s_or_b64 exec, exec, s[20:21]
	s_and_b64 s[20:21], exec, s[18:19]
	s_or_b64 s[14:15], s[20:21], s[14:15]
	s_andn2_b64 exec, exec, s[14:15]
	s_cbranch_execz .LBB1394_48
.LBB1394_46:                            ; =>This Inner Loop Header: Depth=1
	global_load_ushort v1, v[4:5], off
	global_load_ushort v8, v[6:7], off
	v_mov_b64_e32 v[2:3], 1
	s_or_b64 s[18:19], s[18:19], exec
	s_waitcnt vmcnt(0)
	v_cmp_eq_u16_e32 vcc, v1, v8
	s_and_saveexec_b64 s[20:21], vcc
	s_cbranch_execz .LBB1394_45
; %bb.47:                               ;   in Loop: Header=BB1394_46 Depth=1
	s_add_u32 s12, s12, -1
	s_addc_u32 s13, s13, -1
	s_cmp_eq_u64 s[12:13], 0
	s_cselect_b64 s[22:23], -1, 0
	s_andn2_b64 s[18:19], s[18:19], exec
	s_and_b64 s[22:23], s[22:23], exec
	v_lshl_add_u64 v[4:5], v[4:5], 0, 2
	v_lshl_add_u64 v[6:7], v[6:7], 0, 2
	v_mov_b64_e32 v[2:3], 0
	s_or_b64 s[18:19], s[18:19], s[22:23]
	s_branch .LBB1394_45
.LBB1394_48:
	s_or_b64 exec, exec, s[14:15]
	s_branch .LBB1394_50
.LBB1394_49:
	v_mov_b64_e32 v[2:3], 0
.LBB1394_50:
	s_or_b64 exec, exec, s[2:3]
	v_mov_b64_e32 v[8:9], v[2:3]
.LBB1394_51:
	s_add_u32 s6, s8, s6
	s_addc_u32 s7, s9, s7
	s_mov_b64 s[2:3], -1
	s_and_b64 vcc, exec, s[0:1]
	s_waitcnt lgkmcnt(0)
	s_barrier
	s_cbranch_vccnz .LBB1394_54
; %bb.52:
	s_andn2_b64 vcc, exec, s[2:3]
	s_cbranch_vccz .LBB1394_57
.LBB1394_53:
	s_endpgm
.LBB1394_54:
	s_lshl_b32 s0, s16, 7
	s_sub_i32 s0, s10, s0
	v_lshlrev_b32_e32 v1, 3, v0
	v_cmp_gt_u32_e32 vcc, s0, v0
	ds_write_b64 v1, v[8:9]
	s_waitcnt lgkmcnt(0)
	s_barrier
	s_and_saveexec_b64 s[0:1], vcc
	s_cbranch_execz .LBB1394_56
; %bb.55:
	ds_read_b64 v[2:3], v1
	s_mov_b32 s5, 0
	s_lshl_b64 s[2:3], s[4:5], 3
	s_add_u32 s2, s6, s2
	s_addc_u32 s3, s7, s3
	s_waitcnt lgkmcnt(0)
	global_store_dwordx2 v1, v[2:3], s[2:3]
.LBB1394_56:
	s_or_b64 exec, exec, s[0:1]
	s_cbranch_execnz .LBB1394_53
.LBB1394_57:
	v_lshlrev_b32_e32 v2, 3, v0
	ds_write_b64 v2, v[8:9]
	s_waitcnt lgkmcnt(0)
	s_barrier
	ds_read_b64 v[0:1], v2
	s_mov_b32 s5, 0
	s_lshl_b64 s[0:1], s[4:5], 3
	s_add_u32 s0, s6, s0
	s_addc_u32 s1, s7, s1
	s_waitcnt lgkmcnt(0)
	global_store_dwordx2 v2, v[0:1], s[0:1]
	s_endpgm
	.section	.rodata,"a",@progbits
	.p2align	6, 0x0
	.amdhsa_kernel _ZN7rocprim17ROCPRIM_400000_NS6detail17trampoline_kernelINS0_14default_configENS1_35adjacent_difference_config_selectorILb0ElEEZNS1_24adjacent_difference_implIS3_Lb0ELb0EPlS7_ZN2at6native12_GLOBAL__N_124unique_dim_cuda_templateItEESt5tupleIJNS8_6TensorESD_SD_EERKSD_lbbbEUlllE1_EE10hipError_tPvRmT2_T3_mT4_P12ihipStream_tbEUlT_E_NS1_11comp_targetILNS1_3genE0ELNS1_11target_archE4294967295ELNS1_3gpuE0ELNS1_3repE0EEENS1_30default_config_static_selectorELNS0_4arch9wavefront6targetE1EEEvT1_
		.amdhsa_group_segment_fixed_size 2048
		.amdhsa_private_segment_fixed_size 0
		.amdhsa_kernarg_size 64
		.amdhsa_user_sgpr_count 2
		.amdhsa_user_sgpr_dispatch_ptr 0
		.amdhsa_user_sgpr_queue_ptr 0
		.amdhsa_user_sgpr_kernarg_segment_ptr 1
		.amdhsa_user_sgpr_dispatch_id 0
		.amdhsa_user_sgpr_kernarg_preload_length 0
		.amdhsa_user_sgpr_kernarg_preload_offset 0
		.amdhsa_user_sgpr_private_segment_size 0
		.amdhsa_uses_dynamic_stack 0
		.amdhsa_enable_private_segment 0
		.amdhsa_system_sgpr_workgroup_id_x 1
		.amdhsa_system_sgpr_workgroup_id_y 0
		.amdhsa_system_sgpr_workgroup_id_z 0
		.amdhsa_system_sgpr_workgroup_info 0
		.amdhsa_system_vgpr_workitem_id 0
		.amdhsa_next_free_vgpr 11
		.amdhsa_next_free_sgpr 32
		.amdhsa_accum_offset 12
		.amdhsa_reserve_vcc 1
		.amdhsa_float_round_mode_32 0
		.amdhsa_float_round_mode_16_64 0
		.amdhsa_float_denorm_mode_32 3
		.amdhsa_float_denorm_mode_16_64 3
		.amdhsa_dx10_clamp 1
		.amdhsa_ieee_mode 1
		.amdhsa_fp16_overflow 0
		.amdhsa_tg_split 0
		.amdhsa_exception_fp_ieee_invalid_op 0
		.amdhsa_exception_fp_denorm_src 0
		.amdhsa_exception_fp_ieee_div_zero 0
		.amdhsa_exception_fp_ieee_overflow 0
		.amdhsa_exception_fp_ieee_underflow 0
		.amdhsa_exception_fp_ieee_inexact 0
		.amdhsa_exception_int_div_zero 0
	.end_amdhsa_kernel
	.section	.text._ZN7rocprim17ROCPRIM_400000_NS6detail17trampoline_kernelINS0_14default_configENS1_35adjacent_difference_config_selectorILb0ElEEZNS1_24adjacent_difference_implIS3_Lb0ELb0EPlS7_ZN2at6native12_GLOBAL__N_124unique_dim_cuda_templateItEESt5tupleIJNS8_6TensorESD_SD_EERKSD_lbbbEUlllE1_EE10hipError_tPvRmT2_T3_mT4_P12ihipStream_tbEUlT_E_NS1_11comp_targetILNS1_3genE0ELNS1_11target_archE4294967295ELNS1_3gpuE0ELNS1_3repE0EEENS1_30default_config_static_selectorELNS0_4arch9wavefront6targetE1EEEvT1_,"axG",@progbits,_ZN7rocprim17ROCPRIM_400000_NS6detail17trampoline_kernelINS0_14default_configENS1_35adjacent_difference_config_selectorILb0ElEEZNS1_24adjacent_difference_implIS3_Lb0ELb0EPlS7_ZN2at6native12_GLOBAL__N_124unique_dim_cuda_templateItEESt5tupleIJNS8_6TensorESD_SD_EERKSD_lbbbEUlllE1_EE10hipError_tPvRmT2_T3_mT4_P12ihipStream_tbEUlT_E_NS1_11comp_targetILNS1_3genE0ELNS1_11target_archE4294967295ELNS1_3gpuE0ELNS1_3repE0EEENS1_30default_config_static_selectorELNS0_4arch9wavefront6targetE1EEEvT1_,comdat
.Lfunc_end1394:
	.size	_ZN7rocprim17ROCPRIM_400000_NS6detail17trampoline_kernelINS0_14default_configENS1_35adjacent_difference_config_selectorILb0ElEEZNS1_24adjacent_difference_implIS3_Lb0ELb0EPlS7_ZN2at6native12_GLOBAL__N_124unique_dim_cuda_templateItEESt5tupleIJNS8_6TensorESD_SD_EERKSD_lbbbEUlllE1_EE10hipError_tPvRmT2_T3_mT4_P12ihipStream_tbEUlT_E_NS1_11comp_targetILNS1_3genE0ELNS1_11target_archE4294967295ELNS1_3gpuE0ELNS1_3repE0EEENS1_30default_config_static_selectorELNS0_4arch9wavefront6targetE1EEEvT1_, .Lfunc_end1394-_ZN7rocprim17ROCPRIM_400000_NS6detail17trampoline_kernelINS0_14default_configENS1_35adjacent_difference_config_selectorILb0ElEEZNS1_24adjacent_difference_implIS3_Lb0ELb0EPlS7_ZN2at6native12_GLOBAL__N_124unique_dim_cuda_templateItEESt5tupleIJNS8_6TensorESD_SD_EERKSD_lbbbEUlllE1_EE10hipError_tPvRmT2_T3_mT4_P12ihipStream_tbEUlT_E_NS1_11comp_targetILNS1_3genE0ELNS1_11target_archE4294967295ELNS1_3gpuE0ELNS1_3repE0EEENS1_30default_config_static_selectorELNS0_4arch9wavefront6targetE1EEEvT1_
                                        ; -- End function
	.set _ZN7rocprim17ROCPRIM_400000_NS6detail17trampoline_kernelINS0_14default_configENS1_35adjacent_difference_config_selectorILb0ElEEZNS1_24adjacent_difference_implIS3_Lb0ELb0EPlS7_ZN2at6native12_GLOBAL__N_124unique_dim_cuda_templateItEESt5tupleIJNS8_6TensorESD_SD_EERKSD_lbbbEUlllE1_EE10hipError_tPvRmT2_T3_mT4_P12ihipStream_tbEUlT_E_NS1_11comp_targetILNS1_3genE0ELNS1_11target_archE4294967295ELNS1_3gpuE0ELNS1_3repE0EEENS1_30default_config_static_selectorELNS0_4arch9wavefront6targetE1EEEvT1_.num_vgpr, 11
	.set _ZN7rocprim17ROCPRIM_400000_NS6detail17trampoline_kernelINS0_14default_configENS1_35adjacent_difference_config_selectorILb0ElEEZNS1_24adjacent_difference_implIS3_Lb0ELb0EPlS7_ZN2at6native12_GLOBAL__N_124unique_dim_cuda_templateItEESt5tupleIJNS8_6TensorESD_SD_EERKSD_lbbbEUlllE1_EE10hipError_tPvRmT2_T3_mT4_P12ihipStream_tbEUlT_E_NS1_11comp_targetILNS1_3genE0ELNS1_11target_archE4294967295ELNS1_3gpuE0ELNS1_3repE0EEENS1_30default_config_static_selectorELNS0_4arch9wavefront6targetE1EEEvT1_.num_agpr, 0
	.set _ZN7rocprim17ROCPRIM_400000_NS6detail17trampoline_kernelINS0_14default_configENS1_35adjacent_difference_config_selectorILb0ElEEZNS1_24adjacent_difference_implIS3_Lb0ELb0EPlS7_ZN2at6native12_GLOBAL__N_124unique_dim_cuda_templateItEESt5tupleIJNS8_6TensorESD_SD_EERKSD_lbbbEUlllE1_EE10hipError_tPvRmT2_T3_mT4_P12ihipStream_tbEUlT_E_NS1_11comp_targetILNS1_3genE0ELNS1_11target_archE4294967295ELNS1_3gpuE0ELNS1_3repE0EEENS1_30default_config_static_selectorELNS0_4arch9wavefront6targetE1EEEvT1_.numbered_sgpr, 32
	.set _ZN7rocprim17ROCPRIM_400000_NS6detail17trampoline_kernelINS0_14default_configENS1_35adjacent_difference_config_selectorILb0ElEEZNS1_24adjacent_difference_implIS3_Lb0ELb0EPlS7_ZN2at6native12_GLOBAL__N_124unique_dim_cuda_templateItEESt5tupleIJNS8_6TensorESD_SD_EERKSD_lbbbEUlllE1_EE10hipError_tPvRmT2_T3_mT4_P12ihipStream_tbEUlT_E_NS1_11comp_targetILNS1_3genE0ELNS1_11target_archE4294967295ELNS1_3gpuE0ELNS1_3repE0EEENS1_30default_config_static_selectorELNS0_4arch9wavefront6targetE1EEEvT1_.num_named_barrier, 0
	.set _ZN7rocprim17ROCPRIM_400000_NS6detail17trampoline_kernelINS0_14default_configENS1_35adjacent_difference_config_selectorILb0ElEEZNS1_24adjacent_difference_implIS3_Lb0ELb0EPlS7_ZN2at6native12_GLOBAL__N_124unique_dim_cuda_templateItEESt5tupleIJNS8_6TensorESD_SD_EERKSD_lbbbEUlllE1_EE10hipError_tPvRmT2_T3_mT4_P12ihipStream_tbEUlT_E_NS1_11comp_targetILNS1_3genE0ELNS1_11target_archE4294967295ELNS1_3gpuE0ELNS1_3repE0EEENS1_30default_config_static_selectorELNS0_4arch9wavefront6targetE1EEEvT1_.private_seg_size, 0
	.set _ZN7rocprim17ROCPRIM_400000_NS6detail17trampoline_kernelINS0_14default_configENS1_35adjacent_difference_config_selectorILb0ElEEZNS1_24adjacent_difference_implIS3_Lb0ELb0EPlS7_ZN2at6native12_GLOBAL__N_124unique_dim_cuda_templateItEESt5tupleIJNS8_6TensorESD_SD_EERKSD_lbbbEUlllE1_EE10hipError_tPvRmT2_T3_mT4_P12ihipStream_tbEUlT_E_NS1_11comp_targetILNS1_3genE0ELNS1_11target_archE4294967295ELNS1_3gpuE0ELNS1_3repE0EEENS1_30default_config_static_selectorELNS0_4arch9wavefront6targetE1EEEvT1_.uses_vcc, 1
	.set _ZN7rocprim17ROCPRIM_400000_NS6detail17trampoline_kernelINS0_14default_configENS1_35adjacent_difference_config_selectorILb0ElEEZNS1_24adjacent_difference_implIS3_Lb0ELb0EPlS7_ZN2at6native12_GLOBAL__N_124unique_dim_cuda_templateItEESt5tupleIJNS8_6TensorESD_SD_EERKSD_lbbbEUlllE1_EE10hipError_tPvRmT2_T3_mT4_P12ihipStream_tbEUlT_E_NS1_11comp_targetILNS1_3genE0ELNS1_11target_archE4294967295ELNS1_3gpuE0ELNS1_3repE0EEENS1_30default_config_static_selectorELNS0_4arch9wavefront6targetE1EEEvT1_.uses_flat_scratch, 0
	.set _ZN7rocprim17ROCPRIM_400000_NS6detail17trampoline_kernelINS0_14default_configENS1_35adjacent_difference_config_selectorILb0ElEEZNS1_24adjacent_difference_implIS3_Lb0ELb0EPlS7_ZN2at6native12_GLOBAL__N_124unique_dim_cuda_templateItEESt5tupleIJNS8_6TensorESD_SD_EERKSD_lbbbEUlllE1_EE10hipError_tPvRmT2_T3_mT4_P12ihipStream_tbEUlT_E_NS1_11comp_targetILNS1_3genE0ELNS1_11target_archE4294967295ELNS1_3gpuE0ELNS1_3repE0EEENS1_30default_config_static_selectorELNS0_4arch9wavefront6targetE1EEEvT1_.has_dyn_sized_stack, 0
	.set _ZN7rocprim17ROCPRIM_400000_NS6detail17trampoline_kernelINS0_14default_configENS1_35adjacent_difference_config_selectorILb0ElEEZNS1_24adjacent_difference_implIS3_Lb0ELb0EPlS7_ZN2at6native12_GLOBAL__N_124unique_dim_cuda_templateItEESt5tupleIJNS8_6TensorESD_SD_EERKSD_lbbbEUlllE1_EE10hipError_tPvRmT2_T3_mT4_P12ihipStream_tbEUlT_E_NS1_11comp_targetILNS1_3genE0ELNS1_11target_archE4294967295ELNS1_3gpuE0ELNS1_3repE0EEENS1_30default_config_static_selectorELNS0_4arch9wavefront6targetE1EEEvT1_.has_recursion, 0
	.set _ZN7rocprim17ROCPRIM_400000_NS6detail17trampoline_kernelINS0_14default_configENS1_35adjacent_difference_config_selectorILb0ElEEZNS1_24adjacent_difference_implIS3_Lb0ELb0EPlS7_ZN2at6native12_GLOBAL__N_124unique_dim_cuda_templateItEESt5tupleIJNS8_6TensorESD_SD_EERKSD_lbbbEUlllE1_EE10hipError_tPvRmT2_T3_mT4_P12ihipStream_tbEUlT_E_NS1_11comp_targetILNS1_3genE0ELNS1_11target_archE4294967295ELNS1_3gpuE0ELNS1_3repE0EEENS1_30default_config_static_selectorELNS0_4arch9wavefront6targetE1EEEvT1_.has_indirect_call, 0
	.section	.AMDGPU.csdata,"",@progbits
; Kernel info:
; codeLenInByte = 1740
; TotalNumSgprs: 38
; NumVgprs: 11
; NumAgprs: 0
; TotalNumVgprs: 11
; ScratchSize: 0
; MemoryBound: 0
; FloatMode: 240
; IeeeMode: 1
; LDSByteSize: 2048 bytes/workgroup (compile time only)
; SGPRBlocks: 4
; VGPRBlocks: 1
; NumSGPRsForWavesPerEU: 38
; NumVGPRsForWavesPerEU: 11
; AccumOffset: 12
; Occupancy: 8
; WaveLimiterHint : 0
; COMPUTE_PGM_RSRC2:SCRATCH_EN: 0
; COMPUTE_PGM_RSRC2:USER_SGPR: 2
; COMPUTE_PGM_RSRC2:TRAP_HANDLER: 0
; COMPUTE_PGM_RSRC2:TGID_X_EN: 1
; COMPUTE_PGM_RSRC2:TGID_Y_EN: 0
; COMPUTE_PGM_RSRC2:TGID_Z_EN: 0
; COMPUTE_PGM_RSRC2:TIDIG_COMP_CNT: 0
; COMPUTE_PGM_RSRC3_GFX90A:ACCUM_OFFSET: 2
; COMPUTE_PGM_RSRC3_GFX90A:TG_SPLIT: 0
	.section	.text._ZN7rocprim17ROCPRIM_400000_NS6detail17trampoline_kernelINS0_14default_configENS1_35adjacent_difference_config_selectorILb0ElEEZNS1_24adjacent_difference_implIS3_Lb0ELb0EPlS7_ZN2at6native12_GLOBAL__N_124unique_dim_cuda_templateItEESt5tupleIJNS8_6TensorESD_SD_EERKSD_lbbbEUlllE1_EE10hipError_tPvRmT2_T3_mT4_P12ihipStream_tbEUlT_E_NS1_11comp_targetILNS1_3genE10ELNS1_11target_archE1201ELNS1_3gpuE5ELNS1_3repE0EEENS1_30default_config_static_selectorELNS0_4arch9wavefront6targetE1EEEvT1_,"axG",@progbits,_ZN7rocprim17ROCPRIM_400000_NS6detail17trampoline_kernelINS0_14default_configENS1_35adjacent_difference_config_selectorILb0ElEEZNS1_24adjacent_difference_implIS3_Lb0ELb0EPlS7_ZN2at6native12_GLOBAL__N_124unique_dim_cuda_templateItEESt5tupleIJNS8_6TensorESD_SD_EERKSD_lbbbEUlllE1_EE10hipError_tPvRmT2_T3_mT4_P12ihipStream_tbEUlT_E_NS1_11comp_targetILNS1_3genE10ELNS1_11target_archE1201ELNS1_3gpuE5ELNS1_3repE0EEENS1_30default_config_static_selectorELNS0_4arch9wavefront6targetE1EEEvT1_,comdat
	.globl	_ZN7rocprim17ROCPRIM_400000_NS6detail17trampoline_kernelINS0_14default_configENS1_35adjacent_difference_config_selectorILb0ElEEZNS1_24adjacent_difference_implIS3_Lb0ELb0EPlS7_ZN2at6native12_GLOBAL__N_124unique_dim_cuda_templateItEESt5tupleIJNS8_6TensorESD_SD_EERKSD_lbbbEUlllE1_EE10hipError_tPvRmT2_T3_mT4_P12ihipStream_tbEUlT_E_NS1_11comp_targetILNS1_3genE10ELNS1_11target_archE1201ELNS1_3gpuE5ELNS1_3repE0EEENS1_30default_config_static_selectorELNS0_4arch9wavefront6targetE1EEEvT1_ ; -- Begin function _ZN7rocprim17ROCPRIM_400000_NS6detail17trampoline_kernelINS0_14default_configENS1_35adjacent_difference_config_selectorILb0ElEEZNS1_24adjacent_difference_implIS3_Lb0ELb0EPlS7_ZN2at6native12_GLOBAL__N_124unique_dim_cuda_templateItEESt5tupleIJNS8_6TensorESD_SD_EERKSD_lbbbEUlllE1_EE10hipError_tPvRmT2_T3_mT4_P12ihipStream_tbEUlT_E_NS1_11comp_targetILNS1_3genE10ELNS1_11target_archE1201ELNS1_3gpuE5ELNS1_3repE0EEENS1_30default_config_static_selectorELNS0_4arch9wavefront6targetE1EEEvT1_
	.p2align	8
	.type	_ZN7rocprim17ROCPRIM_400000_NS6detail17trampoline_kernelINS0_14default_configENS1_35adjacent_difference_config_selectorILb0ElEEZNS1_24adjacent_difference_implIS3_Lb0ELb0EPlS7_ZN2at6native12_GLOBAL__N_124unique_dim_cuda_templateItEESt5tupleIJNS8_6TensorESD_SD_EERKSD_lbbbEUlllE1_EE10hipError_tPvRmT2_T3_mT4_P12ihipStream_tbEUlT_E_NS1_11comp_targetILNS1_3genE10ELNS1_11target_archE1201ELNS1_3gpuE5ELNS1_3repE0EEENS1_30default_config_static_selectorELNS0_4arch9wavefront6targetE1EEEvT1_,@function
_ZN7rocprim17ROCPRIM_400000_NS6detail17trampoline_kernelINS0_14default_configENS1_35adjacent_difference_config_selectorILb0ElEEZNS1_24adjacent_difference_implIS3_Lb0ELb0EPlS7_ZN2at6native12_GLOBAL__N_124unique_dim_cuda_templateItEESt5tupleIJNS8_6TensorESD_SD_EERKSD_lbbbEUlllE1_EE10hipError_tPvRmT2_T3_mT4_P12ihipStream_tbEUlT_E_NS1_11comp_targetILNS1_3genE10ELNS1_11target_archE1201ELNS1_3gpuE5ELNS1_3repE0EEENS1_30default_config_static_selectorELNS0_4arch9wavefront6targetE1EEEvT1_: ; @_ZN7rocprim17ROCPRIM_400000_NS6detail17trampoline_kernelINS0_14default_configENS1_35adjacent_difference_config_selectorILb0ElEEZNS1_24adjacent_difference_implIS3_Lb0ELb0EPlS7_ZN2at6native12_GLOBAL__N_124unique_dim_cuda_templateItEESt5tupleIJNS8_6TensorESD_SD_EERKSD_lbbbEUlllE1_EE10hipError_tPvRmT2_T3_mT4_P12ihipStream_tbEUlT_E_NS1_11comp_targetILNS1_3genE10ELNS1_11target_archE1201ELNS1_3gpuE5ELNS1_3repE0EEENS1_30default_config_static_selectorELNS0_4arch9wavefront6targetE1EEEvT1_
; %bb.0:
	.section	.rodata,"a",@progbits
	.p2align	6, 0x0
	.amdhsa_kernel _ZN7rocprim17ROCPRIM_400000_NS6detail17trampoline_kernelINS0_14default_configENS1_35adjacent_difference_config_selectorILb0ElEEZNS1_24adjacent_difference_implIS3_Lb0ELb0EPlS7_ZN2at6native12_GLOBAL__N_124unique_dim_cuda_templateItEESt5tupleIJNS8_6TensorESD_SD_EERKSD_lbbbEUlllE1_EE10hipError_tPvRmT2_T3_mT4_P12ihipStream_tbEUlT_E_NS1_11comp_targetILNS1_3genE10ELNS1_11target_archE1201ELNS1_3gpuE5ELNS1_3repE0EEENS1_30default_config_static_selectorELNS0_4arch9wavefront6targetE1EEEvT1_
		.amdhsa_group_segment_fixed_size 0
		.amdhsa_private_segment_fixed_size 0
		.amdhsa_kernarg_size 64
		.amdhsa_user_sgpr_count 2
		.amdhsa_user_sgpr_dispatch_ptr 0
		.amdhsa_user_sgpr_queue_ptr 0
		.amdhsa_user_sgpr_kernarg_segment_ptr 1
		.amdhsa_user_sgpr_dispatch_id 0
		.amdhsa_user_sgpr_kernarg_preload_length 0
		.amdhsa_user_sgpr_kernarg_preload_offset 0
		.amdhsa_user_sgpr_private_segment_size 0
		.amdhsa_uses_dynamic_stack 0
		.amdhsa_enable_private_segment 0
		.amdhsa_system_sgpr_workgroup_id_x 1
		.amdhsa_system_sgpr_workgroup_id_y 0
		.amdhsa_system_sgpr_workgroup_id_z 0
		.amdhsa_system_sgpr_workgroup_info 0
		.amdhsa_system_vgpr_workitem_id 0
		.amdhsa_next_free_vgpr 1
		.amdhsa_next_free_sgpr 0
		.amdhsa_accum_offset 4
		.amdhsa_reserve_vcc 0
		.amdhsa_float_round_mode_32 0
		.amdhsa_float_round_mode_16_64 0
		.amdhsa_float_denorm_mode_32 3
		.amdhsa_float_denorm_mode_16_64 3
		.amdhsa_dx10_clamp 1
		.amdhsa_ieee_mode 1
		.amdhsa_fp16_overflow 0
		.amdhsa_tg_split 0
		.amdhsa_exception_fp_ieee_invalid_op 0
		.amdhsa_exception_fp_denorm_src 0
		.amdhsa_exception_fp_ieee_div_zero 0
		.amdhsa_exception_fp_ieee_overflow 0
		.amdhsa_exception_fp_ieee_underflow 0
		.amdhsa_exception_fp_ieee_inexact 0
		.amdhsa_exception_int_div_zero 0
	.end_amdhsa_kernel
	.section	.text._ZN7rocprim17ROCPRIM_400000_NS6detail17trampoline_kernelINS0_14default_configENS1_35adjacent_difference_config_selectorILb0ElEEZNS1_24adjacent_difference_implIS3_Lb0ELb0EPlS7_ZN2at6native12_GLOBAL__N_124unique_dim_cuda_templateItEESt5tupleIJNS8_6TensorESD_SD_EERKSD_lbbbEUlllE1_EE10hipError_tPvRmT2_T3_mT4_P12ihipStream_tbEUlT_E_NS1_11comp_targetILNS1_3genE10ELNS1_11target_archE1201ELNS1_3gpuE5ELNS1_3repE0EEENS1_30default_config_static_selectorELNS0_4arch9wavefront6targetE1EEEvT1_,"axG",@progbits,_ZN7rocprim17ROCPRIM_400000_NS6detail17trampoline_kernelINS0_14default_configENS1_35adjacent_difference_config_selectorILb0ElEEZNS1_24adjacent_difference_implIS3_Lb0ELb0EPlS7_ZN2at6native12_GLOBAL__N_124unique_dim_cuda_templateItEESt5tupleIJNS8_6TensorESD_SD_EERKSD_lbbbEUlllE1_EE10hipError_tPvRmT2_T3_mT4_P12ihipStream_tbEUlT_E_NS1_11comp_targetILNS1_3genE10ELNS1_11target_archE1201ELNS1_3gpuE5ELNS1_3repE0EEENS1_30default_config_static_selectorELNS0_4arch9wavefront6targetE1EEEvT1_,comdat
.Lfunc_end1395:
	.size	_ZN7rocprim17ROCPRIM_400000_NS6detail17trampoline_kernelINS0_14default_configENS1_35adjacent_difference_config_selectorILb0ElEEZNS1_24adjacent_difference_implIS3_Lb0ELb0EPlS7_ZN2at6native12_GLOBAL__N_124unique_dim_cuda_templateItEESt5tupleIJNS8_6TensorESD_SD_EERKSD_lbbbEUlllE1_EE10hipError_tPvRmT2_T3_mT4_P12ihipStream_tbEUlT_E_NS1_11comp_targetILNS1_3genE10ELNS1_11target_archE1201ELNS1_3gpuE5ELNS1_3repE0EEENS1_30default_config_static_selectorELNS0_4arch9wavefront6targetE1EEEvT1_, .Lfunc_end1395-_ZN7rocprim17ROCPRIM_400000_NS6detail17trampoline_kernelINS0_14default_configENS1_35adjacent_difference_config_selectorILb0ElEEZNS1_24adjacent_difference_implIS3_Lb0ELb0EPlS7_ZN2at6native12_GLOBAL__N_124unique_dim_cuda_templateItEESt5tupleIJNS8_6TensorESD_SD_EERKSD_lbbbEUlllE1_EE10hipError_tPvRmT2_T3_mT4_P12ihipStream_tbEUlT_E_NS1_11comp_targetILNS1_3genE10ELNS1_11target_archE1201ELNS1_3gpuE5ELNS1_3repE0EEENS1_30default_config_static_selectorELNS0_4arch9wavefront6targetE1EEEvT1_
                                        ; -- End function
	.set _ZN7rocprim17ROCPRIM_400000_NS6detail17trampoline_kernelINS0_14default_configENS1_35adjacent_difference_config_selectorILb0ElEEZNS1_24adjacent_difference_implIS3_Lb0ELb0EPlS7_ZN2at6native12_GLOBAL__N_124unique_dim_cuda_templateItEESt5tupleIJNS8_6TensorESD_SD_EERKSD_lbbbEUlllE1_EE10hipError_tPvRmT2_T3_mT4_P12ihipStream_tbEUlT_E_NS1_11comp_targetILNS1_3genE10ELNS1_11target_archE1201ELNS1_3gpuE5ELNS1_3repE0EEENS1_30default_config_static_selectorELNS0_4arch9wavefront6targetE1EEEvT1_.num_vgpr, 0
	.set _ZN7rocprim17ROCPRIM_400000_NS6detail17trampoline_kernelINS0_14default_configENS1_35adjacent_difference_config_selectorILb0ElEEZNS1_24adjacent_difference_implIS3_Lb0ELb0EPlS7_ZN2at6native12_GLOBAL__N_124unique_dim_cuda_templateItEESt5tupleIJNS8_6TensorESD_SD_EERKSD_lbbbEUlllE1_EE10hipError_tPvRmT2_T3_mT4_P12ihipStream_tbEUlT_E_NS1_11comp_targetILNS1_3genE10ELNS1_11target_archE1201ELNS1_3gpuE5ELNS1_3repE0EEENS1_30default_config_static_selectorELNS0_4arch9wavefront6targetE1EEEvT1_.num_agpr, 0
	.set _ZN7rocprim17ROCPRIM_400000_NS6detail17trampoline_kernelINS0_14default_configENS1_35adjacent_difference_config_selectorILb0ElEEZNS1_24adjacent_difference_implIS3_Lb0ELb0EPlS7_ZN2at6native12_GLOBAL__N_124unique_dim_cuda_templateItEESt5tupleIJNS8_6TensorESD_SD_EERKSD_lbbbEUlllE1_EE10hipError_tPvRmT2_T3_mT4_P12ihipStream_tbEUlT_E_NS1_11comp_targetILNS1_3genE10ELNS1_11target_archE1201ELNS1_3gpuE5ELNS1_3repE0EEENS1_30default_config_static_selectorELNS0_4arch9wavefront6targetE1EEEvT1_.numbered_sgpr, 0
	.set _ZN7rocprim17ROCPRIM_400000_NS6detail17trampoline_kernelINS0_14default_configENS1_35adjacent_difference_config_selectorILb0ElEEZNS1_24adjacent_difference_implIS3_Lb0ELb0EPlS7_ZN2at6native12_GLOBAL__N_124unique_dim_cuda_templateItEESt5tupleIJNS8_6TensorESD_SD_EERKSD_lbbbEUlllE1_EE10hipError_tPvRmT2_T3_mT4_P12ihipStream_tbEUlT_E_NS1_11comp_targetILNS1_3genE10ELNS1_11target_archE1201ELNS1_3gpuE5ELNS1_3repE0EEENS1_30default_config_static_selectorELNS0_4arch9wavefront6targetE1EEEvT1_.num_named_barrier, 0
	.set _ZN7rocprim17ROCPRIM_400000_NS6detail17trampoline_kernelINS0_14default_configENS1_35adjacent_difference_config_selectorILb0ElEEZNS1_24adjacent_difference_implIS3_Lb0ELb0EPlS7_ZN2at6native12_GLOBAL__N_124unique_dim_cuda_templateItEESt5tupleIJNS8_6TensorESD_SD_EERKSD_lbbbEUlllE1_EE10hipError_tPvRmT2_T3_mT4_P12ihipStream_tbEUlT_E_NS1_11comp_targetILNS1_3genE10ELNS1_11target_archE1201ELNS1_3gpuE5ELNS1_3repE0EEENS1_30default_config_static_selectorELNS0_4arch9wavefront6targetE1EEEvT1_.private_seg_size, 0
	.set _ZN7rocprim17ROCPRIM_400000_NS6detail17trampoline_kernelINS0_14default_configENS1_35adjacent_difference_config_selectorILb0ElEEZNS1_24adjacent_difference_implIS3_Lb0ELb0EPlS7_ZN2at6native12_GLOBAL__N_124unique_dim_cuda_templateItEESt5tupleIJNS8_6TensorESD_SD_EERKSD_lbbbEUlllE1_EE10hipError_tPvRmT2_T3_mT4_P12ihipStream_tbEUlT_E_NS1_11comp_targetILNS1_3genE10ELNS1_11target_archE1201ELNS1_3gpuE5ELNS1_3repE0EEENS1_30default_config_static_selectorELNS0_4arch9wavefront6targetE1EEEvT1_.uses_vcc, 0
	.set _ZN7rocprim17ROCPRIM_400000_NS6detail17trampoline_kernelINS0_14default_configENS1_35adjacent_difference_config_selectorILb0ElEEZNS1_24adjacent_difference_implIS3_Lb0ELb0EPlS7_ZN2at6native12_GLOBAL__N_124unique_dim_cuda_templateItEESt5tupleIJNS8_6TensorESD_SD_EERKSD_lbbbEUlllE1_EE10hipError_tPvRmT2_T3_mT4_P12ihipStream_tbEUlT_E_NS1_11comp_targetILNS1_3genE10ELNS1_11target_archE1201ELNS1_3gpuE5ELNS1_3repE0EEENS1_30default_config_static_selectorELNS0_4arch9wavefront6targetE1EEEvT1_.uses_flat_scratch, 0
	.set _ZN7rocprim17ROCPRIM_400000_NS6detail17trampoline_kernelINS0_14default_configENS1_35adjacent_difference_config_selectorILb0ElEEZNS1_24adjacent_difference_implIS3_Lb0ELb0EPlS7_ZN2at6native12_GLOBAL__N_124unique_dim_cuda_templateItEESt5tupleIJNS8_6TensorESD_SD_EERKSD_lbbbEUlllE1_EE10hipError_tPvRmT2_T3_mT4_P12ihipStream_tbEUlT_E_NS1_11comp_targetILNS1_3genE10ELNS1_11target_archE1201ELNS1_3gpuE5ELNS1_3repE0EEENS1_30default_config_static_selectorELNS0_4arch9wavefront6targetE1EEEvT1_.has_dyn_sized_stack, 0
	.set _ZN7rocprim17ROCPRIM_400000_NS6detail17trampoline_kernelINS0_14default_configENS1_35adjacent_difference_config_selectorILb0ElEEZNS1_24adjacent_difference_implIS3_Lb0ELb0EPlS7_ZN2at6native12_GLOBAL__N_124unique_dim_cuda_templateItEESt5tupleIJNS8_6TensorESD_SD_EERKSD_lbbbEUlllE1_EE10hipError_tPvRmT2_T3_mT4_P12ihipStream_tbEUlT_E_NS1_11comp_targetILNS1_3genE10ELNS1_11target_archE1201ELNS1_3gpuE5ELNS1_3repE0EEENS1_30default_config_static_selectorELNS0_4arch9wavefront6targetE1EEEvT1_.has_recursion, 0
	.set _ZN7rocprim17ROCPRIM_400000_NS6detail17trampoline_kernelINS0_14default_configENS1_35adjacent_difference_config_selectorILb0ElEEZNS1_24adjacent_difference_implIS3_Lb0ELb0EPlS7_ZN2at6native12_GLOBAL__N_124unique_dim_cuda_templateItEESt5tupleIJNS8_6TensorESD_SD_EERKSD_lbbbEUlllE1_EE10hipError_tPvRmT2_T3_mT4_P12ihipStream_tbEUlT_E_NS1_11comp_targetILNS1_3genE10ELNS1_11target_archE1201ELNS1_3gpuE5ELNS1_3repE0EEENS1_30default_config_static_selectorELNS0_4arch9wavefront6targetE1EEEvT1_.has_indirect_call, 0
	.section	.AMDGPU.csdata,"",@progbits
; Kernel info:
; codeLenInByte = 0
; TotalNumSgprs: 6
; NumVgprs: 0
; NumAgprs: 0
; TotalNumVgprs: 0
; ScratchSize: 0
; MemoryBound: 0
; FloatMode: 240
; IeeeMode: 1
; LDSByteSize: 0 bytes/workgroup (compile time only)
; SGPRBlocks: 0
; VGPRBlocks: 0
; NumSGPRsForWavesPerEU: 6
; NumVGPRsForWavesPerEU: 1
; AccumOffset: 4
; Occupancy: 8
; WaveLimiterHint : 0
; COMPUTE_PGM_RSRC2:SCRATCH_EN: 0
; COMPUTE_PGM_RSRC2:USER_SGPR: 2
; COMPUTE_PGM_RSRC2:TRAP_HANDLER: 0
; COMPUTE_PGM_RSRC2:TGID_X_EN: 1
; COMPUTE_PGM_RSRC2:TGID_Y_EN: 0
; COMPUTE_PGM_RSRC2:TGID_Z_EN: 0
; COMPUTE_PGM_RSRC2:TIDIG_COMP_CNT: 0
; COMPUTE_PGM_RSRC3_GFX90A:ACCUM_OFFSET: 0
; COMPUTE_PGM_RSRC3_GFX90A:TG_SPLIT: 0
	.section	.text._ZN7rocprim17ROCPRIM_400000_NS6detail17trampoline_kernelINS0_14default_configENS1_35adjacent_difference_config_selectorILb0ElEEZNS1_24adjacent_difference_implIS3_Lb0ELb0EPlS7_ZN2at6native12_GLOBAL__N_124unique_dim_cuda_templateItEESt5tupleIJNS8_6TensorESD_SD_EERKSD_lbbbEUlllE1_EE10hipError_tPvRmT2_T3_mT4_P12ihipStream_tbEUlT_E_NS1_11comp_targetILNS1_3genE5ELNS1_11target_archE942ELNS1_3gpuE9ELNS1_3repE0EEENS1_30default_config_static_selectorELNS0_4arch9wavefront6targetE1EEEvT1_,"axG",@progbits,_ZN7rocprim17ROCPRIM_400000_NS6detail17trampoline_kernelINS0_14default_configENS1_35adjacent_difference_config_selectorILb0ElEEZNS1_24adjacent_difference_implIS3_Lb0ELb0EPlS7_ZN2at6native12_GLOBAL__N_124unique_dim_cuda_templateItEESt5tupleIJNS8_6TensorESD_SD_EERKSD_lbbbEUlllE1_EE10hipError_tPvRmT2_T3_mT4_P12ihipStream_tbEUlT_E_NS1_11comp_targetILNS1_3genE5ELNS1_11target_archE942ELNS1_3gpuE9ELNS1_3repE0EEENS1_30default_config_static_selectorELNS0_4arch9wavefront6targetE1EEEvT1_,comdat
	.globl	_ZN7rocprim17ROCPRIM_400000_NS6detail17trampoline_kernelINS0_14default_configENS1_35adjacent_difference_config_selectorILb0ElEEZNS1_24adjacent_difference_implIS3_Lb0ELb0EPlS7_ZN2at6native12_GLOBAL__N_124unique_dim_cuda_templateItEESt5tupleIJNS8_6TensorESD_SD_EERKSD_lbbbEUlllE1_EE10hipError_tPvRmT2_T3_mT4_P12ihipStream_tbEUlT_E_NS1_11comp_targetILNS1_3genE5ELNS1_11target_archE942ELNS1_3gpuE9ELNS1_3repE0EEENS1_30default_config_static_selectorELNS0_4arch9wavefront6targetE1EEEvT1_ ; -- Begin function _ZN7rocprim17ROCPRIM_400000_NS6detail17trampoline_kernelINS0_14default_configENS1_35adjacent_difference_config_selectorILb0ElEEZNS1_24adjacent_difference_implIS3_Lb0ELb0EPlS7_ZN2at6native12_GLOBAL__N_124unique_dim_cuda_templateItEESt5tupleIJNS8_6TensorESD_SD_EERKSD_lbbbEUlllE1_EE10hipError_tPvRmT2_T3_mT4_P12ihipStream_tbEUlT_E_NS1_11comp_targetILNS1_3genE5ELNS1_11target_archE942ELNS1_3gpuE9ELNS1_3repE0EEENS1_30default_config_static_selectorELNS0_4arch9wavefront6targetE1EEEvT1_
	.p2align	8
	.type	_ZN7rocprim17ROCPRIM_400000_NS6detail17trampoline_kernelINS0_14default_configENS1_35adjacent_difference_config_selectorILb0ElEEZNS1_24adjacent_difference_implIS3_Lb0ELb0EPlS7_ZN2at6native12_GLOBAL__N_124unique_dim_cuda_templateItEESt5tupleIJNS8_6TensorESD_SD_EERKSD_lbbbEUlllE1_EE10hipError_tPvRmT2_T3_mT4_P12ihipStream_tbEUlT_E_NS1_11comp_targetILNS1_3genE5ELNS1_11target_archE942ELNS1_3gpuE9ELNS1_3repE0EEENS1_30default_config_static_selectorELNS0_4arch9wavefront6targetE1EEEvT1_,@function
_ZN7rocprim17ROCPRIM_400000_NS6detail17trampoline_kernelINS0_14default_configENS1_35adjacent_difference_config_selectorILb0ElEEZNS1_24adjacent_difference_implIS3_Lb0ELb0EPlS7_ZN2at6native12_GLOBAL__N_124unique_dim_cuda_templateItEESt5tupleIJNS8_6TensorESD_SD_EERKSD_lbbbEUlllE1_EE10hipError_tPvRmT2_T3_mT4_P12ihipStream_tbEUlT_E_NS1_11comp_targetILNS1_3genE5ELNS1_11target_archE942ELNS1_3gpuE9ELNS1_3repE0EEENS1_30default_config_static_selectorELNS0_4arch9wavefront6targetE1EEEvT1_: ; @_ZN7rocprim17ROCPRIM_400000_NS6detail17trampoline_kernelINS0_14default_configENS1_35adjacent_difference_config_selectorILb0ElEEZNS1_24adjacent_difference_implIS3_Lb0ELb0EPlS7_ZN2at6native12_GLOBAL__N_124unique_dim_cuda_templateItEESt5tupleIJNS8_6TensorESD_SD_EERKSD_lbbbEUlllE1_EE10hipError_tPvRmT2_T3_mT4_P12ihipStream_tbEUlT_E_NS1_11comp_targetILNS1_3genE5ELNS1_11target_archE942ELNS1_3gpuE9ELNS1_3repE0EEENS1_30default_config_static_selectorELNS0_4arch9wavefront6targetE1EEEvT1_
; %bb.0:
	.section	.rodata,"a",@progbits
	.p2align	6, 0x0
	.amdhsa_kernel _ZN7rocprim17ROCPRIM_400000_NS6detail17trampoline_kernelINS0_14default_configENS1_35adjacent_difference_config_selectorILb0ElEEZNS1_24adjacent_difference_implIS3_Lb0ELb0EPlS7_ZN2at6native12_GLOBAL__N_124unique_dim_cuda_templateItEESt5tupleIJNS8_6TensorESD_SD_EERKSD_lbbbEUlllE1_EE10hipError_tPvRmT2_T3_mT4_P12ihipStream_tbEUlT_E_NS1_11comp_targetILNS1_3genE5ELNS1_11target_archE942ELNS1_3gpuE9ELNS1_3repE0EEENS1_30default_config_static_selectorELNS0_4arch9wavefront6targetE1EEEvT1_
		.amdhsa_group_segment_fixed_size 0
		.amdhsa_private_segment_fixed_size 0
		.amdhsa_kernarg_size 64
		.amdhsa_user_sgpr_count 2
		.amdhsa_user_sgpr_dispatch_ptr 0
		.amdhsa_user_sgpr_queue_ptr 0
		.amdhsa_user_sgpr_kernarg_segment_ptr 1
		.amdhsa_user_sgpr_dispatch_id 0
		.amdhsa_user_sgpr_kernarg_preload_length 0
		.amdhsa_user_sgpr_kernarg_preload_offset 0
		.amdhsa_user_sgpr_private_segment_size 0
		.amdhsa_uses_dynamic_stack 0
		.amdhsa_enable_private_segment 0
		.amdhsa_system_sgpr_workgroup_id_x 1
		.amdhsa_system_sgpr_workgroup_id_y 0
		.amdhsa_system_sgpr_workgroup_id_z 0
		.amdhsa_system_sgpr_workgroup_info 0
		.amdhsa_system_vgpr_workitem_id 0
		.amdhsa_next_free_vgpr 1
		.amdhsa_next_free_sgpr 0
		.amdhsa_accum_offset 4
		.amdhsa_reserve_vcc 0
		.amdhsa_float_round_mode_32 0
		.amdhsa_float_round_mode_16_64 0
		.amdhsa_float_denorm_mode_32 3
		.amdhsa_float_denorm_mode_16_64 3
		.amdhsa_dx10_clamp 1
		.amdhsa_ieee_mode 1
		.amdhsa_fp16_overflow 0
		.amdhsa_tg_split 0
		.amdhsa_exception_fp_ieee_invalid_op 0
		.amdhsa_exception_fp_denorm_src 0
		.amdhsa_exception_fp_ieee_div_zero 0
		.amdhsa_exception_fp_ieee_overflow 0
		.amdhsa_exception_fp_ieee_underflow 0
		.amdhsa_exception_fp_ieee_inexact 0
		.amdhsa_exception_int_div_zero 0
	.end_amdhsa_kernel
	.section	.text._ZN7rocprim17ROCPRIM_400000_NS6detail17trampoline_kernelINS0_14default_configENS1_35adjacent_difference_config_selectorILb0ElEEZNS1_24adjacent_difference_implIS3_Lb0ELb0EPlS7_ZN2at6native12_GLOBAL__N_124unique_dim_cuda_templateItEESt5tupleIJNS8_6TensorESD_SD_EERKSD_lbbbEUlllE1_EE10hipError_tPvRmT2_T3_mT4_P12ihipStream_tbEUlT_E_NS1_11comp_targetILNS1_3genE5ELNS1_11target_archE942ELNS1_3gpuE9ELNS1_3repE0EEENS1_30default_config_static_selectorELNS0_4arch9wavefront6targetE1EEEvT1_,"axG",@progbits,_ZN7rocprim17ROCPRIM_400000_NS6detail17trampoline_kernelINS0_14default_configENS1_35adjacent_difference_config_selectorILb0ElEEZNS1_24adjacent_difference_implIS3_Lb0ELb0EPlS7_ZN2at6native12_GLOBAL__N_124unique_dim_cuda_templateItEESt5tupleIJNS8_6TensorESD_SD_EERKSD_lbbbEUlllE1_EE10hipError_tPvRmT2_T3_mT4_P12ihipStream_tbEUlT_E_NS1_11comp_targetILNS1_3genE5ELNS1_11target_archE942ELNS1_3gpuE9ELNS1_3repE0EEENS1_30default_config_static_selectorELNS0_4arch9wavefront6targetE1EEEvT1_,comdat
.Lfunc_end1396:
	.size	_ZN7rocprim17ROCPRIM_400000_NS6detail17trampoline_kernelINS0_14default_configENS1_35adjacent_difference_config_selectorILb0ElEEZNS1_24adjacent_difference_implIS3_Lb0ELb0EPlS7_ZN2at6native12_GLOBAL__N_124unique_dim_cuda_templateItEESt5tupleIJNS8_6TensorESD_SD_EERKSD_lbbbEUlllE1_EE10hipError_tPvRmT2_T3_mT4_P12ihipStream_tbEUlT_E_NS1_11comp_targetILNS1_3genE5ELNS1_11target_archE942ELNS1_3gpuE9ELNS1_3repE0EEENS1_30default_config_static_selectorELNS0_4arch9wavefront6targetE1EEEvT1_, .Lfunc_end1396-_ZN7rocprim17ROCPRIM_400000_NS6detail17trampoline_kernelINS0_14default_configENS1_35adjacent_difference_config_selectorILb0ElEEZNS1_24adjacent_difference_implIS3_Lb0ELb0EPlS7_ZN2at6native12_GLOBAL__N_124unique_dim_cuda_templateItEESt5tupleIJNS8_6TensorESD_SD_EERKSD_lbbbEUlllE1_EE10hipError_tPvRmT2_T3_mT4_P12ihipStream_tbEUlT_E_NS1_11comp_targetILNS1_3genE5ELNS1_11target_archE942ELNS1_3gpuE9ELNS1_3repE0EEENS1_30default_config_static_selectorELNS0_4arch9wavefront6targetE1EEEvT1_
                                        ; -- End function
	.set _ZN7rocprim17ROCPRIM_400000_NS6detail17trampoline_kernelINS0_14default_configENS1_35adjacent_difference_config_selectorILb0ElEEZNS1_24adjacent_difference_implIS3_Lb0ELb0EPlS7_ZN2at6native12_GLOBAL__N_124unique_dim_cuda_templateItEESt5tupleIJNS8_6TensorESD_SD_EERKSD_lbbbEUlllE1_EE10hipError_tPvRmT2_T3_mT4_P12ihipStream_tbEUlT_E_NS1_11comp_targetILNS1_3genE5ELNS1_11target_archE942ELNS1_3gpuE9ELNS1_3repE0EEENS1_30default_config_static_selectorELNS0_4arch9wavefront6targetE1EEEvT1_.num_vgpr, 0
	.set _ZN7rocprim17ROCPRIM_400000_NS6detail17trampoline_kernelINS0_14default_configENS1_35adjacent_difference_config_selectorILb0ElEEZNS1_24adjacent_difference_implIS3_Lb0ELb0EPlS7_ZN2at6native12_GLOBAL__N_124unique_dim_cuda_templateItEESt5tupleIJNS8_6TensorESD_SD_EERKSD_lbbbEUlllE1_EE10hipError_tPvRmT2_T3_mT4_P12ihipStream_tbEUlT_E_NS1_11comp_targetILNS1_3genE5ELNS1_11target_archE942ELNS1_3gpuE9ELNS1_3repE0EEENS1_30default_config_static_selectorELNS0_4arch9wavefront6targetE1EEEvT1_.num_agpr, 0
	.set _ZN7rocprim17ROCPRIM_400000_NS6detail17trampoline_kernelINS0_14default_configENS1_35adjacent_difference_config_selectorILb0ElEEZNS1_24adjacent_difference_implIS3_Lb0ELb0EPlS7_ZN2at6native12_GLOBAL__N_124unique_dim_cuda_templateItEESt5tupleIJNS8_6TensorESD_SD_EERKSD_lbbbEUlllE1_EE10hipError_tPvRmT2_T3_mT4_P12ihipStream_tbEUlT_E_NS1_11comp_targetILNS1_3genE5ELNS1_11target_archE942ELNS1_3gpuE9ELNS1_3repE0EEENS1_30default_config_static_selectorELNS0_4arch9wavefront6targetE1EEEvT1_.numbered_sgpr, 0
	.set _ZN7rocprim17ROCPRIM_400000_NS6detail17trampoline_kernelINS0_14default_configENS1_35adjacent_difference_config_selectorILb0ElEEZNS1_24adjacent_difference_implIS3_Lb0ELb0EPlS7_ZN2at6native12_GLOBAL__N_124unique_dim_cuda_templateItEESt5tupleIJNS8_6TensorESD_SD_EERKSD_lbbbEUlllE1_EE10hipError_tPvRmT2_T3_mT4_P12ihipStream_tbEUlT_E_NS1_11comp_targetILNS1_3genE5ELNS1_11target_archE942ELNS1_3gpuE9ELNS1_3repE0EEENS1_30default_config_static_selectorELNS0_4arch9wavefront6targetE1EEEvT1_.num_named_barrier, 0
	.set _ZN7rocprim17ROCPRIM_400000_NS6detail17trampoline_kernelINS0_14default_configENS1_35adjacent_difference_config_selectorILb0ElEEZNS1_24adjacent_difference_implIS3_Lb0ELb0EPlS7_ZN2at6native12_GLOBAL__N_124unique_dim_cuda_templateItEESt5tupleIJNS8_6TensorESD_SD_EERKSD_lbbbEUlllE1_EE10hipError_tPvRmT2_T3_mT4_P12ihipStream_tbEUlT_E_NS1_11comp_targetILNS1_3genE5ELNS1_11target_archE942ELNS1_3gpuE9ELNS1_3repE0EEENS1_30default_config_static_selectorELNS0_4arch9wavefront6targetE1EEEvT1_.private_seg_size, 0
	.set _ZN7rocprim17ROCPRIM_400000_NS6detail17trampoline_kernelINS0_14default_configENS1_35adjacent_difference_config_selectorILb0ElEEZNS1_24adjacent_difference_implIS3_Lb0ELb0EPlS7_ZN2at6native12_GLOBAL__N_124unique_dim_cuda_templateItEESt5tupleIJNS8_6TensorESD_SD_EERKSD_lbbbEUlllE1_EE10hipError_tPvRmT2_T3_mT4_P12ihipStream_tbEUlT_E_NS1_11comp_targetILNS1_3genE5ELNS1_11target_archE942ELNS1_3gpuE9ELNS1_3repE0EEENS1_30default_config_static_selectorELNS0_4arch9wavefront6targetE1EEEvT1_.uses_vcc, 0
	.set _ZN7rocprim17ROCPRIM_400000_NS6detail17trampoline_kernelINS0_14default_configENS1_35adjacent_difference_config_selectorILb0ElEEZNS1_24adjacent_difference_implIS3_Lb0ELb0EPlS7_ZN2at6native12_GLOBAL__N_124unique_dim_cuda_templateItEESt5tupleIJNS8_6TensorESD_SD_EERKSD_lbbbEUlllE1_EE10hipError_tPvRmT2_T3_mT4_P12ihipStream_tbEUlT_E_NS1_11comp_targetILNS1_3genE5ELNS1_11target_archE942ELNS1_3gpuE9ELNS1_3repE0EEENS1_30default_config_static_selectorELNS0_4arch9wavefront6targetE1EEEvT1_.uses_flat_scratch, 0
	.set _ZN7rocprim17ROCPRIM_400000_NS6detail17trampoline_kernelINS0_14default_configENS1_35adjacent_difference_config_selectorILb0ElEEZNS1_24adjacent_difference_implIS3_Lb0ELb0EPlS7_ZN2at6native12_GLOBAL__N_124unique_dim_cuda_templateItEESt5tupleIJNS8_6TensorESD_SD_EERKSD_lbbbEUlllE1_EE10hipError_tPvRmT2_T3_mT4_P12ihipStream_tbEUlT_E_NS1_11comp_targetILNS1_3genE5ELNS1_11target_archE942ELNS1_3gpuE9ELNS1_3repE0EEENS1_30default_config_static_selectorELNS0_4arch9wavefront6targetE1EEEvT1_.has_dyn_sized_stack, 0
	.set _ZN7rocprim17ROCPRIM_400000_NS6detail17trampoline_kernelINS0_14default_configENS1_35adjacent_difference_config_selectorILb0ElEEZNS1_24adjacent_difference_implIS3_Lb0ELb0EPlS7_ZN2at6native12_GLOBAL__N_124unique_dim_cuda_templateItEESt5tupleIJNS8_6TensorESD_SD_EERKSD_lbbbEUlllE1_EE10hipError_tPvRmT2_T3_mT4_P12ihipStream_tbEUlT_E_NS1_11comp_targetILNS1_3genE5ELNS1_11target_archE942ELNS1_3gpuE9ELNS1_3repE0EEENS1_30default_config_static_selectorELNS0_4arch9wavefront6targetE1EEEvT1_.has_recursion, 0
	.set _ZN7rocprim17ROCPRIM_400000_NS6detail17trampoline_kernelINS0_14default_configENS1_35adjacent_difference_config_selectorILb0ElEEZNS1_24adjacent_difference_implIS3_Lb0ELb0EPlS7_ZN2at6native12_GLOBAL__N_124unique_dim_cuda_templateItEESt5tupleIJNS8_6TensorESD_SD_EERKSD_lbbbEUlllE1_EE10hipError_tPvRmT2_T3_mT4_P12ihipStream_tbEUlT_E_NS1_11comp_targetILNS1_3genE5ELNS1_11target_archE942ELNS1_3gpuE9ELNS1_3repE0EEENS1_30default_config_static_selectorELNS0_4arch9wavefront6targetE1EEEvT1_.has_indirect_call, 0
	.section	.AMDGPU.csdata,"",@progbits
; Kernel info:
; codeLenInByte = 0
; TotalNumSgprs: 6
; NumVgprs: 0
; NumAgprs: 0
; TotalNumVgprs: 0
; ScratchSize: 0
; MemoryBound: 0
; FloatMode: 240
; IeeeMode: 1
; LDSByteSize: 0 bytes/workgroup (compile time only)
; SGPRBlocks: 0
; VGPRBlocks: 0
; NumSGPRsForWavesPerEU: 6
; NumVGPRsForWavesPerEU: 1
; AccumOffset: 4
; Occupancy: 8
; WaveLimiterHint : 0
; COMPUTE_PGM_RSRC2:SCRATCH_EN: 0
; COMPUTE_PGM_RSRC2:USER_SGPR: 2
; COMPUTE_PGM_RSRC2:TRAP_HANDLER: 0
; COMPUTE_PGM_RSRC2:TGID_X_EN: 1
; COMPUTE_PGM_RSRC2:TGID_Y_EN: 0
; COMPUTE_PGM_RSRC2:TGID_Z_EN: 0
; COMPUTE_PGM_RSRC2:TIDIG_COMP_CNT: 0
; COMPUTE_PGM_RSRC3_GFX90A:ACCUM_OFFSET: 0
; COMPUTE_PGM_RSRC3_GFX90A:TG_SPLIT: 0
	.section	.text._ZN7rocprim17ROCPRIM_400000_NS6detail17trampoline_kernelINS0_14default_configENS1_35adjacent_difference_config_selectorILb0ElEEZNS1_24adjacent_difference_implIS3_Lb0ELb0EPlS7_ZN2at6native12_GLOBAL__N_124unique_dim_cuda_templateItEESt5tupleIJNS8_6TensorESD_SD_EERKSD_lbbbEUlllE1_EE10hipError_tPvRmT2_T3_mT4_P12ihipStream_tbEUlT_E_NS1_11comp_targetILNS1_3genE4ELNS1_11target_archE910ELNS1_3gpuE8ELNS1_3repE0EEENS1_30default_config_static_selectorELNS0_4arch9wavefront6targetE1EEEvT1_,"axG",@progbits,_ZN7rocprim17ROCPRIM_400000_NS6detail17trampoline_kernelINS0_14default_configENS1_35adjacent_difference_config_selectorILb0ElEEZNS1_24adjacent_difference_implIS3_Lb0ELb0EPlS7_ZN2at6native12_GLOBAL__N_124unique_dim_cuda_templateItEESt5tupleIJNS8_6TensorESD_SD_EERKSD_lbbbEUlllE1_EE10hipError_tPvRmT2_T3_mT4_P12ihipStream_tbEUlT_E_NS1_11comp_targetILNS1_3genE4ELNS1_11target_archE910ELNS1_3gpuE8ELNS1_3repE0EEENS1_30default_config_static_selectorELNS0_4arch9wavefront6targetE1EEEvT1_,comdat
	.globl	_ZN7rocprim17ROCPRIM_400000_NS6detail17trampoline_kernelINS0_14default_configENS1_35adjacent_difference_config_selectorILb0ElEEZNS1_24adjacent_difference_implIS3_Lb0ELb0EPlS7_ZN2at6native12_GLOBAL__N_124unique_dim_cuda_templateItEESt5tupleIJNS8_6TensorESD_SD_EERKSD_lbbbEUlllE1_EE10hipError_tPvRmT2_T3_mT4_P12ihipStream_tbEUlT_E_NS1_11comp_targetILNS1_3genE4ELNS1_11target_archE910ELNS1_3gpuE8ELNS1_3repE0EEENS1_30default_config_static_selectorELNS0_4arch9wavefront6targetE1EEEvT1_ ; -- Begin function _ZN7rocprim17ROCPRIM_400000_NS6detail17trampoline_kernelINS0_14default_configENS1_35adjacent_difference_config_selectorILb0ElEEZNS1_24adjacent_difference_implIS3_Lb0ELb0EPlS7_ZN2at6native12_GLOBAL__N_124unique_dim_cuda_templateItEESt5tupleIJNS8_6TensorESD_SD_EERKSD_lbbbEUlllE1_EE10hipError_tPvRmT2_T3_mT4_P12ihipStream_tbEUlT_E_NS1_11comp_targetILNS1_3genE4ELNS1_11target_archE910ELNS1_3gpuE8ELNS1_3repE0EEENS1_30default_config_static_selectorELNS0_4arch9wavefront6targetE1EEEvT1_
	.p2align	8
	.type	_ZN7rocprim17ROCPRIM_400000_NS6detail17trampoline_kernelINS0_14default_configENS1_35adjacent_difference_config_selectorILb0ElEEZNS1_24adjacent_difference_implIS3_Lb0ELb0EPlS7_ZN2at6native12_GLOBAL__N_124unique_dim_cuda_templateItEESt5tupleIJNS8_6TensorESD_SD_EERKSD_lbbbEUlllE1_EE10hipError_tPvRmT2_T3_mT4_P12ihipStream_tbEUlT_E_NS1_11comp_targetILNS1_3genE4ELNS1_11target_archE910ELNS1_3gpuE8ELNS1_3repE0EEENS1_30default_config_static_selectorELNS0_4arch9wavefront6targetE1EEEvT1_,@function
_ZN7rocprim17ROCPRIM_400000_NS6detail17trampoline_kernelINS0_14default_configENS1_35adjacent_difference_config_selectorILb0ElEEZNS1_24adjacent_difference_implIS3_Lb0ELb0EPlS7_ZN2at6native12_GLOBAL__N_124unique_dim_cuda_templateItEESt5tupleIJNS8_6TensorESD_SD_EERKSD_lbbbEUlllE1_EE10hipError_tPvRmT2_T3_mT4_P12ihipStream_tbEUlT_E_NS1_11comp_targetILNS1_3genE4ELNS1_11target_archE910ELNS1_3gpuE8ELNS1_3repE0EEENS1_30default_config_static_selectorELNS0_4arch9wavefront6targetE1EEEvT1_: ; @_ZN7rocprim17ROCPRIM_400000_NS6detail17trampoline_kernelINS0_14default_configENS1_35adjacent_difference_config_selectorILb0ElEEZNS1_24adjacent_difference_implIS3_Lb0ELb0EPlS7_ZN2at6native12_GLOBAL__N_124unique_dim_cuda_templateItEESt5tupleIJNS8_6TensorESD_SD_EERKSD_lbbbEUlllE1_EE10hipError_tPvRmT2_T3_mT4_P12ihipStream_tbEUlT_E_NS1_11comp_targetILNS1_3genE4ELNS1_11target_archE910ELNS1_3gpuE8ELNS1_3repE0EEENS1_30default_config_static_selectorELNS0_4arch9wavefront6targetE1EEEvT1_
; %bb.0:
	.section	.rodata,"a",@progbits
	.p2align	6, 0x0
	.amdhsa_kernel _ZN7rocprim17ROCPRIM_400000_NS6detail17trampoline_kernelINS0_14default_configENS1_35adjacent_difference_config_selectorILb0ElEEZNS1_24adjacent_difference_implIS3_Lb0ELb0EPlS7_ZN2at6native12_GLOBAL__N_124unique_dim_cuda_templateItEESt5tupleIJNS8_6TensorESD_SD_EERKSD_lbbbEUlllE1_EE10hipError_tPvRmT2_T3_mT4_P12ihipStream_tbEUlT_E_NS1_11comp_targetILNS1_3genE4ELNS1_11target_archE910ELNS1_3gpuE8ELNS1_3repE0EEENS1_30default_config_static_selectorELNS0_4arch9wavefront6targetE1EEEvT1_
		.amdhsa_group_segment_fixed_size 0
		.amdhsa_private_segment_fixed_size 0
		.amdhsa_kernarg_size 64
		.amdhsa_user_sgpr_count 2
		.amdhsa_user_sgpr_dispatch_ptr 0
		.amdhsa_user_sgpr_queue_ptr 0
		.amdhsa_user_sgpr_kernarg_segment_ptr 1
		.amdhsa_user_sgpr_dispatch_id 0
		.amdhsa_user_sgpr_kernarg_preload_length 0
		.amdhsa_user_sgpr_kernarg_preload_offset 0
		.amdhsa_user_sgpr_private_segment_size 0
		.amdhsa_uses_dynamic_stack 0
		.amdhsa_enable_private_segment 0
		.amdhsa_system_sgpr_workgroup_id_x 1
		.amdhsa_system_sgpr_workgroup_id_y 0
		.amdhsa_system_sgpr_workgroup_id_z 0
		.amdhsa_system_sgpr_workgroup_info 0
		.amdhsa_system_vgpr_workitem_id 0
		.amdhsa_next_free_vgpr 1
		.amdhsa_next_free_sgpr 0
		.amdhsa_accum_offset 4
		.amdhsa_reserve_vcc 0
		.amdhsa_float_round_mode_32 0
		.amdhsa_float_round_mode_16_64 0
		.amdhsa_float_denorm_mode_32 3
		.amdhsa_float_denorm_mode_16_64 3
		.amdhsa_dx10_clamp 1
		.amdhsa_ieee_mode 1
		.amdhsa_fp16_overflow 0
		.amdhsa_tg_split 0
		.amdhsa_exception_fp_ieee_invalid_op 0
		.amdhsa_exception_fp_denorm_src 0
		.amdhsa_exception_fp_ieee_div_zero 0
		.amdhsa_exception_fp_ieee_overflow 0
		.amdhsa_exception_fp_ieee_underflow 0
		.amdhsa_exception_fp_ieee_inexact 0
		.amdhsa_exception_int_div_zero 0
	.end_amdhsa_kernel
	.section	.text._ZN7rocprim17ROCPRIM_400000_NS6detail17trampoline_kernelINS0_14default_configENS1_35adjacent_difference_config_selectorILb0ElEEZNS1_24adjacent_difference_implIS3_Lb0ELb0EPlS7_ZN2at6native12_GLOBAL__N_124unique_dim_cuda_templateItEESt5tupleIJNS8_6TensorESD_SD_EERKSD_lbbbEUlllE1_EE10hipError_tPvRmT2_T3_mT4_P12ihipStream_tbEUlT_E_NS1_11comp_targetILNS1_3genE4ELNS1_11target_archE910ELNS1_3gpuE8ELNS1_3repE0EEENS1_30default_config_static_selectorELNS0_4arch9wavefront6targetE1EEEvT1_,"axG",@progbits,_ZN7rocprim17ROCPRIM_400000_NS6detail17trampoline_kernelINS0_14default_configENS1_35adjacent_difference_config_selectorILb0ElEEZNS1_24adjacent_difference_implIS3_Lb0ELb0EPlS7_ZN2at6native12_GLOBAL__N_124unique_dim_cuda_templateItEESt5tupleIJNS8_6TensorESD_SD_EERKSD_lbbbEUlllE1_EE10hipError_tPvRmT2_T3_mT4_P12ihipStream_tbEUlT_E_NS1_11comp_targetILNS1_3genE4ELNS1_11target_archE910ELNS1_3gpuE8ELNS1_3repE0EEENS1_30default_config_static_selectorELNS0_4arch9wavefront6targetE1EEEvT1_,comdat
.Lfunc_end1397:
	.size	_ZN7rocprim17ROCPRIM_400000_NS6detail17trampoline_kernelINS0_14default_configENS1_35adjacent_difference_config_selectorILb0ElEEZNS1_24adjacent_difference_implIS3_Lb0ELb0EPlS7_ZN2at6native12_GLOBAL__N_124unique_dim_cuda_templateItEESt5tupleIJNS8_6TensorESD_SD_EERKSD_lbbbEUlllE1_EE10hipError_tPvRmT2_T3_mT4_P12ihipStream_tbEUlT_E_NS1_11comp_targetILNS1_3genE4ELNS1_11target_archE910ELNS1_3gpuE8ELNS1_3repE0EEENS1_30default_config_static_selectorELNS0_4arch9wavefront6targetE1EEEvT1_, .Lfunc_end1397-_ZN7rocprim17ROCPRIM_400000_NS6detail17trampoline_kernelINS0_14default_configENS1_35adjacent_difference_config_selectorILb0ElEEZNS1_24adjacent_difference_implIS3_Lb0ELb0EPlS7_ZN2at6native12_GLOBAL__N_124unique_dim_cuda_templateItEESt5tupleIJNS8_6TensorESD_SD_EERKSD_lbbbEUlllE1_EE10hipError_tPvRmT2_T3_mT4_P12ihipStream_tbEUlT_E_NS1_11comp_targetILNS1_3genE4ELNS1_11target_archE910ELNS1_3gpuE8ELNS1_3repE0EEENS1_30default_config_static_selectorELNS0_4arch9wavefront6targetE1EEEvT1_
                                        ; -- End function
	.set _ZN7rocprim17ROCPRIM_400000_NS6detail17trampoline_kernelINS0_14default_configENS1_35adjacent_difference_config_selectorILb0ElEEZNS1_24adjacent_difference_implIS3_Lb0ELb0EPlS7_ZN2at6native12_GLOBAL__N_124unique_dim_cuda_templateItEESt5tupleIJNS8_6TensorESD_SD_EERKSD_lbbbEUlllE1_EE10hipError_tPvRmT2_T3_mT4_P12ihipStream_tbEUlT_E_NS1_11comp_targetILNS1_3genE4ELNS1_11target_archE910ELNS1_3gpuE8ELNS1_3repE0EEENS1_30default_config_static_selectorELNS0_4arch9wavefront6targetE1EEEvT1_.num_vgpr, 0
	.set _ZN7rocprim17ROCPRIM_400000_NS6detail17trampoline_kernelINS0_14default_configENS1_35adjacent_difference_config_selectorILb0ElEEZNS1_24adjacent_difference_implIS3_Lb0ELb0EPlS7_ZN2at6native12_GLOBAL__N_124unique_dim_cuda_templateItEESt5tupleIJNS8_6TensorESD_SD_EERKSD_lbbbEUlllE1_EE10hipError_tPvRmT2_T3_mT4_P12ihipStream_tbEUlT_E_NS1_11comp_targetILNS1_3genE4ELNS1_11target_archE910ELNS1_3gpuE8ELNS1_3repE0EEENS1_30default_config_static_selectorELNS0_4arch9wavefront6targetE1EEEvT1_.num_agpr, 0
	.set _ZN7rocprim17ROCPRIM_400000_NS6detail17trampoline_kernelINS0_14default_configENS1_35adjacent_difference_config_selectorILb0ElEEZNS1_24adjacent_difference_implIS3_Lb0ELb0EPlS7_ZN2at6native12_GLOBAL__N_124unique_dim_cuda_templateItEESt5tupleIJNS8_6TensorESD_SD_EERKSD_lbbbEUlllE1_EE10hipError_tPvRmT2_T3_mT4_P12ihipStream_tbEUlT_E_NS1_11comp_targetILNS1_3genE4ELNS1_11target_archE910ELNS1_3gpuE8ELNS1_3repE0EEENS1_30default_config_static_selectorELNS0_4arch9wavefront6targetE1EEEvT1_.numbered_sgpr, 0
	.set _ZN7rocprim17ROCPRIM_400000_NS6detail17trampoline_kernelINS0_14default_configENS1_35adjacent_difference_config_selectorILb0ElEEZNS1_24adjacent_difference_implIS3_Lb0ELb0EPlS7_ZN2at6native12_GLOBAL__N_124unique_dim_cuda_templateItEESt5tupleIJNS8_6TensorESD_SD_EERKSD_lbbbEUlllE1_EE10hipError_tPvRmT2_T3_mT4_P12ihipStream_tbEUlT_E_NS1_11comp_targetILNS1_3genE4ELNS1_11target_archE910ELNS1_3gpuE8ELNS1_3repE0EEENS1_30default_config_static_selectorELNS0_4arch9wavefront6targetE1EEEvT1_.num_named_barrier, 0
	.set _ZN7rocprim17ROCPRIM_400000_NS6detail17trampoline_kernelINS0_14default_configENS1_35adjacent_difference_config_selectorILb0ElEEZNS1_24adjacent_difference_implIS3_Lb0ELb0EPlS7_ZN2at6native12_GLOBAL__N_124unique_dim_cuda_templateItEESt5tupleIJNS8_6TensorESD_SD_EERKSD_lbbbEUlllE1_EE10hipError_tPvRmT2_T3_mT4_P12ihipStream_tbEUlT_E_NS1_11comp_targetILNS1_3genE4ELNS1_11target_archE910ELNS1_3gpuE8ELNS1_3repE0EEENS1_30default_config_static_selectorELNS0_4arch9wavefront6targetE1EEEvT1_.private_seg_size, 0
	.set _ZN7rocprim17ROCPRIM_400000_NS6detail17trampoline_kernelINS0_14default_configENS1_35adjacent_difference_config_selectorILb0ElEEZNS1_24adjacent_difference_implIS3_Lb0ELb0EPlS7_ZN2at6native12_GLOBAL__N_124unique_dim_cuda_templateItEESt5tupleIJNS8_6TensorESD_SD_EERKSD_lbbbEUlllE1_EE10hipError_tPvRmT2_T3_mT4_P12ihipStream_tbEUlT_E_NS1_11comp_targetILNS1_3genE4ELNS1_11target_archE910ELNS1_3gpuE8ELNS1_3repE0EEENS1_30default_config_static_selectorELNS0_4arch9wavefront6targetE1EEEvT1_.uses_vcc, 0
	.set _ZN7rocprim17ROCPRIM_400000_NS6detail17trampoline_kernelINS0_14default_configENS1_35adjacent_difference_config_selectorILb0ElEEZNS1_24adjacent_difference_implIS3_Lb0ELb0EPlS7_ZN2at6native12_GLOBAL__N_124unique_dim_cuda_templateItEESt5tupleIJNS8_6TensorESD_SD_EERKSD_lbbbEUlllE1_EE10hipError_tPvRmT2_T3_mT4_P12ihipStream_tbEUlT_E_NS1_11comp_targetILNS1_3genE4ELNS1_11target_archE910ELNS1_3gpuE8ELNS1_3repE0EEENS1_30default_config_static_selectorELNS0_4arch9wavefront6targetE1EEEvT1_.uses_flat_scratch, 0
	.set _ZN7rocprim17ROCPRIM_400000_NS6detail17trampoline_kernelINS0_14default_configENS1_35adjacent_difference_config_selectorILb0ElEEZNS1_24adjacent_difference_implIS3_Lb0ELb0EPlS7_ZN2at6native12_GLOBAL__N_124unique_dim_cuda_templateItEESt5tupleIJNS8_6TensorESD_SD_EERKSD_lbbbEUlllE1_EE10hipError_tPvRmT2_T3_mT4_P12ihipStream_tbEUlT_E_NS1_11comp_targetILNS1_3genE4ELNS1_11target_archE910ELNS1_3gpuE8ELNS1_3repE0EEENS1_30default_config_static_selectorELNS0_4arch9wavefront6targetE1EEEvT1_.has_dyn_sized_stack, 0
	.set _ZN7rocprim17ROCPRIM_400000_NS6detail17trampoline_kernelINS0_14default_configENS1_35adjacent_difference_config_selectorILb0ElEEZNS1_24adjacent_difference_implIS3_Lb0ELb0EPlS7_ZN2at6native12_GLOBAL__N_124unique_dim_cuda_templateItEESt5tupleIJNS8_6TensorESD_SD_EERKSD_lbbbEUlllE1_EE10hipError_tPvRmT2_T3_mT4_P12ihipStream_tbEUlT_E_NS1_11comp_targetILNS1_3genE4ELNS1_11target_archE910ELNS1_3gpuE8ELNS1_3repE0EEENS1_30default_config_static_selectorELNS0_4arch9wavefront6targetE1EEEvT1_.has_recursion, 0
	.set _ZN7rocprim17ROCPRIM_400000_NS6detail17trampoline_kernelINS0_14default_configENS1_35adjacent_difference_config_selectorILb0ElEEZNS1_24adjacent_difference_implIS3_Lb0ELb0EPlS7_ZN2at6native12_GLOBAL__N_124unique_dim_cuda_templateItEESt5tupleIJNS8_6TensorESD_SD_EERKSD_lbbbEUlllE1_EE10hipError_tPvRmT2_T3_mT4_P12ihipStream_tbEUlT_E_NS1_11comp_targetILNS1_3genE4ELNS1_11target_archE910ELNS1_3gpuE8ELNS1_3repE0EEENS1_30default_config_static_selectorELNS0_4arch9wavefront6targetE1EEEvT1_.has_indirect_call, 0
	.section	.AMDGPU.csdata,"",@progbits
; Kernel info:
; codeLenInByte = 0
; TotalNumSgprs: 6
; NumVgprs: 0
; NumAgprs: 0
; TotalNumVgprs: 0
; ScratchSize: 0
; MemoryBound: 0
; FloatMode: 240
; IeeeMode: 1
; LDSByteSize: 0 bytes/workgroup (compile time only)
; SGPRBlocks: 0
; VGPRBlocks: 0
; NumSGPRsForWavesPerEU: 6
; NumVGPRsForWavesPerEU: 1
; AccumOffset: 4
; Occupancy: 8
; WaveLimiterHint : 0
; COMPUTE_PGM_RSRC2:SCRATCH_EN: 0
; COMPUTE_PGM_RSRC2:USER_SGPR: 2
; COMPUTE_PGM_RSRC2:TRAP_HANDLER: 0
; COMPUTE_PGM_RSRC2:TGID_X_EN: 1
; COMPUTE_PGM_RSRC2:TGID_Y_EN: 0
; COMPUTE_PGM_RSRC2:TGID_Z_EN: 0
; COMPUTE_PGM_RSRC2:TIDIG_COMP_CNT: 0
; COMPUTE_PGM_RSRC3_GFX90A:ACCUM_OFFSET: 0
; COMPUTE_PGM_RSRC3_GFX90A:TG_SPLIT: 0
	.section	.text._ZN7rocprim17ROCPRIM_400000_NS6detail17trampoline_kernelINS0_14default_configENS1_35adjacent_difference_config_selectorILb0ElEEZNS1_24adjacent_difference_implIS3_Lb0ELb0EPlS7_ZN2at6native12_GLOBAL__N_124unique_dim_cuda_templateItEESt5tupleIJNS8_6TensorESD_SD_EERKSD_lbbbEUlllE1_EE10hipError_tPvRmT2_T3_mT4_P12ihipStream_tbEUlT_E_NS1_11comp_targetILNS1_3genE3ELNS1_11target_archE908ELNS1_3gpuE7ELNS1_3repE0EEENS1_30default_config_static_selectorELNS0_4arch9wavefront6targetE1EEEvT1_,"axG",@progbits,_ZN7rocprim17ROCPRIM_400000_NS6detail17trampoline_kernelINS0_14default_configENS1_35adjacent_difference_config_selectorILb0ElEEZNS1_24adjacent_difference_implIS3_Lb0ELb0EPlS7_ZN2at6native12_GLOBAL__N_124unique_dim_cuda_templateItEESt5tupleIJNS8_6TensorESD_SD_EERKSD_lbbbEUlllE1_EE10hipError_tPvRmT2_T3_mT4_P12ihipStream_tbEUlT_E_NS1_11comp_targetILNS1_3genE3ELNS1_11target_archE908ELNS1_3gpuE7ELNS1_3repE0EEENS1_30default_config_static_selectorELNS0_4arch9wavefront6targetE1EEEvT1_,comdat
	.globl	_ZN7rocprim17ROCPRIM_400000_NS6detail17trampoline_kernelINS0_14default_configENS1_35adjacent_difference_config_selectorILb0ElEEZNS1_24adjacent_difference_implIS3_Lb0ELb0EPlS7_ZN2at6native12_GLOBAL__N_124unique_dim_cuda_templateItEESt5tupleIJNS8_6TensorESD_SD_EERKSD_lbbbEUlllE1_EE10hipError_tPvRmT2_T3_mT4_P12ihipStream_tbEUlT_E_NS1_11comp_targetILNS1_3genE3ELNS1_11target_archE908ELNS1_3gpuE7ELNS1_3repE0EEENS1_30default_config_static_selectorELNS0_4arch9wavefront6targetE1EEEvT1_ ; -- Begin function _ZN7rocprim17ROCPRIM_400000_NS6detail17trampoline_kernelINS0_14default_configENS1_35adjacent_difference_config_selectorILb0ElEEZNS1_24adjacent_difference_implIS3_Lb0ELb0EPlS7_ZN2at6native12_GLOBAL__N_124unique_dim_cuda_templateItEESt5tupleIJNS8_6TensorESD_SD_EERKSD_lbbbEUlllE1_EE10hipError_tPvRmT2_T3_mT4_P12ihipStream_tbEUlT_E_NS1_11comp_targetILNS1_3genE3ELNS1_11target_archE908ELNS1_3gpuE7ELNS1_3repE0EEENS1_30default_config_static_selectorELNS0_4arch9wavefront6targetE1EEEvT1_
	.p2align	8
	.type	_ZN7rocprim17ROCPRIM_400000_NS6detail17trampoline_kernelINS0_14default_configENS1_35adjacent_difference_config_selectorILb0ElEEZNS1_24adjacent_difference_implIS3_Lb0ELb0EPlS7_ZN2at6native12_GLOBAL__N_124unique_dim_cuda_templateItEESt5tupleIJNS8_6TensorESD_SD_EERKSD_lbbbEUlllE1_EE10hipError_tPvRmT2_T3_mT4_P12ihipStream_tbEUlT_E_NS1_11comp_targetILNS1_3genE3ELNS1_11target_archE908ELNS1_3gpuE7ELNS1_3repE0EEENS1_30default_config_static_selectorELNS0_4arch9wavefront6targetE1EEEvT1_,@function
_ZN7rocprim17ROCPRIM_400000_NS6detail17trampoline_kernelINS0_14default_configENS1_35adjacent_difference_config_selectorILb0ElEEZNS1_24adjacent_difference_implIS3_Lb0ELb0EPlS7_ZN2at6native12_GLOBAL__N_124unique_dim_cuda_templateItEESt5tupleIJNS8_6TensorESD_SD_EERKSD_lbbbEUlllE1_EE10hipError_tPvRmT2_T3_mT4_P12ihipStream_tbEUlT_E_NS1_11comp_targetILNS1_3genE3ELNS1_11target_archE908ELNS1_3gpuE7ELNS1_3repE0EEENS1_30default_config_static_selectorELNS0_4arch9wavefront6targetE1EEEvT1_: ; @_ZN7rocprim17ROCPRIM_400000_NS6detail17trampoline_kernelINS0_14default_configENS1_35adjacent_difference_config_selectorILb0ElEEZNS1_24adjacent_difference_implIS3_Lb0ELb0EPlS7_ZN2at6native12_GLOBAL__N_124unique_dim_cuda_templateItEESt5tupleIJNS8_6TensorESD_SD_EERKSD_lbbbEUlllE1_EE10hipError_tPvRmT2_T3_mT4_P12ihipStream_tbEUlT_E_NS1_11comp_targetILNS1_3genE3ELNS1_11target_archE908ELNS1_3gpuE7ELNS1_3repE0EEENS1_30default_config_static_selectorELNS0_4arch9wavefront6targetE1EEEvT1_
; %bb.0:
	.section	.rodata,"a",@progbits
	.p2align	6, 0x0
	.amdhsa_kernel _ZN7rocprim17ROCPRIM_400000_NS6detail17trampoline_kernelINS0_14default_configENS1_35adjacent_difference_config_selectorILb0ElEEZNS1_24adjacent_difference_implIS3_Lb0ELb0EPlS7_ZN2at6native12_GLOBAL__N_124unique_dim_cuda_templateItEESt5tupleIJNS8_6TensorESD_SD_EERKSD_lbbbEUlllE1_EE10hipError_tPvRmT2_T3_mT4_P12ihipStream_tbEUlT_E_NS1_11comp_targetILNS1_3genE3ELNS1_11target_archE908ELNS1_3gpuE7ELNS1_3repE0EEENS1_30default_config_static_selectorELNS0_4arch9wavefront6targetE1EEEvT1_
		.amdhsa_group_segment_fixed_size 0
		.amdhsa_private_segment_fixed_size 0
		.amdhsa_kernarg_size 64
		.amdhsa_user_sgpr_count 2
		.amdhsa_user_sgpr_dispatch_ptr 0
		.amdhsa_user_sgpr_queue_ptr 0
		.amdhsa_user_sgpr_kernarg_segment_ptr 1
		.amdhsa_user_sgpr_dispatch_id 0
		.amdhsa_user_sgpr_kernarg_preload_length 0
		.amdhsa_user_sgpr_kernarg_preload_offset 0
		.amdhsa_user_sgpr_private_segment_size 0
		.amdhsa_uses_dynamic_stack 0
		.amdhsa_enable_private_segment 0
		.amdhsa_system_sgpr_workgroup_id_x 1
		.amdhsa_system_sgpr_workgroup_id_y 0
		.amdhsa_system_sgpr_workgroup_id_z 0
		.amdhsa_system_sgpr_workgroup_info 0
		.amdhsa_system_vgpr_workitem_id 0
		.amdhsa_next_free_vgpr 1
		.amdhsa_next_free_sgpr 0
		.amdhsa_accum_offset 4
		.amdhsa_reserve_vcc 0
		.amdhsa_float_round_mode_32 0
		.amdhsa_float_round_mode_16_64 0
		.amdhsa_float_denorm_mode_32 3
		.amdhsa_float_denorm_mode_16_64 3
		.amdhsa_dx10_clamp 1
		.amdhsa_ieee_mode 1
		.amdhsa_fp16_overflow 0
		.amdhsa_tg_split 0
		.amdhsa_exception_fp_ieee_invalid_op 0
		.amdhsa_exception_fp_denorm_src 0
		.amdhsa_exception_fp_ieee_div_zero 0
		.amdhsa_exception_fp_ieee_overflow 0
		.amdhsa_exception_fp_ieee_underflow 0
		.amdhsa_exception_fp_ieee_inexact 0
		.amdhsa_exception_int_div_zero 0
	.end_amdhsa_kernel
	.section	.text._ZN7rocprim17ROCPRIM_400000_NS6detail17trampoline_kernelINS0_14default_configENS1_35adjacent_difference_config_selectorILb0ElEEZNS1_24adjacent_difference_implIS3_Lb0ELb0EPlS7_ZN2at6native12_GLOBAL__N_124unique_dim_cuda_templateItEESt5tupleIJNS8_6TensorESD_SD_EERKSD_lbbbEUlllE1_EE10hipError_tPvRmT2_T3_mT4_P12ihipStream_tbEUlT_E_NS1_11comp_targetILNS1_3genE3ELNS1_11target_archE908ELNS1_3gpuE7ELNS1_3repE0EEENS1_30default_config_static_selectorELNS0_4arch9wavefront6targetE1EEEvT1_,"axG",@progbits,_ZN7rocprim17ROCPRIM_400000_NS6detail17trampoline_kernelINS0_14default_configENS1_35adjacent_difference_config_selectorILb0ElEEZNS1_24adjacent_difference_implIS3_Lb0ELb0EPlS7_ZN2at6native12_GLOBAL__N_124unique_dim_cuda_templateItEESt5tupleIJNS8_6TensorESD_SD_EERKSD_lbbbEUlllE1_EE10hipError_tPvRmT2_T3_mT4_P12ihipStream_tbEUlT_E_NS1_11comp_targetILNS1_3genE3ELNS1_11target_archE908ELNS1_3gpuE7ELNS1_3repE0EEENS1_30default_config_static_selectorELNS0_4arch9wavefront6targetE1EEEvT1_,comdat
.Lfunc_end1398:
	.size	_ZN7rocprim17ROCPRIM_400000_NS6detail17trampoline_kernelINS0_14default_configENS1_35adjacent_difference_config_selectorILb0ElEEZNS1_24adjacent_difference_implIS3_Lb0ELb0EPlS7_ZN2at6native12_GLOBAL__N_124unique_dim_cuda_templateItEESt5tupleIJNS8_6TensorESD_SD_EERKSD_lbbbEUlllE1_EE10hipError_tPvRmT2_T3_mT4_P12ihipStream_tbEUlT_E_NS1_11comp_targetILNS1_3genE3ELNS1_11target_archE908ELNS1_3gpuE7ELNS1_3repE0EEENS1_30default_config_static_selectorELNS0_4arch9wavefront6targetE1EEEvT1_, .Lfunc_end1398-_ZN7rocprim17ROCPRIM_400000_NS6detail17trampoline_kernelINS0_14default_configENS1_35adjacent_difference_config_selectorILb0ElEEZNS1_24adjacent_difference_implIS3_Lb0ELb0EPlS7_ZN2at6native12_GLOBAL__N_124unique_dim_cuda_templateItEESt5tupleIJNS8_6TensorESD_SD_EERKSD_lbbbEUlllE1_EE10hipError_tPvRmT2_T3_mT4_P12ihipStream_tbEUlT_E_NS1_11comp_targetILNS1_3genE3ELNS1_11target_archE908ELNS1_3gpuE7ELNS1_3repE0EEENS1_30default_config_static_selectorELNS0_4arch9wavefront6targetE1EEEvT1_
                                        ; -- End function
	.set _ZN7rocprim17ROCPRIM_400000_NS6detail17trampoline_kernelINS0_14default_configENS1_35adjacent_difference_config_selectorILb0ElEEZNS1_24adjacent_difference_implIS3_Lb0ELb0EPlS7_ZN2at6native12_GLOBAL__N_124unique_dim_cuda_templateItEESt5tupleIJNS8_6TensorESD_SD_EERKSD_lbbbEUlllE1_EE10hipError_tPvRmT2_T3_mT4_P12ihipStream_tbEUlT_E_NS1_11comp_targetILNS1_3genE3ELNS1_11target_archE908ELNS1_3gpuE7ELNS1_3repE0EEENS1_30default_config_static_selectorELNS0_4arch9wavefront6targetE1EEEvT1_.num_vgpr, 0
	.set _ZN7rocprim17ROCPRIM_400000_NS6detail17trampoline_kernelINS0_14default_configENS1_35adjacent_difference_config_selectorILb0ElEEZNS1_24adjacent_difference_implIS3_Lb0ELb0EPlS7_ZN2at6native12_GLOBAL__N_124unique_dim_cuda_templateItEESt5tupleIJNS8_6TensorESD_SD_EERKSD_lbbbEUlllE1_EE10hipError_tPvRmT2_T3_mT4_P12ihipStream_tbEUlT_E_NS1_11comp_targetILNS1_3genE3ELNS1_11target_archE908ELNS1_3gpuE7ELNS1_3repE0EEENS1_30default_config_static_selectorELNS0_4arch9wavefront6targetE1EEEvT1_.num_agpr, 0
	.set _ZN7rocprim17ROCPRIM_400000_NS6detail17trampoline_kernelINS0_14default_configENS1_35adjacent_difference_config_selectorILb0ElEEZNS1_24adjacent_difference_implIS3_Lb0ELb0EPlS7_ZN2at6native12_GLOBAL__N_124unique_dim_cuda_templateItEESt5tupleIJNS8_6TensorESD_SD_EERKSD_lbbbEUlllE1_EE10hipError_tPvRmT2_T3_mT4_P12ihipStream_tbEUlT_E_NS1_11comp_targetILNS1_3genE3ELNS1_11target_archE908ELNS1_3gpuE7ELNS1_3repE0EEENS1_30default_config_static_selectorELNS0_4arch9wavefront6targetE1EEEvT1_.numbered_sgpr, 0
	.set _ZN7rocprim17ROCPRIM_400000_NS6detail17trampoline_kernelINS0_14default_configENS1_35adjacent_difference_config_selectorILb0ElEEZNS1_24adjacent_difference_implIS3_Lb0ELb0EPlS7_ZN2at6native12_GLOBAL__N_124unique_dim_cuda_templateItEESt5tupleIJNS8_6TensorESD_SD_EERKSD_lbbbEUlllE1_EE10hipError_tPvRmT2_T3_mT4_P12ihipStream_tbEUlT_E_NS1_11comp_targetILNS1_3genE3ELNS1_11target_archE908ELNS1_3gpuE7ELNS1_3repE0EEENS1_30default_config_static_selectorELNS0_4arch9wavefront6targetE1EEEvT1_.num_named_barrier, 0
	.set _ZN7rocprim17ROCPRIM_400000_NS6detail17trampoline_kernelINS0_14default_configENS1_35adjacent_difference_config_selectorILb0ElEEZNS1_24adjacent_difference_implIS3_Lb0ELb0EPlS7_ZN2at6native12_GLOBAL__N_124unique_dim_cuda_templateItEESt5tupleIJNS8_6TensorESD_SD_EERKSD_lbbbEUlllE1_EE10hipError_tPvRmT2_T3_mT4_P12ihipStream_tbEUlT_E_NS1_11comp_targetILNS1_3genE3ELNS1_11target_archE908ELNS1_3gpuE7ELNS1_3repE0EEENS1_30default_config_static_selectorELNS0_4arch9wavefront6targetE1EEEvT1_.private_seg_size, 0
	.set _ZN7rocprim17ROCPRIM_400000_NS6detail17trampoline_kernelINS0_14default_configENS1_35adjacent_difference_config_selectorILb0ElEEZNS1_24adjacent_difference_implIS3_Lb0ELb0EPlS7_ZN2at6native12_GLOBAL__N_124unique_dim_cuda_templateItEESt5tupleIJNS8_6TensorESD_SD_EERKSD_lbbbEUlllE1_EE10hipError_tPvRmT2_T3_mT4_P12ihipStream_tbEUlT_E_NS1_11comp_targetILNS1_3genE3ELNS1_11target_archE908ELNS1_3gpuE7ELNS1_3repE0EEENS1_30default_config_static_selectorELNS0_4arch9wavefront6targetE1EEEvT1_.uses_vcc, 0
	.set _ZN7rocprim17ROCPRIM_400000_NS6detail17trampoline_kernelINS0_14default_configENS1_35adjacent_difference_config_selectorILb0ElEEZNS1_24adjacent_difference_implIS3_Lb0ELb0EPlS7_ZN2at6native12_GLOBAL__N_124unique_dim_cuda_templateItEESt5tupleIJNS8_6TensorESD_SD_EERKSD_lbbbEUlllE1_EE10hipError_tPvRmT2_T3_mT4_P12ihipStream_tbEUlT_E_NS1_11comp_targetILNS1_3genE3ELNS1_11target_archE908ELNS1_3gpuE7ELNS1_3repE0EEENS1_30default_config_static_selectorELNS0_4arch9wavefront6targetE1EEEvT1_.uses_flat_scratch, 0
	.set _ZN7rocprim17ROCPRIM_400000_NS6detail17trampoline_kernelINS0_14default_configENS1_35adjacent_difference_config_selectorILb0ElEEZNS1_24adjacent_difference_implIS3_Lb0ELb0EPlS7_ZN2at6native12_GLOBAL__N_124unique_dim_cuda_templateItEESt5tupleIJNS8_6TensorESD_SD_EERKSD_lbbbEUlllE1_EE10hipError_tPvRmT2_T3_mT4_P12ihipStream_tbEUlT_E_NS1_11comp_targetILNS1_3genE3ELNS1_11target_archE908ELNS1_3gpuE7ELNS1_3repE0EEENS1_30default_config_static_selectorELNS0_4arch9wavefront6targetE1EEEvT1_.has_dyn_sized_stack, 0
	.set _ZN7rocprim17ROCPRIM_400000_NS6detail17trampoline_kernelINS0_14default_configENS1_35adjacent_difference_config_selectorILb0ElEEZNS1_24adjacent_difference_implIS3_Lb0ELb0EPlS7_ZN2at6native12_GLOBAL__N_124unique_dim_cuda_templateItEESt5tupleIJNS8_6TensorESD_SD_EERKSD_lbbbEUlllE1_EE10hipError_tPvRmT2_T3_mT4_P12ihipStream_tbEUlT_E_NS1_11comp_targetILNS1_3genE3ELNS1_11target_archE908ELNS1_3gpuE7ELNS1_3repE0EEENS1_30default_config_static_selectorELNS0_4arch9wavefront6targetE1EEEvT1_.has_recursion, 0
	.set _ZN7rocprim17ROCPRIM_400000_NS6detail17trampoline_kernelINS0_14default_configENS1_35adjacent_difference_config_selectorILb0ElEEZNS1_24adjacent_difference_implIS3_Lb0ELb0EPlS7_ZN2at6native12_GLOBAL__N_124unique_dim_cuda_templateItEESt5tupleIJNS8_6TensorESD_SD_EERKSD_lbbbEUlllE1_EE10hipError_tPvRmT2_T3_mT4_P12ihipStream_tbEUlT_E_NS1_11comp_targetILNS1_3genE3ELNS1_11target_archE908ELNS1_3gpuE7ELNS1_3repE0EEENS1_30default_config_static_selectorELNS0_4arch9wavefront6targetE1EEEvT1_.has_indirect_call, 0
	.section	.AMDGPU.csdata,"",@progbits
; Kernel info:
; codeLenInByte = 0
; TotalNumSgprs: 6
; NumVgprs: 0
; NumAgprs: 0
; TotalNumVgprs: 0
; ScratchSize: 0
; MemoryBound: 0
; FloatMode: 240
; IeeeMode: 1
; LDSByteSize: 0 bytes/workgroup (compile time only)
; SGPRBlocks: 0
; VGPRBlocks: 0
; NumSGPRsForWavesPerEU: 6
; NumVGPRsForWavesPerEU: 1
; AccumOffset: 4
; Occupancy: 8
; WaveLimiterHint : 0
; COMPUTE_PGM_RSRC2:SCRATCH_EN: 0
; COMPUTE_PGM_RSRC2:USER_SGPR: 2
; COMPUTE_PGM_RSRC2:TRAP_HANDLER: 0
; COMPUTE_PGM_RSRC2:TGID_X_EN: 1
; COMPUTE_PGM_RSRC2:TGID_Y_EN: 0
; COMPUTE_PGM_RSRC2:TGID_Z_EN: 0
; COMPUTE_PGM_RSRC2:TIDIG_COMP_CNT: 0
; COMPUTE_PGM_RSRC3_GFX90A:ACCUM_OFFSET: 0
; COMPUTE_PGM_RSRC3_GFX90A:TG_SPLIT: 0
	.section	.text._ZN7rocprim17ROCPRIM_400000_NS6detail17trampoline_kernelINS0_14default_configENS1_35adjacent_difference_config_selectorILb0ElEEZNS1_24adjacent_difference_implIS3_Lb0ELb0EPlS7_ZN2at6native12_GLOBAL__N_124unique_dim_cuda_templateItEESt5tupleIJNS8_6TensorESD_SD_EERKSD_lbbbEUlllE1_EE10hipError_tPvRmT2_T3_mT4_P12ihipStream_tbEUlT_E_NS1_11comp_targetILNS1_3genE2ELNS1_11target_archE906ELNS1_3gpuE6ELNS1_3repE0EEENS1_30default_config_static_selectorELNS0_4arch9wavefront6targetE1EEEvT1_,"axG",@progbits,_ZN7rocprim17ROCPRIM_400000_NS6detail17trampoline_kernelINS0_14default_configENS1_35adjacent_difference_config_selectorILb0ElEEZNS1_24adjacent_difference_implIS3_Lb0ELb0EPlS7_ZN2at6native12_GLOBAL__N_124unique_dim_cuda_templateItEESt5tupleIJNS8_6TensorESD_SD_EERKSD_lbbbEUlllE1_EE10hipError_tPvRmT2_T3_mT4_P12ihipStream_tbEUlT_E_NS1_11comp_targetILNS1_3genE2ELNS1_11target_archE906ELNS1_3gpuE6ELNS1_3repE0EEENS1_30default_config_static_selectorELNS0_4arch9wavefront6targetE1EEEvT1_,comdat
	.globl	_ZN7rocprim17ROCPRIM_400000_NS6detail17trampoline_kernelINS0_14default_configENS1_35adjacent_difference_config_selectorILb0ElEEZNS1_24adjacent_difference_implIS3_Lb0ELb0EPlS7_ZN2at6native12_GLOBAL__N_124unique_dim_cuda_templateItEESt5tupleIJNS8_6TensorESD_SD_EERKSD_lbbbEUlllE1_EE10hipError_tPvRmT2_T3_mT4_P12ihipStream_tbEUlT_E_NS1_11comp_targetILNS1_3genE2ELNS1_11target_archE906ELNS1_3gpuE6ELNS1_3repE0EEENS1_30default_config_static_selectorELNS0_4arch9wavefront6targetE1EEEvT1_ ; -- Begin function _ZN7rocprim17ROCPRIM_400000_NS6detail17trampoline_kernelINS0_14default_configENS1_35adjacent_difference_config_selectorILb0ElEEZNS1_24adjacent_difference_implIS3_Lb0ELb0EPlS7_ZN2at6native12_GLOBAL__N_124unique_dim_cuda_templateItEESt5tupleIJNS8_6TensorESD_SD_EERKSD_lbbbEUlllE1_EE10hipError_tPvRmT2_T3_mT4_P12ihipStream_tbEUlT_E_NS1_11comp_targetILNS1_3genE2ELNS1_11target_archE906ELNS1_3gpuE6ELNS1_3repE0EEENS1_30default_config_static_selectorELNS0_4arch9wavefront6targetE1EEEvT1_
	.p2align	8
	.type	_ZN7rocprim17ROCPRIM_400000_NS6detail17trampoline_kernelINS0_14default_configENS1_35adjacent_difference_config_selectorILb0ElEEZNS1_24adjacent_difference_implIS3_Lb0ELb0EPlS7_ZN2at6native12_GLOBAL__N_124unique_dim_cuda_templateItEESt5tupleIJNS8_6TensorESD_SD_EERKSD_lbbbEUlllE1_EE10hipError_tPvRmT2_T3_mT4_P12ihipStream_tbEUlT_E_NS1_11comp_targetILNS1_3genE2ELNS1_11target_archE906ELNS1_3gpuE6ELNS1_3repE0EEENS1_30default_config_static_selectorELNS0_4arch9wavefront6targetE1EEEvT1_,@function
_ZN7rocprim17ROCPRIM_400000_NS6detail17trampoline_kernelINS0_14default_configENS1_35adjacent_difference_config_selectorILb0ElEEZNS1_24adjacent_difference_implIS3_Lb0ELb0EPlS7_ZN2at6native12_GLOBAL__N_124unique_dim_cuda_templateItEESt5tupleIJNS8_6TensorESD_SD_EERKSD_lbbbEUlllE1_EE10hipError_tPvRmT2_T3_mT4_P12ihipStream_tbEUlT_E_NS1_11comp_targetILNS1_3genE2ELNS1_11target_archE906ELNS1_3gpuE6ELNS1_3repE0EEENS1_30default_config_static_selectorELNS0_4arch9wavefront6targetE1EEEvT1_: ; @_ZN7rocprim17ROCPRIM_400000_NS6detail17trampoline_kernelINS0_14default_configENS1_35adjacent_difference_config_selectorILb0ElEEZNS1_24adjacent_difference_implIS3_Lb0ELb0EPlS7_ZN2at6native12_GLOBAL__N_124unique_dim_cuda_templateItEESt5tupleIJNS8_6TensorESD_SD_EERKSD_lbbbEUlllE1_EE10hipError_tPvRmT2_T3_mT4_P12ihipStream_tbEUlT_E_NS1_11comp_targetILNS1_3genE2ELNS1_11target_archE906ELNS1_3gpuE6ELNS1_3repE0EEENS1_30default_config_static_selectorELNS0_4arch9wavefront6targetE1EEEvT1_
; %bb.0:
	.section	.rodata,"a",@progbits
	.p2align	6, 0x0
	.amdhsa_kernel _ZN7rocprim17ROCPRIM_400000_NS6detail17trampoline_kernelINS0_14default_configENS1_35adjacent_difference_config_selectorILb0ElEEZNS1_24adjacent_difference_implIS3_Lb0ELb0EPlS7_ZN2at6native12_GLOBAL__N_124unique_dim_cuda_templateItEESt5tupleIJNS8_6TensorESD_SD_EERKSD_lbbbEUlllE1_EE10hipError_tPvRmT2_T3_mT4_P12ihipStream_tbEUlT_E_NS1_11comp_targetILNS1_3genE2ELNS1_11target_archE906ELNS1_3gpuE6ELNS1_3repE0EEENS1_30default_config_static_selectorELNS0_4arch9wavefront6targetE1EEEvT1_
		.amdhsa_group_segment_fixed_size 0
		.amdhsa_private_segment_fixed_size 0
		.amdhsa_kernarg_size 64
		.amdhsa_user_sgpr_count 2
		.amdhsa_user_sgpr_dispatch_ptr 0
		.amdhsa_user_sgpr_queue_ptr 0
		.amdhsa_user_sgpr_kernarg_segment_ptr 1
		.amdhsa_user_sgpr_dispatch_id 0
		.amdhsa_user_sgpr_kernarg_preload_length 0
		.amdhsa_user_sgpr_kernarg_preload_offset 0
		.amdhsa_user_sgpr_private_segment_size 0
		.amdhsa_uses_dynamic_stack 0
		.amdhsa_enable_private_segment 0
		.amdhsa_system_sgpr_workgroup_id_x 1
		.amdhsa_system_sgpr_workgroup_id_y 0
		.amdhsa_system_sgpr_workgroup_id_z 0
		.amdhsa_system_sgpr_workgroup_info 0
		.amdhsa_system_vgpr_workitem_id 0
		.amdhsa_next_free_vgpr 1
		.amdhsa_next_free_sgpr 0
		.amdhsa_accum_offset 4
		.amdhsa_reserve_vcc 0
		.amdhsa_float_round_mode_32 0
		.amdhsa_float_round_mode_16_64 0
		.amdhsa_float_denorm_mode_32 3
		.amdhsa_float_denorm_mode_16_64 3
		.amdhsa_dx10_clamp 1
		.amdhsa_ieee_mode 1
		.amdhsa_fp16_overflow 0
		.amdhsa_tg_split 0
		.amdhsa_exception_fp_ieee_invalid_op 0
		.amdhsa_exception_fp_denorm_src 0
		.amdhsa_exception_fp_ieee_div_zero 0
		.amdhsa_exception_fp_ieee_overflow 0
		.amdhsa_exception_fp_ieee_underflow 0
		.amdhsa_exception_fp_ieee_inexact 0
		.amdhsa_exception_int_div_zero 0
	.end_amdhsa_kernel
	.section	.text._ZN7rocprim17ROCPRIM_400000_NS6detail17trampoline_kernelINS0_14default_configENS1_35adjacent_difference_config_selectorILb0ElEEZNS1_24adjacent_difference_implIS3_Lb0ELb0EPlS7_ZN2at6native12_GLOBAL__N_124unique_dim_cuda_templateItEESt5tupleIJNS8_6TensorESD_SD_EERKSD_lbbbEUlllE1_EE10hipError_tPvRmT2_T3_mT4_P12ihipStream_tbEUlT_E_NS1_11comp_targetILNS1_3genE2ELNS1_11target_archE906ELNS1_3gpuE6ELNS1_3repE0EEENS1_30default_config_static_selectorELNS0_4arch9wavefront6targetE1EEEvT1_,"axG",@progbits,_ZN7rocprim17ROCPRIM_400000_NS6detail17trampoline_kernelINS0_14default_configENS1_35adjacent_difference_config_selectorILb0ElEEZNS1_24adjacent_difference_implIS3_Lb0ELb0EPlS7_ZN2at6native12_GLOBAL__N_124unique_dim_cuda_templateItEESt5tupleIJNS8_6TensorESD_SD_EERKSD_lbbbEUlllE1_EE10hipError_tPvRmT2_T3_mT4_P12ihipStream_tbEUlT_E_NS1_11comp_targetILNS1_3genE2ELNS1_11target_archE906ELNS1_3gpuE6ELNS1_3repE0EEENS1_30default_config_static_selectorELNS0_4arch9wavefront6targetE1EEEvT1_,comdat
.Lfunc_end1399:
	.size	_ZN7rocprim17ROCPRIM_400000_NS6detail17trampoline_kernelINS0_14default_configENS1_35adjacent_difference_config_selectorILb0ElEEZNS1_24adjacent_difference_implIS3_Lb0ELb0EPlS7_ZN2at6native12_GLOBAL__N_124unique_dim_cuda_templateItEESt5tupleIJNS8_6TensorESD_SD_EERKSD_lbbbEUlllE1_EE10hipError_tPvRmT2_T3_mT4_P12ihipStream_tbEUlT_E_NS1_11comp_targetILNS1_3genE2ELNS1_11target_archE906ELNS1_3gpuE6ELNS1_3repE0EEENS1_30default_config_static_selectorELNS0_4arch9wavefront6targetE1EEEvT1_, .Lfunc_end1399-_ZN7rocprim17ROCPRIM_400000_NS6detail17trampoline_kernelINS0_14default_configENS1_35adjacent_difference_config_selectorILb0ElEEZNS1_24adjacent_difference_implIS3_Lb0ELb0EPlS7_ZN2at6native12_GLOBAL__N_124unique_dim_cuda_templateItEESt5tupleIJNS8_6TensorESD_SD_EERKSD_lbbbEUlllE1_EE10hipError_tPvRmT2_T3_mT4_P12ihipStream_tbEUlT_E_NS1_11comp_targetILNS1_3genE2ELNS1_11target_archE906ELNS1_3gpuE6ELNS1_3repE0EEENS1_30default_config_static_selectorELNS0_4arch9wavefront6targetE1EEEvT1_
                                        ; -- End function
	.set _ZN7rocprim17ROCPRIM_400000_NS6detail17trampoline_kernelINS0_14default_configENS1_35adjacent_difference_config_selectorILb0ElEEZNS1_24adjacent_difference_implIS3_Lb0ELb0EPlS7_ZN2at6native12_GLOBAL__N_124unique_dim_cuda_templateItEESt5tupleIJNS8_6TensorESD_SD_EERKSD_lbbbEUlllE1_EE10hipError_tPvRmT2_T3_mT4_P12ihipStream_tbEUlT_E_NS1_11comp_targetILNS1_3genE2ELNS1_11target_archE906ELNS1_3gpuE6ELNS1_3repE0EEENS1_30default_config_static_selectorELNS0_4arch9wavefront6targetE1EEEvT1_.num_vgpr, 0
	.set _ZN7rocprim17ROCPRIM_400000_NS6detail17trampoline_kernelINS0_14default_configENS1_35adjacent_difference_config_selectorILb0ElEEZNS1_24adjacent_difference_implIS3_Lb0ELb0EPlS7_ZN2at6native12_GLOBAL__N_124unique_dim_cuda_templateItEESt5tupleIJNS8_6TensorESD_SD_EERKSD_lbbbEUlllE1_EE10hipError_tPvRmT2_T3_mT4_P12ihipStream_tbEUlT_E_NS1_11comp_targetILNS1_3genE2ELNS1_11target_archE906ELNS1_3gpuE6ELNS1_3repE0EEENS1_30default_config_static_selectorELNS0_4arch9wavefront6targetE1EEEvT1_.num_agpr, 0
	.set _ZN7rocprim17ROCPRIM_400000_NS6detail17trampoline_kernelINS0_14default_configENS1_35adjacent_difference_config_selectorILb0ElEEZNS1_24adjacent_difference_implIS3_Lb0ELb0EPlS7_ZN2at6native12_GLOBAL__N_124unique_dim_cuda_templateItEESt5tupleIJNS8_6TensorESD_SD_EERKSD_lbbbEUlllE1_EE10hipError_tPvRmT2_T3_mT4_P12ihipStream_tbEUlT_E_NS1_11comp_targetILNS1_3genE2ELNS1_11target_archE906ELNS1_3gpuE6ELNS1_3repE0EEENS1_30default_config_static_selectorELNS0_4arch9wavefront6targetE1EEEvT1_.numbered_sgpr, 0
	.set _ZN7rocprim17ROCPRIM_400000_NS6detail17trampoline_kernelINS0_14default_configENS1_35adjacent_difference_config_selectorILb0ElEEZNS1_24adjacent_difference_implIS3_Lb0ELb0EPlS7_ZN2at6native12_GLOBAL__N_124unique_dim_cuda_templateItEESt5tupleIJNS8_6TensorESD_SD_EERKSD_lbbbEUlllE1_EE10hipError_tPvRmT2_T3_mT4_P12ihipStream_tbEUlT_E_NS1_11comp_targetILNS1_3genE2ELNS1_11target_archE906ELNS1_3gpuE6ELNS1_3repE0EEENS1_30default_config_static_selectorELNS0_4arch9wavefront6targetE1EEEvT1_.num_named_barrier, 0
	.set _ZN7rocprim17ROCPRIM_400000_NS6detail17trampoline_kernelINS0_14default_configENS1_35adjacent_difference_config_selectorILb0ElEEZNS1_24adjacent_difference_implIS3_Lb0ELb0EPlS7_ZN2at6native12_GLOBAL__N_124unique_dim_cuda_templateItEESt5tupleIJNS8_6TensorESD_SD_EERKSD_lbbbEUlllE1_EE10hipError_tPvRmT2_T3_mT4_P12ihipStream_tbEUlT_E_NS1_11comp_targetILNS1_3genE2ELNS1_11target_archE906ELNS1_3gpuE6ELNS1_3repE0EEENS1_30default_config_static_selectorELNS0_4arch9wavefront6targetE1EEEvT1_.private_seg_size, 0
	.set _ZN7rocprim17ROCPRIM_400000_NS6detail17trampoline_kernelINS0_14default_configENS1_35adjacent_difference_config_selectorILb0ElEEZNS1_24adjacent_difference_implIS3_Lb0ELb0EPlS7_ZN2at6native12_GLOBAL__N_124unique_dim_cuda_templateItEESt5tupleIJNS8_6TensorESD_SD_EERKSD_lbbbEUlllE1_EE10hipError_tPvRmT2_T3_mT4_P12ihipStream_tbEUlT_E_NS1_11comp_targetILNS1_3genE2ELNS1_11target_archE906ELNS1_3gpuE6ELNS1_3repE0EEENS1_30default_config_static_selectorELNS0_4arch9wavefront6targetE1EEEvT1_.uses_vcc, 0
	.set _ZN7rocprim17ROCPRIM_400000_NS6detail17trampoline_kernelINS0_14default_configENS1_35adjacent_difference_config_selectorILb0ElEEZNS1_24adjacent_difference_implIS3_Lb0ELb0EPlS7_ZN2at6native12_GLOBAL__N_124unique_dim_cuda_templateItEESt5tupleIJNS8_6TensorESD_SD_EERKSD_lbbbEUlllE1_EE10hipError_tPvRmT2_T3_mT4_P12ihipStream_tbEUlT_E_NS1_11comp_targetILNS1_3genE2ELNS1_11target_archE906ELNS1_3gpuE6ELNS1_3repE0EEENS1_30default_config_static_selectorELNS0_4arch9wavefront6targetE1EEEvT1_.uses_flat_scratch, 0
	.set _ZN7rocprim17ROCPRIM_400000_NS6detail17trampoline_kernelINS0_14default_configENS1_35adjacent_difference_config_selectorILb0ElEEZNS1_24adjacent_difference_implIS3_Lb0ELb0EPlS7_ZN2at6native12_GLOBAL__N_124unique_dim_cuda_templateItEESt5tupleIJNS8_6TensorESD_SD_EERKSD_lbbbEUlllE1_EE10hipError_tPvRmT2_T3_mT4_P12ihipStream_tbEUlT_E_NS1_11comp_targetILNS1_3genE2ELNS1_11target_archE906ELNS1_3gpuE6ELNS1_3repE0EEENS1_30default_config_static_selectorELNS0_4arch9wavefront6targetE1EEEvT1_.has_dyn_sized_stack, 0
	.set _ZN7rocprim17ROCPRIM_400000_NS6detail17trampoline_kernelINS0_14default_configENS1_35adjacent_difference_config_selectorILb0ElEEZNS1_24adjacent_difference_implIS3_Lb0ELb0EPlS7_ZN2at6native12_GLOBAL__N_124unique_dim_cuda_templateItEESt5tupleIJNS8_6TensorESD_SD_EERKSD_lbbbEUlllE1_EE10hipError_tPvRmT2_T3_mT4_P12ihipStream_tbEUlT_E_NS1_11comp_targetILNS1_3genE2ELNS1_11target_archE906ELNS1_3gpuE6ELNS1_3repE0EEENS1_30default_config_static_selectorELNS0_4arch9wavefront6targetE1EEEvT1_.has_recursion, 0
	.set _ZN7rocprim17ROCPRIM_400000_NS6detail17trampoline_kernelINS0_14default_configENS1_35adjacent_difference_config_selectorILb0ElEEZNS1_24adjacent_difference_implIS3_Lb0ELb0EPlS7_ZN2at6native12_GLOBAL__N_124unique_dim_cuda_templateItEESt5tupleIJNS8_6TensorESD_SD_EERKSD_lbbbEUlllE1_EE10hipError_tPvRmT2_T3_mT4_P12ihipStream_tbEUlT_E_NS1_11comp_targetILNS1_3genE2ELNS1_11target_archE906ELNS1_3gpuE6ELNS1_3repE0EEENS1_30default_config_static_selectorELNS0_4arch9wavefront6targetE1EEEvT1_.has_indirect_call, 0
	.section	.AMDGPU.csdata,"",@progbits
; Kernel info:
; codeLenInByte = 0
; TotalNumSgprs: 6
; NumVgprs: 0
; NumAgprs: 0
; TotalNumVgprs: 0
; ScratchSize: 0
; MemoryBound: 0
; FloatMode: 240
; IeeeMode: 1
; LDSByteSize: 0 bytes/workgroup (compile time only)
; SGPRBlocks: 0
; VGPRBlocks: 0
; NumSGPRsForWavesPerEU: 6
; NumVGPRsForWavesPerEU: 1
; AccumOffset: 4
; Occupancy: 8
; WaveLimiterHint : 0
; COMPUTE_PGM_RSRC2:SCRATCH_EN: 0
; COMPUTE_PGM_RSRC2:USER_SGPR: 2
; COMPUTE_PGM_RSRC2:TRAP_HANDLER: 0
; COMPUTE_PGM_RSRC2:TGID_X_EN: 1
; COMPUTE_PGM_RSRC2:TGID_Y_EN: 0
; COMPUTE_PGM_RSRC2:TGID_Z_EN: 0
; COMPUTE_PGM_RSRC2:TIDIG_COMP_CNT: 0
; COMPUTE_PGM_RSRC3_GFX90A:ACCUM_OFFSET: 0
; COMPUTE_PGM_RSRC3_GFX90A:TG_SPLIT: 0
	.section	.text._ZN7rocprim17ROCPRIM_400000_NS6detail17trampoline_kernelINS0_14default_configENS1_35adjacent_difference_config_selectorILb0ElEEZNS1_24adjacent_difference_implIS3_Lb0ELb0EPlS7_ZN2at6native12_GLOBAL__N_124unique_dim_cuda_templateItEESt5tupleIJNS8_6TensorESD_SD_EERKSD_lbbbEUlllE1_EE10hipError_tPvRmT2_T3_mT4_P12ihipStream_tbEUlT_E_NS1_11comp_targetILNS1_3genE9ELNS1_11target_archE1100ELNS1_3gpuE3ELNS1_3repE0EEENS1_30default_config_static_selectorELNS0_4arch9wavefront6targetE1EEEvT1_,"axG",@progbits,_ZN7rocprim17ROCPRIM_400000_NS6detail17trampoline_kernelINS0_14default_configENS1_35adjacent_difference_config_selectorILb0ElEEZNS1_24adjacent_difference_implIS3_Lb0ELb0EPlS7_ZN2at6native12_GLOBAL__N_124unique_dim_cuda_templateItEESt5tupleIJNS8_6TensorESD_SD_EERKSD_lbbbEUlllE1_EE10hipError_tPvRmT2_T3_mT4_P12ihipStream_tbEUlT_E_NS1_11comp_targetILNS1_3genE9ELNS1_11target_archE1100ELNS1_3gpuE3ELNS1_3repE0EEENS1_30default_config_static_selectorELNS0_4arch9wavefront6targetE1EEEvT1_,comdat
	.globl	_ZN7rocprim17ROCPRIM_400000_NS6detail17trampoline_kernelINS0_14default_configENS1_35adjacent_difference_config_selectorILb0ElEEZNS1_24adjacent_difference_implIS3_Lb0ELb0EPlS7_ZN2at6native12_GLOBAL__N_124unique_dim_cuda_templateItEESt5tupleIJNS8_6TensorESD_SD_EERKSD_lbbbEUlllE1_EE10hipError_tPvRmT2_T3_mT4_P12ihipStream_tbEUlT_E_NS1_11comp_targetILNS1_3genE9ELNS1_11target_archE1100ELNS1_3gpuE3ELNS1_3repE0EEENS1_30default_config_static_selectorELNS0_4arch9wavefront6targetE1EEEvT1_ ; -- Begin function _ZN7rocprim17ROCPRIM_400000_NS6detail17trampoline_kernelINS0_14default_configENS1_35adjacent_difference_config_selectorILb0ElEEZNS1_24adjacent_difference_implIS3_Lb0ELb0EPlS7_ZN2at6native12_GLOBAL__N_124unique_dim_cuda_templateItEESt5tupleIJNS8_6TensorESD_SD_EERKSD_lbbbEUlllE1_EE10hipError_tPvRmT2_T3_mT4_P12ihipStream_tbEUlT_E_NS1_11comp_targetILNS1_3genE9ELNS1_11target_archE1100ELNS1_3gpuE3ELNS1_3repE0EEENS1_30default_config_static_selectorELNS0_4arch9wavefront6targetE1EEEvT1_
	.p2align	8
	.type	_ZN7rocprim17ROCPRIM_400000_NS6detail17trampoline_kernelINS0_14default_configENS1_35adjacent_difference_config_selectorILb0ElEEZNS1_24adjacent_difference_implIS3_Lb0ELb0EPlS7_ZN2at6native12_GLOBAL__N_124unique_dim_cuda_templateItEESt5tupleIJNS8_6TensorESD_SD_EERKSD_lbbbEUlllE1_EE10hipError_tPvRmT2_T3_mT4_P12ihipStream_tbEUlT_E_NS1_11comp_targetILNS1_3genE9ELNS1_11target_archE1100ELNS1_3gpuE3ELNS1_3repE0EEENS1_30default_config_static_selectorELNS0_4arch9wavefront6targetE1EEEvT1_,@function
_ZN7rocprim17ROCPRIM_400000_NS6detail17trampoline_kernelINS0_14default_configENS1_35adjacent_difference_config_selectorILb0ElEEZNS1_24adjacent_difference_implIS3_Lb0ELb0EPlS7_ZN2at6native12_GLOBAL__N_124unique_dim_cuda_templateItEESt5tupleIJNS8_6TensorESD_SD_EERKSD_lbbbEUlllE1_EE10hipError_tPvRmT2_T3_mT4_P12ihipStream_tbEUlT_E_NS1_11comp_targetILNS1_3genE9ELNS1_11target_archE1100ELNS1_3gpuE3ELNS1_3repE0EEENS1_30default_config_static_selectorELNS0_4arch9wavefront6targetE1EEEvT1_: ; @_ZN7rocprim17ROCPRIM_400000_NS6detail17trampoline_kernelINS0_14default_configENS1_35adjacent_difference_config_selectorILb0ElEEZNS1_24adjacent_difference_implIS3_Lb0ELb0EPlS7_ZN2at6native12_GLOBAL__N_124unique_dim_cuda_templateItEESt5tupleIJNS8_6TensorESD_SD_EERKSD_lbbbEUlllE1_EE10hipError_tPvRmT2_T3_mT4_P12ihipStream_tbEUlT_E_NS1_11comp_targetILNS1_3genE9ELNS1_11target_archE1100ELNS1_3gpuE3ELNS1_3repE0EEENS1_30default_config_static_selectorELNS0_4arch9wavefront6targetE1EEEvT1_
; %bb.0:
	.section	.rodata,"a",@progbits
	.p2align	6, 0x0
	.amdhsa_kernel _ZN7rocprim17ROCPRIM_400000_NS6detail17trampoline_kernelINS0_14default_configENS1_35adjacent_difference_config_selectorILb0ElEEZNS1_24adjacent_difference_implIS3_Lb0ELb0EPlS7_ZN2at6native12_GLOBAL__N_124unique_dim_cuda_templateItEESt5tupleIJNS8_6TensorESD_SD_EERKSD_lbbbEUlllE1_EE10hipError_tPvRmT2_T3_mT4_P12ihipStream_tbEUlT_E_NS1_11comp_targetILNS1_3genE9ELNS1_11target_archE1100ELNS1_3gpuE3ELNS1_3repE0EEENS1_30default_config_static_selectorELNS0_4arch9wavefront6targetE1EEEvT1_
		.amdhsa_group_segment_fixed_size 0
		.amdhsa_private_segment_fixed_size 0
		.amdhsa_kernarg_size 64
		.amdhsa_user_sgpr_count 2
		.amdhsa_user_sgpr_dispatch_ptr 0
		.amdhsa_user_sgpr_queue_ptr 0
		.amdhsa_user_sgpr_kernarg_segment_ptr 1
		.amdhsa_user_sgpr_dispatch_id 0
		.amdhsa_user_sgpr_kernarg_preload_length 0
		.amdhsa_user_sgpr_kernarg_preload_offset 0
		.amdhsa_user_sgpr_private_segment_size 0
		.amdhsa_uses_dynamic_stack 0
		.amdhsa_enable_private_segment 0
		.amdhsa_system_sgpr_workgroup_id_x 1
		.amdhsa_system_sgpr_workgroup_id_y 0
		.amdhsa_system_sgpr_workgroup_id_z 0
		.amdhsa_system_sgpr_workgroup_info 0
		.amdhsa_system_vgpr_workitem_id 0
		.amdhsa_next_free_vgpr 1
		.amdhsa_next_free_sgpr 0
		.amdhsa_accum_offset 4
		.amdhsa_reserve_vcc 0
		.amdhsa_float_round_mode_32 0
		.amdhsa_float_round_mode_16_64 0
		.amdhsa_float_denorm_mode_32 3
		.amdhsa_float_denorm_mode_16_64 3
		.amdhsa_dx10_clamp 1
		.amdhsa_ieee_mode 1
		.amdhsa_fp16_overflow 0
		.amdhsa_tg_split 0
		.amdhsa_exception_fp_ieee_invalid_op 0
		.amdhsa_exception_fp_denorm_src 0
		.amdhsa_exception_fp_ieee_div_zero 0
		.amdhsa_exception_fp_ieee_overflow 0
		.amdhsa_exception_fp_ieee_underflow 0
		.amdhsa_exception_fp_ieee_inexact 0
		.amdhsa_exception_int_div_zero 0
	.end_amdhsa_kernel
	.section	.text._ZN7rocprim17ROCPRIM_400000_NS6detail17trampoline_kernelINS0_14default_configENS1_35adjacent_difference_config_selectorILb0ElEEZNS1_24adjacent_difference_implIS3_Lb0ELb0EPlS7_ZN2at6native12_GLOBAL__N_124unique_dim_cuda_templateItEESt5tupleIJNS8_6TensorESD_SD_EERKSD_lbbbEUlllE1_EE10hipError_tPvRmT2_T3_mT4_P12ihipStream_tbEUlT_E_NS1_11comp_targetILNS1_3genE9ELNS1_11target_archE1100ELNS1_3gpuE3ELNS1_3repE0EEENS1_30default_config_static_selectorELNS0_4arch9wavefront6targetE1EEEvT1_,"axG",@progbits,_ZN7rocprim17ROCPRIM_400000_NS6detail17trampoline_kernelINS0_14default_configENS1_35adjacent_difference_config_selectorILb0ElEEZNS1_24adjacent_difference_implIS3_Lb0ELb0EPlS7_ZN2at6native12_GLOBAL__N_124unique_dim_cuda_templateItEESt5tupleIJNS8_6TensorESD_SD_EERKSD_lbbbEUlllE1_EE10hipError_tPvRmT2_T3_mT4_P12ihipStream_tbEUlT_E_NS1_11comp_targetILNS1_3genE9ELNS1_11target_archE1100ELNS1_3gpuE3ELNS1_3repE0EEENS1_30default_config_static_selectorELNS0_4arch9wavefront6targetE1EEEvT1_,comdat
.Lfunc_end1400:
	.size	_ZN7rocprim17ROCPRIM_400000_NS6detail17trampoline_kernelINS0_14default_configENS1_35adjacent_difference_config_selectorILb0ElEEZNS1_24adjacent_difference_implIS3_Lb0ELb0EPlS7_ZN2at6native12_GLOBAL__N_124unique_dim_cuda_templateItEESt5tupleIJNS8_6TensorESD_SD_EERKSD_lbbbEUlllE1_EE10hipError_tPvRmT2_T3_mT4_P12ihipStream_tbEUlT_E_NS1_11comp_targetILNS1_3genE9ELNS1_11target_archE1100ELNS1_3gpuE3ELNS1_3repE0EEENS1_30default_config_static_selectorELNS0_4arch9wavefront6targetE1EEEvT1_, .Lfunc_end1400-_ZN7rocprim17ROCPRIM_400000_NS6detail17trampoline_kernelINS0_14default_configENS1_35adjacent_difference_config_selectorILb0ElEEZNS1_24adjacent_difference_implIS3_Lb0ELb0EPlS7_ZN2at6native12_GLOBAL__N_124unique_dim_cuda_templateItEESt5tupleIJNS8_6TensorESD_SD_EERKSD_lbbbEUlllE1_EE10hipError_tPvRmT2_T3_mT4_P12ihipStream_tbEUlT_E_NS1_11comp_targetILNS1_3genE9ELNS1_11target_archE1100ELNS1_3gpuE3ELNS1_3repE0EEENS1_30default_config_static_selectorELNS0_4arch9wavefront6targetE1EEEvT1_
                                        ; -- End function
	.set _ZN7rocprim17ROCPRIM_400000_NS6detail17trampoline_kernelINS0_14default_configENS1_35adjacent_difference_config_selectorILb0ElEEZNS1_24adjacent_difference_implIS3_Lb0ELb0EPlS7_ZN2at6native12_GLOBAL__N_124unique_dim_cuda_templateItEESt5tupleIJNS8_6TensorESD_SD_EERKSD_lbbbEUlllE1_EE10hipError_tPvRmT2_T3_mT4_P12ihipStream_tbEUlT_E_NS1_11comp_targetILNS1_3genE9ELNS1_11target_archE1100ELNS1_3gpuE3ELNS1_3repE0EEENS1_30default_config_static_selectorELNS0_4arch9wavefront6targetE1EEEvT1_.num_vgpr, 0
	.set _ZN7rocprim17ROCPRIM_400000_NS6detail17trampoline_kernelINS0_14default_configENS1_35adjacent_difference_config_selectorILb0ElEEZNS1_24adjacent_difference_implIS3_Lb0ELb0EPlS7_ZN2at6native12_GLOBAL__N_124unique_dim_cuda_templateItEESt5tupleIJNS8_6TensorESD_SD_EERKSD_lbbbEUlllE1_EE10hipError_tPvRmT2_T3_mT4_P12ihipStream_tbEUlT_E_NS1_11comp_targetILNS1_3genE9ELNS1_11target_archE1100ELNS1_3gpuE3ELNS1_3repE0EEENS1_30default_config_static_selectorELNS0_4arch9wavefront6targetE1EEEvT1_.num_agpr, 0
	.set _ZN7rocprim17ROCPRIM_400000_NS6detail17trampoline_kernelINS0_14default_configENS1_35adjacent_difference_config_selectorILb0ElEEZNS1_24adjacent_difference_implIS3_Lb0ELb0EPlS7_ZN2at6native12_GLOBAL__N_124unique_dim_cuda_templateItEESt5tupleIJNS8_6TensorESD_SD_EERKSD_lbbbEUlllE1_EE10hipError_tPvRmT2_T3_mT4_P12ihipStream_tbEUlT_E_NS1_11comp_targetILNS1_3genE9ELNS1_11target_archE1100ELNS1_3gpuE3ELNS1_3repE0EEENS1_30default_config_static_selectorELNS0_4arch9wavefront6targetE1EEEvT1_.numbered_sgpr, 0
	.set _ZN7rocprim17ROCPRIM_400000_NS6detail17trampoline_kernelINS0_14default_configENS1_35adjacent_difference_config_selectorILb0ElEEZNS1_24adjacent_difference_implIS3_Lb0ELb0EPlS7_ZN2at6native12_GLOBAL__N_124unique_dim_cuda_templateItEESt5tupleIJNS8_6TensorESD_SD_EERKSD_lbbbEUlllE1_EE10hipError_tPvRmT2_T3_mT4_P12ihipStream_tbEUlT_E_NS1_11comp_targetILNS1_3genE9ELNS1_11target_archE1100ELNS1_3gpuE3ELNS1_3repE0EEENS1_30default_config_static_selectorELNS0_4arch9wavefront6targetE1EEEvT1_.num_named_barrier, 0
	.set _ZN7rocprim17ROCPRIM_400000_NS6detail17trampoline_kernelINS0_14default_configENS1_35adjacent_difference_config_selectorILb0ElEEZNS1_24adjacent_difference_implIS3_Lb0ELb0EPlS7_ZN2at6native12_GLOBAL__N_124unique_dim_cuda_templateItEESt5tupleIJNS8_6TensorESD_SD_EERKSD_lbbbEUlllE1_EE10hipError_tPvRmT2_T3_mT4_P12ihipStream_tbEUlT_E_NS1_11comp_targetILNS1_3genE9ELNS1_11target_archE1100ELNS1_3gpuE3ELNS1_3repE0EEENS1_30default_config_static_selectorELNS0_4arch9wavefront6targetE1EEEvT1_.private_seg_size, 0
	.set _ZN7rocprim17ROCPRIM_400000_NS6detail17trampoline_kernelINS0_14default_configENS1_35adjacent_difference_config_selectorILb0ElEEZNS1_24adjacent_difference_implIS3_Lb0ELb0EPlS7_ZN2at6native12_GLOBAL__N_124unique_dim_cuda_templateItEESt5tupleIJNS8_6TensorESD_SD_EERKSD_lbbbEUlllE1_EE10hipError_tPvRmT2_T3_mT4_P12ihipStream_tbEUlT_E_NS1_11comp_targetILNS1_3genE9ELNS1_11target_archE1100ELNS1_3gpuE3ELNS1_3repE0EEENS1_30default_config_static_selectorELNS0_4arch9wavefront6targetE1EEEvT1_.uses_vcc, 0
	.set _ZN7rocprim17ROCPRIM_400000_NS6detail17trampoline_kernelINS0_14default_configENS1_35adjacent_difference_config_selectorILb0ElEEZNS1_24adjacent_difference_implIS3_Lb0ELb0EPlS7_ZN2at6native12_GLOBAL__N_124unique_dim_cuda_templateItEESt5tupleIJNS8_6TensorESD_SD_EERKSD_lbbbEUlllE1_EE10hipError_tPvRmT2_T3_mT4_P12ihipStream_tbEUlT_E_NS1_11comp_targetILNS1_3genE9ELNS1_11target_archE1100ELNS1_3gpuE3ELNS1_3repE0EEENS1_30default_config_static_selectorELNS0_4arch9wavefront6targetE1EEEvT1_.uses_flat_scratch, 0
	.set _ZN7rocprim17ROCPRIM_400000_NS6detail17trampoline_kernelINS0_14default_configENS1_35adjacent_difference_config_selectorILb0ElEEZNS1_24adjacent_difference_implIS3_Lb0ELb0EPlS7_ZN2at6native12_GLOBAL__N_124unique_dim_cuda_templateItEESt5tupleIJNS8_6TensorESD_SD_EERKSD_lbbbEUlllE1_EE10hipError_tPvRmT2_T3_mT4_P12ihipStream_tbEUlT_E_NS1_11comp_targetILNS1_3genE9ELNS1_11target_archE1100ELNS1_3gpuE3ELNS1_3repE0EEENS1_30default_config_static_selectorELNS0_4arch9wavefront6targetE1EEEvT1_.has_dyn_sized_stack, 0
	.set _ZN7rocprim17ROCPRIM_400000_NS6detail17trampoline_kernelINS0_14default_configENS1_35adjacent_difference_config_selectorILb0ElEEZNS1_24adjacent_difference_implIS3_Lb0ELb0EPlS7_ZN2at6native12_GLOBAL__N_124unique_dim_cuda_templateItEESt5tupleIJNS8_6TensorESD_SD_EERKSD_lbbbEUlllE1_EE10hipError_tPvRmT2_T3_mT4_P12ihipStream_tbEUlT_E_NS1_11comp_targetILNS1_3genE9ELNS1_11target_archE1100ELNS1_3gpuE3ELNS1_3repE0EEENS1_30default_config_static_selectorELNS0_4arch9wavefront6targetE1EEEvT1_.has_recursion, 0
	.set _ZN7rocprim17ROCPRIM_400000_NS6detail17trampoline_kernelINS0_14default_configENS1_35adjacent_difference_config_selectorILb0ElEEZNS1_24adjacent_difference_implIS3_Lb0ELb0EPlS7_ZN2at6native12_GLOBAL__N_124unique_dim_cuda_templateItEESt5tupleIJNS8_6TensorESD_SD_EERKSD_lbbbEUlllE1_EE10hipError_tPvRmT2_T3_mT4_P12ihipStream_tbEUlT_E_NS1_11comp_targetILNS1_3genE9ELNS1_11target_archE1100ELNS1_3gpuE3ELNS1_3repE0EEENS1_30default_config_static_selectorELNS0_4arch9wavefront6targetE1EEEvT1_.has_indirect_call, 0
	.section	.AMDGPU.csdata,"",@progbits
; Kernel info:
; codeLenInByte = 0
; TotalNumSgprs: 6
; NumVgprs: 0
; NumAgprs: 0
; TotalNumVgprs: 0
; ScratchSize: 0
; MemoryBound: 0
; FloatMode: 240
; IeeeMode: 1
; LDSByteSize: 0 bytes/workgroup (compile time only)
; SGPRBlocks: 0
; VGPRBlocks: 0
; NumSGPRsForWavesPerEU: 6
; NumVGPRsForWavesPerEU: 1
; AccumOffset: 4
; Occupancy: 8
; WaveLimiterHint : 0
; COMPUTE_PGM_RSRC2:SCRATCH_EN: 0
; COMPUTE_PGM_RSRC2:USER_SGPR: 2
; COMPUTE_PGM_RSRC2:TRAP_HANDLER: 0
; COMPUTE_PGM_RSRC2:TGID_X_EN: 1
; COMPUTE_PGM_RSRC2:TGID_Y_EN: 0
; COMPUTE_PGM_RSRC2:TGID_Z_EN: 0
; COMPUTE_PGM_RSRC2:TIDIG_COMP_CNT: 0
; COMPUTE_PGM_RSRC3_GFX90A:ACCUM_OFFSET: 0
; COMPUTE_PGM_RSRC3_GFX90A:TG_SPLIT: 0
	.section	.text._ZN7rocprim17ROCPRIM_400000_NS6detail17trampoline_kernelINS0_14default_configENS1_35adjacent_difference_config_selectorILb0ElEEZNS1_24adjacent_difference_implIS3_Lb0ELb0EPlS7_ZN2at6native12_GLOBAL__N_124unique_dim_cuda_templateItEESt5tupleIJNS8_6TensorESD_SD_EERKSD_lbbbEUlllE1_EE10hipError_tPvRmT2_T3_mT4_P12ihipStream_tbEUlT_E_NS1_11comp_targetILNS1_3genE8ELNS1_11target_archE1030ELNS1_3gpuE2ELNS1_3repE0EEENS1_30default_config_static_selectorELNS0_4arch9wavefront6targetE1EEEvT1_,"axG",@progbits,_ZN7rocprim17ROCPRIM_400000_NS6detail17trampoline_kernelINS0_14default_configENS1_35adjacent_difference_config_selectorILb0ElEEZNS1_24adjacent_difference_implIS3_Lb0ELb0EPlS7_ZN2at6native12_GLOBAL__N_124unique_dim_cuda_templateItEESt5tupleIJNS8_6TensorESD_SD_EERKSD_lbbbEUlllE1_EE10hipError_tPvRmT2_T3_mT4_P12ihipStream_tbEUlT_E_NS1_11comp_targetILNS1_3genE8ELNS1_11target_archE1030ELNS1_3gpuE2ELNS1_3repE0EEENS1_30default_config_static_selectorELNS0_4arch9wavefront6targetE1EEEvT1_,comdat
	.globl	_ZN7rocprim17ROCPRIM_400000_NS6detail17trampoline_kernelINS0_14default_configENS1_35adjacent_difference_config_selectorILb0ElEEZNS1_24adjacent_difference_implIS3_Lb0ELb0EPlS7_ZN2at6native12_GLOBAL__N_124unique_dim_cuda_templateItEESt5tupleIJNS8_6TensorESD_SD_EERKSD_lbbbEUlllE1_EE10hipError_tPvRmT2_T3_mT4_P12ihipStream_tbEUlT_E_NS1_11comp_targetILNS1_3genE8ELNS1_11target_archE1030ELNS1_3gpuE2ELNS1_3repE0EEENS1_30default_config_static_selectorELNS0_4arch9wavefront6targetE1EEEvT1_ ; -- Begin function _ZN7rocprim17ROCPRIM_400000_NS6detail17trampoline_kernelINS0_14default_configENS1_35adjacent_difference_config_selectorILb0ElEEZNS1_24adjacent_difference_implIS3_Lb0ELb0EPlS7_ZN2at6native12_GLOBAL__N_124unique_dim_cuda_templateItEESt5tupleIJNS8_6TensorESD_SD_EERKSD_lbbbEUlllE1_EE10hipError_tPvRmT2_T3_mT4_P12ihipStream_tbEUlT_E_NS1_11comp_targetILNS1_3genE8ELNS1_11target_archE1030ELNS1_3gpuE2ELNS1_3repE0EEENS1_30default_config_static_selectorELNS0_4arch9wavefront6targetE1EEEvT1_
	.p2align	8
	.type	_ZN7rocprim17ROCPRIM_400000_NS6detail17trampoline_kernelINS0_14default_configENS1_35adjacent_difference_config_selectorILb0ElEEZNS1_24adjacent_difference_implIS3_Lb0ELb0EPlS7_ZN2at6native12_GLOBAL__N_124unique_dim_cuda_templateItEESt5tupleIJNS8_6TensorESD_SD_EERKSD_lbbbEUlllE1_EE10hipError_tPvRmT2_T3_mT4_P12ihipStream_tbEUlT_E_NS1_11comp_targetILNS1_3genE8ELNS1_11target_archE1030ELNS1_3gpuE2ELNS1_3repE0EEENS1_30default_config_static_selectorELNS0_4arch9wavefront6targetE1EEEvT1_,@function
_ZN7rocprim17ROCPRIM_400000_NS6detail17trampoline_kernelINS0_14default_configENS1_35adjacent_difference_config_selectorILb0ElEEZNS1_24adjacent_difference_implIS3_Lb0ELb0EPlS7_ZN2at6native12_GLOBAL__N_124unique_dim_cuda_templateItEESt5tupleIJNS8_6TensorESD_SD_EERKSD_lbbbEUlllE1_EE10hipError_tPvRmT2_T3_mT4_P12ihipStream_tbEUlT_E_NS1_11comp_targetILNS1_3genE8ELNS1_11target_archE1030ELNS1_3gpuE2ELNS1_3repE0EEENS1_30default_config_static_selectorELNS0_4arch9wavefront6targetE1EEEvT1_: ; @_ZN7rocprim17ROCPRIM_400000_NS6detail17trampoline_kernelINS0_14default_configENS1_35adjacent_difference_config_selectorILb0ElEEZNS1_24adjacent_difference_implIS3_Lb0ELb0EPlS7_ZN2at6native12_GLOBAL__N_124unique_dim_cuda_templateItEESt5tupleIJNS8_6TensorESD_SD_EERKSD_lbbbEUlllE1_EE10hipError_tPvRmT2_T3_mT4_P12ihipStream_tbEUlT_E_NS1_11comp_targetILNS1_3genE8ELNS1_11target_archE1030ELNS1_3gpuE2ELNS1_3repE0EEENS1_30default_config_static_selectorELNS0_4arch9wavefront6targetE1EEEvT1_
; %bb.0:
	.section	.rodata,"a",@progbits
	.p2align	6, 0x0
	.amdhsa_kernel _ZN7rocprim17ROCPRIM_400000_NS6detail17trampoline_kernelINS0_14default_configENS1_35adjacent_difference_config_selectorILb0ElEEZNS1_24adjacent_difference_implIS3_Lb0ELb0EPlS7_ZN2at6native12_GLOBAL__N_124unique_dim_cuda_templateItEESt5tupleIJNS8_6TensorESD_SD_EERKSD_lbbbEUlllE1_EE10hipError_tPvRmT2_T3_mT4_P12ihipStream_tbEUlT_E_NS1_11comp_targetILNS1_3genE8ELNS1_11target_archE1030ELNS1_3gpuE2ELNS1_3repE0EEENS1_30default_config_static_selectorELNS0_4arch9wavefront6targetE1EEEvT1_
		.amdhsa_group_segment_fixed_size 0
		.amdhsa_private_segment_fixed_size 0
		.amdhsa_kernarg_size 64
		.amdhsa_user_sgpr_count 2
		.amdhsa_user_sgpr_dispatch_ptr 0
		.amdhsa_user_sgpr_queue_ptr 0
		.amdhsa_user_sgpr_kernarg_segment_ptr 1
		.amdhsa_user_sgpr_dispatch_id 0
		.amdhsa_user_sgpr_kernarg_preload_length 0
		.amdhsa_user_sgpr_kernarg_preload_offset 0
		.amdhsa_user_sgpr_private_segment_size 0
		.amdhsa_uses_dynamic_stack 0
		.amdhsa_enable_private_segment 0
		.amdhsa_system_sgpr_workgroup_id_x 1
		.amdhsa_system_sgpr_workgroup_id_y 0
		.amdhsa_system_sgpr_workgroup_id_z 0
		.amdhsa_system_sgpr_workgroup_info 0
		.amdhsa_system_vgpr_workitem_id 0
		.amdhsa_next_free_vgpr 1
		.amdhsa_next_free_sgpr 0
		.amdhsa_accum_offset 4
		.amdhsa_reserve_vcc 0
		.amdhsa_float_round_mode_32 0
		.amdhsa_float_round_mode_16_64 0
		.amdhsa_float_denorm_mode_32 3
		.amdhsa_float_denorm_mode_16_64 3
		.amdhsa_dx10_clamp 1
		.amdhsa_ieee_mode 1
		.amdhsa_fp16_overflow 0
		.amdhsa_tg_split 0
		.amdhsa_exception_fp_ieee_invalid_op 0
		.amdhsa_exception_fp_denorm_src 0
		.amdhsa_exception_fp_ieee_div_zero 0
		.amdhsa_exception_fp_ieee_overflow 0
		.amdhsa_exception_fp_ieee_underflow 0
		.amdhsa_exception_fp_ieee_inexact 0
		.amdhsa_exception_int_div_zero 0
	.end_amdhsa_kernel
	.section	.text._ZN7rocprim17ROCPRIM_400000_NS6detail17trampoline_kernelINS0_14default_configENS1_35adjacent_difference_config_selectorILb0ElEEZNS1_24adjacent_difference_implIS3_Lb0ELb0EPlS7_ZN2at6native12_GLOBAL__N_124unique_dim_cuda_templateItEESt5tupleIJNS8_6TensorESD_SD_EERKSD_lbbbEUlllE1_EE10hipError_tPvRmT2_T3_mT4_P12ihipStream_tbEUlT_E_NS1_11comp_targetILNS1_3genE8ELNS1_11target_archE1030ELNS1_3gpuE2ELNS1_3repE0EEENS1_30default_config_static_selectorELNS0_4arch9wavefront6targetE1EEEvT1_,"axG",@progbits,_ZN7rocprim17ROCPRIM_400000_NS6detail17trampoline_kernelINS0_14default_configENS1_35adjacent_difference_config_selectorILb0ElEEZNS1_24adjacent_difference_implIS3_Lb0ELb0EPlS7_ZN2at6native12_GLOBAL__N_124unique_dim_cuda_templateItEESt5tupleIJNS8_6TensorESD_SD_EERKSD_lbbbEUlllE1_EE10hipError_tPvRmT2_T3_mT4_P12ihipStream_tbEUlT_E_NS1_11comp_targetILNS1_3genE8ELNS1_11target_archE1030ELNS1_3gpuE2ELNS1_3repE0EEENS1_30default_config_static_selectorELNS0_4arch9wavefront6targetE1EEEvT1_,comdat
.Lfunc_end1401:
	.size	_ZN7rocprim17ROCPRIM_400000_NS6detail17trampoline_kernelINS0_14default_configENS1_35adjacent_difference_config_selectorILb0ElEEZNS1_24adjacent_difference_implIS3_Lb0ELb0EPlS7_ZN2at6native12_GLOBAL__N_124unique_dim_cuda_templateItEESt5tupleIJNS8_6TensorESD_SD_EERKSD_lbbbEUlllE1_EE10hipError_tPvRmT2_T3_mT4_P12ihipStream_tbEUlT_E_NS1_11comp_targetILNS1_3genE8ELNS1_11target_archE1030ELNS1_3gpuE2ELNS1_3repE0EEENS1_30default_config_static_selectorELNS0_4arch9wavefront6targetE1EEEvT1_, .Lfunc_end1401-_ZN7rocprim17ROCPRIM_400000_NS6detail17trampoline_kernelINS0_14default_configENS1_35adjacent_difference_config_selectorILb0ElEEZNS1_24adjacent_difference_implIS3_Lb0ELb0EPlS7_ZN2at6native12_GLOBAL__N_124unique_dim_cuda_templateItEESt5tupleIJNS8_6TensorESD_SD_EERKSD_lbbbEUlllE1_EE10hipError_tPvRmT2_T3_mT4_P12ihipStream_tbEUlT_E_NS1_11comp_targetILNS1_3genE8ELNS1_11target_archE1030ELNS1_3gpuE2ELNS1_3repE0EEENS1_30default_config_static_selectorELNS0_4arch9wavefront6targetE1EEEvT1_
                                        ; -- End function
	.set _ZN7rocprim17ROCPRIM_400000_NS6detail17trampoline_kernelINS0_14default_configENS1_35adjacent_difference_config_selectorILb0ElEEZNS1_24adjacent_difference_implIS3_Lb0ELb0EPlS7_ZN2at6native12_GLOBAL__N_124unique_dim_cuda_templateItEESt5tupleIJNS8_6TensorESD_SD_EERKSD_lbbbEUlllE1_EE10hipError_tPvRmT2_T3_mT4_P12ihipStream_tbEUlT_E_NS1_11comp_targetILNS1_3genE8ELNS1_11target_archE1030ELNS1_3gpuE2ELNS1_3repE0EEENS1_30default_config_static_selectorELNS0_4arch9wavefront6targetE1EEEvT1_.num_vgpr, 0
	.set _ZN7rocprim17ROCPRIM_400000_NS6detail17trampoline_kernelINS0_14default_configENS1_35adjacent_difference_config_selectorILb0ElEEZNS1_24adjacent_difference_implIS3_Lb0ELb0EPlS7_ZN2at6native12_GLOBAL__N_124unique_dim_cuda_templateItEESt5tupleIJNS8_6TensorESD_SD_EERKSD_lbbbEUlllE1_EE10hipError_tPvRmT2_T3_mT4_P12ihipStream_tbEUlT_E_NS1_11comp_targetILNS1_3genE8ELNS1_11target_archE1030ELNS1_3gpuE2ELNS1_3repE0EEENS1_30default_config_static_selectorELNS0_4arch9wavefront6targetE1EEEvT1_.num_agpr, 0
	.set _ZN7rocprim17ROCPRIM_400000_NS6detail17trampoline_kernelINS0_14default_configENS1_35adjacent_difference_config_selectorILb0ElEEZNS1_24adjacent_difference_implIS3_Lb0ELb0EPlS7_ZN2at6native12_GLOBAL__N_124unique_dim_cuda_templateItEESt5tupleIJNS8_6TensorESD_SD_EERKSD_lbbbEUlllE1_EE10hipError_tPvRmT2_T3_mT4_P12ihipStream_tbEUlT_E_NS1_11comp_targetILNS1_3genE8ELNS1_11target_archE1030ELNS1_3gpuE2ELNS1_3repE0EEENS1_30default_config_static_selectorELNS0_4arch9wavefront6targetE1EEEvT1_.numbered_sgpr, 0
	.set _ZN7rocprim17ROCPRIM_400000_NS6detail17trampoline_kernelINS0_14default_configENS1_35adjacent_difference_config_selectorILb0ElEEZNS1_24adjacent_difference_implIS3_Lb0ELb0EPlS7_ZN2at6native12_GLOBAL__N_124unique_dim_cuda_templateItEESt5tupleIJNS8_6TensorESD_SD_EERKSD_lbbbEUlllE1_EE10hipError_tPvRmT2_T3_mT4_P12ihipStream_tbEUlT_E_NS1_11comp_targetILNS1_3genE8ELNS1_11target_archE1030ELNS1_3gpuE2ELNS1_3repE0EEENS1_30default_config_static_selectorELNS0_4arch9wavefront6targetE1EEEvT1_.num_named_barrier, 0
	.set _ZN7rocprim17ROCPRIM_400000_NS6detail17trampoline_kernelINS0_14default_configENS1_35adjacent_difference_config_selectorILb0ElEEZNS1_24adjacent_difference_implIS3_Lb0ELb0EPlS7_ZN2at6native12_GLOBAL__N_124unique_dim_cuda_templateItEESt5tupleIJNS8_6TensorESD_SD_EERKSD_lbbbEUlllE1_EE10hipError_tPvRmT2_T3_mT4_P12ihipStream_tbEUlT_E_NS1_11comp_targetILNS1_3genE8ELNS1_11target_archE1030ELNS1_3gpuE2ELNS1_3repE0EEENS1_30default_config_static_selectorELNS0_4arch9wavefront6targetE1EEEvT1_.private_seg_size, 0
	.set _ZN7rocprim17ROCPRIM_400000_NS6detail17trampoline_kernelINS0_14default_configENS1_35adjacent_difference_config_selectorILb0ElEEZNS1_24adjacent_difference_implIS3_Lb0ELb0EPlS7_ZN2at6native12_GLOBAL__N_124unique_dim_cuda_templateItEESt5tupleIJNS8_6TensorESD_SD_EERKSD_lbbbEUlllE1_EE10hipError_tPvRmT2_T3_mT4_P12ihipStream_tbEUlT_E_NS1_11comp_targetILNS1_3genE8ELNS1_11target_archE1030ELNS1_3gpuE2ELNS1_3repE0EEENS1_30default_config_static_selectorELNS0_4arch9wavefront6targetE1EEEvT1_.uses_vcc, 0
	.set _ZN7rocprim17ROCPRIM_400000_NS6detail17trampoline_kernelINS0_14default_configENS1_35adjacent_difference_config_selectorILb0ElEEZNS1_24adjacent_difference_implIS3_Lb0ELb0EPlS7_ZN2at6native12_GLOBAL__N_124unique_dim_cuda_templateItEESt5tupleIJNS8_6TensorESD_SD_EERKSD_lbbbEUlllE1_EE10hipError_tPvRmT2_T3_mT4_P12ihipStream_tbEUlT_E_NS1_11comp_targetILNS1_3genE8ELNS1_11target_archE1030ELNS1_3gpuE2ELNS1_3repE0EEENS1_30default_config_static_selectorELNS0_4arch9wavefront6targetE1EEEvT1_.uses_flat_scratch, 0
	.set _ZN7rocprim17ROCPRIM_400000_NS6detail17trampoline_kernelINS0_14default_configENS1_35adjacent_difference_config_selectorILb0ElEEZNS1_24adjacent_difference_implIS3_Lb0ELb0EPlS7_ZN2at6native12_GLOBAL__N_124unique_dim_cuda_templateItEESt5tupleIJNS8_6TensorESD_SD_EERKSD_lbbbEUlllE1_EE10hipError_tPvRmT2_T3_mT4_P12ihipStream_tbEUlT_E_NS1_11comp_targetILNS1_3genE8ELNS1_11target_archE1030ELNS1_3gpuE2ELNS1_3repE0EEENS1_30default_config_static_selectorELNS0_4arch9wavefront6targetE1EEEvT1_.has_dyn_sized_stack, 0
	.set _ZN7rocprim17ROCPRIM_400000_NS6detail17trampoline_kernelINS0_14default_configENS1_35adjacent_difference_config_selectorILb0ElEEZNS1_24adjacent_difference_implIS3_Lb0ELb0EPlS7_ZN2at6native12_GLOBAL__N_124unique_dim_cuda_templateItEESt5tupleIJNS8_6TensorESD_SD_EERKSD_lbbbEUlllE1_EE10hipError_tPvRmT2_T3_mT4_P12ihipStream_tbEUlT_E_NS1_11comp_targetILNS1_3genE8ELNS1_11target_archE1030ELNS1_3gpuE2ELNS1_3repE0EEENS1_30default_config_static_selectorELNS0_4arch9wavefront6targetE1EEEvT1_.has_recursion, 0
	.set _ZN7rocprim17ROCPRIM_400000_NS6detail17trampoline_kernelINS0_14default_configENS1_35adjacent_difference_config_selectorILb0ElEEZNS1_24adjacent_difference_implIS3_Lb0ELb0EPlS7_ZN2at6native12_GLOBAL__N_124unique_dim_cuda_templateItEESt5tupleIJNS8_6TensorESD_SD_EERKSD_lbbbEUlllE1_EE10hipError_tPvRmT2_T3_mT4_P12ihipStream_tbEUlT_E_NS1_11comp_targetILNS1_3genE8ELNS1_11target_archE1030ELNS1_3gpuE2ELNS1_3repE0EEENS1_30default_config_static_selectorELNS0_4arch9wavefront6targetE1EEEvT1_.has_indirect_call, 0
	.section	.AMDGPU.csdata,"",@progbits
; Kernel info:
; codeLenInByte = 0
; TotalNumSgprs: 6
; NumVgprs: 0
; NumAgprs: 0
; TotalNumVgprs: 0
; ScratchSize: 0
; MemoryBound: 0
; FloatMode: 240
; IeeeMode: 1
; LDSByteSize: 0 bytes/workgroup (compile time only)
; SGPRBlocks: 0
; VGPRBlocks: 0
; NumSGPRsForWavesPerEU: 6
; NumVGPRsForWavesPerEU: 1
; AccumOffset: 4
; Occupancy: 8
; WaveLimiterHint : 0
; COMPUTE_PGM_RSRC2:SCRATCH_EN: 0
; COMPUTE_PGM_RSRC2:USER_SGPR: 2
; COMPUTE_PGM_RSRC2:TRAP_HANDLER: 0
; COMPUTE_PGM_RSRC2:TGID_X_EN: 1
; COMPUTE_PGM_RSRC2:TGID_Y_EN: 0
; COMPUTE_PGM_RSRC2:TGID_Z_EN: 0
; COMPUTE_PGM_RSRC2:TIDIG_COMP_CNT: 0
; COMPUTE_PGM_RSRC3_GFX90A:ACCUM_OFFSET: 0
; COMPUTE_PGM_RSRC3_GFX90A:TG_SPLIT: 0
	.section	.text._ZN7rocprim17ROCPRIM_400000_NS6detail17trampoline_kernelINS0_14default_configENS1_25transform_config_selectorIlLb0EEEZNS1_14transform_implILb0ES3_S5_NS0_18transform_iteratorINS0_17counting_iteratorImlEEZNS1_24adjacent_difference_implIS3_Lb1ELb0EPlSB_ZN2at6native12_GLOBAL__N_124unique_dim_cuda_templateItEESt5tupleIJNSC_6TensorESH_SH_EERKSH_lbbbEUlllE1_EE10hipError_tPvRmT2_T3_mT4_P12ihipStream_tbEUlmE_lEESB_NS0_8identityIvEEEESM_SP_SQ_mSR_ST_bEUlT_E_NS1_11comp_targetILNS1_3genE0ELNS1_11target_archE4294967295ELNS1_3gpuE0ELNS1_3repE0EEENS1_30default_config_static_selectorELNS0_4arch9wavefront6targetE1EEEvT1_,"axG",@progbits,_ZN7rocprim17ROCPRIM_400000_NS6detail17trampoline_kernelINS0_14default_configENS1_25transform_config_selectorIlLb0EEEZNS1_14transform_implILb0ES3_S5_NS0_18transform_iteratorINS0_17counting_iteratorImlEEZNS1_24adjacent_difference_implIS3_Lb1ELb0EPlSB_ZN2at6native12_GLOBAL__N_124unique_dim_cuda_templateItEESt5tupleIJNSC_6TensorESH_SH_EERKSH_lbbbEUlllE1_EE10hipError_tPvRmT2_T3_mT4_P12ihipStream_tbEUlmE_lEESB_NS0_8identityIvEEEESM_SP_SQ_mSR_ST_bEUlT_E_NS1_11comp_targetILNS1_3genE0ELNS1_11target_archE4294967295ELNS1_3gpuE0ELNS1_3repE0EEENS1_30default_config_static_selectorELNS0_4arch9wavefront6targetE1EEEvT1_,comdat
	.globl	_ZN7rocprim17ROCPRIM_400000_NS6detail17trampoline_kernelINS0_14default_configENS1_25transform_config_selectorIlLb0EEEZNS1_14transform_implILb0ES3_S5_NS0_18transform_iteratorINS0_17counting_iteratorImlEEZNS1_24adjacent_difference_implIS3_Lb1ELb0EPlSB_ZN2at6native12_GLOBAL__N_124unique_dim_cuda_templateItEESt5tupleIJNSC_6TensorESH_SH_EERKSH_lbbbEUlllE1_EE10hipError_tPvRmT2_T3_mT4_P12ihipStream_tbEUlmE_lEESB_NS0_8identityIvEEEESM_SP_SQ_mSR_ST_bEUlT_E_NS1_11comp_targetILNS1_3genE0ELNS1_11target_archE4294967295ELNS1_3gpuE0ELNS1_3repE0EEENS1_30default_config_static_selectorELNS0_4arch9wavefront6targetE1EEEvT1_ ; -- Begin function _ZN7rocprim17ROCPRIM_400000_NS6detail17trampoline_kernelINS0_14default_configENS1_25transform_config_selectorIlLb0EEEZNS1_14transform_implILb0ES3_S5_NS0_18transform_iteratorINS0_17counting_iteratorImlEEZNS1_24adjacent_difference_implIS3_Lb1ELb0EPlSB_ZN2at6native12_GLOBAL__N_124unique_dim_cuda_templateItEESt5tupleIJNSC_6TensorESH_SH_EERKSH_lbbbEUlllE1_EE10hipError_tPvRmT2_T3_mT4_P12ihipStream_tbEUlmE_lEESB_NS0_8identityIvEEEESM_SP_SQ_mSR_ST_bEUlT_E_NS1_11comp_targetILNS1_3genE0ELNS1_11target_archE4294967295ELNS1_3gpuE0ELNS1_3repE0EEENS1_30default_config_static_selectorELNS0_4arch9wavefront6targetE1EEEvT1_
	.p2align	8
	.type	_ZN7rocprim17ROCPRIM_400000_NS6detail17trampoline_kernelINS0_14default_configENS1_25transform_config_selectorIlLb0EEEZNS1_14transform_implILb0ES3_S5_NS0_18transform_iteratorINS0_17counting_iteratorImlEEZNS1_24adjacent_difference_implIS3_Lb1ELb0EPlSB_ZN2at6native12_GLOBAL__N_124unique_dim_cuda_templateItEESt5tupleIJNSC_6TensorESH_SH_EERKSH_lbbbEUlllE1_EE10hipError_tPvRmT2_T3_mT4_P12ihipStream_tbEUlmE_lEESB_NS0_8identityIvEEEESM_SP_SQ_mSR_ST_bEUlT_E_NS1_11comp_targetILNS1_3genE0ELNS1_11target_archE4294967295ELNS1_3gpuE0ELNS1_3repE0EEENS1_30default_config_static_selectorELNS0_4arch9wavefront6targetE1EEEvT1_,@function
_ZN7rocprim17ROCPRIM_400000_NS6detail17trampoline_kernelINS0_14default_configENS1_25transform_config_selectorIlLb0EEEZNS1_14transform_implILb0ES3_S5_NS0_18transform_iteratorINS0_17counting_iteratorImlEEZNS1_24adjacent_difference_implIS3_Lb1ELb0EPlSB_ZN2at6native12_GLOBAL__N_124unique_dim_cuda_templateItEESt5tupleIJNSC_6TensorESH_SH_EERKSH_lbbbEUlllE1_EE10hipError_tPvRmT2_T3_mT4_P12ihipStream_tbEUlmE_lEESB_NS0_8identityIvEEEESM_SP_SQ_mSR_ST_bEUlT_E_NS1_11comp_targetILNS1_3genE0ELNS1_11target_archE4294967295ELNS1_3gpuE0ELNS1_3repE0EEENS1_30default_config_static_selectorELNS0_4arch9wavefront6targetE1EEEvT1_: ; @_ZN7rocprim17ROCPRIM_400000_NS6detail17trampoline_kernelINS0_14default_configENS1_25transform_config_selectorIlLb0EEEZNS1_14transform_implILb0ES3_S5_NS0_18transform_iteratorINS0_17counting_iteratorImlEEZNS1_24adjacent_difference_implIS3_Lb1ELb0EPlSB_ZN2at6native12_GLOBAL__N_124unique_dim_cuda_templateItEESt5tupleIJNSC_6TensorESH_SH_EERKSH_lbbbEUlllE1_EE10hipError_tPvRmT2_T3_mT4_P12ihipStream_tbEUlmE_lEESB_NS0_8identityIvEEEESM_SP_SQ_mSR_ST_bEUlT_E_NS1_11comp_targetILNS1_3genE0ELNS1_11target_archE4294967295ELNS1_3gpuE0ELNS1_3repE0EEENS1_30default_config_static_selectorELNS0_4arch9wavefront6targetE1EEEvT1_
; %bb.0:
	s_load_dword s3, s[0:1], 0x38
	s_load_dword s5, s[0:1], 0x20
	s_lshl_b32 s4, s2, 7
	s_waitcnt lgkmcnt(0)
	s_add_i32 s3, s3, -1
	s_cmp_lg_u32 s2, s3
	s_cselect_b64 s[2:3], -1, 0
	s_sub_i32 s5, s5, s4
	v_cmp_gt_u32_e32 vcc, s5, v0
	s_or_b64 s[2:3], s[2:3], vcc
	s_and_saveexec_b64 s[6:7], s[2:3]
	s_cbranch_execz .LBB1402_2
; %bb.1:
	s_load_dwordx2 s[2:3], s[0:1], 0x18
	s_load_dwordx4 s[8:11], s[0:1], 0x0
	s_load_dwordx2 s[6:7], s[0:1], 0x28
	s_load_dword s5, s[0:1], 0x10
	v_mov_b32_e32 v1, 0
	s_waitcnt lgkmcnt(0)
	s_lshl_b64 s[0:1], s[2:3], 3
	v_mov_b32_e32 v2, s10
	s_add_u32 s6, s6, s0
	s_addc_u32 s7, s7, s1
	s_add_u32 s0, s8, s2
	s_addc_u32 s1, s9, s3
	;; [unrolled: 2-line block ×3, first 2 shown]
	v_lshl_add_u64 v[4:5], s[0:1], 0, v[0:1]
	v_mad_u64_u32 v[6:7], s[0:1], v4, s5, 0
	v_mov_b32_e32 v4, v7
	v_mad_u64_u32 v[4:5], s[0:1], v5, s5, v[4:5]
	v_mov_b32_e32 v3, s11
	v_mov_b32_e32 v7, v4
	v_lshl_add_u64 v[2:3], v[6:7], 3, v[2:3]
	global_load_dwordx2 v[2:3], v[2:3], off
	s_mov_b32 s5, 0
	s_lshl_b64 s[0:1], s[4:5], 3
	s_add_u32 s0, s6, s0
	s_addc_u32 s1, s7, s1
	v_lshl_add_u64 v[0:1], v[0:1], 3, s[0:1]
	s_waitcnt vmcnt(0)
	global_store_dwordx2 v[0:1], v[2:3], off
.LBB1402_2:
	s_endpgm
	.section	.rodata,"a",@progbits
	.p2align	6, 0x0
	.amdhsa_kernel _ZN7rocprim17ROCPRIM_400000_NS6detail17trampoline_kernelINS0_14default_configENS1_25transform_config_selectorIlLb0EEEZNS1_14transform_implILb0ES3_S5_NS0_18transform_iteratorINS0_17counting_iteratorImlEEZNS1_24adjacent_difference_implIS3_Lb1ELb0EPlSB_ZN2at6native12_GLOBAL__N_124unique_dim_cuda_templateItEESt5tupleIJNSC_6TensorESH_SH_EERKSH_lbbbEUlllE1_EE10hipError_tPvRmT2_T3_mT4_P12ihipStream_tbEUlmE_lEESB_NS0_8identityIvEEEESM_SP_SQ_mSR_ST_bEUlT_E_NS1_11comp_targetILNS1_3genE0ELNS1_11target_archE4294967295ELNS1_3gpuE0ELNS1_3repE0EEENS1_30default_config_static_selectorELNS0_4arch9wavefront6targetE1EEEvT1_
		.amdhsa_group_segment_fixed_size 0
		.amdhsa_private_segment_fixed_size 0
		.amdhsa_kernarg_size 312
		.amdhsa_user_sgpr_count 2
		.amdhsa_user_sgpr_dispatch_ptr 0
		.amdhsa_user_sgpr_queue_ptr 0
		.amdhsa_user_sgpr_kernarg_segment_ptr 1
		.amdhsa_user_sgpr_dispatch_id 0
		.amdhsa_user_sgpr_kernarg_preload_length 0
		.amdhsa_user_sgpr_kernarg_preload_offset 0
		.amdhsa_user_sgpr_private_segment_size 0
		.amdhsa_uses_dynamic_stack 0
		.amdhsa_enable_private_segment 0
		.amdhsa_system_sgpr_workgroup_id_x 1
		.amdhsa_system_sgpr_workgroup_id_y 0
		.amdhsa_system_sgpr_workgroup_id_z 0
		.amdhsa_system_sgpr_workgroup_info 0
		.amdhsa_system_vgpr_workitem_id 0
		.amdhsa_next_free_vgpr 8
		.amdhsa_next_free_sgpr 12
		.amdhsa_accum_offset 8
		.amdhsa_reserve_vcc 1
		.amdhsa_float_round_mode_32 0
		.amdhsa_float_round_mode_16_64 0
		.amdhsa_float_denorm_mode_32 3
		.amdhsa_float_denorm_mode_16_64 3
		.amdhsa_dx10_clamp 1
		.amdhsa_ieee_mode 1
		.amdhsa_fp16_overflow 0
		.amdhsa_tg_split 0
		.amdhsa_exception_fp_ieee_invalid_op 0
		.amdhsa_exception_fp_denorm_src 0
		.amdhsa_exception_fp_ieee_div_zero 0
		.amdhsa_exception_fp_ieee_overflow 0
		.amdhsa_exception_fp_ieee_underflow 0
		.amdhsa_exception_fp_ieee_inexact 0
		.amdhsa_exception_int_div_zero 0
	.end_amdhsa_kernel
	.section	.text._ZN7rocprim17ROCPRIM_400000_NS6detail17trampoline_kernelINS0_14default_configENS1_25transform_config_selectorIlLb0EEEZNS1_14transform_implILb0ES3_S5_NS0_18transform_iteratorINS0_17counting_iteratorImlEEZNS1_24adjacent_difference_implIS3_Lb1ELb0EPlSB_ZN2at6native12_GLOBAL__N_124unique_dim_cuda_templateItEESt5tupleIJNSC_6TensorESH_SH_EERKSH_lbbbEUlllE1_EE10hipError_tPvRmT2_T3_mT4_P12ihipStream_tbEUlmE_lEESB_NS0_8identityIvEEEESM_SP_SQ_mSR_ST_bEUlT_E_NS1_11comp_targetILNS1_3genE0ELNS1_11target_archE4294967295ELNS1_3gpuE0ELNS1_3repE0EEENS1_30default_config_static_selectorELNS0_4arch9wavefront6targetE1EEEvT1_,"axG",@progbits,_ZN7rocprim17ROCPRIM_400000_NS6detail17trampoline_kernelINS0_14default_configENS1_25transform_config_selectorIlLb0EEEZNS1_14transform_implILb0ES3_S5_NS0_18transform_iteratorINS0_17counting_iteratorImlEEZNS1_24adjacent_difference_implIS3_Lb1ELb0EPlSB_ZN2at6native12_GLOBAL__N_124unique_dim_cuda_templateItEESt5tupleIJNSC_6TensorESH_SH_EERKSH_lbbbEUlllE1_EE10hipError_tPvRmT2_T3_mT4_P12ihipStream_tbEUlmE_lEESB_NS0_8identityIvEEEESM_SP_SQ_mSR_ST_bEUlT_E_NS1_11comp_targetILNS1_3genE0ELNS1_11target_archE4294967295ELNS1_3gpuE0ELNS1_3repE0EEENS1_30default_config_static_selectorELNS0_4arch9wavefront6targetE1EEEvT1_,comdat
.Lfunc_end1402:
	.size	_ZN7rocprim17ROCPRIM_400000_NS6detail17trampoline_kernelINS0_14default_configENS1_25transform_config_selectorIlLb0EEEZNS1_14transform_implILb0ES3_S5_NS0_18transform_iteratorINS0_17counting_iteratorImlEEZNS1_24adjacent_difference_implIS3_Lb1ELb0EPlSB_ZN2at6native12_GLOBAL__N_124unique_dim_cuda_templateItEESt5tupleIJNSC_6TensorESH_SH_EERKSH_lbbbEUlllE1_EE10hipError_tPvRmT2_T3_mT4_P12ihipStream_tbEUlmE_lEESB_NS0_8identityIvEEEESM_SP_SQ_mSR_ST_bEUlT_E_NS1_11comp_targetILNS1_3genE0ELNS1_11target_archE4294967295ELNS1_3gpuE0ELNS1_3repE0EEENS1_30default_config_static_selectorELNS0_4arch9wavefront6targetE1EEEvT1_, .Lfunc_end1402-_ZN7rocprim17ROCPRIM_400000_NS6detail17trampoline_kernelINS0_14default_configENS1_25transform_config_selectorIlLb0EEEZNS1_14transform_implILb0ES3_S5_NS0_18transform_iteratorINS0_17counting_iteratorImlEEZNS1_24adjacent_difference_implIS3_Lb1ELb0EPlSB_ZN2at6native12_GLOBAL__N_124unique_dim_cuda_templateItEESt5tupleIJNSC_6TensorESH_SH_EERKSH_lbbbEUlllE1_EE10hipError_tPvRmT2_T3_mT4_P12ihipStream_tbEUlmE_lEESB_NS0_8identityIvEEEESM_SP_SQ_mSR_ST_bEUlT_E_NS1_11comp_targetILNS1_3genE0ELNS1_11target_archE4294967295ELNS1_3gpuE0ELNS1_3repE0EEENS1_30default_config_static_selectorELNS0_4arch9wavefront6targetE1EEEvT1_
                                        ; -- End function
	.set _ZN7rocprim17ROCPRIM_400000_NS6detail17trampoline_kernelINS0_14default_configENS1_25transform_config_selectorIlLb0EEEZNS1_14transform_implILb0ES3_S5_NS0_18transform_iteratorINS0_17counting_iteratorImlEEZNS1_24adjacent_difference_implIS3_Lb1ELb0EPlSB_ZN2at6native12_GLOBAL__N_124unique_dim_cuda_templateItEESt5tupleIJNSC_6TensorESH_SH_EERKSH_lbbbEUlllE1_EE10hipError_tPvRmT2_T3_mT4_P12ihipStream_tbEUlmE_lEESB_NS0_8identityIvEEEESM_SP_SQ_mSR_ST_bEUlT_E_NS1_11comp_targetILNS1_3genE0ELNS1_11target_archE4294967295ELNS1_3gpuE0ELNS1_3repE0EEENS1_30default_config_static_selectorELNS0_4arch9wavefront6targetE1EEEvT1_.num_vgpr, 8
	.set _ZN7rocprim17ROCPRIM_400000_NS6detail17trampoline_kernelINS0_14default_configENS1_25transform_config_selectorIlLb0EEEZNS1_14transform_implILb0ES3_S5_NS0_18transform_iteratorINS0_17counting_iteratorImlEEZNS1_24adjacent_difference_implIS3_Lb1ELb0EPlSB_ZN2at6native12_GLOBAL__N_124unique_dim_cuda_templateItEESt5tupleIJNSC_6TensorESH_SH_EERKSH_lbbbEUlllE1_EE10hipError_tPvRmT2_T3_mT4_P12ihipStream_tbEUlmE_lEESB_NS0_8identityIvEEEESM_SP_SQ_mSR_ST_bEUlT_E_NS1_11comp_targetILNS1_3genE0ELNS1_11target_archE4294967295ELNS1_3gpuE0ELNS1_3repE0EEENS1_30default_config_static_selectorELNS0_4arch9wavefront6targetE1EEEvT1_.num_agpr, 0
	.set _ZN7rocprim17ROCPRIM_400000_NS6detail17trampoline_kernelINS0_14default_configENS1_25transform_config_selectorIlLb0EEEZNS1_14transform_implILb0ES3_S5_NS0_18transform_iteratorINS0_17counting_iteratorImlEEZNS1_24adjacent_difference_implIS3_Lb1ELb0EPlSB_ZN2at6native12_GLOBAL__N_124unique_dim_cuda_templateItEESt5tupleIJNSC_6TensorESH_SH_EERKSH_lbbbEUlllE1_EE10hipError_tPvRmT2_T3_mT4_P12ihipStream_tbEUlmE_lEESB_NS0_8identityIvEEEESM_SP_SQ_mSR_ST_bEUlT_E_NS1_11comp_targetILNS1_3genE0ELNS1_11target_archE4294967295ELNS1_3gpuE0ELNS1_3repE0EEENS1_30default_config_static_selectorELNS0_4arch9wavefront6targetE1EEEvT1_.numbered_sgpr, 12
	.set _ZN7rocprim17ROCPRIM_400000_NS6detail17trampoline_kernelINS0_14default_configENS1_25transform_config_selectorIlLb0EEEZNS1_14transform_implILb0ES3_S5_NS0_18transform_iteratorINS0_17counting_iteratorImlEEZNS1_24adjacent_difference_implIS3_Lb1ELb0EPlSB_ZN2at6native12_GLOBAL__N_124unique_dim_cuda_templateItEESt5tupleIJNSC_6TensorESH_SH_EERKSH_lbbbEUlllE1_EE10hipError_tPvRmT2_T3_mT4_P12ihipStream_tbEUlmE_lEESB_NS0_8identityIvEEEESM_SP_SQ_mSR_ST_bEUlT_E_NS1_11comp_targetILNS1_3genE0ELNS1_11target_archE4294967295ELNS1_3gpuE0ELNS1_3repE0EEENS1_30default_config_static_selectorELNS0_4arch9wavefront6targetE1EEEvT1_.num_named_barrier, 0
	.set _ZN7rocprim17ROCPRIM_400000_NS6detail17trampoline_kernelINS0_14default_configENS1_25transform_config_selectorIlLb0EEEZNS1_14transform_implILb0ES3_S5_NS0_18transform_iteratorINS0_17counting_iteratorImlEEZNS1_24adjacent_difference_implIS3_Lb1ELb0EPlSB_ZN2at6native12_GLOBAL__N_124unique_dim_cuda_templateItEESt5tupleIJNSC_6TensorESH_SH_EERKSH_lbbbEUlllE1_EE10hipError_tPvRmT2_T3_mT4_P12ihipStream_tbEUlmE_lEESB_NS0_8identityIvEEEESM_SP_SQ_mSR_ST_bEUlT_E_NS1_11comp_targetILNS1_3genE0ELNS1_11target_archE4294967295ELNS1_3gpuE0ELNS1_3repE0EEENS1_30default_config_static_selectorELNS0_4arch9wavefront6targetE1EEEvT1_.private_seg_size, 0
	.set _ZN7rocprim17ROCPRIM_400000_NS6detail17trampoline_kernelINS0_14default_configENS1_25transform_config_selectorIlLb0EEEZNS1_14transform_implILb0ES3_S5_NS0_18transform_iteratorINS0_17counting_iteratorImlEEZNS1_24adjacent_difference_implIS3_Lb1ELb0EPlSB_ZN2at6native12_GLOBAL__N_124unique_dim_cuda_templateItEESt5tupleIJNSC_6TensorESH_SH_EERKSH_lbbbEUlllE1_EE10hipError_tPvRmT2_T3_mT4_P12ihipStream_tbEUlmE_lEESB_NS0_8identityIvEEEESM_SP_SQ_mSR_ST_bEUlT_E_NS1_11comp_targetILNS1_3genE0ELNS1_11target_archE4294967295ELNS1_3gpuE0ELNS1_3repE0EEENS1_30default_config_static_selectorELNS0_4arch9wavefront6targetE1EEEvT1_.uses_vcc, 1
	.set _ZN7rocprim17ROCPRIM_400000_NS6detail17trampoline_kernelINS0_14default_configENS1_25transform_config_selectorIlLb0EEEZNS1_14transform_implILb0ES3_S5_NS0_18transform_iteratorINS0_17counting_iteratorImlEEZNS1_24adjacent_difference_implIS3_Lb1ELb0EPlSB_ZN2at6native12_GLOBAL__N_124unique_dim_cuda_templateItEESt5tupleIJNSC_6TensorESH_SH_EERKSH_lbbbEUlllE1_EE10hipError_tPvRmT2_T3_mT4_P12ihipStream_tbEUlmE_lEESB_NS0_8identityIvEEEESM_SP_SQ_mSR_ST_bEUlT_E_NS1_11comp_targetILNS1_3genE0ELNS1_11target_archE4294967295ELNS1_3gpuE0ELNS1_3repE0EEENS1_30default_config_static_selectorELNS0_4arch9wavefront6targetE1EEEvT1_.uses_flat_scratch, 0
	.set _ZN7rocprim17ROCPRIM_400000_NS6detail17trampoline_kernelINS0_14default_configENS1_25transform_config_selectorIlLb0EEEZNS1_14transform_implILb0ES3_S5_NS0_18transform_iteratorINS0_17counting_iteratorImlEEZNS1_24adjacent_difference_implIS3_Lb1ELb0EPlSB_ZN2at6native12_GLOBAL__N_124unique_dim_cuda_templateItEESt5tupleIJNSC_6TensorESH_SH_EERKSH_lbbbEUlllE1_EE10hipError_tPvRmT2_T3_mT4_P12ihipStream_tbEUlmE_lEESB_NS0_8identityIvEEEESM_SP_SQ_mSR_ST_bEUlT_E_NS1_11comp_targetILNS1_3genE0ELNS1_11target_archE4294967295ELNS1_3gpuE0ELNS1_3repE0EEENS1_30default_config_static_selectorELNS0_4arch9wavefront6targetE1EEEvT1_.has_dyn_sized_stack, 0
	.set _ZN7rocprim17ROCPRIM_400000_NS6detail17trampoline_kernelINS0_14default_configENS1_25transform_config_selectorIlLb0EEEZNS1_14transform_implILb0ES3_S5_NS0_18transform_iteratorINS0_17counting_iteratorImlEEZNS1_24adjacent_difference_implIS3_Lb1ELb0EPlSB_ZN2at6native12_GLOBAL__N_124unique_dim_cuda_templateItEESt5tupleIJNSC_6TensorESH_SH_EERKSH_lbbbEUlllE1_EE10hipError_tPvRmT2_T3_mT4_P12ihipStream_tbEUlmE_lEESB_NS0_8identityIvEEEESM_SP_SQ_mSR_ST_bEUlT_E_NS1_11comp_targetILNS1_3genE0ELNS1_11target_archE4294967295ELNS1_3gpuE0ELNS1_3repE0EEENS1_30default_config_static_selectorELNS0_4arch9wavefront6targetE1EEEvT1_.has_recursion, 0
	.set _ZN7rocprim17ROCPRIM_400000_NS6detail17trampoline_kernelINS0_14default_configENS1_25transform_config_selectorIlLb0EEEZNS1_14transform_implILb0ES3_S5_NS0_18transform_iteratorINS0_17counting_iteratorImlEEZNS1_24adjacent_difference_implIS3_Lb1ELb0EPlSB_ZN2at6native12_GLOBAL__N_124unique_dim_cuda_templateItEESt5tupleIJNSC_6TensorESH_SH_EERKSH_lbbbEUlllE1_EE10hipError_tPvRmT2_T3_mT4_P12ihipStream_tbEUlmE_lEESB_NS0_8identityIvEEEESM_SP_SQ_mSR_ST_bEUlT_E_NS1_11comp_targetILNS1_3genE0ELNS1_11target_archE4294967295ELNS1_3gpuE0ELNS1_3repE0EEENS1_30default_config_static_selectorELNS0_4arch9wavefront6targetE1EEEvT1_.has_indirect_call, 0
	.section	.AMDGPU.csdata,"",@progbits
; Kernel info:
; codeLenInByte = 220
; TotalNumSgprs: 18
; NumVgprs: 8
; NumAgprs: 0
; TotalNumVgprs: 8
; ScratchSize: 0
; MemoryBound: 0
; FloatMode: 240
; IeeeMode: 1
; LDSByteSize: 0 bytes/workgroup (compile time only)
; SGPRBlocks: 2
; VGPRBlocks: 0
; NumSGPRsForWavesPerEU: 18
; NumVGPRsForWavesPerEU: 8
; AccumOffset: 8
; Occupancy: 8
; WaveLimiterHint : 0
; COMPUTE_PGM_RSRC2:SCRATCH_EN: 0
; COMPUTE_PGM_RSRC2:USER_SGPR: 2
; COMPUTE_PGM_RSRC2:TRAP_HANDLER: 0
; COMPUTE_PGM_RSRC2:TGID_X_EN: 1
; COMPUTE_PGM_RSRC2:TGID_Y_EN: 0
; COMPUTE_PGM_RSRC2:TGID_Z_EN: 0
; COMPUTE_PGM_RSRC2:TIDIG_COMP_CNT: 0
; COMPUTE_PGM_RSRC3_GFX90A:ACCUM_OFFSET: 1
; COMPUTE_PGM_RSRC3_GFX90A:TG_SPLIT: 0
	.section	.text._ZN7rocprim17ROCPRIM_400000_NS6detail17trampoline_kernelINS0_14default_configENS1_25transform_config_selectorIlLb0EEEZNS1_14transform_implILb0ES3_S5_NS0_18transform_iteratorINS0_17counting_iteratorImlEEZNS1_24adjacent_difference_implIS3_Lb1ELb0EPlSB_ZN2at6native12_GLOBAL__N_124unique_dim_cuda_templateItEESt5tupleIJNSC_6TensorESH_SH_EERKSH_lbbbEUlllE1_EE10hipError_tPvRmT2_T3_mT4_P12ihipStream_tbEUlmE_lEESB_NS0_8identityIvEEEESM_SP_SQ_mSR_ST_bEUlT_E_NS1_11comp_targetILNS1_3genE5ELNS1_11target_archE942ELNS1_3gpuE9ELNS1_3repE0EEENS1_30default_config_static_selectorELNS0_4arch9wavefront6targetE1EEEvT1_,"axG",@progbits,_ZN7rocprim17ROCPRIM_400000_NS6detail17trampoline_kernelINS0_14default_configENS1_25transform_config_selectorIlLb0EEEZNS1_14transform_implILb0ES3_S5_NS0_18transform_iteratorINS0_17counting_iteratorImlEEZNS1_24adjacent_difference_implIS3_Lb1ELb0EPlSB_ZN2at6native12_GLOBAL__N_124unique_dim_cuda_templateItEESt5tupleIJNSC_6TensorESH_SH_EERKSH_lbbbEUlllE1_EE10hipError_tPvRmT2_T3_mT4_P12ihipStream_tbEUlmE_lEESB_NS0_8identityIvEEEESM_SP_SQ_mSR_ST_bEUlT_E_NS1_11comp_targetILNS1_3genE5ELNS1_11target_archE942ELNS1_3gpuE9ELNS1_3repE0EEENS1_30default_config_static_selectorELNS0_4arch9wavefront6targetE1EEEvT1_,comdat
	.globl	_ZN7rocprim17ROCPRIM_400000_NS6detail17trampoline_kernelINS0_14default_configENS1_25transform_config_selectorIlLb0EEEZNS1_14transform_implILb0ES3_S5_NS0_18transform_iteratorINS0_17counting_iteratorImlEEZNS1_24adjacent_difference_implIS3_Lb1ELb0EPlSB_ZN2at6native12_GLOBAL__N_124unique_dim_cuda_templateItEESt5tupleIJNSC_6TensorESH_SH_EERKSH_lbbbEUlllE1_EE10hipError_tPvRmT2_T3_mT4_P12ihipStream_tbEUlmE_lEESB_NS0_8identityIvEEEESM_SP_SQ_mSR_ST_bEUlT_E_NS1_11comp_targetILNS1_3genE5ELNS1_11target_archE942ELNS1_3gpuE9ELNS1_3repE0EEENS1_30default_config_static_selectorELNS0_4arch9wavefront6targetE1EEEvT1_ ; -- Begin function _ZN7rocprim17ROCPRIM_400000_NS6detail17trampoline_kernelINS0_14default_configENS1_25transform_config_selectorIlLb0EEEZNS1_14transform_implILb0ES3_S5_NS0_18transform_iteratorINS0_17counting_iteratorImlEEZNS1_24adjacent_difference_implIS3_Lb1ELb0EPlSB_ZN2at6native12_GLOBAL__N_124unique_dim_cuda_templateItEESt5tupleIJNSC_6TensorESH_SH_EERKSH_lbbbEUlllE1_EE10hipError_tPvRmT2_T3_mT4_P12ihipStream_tbEUlmE_lEESB_NS0_8identityIvEEEESM_SP_SQ_mSR_ST_bEUlT_E_NS1_11comp_targetILNS1_3genE5ELNS1_11target_archE942ELNS1_3gpuE9ELNS1_3repE0EEENS1_30default_config_static_selectorELNS0_4arch9wavefront6targetE1EEEvT1_
	.p2align	8
	.type	_ZN7rocprim17ROCPRIM_400000_NS6detail17trampoline_kernelINS0_14default_configENS1_25transform_config_selectorIlLb0EEEZNS1_14transform_implILb0ES3_S5_NS0_18transform_iteratorINS0_17counting_iteratorImlEEZNS1_24adjacent_difference_implIS3_Lb1ELb0EPlSB_ZN2at6native12_GLOBAL__N_124unique_dim_cuda_templateItEESt5tupleIJNSC_6TensorESH_SH_EERKSH_lbbbEUlllE1_EE10hipError_tPvRmT2_T3_mT4_P12ihipStream_tbEUlmE_lEESB_NS0_8identityIvEEEESM_SP_SQ_mSR_ST_bEUlT_E_NS1_11comp_targetILNS1_3genE5ELNS1_11target_archE942ELNS1_3gpuE9ELNS1_3repE0EEENS1_30default_config_static_selectorELNS0_4arch9wavefront6targetE1EEEvT1_,@function
_ZN7rocprim17ROCPRIM_400000_NS6detail17trampoline_kernelINS0_14default_configENS1_25transform_config_selectorIlLb0EEEZNS1_14transform_implILb0ES3_S5_NS0_18transform_iteratorINS0_17counting_iteratorImlEEZNS1_24adjacent_difference_implIS3_Lb1ELb0EPlSB_ZN2at6native12_GLOBAL__N_124unique_dim_cuda_templateItEESt5tupleIJNSC_6TensorESH_SH_EERKSH_lbbbEUlllE1_EE10hipError_tPvRmT2_T3_mT4_P12ihipStream_tbEUlmE_lEESB_NS0_8identityIvEEEESM_SP_SQ_mSR_ST_bEUlT_E_NS1_11comp_targetILNS1_3genE5ELNS1_11target_archE942ELNS1_3gpuE9ELNS1_3repE0EEENS1_30default_config_static_selectorELNS0_4arch9wavefront6targetE1EEEvT1_: ; @_ZN7rocprim17ROCPRIM_400000_NS6detail17trampoline_kernelINS0_14default_configENS1_25transform_config_selectorIlLb0EEEZNS1_14transform_implILb0ES3_S5_NS0_18transform_iteratorINS0_17counting_iteratorImlEEZNS1_24adjacent_difference_implIS3_Lb1ELb0EPlSB_ZN2at6native12_GLOBAL__N_124unique_dim_cuda_templateItEESt5tupleIJNSC_6TensorESH_SH_EERKSH_lbbbEUlllE1_EE10hipError_tPvRmT2_T3_mT4_P12ihipStream_tbEUlmE_lEESB_NS0_8identityIvEEEESM_SP_SQ_mSR_ST_bEUlT_E_NS1_11comp_targetILNS1_3genE5ELNS1_11target_archE942ELNS1_3gpuE9ELNS1_3repE0EEENS1_30default_config_static_selectorELNS0_4arch9wavefront6targetE1EEEvT1_
; %bb.0:
	.section	.rodata,"a",@progbits
	.p2align	6, 0x0
	.amdhsa_kernel _ZN7rocprim17ROCPRIM_400000_NS6detail17trampoline_kernelINS0_14default_configENS1_25transform_config_selectorIlLb0EEEZNS1_14transform_implILb0ES3_S5_NS0_18transform_iteratorINS0_17counting_iteratorImlEEZNS1_24adjacent_difference_implIS3_Lb1ELb0EPlSB_ZN2at6native12_GLOBAL__N_124unique_dim_cuda_templateItEESt5tupleIJNSC_6TensorESH_SH_EERKSH_lbbbEUlllE1_EE10hipError_tPvRmT2_T3_mT4_P12ihipStream_tbEUlmE_lEESB_NS0_8identityIvEEEESM_SP_SQ_mSR_ST_bEUlT_E_NS1_11comp_targetILNS1_3genE5ELNS1_11target_archE942ELNS1_3gpuE9ELNS1_3repE0EEENS1_30default_config_static_selectorELNS0_4arch9wavefront6targetE1EEEvT1_
		.amdhsa_group_segment_fixed_size 0
		.amdhsa_private_segment_fixed_size 0
		.amdhsa_kernarg_size 56
		.amdhsa_user_sgpr_count 2
		.amdhsa_user_sgpr_dispatch_ptr 0
		.amdhsa_user_sgpr_queue_ptr 0
		.amdhsa_user_sgpr_kernarg_segment_ptr 1
		.amdhsa_user_sgpr_dispatch_id 0
		.amdhsa_user_sgpr_kernarg_preload_length 0
		.amdhsa_user_sgpr_kernarg_preload_offset 0
		.amdhsa_user_sgpr_private_segment_size 0
		.amdhsa_uses_dynamic_stack 0
		.amdhsa_enable_private_segment 0
		.amdhsa_system_sgpr_workgroup_id_x 1
		.amdhsa_system_sgpr_workgroup_id_y 0
		.amdhsa_system_sgpr_workgroup_id_z 0
		.amdhsa_system_sgpr_workgroup_info 0
		.amdhsa_system_vgpr_workitem_id 0
		.amdhsa_next_free_vgpr 1
		.amdhsa_next_free_sgpr 0
		.amdhsa_accum_offset 4
		.amdhsa_reserve_vcc 0
		.amdhsa_float_round_mode_32 0
		.amdhsa_float_round_mode_16_64 0
		.amdhsa_float_denorm_mode_32 3
		.amdhsa_float_denorm_mode_16_64 3
		.amdhsa_dx10_clamp 1
		.amdhsa_ieee_mode 1
		.amdhsa_fp16_overflow 0
		.amdhsa_tg_split 0
		.amdhsa_exception_fp_ieee_invalid_op 0
		.amdhsa_exception_fp_denorm_src 0
		.amdhsa_exception_fp_ieee_div_zero 0
		.amdhsa_exception_fp_ieee_overflow 0
		.amdhsa_exception_fp_ieee_underflow 0
		.amdhsa_exception_fp_ieee_inexact 0
		.amdhsa_exception_int_div_zero 0
	.end_amdhsa_kernel
	.section	.text._ZN7rocprim17ROCPRIM_400000_NS6detail17trampoline_kernelINS0_14default_configENS1_25transform_config_selectorIlLb0EEEZNS1_14transform_implILb0ES3_S5_NS0_18transform_iteratorINS0_17counting_iteratorImlEEZNS1_24adjacent_difference_implIS3_Lb1ELb0EPlSB_ZN2at6native12_GLOBAL__N_124unique_dim_cuda_templateItEESt5tupleIJNSC_6TensorESH_SH_EERKSH_lbbbEUlllE1_EE10hipError_tPvRmT2_T3_mT4_P12ihipStream_tbEUlmE_lEESB_NS0_8identityIvEEEESM_SP_SQ_mSR_ST_bEUlT_E_NS1_11comp_targetILNS1_3genE5ELNS1_11target_archE942ELNS1_3gpuE9ELNS1_3repE0EEENS1_30default_config_static_selectorELNS0_4arch9wavefront6targetE1EEEvT1_,"axG",@progbits,_ZN7rocprim17ROCPRIM_400000_NS6detail17trampoline_kernelINS0_14default_configENS1_25transform_config_selectorIlLb0EEEZNS1_14transform_implILb0ES3_S5_NS0_18transform_iteratorINS0_17counting_iteratorImlEEZNS1_24adjacent_difference_implIS3_Lb1ELb0EPlSB_ZN2at6native12_GLOBAL__N_124unique_dim_cuda_templateItEESt5tupleIJNSC_6TensorESH_SH_EERKSH_lbbbEUlllE1_EE10hipError_tPvRmT2_T3_mT4_P12ihipStream_tbEUlmE_lEESB_NS0_8identityIvEEEESM_SP_SQ_mSR_ST_bEUlT_E_NS1_11comp_targetILNS1_3genE5ELNS1_11target_archE942ELNS1_3gpuE9ELNS1_3repE0EEENS1_30default_config_static_selectorELNS0_4arch9wavefront6targetE1EEEvT1_,comdat
.Lfunc_end1403:
	.size	_ZN7rocprim17ROCPRIM_400000_NS6detail17trampoline_kernelINS0_14default_configENS1_25transform_config_selectorIlLb0EEEZNS1_14transform_implILb0ES3_S5_NS0_18transform_iteratorINS0_17counting_iteratorImlEEZNS1_24adjacent_difference_implIS3_Lb1ELb0EPlSB_ZN2at6native12_GLOBAL__N_124unique_dim_cuda_templateItEESt5tupleIJNSC_6TensorESH_SH_EERKSH_lbbbEUlllE1_EE10hipError_tPvRmT2_T3_mT4_P12ihipStream_tbEUlmE_lEESB_NS0_8identityIvEEEESM_SP_SQ_mSR_ST_bEUlT_E_NS1_11comp_targetILNS1_3genE5ELNS1_11target_archE942ELNS1_3gpuE9ELNS1_3repE0EEENS1_30default_config_static_selectorELNS0_4arch9wavefront6targetE1EEEvT1_, .Lfunc_end1403-_ZN7rocprim17ROCPRIM_400000_NS6detail17trampoline_kernelINS0_14default_configENS1_25transform_config_selectorIlLb0EEEZNS1_14transform_implILb0ES3_S5_NS0_18transform_iteratorINS0_17counting_iteratorImlEEZNS1_24adjacent_difference_implIS3_Lb1ELb0EPlSB_ZN2at6native12_GLOBAL__N_124unique_dim_cuda_templateItEESt5tupleIJNSC_6TensorESH_SH_EERKSH_lbbbEUlllE1_EE10hipError_tPvRmT2_T3_mT4_P12ihipStream_tbEUlmE_lEESB_NS0_8identityIvEEEESM_SP_SQ_mSR_ST_bEUlT_E_NS1_11comp_targetILNS1_3genE5ELNS1_11target_archE942ELNS1_3gpuE9ELNS1_3repE0EEENS1_30default_config_static_selectorELNS0_4arch9wavefront6targetE1EEEvT1_
                                        ; -- End function
	.set _ZN7rocprim17ROCPRIM_400000_NS6detail17trampoline_kernelINS0_14default_configENS1_25transform_config_selectorIlLb0EEEZNS1_14transform_implILb0ES3_S5_NS0_18transform_iteratorINS0_17counting_iteratorImlEEZNS1_24adjacent_difference_implIS3_Lb1ELb0EPlSB_ZN2at6native12_GLOBAL__N_124unique_dim_cuda_templateItEESt5tupleIJNSC_6TensorESH_SH_EERKSH_lbbbEUlllE1_EE10hipError_tPvRmT2_T3_mT4_P12ihipStream_tbEUlmE_lEESB_NS0_8identityIvEEEESM_SP_SQ_mSR_ST_bEUlT_E_NS1_11comp_targetILNS1_3genE5ELNS1_11target_archE942ELNS1_3gpuE9ELNS1_3repE0EEENS1_30default_config_static_selectorELNS0_4arch9wavefront6targetE1EEEvT1_.num_vgpr, 0
	.set _ZN7rocprim17ROCPRIM_400000_NS6detail17trampoline_kernelINS0_14default_configENS1_25transform_config_selectorIlLb0EEEZNS1_14transform_implILb0ES3_S5_NS0_18transform_iteratorINS0_17counting_iteratorImlEEZNS1_24adjacent_difference_implIS3_Lb1ELb0EPlSB_ZN2at6native12_GLOBAL__N_124unique_dim_cuda_templateItEESt5tupleIJNSC_6TensorESH_SH_EERKSH_lbbbEUlllE1_EE10hipError_tPvRmT2_T3_mT4_P12ihipStream_tbEUlmE_lEESB_NS0_8identityIvEEEESM_SP_SQ_mSR_ST_bEUlT_E_NS1_11comp_targetILNS1_3genE5ELNS1_11target_archE942ELNS1_3gpuE9ELNS1_3repE0EEENS1_30default_config_static_selectorELNS0_4arch9wavefront6targetE1EEEvT1_.num_agpr, 0
	.set _ZN7rocprim17ROCPRIM_400000_NS6detail17trampoline_kernelINS0_14default_configENS1_25transform_config_selectorIlLb0EEEZNS1_14transform_implILb0ES3_S5_NS0_18transform_iteratorINS0_17counting_iteratorImlEEZNS1_24adjacent_difference_implIS3_Lb1ELb0EPlSB_ZN2at6native12_GLOBAL__N_124unique_dim_cuda_templateItEESt5tupleIJNSC_6TensorESH_SH_EERKSH_lbbbEUlllE1_EE10hipError_tPvRmT2_T3_mT4_P12ihipStream_tbEUlmE_lEESB_NS0_8identityIvEEEESM_SP_SQ_mSR_ST_bEUlT_E_NS1_11comp_targetILNS1_3genE5ELNS1_11target_archE942ELNS1_3gpuE9ELNS1_3repE0EEENS1_30default_config_static_selectorELNS0_4arch9wavefront6targetE1EEEvT1_.numbered_sgpr, 0
	.set _ZN7rocprim17ROCPRIM_400000_NS6detail17trampoline_kernelINS0_14default_configENS1_25transform_config_selectorIlLb0EEEZNS1_14transform_implILb0ES3_S5_NS0_18transform_iteratorINS0_17counting_iteratorImlEEZNS1_24adjacent_difference_implIS3_Lb1ELb0EPlSB_ZN2at6native12_GLOBAL__N_124unique_dim_cuda_templateItEESt5tupleIJNSC_6TensorESH_SH_EERKSH_lbbbEUlllE1_EE10hipError_tPvRmT2_T3_mT4_P12ihipStream_tbEUlmE_lEESB_NS0_8identityIvEEEESM_SP_SQ_mSR_ST_bEUlT_E_NS1_11comp_targetILNS1_3genE5ELNS1_11target_archE942ELNS1_3gpuE9ELNS1_3repE0EEENS1_30default_config_static_selectorELNS0_4arch9wavefront6targetE1EEEvT1_.num_named_barrier, 0
	.set _ZN7rocprim17ROCPRIM_400000_NS6detail17trampoline_kernelINS0_14default_configENS1_25transform_config_selectorIlLb0EEEZNS1_14transform_implILb0ES3_S5_NS0_18transform_iteratorINS0_17counting_iteratorImlEEZNS1_24adjacent_difference_implIS3_Lb1ELb0EPlSB_ZN2at6native12_GLOBAL__N_124unique_dim_cuda_templateItEESt5tupleIJNSC_6TensorESH_SH_EERKSH_lbbbEUlllE1_EE10hipError_tPvRmT2_T3_mT4_P12ihipStream_tbEUlmE_lEESB_NS0_8identityIvEEEESM_SP_SQ_mSR_ST_bEUlT_E_NS1_11comp_targetILNS1_3genE5ELNS1_11target_archE942ELNS1_3gpuE9ELNS1_3repE0EEENS1_30default_config_static_selectorELNS0_4arch9wavefront6targetE1EEEvT1_.private_seg_size, 0
	.set _ZN7rocprim17ROCPRIM_400000_NS6detail17trampoline_kernelINS0_14default_configENS1_25transform_config_selectorIlLb0EEEZNS1_14transform_implILb0ES3_S5_NS0_18transform_iteratorINS0_17counting_iteratorImlEEZNS1_24adjacent_difference_implIS3_Lb1ELb0EPlSB_ZN2at6native12_GLOBAL__N_124unique_dim_cuda_templateItEESt5tupleIJNSC_6TensorESH_SH_EERKSH_lbbbEUlllE1_EE10hipError_tPvRmT2_T3_mT4_P12ihipStream_tbEUlmE_lEESB_NS0_8identityIvEEEESM_SP_SQ_mSR_ST_bEUlT_E_NS1_11comp_targetILNS1_3genE5ELNS1_11target_archE942ELNS1_3gpuE9ELNS1_3repE0EEENS1_30default_config_static_selectorELNS0_4arch9wavefront6targetE1EEEvT1_.uses_vcc, 0
	.set _ZN7rocprim17ROCPRIM_400000_NS6detail17trampoline_kernelINS0_14default_configENS1_25transform_config_selectorIlLb0EEEZNS1_14transform_implILb0ES3_S5_NS0_18transform_iteratorINS0_17counting_iteratorImlEEZNS1_24adjacent_difference_implIS3_Lb1ELb0EPlSB_ZN2at6native12_GLOBAL__N_124unique_dim_cuda_templateItEESt5tupleIJNSC_6TensorESH_SH_EERKSH_lbbbEUlllE1_EE10hipError_tPvRmT2_T3_mT4_P12ihipStream_tbEUlmE_lEESB_NS0_8identityIvEEEESM_SP_SQ_mSR_ST_bEUlT_E_NS1_11comp_targetILNS1_3genE5ELNS1_11target_archE942ELNS1_3gpuE9ELNS1_3repE0EEENS1_30default_config_static_selectorELNS0_4arch9wavefront6targetE1EEEvT1_.uses_flat_scratch, 0
	.set _ZN7rocprim17ROCPRIM_400000_NS6detail17trampoline_kernelINS0_14default_configENS1_25transform_config_selectorIlLb0EEEZNS1_14transform_implILb0ES3_S5_NS0_18transform_iteratorINS0_17counting_iteratorImlEEZNS1_24adjacent_difference_implIS3_Lb1ELb0EPlSB_ZN2at6native12_GLOBAL__N_124unique_dim_cuda_templateItEESt5tupleIJNSC_6TensorESH_SH_EERKSH_lbbbEUlllE1_EE10hipError_tPvRmT2_T3_mT4_P12ihipStream_tbEUlmE_lEESB_NS0_8identityIvEEEESM_SP_SQ_mSR_ST_bEUlT_E_NS1_11comp_targetILNS1_3genE5ELNS1_11target_archE942ELNS1_3gpuE9ELNS1_3repE0EEENS1_30default_config_static_selectorELNS0_4arch9wavefront6targetE1EEEvT1_.has_dyn_sized_stack, 0
	.set _ZN7rocprim17ROCPRIM_400000_NS6detail17trampoline_kernelINS0_14default_configENS1_25transform_config_selectorIlLb0EEEZNS1_14transform_implILb0ES3_S5_NS0_18transform_iteratorINS0_17counting_iteratorImlEEZNS1_24adjacent_difference_implIS3_Lb1ELb0EPlSB_ZN2at6native12_GLOBAL__N_124unique_dim_cuda_templateItEESt5tupleIJNSC_6TensorESH_SH_EERKSH_lbbbEUlllE1_EE10hipError_tPvRmT2_T3_mT4_P12ihipStream_tbEUlmE_lEESB_NS0_8identityIvEEEESM_SP_SQ_mSR_ST_bEUlT_E_NS1_11comp_targetILNS1_3genE5ELNS1_11target_archE942ELNS1_3gpuE9ELNS1_3repE0EEENS1_30default_config_static_selectorELNS0_4arch9wavefront6targetE1EEEvT1_.has_recursion, 0
	.set _ZN7rocprim17ROCPRIM_400000_NS6detail17trampoline_kernelINS0_14default_configENS1_25transform_config_selectorIlLb0EEEZNS1_14transform_implILb0ES3_S5_NS0_18transform_iteratorINS0_17counting_iteratorImlEEZNS1_24adjacent_difference_implIS3_Lb1ELb0EPlSB_ZN2at6native12_GLOBAL__N_124unique_dim_cuda_templateItEESt5tupleIJNSC_6TensorESH_SH_EERKSH_lbbbEUlllE1_EE10hipError_tPvRmT2_T3_mT4_P12ihipStream_tbEUlmE_lEESB_NS0_8identityIvEEEESM_SP_SQ_mSR_ST_bEUlT_E_NS1_11comp_targetILNS1_3genE5ELNS1_11target_archE942ELNS1_3gpuE9ELNS1_3repE0EEENS1_30default_config_static_selectorELNS0_4arch9wavefront6targetE1EEEvT1_.has_indirect_call, 0
	.section	.AMDGPU.csdata,"",@progbits
; Kernel info:
; codeLenInByte = 0
; TotalNumSgprs: 6
; NumVgprs: 0
; NumAgprs: 0
; TotalNumVgprs: 0
; ScratchSize: 0
; MemoryBound: 0
; FloatMode: 240
; IeeeMode: 1
; LDSByteSize: 0 bytes/workgroup (compile time only)
; SGPRBlocks: 0
; VGPRBlocks: 0
; NumSGPRsForWavesPerEU: 6
; NumVGPRsForWavesPerEU: 1
; AccumOffset: 4
; Occupancy: 8
; WaveLimiterHint : 0
; COMPUTE_PGM_RSRC2:SCRATCH_EN: 0
; COMPUTE_PGM_RSRC2:USER_SGPR: 2
; COMPUTE_PGM_RSRC2:TRAP_HANDLER: 0
; COMPUTE_PGM_RSRC2:TGID_X_EN: 1
; COMPUTE_PGM_RSRC2:TGID_Y_EN: 0
; COMPUTE_PGM_RSRC2:TGID_Z_EN: 0
; COMPUTE_PGM_RSRC2:TIDIG_COMP_CNT: 0
; COMPUTE_PGM_RSRC3_GFX90A:ACCUM_OFFSET: 0
; COMPUTE_PGM_RSRC3_GFX90A:TG_SPLIT: 0
	.section	.text._ZN7rocprim17ROCPRIM_400000_NS6detail17trampoline_kernelINS0_14default_configENS1_25transform_config_selectorIlLb0EEEZNS1_14transform_implILb0ES3_S5_NS0_18transform_iteratorINS0_17counting_iteratorImlEEZNS1_24adjacent_difference_implIS3_Lb1ELb0EPlSB_ZN2at6native12_GLOBAL__N_124unique_dim_cuda_templateItEESt5tupleIJNSC_6TensorESH_SH_EERKSH_lbbbEUlllE1_EE10hipError_tPvRmT2_T3_mT4_P12ihipStream_tbEUlmE_lEESB_NS0_8identityIvEEEESM_SP_SQ_mSR_ST_bEUlT_E_NS1_11comp_targetILNS1_3genE4ELNS1_11target_archE910ELNS1_3gpuE8ELNS1_3repE0EEENS1_30default_config_static_selectorELNS0_4arch9wavefront6targetE1EEEvT1_,"axG",@progbits,_ZN7rocprim17ROCPRIM_400000_NS6detail17trampoline_kernelINS0_14default_configENS1_25transform_config_selectorIlLb0EEEZNS1_14transform_implILb0ES3_S5_NS0_18transform_iteratorINS0_17counting_iteratorImlEEZNS1_24adjacent_difference_implIS3_Lb1ELb0EPlSB_ZN2at6native12_GLOBAL__N_124unique_dim_cuda_templateItEESt5tupleIJNSC_6TensorESH_SH_EERKSH_lbbbEUlllE1_EE10hipError_tPvRmT2_T3_mT4_P12ihipStream_tbEUlmE_lEESB_NS0_8identityIvEEEESM_SP_SQ_mSR_ST_bEUlT_E_NS1_11comp_targetILNS1_3genE4ELNS1_11target_archE910ELNS1_3gpuE8ELNS1_3repE0EEENS1_30default_config_static_selectorELNS0_4arch9wavefront6targetE1EEEvT1_,comdat
	.globl	_ZN7rocprim17ROCPRIM_400000_NS6detail17trampoline_kernelINS0_14default_configENS1_25transform_config_selectorIlLb0EEEZNS1_14transform_implILb0ES3_S5_NS0_18transform_iteratorINS0_17counting_iteratorImlEEZNS1_24adjacent_difference_implIS3_Lb1ELb0EPlSB_ZN2at6native12_GLOBAL__N_124unique_dim_cuda_templateItEESt5tupleIJNSC_6TensorESH_SH_EERKSH_lbbbEUlllE1_EE10hipError_tPvRmT2_T3_mT4_P12ihipStream_tbEUlmE_lEESB_NS0_8identityIvEEEESM_SP_SQ_mSR_ST_bEUlT_E_NS1_11comp_targetILNS1_3genE4ELNS1_11target_archE910ELNS1_3gpuE8ELNS1_3repE0EEENS1_30default_config_static_selectorELNS0_4arch9wavefront6targetE1EEEvT1_ ; -- Begin function _ZN7rocprim17ROCPRIM_400000_NS6detail17trampoline_kernelINS0_14default_configENS1_25transform_config_selectorIlLb0EEEZNS1_14transform_implILb0ES3_S5_NS0_18transform_iteratorINS0_17counting_iteratorImlEEZNS1_24adjacent_difference_implIS3_Lb1ELb0EPlSB_ZN2at6native12_GLOBAL__N_124unique_dim_cuda_templateItEESt5tupleIJNSC_6TensorESH_SH_EERKSH_lbbbEUlllE1_EE10hipError_tPvRmT2_T3_mT4_P12ihipStream_tbEUlmE_lEESB_NS0_8identityIvEEEESM_SP_SQ_mSR_ST_bEUlT_E_NS1_11comp_targetILNS1_3genE4ELNS1_11target_archE910ELNS1_3gpuE8ELNS1_3repE0EEENS1_30default_config_static_selectorELNS0_4arch9wavefront6targetE1EEEvT1_
	.p2align	8
	.type	_ZN7rocprim17ROCPRIM_400000_NS6detail17trampoline_kernelINS0_14default_configENS1_25transform_config_selectorIlLb0EEEZNS1_14transform_implILb0ES3_S5_NS0_18transform_iteratorINS0_17counting_iteratorImlEEZNS1_24adjacent_difference_implIS3_Lb1ELb0EPlSB_ZN2at6native12_GLOBAL__N_124unique_dim_cuda_templateItEESt5tupleIJNSC_6TensorESH_SH_EERKSH_lbbbEUlllE1_EE10hipError_tPvRmT2_T3_mT4_P12ihipStream_tbEUlmE_lEESB_NS0_8identityIvEEEESM_SP_SQ_mSR_ST_bEUlT_E_NS1_11comp_targetILNS1_3genE4ELNS1_11target_archE910ELNS1_3gpuE8ELNS1_3repE0EEENS1_30default_config_static_selectorELNS0_4arch9wavefront6targetE1EEEvT1_,@function
_ZN7rocprim17ROCPRIM_400000_NS6detail17trampoline_kernelINS0_14default_configENS1_25transform_config_selectorIlLb0EEEZNS1_14transform_implILb0ES3_S5_NS0_18transform_iteratorINS0_17counting_iteratorImlEEZNS1_24adjacent_difference_implIS3_Lb1ELb0EPlSB_ZN2at6native12_GLOBAL__N_124unique_dim_cuda_templateItEESt5tupleIJNSC_6TensorESH_SH_EERKSH_lbbbEUlllE1_EE10hipError_tPvRmT2_T3_mT4_P12ihipStream_tbEUlmE_lEESB_NS0_8identityIvEEEESM_SP_SQ_mSR_ST_bEUlT_E_NS1_11comp_targetILNS1_3genE4ELNS1_11target_archE910ELNS1_3gpuE8ELNS1_3repE0EEENS1_30default_config_static_selectorELNS0_4arch9wavefront6targetE1EEEvT1_: ; @_ZN7rocprim17ROCPRIM_400000_NS6detail17trampoline_kernelINS0_14default_configENS1_25transform_config_selectorIlLb0EEEZNS1_14transform_implILb0ES3_S5_NS0_18transform_iteratorINS0_17counting_iteratorImlEEZNS1_24adjacent_difference_implIS3_Lb1ELb0EPlSB_ZN2at6native12_GLOBAL__N_124unique_dim_cuda_templateItEESt5tupleIJNSC_6TensorESH_SH_EERKSH_lbbbEUlllE1_EE10hipError_tPvRmT2_T3_mT4_P12ihipStream_tbEUlmE_lEESB_NS0_8identityIvEEEESM_SP_SQ_mSR_ST_bEUlT_E_NS1_11comp_targetILNS1_3genE4ELNS1_11target_archE910ELNS1_3gpuE8ELNS1_3repE0EEENS1_30default_config_static_selectorELNS0_4arch9wavefront6targetE1EEEvT1_
; %bb.0:
	.section	.rodata,"a",@progbits
	.p2align	6, 0x0
	.amdhsa_kernel _ZN7rocprim17ROCPRIM_400000_NS6detail17trampoline_kernelINS0_14default_configENS1_25transform_config_selectorIlLb0EEEZNS1_14transform_implILb0ES3_S5_NS0_18transform_iteratorINS0_17counting_iteratorImlEEZNS1_24adjacent_difference_implIS3_Lb1ELb0EPlSB_ZN2at6native12_GLOBAL__N_124unique_dim_cuda_templateItEESt5tupleIJNSC_6TensorESH_SH_EERKSH_lbbbEUlllE1_EE10hipError_tPvRmT2_T3_mT4_P12ihipStream_tbEUlmE_lEESB_NS0_8identityIvEEEESM_SP_SQ_mSR_ST_bEUlT_E_NS1_11comp_targetILNS1_3genE4ELNS1_11target_archE910ELNS1_3gpuE8ELNS1_3repE0EEENS1_30default_config_static_selectorELNS0_4arch9wavefront6targetE1EEEvT1_
		.amdhsa_group_segment_fixed_size 0
		.amdhsa_private_segment_fixed_size 0
		.amdhsa_kernarg_size 56
		.amdhsa_user_sgpr_count 2
		.amdhsa_user_sgpr_dispatch_ptr 0
		.amdhsa_user_sgpr_queue_ptr 0
		.amdhsa_user_sgpr_kernarg_segment_ptr 1
		.amdhsa_user_sgpr_dispatch_id 0
		.amdhsa_user_sgpr_kernarg_preload_length 0
		.amdhsa_user_sgpr_kernarg_preload_offset 0
		.amdhsa_user_sgpr_private_segment_size 0
		.amdhsa_uses_dynamic_stack 0
		.amdhsa_enable_private_segment 0
		.amdhsa_system_sgpr_workgroup_id_x 1
		.amdhsa_system_sgpr_workgroup_id_y 0
		.amdhsa_system_sgpr_workgroup_id_z 0
		.amdhsa_system_sgpr_workgroup_info 0
		.amdhsa_system_vgpr_workitem_id 0
		.amdhsa_next_free_vgpr 1
		.amdhsa_next_free_sgpr 0
		.amdhsa_accum_offset 4
		.amdhsa_reserve_vcc 0
		.amdhsa_float_round_mode_32 0
		.amdhsa_float_round_mode_16_64 0
		.amdhsa_float_denorm_mode_32 3
		.amdhsa_float_denorm_mode_16_64 3
		.amdhsa_dx10_clamp 1
		.amdhsa_ieee_mode 1
		.amdhsa_fp16_overflow 0
		.amdhsa_tg_split 0
		.amdhsa_exception_fp_ieee_invalid_op 0
		.amdhsa_exception_fp_denorm_src 0
		.amdhsa_exception_fp_ieee_div_zero 0
		.amdhsa_exception_fp_ieee_overflow 0
		.amdhsa_exception_fp_ieee_underflow 0
		.amdhsa_exception_fp_ieee_inexact 0
		.amdhsa_exception_int_div_zero 0
	.end_amdhsa_kernel
	.section	.text._ZN7rocprim17ROCPRIM_400000_NS6detail17trampoline_kernelINS0_14default_configENS1_25transform_config_selectorIlLb0EEEZNS1_14transform_implILb0ES3_S5_NS0_18transform_iteratorINS0_17counting_iteratorImlEEZNS1_24adjacent_difference_implIS3_Lb1ELb0EPlSB_ZN2at6native12_GLOBAL__N_124unique_dim_cuda_templateItEESt5tupleIJNSC_6TensorESH_SH_EERKSH_lbbbEUlllE1_EE10hipError_tPvRmT2_T3_mT4_P12ihipStream_tbEUlmE_lEESB_NS0_8identityIvEEEESM_SP_SQ_mSR_ST_bEUlT_E_NS1_11comp_targetILNS1_3genE4ELNS1_11target_archE910ELNS1_3gpuE8ELNS1_3repE0EEENS1_30default_config_static_selectorELNS0_4arch9wavefront6targetE1EEEvT1_,"axG",@progbits,_ZN7rocprim17ROCPRIM_400000_NS6detail17trampoline_kernelINS0_14default_configENS1_25transform_config_selectorIlLb0EEEZNS1_14transform_implILb0ES3_S5_NS0_18transform_iteratorINS0_17counting_iteratorImlEEZNS1_24adjacent_difference_implIS3_Lb1ELb0EPlSB_ZN2at6native12_GLOBAL__N_124unique_dim_cuda_templateItEESt5tupleIJNSC_6TensorESH_SH_EERKSH_lbbbEUlllE1_EE10hipError_tPvRmT2_T3_mT4_P12ihipStream_tbEUlmE_lEESB_NS0_8identityIvEEEESM_SP_SQ_mSR_ST_bEUlT_E_NS1_11comp_targetILNS1_3genE4ELNS1_11target_archE910ELNS1_3gpuE8ELNS1_3repE0EEENS1_30default_config_static_selectorELNS0_4arch9wavefront6targetE1EEEvT1_,comdat
.Lfunc_end1404:
	.size	_ZN7rocprim17ROCPRIM_400000_NS6detail17trampoline_kernelINS0_14default_configENS1_25transform_config_selectorIlLb0EEEZNS1_14transform_implILb0ES3_S5_NS0_18transform_iteratorINS0_17counting_iteratorImlEEZNS1_24adjacent_difference_implIS3_Lb1ELb0EPlSB_ZN2at6native12_GLOBAL__N_124unique_dim_cuda_templateItEESt5tupleIJNSC_6TensorESH_SH_EERKSH_lbbbEUlllE1_EE10hipError_tPvRmT2_T3_mT4_P12ihipStream_tbEUlmE_lEESB_NS0_8identityIvEEEESM_SP_SQ_mSR_ST_bEUlT_E_NS1_11comp_targetILNS1_3genE4ELNS1_11target_archE910ELNS1_3gpuE8ELNS1_3repE0EEENS1_30default_config_static_selectorELNS0_4arch9wavefront6targetE1EEEvT1_, .Lfunc_end1404-_ZN7rocprim17ROCPRIM_400000_NS6detail17trampoline_kernelINS0_14default_configENS1_25transform_config_selectorIlLb0EEEZNS1_14transform_implILb0ES3_S5_NS0_18transform_iteratorINS0_17counting_iteratorImlEEZNS1_24adjacent_difference_implIS3_Lb1ELb0EPlSB_ZN2at6native12_GLOBAL__N_124unique_dim_cuda_templateItEESt5tupleIJNSC_6TensorESH_SH_EERKSH_lbbbEUlllE1_EE10hipError_tPvRmT2_T3_mT4_P12ihipStream_tbEUlmE_lEESB_NS0_8identityIvEEEESM_SP_SQ_mSR_ST_bEUlT_E_NS1_11comp_targetILNS1_3genE4ELNS1_11target_archE910ELNS1_3gpuE8ELNS1_3repE0EEENS1_30default_config_static_selectorELNS0_4arch9wavefront6targetE1EEEvT1_
                                        ; -- End function
	.set _ZN7rocprim17ROCPRIM_400000_NS6detail17trampoline_kernelINS0_14default_configENS1_25transform_config_selectorIlLb0EEEZNS1_14transform_implILb0ES3_S5_NS0_18transform_iteratorINS0_17counting_iteratorImlEEZNS1_24adjacent_difference_implIS3_Lb1ELb0EPlSB_ZN2at6native12_GLOBAL__N_124unique_dim_cuda_templateItEESt5tupleIJNSC_6TensorESH_SH_EERKSH_lbbbEUlllE1_EE10hipError_tPvRmT2_T3_mT4_P12ihipStream_tbEUlmE_lEESB_NS0_8identityIvEEEESM_SP_SQ_mSR_ST_bEUlT_E_NS1_11comp_targetILNS1_3genE4ELNS1_11target_archE910ELNS1_3gpuE8ELNS1_3repE0EEENS1_30default_config_static_selectorELNS0_4arch9wavefront6targetE1EEEvT1_.num_vgpr, 0
	.set _ZN7rocprim17ROCPRIM_400000_NS6detail17trampoline_kernelINS0_14default_configENS1_25transform_config_selectorIlLb0EEEZNS1_14transform_implILb0ES3_S5_NS0_18transform_iteratorINS0_17counting_iteratorImlEEZNS1_24adjacent_difference_implIS3_Lb1ELb0EPlSB_ZN2at6native12_GLOBAL__N_124unique_dim_cuda_templateItEESt5tupleIJNSC_6TensorESH_SH_EERKSH_lbbbEUlllE1_EE10hipError_tPvRmT2_T3_mT4_P12ihipStream_tbEUlmE_lEESB_NS0_8identityIvEEEESM_SP_SQ_mSR_ST_bEUlT_E_NS1_11comp_targetILNS1_3genE4ELNS1_11target_archE910ELNS1_3gpuE8ELNS1_3repE0EEENS1_30default_config_static_selectorELNS0_4arch9wavefront6targetE1EEEvT1_.num_agpr, 0
	.set _ZN7rocprim17ROCPRIM_400000_NS6detail17trampoline_kernelINS0_14default_configENS1_25transform_config_selectorIlLb0EEEZNS1_14transform_implILb0ES3_S5_NS0_18transform_iteratorINS0_17counting_iteratorImlEEZNS1_24adjacent_difference_implIS3_Lb1ELb0EPlSB_ZN2at6native12_GLOBAL__N_124unique_dim_cuda_templateItEESt5tupleIJNSC_6TensorESH_SH_EERKSH_lbbbEUlllE1_EE10hipError_tPvRmT2_T3_mT4_P12ihipStream_tbEUlmE_lEESB_NS0_8identityIvEEEESM_SP_SQ_mSR_ST_bEUlT_E_NS1_11comp_targetILNS1_3genE4ELNS1_11target_archE910ELNS1_3gpuE8ELNS1_3repE0EEENS1_30default_config_static_selectorELNS0_4arch9wavefront6targetE1EEEvT1_.numbered_sgpr, 0
	.set _ZN7rocprim17ROCPRIM_400000_NS6detail17trampoline_kernelINS0_14default_configENS1_25transform_config_selectorIlLb0EEEZNS1_14transform_implILb0ES3_S5_NS0_18transform_iteratorINS0_17counting_iteratorImlEEZNS1_24adjacent_difference_implIS3_Lb1ELb0EPlSB_ZN2at6native12_GLOBAL__N_124unique_dim_cuda_templateItEESt5tupleIJNSC_6TensorESH_SH_EERKSH_lbbbEUlllE1_EE10hipError_tPvRmT2_T3_mT4_P12ihipStream_tbEUlmE_lEESB_NS0_8identityIvEEEESM_SP_SQ_mSR_ST_bEUlT_E_NS1_11comp_targetILNS1_3genE4ELNS1_11target_archE910ELNS1_3gpuE8ELNS1_3repE0EEENS1_30default_config_static_selectorELNS0_4arch9wavefront6targetE1EEEvT1_.num_named_barrier, 0
	.set _ZN7rocprim17ROCPRIM_400000_NS6detail17trampoline_kernelINS0_14default_configENS1_25transform_config_selectorIlLb0EEEZNS1_14transform_implILb0ES3_S5_NS0_18transform_iteratorINS0_17counting_iteratorImlEEZNS1_24adjacent_difference_implIS3_Lb1ELb0EPlSB_ZN2at6native12_GLOBAL__N_124unique_dim_cuda_templateItEESt5tupleIJNSC_6TensorESH_SH_EERKSH_lbbbEUlllE1_EE10hipError_tPvRmT2_T3_mT4_P12ihipStream_tbEUlmE_lEESB_NS0_8identityIvEEEESM_SP_SQ_mSR_ST_bEUlT_E_NS1_11comp_targetILNS1_3genE4ELNS1_11target_archE910ELNS1_3gpuE8ELNS1_3repE0EEENS1_30default_config_static_selectorELNS0_4arch9wavefront6targetE1EEEvT1_.private_seg_size, 0
	.set _ZN7rocprim17ROCPRIM_400000_NS6detail17trampoline_kernelINS0_14default_configENS1_25transform_config_selectorIlLb0EEEZNS1_14transform_implILb0ES3_S5_NS0_18transform_iteratorINS0_17counting_iteratorImlEEZNS1_24adjacent_difference_implIS3_Lb1ELb0EPlSB_ZN2at6native12_GLOBAL__N_124unique_dim_cuda_templateItEESt5tupleIJNSC_6TensorESH_SH_EERKSH_lbbbEUlllE1_EE10hipError_tPvRmT2_T3_mT4_P12ihipStream_tbEUlmE_lEESB_NS0_8identityIvEEEESM_SP_SQ_mSR_ST_bEUlT_E_NS1_11comp_targetILNS1_3genE4ELNS1_11target_archE910ELNS1_3gpuE8ELNS1_3repE0EEENS1_30default_config_static_selectorELNS0_4arch9wavefront6targetE1EEEvT1_.uses_vcc, 0
	.set _ZN7rocprim17ROCPRIM_400000_NS6detail17trampoline_kernelINS0_14default_configENS1_25transform_config_selectorIlLb0EEEZNS1_14transform_implILb0ES3_S5_NS0_18transform_iteratorINS0_17counting_iteratorImlEEZNS1_24adjacent_difference_implIS3_Lb1ELb0EPlSB_ZN2at6native12_GLOBAL__N_124unique_dim_cuda_templateItEESt5tupleIJNSC_6TensorESH_SH_EERKSH_lbbbEUlllE1_EE10hipError_tPvRmT2_T3_mT4_P12ihipStream_tbEUlmE_lEESB_NS0_8identityIvEEEESM_SP_SQ_mSR_ST_bEUlT_E_NS1_11comp_targetILNS1_3genE4ELNS1_11target_archE910ELNS1_3gpuE8ELNS1_3repE0EEENS1_30default_config_static_selectorELNS0_4arch9wavefront6targetE1EEEvT1_.uses_flat_scratch, 0
	.set _ZN7rocprim17ROCPRIM_400000_NS6detail17trampoline_kernelINS0_14default_configENS1_25transform_config_selectorIlLb0EEEZNS1_14transform_implILb0ES3_S5_NS0_18transform_iteratorINS0_17counting_iteratorImlEEZNS1_24adjacent_difference_implIS3_Lb1ELb0EPlSB_ZN2at6native12_GLOBAL__N_124unique_dim_cuda_templateItEESt5tupleIJNSC_6TensorESH_SH_EERKSH_lbbbEUlllE1_EE10hipError_tPvRmT2_T3_mT4_P12ihipStream_tbEUlmE_lEESB_NS0_8identityIvEEEESM_SP_SQ_mSR_ST_bEUlT_E_NS1_11comp_targetILNS1_3genE4ELNS1_11target_archE910ELNS1_3gpuE8ELNS1_3repE0EEENS1_30default_config_static_selectorELNS0_4arch9wavefront6targetE1EEEvT1_.has_dyn_sized_stack, 0
	.set _ZN7rocprim17ROCPRIM_400000_NS6detail17trampoline_kernelINS0_14default_configENS1_25transform_config_selectorIlLb0EEEZNS1_14transform_implILb0ES3_S5_NS0_18transform_iteratorINS0_17counting_iteratorImlEEZNS1_24adjacent_difference_implIS3_Lb1ELb0EPlSB_ZN2at6native12_GLOBAL__N_124unique_dim_cuda_templateItEESt5tupleIJNSC_6TensorESH_SH_EERKSH_lbbbEUlllE1_EE10hipError_tPvRmT2_T3_mT4_P12ihipStream_tbEUlmE_lEESB_NS0_8identityIvEEEESM_SP_SQ_mSR_ST_bEUlT_E_NS1_11comp_targetILNS1_3genE4ELNS1_11target_archE910ELNS1_3gpuE8ELNS1_3repE0EEENS1_30default_config_static_selectorELNS0_4arch9wavefront6targetE1EEEvT1_.has_recursion, 0
	.set _ZN7rocprim17ROCPRIM_400000_NS6detail17trampoline_kernelINS0_14default_configENS1_25transform_config_selectorIlLb0EEEZNS1_14transform_implILb0ES3_S5_NS0_18transform_iteratorINS0_17counting_iteratorImlEEZNS1_24adjacent_difference_implIS3_Lb1ELb0EPlSB_ZN2at6native12_GLOBAL__N_124unique_dim_cuda_templateItEESt5tupleIJNSC_6TensorESH_SH_EERKSH_lbbbEUlllE1_EE10hipError_tPvRmT2_T3_mT4_P12ihipStream_tbEUlmE_lEESB_NS0_8identityIvEEEESM_SP_SQ_mSR_ST_bEUlT_E_NS1_11comp_targetILNS1_3genE4ELNS1_11target_archE910ELNS1_3gpuE8ELNS1_3repE0EEENS1_30default_config_static_selectorELNS0_4arch9wavefront6targetE1EEEvT1_.has_indirect_call, 0
	.section	.AMDGPU.csdata,"",@progbits
; Kernel info:
; codeLenInByte = 0
; TotalNumSgprs: 6
; NumVgprs: 0
; NumAgprs: 0
; TotalNumVgprs: 0
; ScratchSize: 0
; MemoryBound: 0
; FloatMode: 240
; IeeeMode: 1
; LDSByteSize: 0 bytes/workgroup (compile time only)
; SGPRBlocks: 0
; VGPRBlocks: 0
; NumSGPRsForWavesPerEU: 6
; NumVGPRsForWavesPerEU: 1
; AccumOffset: 4
; Occupancy: 8
; WaveLimiterHint : 0
; COMPUTE_PGM_RSRC2:SCRATCH_EN: 0
; COMPUTE_PGM_RSRC2:USER_SGPR: 2
; COMPUTE_PGM_RSRC2:TRAP_HANDLER: 0
; COMPUTE_PGM_RSRC2:TGID_X_EN: 1
; COMPUTE_PGM_RSRC2:TGID_Y_EN: 0
; COMPUTE_PGM_RSRC2:TGID_Z_EN: 0
; COMPUTE_PGM_RSRC2:TIDIG_COMP_CNT: 0
; COMPUTE_PGM_RSRC3_GFX90A:ACCUM_OFFSET: 0
; COMPUTE_PGM_RSRC3_GFX90A:TG_SPLIT: 0
	.section	.text._ZN7rocprim17ROCPRIM_400000_NS6detail17trampoline_kernelINS0_14default_configENS1_25transform_config_selectorIlLb0EEEZNS1_14transform_implILb0ES3_S5_NS0_18transform_iteratorINS0_17counting_iteratorImlEEZNS1_24adjacent_difference_implIS3_Lb1ELb0EPlSB_ZN2at6native12_GLOBAL__N_124unique_dim_cuda_templateItEESt5tupleIJNSC_6TensorESH_SH_EERKSH_lbbbEUlllE1_EE10hipError_tPvRmT2_T3_mT4_P12ihipStream_tbEUlmE_lEESB_NS0_8identityIvEEEESM_SP_SQ_mSR_ST_bEUlT_E_NS1_11comp_targetILNS1_3genE3ELNS1_11target_archE908ELNS1_3gpuE7ELNS1_3repE0EEENS1_30default_config_static_selectorELNS0_4arch9wavefront6targetE1EEEvT1_,"axG",@progbits,_ZN7rocprim17ROCPRIM_400000_NS6detail17trampoline_kernelINS0_14default_configENS1_25transform_config_selectorIlLb0EEEZNS1_14transform_implILb0ES3_S5_NS0_18transform_iteratorINS0_17counting_iteratorImlEEZNS1_24adjacent_difference_implIS3_Lb1ELb0EPlSB_ZN2at6native12_GLOBAL__N_124unique_dim_cuda_templateItEESt5tupleIJNSC_6TensorESH_SH_EERKSH_lbbbEUlllE1_EE10hipError_tPvRmT2_T3_mT4_P12ihipStream_tbEUlmE_lEESB_NS0_8identityIvEEEESM_SP_SQ_mSR_ST_bEUlT_E_NS1_11comp_targetILNS1_3genE3ELNS1_11target_archE908ELNS1_3gpuE7ELNS1_3repE0EEENS1_30default_config_static_selectorELNS0_4arch9wavefront6targetE1EEEvT1_,comdat
	.globl	_ZN7rocprim17ROCPRIM_400000_NS6detail17trampoline_kernelINS0_14default_configENS1_25transform_config_selectorIlLb0EEEZNS1_14transform_implILb0ES3_S5_NS0_18transform_iteratorINS0_17counting_iteratorImlEEZNS1_24adjacent_difference_implIS3_Lb1ELb0EPlSB_ZN2at6native12_GLOBAL__N_124unique_dim_cuda_templateItEESt5tupleIJNSC_6TensorESH_SH_EERKSH_lbbbEUlllE1_EE10hipError_tPvRmT2_T3_mT4_P12ihipStream_tbEUlmE_lEESB_NS0_8identityIvEEEESM_SP_SQ_mSR_ST_bEUlT_E_NS1_11comp_targetILNS1_3genE3ELNS1_11target_archE908ELNS1_3gpuE7ELNS1_3repE0EEENS1_30default_config_static_selectorELNS0_4arch9wavefront6targetE1EEEvT1_ ; -- Begin function _ZN7rocprim17ROCPRIM_400000_NS6detail17trampoline_kernelINS0_14default_configENS1_25transform_config_selectorIlLb0EEEZNS1_14transform_implILb0ES3_S5_NS0_18transform_iteratorINS0_17counting_iteratorImlEEZNS1_24adjacent_difference_implIS3_Lb1ELb0EPlSB_ZN2at6native12_GLOBAL__N_124unique_dim_cuda_templateItEESt5tupleIJNSC_6TensorESH_SH_EERKSH_lbbbEUlllE1_EE10hipError_tPvRmT2_T3_mT4_P12ihipStream_tbEUlmE_lEESB_NS0_8identityIvEEEESM_SP_SQ_mSR_ST_bEUlT_E_NS1_11comp_targetILNS1_3genE3ELNS1_11target_archE908ELNS1_3gpuE7ELNS1_3repE0EEENS1_30default_config_static_selectorELNS0_4arch9wavefront6targetE1EEEvT1_
	.p2align	8
	.type	_ZN7rocprim17ROCPRIM_400000_NS6detail17trampoline_kernelINS0_14default_configENS1_25transform_config_selectorIlLb0EEEZNS1_14transform_implILb0ES3_S5_NS0_18transform_iteratorINS0_17counting_iteratorImlEEZNS1_24adjacent_difference_implIS3_Lb1ELb0EPlSB_ZN2at6native12_GLOBAL__N_124unique_dim_cuda_templateItEESt5tupleIJNSC_6TensorESH_SH_EERKSH_lbbbEUlllE1_EE10hipError_tPvRmT2_T3_mT4_P12ihipStream_tbEUlmE_lEESB_NS0_8identityIvEEEESM_SP_SQ_mSR_ST_bEUlT_E_NS1_11comp_targetILNS1_3genE3ELNS1_11target_archE908ELNS1_3gpuE7ELNS1_3repE0EEENS1_30default_config_static_selectorELNS0_4arch9wavefront6targetE1EEEvT1_,@function
_ZN7rocprim17ROCPRIM_400000_NS6detail17trampoline_kernelINS0_14default_configENS1_25transform_config_selectorIlLb0EEEZNS1_14transform_implILb0ES3_S5_NS0_18transform_iteratorINS0_17counting_iteratorImlEEZNS1_24adjacent_difference_implIS3_Lb1ELb0EPlSB_ZN2at6native12_GLOBAL__N_124unique_dim_cuda_templateItEESt5tupleIJNSC_6TensorESH_SH_EERKSH_lbbbEUlllE1_EE10hipError_tPvRmT2_T3_mT4_P12ihipStream_tbEUlmE_lEESB_NS0_8identityIvEEEESM_SP_SQ_mSR_ST_bEUlT_E_NS1_11comp_targetILNS1_3genE3ELNS1_11target_archE908ELNS1_3gpuE7ELNS1_3repE0EEENS1_30default_config_static_selectorELNS0_4arch9wavefront6targetE1EEEvT1_: ; @_ZN7rocprim17ROCPRIM_400000_NS6detail17trampoline_kernelINS0_14default_configENS1_25transform_config_selectorIlLb0EEEZNS1_14transform_implILb0ES3_S5_NS0_18transform_iteratorINS0_17counting_iteratorImlEEZNS1_24adjacent_difference_implIS3_Lb1ELb0EPlSB_ZN2at6native12_GLOBAL__N_124unique_dim_cuda_templateItEESt5tupleIJNSC_6TensorESH_SH_EERKSH_lbbbEUlllE1_EE10hipError_tPvRmT2_T3_mT4_P12ihipStream_tbEUlmE_lEESB_NS0_8identityIvEEEESM_SP_SQ_mSR_ST_bEUlT_E_NS1_11comp_targetILNS1_3genE3ELNS1_11target_archE908ELNS1_3gpuE7ELNS1_3repE0EEENS1_30default_config_static_selectorELNS0_4arch9wavefront6targetE1EEEvT1_
; %bb.0:
	.section	.rodata,"a",@progbits
	.p2align	6, 0x0
	.amdhsa_kernel _ZN7rocprim17ROCPRIM_400000_NS6detail17trampoline_kernelINS0_14default_configENS1_25transform_config_selectorIlLb0EEEZNS1_14transform_implILb0ES3_S5_NS0_18transform_iteratorINS0_17counting_iteratorImlEEZNS1_24adjacent_difference_implIS3_Lb1ELb0EPlSB_ZN2at6native12_GLOBAL__N_124unique_dim_cuda_templateItEESt5tupleIJNSC_6TensorESH_SH_EERKSH_lbbbEUlllE1_EE10hipError_tPvRmT2_T3_mT4_P12ihipStream_tbEUlmE_lEESB_NS0_8identityIvEEEESM_SP_SQ_mSR_ST_bEUlT_E_NS1_11comp_targetILNS1_3genE3ELNS1_11target_archE908ELNS1_3gpuE7ELNS1_3repE0EEENS1_30default_config_static_selectorELNS0_4arch9wavefront6targetE1EEEvT1_
		.amdhsa_group_segment_fixed_size 0
		.amdhsa_private_segment_fixed_size 0
		.amdhsa_kernarg_size 56
		.amdhsa_user_sgpr_count 2
		.amdhsa_user_sgpr_dispatch_ptr 0
		.amdhsa_user_sgpr_queue_ptr 0
		.amdhsa_user_sgpr_kernarg_segment_ptr 1
		.amdhsa_user_sgpr_dispatch_id 0
		.amdhsa_user_sgpr_kernarg_preload_length 0
		.amdhsa_user_sgpr_kernarg_preload_offset 0
		.amdhsa_user_sgpr_private_segment_size 0
		.amdhsa_uses_dynamic_stack 0
		.amdhsa_enable_private_segment 0
		.amdhsa_system_sgpr_workgroup_id_x 1
		.amdhsa_system_sgpr_workgroup_id_y 0
		.amdhsa_system_sgpr_workgroup_id_z 0
		.amdhsa_system_sgpr_workgroup_info 0
		.amdhsa_system_vgpr_workitem_id 0
		.amdhsa_next_free_vgpr 1
		.amdhsa_next_free_sgpr 0
		.amdhsa_accum_offset 4
		.amdhsa_reserve_vcc 0
		.amdhsa_float_round_mode_32 0
		.amdhsa_float_round_mode_16_64 0
		.amdhsa_float_denorm_mode_32 3
		.amdhsa_float_denorm_mode_16_64 3
		.amdhsa_dx10_clamp 1
		.amdhsa_ieee_mode 1
		.amdhsa_fp16_overflow 0
		.amdhsa_tg_split 0
		.amdhsa_exception_fp_ieee_invalid_op 0
		.amdhsa_exception_fp_denorm_src 0
		.amdhsa_exception_fp_ieee_div_zero 0
		.amdhsa_exception_fp_ieee_overflow 0
		.amdhsa_exception_fp_ieee_underflow 0
		.amdhsa_exception_fp_ieee_inexact 0
		.amdhsa_exception_int_div_zero 0
	.end_amdhsa_kernel
	.section	.text._ZN7rocprim17ROCPRIM_400000_NS6detail17trampoline_kernelINS0_14default_configENS1_25transform_config_selectorIlLb0EEEZNS1_14transform_implILb0ES3_S5_NS0_18transform_iteratorINS0_17counting_iteratorImlEEZNS1_24adjacent_difference_implIS3_Lb1ELb0EPlSB_ZN2at6native12_GLOBAL__N_124unique_dim_cuda_templateItEESt5tupleIJNSC_6TensorESH_SH_EERKSH_lbbbEUlllE1_EE10hipError_tPvRmT2_T3_mT4_P12ihipStream_tbEUlmE_lEESB_NS0_8identityIvEEEESM_SP_SQ_mSR_ST_bEUlT_E_NS1_11comp_targetILNS1_3genE3ELNS1_11target_archE908ELNS1_3gpuE7ELNS1_3repE0EEENS1_30default_config_static_selectorELNS0_4arch9wavefront6targetE1EEEvT1_,"axG",@progbits,_ZN7rocprim17ROCPRIM_400000_NS6detail17trampoline_kernelINS0_14default_configENS1_25transform_config_selectorIlLb0EEEZNS1_14transform_implILb0ES3_S5_NS0_18transform_iteratorINS0_17counting_iteratorImlEEZNS1_24adjacent_difference_implIS3_Lb1ELb0EPlSB_ZN2at6native12_GLOBAL__N_124unique_dim_cuda_templateItEESt5tupleIJNSC_6TensorESH_SH_EERKSH_lbbbEUlllE1_EE10hipError_tPvRmT2_T3_mT4_P12ihipStream_tbEUlmE_lEESB_NS0_8identityIvEEEESM_SP_SQ_mSR_ST_bEUlT_E_NS1_11comp_targetILNS1_3genE3ELNS1_11target_archE908ELNS1_3gpuE7ELNS1_3repE0EEENS1_30default_config_static_selectorELNS0_4arch9wavefront6targetE1EEEvT1_,comdat
.Lfunc_end1405:
	.size	_ZN7rocprim17ROCPRIM_400000_NS6detail17trampoline_kernelINS0_14default_configENS1_25transform_config_selectorIlLb0EEEZNS1_14transform_implILb0ES3_S5_NS0_18transform_iteratorINS0_17counting_iteratorImlEEZNS1_24adjacent_difference_implIS3_Lb1ELb0EPlSB_ZN2at6native12_GLOBAL__N_124unique_dim_cuda_templateItEESt5tupleIJNSC_6TensorESH_SH_EERKSH_lbbbEUlllE1_EE10hipError_tPvRmT2_T3_mT4_P12ihipStream_tbEUlmE_lEESB_NS0_8identityIvEEEESM_SP_SQ_mSR_ST_bEUlT_E_NS1_11comp_targetILNS1_3genE3ELNS1_11target_archE908ELNS1_3gpuE7ELNS1_3repE0EEENS1_30default_config_static_selectorELNS0_4arch9wavefront6targetE1EEEvT1_, .Lfunc_end1405-_ZN7rocprim17ROCPRIM_400000_NS6detail17trampoline_kernelINS0_14default_configENS1_25transform_config_selectorIlLb0EEEZNS1_14transform_implILb0ES3_S5_NS0_18transform_iteratorINS0_17counting_iteratorImlEEZNS1_24adjacent_difference_implIS3_Lb1ELb0EPlSB_ZN2at6native12_GLOBAL__N_124unique_dim_cuda_templateItEESt5tupleIJNSC_6TensorESH_SH_EERKSH_lbbbEUlllE1_EE10hipError_tPvRmT2_T3_mT4_P12ihipStream_tbEUlmE_lEESB_NS0_8identityIvEEEESM_SP_SQ_mSR_ST_bEUlT_E_NS1_11comp_targetILNS1_3genE3ELNS1_11target_archE908ELNS1_3gpuE7ELNS1_3repE0EEENS1_30default_config_static_selectorELNS0_4arch9wavefront6targetE1EEEvT1_
                                        ; -- End function
	.set _ZN7rocprim17ROCPRIM_400000_NS6detail17trampoline_kernelINS0_14default_configENS1_25transform_config_selectorIlLb0EEEZNS1_14transform_implILb0ES3_S5_NS0_18transform_iteratorINS0_17counting_iteratorImlEEZNS1_24adjacent_difference_implIS3_Lb1ELb0EPlSB_ZN2at6native12_GLOBAL__N_124unique_dim_cuda_templateItEESt5tupleIJNSC_6TensorESH_SH_EERKSH_lbbbEUlllE1_EE10hipError_tPvRmT2_T3_mT4_P12ihipStream_tbEUlmE_lEESB_NS0_8identityIvEEEESM_SP_SQ_mSR_ST_bEUlT_E_NS1_11comp_targetILNS1_3genE3ELNS1_11target_archE908ELNS1_3gpuE7ELNS1_3repE0EEENS1_30default_config_static_selectorELNS0_4arch9wavefront6targetE1EEEvT1_.num_vgpr, 0
	.set _ZN7rocprim17ROCPRIM_400000_NS6detail17trampoline_kernelINS0_14default_configENS1_25transform_config_selectorIlLb0EEEZNS1_14transform_implILb0ES3_S5_NS0_18transform_iteratorINS0_17counting_iteratorImlEEZNS1_24adjacent_difference_implIS3_Lb1ELb0EPlSB_ZN2at6native12_GLOBAL__N_124unique_dim_cuda_templateItEESt5tupleIJNSC_6TensorESH_SH_EERKSH_lbbbEUlllE1_EE10hipError_tPvRmT2_T3_mT4_P12ihipStream_tbEUlmE_lEESB_NS0_8identityIvEEEESM_SP_SQ_mSR_ST_bEUlT_E_NS1_11comp_targetILNS1_3genE3ELNS1_11target_archE908ELNS1_3gpuE7ELNS1_3repE0EEENS1_30default_config_static_selectorELNS0_4arch9wavefront6targetE1EEEvT1_.num_agpr, 0
	.set _ZN7rocprim17ROCPRIM_400000_NS6detail17trampoline_kernelINS0_14default_configENS1_25transform_config_selectorIlLb0EEEZNS1_14transform_implILb0ES3_S5_NS0_18transform_iteratorINS0_17counting_iteratorImlEEZNS1_24adjacent_difference_implIS3_Lb1ELb0EPlSB_ZN2at6native12_GLOBAL__N_124unique_dim_cuda_templateItEESt5tupleIJNSC_6TensorESH_SH_EERKSH_lbbbEUlllE1_EE10hipError_tPvRmT2_T3_mT4_P12ihipStream_tbEUlmE_lEESB_NS0_8identityIvEEEESM_SP_SQ_mSR_ST_bEUlT_E_NS1_11comp_targetILNS1_3genE3ELNS1_11target_archE908ELNS1_3gpuE7ELNS1_3repE0EEENS1_30default_config_static_selectorELNS0_4arch9wavefront6targetE1EEEvT1_.numbered_sgpr, 0
	.set _ZN7rocprim17ROCPRIM_400000_NS6detail17trampoline_kernelINS0_14default_configENS1_25transform_config_selectorIlLb0EEEZNS1_14transform_implILb0ES3_S5_NS0_18transform_iteratorINS0_17counting_iteratorImlEEZNS1_24adjacent_difference_implIS3_Lb1ELb0EPlSB_ZN2at6native12_GLOBAL__N_124unique_dim_cuda_templateItEESt5tupleIJNSC_6TensorESH_SH_EERKSH_lbbbEUlllE1_EE10hipError_tPvRmT2_T3_mT4_P12ihipStream_tbEUlmE_lEESB_NS0_8identityIvEEEESM_SP_SQ_mSR_ST_bEUlT_E_NS1_11comp_targetILNS1_3genE3ELNS1_11target_archE908ELNS1_3gpuE7ELNS1_3repE0EEENS1_30default_config_static_selectorELNS0_4arch9wavefront6targetE1EEEvT1_.num_named_barrier, 0
	.set _ZN7rocprim17ROCPRIM_400000_NS6detail17trampoline_kernelINS0_14default_configENS1_25transform_config_selectorIlLb0EEEZNS1_14transform_implILb0ES3_S5_NS0_18transform_iteratorINS0_17counting_iteratorImlEEZNS1_24adjacent_difference_implIS3_Lb1ELb0EPlSB_ZN2at6native12_GLOBAL__N_124unique_dim_cuda_templateItEESt5tupleIJNSC_6TensorESH_SH_EERKSH_lbbbEUlllE1_EE10hipError_tPvRmT2_T3_mT4_P12ihipStream_tbEUlmE_lEESB_NS0_8identityIvEEEESM_SP_SQ_mSR_ST_bEUlT_E_NS1_11comp_targetILNS1_3genE3ELNS1_11target_archE908ELNS1_3gpuE7ELNS1_3repE0EEENS1_30default_config_static_selectorELNS0_4arch9wavefront6targetE1EEEvT1_.private_seg_size, 0
	.set _ZN7rocprim17ROCPRIM_400000_NS6detail17trampoline_kernelINS0_14default_configENS1_25transform_config_selectorIlLb0EEEZNS1_14transform_implILb0ES3_S5_NS0_18transform_iteratorINS0_17counting_iteratorImlEEZNS1_24adjacent_difference_implIS3_Lb1ELb0EPlSB_ZN2at6native12_GLOBAL__N_124unique_dim_cuda_templateItEESt5tupleIJNSC_6TensorESH_SH_EERKSH_lbbbEUlllE1_EE10hipError_tPvRmT2_T3_mT4_P12ihipStream_tbEUlmE_lEESB_NS0_8identityIvEEEESM_SP_SQ_mSR_ST_bEUlT_E_NS1_11comp_targetILNS1_3genE3ELNS1_11target_archE908ELNS1_3gpuE7ELNS1_3repE0EEENS1_30default_config_static_selectorELNS0_4arch9wavefront6targetE1EEEvT1_.uses_vcc, 0
	.set _ZN7rocprim17ROCPRIM_400000_NS6detail17trampoline_kernelINS0_14default_configENS1_25transform_config_selectorIlLb0EEEZNS1_14transform_implILb0ES3_S5_NS0_18transform_iteratorINS0_17counting_iteratorImlEEZNS1_24adjacent_difference_implIS3_Lb1ELb0EPlSB_ZN2at6native12_GLOBAL__N_124unique_dim_cuda_templateItEESt5tupleIJNSC_6TensorESH_SH_EERKSH_lbbbEUlllE1_EE10hipError_tPvRmT2_T3_mT4_P12ihipStream_tbEUlmE_lEESB_NS0_8identityIvEEEESM_SP_SQ_mSR_ST_bEUlT_E_NS1_11comp_targetILNS1_3genE3ELNS1_11target_archE908ELNS1_3gpuE7ELNS1_3repE0EEENS1_30default_config_static_selectorELNS0_4arch9wavefront6targetE1EEEvT1_.uses_flat_scratch, 0
	.set _ZN7rocprim17ROCPRIM_400000_NS6detail17trampoline_kernelINS0_14default_configENS1_25transform_config_selectorIlLb0EEEZNS1_14transform_implILb0ES3_S5_NS0_18transform_iteratorINS0_17counting_iteratorImlEEZNS1_24adjacent_difference_implIS3_Lb1ELb0EPlSB_ZN2at6native12_GLOBAL__N_124unique_dim_cuda_templateItEESt5tupleIJNSC_6TensorESH_SH_EERKSH_lbbbEUlllE1_EE10hipError_tPvRmT2_T3_mT4_P12ihipStream_tbEUlmE_lEESB_NS0_8identityIvEEEESM_SP_SQ_mSR_ST_bEUlT_E_NS1_11comp_targetILNS1_3genE3ELNS1_11target_archE908ELNS1_3gpuE7ELNS1_3repE0EEENS1_30default_config_static_selectorELNS0_4arch9wavefront6targetE1EEEvT1_.has_dyn_sized_stack, 0
	.set _ZN7rocprim17ROCPRIM_400000_NS6detail17trampoline_kernelINS0_14default_configENS1_25transform_config_selectorIlLb0EEEZNS1_14transform_implILb0ES3_S5_NS0_18transform_iteratorINS0_17counting_iteratorImlEEZNS1_24adjacent_difference_implIS3_Lb1ELb0EPlSB_ZN2at6native12_GLOBAL__N_124unique_dim_cuda_templateItEESt5tupleIJNSC_6TensorESH_SH_EERKSH_lbbbEUlllE1_EE10hipError_tPvRmT2_T3_mT4_P12ihipStream_tbEUlmE_lEESB_NS0_8identityIvEEEESM_SP_SQ_mSR_ST_bEUlT_E_NS1_11comp_targetILNS1_3genE3ELNS1_11target_archE908ELNS1_3gpuE7ELNS1_3repE0EEENS1_30default_config_static_selectorELNS0_4arch9wavefront6targetE1EEEvT1_.has_recursion, 0
	.set _ZN7rocprim17ROCPRIM_400000_NS6detail17trampoline_kernelINS0_14default_configENS1_25transform_config_selectorIlLb0EEEZNS1_14transform_implILb0ES3_S5_NS0_18transform_iteratorINS0_17counting_iteratorImlEEZNS1_24adjacent_difference_implIS3_Lb1ELb0EPlSB_ZN2at6native12_GLOBAL__N_124unique_dim_cuda_templateItEESt5tupleIJNSC_6TensorESH_SH_EERKSH_lbbbEUlllE1_EE10hipError_tPvRmT2_T3_mT4_P12ihipStream_tbEUlmE_lEESB_NS0_8identityIvEEEESM_SP_SQ_mSR_ST_bEUlT_E_NS1_11comp_targetILNS1_3genE3ELNS1_11target_archE908ELNS1_3gpuE7ELNS1_3repE0EEENS1_30default_config_static_selectorELNS0_4arch9wavefront6targetE1EEEvT1_.has_indirect_call, 0
	.section	.AMDGPU.csdata,"",@progbits
; Kernel info:
; codeLenInByte = 0
; TotalNumSgprs: 6
; NumVgprs: 0
; NumAgprs: 0
; TotalNumVgprs: 0
; ScratchSize: 0
; MemoryBound: 0
; FloatMode: 240
; IeeeMode: 1
; LDSByteSize: 0 bytes/workgroup (compile time only)
; SGPRBlocks: 0
; VGPRBlocks: 0
; NumSGPRsForWavesPerEU: 6
; NumVGPRsForWavesPerEU: 1
; AccumOffset: 4
; Occupancy: 8
; WaveLimiterHint : 0
; COMPUTE_PGM_RSRC2:SCRATCH_EN: 0
; COMPUTE_PGM_RSRC2:USER_SGPR: 2
; COMPUTE_PGM_RSRC2:TRAP_HANDLER: 0
; COMPUTE_PGM_RSRC2:TGID_X_EN: 1
; COMPUTE_PGM_RSRC2:TGID_Y_EN: 0
; COMPUTE_PGM_RSRC2:TGID_Z_EN: 0
; COMPUTE_PGM_RSRC2:TIDIG_COMP_CNT: 0
; COMPUTE_PGM_RSRC3_GFX90A:ACCUM_OFFSET: 0
; COMPUTE_PGM_RSRC3_GFX90A:TG_SPLIT: 0
	.section	.text._ZN7rocprim17ROCPRIM_400000_NS6detail17trampoline_kernelINS0_14default_configENS1_25transform_config_selectorIlLb0EEEZNS1_14transform_implILb0ES3_S5_NS0_18transform_iteratorINS0_17counting_iteratorImlEEZNS1_24adjacent_difference_implIS3_Lb1ELb0EPlSB_ZN2at6native12_GLOBAL__N_124unique_dim_cuda_templateItEESt5tupleIJNSC_6TensorESH_SH_EERKSH_lbbbEUlllE1_EE10hipError_tPvRmT2_T3_mT4_P12ihipStream_tbEUlmE_lEESB_NS0_8identityIvEEEESM_SP_SQ_mSR_ST_bEUlT_E_NS1_11comp_targetILNS1_3genE2ELNS1_11target_archE906ELNS1_3gpuE6ELNS1_3repE0EEENS1_30default_config_static_selectorELNS0_4arch9wavefront6targetE1EEEvT1_,"axG",@progbits,_ZN7rocprim17ROCPRIM_400000_NS6detail17trampoline_kernelINS0_14default_configENS1_25transform_config_selectorIlLb0EEEZNS1_14transform_implILb0ES3_S5_NS0_18transform_iteratorINS0_17counting_iteratorImlEEZNS1_24adjacent_difference_implIS3_Lb1ELb0EPlSB_ZN2at6native12_GLOBAL__N_124unique_dim_cuda_templateItEESt5tupleIJNSC_6TensorESH_SH_EERKSH_lbbbEUlllE1_EE10hipError_tPvRmT2_T3_mT4_P12ihipStream_tbEUlmE_lEESB_NS0_8identityIvEEEESM_SP_SQ_mSR_ST_bEUlT_E_NS1_11comp_targetILNS1_3genE2ELNS1_11target_archE906ELNS1_3gpuE6ELNS1_3repE0EEENS1_30default_config_static_selectorELNS0_4arch9wavefront6targetE1EEEvT1_,comdat
	.globl	_ZN7rocprim17ROCPRIM_400000_NS6detail17trampoline_kernelINS0_14default_configENS1_25transform_config_selectorIlLb0EEEZNS1_14transform_implILb0ES3_S5_NS0_18transform_iteratorINS0_17counting_iteratorImlEEZNS1_24adjacent_difference_implIS3_Lb1ELb0EPlSB_ZN2at6native12_GLOBAL__N_124unique_dim_cuda_templateItEESt5tupleIJNSC_6TensorESH_SH_EERKSH_lbbbEUlllE1_EE10hipError_tPvRmT2_T3_mT4_P12ihipStream_tbEUlmE_lEESB_NS0_8identityIvEEEESM_SP_SQ_mSR_ST_bEUlT_E_NS1_11comp_targetILNS1_3genE2ELNS1_11target_archE906ELNS1_3gpuE6ELNS1_3repE0EEENS1_30default_config_static_selectorELNS0_4arch9wavefront6targetE1EEEvT1_ ; -- Begin function _ZN7rocprim17ROCPRIM_400000_NS6detail17trampoline_kernelINS0_14default_configENS1_25transform_config_selectorIlLb0EEEZNS1_14transform_implILb0ES3_S5_NS0_18transform_iteratorINS0_17counting_iteratorImlEEZNS1_24adjacent_difference_implIS3_Lb1ELb0EPlSB_ZN2at6native12_GLOBAL__N_124unique_dim_cuda_templateItEESt5tupleIJNSC_6TensorESH_SH_EERKSH_lbbbEUlllE1_EE10hipError_tPvRmT2_T3_mT4_P12ihipStream_tbEUlmE_lEESB_NS0_8identityIvEEEESM_SP_SQ_mSR_ST_bEUlT_E_NS1_11comp_targetILNS1_3genE2ELNS1_11target_archE906ELNS1_3gpuE6ELNS1_3repE0EEENS1_30default_config_static_selectorELNS0_4arch9wavefront6targetE1EEEvT1_
	.p2align	8
	.type	_ZN7rocprim17ROCPRIM_400000_NS6detail17trampoline_kernelINS0_14default_configENS1_25transform_config_selectorIlLb0EEEZNS1_14transform_implILb0ES3_S5_NS0_18transform_iteratorINS0_17counting_iteratorImlEEZNS1_24adjacent_difference_implIS3_Lb1ELb0EPlSB_ZN2at6native12_GLOBAL__N_124unique_dim_cuda_templateItEESt5tupleIJNSC_6TensorESH_SH_EERKSH_lbbbEUlllE1_EE10hipError_tPvRmT2_T3_mT4_P12ihipStream_tbEUlmE_lEESB_NS0_8identityIvEEEESM_SP_SQ_mSR_ST_bEUlT_E_NS1_11comp_targetILNS1_3genE2ELNS1_11target_archE906ELNS1_3gpuE6ELNS1_3repE0EEENS1_30default_config_static_selectorELNS0_4arch9wavefront6targetE1EEEvT1_,@function
_ZN7rocprim17ROCPRIM_400000_NS6detail17trampoline_kernelINS0_14default_configENS1_25transform_config_selectorIlLb0EEEZNS1_14transform_implILb0ES3_S5_NS0_18transform_iteratorINS0_17counting_iteratorImlEEZNS1_24adjacent_difference_implIS3_Lb1ELb0EPlSB_ZN2at6native12_GLOBAL__N_124unique_dim_cuda_templateItEESt5tupleIJNSC_6TensorESH_SH_EERKSH_lbbbEUlllE1_EE10hipError_tPvRmT2_T3_mT4_P12ihipStream_tbEUlmE_lEESB_NS0_8identityIvEEEESM_SP_SQ_mSR_ST_bEUlT_E_NS1_11comp_targetILNS1_3genE2ELNS1_11target_archE906ELNS1_3gpuE6ELNS1_3repE0EEENS1_30default_config_static_selectorELNS0_4arch9wavefront6targetE1EEEvT1_: ; @_ZN7rocprim17ROCPRIM_400000_NS6detail17trampoline_kernelINS0_14default_configENS1_25transform_config_selectorIlLb0EEEZNS1_14transform_implILb0ES3_S5_NS0_18transform_iteratorINS0_17counting_iteratorImlEEZNS1_24adjacent_difference_implIS3_Lb1ELb0EPlSB_ZN2at6native12_GLOBAL__N_124unique_dim_cuda_templateItEESt5tupleIJNSC_6TensorESH_SH_EERKSH_lbbbEUlllE1_EE10hipError_tPvRmT2_T3_mT4_P12ihipStream_tbEUlmE_lEESB_NS0_8identityIvEEEESM_SP_SQ_mSR_ST_bEUlT_E_NS1_11comp_targetILNS1_3genE2ELNS1_11target_archE906ELNS1_3gpuE6ELNS1_3repE0EEENS1_30default_config_static_selectorELNS0_4arch9wavefront6targetE1EEEvT1_
; %bb.0:
	.section	.rodata,"a",@progbits
	.p2align	6, 0x0
	.amdhsa_kernel _ZN7rocprim17ROCPRIM_400000_NS6detail17trampoline_kernelINS0_14default_configENS1_25transform_config_selectorIlLb0EEEZNS1_14transform_implILb0ES3_S5_NS0_18transform_iteratorINS0_17counting_iteratorImlEEZNS1_24adjacent_difference_implIS3_Lb1ELb0EPlSB_ZN2at6native12_GLOBAL__N_124unique_dim_cuda_templateItEESt5tupleIJNSC_6TensorESH_SH_EERKSH_lbbbEUlllE1_EE10hipError_tPvRmT2_T3_mT4_P12ihipStream_tbEUlmE_lEESB_NS0_8identityIvEEEESM_SP_SQ_mSR_ST_bEUlT_E_NS1_11comp_targetILNS1_3genE2ELNS1_11target_archE906ELNS1_3gpuE6ELNS1_3repE0EEENS1_30default_config_static_selectorELNS0_4arch9wavefront6targetE1EEEvT1_
		.amdhsa_group_segment_fixed_size 0
		.amdhsa_private_segment_fixed_size 0
		.amdhsa_kernarg_size 56
		.amdhsa_user_sgpr_count 2
		.amdhsa_user_sgpr_dispatch_ptr 0
		.amdhsa_user_sgpr_queue_ptr 0
		.amdhsa_user_sgpr_kernarg_segment_ptr 1
		.amdhsa_user_sgpr_dispatch_id 0
		.amdhsa_user_sgpr_kernarg_preload_length 0
		.amdhsa_user_sgpr_kernarg_preload_offset 0
		.amdhsa_user_sgpr_private_segment_size 0
		.amdhsa_uses_dynamic_stack 0
		.amdhsa_enable_private_segment 0
		.amdhsa_system_sgpr_workgroup_id_x 1
		.amdhsa_system_sgpr_workgroup_id_y 0
		.amdhsa_system_sgpr_workgroup_id_z 0
		.amdhsa_system_sgpr_workgroup_info 0
		.amdhsa_system_vgpr_workitem_id 0
		.amdhsa_next_free_vgpr 1
		.amdhsa_next_free_sgpr 0
		.amdhsa_accum_offset 4
		.amdhsa_reserve_vcc 0
		.amdhsa_float_round_mode_32 0
		.amdhsa_float_round_mode_16_64 0
		.amdhsa_float_denorm_mode_32 3
		.amdhsa_float_denorm_mode_16_64 3
		.amdhsa_dx10_clamp 1
		.amdhsa_ieee_mode 1
		.amdhsa_fp16_overflow 0
		.amdhsa_tg_split 0
		.amdhsa_exception_fp_ieee_invalid_op 0
		.amdhsa_exception_fp_denorm_src 0
		.amdhsa_exception_fp_ieee_div_zero 0
		.amdhsa_exception_fp_ieee_overflow 0
		.amdhsa_exception_fp_ieee_underflow 0
		.amdhsa_exception_fp_ieee_inexact 0
		.amdhsa_exception_int_div_zero 0
	.end_amdhsa_kernel
	.section	.text._ZN7rocprim17ROCPRIM_400000_NS6detail17trampoline_kernelINS0_14default_configENS1_25transform_config_selectorIlLb0EEEZNS1_14transform_implILb0ES3_S5_NS0_18transform_iteratorINS0_17counting_iteratorImlEEZNS1_24adjacent_difference_implIS3_Lb1ELb0EPlSB_ZN2at6native12_GLOBAL__N_124unique_dim_cuda_templateItEESt5tupleIJNSC_6TensorESH_SH_EERKSH_lbbbEUlllE1_EE10hipError_tPvRmT2_T3_mT4_P12ihipStream_tbEUlmE_lEESB_NS0_8identityIvEEEESM_SP_SQ_mSR_ST_bEUlT_E_NS1_11comp_targetILNS1_3genE2ELNS1_11target_archE906ELNS1_3gpuE6ELNS1_3repE0EEENS1_30default_config_static_selectorELNS0_4arch9wavefront6targetE1EEEvT1_,"axG",@progbits,_ZN7rocprim17ROCPRIM_400000_NS6detail17trampoline_kernelINS0_14default_configENS1_25transform_config_selectorIlLb0EEEZNS1_14transform_implILb0ES3_S5_NS0_18transform_iteratorINS0_17counting_iteratorImlEEZNS1_24adjacent_difference_implIS3_Lb1ELb0EPlSB_ZN2at6native12_GLOBAL__N_124unique_dim_cuda_templateItEESt5tupleIJNSC_6TensorESH_SH_EERKSH_lbbbEUlllE1_EE10hipError_tPvRmT2_T3_mT4_P12ihipStream_tbEUlmE_lEESB_NS0_8identityIvEEEESM_SP_SQ_mSR_ST_bEUlT_E_NS1_11comp_targetILNS1_3genE2ELNS1_11target_archE906ELNS1_3gpuE6ELNS1_3repE0EEENS1_30default_config_static_selectorELNS0_4arch9wavefront6targetE1EEEvT1_,comdat
.Lfunc_end1406:
	.size	_ZN7rocprim17ROCPRIM_400000_NS6detail17trampoline_kernelINS0_14default_configENS1_25transform_config_selectorIlLb0EEEZNS1_14transform_implILb0ES3_S5_NS0_18transform_iteratorINS0_17counting_iteratorImlEEZNS1_24adjacent_difference_implIS3_Lb1ELb0EPlSB_ZN2at6native12_GLOBAL__N_124unique_dim_cuda_templateItEESt5tupleIJNSC_6TensorESH_SH_EERKSH_lbbbEUlllE1_EE10hipError_tPvRmT2_T3_mT4_P12ihipStream_tbEUlmE_lEESB_NS0_8identityIvEEEESM_SP_SQ_mSR_ST_bEUlT_E_NS1_11comp_targetILNS1_3genE2ELNS1_11target_archE906ELNS1_3gpuE6ELNS1_3repE0EEENS1_30default_config_static_selectorELNS0_4arch9wavefront6targetE1EEEvT1_, .Lfunc_end1406-_ZN7rocprim17ROCPRIM_400000_NS6detail17trampoline_kernelINS0_14default_configENS1_25transform_config_selectorIlLb0EEEZNS1_14transform_implILb0ES3_S5_NS0_18transform_iteratorINS0_17counting_iteratorImlEEZNS1_24adjacent_difference_implIS3_Lb1ELb0EPlSB_ZN2at6native12_GLOBAL__N_124unique_dim_cuda_templateItEESt5tupleIJNSC_6TensorESH_SH_EERKSH_lbbbEUlllE1_EE10hipError_tPvRmT2_T3_mT4_P12ihipStream_tbEUlmE_lEESB_NS0_8identityIvEEEESM_SP_SQ_mSR_ST_bEUlT_E_NS1_11comp_targetILNS1_3genE2ELNS1_11target_archE906ELNS1_3gpuE6ELNS1_3repE0EEENS1_30default_config_static_selectorELNS0_4arch9wavefront6targetE1EEEvT1_
                                        ; -- End function
	.set _ZN7rocprim17ROCPRIM_400000_NS6detail17trampoline_kernelINS0_14default_configENS1_25transform_config_selectorIlLb0EEEZNS1_14transform_implILb0ES3_S5_NS0_18transform_iteratorINS0_17counting_iteratorImlEEZNS1_24adjacent_difference_implIS3_Lb1ELb0EPlSB_ZN2at6native12_GLOBAL__N_124unique_dim_cuda_templateItEESt5tupleIJNSC_6TensorESH_SH_EERKSH_lbbbEUlllE1_EE10hipError_tPvRmT2_T3_mT4_P12ihipStream_tbEUlmE_lEESB_NS0_8identityIvEEEESM_SP_SQ_mSR_ST_bEUlT_E_NS1_11comp_targetILNS1_3genE2ELNS1_11target_archE906ELNS1_3gpuE6ELNS1_3repE0EEENS1_30default_config_static_selectorELNS0_4arch9wavefront6targetE1EEEvT1_.num_vgpr, 0
	.set _ZN7rocprim17ROCPRIM_400000_NS6detail17trampoline_kernelINS0_14default_configENS1_25transform_config_selectorIlLb0EEEZNS1_14transform_implILb0ES3_S5_NS0_18transform_iteratorINS0_17counting_iteratorImlEEZNS1_24adjacent_difference_implIS3_Lb1ELb0EPlSB_ZN2at6native12_GLOBAL__N_124unique_dim_cuda_templateItEESt5tupleIJNSC_6TensorESH_SH_EERKSH_lbbbEUlllE1_EE10hipError_tPvRmT2_T3_mT4_P12ihipStream_tbEUlmE_lEESB_NS0_8identityIvEEEESM_SP_SQ_mSR_ST_bEUlT_E_NS1_11comp_targetILNS1_3genE2ELNS1_11target_archE906ELNS1_3gpuE6ELNS1_3repE0EEENS1_30default_config_static_selectorELNS0_4arch9wavefront6targetE1EEEvT1_.num_agpr, 0
	.set _ZN7rocprim17ROCPRIM_400000_NS6detail17trampoline_kernelINS0_14default_configENS1_25transform_config_selectorIlLb0EEEZNS1_14transform_implILb0ES3_S5_NS0_18transform_iteratorINS0_17counting_iteratorImlEEZNS1_24adjacent_difference_implIS3_Lb1ELb0EPlSB_ZN2at6native12_GLOBAL__N_124unique_dim_cuda_templateItEESt5tupleIJNSC_6TensorESH_SH_EERKSH_lbbbEUlllE1_EE10hipError_tPvRmT2_T3_mT4_P12ihipStream_tbEUlmE_lEESB_NS0_8identityIvEEEESM_SP_SQ_mSR_ST_bEUlT_E_NS1_11comp_targetILNS1_3genE2ELNS1_11target_archE906ELNS1_3gpuE6ELNS1_3repE0EEENS1_30default_config_static_selectorELNS0_4arch9wavefront6targetE1EEEvT1_.numbered_sgpr, 0
	.set _ZN7rocprim17ROCPRIM_400000_NS6detail17trampoline_kernelINS0_14default_configENS1_25transform_config_selectorIlLb0EEEZNS1_14transform_implILb0ES3_S5_NS0_18transform_iteratorINS0_17counting_iteratorImlEEZNS1_24adjacent_difference_implIS3_Lb1ELb0EPlSB_ZN2at6native12_GLOBAL__N_124unique_dim_cuda_templateItEESt5tupleIJNSC_6TensorESH_SH_EERKSH_lbbbEUlllE1_EE10hipError_tPvRmT2_T3_mT4_P12ihipStream_tbEUlmE_lEESB_NS0_8identityIvEEEESM_SP_SQ_mSR_ST_bEUlT_E_NS1_11comp_targetILNS1_3genE2ELNS1_11target_archE906ELNS1_3gpuE6ELNS1_3repE0EEENS1_30default_config_static_selectorELNS0_4arch9wavefront6targetE1EEEvT1_.num_named_barrier, 0
	.set _ZN7rocprim17ROCPRIM_400000_NS6detail17trampoline_kernelINS0_14default_configENS1_25transform_config_selectorIlLb0EEEZNS1_14transform_implILb0ES3_S5_NS0_18transform_iteratorINS0_17counting_iteratorImlEEZNS1_24adjacent_difference_implIS3_Lb1ELb0EPlSB_ZN2at6native12_GLOBAL__N_124unique_dim_cuda_templateItEESt5tupleIJNSC_6TensorESH_SH_EERKSH_lbbbEUlllE1_EE10hipError_tPvRmT2_T3_mT4_P12ihipStream_tbEUlmE_lEESB_NS0_8identityIvEEEESM_SP_SQ_mSR_ST_bEUlT_E_NS1_11comp_targetILNS1_3genE2ELNS1_11target_archE906ELNS1_3gpuE6ELNS1_3repE0EEENS1_30default_config_static_selectorELNS0_4arch9wavefront6targetE1EEEvT1_.private_seg_size, 0
	.set _ZN7rocprim17ROCPRIM_400000_NS6detail17trampoline_kernelINS0_14default_configENS1_25transform_config_selectorIlLb0EEEZNS1_14transform_implILb0ES3_S5_NS0_18transform_iteratorINS0_17counting_iteratorImlEEZNS1_24adjacent_difference_implIS3_Lb1ELb0EPlSB_ZN2at6native12_GLOBAL__N_124unique_dim_cuda_templateItEESt5tupleIJNSC_6TensorESH_SH_EERKSH_lbbbEUlllE1_EE10hipError_tPvRmT2_T3_mT4_P12ihipStream_tbEUlmE_lEESB_NS0_8identityIvEEEESM_SP_SQ_mSR_ST_bEUlT_E_NS1_11comp_targetILNS1_3genE2ELNS1_11target_archE906ELNS1_3gpuE6ELNS1_3repE0EEENS1_30default_config_static_selectorELNS0_4arch9wavefront6targetE1EEEvT1_.uses_vcc, 0
	.set _ZN7rocprim17ROCPRIM_400000_NS6detail17trampoline_kernelINS0_14default_configENS1_25transform_config_selectorIlLb0EEEZNS1_14transform_implILb0ES3_S5_NS0_18transform_iteratorINS0_17counting_iteratorImlEEZNS1_24adjacent_difference_implIS3_Lb1ELb0EPlSB_ZN2at6native12_GLOBAL__N_124unique_dim_cuda_templateItEESt5tupleIJNSC_6TensorESH_SH_EERKSH_lbbbEUlllE1_EE10hipError_tPvRmT2_T3_mT4_P12ihipStream_tbEUlmE_lEESB_NS0_8identityIvEEEESM_SP_SQ_mSR_ST_bEUlT_E_NS1_11comp_targetILNS1_3genE2ELNS1_11target_archE906ELNS1_3gpuE6ELNS1_3repE0EEENS1_30default_config_static_selectorELNS0_4arch9wavefront6targetE1EEEvT1_.uses_flat_scratch, 0
	.set _ZN7rocprim17ROCPRIM_400000_NS6detail17trampoline_kernelINS0_14default_configENS1_25transform_config_selectorIlLb0EEEZNS1_14transform_implILb0ES3_S5_NS0_18transform_iteratorINS0_17counting_iteratorImlEEZNS1_24adjacent_difference_implIS3_Lb1ELb0EPlSB_ZN2at6native12_GLOBAL__N_124unique_dim_cuda_templateItEESt5tupleIJNSC_6TensorESH_SH_EERKSH_lbbbEUlllE1_EE10hipError_tPvRmT2_T3_mT4_P12ihipStream_tbEUlmE_lEESB_NS0_8identityIvEEEESM_SP_SQ_mSR_ST_bEUlT_E_NS1_11comp_targetILNS1_3genE2ELNS1_11target_archE906ELNS1_3gpuE6ELNS1_3repE0EEENS1_30default_config_static_selectorELNS0_4arch9wavefront6targetE1EEEvT1_.has_dyn_sized_stack, 0
	.set _ZN7rocprim17ROCPRIM_400000_NS6detail17trampoline_kernelINS0_14default_configENS1_25transform_config_selectorIlLb0EEEZNS1_14transform_implILb0ES3_S5_NS0_18transform_iteratorINS0_17counting_iteratorImlEEZNS1_24adjacent_difference_implIS3_Lb1ELb0EPlSB_ZN2at6native12_GLOBAL__N_124unique_dim_cuda_templateItEESt5tupleIJNSC_6TensorESH_SH_EERKSH_lbbbEUlllE1_EE10hipError_tPvRmT2_T3_mT4_P12ihipStream_tbEUlmE_lEESB_NS0_8identityIvEEEESM_SP_SQ_mSR_ST_bEUlT_E_NS1_11comp_targetILNS1_3genE2ELNS1_11target_archE906ELNS1_3gpuE6ELNS1_3repE0EEENS1_30default_config_static_selectorELNS0_4arch9wavefront6targetE1EEEvT1_.has_recursion, 0
	.set _ZN7rocprim17ROCPRIM_400000_NS6detail17trampoline_kernelINS0_14default_configENS1_25transform_config_selectorIlLb0EEEZNS1_14transform_implILb0ES3_S5_NS0_18transform_iteratorINS0_17counting_iteratorImlEEZNS1_24adjacent_difference_implIS3_Lb1ELb0EPlSB_ZN2at6native12_GLOBAL__N_124unique_dim_cuda_templateItEESt5tupleIJNSC_6TensorESH_SH_EERKSH_lbbbEUlllE1_EE10hipError_tPvRmT2_T3_mT4_P12ihipStream_tbEUlmE_lEESB_NS0_8identityIvEEEESM_SP_SQ_mSR_ST_bEUlT_E_NS1_11comp_targetILNS1_3genE2ELNS1_11target_archE906ELNS1_3gpuE6ELNS1_3repE0EEENS1_30default_config_static_selectorELNS0_4arch9wavefront6targetE1EEEvT1_.has_indirect_call, 0
	.section	.AMDGPU.csdata,"",@progbits
; Kernel info:
; codeLenInByte = 0
; TotalNumSgprs: 6
; NumVgprs: 0
; NumAgprs: 0
; TotalNumVgprs: 0
; ScratchSize: 0
; MemoryBound: 0
; FloatMode: 240
; IeeeMode: 1
; LDSByteSize: 0 bytes/workgroup (compile time only)
; SGPRBlocks: 0
; VGPRBlocks: 0
; NumSGPRsForWavesPerEU: 6
; NumVGPRsForWavesPerEU: 1
; AccumOffset: 4
; Occupancy: 8
; WaveLimiterHint : 0
; COMPUTE_PGM_RSRC2:SCRATCH_EN: 0
; COMPUTE_PGM_RSRC2:USER_SGPR: 2
; COMPUTE_PGM_RSRC2:TRAP_HANDLER: 0
; COMPUTE_PGM_RSRC2:TGID_X_EN: 1
; COMPUTE_PGM_RSRC2:TGID_Y_EN: 0
; COMPUTE_PGM_RSRC2:TGID_Z_EN: 0
; COMPUTE_PGM_RSRC2:TIDIG_COMP_CNT: 0
; COMPUTE_PGM_RSRC3_GFX90A:ACCUM_OFFSET: 0
; COMPUTE_PGM_RSRC3_GFX90A:TG_SPLIT: 0
	.section	.text._ZN7rocprim17ROCPRIM_400000_NS6detail17trampoline_kernelINS0_14default_configENS1_25transform_config_selectorIlLb0EEEZNS1_14transform_implILb0ES3_S5_NS0_18transform_iteratorINS0_17counting_iteratorImlEEZNS1_24adjacent_difference_implIS3_Lb1ELb0EPlSB_ZN2at6native12_GLOBAL__N_124unique_dim_cuda_templateItEESt5tupleIJNSC_6TensorESH_SH_EERKSH_lbbbEUlllE1_EE10hipError_tPvRmT2_T3_mT4_P12ihipStream_tbEUlmE_lEESB_NS0_8identityIvEEEESM_SP_SQ_mSR_ST_bEUlT_E_NS1_11comp_targetILNS1_3genE10ELNS1_11target_archE1201ELNS1_3gpuE5ELNS1_3repE0EEENS1_30default_config_static_selectorELNS0_4arch9wavefront6targetE1EEEvT1_,"axG",@progbits,_ZN7rocprim17ROCPRIM_400000_NS6detail17trampoline_kernelINS0_14default_configENS1_25transform_config_selectorIlLb0EEEZNS1_14transform_implILb0ES3_S5_NS0_18transform_iteratorINS0_17counting_iteratorImlEEZNS1_24adjacent_difference_implIS3_Lb1ELb0EPlSB_ZN2at6native12_GLOBAL__N_124unique_dim_cuda_templateItEESt5tupleIJNSC_6TensorESH_SH_EERKSH_lbbbEUlllE1_EE10hipError_tPvRmT2_T3_mT4_P12ihipStream_tbEUlmE_lEESB_NS0_8identityIvEEEESM_SP_SQ_mSR_ST_bEUlT_E_NS1_11comp_targetILNS1_3genE10ELNS1_11target_archE1201ELNS1_3gpuE5ELNS1_3repE0EEENS1_30default_config_static_selectorELNS0_4arch9wavefront6targetE1EEEvT1_,comdat
	.globl	_ZN7rocprim17ROCPRIM_400000_NS6detail17trampoline_kernelINS0_14default_configENS1_25transform_config_selectorIlLb0EEEZNS1_14transform_implILb0ES3_S5_NS0_18transform_iteratorINS0_17counting_iteratorImlEEZNS1_24adjacent_difference_implIS3_Lb1ELb0EPlSB_ZN2at6native12_GLOBAL__N_124unique_dim_cuda_templateItEESt5tupleIJNSC_6TensorESH_SH_EERKSH_lbbbEUlllE1_EE10hipError_tPvRmT2_T3_mT4_P12ihipStream_tbEUlmE_lEESB_NS0_8identityIvEEEESM_SP_SQ_mSR_ST_bEUlT_E_NS1_11comp_targetILNS1_3genE10ELNS1_11target_archE1201ELNS1_3gpuE5ELNS1_3repE0EEENS1_30default_config_static_selectorELNS0_4arch9wavefront6targetE1EEEvT1_ ; -- Begin function _ZN7rocprim17ROCPRIM_400000_NS6detail17trampoline_kernelINS0_14default_configENS1_25transform_config_selectorIlLb0EEEZNS1_14transform_implILb0ES3_S5_NS0_18transform_iteratorINS0_17counting_iteratorImlEEZNS1_24adjacent_difference_implIS3_Lb1ELb0EPlSB_ZN2at6native12_GLOBAL__N_124unique_dim_cuda_templateItEESt5tupleIJNSC_6TensorESH_SH_EERKSH_lbbbEUlllE1_EE10hipError_tPvRmT2_T3_mT4_P12ihipStream_tbEUlmE_lEESB_NS0_8identityIvEEEESM_SP_SQ_mSR_ST_bEUlT_E_NS1_11comp_targetILNS1_3genE10ELNS1_11target_archE1201ELNS1_3gpuE5ELNS1_3repE0EEENS1_30default_config_static_selectorELNS0_4arch9wavefront6targetE1EEEvT1_
	.p2align	8
	.type	_ZN7rocprim17ROCPRIM_400000_NS6detail17trampoline_kernelINS0_14default_configENS1_25transform_config_selectorIlLb0EEEZNS1_14transform_implILb0ES3_S5_NS0_18transform_iteratorINS0_17counting_iteratorImlEEZNS1_24adjacent_difference_implIS3_Lb1ELb0EPlSB_ZN2at6native12_GLOBAL__N_124unique_dim_cuda_templateItEESt5tupleIJNSC_6TensorESH_SH_EERKSH_lbbbEUlllE1_EE10hipError_tPvRmT2_T3_mT4_P12ihipStream_tbEUlmE_lEESB_NS0_8identityIvEEEESM_SP_SQ_mSR_ST_bEUlT_E_NS1_11comp_targetILNS1_3genE10ELNS1_11target_archE1201ELNS1_3gpuE5ELNS1_3repE0EEENS1_30default_config_static_selectorELNS0_4arch9wavefront6targetE1EEEvT1_,@function
_ZN7rocprim17ROCPRIM_400000_NS6detail17trampoline_kernelINS0_14default_configENS1_25transform_config_selectorIlLb0EEEZNS1_14transform_implILb0ES3_S5_NS0_18transform_iteratorINS0_17counting_iteratorImlEEZNS1_24adjacent_difference_implIS3_Lb1ELb0EPlSB_ZN2at6native12_GLOBAL__N_124unique_dim_cuda_templateItEESt5tupleIJNSC_6TensorESH_SH_EERKSH_lbbbEUlllE1_EE10hipError_tPvRmT2_T3_mT4_P12ihipStream_tbEUlmE_lEESB_NS0_8identityIvEEEESM_SP_SQ_mSR_ST_bEUlT_E_NS1_11comp_targetILNS1_3genE10ELNS1_11target_archE1201ELNS1_3gpuE5ELNS1_3repE0EEENS1_30default_config_static_selectorELNS0_4arch9wavefront6targetE1EEEvT1_: ; @_ZN7rocprim17ROCPRIM_400000_NS6detail17trampoline_kernelINS0_14default_configENS1_25transform_config_selectorIlLb0EEEZNS1_14transform_implILb0ES3_S5_NS0_18transform_iteratorINS0_17counting_iteratorImlEEZNS1_24adjacent_difference_implIS3_Lb1ELb0EPlSB_ZN2at6native12_GLOBAL__N_124unique_dim_cuda_templateItEESt5tupleIJNSC_6TensorESH_SH_EERKSH_lbbbEUlllE1_EE10hipError_tPvRmT2_T3_mT4_P12ihipStream_tbEUlmE_lEESB_NS0_8identityIvEEEESM_SP_SQ_mSR_ST_bEUlT_E_NS1_11comp_targetILNS1_3genE10ELNS1_11target_archE1201ELNS1_3gpuE5ELNS1_3repE0EEENS1_30default_config_static_selectorELNS0_4arch9wavefront6targetE1EEEvT1_
; %bb.0:
	.section	.rodata,"a",@progbits
	.p2align	6, 0x0
	.amdhsa_kernel _ZN7rocprim17ROCPRIM_400000_NS6detail17trampoline_kernelINS0_14default_configENS1_25transform_config_selectorIlLb0EEEZNS1_14transform_implILb0ES3_S5_NS0_18transform_iteratorINS0_17counting_iteratorImlEEZNS1_24adjacent_difference_implIS3_Lb1ELb0EPlSB_ZN2at6native12_GLOBAL__N_124unique_dim_cuda_templateItEESt5tupleIJNSC_6TensorESH_SH_EERKSH_lbbbEUlllE1_EE10hipError_tPvRmT2_T3_mT4_P12ihipStream_tbEUlmE_lEESB_NS0_8identityIvEEEESM_SP_SQ_mSR_ST_bEUlT_E_NS1_11comp_targetILNS1_3genE10ELNS1_11target_archE1201ELNS1_3gpuE5ELNS1_3repE0EEENS1_30default_config_static_selectorELNS0_4arch9wavefront6targetE1EEEvT1_
		.amdhsa_group_segment_fixed_size 0
		.amdhsa_private_segment_fixed_size 0
		.amdhsa_kernarg_size 56
		.amdhsa_user_sgpr_count 2
		.amdhsa_user_sgpr_dispatch_ptr 0
		.amdhsa_user_sgpr_queue_ptr 0
		.amdhsa_user_sgpr_kernarg_segment_ptr 1
		.amdhsa_user_sgpr_dispatch_id 0
		.amdhsa_user_sgpr_kernarg_preload_length 0
		.amdhsa_user_sgpr_kernarg_preload_offset 0
		.amdhsa_user_sgpr_private_segment_size 0
		.amdhsa_uses_dynamic_stack 0
		.amdhsa_enable_private_segment 0
		.amdhsa_system_sgpr_workgroup_id_x 1
		.amdhsa_system_sgpr_workgroup_id_y 0
		.amdhsa_system_sgpr_workgroup_id_z 0
		.amdhsa_system_sgpr_workgroup_info 0
		.amdhsa_system_vgpr_workitem_id 0
		.amdhsa_next_free_vgpr 1
		.amdhsa_next_free_sgpr 0
		.amdhsa_accum_offset 4
		.amdhsa_reserve_vcc 0
		.amdhsa_float_round_mode_32 0
		.amdhsa_float_round_mode_16_64 0
		.amdhsa_float_denorm_mode_32 3
		.amdhsa_float_denorm_mode_16_64 3
		.amdhsa_dx10_clamp 1
		.amdhsa_ieee_mode 1
		.amdhsa_fp16_overflow 0
		.amdhsa_tg_split 0
		.amdhsa_exception_fp_ieee_invalid_op 0
		.amdhsa_exception_fp_denorm_src 0
		.amdhsa_exception_fp_ieee_div_zero 0
		.amdhsa_exception_fp_ieee_overflow 0
		.amdhsa_exception_fp_ieee_underflow 0
		.amdhsa_exception_fp_ieee_inexact 0
		.amdhsa_exception_int_div_zero 0
	.end_amdhsa_kernel
	.section	.text._ZN7rocprim17ROCPRIM_400000_NS6detail17trampoline_kernelINS0_14default_configENS1_25transform_config_selectorIlLb0EEEZNS1_14transform_implILb0ES3_S5_NS0_18transform_iteratorINS0_17counting_iteratorImlEEZNS1_24adjacent_difference_implIS3_Lb1ELb0EPlSB_ZN2at6native12_GLOBAL__N_124unique_dim_cuda_templateItEESt5tupleIJNSC_6TensorESH_SH_EERKSH_lbbbEUlllE1_EE10hipError_tPvRmT2_T3_mT4_P12ihipStream_tbEUlmE_lEESB_NS0_8identityIvEEEESM_SP_SQ_mSR_ST_bEUlT_E_NS1_11comp_targetILNS1_3genE10ELNS1_11target_archE1201ELNS1_3gpuE5ELNS1_3repE0EEENS1_30default_config_static_selectorELNS0_4arch9wavefront6targetE1EEEvT1_,"axG",@progbits,_ZN7rocprim17ROCPRIM_400000_NS6detail17trampoline_kernelINS0_14default_configENS1_25transform_config_selectorIlLb0EEEZNS1_14transform_implILb0ES3_S5_NS0_18transform_iteratorINS0_17counting_iteratorImlEEZNS1_24adjacent_difference_implIS3_Lb1ELb0EPlSB_ZN2at6native12_GLOBAL__N_124unique_dim_cuda_templateItEESt5tupleIJNSC_6TensorESH_SH_EERKSH_lbbbEUlllE1_EE10hipError_tPvRmT2_T3_mT4_P12ihipStream_tbEUlmE_lEESB_NS0_8identityIvEEEESM_SP_SQ_mSR_ST_bEUlT_E_NS1_11comp_targetILNS1_3genE10ELNS1_11target_archE1201ELNS1_3gpuE5ELNS1_3repE0EEENS1_30default_config_static_selectorELNS0_4arch9wavefront6targetE1EEEvT1_,comdat
.Lfunc_end1407:
	.size	_ZN7rocprim17ROCPRIM_400000_NS6detail17trampoline_kernelINS0_14default_configENS1_25transform_config_selectorIlLb0EEEZNS1_14transform_implILb0ES3_S5_NS0_18transform_iteratorINS0_17counting_iteratorImlEEZNS1_24adjacent_difference_implIS3_Lb1ELb0EPlSB_ZN2at6native12_GLOBAL__N_124unique_dim_cuda_templateItEESt5tupleIJNSC_6TensorESH_SH_EERKSH_lbbbEUlllE1_EE10hipError_tPvRmT2_T3_mT4_P12ihipStream_tbEUlmE_lEESB_NS0_8identityIvEEEESM_SP_SQ_mSR_ST_bEUlT_E_NS1_11comp_targetILNS1_3genE10ELNS1_11target_archE1201ELNS1_3gpuE5ELNS1_3repE0EEENS1_30default_config_static_selectorELNS0_4arch9wavefront6targetE1EEEvT1_, .Lfunc_end1407-_ZN7rocprim17ROCPRIM_400000_NS6detail17trampoline_kernelINS0_14default_configENS1_25transform_config_selectorIlLb0EEEZNS1_14transform_implILb0ES3_S5_NS0_18transform_iteratorINS0_17counting_iteratorImlEEZNS1_24adjacent_difference_implIS3_Lb1ELb0EPlSB_ZN2at6native12_GLOBAL__N_124unique_dim_cuda_templateItEESt5tupleIJNSC_6TensorESH_SH_EERKSH_lbbbEUlllE1_EE10hipError_tPvRmT2_T3_mT4_P12ihipStream_tbEUlmE_lEESB_NS0_8identityIvEEEESM_SP_SQ_mSR_ST_bEUlT_E_NS1_11comp_targetILNS1_3genE10ELNS1_11target_archE1201ELNS1_3gpuE5ELNS1_3repE0EEENS1_30default_config_static_selectorELNS0_4arch9wavefront6targetE1EEEvT1_
                                        ; -- End function
	.set _ZN7rocprim17ROCPRIM_400000_NS6detail17trampoline_kernelINS0_14default_configENS1_25transform_config_selectorIlLb0EEEZNS1_14transform_implILb0ES3_S5_NS0_18transform_iteratorINS0_17counting_iteratorImlEEZNS1_24adjacent_difference_implIS3_Lb1ELb0EPlSB_ZN2at6native12_GLOBAL__N_124unique_dim_cuda_templateItEESt5tupleIJNSC_6TensorESH_SH_EERKSH_lbbbEUlllE1_EE10hipError_tPvRmT2_T3_mT4_P12ihipStream_tbEUlmE_lEESB_NS0_8identityIvEEEESM_SP_SQ_mSR_ST_bEUlT_E_NS1_11comp_targetILNS1_3genE10ELNS1_11target_archE1201ELNS1_3gpuE5ELNS1_3repE0EEENS1_30default_config_static_selectorELNS0_4arch9wavefront6targetE1EEEvT1_.num_vgpr, 0
	.set _ZN7rocprim17ROCPRIM_400000_NS6detail17trampoline_kernelINS0_14default_configENS1_25transform_config_selectorIlLb0EEEZNS1_14transform_implILb0ES3_S5_NS0_18transform_iteratorINS0_17counting_iteratorImlEEZNS1_24adjacent_difference_implIS3_Lb1ELb0EPlSB_ZN2at6native12_GLOBAL__N_124unique_dim_cuda_templateItEESt5tupleIJNSC_6TensorESH_SH_EERKSH_lbbbEUlllE1_EE10hipError_tPvRmT2_T3_mT4_P12ihipStream_tbEUlmE_lEESB_NS0_8identityIvEEEESM_SP_SQ_mSR_ST_bEUlT_E_NS1_11comp_targetILNS1_3genE10ELNS1_11target_archE1201ELNS1_3gpuE5ELNS1_3repE0EEENS1_30default_config_static_selectorELNS0_4arch9wavefront6targetE1EEEvT1_.num_agpr, 0
	.set _ZN7rocprim17ROCPRIM_400000_NS6detail17trampoline_kernelINS0_14default_configENS1_25transform_config_selectorIlLb0EEEZNS1_14transform_implILb0ES3_S5_NS0_18transform_iteratorINS0_17counting_iteratorImlEEZNS1_24adjacent_difference_implIS3_Lb1ELb0EPlSB_ZN2at6native12_GLOBAL__N_124unique_dim_cuda_templateItEESt5tupleIJNSC_6TensorESH_SH_EERKSH_lbbbEUlllE1_EE10hipError_tPvRmT2_T3_mT4_P12ihipStream_tbEUlmE_lEESB_NS0_8identityIvEEEESM_SP_SQ_mSR_ST_bEUlT_E_NS1_11comp_targetILNS1_3genE10ELNS1_11target_archE1201ELNS1_3gpuE5ELNS1_3repE0EEENS1_30default_config_static_selectorELNS0_4arch9wavefront6targetE1EEEvT1_.numbered_sgpr, 0
	.set _ZN7rocprim17ROCPRIM_400000_NS6detail17trampoline_kernelINS0_14default_configENS1_25transform_config_selectorIlLb0EEEZNS1_14transform_implILb0ES3_S5_NS0_18transform_iteratorINS0_17counting_iteratorImlEEZNS1_24adjacent_difference_implIS3_Lb1ELb0EPlSB_ZN2at6native12_GLOBAL__N_124unique_dim_cuda_templateItEESt5tupleIJNSC_6TensorESH_SH_EERKSH_lbbbEUlllE1_EE10hipError_tPvRmT2_T3_mT4_P12ihipStream_tbEUlmE_lEESB_NS0_8identityIvEEEESM_SP_SQ_mSR_ST_bEUlT_E_NS1_11comp_targetILNS1_3genE10ELNS1_11target_archE1201ELNS1_3gpuE5ELNS1_3repE0EEENS1_30default_config_static_selectorELNS0_4arch9wavefront6targetE1EEEvT1_.num_named_barrier, 0
	.set _ZN7rocprim17ROCPRIM_400000_NS6detail17trampoline_kernelINS0_14default_configENS1_25transform_config_selectorIlLb0EEEZNS1_14transform_implILb0ES3_S5_NS0_18transform_iteratorINS0_17counting_iteratorImlEEZNS1_24adjacent_difference_implIS3_Lb1ELb0EPlSB_ZN2at6native12_GLOBAL__N_124unique_dim_cuda_templateItEESt5tupleIJNSC_6TensorESH_SH_EERKSH_lbbbEUlllE1_EE10hipError_tPvRmT2_T3_mT4_P12ihipStream_tbEUlmE_lEESB_NS0_8identityIvEEEESM_SP_SQ_mSR_ST_bEUlT_E_NS1_11comp_targetILNS1_3genE10ELNS1_11target_archE1201ELNS1_3gpuE5ELNS1_3repE0EEENS1_30default_config_static_selectorELNS0_4arch9wavefront6targetE1EEEvT1_.private_seg_size, 0
	.set _ZN7rocprim17ROCPRIM_400000_NS6detail17trampoline_kernelINS0_14default_configENS1_25transform_config_selectorIlLb0EEEZNS1_14transform_implILb0ES3_S5_NS0_18transform_iteratorINS0_17counting_iteratorImlEEZNS1_24adjacent_difference_implIS3_Lb1ELb0EPlSB_ZN2at6native12_GLOBAL__N_124unique_dim_cuda_templateItEESt5tupleIJNSC_6TensorESH_SH_EERKSH_lbbbEUlllE1_EE10hipError_tPvRmT2_T3_mT4_P12ihipStream_tbEUlmE_lEESB_NS0_8identityIvEEEESM_SP_SQ_mSR_ST_bEUlT_E_NS1_11comp_targetILNS1_3genE10ELNS1_11target_archE1201ELNS1_3gpuE5ELNS1_3repE0EEENS1_30default_config_static_selectorELNS0_4arch9wavefront6targetE1EEEvT1_.uses_vcc, 0
	.set _ZN7rocprim17ROCPRIM_400000_NS6detail17trampoline_kernelINS0_14default_configENS1_25transform_config_selectorIlLb0EEEZNS1_14transform_implILb0ES3_S5_NS0_18transform_iteratorINS0_17counting_iteratorImlEEZNS1_24adjacent_difference_implIS3_Lb1ELb0EPlSB_ZN2at6native12_GLOBAL__N_124unique_dim_cuda_templateItEESt5tupleIJNSC_6TensorESH_SH_EERKSH_lbbbEUlllE1_EE10hipError_tPvRmT2_T3_mT4_P12ihipStream_tbEUlmE_lEESB_NS0_8identityIvEEEESM_SP_SQ_mSR_ST_bEUlT_E_NS1_11comp_targetILNS1_3genE10ELNS1_11target_archE1201ELNS1_3gpuE5ELNS1_3repE0EEENS1_30default_config_static_selectorELNS0_4arch9wavefront6targetE1EEEvT1_.uses_flat_scratch, 0
	.set _ZN7rocprim17ROCPRIM_400000_NS6detail17trampoline_kernelINS0_14default_configENS1_25transform_config_selectorIlLb0EEEZNS1_14transform_implILb0ES3_S5_NS0_18transform_iteratorINS0_17counting_iteratorImlEEZNS1_24adjacent_difference_implIS3_Lb1ELb0EPlSB_ZN2at6native12_GLOBAL__N_124unique_dim_cuda_templateItEESt5tupleIJNSC_6TensorESH_SH_EERKSH_lbbbEUlllE1_EE10hipError_tPvRmT2_T3_mT4_P12ihipStream_tbEUlmE_lEESB_NS0_8identityIvEEEESM_SP_SQ_mSR_ST_bEUlT_E_NS1_11comp_targetILNS1_3genE10ELNS1_11target_archE1201ELNS1_3gpuE5ELNS1_3repE0EEENS1_30default_config_static_selectorELNS0_4arch9wavefront6targetE1EEEvT1_.has_dyn_sized_stack, 0
	.set _ZN7rocprim17ROCPRIM_400000_NS6detail17trampoline_kernelINS0_14default_configENS1_25transform_config_selectorIlLb0EEEZNS1_14transform_implILb0ES3_S5_NS0_18transform_iteratorINS0_17counting_iteratorImlEEZNS1_24adjacent_difference_implIS3_Lb1ELb0EPlSB_ZN2at6native12_GLOBAL__N_124unique_dim_cuda_templateItEESt5tupleIJNSC_6TensorESH_SH_EERKSH_lbbbEUlllE1_EE10hipError_tPvRmT2_T3_mT4_P12ihipStream_tbEUlmE_lEESB_NS0_8identityIvEEEESM_SP_SQ_mSR_ST_bEUlT_E_NS1_11comp_targetILNS1_3genE10ELNS1_11target_archE1201ELNS1_3gpuE5ELNS1_3repE0EEENS1_30default_config_static_selectorELNS0_4arch9wavefront6targetE1EEEvT1_.has_recursion, 0
	.set _ZN7rocprim17ROCPRIM_400000_NS6detail17trampoline_kernelINS0_14default_configENS1_25transform_config_selectorIlLb0EEEZNS1_14transform_implILb0ES3_S5_NS0_18transform_iteratorINS0_17counting_iteratorImlEEZNS1_24adjacent_difference_implIS3_Lb1ELb0EPlSB_ZN2at6native12_GLOBAL__N_124unique_dim_cuda_templateItEESt5tupleIJNSC_6TensorESH_SH_EERKSH_lbbbEUlllE1_EE10hipError_tPvRmT2_T3_mT4_P12ihipStream_tbEUlmE_lEESB_NS0_8identityIvEEEESM_SP_SQ_mSR_ST_bEUlT_E_NS1_11comp_targetILNS1_3genE10ELNS1_11target_archE1201ELNS1_3gpuE5ELNS1_3repE0EEENS1_30default_config_static_selectorELNS0_4arch9wavefront6targetE1EEEvT1_.has_indirect_call, 0
	.section	.AMDGPU.csdata,"",@progbits
; Kernel info:
; codeLenInByte = 0
; TotalNumSgprs: 6
; NumVgprs: 0
; NumAgprs: 0
; TotalNumVgprs: 0
; ScratchSize: 0
; MemoryBound: 0
; FloatMode: 240
; IeeeMode: 1
; LDSByteSize: 0 bytes/workgroup (compile time only)
; SGPRBlocks: 0
; VGPRBlocks: 0
; NumSGPRsForWavesPerEU: 6
; NumVGPRsForWavesPerEU: 1
; AccumOffset: 4
; Occupancy: 8
; WaveLimiterHint : 0
; COMPUTE_PGM_RSRC2:SCRATCH_EN: 0
; COMPUTE_PGM_RSRC2:USER_SGPR: 2
; COMPUTE_PGM_RSRC2:TRAP_HANDLER: 0
; COMPUTE_PGM_RSRC2:TGID_X_EN: 1
; COMPUTE_PGM_RSRC2:TGID_Y_EN: 0
; COMPUTE_PGM_RSRC2:TGID_Z_EN: 0
; COMPUTE_PGM_RSRC2:TIDIG_COMP_CNT: 0
; COMPUTE_PGM_RSRC3_GFX90A:ACCUM_OFFSET: 0
; COMPUTE_PGM_RSRC3_GFX90A:TG_SPLIT: 0
	.section	.text._ZN7rocprim17ROCPRIM_400000_NS6detail17trampoline_kernelINS0_14default_configENS1_25transform_config_selectorIlLb0EEEZNS1_14transform_implILb0ES3_S5_NS0_18transform_iteratorINS0_17counting_iteratorImlEEZNS1_24adjacent_difference_implIS3_Lb1ELb0EPlSB_ZN2at6native12_GLOBAL__N_124unique_dim_cuda_templateItEESt5tupleIJNSC_6TensorESH_SH_EERKSH_lbbbEUlllE1_EE10hipError_tPvRmT2_T3_mT4_P12ihipStream_tbEUlmE_lEESB_NS0_8identityIvEEEESM_SP_SQ_mSR_ST_bEUlT_E_NS1_11comp_targetILNS1_3genE10ELNS1_11target_archE1200ELNS1_3gpuE4ELNS1_3repE0EEENS1_30default_config_static_selectorELNS0_4arch9wavefront6targetE1EEEvT1_,"axG",@progbits,_ZN7rocprim17ROCPRIM_400000_NS6detail17trampoline_kernelINS0_14default_configENS1_25transform_config_selectorIlLb0EEEZNS1_14transform_implILb0ES3_S5_NS0_18transform_iteratorINS0_17counting_iteratorImlEEZNS1_24adjacent_difference_implIS3_Lb1ELb0EPlSB_ZN2at6native12_GLOBAL__N_124unique_dim_cuda_templateItEESt5tupleIJNSC_6TensorESH_SH_EERKSH_lbbbEUlllE1_EE10hipError_tPvRmT2_T3_mT4_P12ihipStream_tbEUlmE_lEESB_NS0_8identityIvEEEESM_SP_SQ_mSR_ST_bEUlT_E_NS1_11comp_targetILNS1_3genE10ELNS1_11target_archE1200ELNS1_3gpuE4ELNS1_3repE0EEENS1_30default_config_static_selectorELNS0_4arch9wavefront6targetE1EEEvT1_,comdat
	.globl	_ZN7rocprim17ROCPRIM_400000_NS6detail17trampoline_kernelINS0_14default_configENS1_25transform_config_selectorIlLb0EEEZNS1_14transform_implILb0ES3_S5_NS0_18transform_iteratorINS0_17counting_iteratorImlEEZNS1_24adjacent_difference_implIS3_Lb1ELb0EPlSB_ZN2at6native12_GLOBAL__N_124unique_dim_cuda_templateItEESt5tupleIJNSC_6TensorESH_SH_EERKSH_lbbbEUlllE1_EE10hipError_tPvRmT2_T3_mT4_P12ihipStream_tbEUlmE_lEESB_NS0_8identityIvEEEESM_SP_SQ_mSR_ST_bEUlT_E_NS1_11comp_targetILNS1_3genE10ELNS1_11target_archE1200ELNS1_3gpuE4ELNS1_3repE0EEENS1_30default_config_static_selectorELNS0_4arch9wavefront6targetE1EEEvT1_ ; -- Begin function _ZN7rocprim17ROCPRIM_400000_NS6detail17trampoline_kernelINS0_14default_configENS1_25transform_config_selectorIlLb0EEEZNS1_14transform_implILb0ES3_S5_NS0_18transform_iteratorINS0_17counting_iteratorImlEEZNS1_24adjacent_difference_implIS3_Lb1ELb0EPlSB_ZN2at6native12_GLOBAL__N_124unique_dim_cuda_templateItEESt5tupleIJNSC_6TensorESH_SH_EERKSH_lbbbEUlllE1_EE10hipError_tPvRmT2_T3_mT4_P12ihipStream_tbEUlmE_lEESB_NS0_8identityIvEEEESM_SP_SQ_mSR_ST_bEUlT_E_NS1_11comp_targetILNS1_3genE10ELNS1_11target_archE1200ELNS1_3gpuE4ELNS1_3repE0EEENS1_30default_config_static_selectorELNS0_4arch9wavefront6targetE1EEEvT1_
	.p2align	8
	.type	_ZN7rocprim17ROCPRIM_400000_NS6detail17trampoline_kernelINS0_14default_configENS1_25transform_config_selectorIlLb0EEEZNS1_14transform_implILb0ES3_S5_NS0_18transform_iteratorINS0_17counting_iteratorImlEEZNS1_24adjacent_difference_implIS3_Lb1ELb0EPlSB_ZN2at6native12_GLOBAL__N_124unique_dim_cuda_templateItEESt5tupleIJNSC_6TensorESH_SH_EERKSH_lbbbEUlllE1_EE10hipError_tPvRmT2_T3_mT4_P12ihipStream_tbEUlmE_lEESB_NS0_8identityIvEEEESM_SP_SQ_mSR_ST_bEUlT_E_NS1_11comp_targetILNS1_3genE10ELNS1_11target_archE1200ELNS1_3gpuE4ELNS1_3repE0EEENS1_30default_config_static_selectorELNS0_4arch9wavefront6targetE1EEEvT1_,@function
_ZN7rocprim17ROCPRIM_400000_NS6detail17trampoline_kernelINS0_14default_configENS1_25transform_config_selectorIlLb0EEEZNS1_14transform_implILb0ES3_S5_NS0_18transform_iteratorINS0_17counting_iteratorImlEEZNS1_24adjacent_difference_implIS3_Lb1ELb0EPlSB_ZN2at6native12_GLOBAL__N_124unique_dim_cuda_templateItEESt5tupleIJNSC_6TensorESH_SH_EERKSH_lbbbEUlllE1_EE10hipError_tPvRmT2_T3_mT4_P12ihipStream_tbEUlmE_lEESB_NS0_8identityIvEEEESM_SP_SQ_mSR_ST_bEUlT_E_NS1_11comp_targetILNS1_3genE10ELNS1_11target_archE1200ELNS1_3gpuE4ELNS1_3repE0EEENS1_30default_config_static_selectorELNS0_4arch9wavefront6targetE1EEEvT1_: ; @_ZN7rocprim17ROCPRIM_400000_NS6detail17trampoline_kernelINS0_14default_configENS1_25transform_config_selectorIlLb0EEEZNS1_14transform_implILb0ES3_S5_NS0_18transform_iteratorINS0_17counting_iteratorImlEEZNS1_24adjacent_difference_implIS3_Lb1ELb0EPlSB_ZN2at6native12_GLOBAL__N_124unique_dim_cuda_templateItEESt5tupleIJNSC_6TensorESH_SH_EERKSH_lbbbEUlllE1_EE10hipError_tPvRmT2_T3_mT4_P12ihipStream_tbEUlmE_lEESB_NS0_8identityIvEEEESM_SP_SQ_mSR_ST_bEUlT_E_NS1_11comp_targetILNS1_3genE10ELNS1_11target_archE1200ELNS1_3gpuE4ELNS1_3repE0EEENS1_30default_config_static_selectorELNS0_4arch9wavefront6targetE1EEEvT1_
; %bb.0:
	.section	.rodata,"a",@progbits
	.p2align	6, 0x0
	.amdhsa_kernel _ZN7rocprim17ROCPRIM_400000_NS6detail17trampoline_kernelINS0_14default_configENS1_25transform_config_selectorIlLb0EEEZNS1_14transform_implILb0ES3_S5_NS0_18transform_iteratorINS0_17counting_iteratorImlEEZNS1_24adjacent_difference_implIS3_Lb1ELb0EPlSB_ZN2at6native12_GLOBAL__N_124unique_dim_cuda_templateItEESt5tupleIJNSC_6TensorESH_SH_EERKSH_lbbbEUlllE1_EE10hipError_tPvRmT2_T3_mT4_P12ihipStream_tbEUlmE_lEESB_NS0_8identityIvEEEESM_SP_SQ_mSR_ST_bEUlT_E_NS1_11comp_targetILNS1_3genE10ELNS1_11target_archE1200ELNS1_3gpuE4ELNS1_3repE0EEENS1_30default_config_static_selectorELNS0_4arch9wavefront6targetE1EEEvT1_
		.amdhsa_group_segment_fixed_size 0
		.amdhsa_private_segment_fixed_size 0
		.amdhsa_kernarg_size 56
		.amdhsa_user_sgpr_count 2
		.amdhsa_user_sgpr_dispatch_ptr 0
		.amdhsa_user_sgpr_queue_ptr 0
		.amdhsa_user_sgpr_kernarg_segment_ptr 1
		.amdhsa_user_sgpr_dispatch_id 0
		.amdhsa_user_sgpr_kernarg_preload_length 0
		.amdhsa_user_sgpr_kernarg_preload_offset 0
		.amdhsa_user_sgpr_private_segment_size 0
		.amdhsa_uses_dynamic_stack 0
		.amdhsa_enable_private_segment 0
		.amdhsa_system_sgpr_workgroup_id_x 1
		.amdhsa_system_sgpr_workgroup_id_y 0
		.amdhsa_system_sgpr_workgroup_id_z 0
		.amdhsa_system_sgpr_workgroup_info 0
		.amdhsa_system_vgpr_workitem_id 0
		.amdhsa_next_free_vgpr 1
		.amdhsa_next_free_sgpr 0
		.amdhsa_accum_offset 4
		.amdhsa_reserve_vcc 0
		.amdhsa_float_round_mode_32 0
		.amdhsa_float_round_mode_16_64 0
		.amdhsa_float_denorm_mode_32 3
		.amdhsa_float_denorm_mode_16_64 3
		.amdhsa_dx10_clamp 1
		.amdhsa_ieee_mode 1
		.amdhsa_fp16_overflow 0
		.amdhsa_tg_split 0
		.amdhsa_exception_fp_ieee_invalid_op 0
		.amdhsa_exception_fp_denorm_src 0
		.amdhsa_exception_fp_ieee_div_zero 0
		.amdhsa_exception_fp_ieee_overflow 0
		.amdhsa_exception_fp_ieee_underflow 0
		.amdhsa_exception_fp_ieee_inexact 0
		.amdhsa_exception_int_div_zero 0
	.end_amdhsa_kernel
	.section	.text._ZN7rocprim17ROCPRIM_400000_NS6detail17trampoline_kernelINS0_14default_configENS1_25transform_config_selectorIlLb0EEEZNS1_14transform_implILb0ES3_S5_NS0_18transform_iteratorINS0_17counting_iteratorImlEEZNS1_24adjacent_difference_implIS3_Lb1ELb0EPlSB_ZN2at6native12_GLOBAL__N_124unique_dim_cuda_templateItEESt5tupleIJNSC_6TensorESH_SH_EERKSH_lbbbEUlllE1_EE10hipError_tPvRmT2_T3_mT4_P12ihipStream_tbEUlmE_lEESB_NS0_8identityIvEEEESM_SP_SQ_mSR_ST_bEUlT_E_NS1_11comp_targetILNS1_3genE10ELNS1_11target_archE1200ELNS1_3gpuE4ELNS1_3repE0EEENS1_30default_config_static_selectorELNS0_4arch9wavefront6targetE1EEEvT1_,"axG",@progbits,_ZN7rocprim17ROCPRIM_400000_NS6detail17trampoline_kernelINS0_14default_configENS1_25transform_config_selectorIlLb0EEEZNS1_14transform_implILb0ES3_S5_NS0_18transform_iteratorINS0_17counting_iteratorImlEEZNS1_24adjacent_difference_implIS3_Lb1ELb0EPlSB_ZN2at6native12_GLOBAL__N_124unique_dim_cuda_templateItEESt5tupleIJNSC_6TensorESH_SH_EERKSH_lbbbEUlllE1_EE10hipError_tPvRmT2_T3_mT4_P12ihipStream_tbEUlmE_lEESB_NS0_8identityIvEEEESM_SP_SQ_mSR_ST_bEUlT_E_NS1_11comp_targetILNS1_3genE10ELNS1_11target_archE1200ELNS1_3gpuE4ELNS1_3repE0EEENS1_30default_config_static_selectorELNS0_4arch9wavefront6targetE1EEEvT1_,comdat
.Lfunc_end1408:
	.size	_ZN7rocprim17ROCPRIM_400000_NS6detail17trampoline_kernelINS0_14default_configENS1_25transform_config_selectorIlLb0EEEZNS1_14transform_implILb0ES3_S5_NS0_18transform_iteratorINS0_17counting_iteratorImlEEZNS1_24adjacent_difference_implIS3_Lb1ELb0EPlSB_ZN2at6native12_GLOBAL__N_124unique_dim_cuda_templateItEESt5tupleIJNSC_6TensorESH_SH_EERKSH_lbbbEUlllE1_EE10hipError_tPvRmT2_T3_mT4_P12ihipStream_tbEUlmE_lEESB_NS0_8identityIvEEEESM_SP_SQ_mSR_ST_bEUlT_E_NS1_11comp_targetILNS1_3genE10ELNS1_11target_archE1200ELNS1_3gpuE4ELNS1_3repE0EEENS1_30default_config_static_selectorELNS0_4arch9wavefront6targetE1EEEvT1_, .Lfunc_end1408-_ZN7rocprim17ROCPRIM_400000_NS6detail17trampoline_kernelINS0_14default_configENS1_25transform_config_selectorIlLb0EEEZNS1_14transform_implILb0ES3_S5_NS0_18transform_iteratorINS0_17counting_iteratorImlEEZNS1_24adjacent_difference_implIS3_Lb1ELb0EPlSB_ZN2at6native12_GLOBAL__N_124unique_dim_cuda_templateItEESt5tupleIJNSC_6TensorESH_SH_EERKSH_lbbbEUlllE1_EE10hipError_tPvRmT2_T3_mT4_P12ihipStream_tbEUlmE_lEESB_NS0_8identityIvEEEESM_SP_SQ_mSR_ST_bEUlT_E_NS1_11comp_targetILNS1_3genE10ELNS1_11target_archE1200ELNS1_3gpuE4ELNS1_3repE0EEENS1_30default_config_static_selectorELNS0_4arch9wavefront6targetE1EEEvT1_
                                        ; -- End function
	.set _ZN7rocprim17ROCPRIM_400000_NS6detail17trampoline_kernelINS0_14default_configENS1_25transform_config_selectorIlLb0EEEZNS1_14transform_implILb0ES3_S5_NS0_18transform_iteratorINS0_17counting_iteratorImlEEZNS1_24adjacent_difference_implIS3_Lb1ELb0EPlSB_ZN2at6native12_GLOBAL__N_124unique_dim_cuda_templateItEESt5tupleIJNSC_6TensorESH_SH_EERKSH_lbbbEUlllE1_EE10hipError_tPvRmT2_T3_mT4_P12ihipStream_tbEUlmE_lEESB_NS0_8identityIvEEEESM_SP_SQ_mSR_ST_bEUlT_E_NS1_11comp_targetILNS1_3genE10ELNS1_11target_archE1200ELNS1_3gpuE4ELNS1_3repE0EEENS1_30default_config_static_selectorELNS0_4arch9wavefront6targetE1EEEvT1_.num_vgpr, 0
	.set _ZN7rocprim17ROCPRIM_400000_NS6detail17trampoline_kernelINS0_14default_configENS1_25transform_config_selectorIlLb0EEEZNS1_14transform_implILb0ES3_S5_NS0_18transform_iteratorINS0_17counting_iteratorImlEEZNS1_24adjacent_difference_implIS3_Lb1ELb0EPlSB_ZN2at6native12_GLOBAL__N_124unique_dim_cuda_templateItEESt5tupleIJNSC_6TensorESH_SH_EERKSH_lbbbEUlllE1_EE10hipError_tPvRmT2_T3_mT4_P12ihipStream_tbEUlmE_lEESB_NS0_8identityIvEEEESM_SP_SQ_mSR_ST_bEUlT_E_NS1_11comp_targetILNS1_3genE10ELNS1_11target_archE1200ELNS1_3gpuE4ELNS1_3repE0EEENS1_30default_config_static_selectorELNS0_4arch9wavefront6targetE1EEEvT1_.num_agpr, 0
	.set _ZN7rocprim17ROCPRIM_400000_NS6detail17trampoline_kernelINS0_14default_configENS1_25transform_config_selectorIlLb0EEEZNS1_14transform_implILb0ES3_S5_NS0_18transform_iteratorINS0_17counting_iteratorImlEEZNS1_24adjacent_difference_implIS3_Lb1ELb0EPlSB_ZN2at6native12_GLOBAL__N_124unique_dim_cuda_templateItEESt5tupleIJNSC_6TensorESH_SH_EERKSH_lbbbEUlllE1_EE10hipError_tPvRmT2_T3_mT4_P12ihipStream_tbEUlmE_lEESB_NS0_8identityIvEEEESM_SP_SQ_mSR_ST_bEUlT_E_NS1_11comp_targetILNS1_3genE10ELNS1_11target_archE1200ELNS1_3gpuE4ELNS1_3repE0EEENS1_30default_config_static_selectorELNS0_4arch9wavefront6targetE1EEEvT1_.numbered_sgpr, 0
	.set _ZN7rocprim17ROCPRIM_400000_NS6detail17trampoline_kernelINS0_14default_configENS1_25transform_config_selectorIlLb0EEEZNS1_14transform_implILb0ES3_S5_NS0_18transform_iteratorINS0_17counting_iteratorImlEEZNS1_24adjacent_difference_implIS3_Lb1ELb0EPlSB_ZN2at6native12_GLOBAL__N_124unique_dim_cuda_templateItEESt5tupleIJNSC_6TensorESH_SH_EERKSH_lbbbEUlllE1_EE10hipError_tPvRmT2_T3_mT4_P12ihipStream_tbEUlmE_lEESB_NS0_8identityIvEEEESM_SP_SQ_mSR_ST_bEUlT_E_NS1_11comp_targetILNS1_3genE10ELNS1_11target_archE1200ELNS1_3gpuE4ELNS1_3repE0EEENS1_30default_config_static_selectorELNS0_4arch9wavefront6targetE1EEEvT1_.num_named_barrier, 0
	.set _ZN7rocprim17ROCPRIM_400000_NS6detail17trampoline_kernelINS0_14default_configENS1_25transform_config_selectorIlLb0EEEZNS1_14transform_implILb0ES3_S5_NS0_18transform_iteratorINS0_17counting_iteratorImlEEZNS1_24adjacent_difference_implIS3_Lb1ELb0EPlSB_ZN2at6native12_GLOBAL__N_124unique_dim_cuda_templateItEESt5tupleIJNSC_6TensorESH_SH_EERKSH_lbbbEUlllE1_EE10hipError_tPvRmT2_T3_mT4_P12ihipStream_tbEUlmE_lEESB_NS0_8identityIvEEEESM_SP_SQ_mSR_ST_bEUlT_E_NS1_11comp_targetILNS1_3genE10ELNS1_11target_archE1200ELNS1_3gpuE4ELNS1_3repE0EEENS1_30default_config_static_selectorELNS0_4arch9wavefront6targetE1EEEvT1_.private_seg_size, 0
	.set _ZN7rocprim17ROCPRIM_400000_NS6detail17trampoline_kernelINS0_14default_configENS1_25transform_config_selectorIlLb0EEEZNS1_14transform_implILb0ES3_S5_NS0_18transform_iteratorINS0_17counting_iteratorImlEEZNS1_24adjacent_difference_implIS3_Lb1ELb0EPlSB_ZN2at6native12_GLOBAL__N_124unique_dim_cuda_templateItEESt5tupleIJNSC_6TensorESH_SH_EERKSH_lbbbEUlllE1_EE10hipError_tPvRmT2_T3_mT4_P12ihipStream_tbEUlmE_lEESB_NS0_8identityIvEEEESM_SP_SQ_mSR_ST_bEUlT_E_NS1_11comp_targetILNS1_3genE10ELNS1_11target_archE1200ELNS1_3gpuE4ELNS1_3repE0EEENS1_30default_config_static_selectorELNS0_4arch9wavefront6targetE1EEEvT1_.uses_vcc, 0
	.set _ZN7rocprim17ROCPRIM_400000_NS6detail17trampoline_kernelINS0_14default_configENS1_25transform_config_selectorIlLb0EEEZNS1_14transform_implILb0ES3_S5_NS0_18transform_iteratorINS0_17counting_iteratorImlEEZNS1_24adjacent_difference_implIS3_Lb1ELb0EPlSB_ZN2at6native12_GLOBAL__N_124unique_dim_cuda_templateItEESt5tupleIJNSC_6TensorESH_SH_EERKSH_lbbbEUlllE1_EE10hipError_tPvRmT2_T3_mT4_P12ihipStream_tbEUlmE_lEESB_NS0_8identityIvEEEESM_SP_SQ_mSR_ST_bEUlT_E_NS1_11comp_targetILNS1_3genE10ELNS1_11target_archE1200ELNS1_3gpuE4ELNS1_3repE0EEENS1_30default_config_static_selectorELNS0_4arch9wavefront6targetE1EEEvT1_.uses_flat_scratch, 0
	.set _ZN7rocprim17ROCPRIM_400000_NS6detail17trampoline_kernelINS0_14default_configENS1_25transform_config_selectorIlLb0EEEZNS1_14transform_implILb0ES3_S5_NS0_18transform_iteratorINS0_17counting_iteratorImlEEZNS1_24adjacent_difference_implIS3_Lb1ELb0EPlSB_ZN2at6native12_GLOBAL__N_124unique_dim_cuda_templateItEESt5tupleIJNSC_6TensorESH_SH_EERKSH_lbbbEUlllE1_EE10hipError_tPvRmT2_T3_mT4_P12ihipStream_tbEUlmE_lEESB_NS0_8identityIvEEEESM_SP_SQ_mSR_ST_bEUlT_E_NS1_11comp_targetILNS1_3genE10ELNS1_11target_archE1200ELNS1_3gpuE4ELNS1_3repE0EEENS1_30default_config_static_selectorELNS0_4arch9wavefront6targetE1EEEvT1_.has_dyn_sized_stack, 0
	.set _ZN7rocprim17ROCPRIM_400000_NS6detail17trampoline_kernelINS0_14default_configENS1_25transform_config_selectorIlLb0EEEZNS1_14transform_implILb0ES3_S5_NS0_18transform_iteratorINS0_17counting_iteratorImlEEZNS1_24adjacent_difference_implIS3_Lb1ELb0EPlSB_ZN2at6native12_GLOBAL__N_124unique_dim_cuda_templateItEESt5tupleIJNSC_6TensorESH_SH_EERKSH_lbbbEUlllE1_EE10hipError_tPvRmT2_T3_mT4_P12ihipStream_tbEUlmE_lEESB_NS0_8identityIvEEEESM_SP_SQ_mSR_ST_bEUlT_E_NS1_11comp_targetILNS1_3genE10ELNS1_11target_archE1200ELNS1_3gpuE4ELNS1_3repE0EEENS1_30default_config_static_selectorELNS0_4arch9wavefront6targetE1EEEvT1_.has_recursion, 0
	.set _ZN7rocprim17ROCPRIM_400000_NS6detail17trampoline_kernelINS0_14default_configENS1_25transform_config_selectorIlLb0EEEZNS1_14transform_implILb0ES3_S5_NS0_18transform_iteratorINS0_17counting_iteratorImlEEZNS1_24adjacent_difference_implIS3_Lb1ELb0EPlSB_ZN2at6native12_GLOBAL__N_124unique_dim_cuda_templateItEESt5tupleIJNSC_6TensorESH_SH_EERKSH_lbbbEUlllE1_EE10hipError_tPvRmT2_T3_mT4_P12ihipStream_tbEUlmE_lEESB_NS0_8identityIvEEEESM_SP_SQ_mSR_ST_bEUlT_E_NS1_11comp_targetILNS1_3genE10ELNS1_11target_archE1200ELNS1_3gpuE4ELNS1_3repE0EEENS1_30default_config_static_selectorELNS0_4arch9wavefront6targetE1EEEvT1_.has_indirect_call, 0
	.section	.AMDGPU.csdata,"",@progbits
; Kernel info:
; codeLenInByte = 0
; TotalNumSgprs: 6
; NumVgprs: 0
; NumAgprs: 0
; TotalNumVgprs: 0
; ScratchSize: 0
; MemoryBound: 0
; FloatMode: 240
; IeeeMode: 1
; LDSByteSize: 0 bytes/workgroup (compile time only)
; SGPRBlocks: 0
; VGPRBlocks: 0
; NumSGPRsForWavesPerEU: 6
; NumVGPRsForWavesPerEU: 1
; AccumOffset: 4
; Occupancy: 8
; WaveLimiterHint : 0
; COMPUTE_PGM_RSRC2:SCRATCH_EN: 0
; COMPUTE_PGM_RSRC2:USER_SGPR: 2
; COMPUTE_PGM_RSRC2:TRAP_HANDLER: 0
; COMPUTE_PGM_RSRC2:TGID_X_EN: 1
; COMPUTE_PGM_RSRC2:TGID_Y_EN: 0
; COMPUTE_PGM_RSRC2:TGID_Z_EN: 0
; COMPUTE_PGM_RSRC2:TIDIG_COMP_CNT: 0
; COMPUTE_PGM_RSRC3_GFX90A:ACCUM_OFFSET: 0
; COMPUTE_PGM_RSRC3_GFX90A:TG_SPLIT: 0
	.section	.text._ZN7rocprim17ROCPRIM_400000_NS6detail17trampoline_kernelINS0_14default_configENS1_25transform_config_selectorIlLb0EEEZNS1_14transform_implILb0ES3_S5_NS0_18transform_iteratorINS0_17counting_iteratorImlEEZNS1_24adjacent_difference_implIS3_Lb1ELb0EPlSB_ZN2at6native12_GLOBAL__N_124unique_dim_cuda_templateItEESt5tupleIJNSC_6TensorESH_SH_EERKSH_lbbbEUlllE1_EE10hipError_tPvRmT2_T3_mT4_P12ihipStream_tbEUlmE_lEESB_NS0_8identityIvEEEESM_SP_SQ_mSR_ST_bEUlT_E_NS1_11comp_targetILNS1_3genE9ELNS1_11target_archE1100ELNS1_3gpuE3ELNS1_3repE0EEENS1_30default_config_static_selectorELNS0_4arch9wavefront6targetE1EEEvT1_,"axG",@progbits,_ZN7rocprim17ROCPRIM_400000_NS6detail17trampoline_kernelINS0_14default_configENS1_25transform_config_selectorIlLb0EEEZNS1_14transform_implILb0ES3_S5_NS0_18transform_iteratorINS0_17counting_iteratorImlEEZNS1_24adjacent_difference_implIS3_Lb1ELb0EPlSB_ZN2at6native12_GLOBAL__N_124unique_dim_cuda_templateItEESt5tupleIJNSC_6TensorESH_SH_EERKSH_lbbbEUlllE1_EE10hipError_tPvRmT2_T3_mT4_P12ihipStream_tbEUlmE_lEESB_NS0_8identityIvEEEESM_SP_SQ_mSR_ST_bEUlT_E_NS1_11comp_targetILNS1_3genE9ELNS1_11target_archE1100ELNS1_3gpuE3ELNS1_3repE0EEENS1_30default_config_static_selectorELNS0_4arch9wavefront6targetE1EEEvT1_,comdat
	.globl	_ZN7rocprim17ROCPRIM_400000_NS6detail17trampoline_kernelINS0_14default_configENS1_25transform_config_selectorIlLb0EEEZNS1_14transform_implILb0ES3_S5_NS0_18transform_iteratorINS0_17counting_iteratorImlEEZNS1_24adjacent_difference_implIS3_Lb1ELb0EPlSB_ZN2at6native12_GLOBAL__N_124unique_dim_cuda_templateItEESt5tupleIJNSC_6TensorESH_SH_EERKSH_lbbbEUlllE1_EE10hipError_tPvRmT2_T3_mT4_P12ihipStream_tbEUlmE_lEESB_NS0_8identityIvEEEESM_SP_SQ_mSR_ST_bEUlT_E_NS1_11comp_targetILNS1_3genE9ELNS1_11target_archE1100ELNS1_3gpuE3ELNS1_3repE0EEENS1_30default_config_static_selectorELNS0_4arch9wavefront6targetE1EEEvT1_ ; -- Begin function _ZN7rocprim17ROCPRIM_400000_NS6detail17trampoline_kernelINS0_14default_configENS1_25transform_config_selectorIlLb0EEEZNS1_14transform_implILb0ES3_S5_NS0_18transform_iteratorINS0_17counting_iteratorImlEEZNS1_24adjacent_difference_implIS3_Lb1ELb0EPlSB_ZN2at6native12_GLOBAL__N_124unique_dim_cuda_templateItEESt5tupleIJNSC_6TensorESH_SH_EERKSH_lbbbEUlllE1_EE10hipError_tPvRmT2_T3_mT4_P12ihipStream_tbEUlmE_lEESB_NS0_8identityIvEEEESM_SP_SQ_mSR_ST_bEUlT_E_NS1_11comp_targetILNS1_3genE9ELNS1_11target_archE1100ELNS1_3gpuE3ELNS1_3repE0EEENS1_30default_config_static_selectorELNS0_4arch9wavefront6targetE1EEEvT1_
	.p2align	8
	.type	_ZN7rocprim17ROCPRIM_400000_NS6detail17trampoline_kernelINS0_14default_configENS1_25transform_config_selectorIlLb0EEEZNS1_14transform_implILb0ES3_S5_NS0_18transform_iteratorINS0_17counting_iteratorImlEEZNS1_24adjacent_difference_implIS3_Lb1ELb0EPlSB_ZN2at6native12_GLOBAL__N_124unique_dim_cuda_templateItEESt5tupleIJNSC_6TensorESH_SH_EERKSH_lbbbEUlllE1_EE10hipError_tPvRmT2_T3_mT4_P12ihipStream_tbEUlmE_lEESB_NS0_8identityIvEEEESM_SP_SQ_mSR_ST_bEUlT_E_NS1_11comp_targetILNS1_3genE9ELNS1_11target_archE1100ELNS1_3gpuE3ELNS1_3repE0EEENS1_30default_config_static_selectorELNS0_4arch9wavefront6targetE1EEEvT1_,@function
_ZN7rocprim17ROCPRIM_400000_NS6detail17trampoline_kernelINS0_14default_configENS1_25transform_config_selectorIlLb0EEEZNS1_14transform_implILb0ES3_S5_NS0_18transform_iteratorINS0_17counting_iteratorImlEEZNS1_24adjacent_difference_implIS3_Lb1ELb0EPlSB_ZN2at6native12_GLOBAL__N_124unique_dim_cuda_templateItEESt5tupleIJNSC_6TensorESH_SH_EERKSH_lbbbEUlllE1_EE10hipError_tPvRmT2_T3_mT4_P12ihipStream_tbEUlmE_lEESB_NS0_8identityIvEEEESM_SP_SQ_mSR_ST_bEUlT_E_NS1_11comp_targetILNS1_3genE9ELNS1_11target_archE1100ELNS1_3gpuE3ELNS1_3repE0EEENS1_30default_config_static_selectorELNS0_4arch9wavefront6targetE1EEEvT1_: ; @_ZN7rocprim17ROCPRIM_400000_NS6detail17trampoline_kernelINS0_14default_configENS1_25transform_config_selectorIlLb0EEEZNS1_14transform_implILb0ES3_S5_NS0_18transform_iteratorINS0_17counting_iteratorImlEEZNS1_24adjacent_difference_implIS3_Lb1ELb0EPlSB_ZN2at6native12_GLOBAL__N_124unique_dim_cuda_templateItEESt5tupleIJNSC_6TensorESH_SH_EERKSH_lbbbEUlllE1_EE10hipError_tPvRmT2_T3_mT4_P12ihipStream_tbEUlmE_lEESB_NS0_8identityIvEEEESM_SP_SQ_mSR_ST_bEUlT_E_NS1_11comp_targetILNS1_3genE9ELNS1_11target_archE1100ELNS1_3gpuE3ELNS1_3repE0EEENS1_30default_config_static_selectorELNS0_4arch9wavefront6targetE1EEEvT1_
; %bb.0:
	.section	.rodata,"a",@progbits
	.p2align	6, 0x0
	.amdhsa_kernel _ZN7rocprim17ROCPRIM_400000_NS6detail17trampoline_kernelINS0_14default_configENS1_25transform_config_selectorIlLb0EEEZNS1_14transform_implILb0ES3_S5_NS0_18transform_iteratorINS0_17counting_iteratorImlEEZNS1_24adjacent_difference_implIS3_Lb1ELb0EPlSB_ZN2at6native12_GLOBAL__N_124unique_dim_cuda_templateItEESt5tupleIJNSC_6TensorESH_SH_EERKSH_lbbbEUlllE1_EE10hipError_tPvRmT2_T3_mT4_P12ihipStream_tbEUlmE_lEESB_NS0_8identityIvEEEESM_SP_SQ_mSR_ST_bEUlT_E_NS1_11comp_targetILNS1_3genE9ELNS1_11target_archE1100ELNS1_3gpuE3ELNS1_3repE0EEENS1_30default_config_static_selectorELNS0_4arch9wavefront6targetE1EEEvT1_
		.amdhsa_group_segment_fixed_size 0
		.amdhsa_private_segment_fixed_size 0
		.amdhsa_kernarg_size 56
		.amdhsa_user_sgpr_count 2
		.amdhsa_user_sgpr_dispatch_ptr 0
		.amdhsa_user_sgpr_queue_ptr 0
		.amdhsa_user_sgpr_kernarg_segment_ptr 1
		.amdhsa_user_sgpr_dispatch_id 0
		.amdhsa_user_sgpr_kernarg_preload_length 0
		.amdhsa_user_sgpr_kernarg_preload_offset 0
		.amdhsa_user_sgpr_private_segment_size 0
		.amdhsa_uses_dynamic_stack 0
		.amdhsa_enable_private_segment 0
		.amdhsa_system_sgpr_workgroup_id_x 1
		.amdhsa_system_sgpr_workgroup_id_y 0
		.amdhsa_system_sgpr_workgroup_id_z 0
		.amdhsa_system_sgpr_workgroup_info 0
		.amdhsa_system_vgpr_workitem_id 0
		.amdhsa_next_free_vgpr 1
		.amdhsa_next_free_sgpr 0
		.amdhsa_accum_offset 4
		.amdhsa_reserve_vcc 0
		.amdhsa_float_round_mode_32 0
		.amdhsa_float_round_mode_16_64 0
		.amdhsa_float_denorm_mode_32 3
		.amdhsa_float_denorm_mode_16_64 3
		.amdhsa_dx10_clamp 1
		.amdhsa_ieee_mode 1
		.amdhsa_fp16_overflow 0
		.amdhsa_tg_split 0
		.amdhsa_exception_fp_ieee_invalid_op 0
		.amdhsa_exception_fp_denorm_src 0
		.amdhsa_exception_fp_ieee_div_zero 0
		.amdhsa_exception_fp_ieee_overflow 0
		.amdhsa_exception_fp_ieee_underflow 0
		.amdhsa_exception_fp_ieee_inexact 0
		.amdhsa_exception_int_div_zero 0
	.end_amdhsa_kernel
	.section	.text._ZN7rocprim17ROCPRIM_400000_NS6detail17trampoline_kernelINS0_14default_configENS1_25transform_config_selectorIlLb0EEEZNS1_14transform_implILb0ES3_S5_NS0_18transform_iteratorINS0_17counting_iteratorImlEEZNS1_24adjacent_difference_implIS3_Lb1ELb0EPlSB_ZN2at6native12_GLOBAL__N_124unique_dim_cuda_templateItEESt5tupleIJNSC_6TensorESH_SH_EERKSH_lbbbEUlllE1_EE10hipError_tPvRmT2_T3_mT4_P12ihipStream_tbEUlmE_lEESB_NS0_8identityIvEEEESM_SP_SQ_mSR_ST_bEUlT_E_NS1_11comp_targetILNS1_3genE9ELNS1_11target_archE1100ELNS1_3gpuE3ELNS1_3repE0EEENS1_30default_config_static_selectorELNS0_4arch9wavefront6targetE1EEEvT1_,"axG",@progbits,_ZN7rocprim17ROCPRIM_400000_NS6detail17trampoline_kernelINS0_14default_configENS1_25transform_config_selectorIlLb0EEEZNS1_14transform_implILb0ES3_S5_NS0_18transform_iteratorINS0_17counting_iteratorImlEEZNS1_24adjacent_difference_implIS3_Lb1ELb0EPlSB_ZN2at6native12_GLOBAL__N_124unique_dim_cuda_templateItEESt5tupleIJNSC_6TensorESH_SH_EERKSH_lbbbEUlllE1_EE10hipError_tPvRmT2_T3_mT4_P12ihipStream_tbEUlmE_lEESB_NS0_8identityIvEEEESM_SP_SQ_mSR_ST_bEUlT_E_NS1_11comp_targetILNS1_3genE9ELNS1_11target_archE1100ELNS1_3gpuE3ELNS1_3repE0EEENS1_30default_config_static_selectorELNS0_4arch9wavefront6targetE1EEEvT1_,comdat
.Lfunc_end1409:
	.size	_ZN7rocprim17ROCPRIM_400000_NS6detail17trampoline_kernelINS0_14default_configENS1_25transform_config_selectorIlLb0EEEZNS1_14transform_implILb0ES3_S5_NS0_18transform_iteratorINS0_17counting_iteratorImlEEZNS1_24adjacent_difference_implIS3_Lb1ELb0EPlSB_ZN2at6native12_GLOBAL__N_124unique_dim_cuda_templateItEESt5tupleIJNSC_6TensorESH_SH_EERKSH_lbbbEUlllE1_EE10hipError_tPvRmT2_T3_mT4_P12ihipStream_tbEUlmE_lEESB_NS0_8identityIvEEEESM_SP_SQ_mSR_ST_bEUlT_E_NS1_11comp_targetILNS1_3genE9ELNS1_11target_archE1100ELNS1_3gpuE3ELNS1_3repE0EEENS1_30default_config_static_selectorELNS0_4arch9wavefront6targetE1EEEvT1_, .Lfunc_end1409-_ZN7rocprim17ROCPRIM_400000_NS6detail17trampoline_kernelINS0_14default_configENS1_25transform_config_selectorIlLb0EEEZNS1_14transform_implILb0ES3_S5_NS0_18transform_iteratorINS0_17counting_iteratorImlEEZNS1_24adjacent_difference_implIS3_Lb1ELb0EPlSB_ZN2at6native12_GLOBAL__N_124unique_dim_cuda_templateItEESt5tupleIJNSC_6TensorESH_SH_EERKSH_lbbbEUlllE1_EE10hipError_tPvRmT2_T3_mT4_P12ihipStream_tbEUlmE_lEESB_NS0_8identityIvEEEESM_SP_SQ_mSR_ST_bEUlT_E_NS1_11comp_targetILNS1_3genE9ELNS1_11target_archE1100ELNS1_3gpuE3ELNS1_3repE0EEENS1_30default_config_static_selectorELNS0_4arch9wavefront6targetE1EEEvT1_
                                        ; -- End function
	.set _ZN7rocprim17ROCPRIM_400000_NS6detail17trampoline_kernelINS0_14default_configENS1_25transform_config_selectorIlLb0EEEZNS1_14transform_implILb0ES3_S5_NS0_18transform_iteratorINS0_17counting_iteratorImlEEZNS1_24adjacent_difference_implIS3_Lb1ELb0EPlSB_ZN2at6native12_GLOBAL__N_124unique_dim_cuda_templateItEESt5tupleIJNSC_6TensorESH_SH_EERKSH_lbbbEUlllE1_EE10hipError_tPvRmT2_T3_mT4_P12ihipStream_tbEUlmE_lEESB_NS0_8identityIvEEEESM_SP_SQ_mSR_ST_bEUlT_E_NS1_11comp_targetILNS1_3genE9ELNS1_11target_archE1100ELNS1_3gpuE3ELNS1_3repE0EEENS1_30default_config_static_selectorELNS0_4arch9wavefront6targetE1EEEvT1_.num_vgpr, 0
	.set _ZN7rocprim17ROCPRIM_400000_NS6detail17trampoline_kernelINS0_14default_configENS1_25transform_config_selectorIlLb0EEEZNS1_14transform_implILb0ES3_S5_NS0_18transform_iteratorINS0_17counting_iteratorImlEEZNS1_24adjacent_difference_implIS3_Lb1ELb0EPlSB_ZN2at6native12_GLOBAL__N_124unique_dim_cuda_templateItEESt5tupleIJNSC_6TensorESH_SH_EERKSH_lbbbEUlllE1_EE10hipError_tPvRmT2_T3_mT4_P12ihipStream_tbEUlmE_lEESB_NS0_8identityIvEEEESM_SP_SQ_mSR_ST_bEUlT_E_NS1_11comp_targetILNS1_3genE9ELNS1_11target_archE1100ELNS1_3gpuE3ELNS1_3repE0EEENS1_30default_config_static_selectorELNS0_4arch9wavefront6targetE1EEEvT1_.num_agpr, 0
	.set _ZN7rocprim17ROCPRIM_400000_NS6detail17trampoline_kernelINS0_14default_configENS1_25transform_config_selectorIlLb0EEEZNS1_14transform_implILb0ES3_S5_NS0_18transform_iteratorINS0_17counting_iteratorImlEEZNS1_24adjacent_difference_implIS3_Lb1ELb0EPlSB_ZN2at6native12_GLOBAL__N_124unique_dim_cuda_templateItEESt5tupleIJNSC_6TensorESH_SH_EERKSH_lbbbEUlllE1_EE10hipError_tPvRmT2_T3_mT4_P12ihipStream_tbEUlmE_lEESB_NS0_8identityIvEEEESM_SP_SQ_mSR_ST_bEUlT_E_NS1_11comp_targetILNS1_3genE9ELNS1_11target_archE1100ELNS1_3gpuE3ELNS1_3repE0EEENS1_30default_config_static_selectorELNS0_4arch9wavefront6targetE1EEEvT1_.numbered_sgpr, 0
	.set _ZN7rocprim17ROCPRIM_400000_NS6detail17trampoline_kernelINS0_14default_configENS1_25transform_config_selectorIlLb0EEEZNS1_14transform_implILb0ES3_S5_NS0_18transform_iteratorINS0_17counting_iteratorImlEEZNS1_24adjacent_difference_implIS3_Lb1ELb0EPlSB_ZN2at6native12_GLOBAL__N_124unique_dim_cuda_templateItEESt5tupleIJNSC_6TensorESH_SH_EERKSH_lbbbEUlllE1_EE10hipError_tPvRmT2_T3_mT4_P12ihipStream_tbEUlmE_lEESB_NS0_8identityIvEEEESM_SP_SQ_mSR_ST_bEUlT_E_NS1_11comp_targetILNS1_3genE9ELNS1_11target_archE1100ELNS1_3gpuE3ELNS1_3repE0EEENS1_30default_config_static_selectorELNS0_4arch9wavefront6targetE1EEEvT1_.num_named_barrier, 0
	.set _ZN7rocprim17ROCPRIM_400000_NS6detail17trampoline_kernelINS0_14default_configENS1_25transform_config_selectorIlLb0EEEZNS1_14transform_implILb0ES3_S5_NS0_18transform_iteratorINS0_17counting_iteratorImlEEZNS1_24adjacent_difference_implIS3_Lb1ELb0EPlSB_ZN2at6native12_GLOBAL__N_124unique_dim_cuda_templateItEESt5tupleIJNSC_6TensorESH_SH_EERKSH_lbbbEUlllE1_EE10hipError_tPvRmT2_T3_mT4_P12ihipStream_tbEUlmE_lEESB_NS0_8identityIvEEEESM_SP_SQ_mSR_ST_bEUlT_E_NS1_11comp_targetILNS1_3genE9ELNS1_11target_archE1100ELNS1_3gpuE3ELNS1_3repE0EEENS1_30default_config_static_selectorELNS0_4arch9wavefront6targetE1EEEvT1_.private_seg_size, 0
	.set _ZN7rocprim17ROCPRIM_400000_NS6detail17trampoline_kernelINS0_14default_configENS1_25transform_config_selectorIlLb0EEEZNS1_14transform_implILb0ES3_S5_NS0_18transform_iteratorINS0_17counting_iteratorImlEEZNS1_24adjacent_difference_implIS3_Lb1ELb0EPlSB_ZN2at6native12_GLOBAL__N_124unique_dim_cuda_templateItEESt5tupleIJNSC_6TensorESH_SH_EERKSH_lbbbEUlllE1_EE10hipError_tPvRmT2_T3_mT4_P12ihipStream_tbEUlmE_lEESB_NS0_8identityIvEEEESM_SP_SQ_mSR_ST_bEUlT_E_NS1_11comp_targetILNS1_3genE9ELNS1_11target_archE1100ELNS1_3gpuE3ELNS1_3repE0EEENS1_30default_config_static_selectorELNS0_4arch9wavefront6targetE1EEEvT1_.uses_vcc, 0
	.set _ZN7rocprim17ROCPRIM_400000_NS6detail17trampoline_kernelINS0_14default_configENS1_25transform_config_selectorIlLb0EEEZNS1_14transform_implILb0ES3_S5_NS0_18transform_iteratorINS0_17counting_iteratorImlEEZNS1_24adjacent_difference_implIS3_Lb1ELb0EPlSB_ZN2at6native12_GLOBAL__N_124unique_dim_cuda_templateItEESt5tupleIJNSC_6TensorESH_SH_EERKSH_lbbbEUlllE1_EE10hipError_tPvRmT2_T3_mT4_P12ihipStream_tbEUlmE_lEESB_NS0_8identityIvEEEESM_SP_SQ_mSR_ST_bEUlT_E_NS1_11comp_targetILNS1_3genE9ELNS1_11target_archE1100ELNS1_3gpuE3ELNS1_3repE0EEENS1_30default_config_static_selectorELNS0_4arch9wavefront6targetE1EEEvT1_.uses_flat_scratch, 0
	.set _ZN7rocprim17ROCPRIM_400000_NS6detail17trampoline_kernelINS0_14default_configENS1_25transform_config_selectorIlLb0EEEZNS1_14transform_implILb0ES3_S5_NS0_18transform_iteratorINS0_17counting_iteratorImlEEZNS1_24adjacent_difference_implIS3_Lb1ELb0EPlSB_ZN2at6native12_GLOBAL__N_124unique_dim_cuda_templateItEESt5tupleIJNSC_6TensorESH_SH_EERKSH_lbbbEUlllE1_EE10hipError_tPvRmT2_T3_mT4_P12ihipStream_tbEUlmE_lEESB_NS0_8identityIvEEEESM_SP_SQ_mSR_ST_bEUlT_E_NS1_11comp_targetILNS1_3genE9ELNS1_11target_archE1100ELNS1_3gpuE3ELNS1_3repE0EEENS1_30default_config_static_selectorELNS0_4arch9wavefront6targetE1EEEvT1_.has_dyn_sized_stack, 0
	.set _ZN7rocprim17ROCPRIM_400000_NS6detail17trampoline_kernelINS0_14default_configENS1_25transform_config_selectorIlLb0EEEZNS1_14transform_implILb0ES3_S5_NS0_18transform_iteratorINS0_17counting_iteratorImlEEZNS1_24adjacent_difference_implIS3_Lb1ELb0EPlSB_ZN2at6native12_GLOBAL__N_124unique_dim_cuda_templateItEESt5tupleIJNSC_6TensorESH_SH_EERKSH_lbbbEUlllE1_EE10hipError_tPvRmT2_T3_mT4_P12ihipStream_tbEUlmE_lEESB_NS0_8identityIvEEEESM_SP_SQ_mSR_ST_bEUlT_E_NS1_11comp_targetILNS1_3genE9ELNS1_11target_archE1100ELNS1_3gpuE3ELNS1_3repE0EEENS1_30default_config_static_selectorELNS0_4arch9wavefront6targetE1EEEvT1_.has_recursion, 0
	.set _ZN7rocprim17ROCPRIM_400000_NS6detail17trampoline_kernelINS0_14default_configENS1_25transform_config_selectorIlLb0EEEZNS1_14transform_implILb0ES3_S5_NS0_18transform_iteratorINS0_17counting_iteratorImlEEZNS1_24adjacent_difference_implIS3_Lb1ELb0EPlSB_ZN2at6native12_GLOBAL__N_124unique_dim_cuda_templateItEESt5tupleIJNSC_6TensorESH_SH_EERKSH_lbbbEUlllE1_EE10hipError_tPvRmT2_T3_mT4_P12ihipStream_tbEUlmE_lEESB_NS0_8identityIvEEEESM_SP_SQ_mSR_ST_bEUlT_E_NS1_11comp_targetILNS1_3genE9ELNS1_11target_archE1100ELNS1_3gpuE3ELNS1_3repE0EEENS1_30default_config_static_selectorELNS0_4arch9wavefront6targetE1EEEvT1_.has_indirect_call, 0
	.section	.AMDGPU.csdata,"",@progbits
; Kernel info:
; codeLenInByte = 0
; TotalNumSgprs: 6
; NumVgprs: 0
; NumAgprs: 0
; TotalNumVgprs: 0
; ScratchSize: 0
; MemoryBound: 0
; FloatMode: 240
; IeeeMode: 1
; LDSByteSize: 0 bytes/workgroup (compile time only)
; SGPRBlocks: 0
; VGPRBlocks: 0
; NumSGPRsForWavesPerEU: 6
; NumVGPRsForWavesPerEU: 1
; AccumOffset: 4
; Occupancy: 8
; WaveLimiterHint : 0
; COMPUTE_PGM_RSRC2:SCRATCH_EN: 0
; COMPUTE_PGM_RSRC2:USER_SGPR: 2
; COMPUTE_PGM_RSRC2:TRAP_HANDLER: 0
; COMPUTE_PGM_RSRC2:TGID_X_EN: 1
; COMPUTE_PGM_RSRC2:TGID_Y_EN: 0
; COMPUTE_PGM_RSRC2:TGID_Z_EN: 0
; COMPUTE_PGM_RSRC2:TIDIG_COMP_CNT: 0
; COMPUTE_PGM_RSRC3_GFX90A:ACCUM_OFFSET: 0
; COMPUTE_PGM_RSRC3_GFX90A:TG_SPLIT: 0
	.section	.text._ZN7rocprim17ROCPRIM_400000_NS6detail17trampoline_kernelINS0_14default_configENS1_25transform_config_selectorIlLb0EEEZNS1_14transform_implILb0ES3_S5_NS0_18transform_iteratorINS0_17counting_iteratorImlEEZNS1_24adjacent_difference_implIS3_Lb1ELb0EPlSB_ZN2at6native12_GLOBAL__N_124unique_dim_cuda_templateItEESt5tupleIJNSC_6TensorESH_SH_EERKSH_lbbbEUlllE1_EE10hipError_tPvRmT2_T3_mT4_P12ihipStream_tbEUlmE_lEESB_NS0_8identityIvEEEESM_SP_SQ_mSR_ST_bEUlT_E_NS1_11comp_targetILNS1_3genE8ELNS1_11target_archE1030ELNS1_3gpuE2ELNS1_3repE0EEENS1_30default_config_static_selectorELNS0_4arch9wavefront6targetE1EEEvT1_,"axG",@progbits,_ZN7rocprim17ROCPRIM_400000_NS6detail17trampoline_kernelINS0_14default_configENS1_25transform_config_selectorIlLb0EEEZNS1_14transform_implILb0ES3_S5_NS0_18transform_iteratorINS0_17counting_iteratorImlEEZNS1_24adjacent_difference_implIS3_Lb1ELb0EPlSB_ZN2at6native12_GLOBAL__N_124unique_dim_cuda_templateItEESt5tupleIJNSC_6TensorESH_SH_EERKSH_lbbbEUlllE1_EE10hipError_tPvRmT2_T3_mT4_P12ihipStream_tbEUlmE_lEESB_NS0_8identityIvEEEESM_SP_SQ_mSR_ST_bEUlT_E_NS1_11comp_targetILNS1_3genE8ELNS1_11target_archE1030ELNS1_3gpuE2ELNS1_3repE0EEENS1_30default_config_static_selectorELNS0_4arch9wavefront6targetE1EEEvT1_,comdat
	.globl	_ZN7rocprim17ROCPRIM_400000_NS6detail17trampoline_kernelINS0_14default_configENS1_25transform_config_selectorIlLb0EEEZNS1_14transform_implILb0ES3_S5_NS0_18transform_iteratorINS0_17counting_iteratorImlEEZNS1_24adjacent_difference_implIS3_Lb1ELb0EPlSB_ZN2at6native12_GLOBAL__N_124unique_dim_cuda_templateItEESt5tupleIJNSC_6TensorESH_SH_EERKSH_lbbbEUlllE1_EE10hipError_tPvRmT2_T3_mT4_P12ihipStream_tbEUlmE_lEESB_NS0_8identityIvEEEESM_SP_SQ_mSR_ST_bEUlT_E_NS1_11comp_targetILNS1_3genE8ELNS1_11target_archE1030ELNS1_3gpuE2ELNS1_3repE0EEENS1_30default_config_static_selectorELNS0_4arch9wavefront6targetE1EEEvT1_ ; -- Begin function _ZN7rocprim17ROCPRIM_400000_NS6detail17trampoline_kernelINS0_14default_configENS1_25transform_config_selectorIlLb0EEEZNS1_14transform_implILb0ES3_S5_NS0_18transform_iteratorINS0_17counting_iteratorImlEEZNS1_24adjacent_difference_implIS3_Lb1ELb0EPlSB_ZN2at6native12_GLOBAL__N_124unique_dim_cuda_templateItEESt5tupleIJNSC_6TensorESH_SH_EERKSH_lbbbEUlllE1_EE10hipError_tPvRmT2_T3_mT4_P12ihipStream_tbEUlmE_lEESB_NS0_8identityIvEEEESM_SP_SQ_mSR_ST_bEUlT_E_NS1_11comp_targetILNS1_3genE8ELNS1_11target_archE1030ELNS1_3gpuE2ELNS1_3repE0EEENS1_30default_config_static_selectorELNS0_4arch9wavefront6targetE1EEEvT1_
	.p2align	8
	.type	_ZN7rocprim17ROCPRIM_400000_NS6detail17trampoline_kernelINS0_14default_configENS1_25transform_config_selectorIlLb0EEEZNS1_14transform_implILb0ES3_S5_NS0_18transform_iteratorINS0_17counting_iteratorImlEEZNS1_24adjacent_difference_implIS3_Lb1ELb0EPlSB_ZN2at6native12_GLOBAL__N_124unique_dim_cuda_templateItEESt5tupleIJNSC_6TensorESH_SH_EERKSH_lbbbEUlllE1_EE10hipError_tPvRmT2_T3_mT4_P12ihipStream_tbEUlmE_lEESB_NS0_8identityIvEEEESM_SP_SQ_mSR_ST_bEUlT_E_NS1_11comp_targetILNS1_3genE8ELNS1_11target_archE1030ELNS1_3gpuE2ELNS1_3repE0EEENS1_30default_config_static_selectorELNS0_4arch9wavefront6targetE1EEEvT1_,@function
_ZN7rocprim17ROCPRIM_400000_NS6detail17trampoline_kernelINS0_14default_configENS1_25transform_config_selectorIlLb0EEEZNS1_14transform_implILb0ES3_S5_NS0_18transform_iteratorINS0_17counting_iteratorImlEEZNS1_24adjacent_difference_implIS3_Lb1ELb0EPlSB_ZN2at6native12_GLOBAL__N_124unique_dim_cuda_templateItEESt5tupleIJNSC_6TensorESH_SH_EERKSH_lbbbEUlllE1_EE10hipError_tPvRmT2_T3_mT4_P12ihipStream_tbEUlmE_lEESB_NS0_8identityIvEEEESM_SP_SQ_mSR_ST_bEUlT_E_NS1_11comp_targetILNS1_3genE8ELNS1_11target_archE1030ELNS1_3gpuE2ELNS1_3repE0EEENS1_30default_config_static_selectorELNS0_4arch9wavefront6targetE1EEEvT1_: ; @_ZN7rocprim17ROCPRIM_400000_NS6detail17trampoline_kernelINS0_14default_configENS1_25transform_config_selectorIlLb0EEEZNS1_14transform_implILb0ES3_S5_NS0_18transform_iteratorINS0_17counting_iteratorImlEEZNS1_24adjacent_difference_implIS3_Lb1ELb0EPlSB_ZN2at6native12_GLOBAL__N_124unique_dim_cuda_templateItEESt5tupleIJNSC_6TensorESH_SH_EERKSH_lbbbEUlllE1_EE10hipError_tPvRmT2_T3_mT4_P12ihipStream_tbEUlmE_lEESB_NS0_8identityIvEEEESM_SP_SQ_mSR_ST_bEUlT_E_NS1_11comp_targetILNS1_3genE8ELNS1_11target_archE1030ELNS1_3gpuE2ELNS1_3repE0EEENS1_30default_config_static_selectorELNS0_4arch9wavefront6targetE1EEEvT1_
; %bb.0:
	.section	.rodata,"a",@progbits
	.p2align	6, 0x0
	.amdhsa_kernel _ZN7rocprim17ROCPRIM_400000_NS6detail17trampoline_kernelINS0_14default_configENS1_25transform_config_selectorIlLb0EEEZNS1_14transform_implILb0ES3_S5_NS0_18transform_iteratorINS0_17counting_iteratorImlEEZNS1_24adjacent_difference_implIS3_Lb1ELb0EPlSB_ZN2at6native12_GLOBAL__N_124unique_dim_cuda_templateItEESt5tupleIJNSC_6TensorESH_SH_EERKSH_lbbbEUlllE1_EE10hipError_tPvRmT2_T3_mT4_P12ihipStream_tbEUlmE_lEESB_NS0_8identityIvEEEESM_SP_SQ_mSR_ST_bEUlT_E_NS1_11comp_targetILNS1_3genE8ELNS1_11target_archE1030ELNS1_3gpuE2ELNS1_3repE0EEENS1_30default_config_static_selectorELNS0_4arch9wavefront6targetE1EEEvT1_
		.amdhsa_group_segment_fixed_size 0
		.amdhsa_private_segment_fixed_size 0
		.amdhsa_kernarg_size 56
		.amdhsa_user_sgpr_count 2
		.amdhsa_user_sgpr_dispatch_ptr 0
		.amdhsa_user_sgpr_queue_ptr 0
		.amdhsa_user_sgpr_kernarg_segment_ptr 1
		.amdhsa_user_sgpr_dispatch_id 0
		.amdhsa_user_sgpr_kernarg_preload_length 0
		.amdhsa_user_sgpr_kernarg_preload_offset 0
		.amdhsa_user_sgpr_private_segment_size 0
		.amdhsa_uses_dynamic_stack 0
		.amdhsa_enable_private_segment 0
		.amdhsa_system_sgpr_workgroup_id_x 1
		.amdhsa_system_sgpr_workgroup_id_y 0
		.amdhsa_system_sgpr_workgroup_id_z 0
		.amdhsa_system_sgpr_workgroup_info 0
		.amdhsa_system_vgpr_workitem_id 0
		.amdhsa_next_free_vgpr 1
		.amdhsa_next_free_sgpr 0
		.amdhsa_accum_offset 4
		.amdhsa_reserve_vcc 0
		.amdhsa_float_round_mode_32 0
		.amdhsa_float_round_mode_16_64 0
		.amdhsa_float_denorm_mode_32 3
		.amdhsa_float_denorm_mode_16_64 3
		.amdhsa_dx10_clamp 1
		.amdhsa_ieee_mode 1
		.amdhsa_fp16_overflow 0
		.amdhsa_tg_split 0
		.amdhsa_exception_fp_ieee_invalid_op 0
		.amdhsa_exception_fp_denorm_src 0
		.amdhsa_exception_fp_ieee_div_zero 0
		.amdhsa_exception_fp_ieee_overflow 0
		.amdhsa_exception_fp_ieee_underflow 0
		.amdhsa_exception_fp_ieee_inexact 0
		.amdhsa_exception_int_div_zero 0
	.end_amdhsa_kernel
	.section	.text._ZN7rocprim17ROCPRIM_400000_NS6detail17trampoline_kernelINS0_14default_configENS1_25transform_config_selectorIlLb0EEEZNS1_14transform_implILb0ES3_S5_NS0_18transform_iteratorINS0_17counting_iteratorImlEEZNS1_24adjacent_difference_implIS3_Lb1ELb0EPlSB_ZN2at6native12_GLOBAL__N_124unique_dim_cuda_templateItEESt5tupleIJNSC_6TensorESH_SH_EERKSH_lbbbEUlllE1_EE10hipError_tPvRmT2_T3_mT4_P12ihipStream_tbEUlmE_lEESB_NS0_8identityIvEEEESM_SP_SQ_mSR_ST_bEUlT_E_NS1_11comp_targetILNS1_3genE8ELNS1_11target_archE1030ELNS1_3gpuE2ELNS1_3repE0EEENS1_30default_config_static_selectorELNS0_4arch9wavefront6targetE1EEEvT1_,"axG",@progbits,_ZN7rocprim17ROCPRIM_400000_NS6detail17trampoline_kernelINS0_14default_configENS1_25transform_config_selectorIlLb0EEEZNS1_14transform_implILb0ES3_S5_NS0_18transform_iteratorINS0_17counting_iteratorImlEEZNS1_24adjacent_difference_implIS3_Lb1ELb0EPlSB_ZN2at6native12_GLOBAL__N_124unique_dim_cuda_templateItEESt5tupleIJNSC_6TensorESH_SH_EERKSH_lbbbEUlllE1_EE10hipError_tPvRmT2_T3_mT4_P12ihipStream_tbEUlmE_lEESB_NS0_8identityIvEEEESM_SP_SQ_mSR_ST_bEUlT_E_NS1_11comp_targetILNS1_3genE8ELNS1_11target_archE1030ELNS1_3gpuE2ELNS1_3repE0EEENS1_30default_config_static_selectorELNS0_4arch9wavefront6targetE1EEEvT1_,comdat
.Lfunc_end1410:
	.size	_ZN7rocprim17ROCPRIM_400000_NS6detail17trampoline_kernelINS0_14default_configENS1_25transform_config_selectorIlLb0EEEZNS1_14transform_implILb0ES3_S5_NS0_18transform_iteratorINS0_17counting_iteratorImlEEZNS1_24adjacent_difference_implIS3_Lb1ELb0EPlSB_ZN2at6native12_GLOBAL__N_124unique_dim_cuda_templateItEESt5tupleIJNSC_6TensorESH_SH_EERKSH_lbbbEUlllE1_EE10hipError_tPvRmT2_T3_mT4_P12ihipStream_tbEUlmE_lEESB_NS0_8identityIvEEEESM_SP_SQ_mSR_ST_bEUlT_E_NS1_11comp_targetILNS1_3genE8ELNS1_11target_archE1030ELNS1_3gpuE2ELNS1_3repE0EEENS1_30default_config_static_selectorELNS0_4arch9wavefront6targetE1EEEvT1_, .Lfunc_end1410-_ZN7rocprim17ROCPRIM_400000_NS6detail17trampoline_kernelINS0_14default_configENS1_25transform_config_selectorIlLb0EEEZNS1_14transform_implILb0ES3_S5_NS0_18transform_iteratorINS0_17counting_iteratorImlEEZNS1_24adjacent_difference_implIS3_Lb1ELb0EPlSB_ZN2at6native12_GLOBAL__N_124unique_dim_cuda_templateItEESt5tupleIJNSC_6TensorESH_SH_EERKSH_lbbbEUlllE1_EE10hipError_tPvRmT2_T3_mT4_P12ihipStream_tbEUlmE_lEESB_NS0_8identityIvEEEESM_SP_SQ_mSR_ST_bEUlT_E_NS1_11comp_targetILNS1_3genE8ELNS1_11target_archE1030ELNS1_3gpuE2ELNS1_3repE0EEENS1_30default_config_static_selectorELNS0_4arch9wavefront6targetE1EEEvT1_
                                        ; -- End function
	.set _ZN7rocprim17ROCPRIM_400000_NS6detail17trampoline_kernelINS0_14default_configENS1_25transform_config_selectorIlLb0EEEZNS1_14transform_implILb0ES3_S5_NS0_18transform_iteratorINS0_17counting_iteratorImlEEZNS1_24adjacent_difference_implIS3_Lb1ELb0EPlSB_ZN2at6native12_GLOBAL__N_124unique_dim_cuda_templateItEESt5tupleIJNSC_6TensorESH_SH_EERKSH_lbbbEUlllE1_EE10hipError_tPvRmT2_T3_mT4_P12ihipStream_tbEUlmE_lEESB_NS0_8identityIvEEEESM_SP_SQ_mSR_ST_bEUlT_E_NS1_11comp_targetILNS1_3genE8ELNS1_11target_archE1030ELNS1_3gpuE2ELNS1_3repE0EEENS1_30default_config_static_selectorELNS0_4arch9wavefront6targetE1EEEvT1_.num_vgpr, 0
	.set _ZN7rocprim17ROCPRIM_400000_NS6detail17trampoline_kernelINS0_14default_configENS1_25transform_config_selectorIlLb0EEEZNS1_14transform_implILb0ES3_S5_NS0_18transform_iteratorINS0_17counting_iteratorImlEEZNS1_24adjacent_difference_implIS3_Lb1ELb0EPlSB_ZN2at6native12_GLOBAL__N_124unique_dim_cuda_templateItEESt5tupleIJNSC_6TensorESH_SH_EERKSH_lbbbEUlllE1_EE10hipError_tPvRmT2_T3_mT4_P12ihipStream_tbEUlmE_lEESB_NS0_8identityIvEEEESM_SP_SQ_mSR_ST_bEUlT_E_NS1_11comp_targetILNS1_3genE8ELNS1_11target_archE1030ELNS1_3gpuE2ELNS1_3repE0EEENS1_30default_config_static_selectorELNS0_4arch9wavefront6targetE1EEEvT1_.num_agpr, 0
	.set _ZN7rocprim17ROCPRIM_400000_NS6detail17trampoline_kernelINS0_14default_configENS1_25transform_config_selectorIlLb0EEEZNS1_14transform_implILb0ES3_S5_NS0_18transform_iteratorINS0_17counting_iteratorImlEEZNS1_24adjacent_difference_implIS3_Lb1ELb0EPlSB_ZN2at6native12_GLOBAL__N_124unique_dim_cuda_templateItEESt5tupleIJNSC_6TensorESH_SH_EERKSH_lbbbEUlllE1_EE10hipError_tPvRmT2_T3_mT4_P12ihipStream_tbEUlmE_lEESB_NS0_8identityIvEEEESM_SP_SQ_mSR_ST_bEUlT_E_NS1_11comp_targetILNS1_3genE8ELNS1_11target_archE1030ELNS1_3gpuE2ELNS1_3repE0EEENS1_30default_config_static_selectorELNS0_4arch9wavefront6targetE1EEEvT1_.numbered_sgpr, 0
	.set _ZN7rocprim17ROCPRIM_400000_NS6detail17trampoline_kernelINS0_14default_configENS1_25transform_config_selectorIlLb0EEEZNS1_14transform_implILb0ES3_S5_NS0_18transform_iteratorINS0_17counting_iteratorImlEEZNS1_24adjacent_difference_implIS3_Lb1ELb0EPlSB_ZN2at6native12_GLOBAL__N_124unique_dim_cuda_templateItEESt5tupleIJNSC_6TensorESH_SH_EERKSH_lbbbEUlllE1_EE10hipError_tPvRmT2_T3_mT4_P12ihipStream_tbEUlmE_lEESB_NS0_8identityIvEEEESM_SP_SQ_mSR_ST_bEUlT_E_NS1_11comp_targetILNS1_3genE8ELNS1_11target_archE1030ELNS1_3gpuE2ELNS1_3repE0EEENS1_30default_config_static_selectorELNS0_4arch9wavefront6targetE1EEEvT1_.num_named_barrier, 0
	.set _ZN7rocprim17ROCPRIM_400000_NS6detail17trampoline_kernelINS0_14default_configENS1_25transform_config_selectorIlLb0EEEZNS1_14transform_implILb0ES3_S5_NS0_18transform_iteratorINS0_17counting_iteratorImlEEZNS1_24adjacent_difference_implIS3_Lb1ELb0EPlSB_ZN2at6native12_GLOBAL__N_124unique_dim_cuda_templateItEESt5tupleIJNSC_6TensorESH_SH_EERKSH_lbbbEUlllE1_EE10hipError_tPvRmT2_T3_mT4_P12ihipStream_tbEUlmE_lEESB_NS0_8identityIvEEEESM_SP_SQ_mSR_ST_bEUlT_E_NS1_11comp_targetILNS1_3genE8ELNS1_11target_archE1030ELNS1_3gpuE2ELNS1_3repE0EEENS1_30default_config_static_selectorELNS0_4arch9wavefront6targetE1EEEvT1_.private_seg_size, 0
	.set _ZN7rocprim17ROCPRIM_400000_NS6detail17trampoline_kernelINS0_14default_configENS1_25transform_config_selectorIlLb0EEEZNS1_14transform_implILb0ES3_S5_NS0_18transform_iteratorINS0_17counting_iteratorImlEEZNS1_24adjacent_difference_implIS3_Lb1ELb0EPlSB_ZN2at6native12_GLOBAL__N_124unique_dim_cuda_templateItEESt5tupleIJNSC_6TensorESH_SH_EERKSH_lbbbEUlllE1_EE10hipError_tPvRmT2_T3_mT4_P12ihipStream_tbEUlmE_lEESB_NS0_8identityIvEEEESM_SP_SQ_mSR_ST_bEUlT_E_NS1_11comp_targetILNS1_3genE8ELNS1_11target_archE1030ELNS1_3gpuE2ELNS1_3repE0EEENS1_30default_config_static_selectorELNS0_4arch9wavefront6targetE1EEEvT1_.uses_vcc, 0
	.set _ZN7rocprim17ROCPRIM_400000_NS6detail17trampoline_kernelINS0_14default_configENS1_25transform_config_selectorIlLb0EEEZNS1_14transform_implILb0ES3_S5_NS0_18transform_iteratorINS0_17counting_iteratorImlEEZNS1_24adjacent_difference_implIS3_Lb1ELb0EPlSB_ZN2at6native12_GLOBAL__N_124unique_dim_cuda_templateItEESt5tupleIJNSC_6TensorESH_SH_EERKSH_lbbbEUlllE1_EE10hipError_tPvRmT2_T3_mT4_P12ihipStream_tbEUlmE_lEESB_NS0_8identityIvEEEESM_SP_SQ_mSR_ST_bEUlT_E_NS1_11comp_targetILNS1_3genE8ELNS1_11target_archE1030ELNS1_3gpuE2ELNS1_3repE0EEENS1_30default_config_static_selectorELNS0_4arch9wavefront6targetE1EEEvT1_.uses_flat_scratch, 0
	.set _ZN7rocprim17ROCPRIM_400000_NS6detail17trampoline_kernelINS0_14default_configENS1_25transform_config_selectorIlLb0EEEZNS1_14transform_implILb0ES3_S5_NS0_18transform_iteratorINS0_17counting_iteratorImlEEZNS1_24adjacent_difference_implIS3_Lb1ELb0EPlSB_ZN2at6native12_GLOBAL__N_124unique_dim_cuda_templateItEESt5tupleIJNSC_6TensorESH_SH_EERKSH_lbbbEUlllE1_EE10hipError_tPvRmT2_T3_mT4_P12ihipStream_tbEUlmE_lEESB_NS0_8identityIvEEEESM_SP_SQ_mSR_ST_bEUlT_E_NS1_11comp_targetILNS1_3genE8ELNS1_11target_archE1030ELNS1_3gpuE2ELNS1_3repE0EEENS1_30default_config_static_selectorELNS0_4arch9wavefront6targetE1EEEvT1_.has_dyn_sized_stack, 0
	.set _ZN7rocprim17ROCPRIM_400000_NS6detail17trampoline_kernelINS0_14default_configENS1_25transform_config_selectorIlLb0EEEZNS1_14transform_implILb0ES3_S5_NS0_18transform_iteratorINS0_17counting_iteratorImlEEZNS1_24adjacent_difference_implIS3_Lb1ELb0EPlSB_ZN2at6native12_GLOBAL__N_124unique_dim_cuda_templateItEESt5tupleIJNSC_6TensorESH_SH_EERKSH_lbbbEUlllE1_EE10hipError_tPvRmT2_T3_mT4_P12ihipStream_tbEUlmE_lEESB_NS0_8identityIvEEEESM_SP_SQ_mSR_ST_bEUlT_E_NS1_11comp_targetILNS1_3genE8ELNS1_11target_archE1030ELNS1_3gpuE2ELNS1_3repE0EEENS1_30default_config_static_selectorELNS0_4arch9wavefront6targetE1EEEvT1_.has_recursion, 0
	.set _ZN7rocprim17ROCPRIM_400000_NS6detail17trampoline_kernelINS0_14default_configENS1_25transform_config_selectorIlLb0EEEZNS1_14transform_implILb0ES3_S5_NS0_18transform_iteratorINS0_17counting_iteratorImlEEZNS1_24adjacent_difference_implIS3_Lb1ELb0EPlSB_ZN2at6native12_GLOBAL__N_124unique_dim_cuda_templateItEESt5tupleIJNSC_6TensorESH_SH_EERKSH_lbbbEUlllE1_EE10hipError_tPvRmT2_T3_mT4_P12ihipStream_tbEUlmE_lEESB_NS0_8identityIvEEEESM_SP_SQ_mSR_ST_bEUlT_E_NS1_11comp_targetILNS1_3genE8ELNS1_11target_archE1030ELNS1_3gpuE2ELNS1_3repE0EEENS1_30default_config_static_selectorELNS0_4arch9wavefront6targetE1EEEvT1_.has_indirect_call, 0
	.section	.AMDGPU.csdata,"",@progbits
; Kernel info:
; codeLenInByte = 0
; TotalNumSgprs: 6
; NumVgprs: 0
; NumAgprs: 0
; TotalNumVgprs: 0
; ScratchSize: 0
; MemoryBound: 0
; FloatMode: 240
; IeeeMode: 1
; LDSByteSize: 0 bytes/workgroup (compile time only)
; SGPRBlocks: 0
; VGPRBlocks: 0
; NumSGPRsForWavesPerEU: 6
; NumVGPRsForWavesPerEU: 1
; AccumOffset: 4
; Occupancy: 8
; WaveLimiterHint : 0
; COMPUTE_PGM_RSRC2:SCRATCH_EN: 0
; COMPUTE_PGM_RSRC2:USER_SGPR: 2
; COMPUTE_PGM_RSRC2:TRAP_HANDLER: 0
; COMPUTE_PGM_RSRC2:TGID_X_EN: 1
; COMPUTE_PGM_RSRC2:TGID_Y_EN: 0
; COMPUTE_PGM_RSRC2:TGID_Z_EN: 0
; COMPUTE_PGM_RSRC2:TIDIG_COMP_CNT: 0
; COMPUTE_PGM_RSRC3_GFX90A:ACCUM_OFFSET: 0
; COMPUTE_PGM_RSRC3_GFX90A:TG_SPLIT: 0
	.section	.text._ZN7rocprim17ROCPRIM_400000_NS6detail17trampoline_kernelINS0_14default_configENS1_35adjacent_difference_config_selectorILb1ElEEZNS1_24adjacent_difference_implIS3_Lb1ELb0EPlS7_ZN2at6native12_GLOBAL__N_124unique_dim_cuda_templateItEESt5tupleIJNS8_6TensorESD_SD_EERKSD_lbbbEUlllE1_EE10hipError_tPvRmT2_T3_mT4_P12ihipStream_tbEUlT_E_NS1_11comp_targetILNS1_3genE0ELNS1_11target_archE4294967295ELNS1_3gpuE0ELNS1_3repE0EEENS1_30default_config_static_selectorELNS0_4arch9wavefront6targetE1EEEvT1_,"axG",@progbits,_ZN7rocprim17ROCPRIM_400000_NS6detail17trampoline_kernelINS0_14default_configENS1_35adjacent_difference_config_selectorILb1ElEEZNS1_24adjacent_difference_implIS3_Lb1ELb0EPlS7_ZN2at6native12_GLOBAL__N_124unique_dim_cuda_templateItEESt5tupleIJNS8_6TensorESD_SD_EERKSD_lbbbEUlllE1_EE10hipError_tPvRmT2_T3_mT4_P12ihipStream_tbEUlT_E_NS1_11comp_targetILNS1_3genE0ELNS1_11target_archE4294967295ELNS1_3gpuE0ELNS1_3repE0EEENS1_30default_config_static_selectorELNS0_4arch9wavefront6targetE1EEEvT1_,comdat
	.globl	_ZN7rocprim17ROCPRIM_400000_NS6detail17trampoline_kernelINS0_14default_configENS1_35adjacent_difference_config_selectorILb1ElEEZNS1_24adjacent_difference_implIS3_Lb1ELb0EPlS7_ZN2at6native12_GLOBAL__N_124unique_dim_cuda_templateItEESt5tupleIJNS8_6TensorESD_SD_EERKSD_lbbbEUlllE1_EE10hipError_tPvRmT2_T3_mT4_P12ihipStream_tbEUlT_E_NS1_11comp_targetILNS1_3genE0ELNS1_11target_archE4294967295ELNS1_3gpuE0ELNS1_3repE0EEENS1_30default_config_static_selectorELNS0_4arch9wavefront6targetE1EEEvT1_ ; -- Begin function _ZN7rocprim17ROCPRIM_400000_NS6detail17trampoline_kernelINS0_14default_configENS1_35adjacent_difference_config_selectorILb1ElEEZNS1_24adjacent_difference_implIS3_Lb1ELb0EPlS7_ZN2at6native12_GLOBAL__N_124unique_dim_cuda_templateItEESt5tupleIJNS8_6TensorESD_SD_EERKSD_lbbbEUlllE1_EE10hipError_tPvRmT2_T3_mT4_P12ihipStream_tbEUlT_E_NS1_11comp_targetILNS1_3genE0ELNS1_11target_archE4294967295ELNS1_3gpuE0ELNS1_3repE0EEENS1_30default_config_static_selectorELNS0_4arch9wavefront6targetE1EEEvT1_
	.p2align	8
	.type	_ZN7rocprim17ROCPRIM_400000_NS6detail17trampoline_kernelINS0_14default_configENS1_35adjacent_difference_config_selectorILb1ElEEZNS1_24adjacent_difference_implIS3_Lb1ELb0EPlS7_ZN2at6native12_GLOBAL__N_124unique_dim_cuda_templateItEESt5tupleIJNS8_6TensorESD_SD_EERKSD_lbbbEUlllE1_EE10hipError_tPvRmT2_T3_mT4_P12ihipStream_tbEUlT_E_NS1_11comp_targetILNS1_3genE0ELNS1_11target_archE4294967295ELNS1_3gpuE0ELNS1_3repE0EEENS1_30default_config_static_selectorELNS0_4arch9wavefront6targetE1EEEvT1_,@function
_ZN7rocprim17ROCPRIM_400000_NS6detail17trampoline_kernelINS0_14default_configENS1_35adjacent_difference_config_selectorILb1ElEEZNS1_24adjacent_difference_implIS3_Lb1ELb0EPlS7_ZN2at6native12_GLOBAL__N_124unique_dim_cuda_templateItEESt5tupleIJNS8_6TensorESD_SD_EERKSD_lbbbEUlllE1_EE10hipError_tPvRmT2_T3_mT4_P12ihipStream_tbEUlT_E_NS1_11comp_targetILNS1_3genE0ELNS1_11target_archE4294967295ELNS1_3gpuE0ELNS1_3repE0EEENS1_30default_config_static_selectorELNS0_4arch9wavefront6targetE1EEEvT1_: ; @_ZN7rocprim17ROCPRIM_400000_NS6detail17trampoline_kernelINS0_14default_configENS1_35adjacent_difference_config_selectorILb1ElEEZNS1_24adjacent_difference_implIS3_Lb1ELb0EPlS7_ZN2at6native12_GLOBAL__N_124unique_dim_cuda_templateItEESt5tupleIJNS8_6TensorESD_SD_EERKSD_lbbbEUlllE1_EE10hipError_tPvRmT2_T3_mT4_P12ihipStream_tbEUlT_E_NS1_11comp_targetILNS1_3genE0ELNS1_11target_archE4294967295ELNS1_3gpuE0ELNS1_3repE0EEENS1_30default_config_static_selectorELNS0_4arch9wavefront6targetE1EEEvT1_
; %bb.0:
	s_load_dwordx16 s[4:19], s[0:1], 0x0
	s_mov_b32 s25, 0
	s_mov_b64 s[26:27], -1
	s_waitcnt lgkmcnt(0)
	s_lshl_b64 s[6:7], s[6:7], 3
	s_add_u32 s30, s4, s6
	s_addc_u32 s31, s5, s7
	s_lshl_b32 s4, s2, 10
	s_lshr_b64 s[0:1], s[10:11], 10
	s_and_b32 s24, s10, 0x3ff
	s_cmp_lg_u64 s[24:25], 0
	s_cselect_b64 s[20:21], -1, 0
	v_cndmask_b32_e64 v1, 0, 1, s[20:21]
	s_mov_b32 s24, s2
	v_readfirstlane_b32 s3, v1
	s_add_u32 s22, s0, s3
	s_addc_u32 s23, s1, 0
	s_add_u32 s2, s18, s2
	s_addc_u32 s3, s19, 0
	s_add_u32 s20, s22, -1
	s_addc_u32 s21, s23, -1
	v_mov_b64_e32 v[2:3], s[20:21]
	v_cmp_ge_u64_e64 s[0:1], s[2:3], v[2:3]
	s_and_b64 vcc, exec, s[0:1]
	s_cbranch_vccz .LBB1411_6
; %bb.1:
	s_lshl_b32 s5, s20, 10
	s_sub_i32 s11, s10, s5
	s_mov_b32 s5, s25
	s_lshl_b64 s[26:27], s[4:5], 3
	s_add_u32 s26, s30, s26
	v_mov_b32_e32 v2, 0
	s_addc_u32 s27, s31, s27
	v_cmp_gt_u32_e32 vcc, s11, v0
	v_mov_b32_e32 v3, v2
	v_mov_b32_e32 v4, v2
	;; [unrolled: 1-line block ×3, first 2 shown]
	s_and_saveexec_b64 s[28:29], vcc
	s_cbranch_execz .LBB1411_3
; %bb.2:
	v_lshlrev_b32_e32 v1, 3, v0
	global_load_dwordx2 v[4:5], v1, s[26:27]
	v_mov_b32_e32 v6, v2
	v_mov_b32_e32 v7, v2
	s_waitcnt vmcnt(0)
	v_mov_b64_e32 v[2:3], v[4:5]
	v_mov_b64_e32 v[4:5], v[6:7]
.LBB1411_3:
	s_or_b64 exec, exec, s[28:29]
	v_or_b32_e32 v1, 0x200, v0
	v_cmp_gt_u32_e32 vcc, s11, v1
	s_and_saveexec_b64 s[28:29], vcc
	s_cbranch_execz .LBB1411_5
; %bb.4:
	v_lshlrev_b32_e32 v4, 3, v1
	global_load_dwordx2 v[4:5], v4, s[26:27]
.LBB1411_5:
	s_or_b64 exec, exec, s[28:29]
	v_lshrrev_b32_e32 v6, 2, v0
	v_lshrrev_b32_e32 v1, 2, v1
	v_and_b32_e32 v6, 0x78, v6
	v_lshlrev_b32_e32 v7, 3, v0
	v_and_b32_e32 v1, 0xf8, v1
	v_add_u32_e32 v6, v6, v7
	v_add_u32_e32 v1, v1, v7
	s_mov_b64 s[26:27], 0
	ds_write_b64 v6, v[2:3]
	s_waitcnt vmcnt(0)
	ds_write_b64 v1, v[4:5] offset:4096
	s_waitcnt lgkmcnt(0)
	s_barrier
.LBB1411_6:
	s_and_b64 vcc, exec, s[26:27]
	s_cbranch_vccz .LBB1411_8
; %bb.7:
	s_mov_b32 s5, 0
	s_lshl_b64 s[26:27], s[4:5], 3
	s_add_u32 s26, s30, s26
	s_addc_u32 s27, s31, s27
	v_lshlrev_b32_e32 v2, 3, v0
	v_mov_b32_e32 v3, 0
	v_lshl_add_u64 v[4:5], s[26:27], 0, v[2:3]
	v_add_co_u32_e32 v4, vcc, 0x1000, v4
	v_lshrrev_b32_e32 v1, 2, v0
	s_nop 0
	v_addc_co_u32_e32 v5, vcc, 0, v5, vcc
	global_load_dwordx2 v[6:7], v2, s[26:27]
	global_load_dwordx2 v[8:9], v[4:5], off
	v_or_b32_e32 v3, 0x200, v0
	v_and_b32_e32 v1, 0x78, v1
	v_lshrrev_b32_e32 v3, 2, v3
	v_add_u32_e32 v1, v1, v2
	v_and_b32_e32 v3, 0xf8, v3
	v_add_u32_e32 v2, v3, v2
	s_waitcnt vmcnt(1)
	ds_write_b64 v1, v[6:7]
	s_waitcnt vmcnt(0)
	ds_write_b64 v2, v[8:9] offset:4096
	s_waitcnt lgkmcnt(0)
	s_barrier
.LBB1411_8:
	v_lshrrev_b32_e32 v1, 1, v0
	v_and_b32_e32 v2, 0xf8, v1
	v_lshl_add_u32 v2, v0, 4, v2
	ds_read2_b64 v[2:5], v2 offset1:1
	s_cmp_eq_u64 s[2:3], 0
	s_waitcnt lgkmcnt(0)
	s_barrier
	s_cbranch_scc1 .LBB1411_15
; %bb.9:
	s_lshl_b64 s[18:19], s[18:19], 3
	s_add_u32 s5, s16, s18
	s_addc_u32 s11, s17, s19
	s_lshl_b64 s[16:17], s[24:25], 3
	s_add_u32 s5, s5, s16
	s_addc_u32 s11, s11, s17
	s_add_u32 s16, s5, -8
	s_addc_u32 s17, s11, -1
	s_load_dwordx2 s[16:17], s[16:17], 0x0
	s_cmp_eq_u64 s[2:3], s[20:21]
	s_cbranch_scc1 .LBB1411_16
; %bb.10:
	v_cmp_lt_i64_e64 s[24:25], s[12:13], 1
	v_lshlrev_b32_e32 v12, 3, v0
	v_mov_b64_e32 v[8:9], 0
	v_cmp_gt_i64_e64 s[18:19], s[12:13], 0
	s_and_b64 vcc, exec, s[24:25]
	ds_write_b64 v12, v[4:5]
	s_cbranch_vccnz .LBB1411_18
; %bb.11:
	v_mul_lo_u32 v8, v5, s12
	v_mul_lo_u32 v9, v4, s13
	v_mad_u64_u32 v[6:7], s[24:25], v4, s12, 0
	v_add3_u32 v7, v7, v9, v8
	v_mul_lo_u32 v10, v3, s12
	v_mul_lo_u32 v11, v2, s13
	v_mad_u64_u32 v[8:9], s[24:25], v2, s12, 0
	v_add3_u32 v9, v9, v11, v10
	v_lshl_add_u64 v[6:7], v[6:7], 1, s[14:15]
	v_lshl_add_u64 v[10:11], v[8:9], 1, s[14:15]
	s_mov_b64 s[24:25], 0
	s_mov_b64 s[26:27], s[12:13]
                                        ; implicit-def: $sgpr28_sgpr29
	s_branch .LBB1411_13
.LBB1411_12:                            ;   in Loop: Header=BB1411_13 Depth=1
	s_or_b64 exec, exec, s[30:31]
	s_and_b64 s[30:31], exec, s[28:29]
	s_or_b64 s[24:25], s[30:31], s[24:25]
	s_andn2_b64 exec, exec, s[24:25]
	s_cbranch_execz .LBB1411_17
.LBB1411_13:                            ; =>This Inner Loop Header: Depth=1
	global_load_ushort v13, v[6:7], off
	global_load_ushort v14, v[10:11], off
	v_mov_b64_e32 v[8:9], 1
	s_or_b64 s[28:29], s[28:29], exec
	s_waitcnt vmcnt(0)
	v_cmp_eq_u16_e32 vcc, v13, v14
	s_and_saveexec_b64 s[30:31], vcc
	s_cbranch_execz .LBB1411_12
; %bb.14:                               ;   in Loop: Header=BB1411_13 Depth=1
	s_add_u32 s26, s26, -1
	s_addc_u32 s27, s27, -1
	s_cmp_eq_u64 s[26:27], 0
	s_cselect_b64 s[34:35], -1, 0
	s_andn2_b64 s[28:29], s[28:29], exec
	s_and_b64 s[34:35], s[34:35], exec
	v_lshl_add_u64 v[6:7], v[6:7], 0, 2
	v_lshl_add_u64 v[10:11], v[10:11], 0, 2
	v_mov_b64_e32 v[8:9], 0
	s_or_b64 s[28:29], s[28:29], s[34:35]
	s_branch .LBB1411_12
.LBB1411_15:
                                        ; implicit-def: $vgpr8_vgpr9
                                        ; implicit-def: $vgpr6_vgpr7
	s_branch .LBB1411_47
.LBB1411_16:
                                        ; implicit-def: $vgpr8_vgpr9
                                        ; implicit-def: $vgpr6_vgpr7
	s_cbranch_execnz .LBB1411_27
	s_branch .LBB1411_46
.LBB1411_17:
	s_or_b64 exec, exec, s[24:25]
.LBB1411_18:
	v_cmp_ne_u32_e32 vcc, 0, v0
	s_waitcnt lgkmcnt(0)
	v_mov_b64_e32 v[6:7], s[16:17]
	s_barrier
	s_and_saveexec_b64 s[24:25], vcc
; %bb.19:
	v_add_u32_e32 v6, -8, v12
	ds_read_b64 v[6:7], v6
; %bb.20:
	s_or_b64 exec, exec, s[24:25]
	s_andn2_b64 vcc, exec, s[18:19]
	s_cbranch_vccnz .LBB1411_26
; %bb.21:
	v_mul_lo_u32 v12, v3, s12
	v_mul_lo_u32 v13, v2, s13
	v_mad_u64_u32 v[10:11], s[18:19], v2, s12, 0
	v_add3_u32 v11, v11, v13, v12
	s_waitcnt lgkmcnt(0)
	v_mul_lo_u32 v12, v7, s12
	v_mul_lo_u32 v13, v6, s13
	v_mad_u64_u32 v[6:7], s[18:19], v6, s12, 0
	v_add3_u32 v7, v7, v13, v12
	v_lshl_add_u64 v[10:11], v[10:11], 1, s[14:15]
	v_lshl_add_u64 v[12:13], v[6:7], 1, s[14:15]
	s_mov_b64 s[18:19], 0
	s_mov_b64 s[24:25], s[12:13]
                                        ; implicit-def: $sgpr26_sgpr27
	s_branch .LBB1411_23
.LBB1411_22:                            ;   in Loop: Header=BB1411_23 Depth=1
	s_or_b64 exec, exec, s[28:29]
	s_and_b64 s[28:29], exec, s[26:27]
	s_or_b64 s[18:19], s[28:29], s[18:19]
	s_andn2_b64 exec, exec, s[18:19]
	s_cbranch_execz .LBB1411_25
.LBB1411_23:                            ; =>This Inner Loop Header: Depth=1
	global_load_ushort v14, v[10:11], off
	global_load_ushort v15, v[12:13], off
	v_mov_b64_e32 v[6:7], 1
	s_or_b64 s[26:27], s[26:27], exec
	s_waitcnt vmcnt(0)
	v_cmp_eq_u16_e32 vcc, v14, v15
	s_and_saveexec_b64 s[28:29], vcc
	s_cbranch_execz .LBB1411_22
; %bb.24:                               ;   in Loop: Header=BB1411_23 Depth=1
	s_add_u32 s24, s24, -1
	s_addc_u32 s25, s25, -1
	s_cmp_eq_u64 s[24:25], 0
	s_cselect_b64 s[30:31], -1, 0
	s_andn2_b64 s[26:27], s[26:27], exec
	s_and_b64 s[30:31], s[30:31], exec
	v_lshl_add_u64 v[10:11], v[10:11], 0, 2
	v_lshl_add_u64 v[12:13], v[12:13], 0, 2
	v_mov_b64_e32 v[6:7], 0
	s_or_b64 s[26:27], s[26:27], s[30:31]
	s_branch .LBB1411_22
.LBB1411_25:
	s_or_b64 exec, exec, s[18:19]
	s_branch .LBB1411_46
.LBB1411_26:
	s_waitcnt lgkmcnt(0)
	v_mov_b64_e32 v[6:7], 0
	s_branch .LBB1411_46
.LBB1411_27:
	s_lshl_b32 s2, s2, 10
	v_lshlrev_b32_e32 v14, 1, v0
	s_sub_i32 s5, s10, s2
	v_or_b32_e32 v6, 1, v14
	v_lshlrev_b32_e32 v15, 3, v0
	v_cmp_gt_u32_e32 vcc, s5, v6
	v_mov_b64_e32 v[8:9], v[4:5]
	ds_write_b64 v15, v[4:5]
	v_mov_b64_e32 v[6:7], v[2:3]
	s_and_saveexec_b64 s[2:3], vcc
	s_cbranch_execz .LBB1411_35
; %bb.28:
	v_cmp_lt_i64_e64 s[18:19], s[12:13], 1
	s_and_b64 vcc, exec, s[18:19]
	s_cbranch_vccnz .LBB1411_34
; %bb.29:
	v_mul_lo_u32 v8, v5, s12
	v_mul_lo_u32 v9, v4, s13
	v_mad_u64_u32 v[6:7], s[18:19], v4, s12, 0
	v_add3_u32 v7, v7, v9, v8
	v_mul_lo_u32 v10, v3, s12
	v_mul_lo_u32 v11, v2, s13
	v_mad_u64_u32 v[8:9], s[18:19], v2, s12, 0
	v_add3_u32 v9, v9, v11, v10
	v_lshl_add_u64 v[6:7], v[6:7], 1, s[14:15]
	v_lshl_add_u64 v[10:11], v[8:9], 1, s[14:15]
	s_mov_b64 s[18:19], 0
	s_mov_b64 s[24:25], s[12:13]
                                        ; implicit-def: $sgpr26_sgpr27
	s_branch .LBB1411_31
.LBB1411_30:                            ;   in Loop: Header=BB1411_31 Depth=1
	s_or_b64 exec, exec, s[28:29]
	s_and_b64 s[28:29], exec, s[26:27]
	s_or_b64 s[18:19], s[28:29], s[18:19]
	s_andn2_b64 exec, exec, s[18:19]
	s_cbranch_execz .LBB1411_33
.LBB1411_31:                            ; =>This Inner Loop Header: Depth=1
	global_load_ushort v12, v[6:7], off
	global_load_ushort v13, v[10:11], off
	v_mov_b64_e32 v[8:9], 1
	s_or_b64 s[26:27], s[26:27], exec
	s_waitcnt vmcnt(0)
	v_cmp_eq_u16_e32 vcc, v12, v13
	s_and_saveexec_b64 s[28:29], vcc
	s_cbranch_execz .LBB1411_30
; %bb.32:                               ;   in Loop: Header=BB1411_31 Depth=1
	s_add_u32 s24, s24, -1
	s_addc_u32 s25, s25, -1
	s_cmp_eq_u64 s[24:25], 0
	s_cselect_b64 s[30:31], -1, 0
	s_andn2_b64 s[26:27], s[26:27], exec
	s_and_b64 s[30:31], s[30:31], exec
	v_lshl_add_u64 v[6:7], v[6:7], 0, 2
	v_lshl_add_u64 v[10:11], v[10:11], 0, 2
	v_mov_b64_e32 v[8:9], 0
	s_or_b64 s[26:27], s[26:27], s[30:31]
	s_branch .LBB1411_30
.LBB1411_33:
	s_or_b64 exec, exec, s[18:19]
	s_branch .LBB1411_35
.LBB1411_34:
	v_mov_b64_e32 v[8:9], 0
.LBB1411_35:
	s_or_b64 exec, exec, s[2:3]
	v_cmp_ne_u32_e32 vcc, 0, v0
	s_waitcnt lgkmcnt(0)
	v_mov_b64_e32 v[12:13], s[16:17]
	s_barrier
	s_and_saveexec_b64 s[2:3], vcc
; %bb.36:
	v_add_u32_e32 v6, -8, v15
	ds_read_b64 v[12:13], v6
; %bb.37:
	s_or_b64 exec, exec, s[2:3]
	v_cmp_gt_u32_e32 vcc, s5, v14
	v_mov_b64_e32 v[6:7], v[2:3]
	s_and_saveexec_b64 s[2:3], vcc
	s_cbranch_execz .LBB1411_45
; %bb.38:
	v_cmp_lt_i64_e64 s[16:17], s[12:13], 1
	s_and_b64 vcc, exec, s[16:17]
	s_cbranch_vccnz .LBB1411_44
; %bb.39:
	v_mul_lo_u32 v10, v3, s12
	v_mul_lo_u32 v11, v2, s13
	v_mad_u64_u32 v[6:7], s[16:17], v2, s12, 0
	v_add3_u32 v7, v7, v11, v10
	v_lshl_add_u64 v[10:11], v[6:7], 1, s[14:15]
	s_waitcnt lgkmcnt(0)
	v_mul_lo_u32 v13, v13, s12
	v_mul_lo_u32 v14, v12, s13
	v_mad_u64_u32 v[6:7], s[16:17], v12, s12, 0
	v_add3_u32 v7, v7, v14, v13
	v_lshl_add_u64 v[12:13], v[6:7], 1, s[14:15]
	s_mov_b64 s[16:17], 0
	s_mov_b64 s[18:19], s[12:13]
                                        ; implicit-def: $sgpr24_sgpr25
	s_branch .LBB1411_41
.LBB1411_40:                            ;   in Loop: Header=BB1411_41 Depth=1
	s_or_b64 exec, exec, s[26:27]
	s_and_b64 s[26:27], exec, s[24:25]
	s_or_b64 s[16:17], s[26:27], s[16:17]
	s_andn2_b64 exec, exec, s[16:17]
	s_cbranch_execz .LBB1411_43
.LBB1411_41:                            ; =>This Inner Loop Header: Depth=1
	global_load_ushort v14, v[10:11], off
	global_load_ushort v15, v[12:13], off
	v_mov_b64_e32 v[6:7], 1
	s_or_b64 s[24:25], s[24:25], exec
	s_waitcnt vmcnt(0)
	v_cmp_eq_u16_e32 vcc, v14, v15
	s_and_saveexec_b64 s[26:27], vcc
	s_cbranch_execz .LBB1411_40
; %bb.42:                               ;   in Loop: Header=BB1411_41 Depth=1
	s_add_u32 s18, s18, -1
	s_addc_u32 s19, s19, -1
	s_cmp_eq_u64 s[18:19], 0
	s_cselect_b64 s[28:29], -1, 0
	s_andn2_b64 s[24:25], s[24:25], exec
	s_and_b64 s[28:29], s[28:29], exec
	v_lshl_add_u64 v[10:11], v[10:11], 0, 2
	v_lshl_add_u64 v[12:13], v[12:13], 0, 2
	v_mov_b64_e32 v[6:7], 0
	s_or_b64 s[24:25], s[24:25], s[28:29]
	s_branch .LBB1411_40
.LBB1411_43:
	s_or_b64 exec, exec, s[16:17]
	s_branch .LBB1411_45
.LBB1411_44:
	v_mov_b64_e32 v[6:7], 0
.LBB1411_45:
	s_or_b64 exec, exec, s[2:3]
.LBB1411_46:
	s_cbranch_execnz .LBB1411_81
.LBB1411_47:
	s_cmp_eq_u64 s[22:23], 1
	s_cbranch_scc1 .LBB1411_53
; %bb.48:
	s_waitcnt lgkmcnt(0)
	v_cmp_lt_i64_e64 s[16:17], s[12:13], 1
	v_lshlrev_b32_e32 v12, 3, v0
	v_mov_b64_e32 v[8:9], 0
	v_cmp_gt_i64_e64 s[2:3], s[12:13], 0
	s_and_b64 vcc, exec, s[16:17]
	ds_write_b64 v12, v[4:5]
	s_cbranch_vccnz .LBB1411_55
; %bb.49:
	v_mul_lo_u32 v8, v5, s12
	v_mul_lo_u32 v9, v4, s13
	v_mad_u64_u32 v[6:7], s[16:17], v4, s12, 0
	v_add3_u32 v7, v7, v9, v8
	v_mul_lo_u32 v10, v3, s12
	v_mul_lo_u32 v11, v2, s13
	v_mad_u64_u32 v[8:9], s[16:17], v2, s12, 0
	v_add3_u32 v9, v9, v11, v10
	v_lshl_add_u64 v[6:7], v[6:7], 1, s[14:15]
	v_lshl_add_u64 v[10:11], v[8:9], 1, s[14:15]
	s_mov_b64 s[16:17], 0
	s_mov_b64 s[18:19], s[12:13]
                                        ; implicit-def: $sgpr22_sgpr23
	s_branch .LBB1411_51
.LBB1411_50:                            ;   in Loop: Header=BB1411_51 Depth=1
	s_or_b64 exec, exec, s[24:25]
	s_and_b64 s[24:25], exec, s[22:23]
	s_or_b64 s[16:17], s[24:25], s[16:17]
	s_andn2_b64 exec, exec, s[16:17]
	s_cbranch_execz .LBB1411_54
.LBB1411_51:                            ; =>This Inner Loop Header: Depth=1
	global_load_ushort v13, v[6:7], off
	global_load_ushort v14, v[10:11], off
	v_mov_b64_e32 v[8:9], 1
	s_or_b64 s[22:23], s[22:23], exec
	s_waitcnt vmcnt(0)
	v_cmp_eq_u16_e32 vcc, v13, v14
	s_and_saveexec_b64 s[24:25], vcc
	s_cbranch_execz .LBB1411_50
; %bb.52:                               ;   in Loop: Header=BB1411_51 Depth=1
	s_add_u32 s18, s18, -1
	s_addc_u32 s19, s19, -1
	s_cmp_eq_u64 s[18:19], 0
	s_cselect_b64 s[26:27], -1, 0
	s_andn2_b64 s[22:23], s[22:23], exec
	s_and_b64 s[26:27], s[26:27], exec
	v_lshl_add_u64 v[6:7], v[6:7], 0, 2
	v_lshl_add_u64 v[10:11], v[10:11], 0, 2
	v_mov_b64_e32 v[8:9], 0
	s_or_b64 s[22:23], s[22:23], s[26:27]
	s_branch .LBB1411_50
.LBB1411_53:
                                        ; implicit-def: $vgpr8_vgpr9
                                        ; implicit-def: $vgpr6_vgpr7
	s_cbranch_execnz .LBB1411_64
	s_branch .LBB1411_81
.LBB1411_54:
	s_or_b64 exec, exec, s[16:17]
.LBB1411_55:
	v_cmp_ne_u32_e32 vcc, 0, v0
	v_mov_b64_e32 v[6:7], v[2:3]
	s_waitcnt lgkmcnt(0)
	s_barrier
	s_and_saveexec_b64 s[16:17], vcc
	s_cbranch_execz .LBB1411_63
; %bb.56:
	s_andn2_b64 vcc, exec, s[2:3]
	s_cbranch_vccnz .LBB1411_62
; %bb.57:
	v_add_u32_e32 v6, -8, v12
	ds_read_b64 v[6:7], v6
	v_mul_lo_u32 v12, v3, s12
	v_mul_lo_u32 v13, v2, s13
	v_mad_u64_u32 v[10:11], s[2:3], v2, s12, 0
	v_add3_u32 v11, v11, v13, v12
	s_waitcnt lgkmcnt(0)
	v_mul_lo_u32 v12, s13, v6
	v_mul_lo_u32 v13, s12, v7
	v_mad_u64_u32 v[6:7], s[2:3], s12, v6, 0
	v_add3_u32 v7, v7, v13, v12
	v_lshl_add_u64 v[10:11], v[10:11], 1, s[14:15]
	v_lshl_add_u64 v[12:13], v[6:7], 1, s[14:15]
	s_mov_b64 s[2:3], 0
	s_mov_b64 s[18:19], s[12:13]
                                        ; implicit-def: $sgpr22_sgpr23
	s_branch .LBB1411_59
.LBB1411_58:                            ;   in Loop: Header=BB1411_59 Depth=1
	s_or_b64 exec, exec, s[24:25]
	s_and_b64 s[24:25], exec, s[22:23]
	s_or_b64 s[2:3], s[24:25], s[2:3]
	s_andn2_b64 exec, exec, s[2:3]
	s_cbranch_execz .LBB1411_61
.LBB1411_59:                            ; =>This Inner Loop Header: Depth=1
	global_load_ushort v14, v[10:11], off
	global_load_ushort v15, v[12:13], off
	v_mov_b64_e32 v[6:7], 1
	s_or_b64 s[22:23], s[22:23], exec
	s_waitcnt vmcnt(0)
	v_cmp_eq_u16_e32 vcc, v14, v15
	s_and_saveexec_b64 s[24:25], vcc
	s_cbranch_execz .LBB1411_58
; %bb.60:                               ;   in Loop: Header=BB1411_59 Depth=1
	s_add_u32 s18, s18, -1
	s_addc_u32 s19, s19, -1
	s_cmp_eq_u64 s[18:19], 0
	s_cselect_b64 s[26:27], -1, 0
	s_andn2_b64 s[22:23], s[22:23], exec
	s_and_b64 s[26:27], s[26:27], exec
	v_lshl_add_u64 v[10:11], v[10:11], 0, 2
	v_lshl_add_u64 v[12:13], v[12:13], 0, 2
	v_mov_b64_e32 v[6:7], 0
	s_or_b64 s[22:23], s[22:23], s[26:27]
	s_branch .LBB1411_58
.LBB1411_61:
	s_or_b64 exec, exec, s[2:3]
	s_branch .LBB1411_63
.LBB1411_62:
	v_mov_b64_e32 v[6:7], 0
.LBB1411_63:
	s_or_b64 exec, exec, s[16:17]
	s_branch .LBB1411_81
.LBB1411_64:
	v_lshlrev_b32_e32 v11, 1, v0
	v_or_b32_e32 v6, 1, v11
	v_lshlrev_b32_e32 v10, 3, v0
	v_cmp_gt_u32_e32 vcc, s10, v6
	v_mov_b64_e32 v[8:9], v[4:5]
	ds_write_b64 v10, v[4:5]
	v_mov_b64_e32 v[6:7], v[2:3]
	s_and_saveexec_b64 s[2:3], vcc
	s_cbranch_execz .LBB1411_72
; %bb.65:
	s_waitcnt lgkmcnt(0)
	v_cmp_lt_i64_e64 s[16:17], s[12:13], 1
	s_and_b64 vcc, exec, s[16:17]
	s_cbranch_vccnz .LBB1411_71
; %bb.66:
	v_mul_lo_u32 v6, v5, s12
	v_mul_lo_u32 v7, v4, s13
	v_mad_u64_u32 v[4:5], s[16:17], v4, s12, 0
	v_add3_u32 v5, v5, v7, v6
	v_mul_lo_u32 v8, v3, s12
	v_mul_lo_u32 v9, v2, s13
	v_mad_u64_u32 v[6:7], s[16:17], v2, s12, 0
	v_add3_u32 v7, v7, v9, v8
	v_lshl_add_u64 v[4:5], v[4:5], 1, s[14:15]
	v_lshl_add_u64 v[6:7], v[6:7], 1, s[14:15]
	s_mov_b64 s[16:17], 0
	s_mov_b64 s[18:19], s[12:13]
                                        ; implicit-def: $sgpr22_sgpr23
	s_branch .LBB1411_68
.LBB1411_67:                            ;   in Loop: Header=BB1411_68 Depth=1
	s_or_b64 exec, exec, s[24:25]
	s_and_b64 s[24:25], exec, s[22:23]
	s_or_b64 s[16:17], s[24:25], s[16:17]
	s_andn2_b64 exec, exec, s[16:17]
	s_cbranch_execz .LBB1411_70
.LBB1411_68:                            ; =>This Inner Loop Header: Depth=1
	global_load_ushort v12, v[4:5], off
	global_load_ushort v13, v[6:7], off
	v_mov_b64_e32 v[8:9], 1
	s_or_b64 s[22:23], s[22:23], exec
	s_waitcnt vmcnt(0)
	v_cmp_eq_u16_e32 vcc, v12, v13
	s_and_saveexec_b64 s[24:25], vcc
	s_cbranch_execz .LBB1411_67
; %bb.69:                               ;   in Loop: Header=BB1411_68 Depth=1
	s_add_u32 s18, s18, -1
	s_addc_u32 s19, s19, -1
	s_cmp_eq_u64 s[18:19], 0
	s_cselect_b64 s[26:27], -1, 0
	s_andn2_b64 s[22:23], s[22:23], exec
	s_and_b64 s[26:27], s[26:27], exec
	v_lshl_add_u64 v[4:5], v[4:5], 0, 2
	v_lshl_add_u64 v[6:7], v[6:7], 0, 2
	v_mov_b64_e32 v[8:9], 0
	s_or_b64 s[22:23], s[22:23], s[26:27]
	s_branch .LBB1411_67
.LBB1411_70:
	s_or_b64 exec, exec, s[16:17]
	s_branch .LBB1411_72
.LBB1411_71:
	v_mov_b64_e32 v[8:9], 0
.LBB1411_72:
	s_or_b64 exec, exec, s[2:3]
	v_cmp_ne_u32_e32 vcc, 0, v0
	v_cmp_gt_u32_e64 s[2:3], s10, v11
	s_waitcnt lgkmcnt(0)
	s_and_b64 s[16:17], vcc, s[2:3]
	s_barrier
	s_and_saveexec_b64 s[2:3], s[16:17]
	s_cbranch_execz .LBB1411_80
; %bb.73:
	v_cmp_lt_i64_e64 s[16:17], s[12:13], 1
	s_and_b64 vcc, exec, s[16:17]
	s_cbranch_vccnz .LBB1411_79
; %bb.74:
	v_add_u32_e32 v4, -8, v10
	ds_read_b64 v[6:7], v4
	v_mul_lo_u32 v4, v3, s12
	v_mul_lo_u32 v5, v2, s13
	v_mad_u64_u32 v[2:3], s[16:17], v2, s12, 0
	v_add3_u32 v3, v3, v5, v4
	v_lshl_add_u64 v[4:5], v[2:3], 1, s[14:15]
	s_waitcnt lgkmcnt(0)
	v_mul_lo_u32 v10, s13, v6
	v_mul_lo_u32 v7, s12, v7
	v_mad_u64_u32 v[2:3], s[16:17], s12, v6, 0
	v_add3_u32 v3, v3, v7, v10
	v_lshl_add_u64 v[6:7], v[2:3], 1, s[14:15]
	s_mov_b64 s[14:15], 0
                                        ; implicit-def: $sgpr16_sgpr17
	s_branch .LBB1411_76
.LBB1411_75:                            ;   in Loop: Header=BB1411_76 Depth=1
	s_or_b64 exec, exec, s[18:19]
	s_and_b64 s[18:19], exec, s[16:17]
	s_or_b64 s[14:15], s[18:19], s[14:15]
	s_andn2_b64 exec, exec, s[14:15]
	s_cbranch_execz .LBB1411_78
.LBB1411_76:                            ; =>This Inner Loop Header: Depth=1
	global_load_ushort v10, v[4:5], off
	global_load_ushort v11, v[6:7], off
	v_mov_b64_e32 v[2:3], 1
	s_or_b64 s[16:17], s[16:17], exec
	s_waitcnt vmcnt(0)
	v_cmp_eq_u16_e32 vcc, v10, v11
	s_and_saveexec_b64 s[18:19], vcc
	s_cbranch_execz .LBB1411_75
; %bb.77:                               ;   in Loop: Header=BB1411_76 Depth=1
	s_add_u32 s12, s12, -1
	s_addc_u32 s13, s13, -1
	s_cmp_eq_u64 s[12:13], 0
	s_cselect_b64 s[22:23], -1, 0
	s_andn2_b64 s[16:17], s[16:17], exec
	s_and_b64 s[22:23], s[22:23], exec
	v_lshl_add_u64 v[4:5], v[4:5], 0, 2
	v_lshl_add_u64 v[6:7], v[6:7], 0, 2
	v_mov_b64_e32 v[2:3], 0
	s_or_b64 s[16:17], s[16:17], s[22:23]
	s_branch .LBB1411_75
.LBB1411_78:
	s_or_b64 exec, exec, s[14:15]
	s_branch .LBB1411_80
.LBB1411_79:
	v_mov_b64_e32 v[2:3], 0
.LBB1411_80:
	s_or_b64 exec, exec, s[2:3]
	v_mov_b64_e32 v[6:7], v[2:3]
.LBB1411_81:
	s_add_u32 s6, s8, s6
	s_addc_u32 s7, s9, s7
	s_and_b64 vcc, exec, s[0:1]
	s_waitcnt lgkmcnt(0)
	s_barrier
	s_cbranch_vccz .LBB1411_85
; %bb.82:
	v_and_b32_e32 v2, 0xf8, v1
	v_lshl_add_u32 v2, v0, 4, v2
	v_or_b32_e32 v10, 0x200, v0
	ds_write2_b64 v2, v[6:7], v[8:9] offset1:1
	v_lshrrev_b32_e32 v2, 2, v10
	v_and_b32_e32 v2, 0xf8, v2
	v_lshlrev_b32_e32 v4, 3, v0
	v_add_u32_e32 v2, v2, v4
	s_lshl_b32 s0, s20, 10
	s_mov_b32 s5, 0
	s_waitcnt lgkmcnt(0)
	s_barrier
	ds_read_b64 v[2:3], v2 offset:4096
	s_sub_i32 s2, s10, s0
	s_lshl_b64 s[0:1], s[4:5], 3
	s_add_u32 s0, s6, s0
	s_addc_u32 s1, s7, s1
	v_mov_b32_e32 v5, 0
	v_lshl_add_u64 v[4:5], s[0:1], 0, v[4:5]
	v_cmp_gt_u32_e32 vcc, s2, v0
	s_and_saveexec_b64 s[0:1], vcc
	s_cbranch_execz .LBB1411_84
; %bb.83:
	v_lshrrev_b32_e32 v11, 2, v0
	v_and_b32_e32 v11, 0x78, v11
	v_lshl_add_u32 v11, v0, 3, v11
	ds_read_b64 v[12:13], v11
	s_waitcnt lgkmcnt(0)
	global_store_dwordx2 v[4:5], v[12:13], off
.LBB1411_84:
	s_or_b64 exec, exec, s[0:1]
	v_cmp_gt_u32_e64 s[0:1], s2, v10
	s_branch .LBB1411_87
.LBB1411_85:
	s_mov_b64 s[0:1], 0
                                        ; implicit-def: $vgpr2_vgpr3
                                        ; implicit-def: $vgpr4_vgpr5
	s_cbranch_execz .LBB1411_87
; %bb.86:
	v_and_b32_e32 v1, 0xf8, v1
	v_lshl_add_u32 v1, v0, 4, v1
	ds_write2_b64 v1, v[6:7], v[8:9] offset1:1
	v_lshrrev_b32_e32 v1, 2, v0
	v_lshlrev_b32_e32 v6, 3, v0
	v_or_b32_e32 v0, 0x200, v0
	v_lshrrev_b32_e32 v0, 2, v0
	v_and_b32_e32 v1, 0x78, v1
	v_and_b32_e32 v0, 0xf8, v0
	v_add_u32_e32 v1, v1, v6
	v_add_u32_e32 v0, v0, v6
	s_mov_b32 s5, 0
	s_waitcnt lgkmcnt(0)
	s_barrier
	ds_read_b64 v[8:9], v1
	ds_read_b64 v[2:3], v0 offset:4096
	s_lshl_b64 s[2:3], s[4:5], 3
	s_add_u32 s2, s6, s2
	s_addc_u32 s3, s7, s3
	v_mov_b32_e32 v7, 0
	v_lshl_add_u64 v[4:5], s[2:3], 0, v[6:7]
	s_or_b64 s[0:1], s[0:1], exec
	s_waitcnt lgkmcnt(1)
	global_store_dwordx2 v6, v[8:9], s[2:3]
.LBB1411_87:
	s_and_saveexec_b64 s[2:3], s[0:1]
	s_cbranch_execnz .LBB1411_89
; %bb.88:
	s_endpgm
.LBB1411_89:
	v_add_co_u32_e32 v0, vcc, 0x1000, v4
	s_nop 1
	v_addc_co_u32_e32 v1, vcc, 0, v5, vcc
	s_waitcnt lgkmcnt(0)
	global_store_dwordx2 v[0:1], v[2:3], off
	s_endpgm
	.section	.rodata,"a",@progbits
	.p2align	6, 0x0
	.amdhsa_kernel _ZN7rocprim17ROCPRIM_400000_NS6detail17trampoline_kernelINS0_14default_configENS1_35adjacent_difference_config_selectorILb1ElEEZNS1_24adjacent_difference_implIS3_Lb1ELb0EPlS7_ZN2at6native12_GLOBAL__N_124unique_dim_cuda_templateItEESt5tupleIJNS8_6TensorESD_SD_EERKSD_lbbbEUlllE1_EE10hipError_tPvRmT2_T3_mT4_P12ihipStream_tbEUlT_E_NS1_11comp_targetILNS1_3genE0ELNS1_11target_archE4294967295ELNS1_3gpuE0ELNS1_3repE0EEENS1_30default_config_static_selectorELNS0_4arch9wavefront6targetE1EEEvT1_
		.amdhsa_group_segment_fixed_size 8448
		.amdhsa_private_segment_fixed_size 0
		.amdhsa_kernarg_size 64
		.amdhsa_user_sgpr_count 2
		.amdhsa_user_sgpr_dispatch_ptr 0
		.amdhsa_user_sgpr_queue_ptr 0
		.amdhsa_user_sgpr_kernarg_segment_ptr 1
		.amdhsa_user_sgpr_dispatch_id 0
		.amdhsa_user_sgpr_kernarg_preload_length 0
		.amdhsa_user_sgpr_kernarg_preload_offset 0
		.amdhsa_user_sgpr_private_segment_size 0
		.amdhsa_uses_dynamic_stack 0
		.amdhsa_enable_private_segment 0
		.amdhsa_system_sgpr_workgroup_id_x 1
		.amdhsa_system_sgpr_workgroup_id_y 0
		.amdhsa_system_sgpr_workgroup_id_z 0
		.amdhsa_system_sgpr_workgroup_info 0
		.amdhsa_system_vgpr_workitem_id 0
		.amdhsa_next_free_vgpr 16
		.amdhsa_next_free_sgpr 36
		.amdhsa_accum_offset 16
		.amdhsa_reserve_vcc 1
		.amdhsa_float_round_mode_32 0
		.amdhsa_float_round_mode_16_64 0
		.amdhsa_float_denorm_mode_32 3
		.amdhsa_float_denorm_mode_16_64 3
		.amdhsa_dx10_clamp 1
		.amdhsa_ieee_mode 1
		.amdhsa_fp16_overflow 0
		.amdhsa_tg_split 0
		.amdhsa_exception_fp_ieee_invalid_op 0
		.amdhsa_exception_fp_denorm_src 0
		.amdhsa_exception_fp_ieee_div_zero 0
		.amdhsa_exception_fp_ieee_overflow 0
		.amdhsa_exception_fp_ieee_underflow 0
		.amdhsa_exception_fp_ieee_inexact 0
		.amdhsa_exception_int_div_zero 0
	.end_amdhsa_kernel
	.section	.text._ZN7rocprim17ROCPRIM_400000_NS6detail17trampoline_kernelINS0_14default_configENS1_35adjacent_difference_config_selectorILb1ElEEZNS1_24adjacent_difference_implIS3_Lb1ELb0EPlS7_ZN2at6native12_GLOBAL__N_124unique_dim_cuda_templateItEESt5tupleIJNS8_6TensorESD_SD_EERKSD_lbbbEUlllE1_EE10hipError_tPvRmT2_T3_mT4_P12ihipStream_tbEUlT_E_NS1_11comp_targetILNS1_3genE0ELNS1_11target_archE4294967295ELNS1_3gpuE0ELNS1_3repE0EEENS1_30default_config_static_selectorELNS0_4arch9wavefront6targetE1EEEvT1_,"axG",@progbits,_ZN7rocprim17ROCPRIM_400000_NS6detail17trampoline_kernelINS0_14default_configENS1_35adjacent_difference_config_selectorILb1ElEEZNS1_24adjacent_difference_implIS3_Lb1ELb0EPlS7_ZN2at6native12_GLOBAL__N_124unique_dim_cuda_templateItEESt5tupleIJNS8_6TensorESD_SD_EERKSD_lbbbEUlllE1_EE10hipError_tPvRmT2_T3_mT4_P12ihipStream_tbEUlT_E_NS1_11comp_targetILNS1_3genE0ELNS1_11target_archE4294967295ELNS1_3gpuE0ELNS1_3repE0EEENS1_30default_config_static_selectorELNS0_4arch9wavefront6targetE1EEEvT1_,comdat
.Lfunc_end1411:
	.size	_ZN7rocprim17ROCPRIM_400000_NS6detail17trampoline_kernelINS0_14default_configENS1_35adjacent_difference_config_selectorILb1ElEEZNS1_24adjacent_difference_implIS3_Lb1ELb0EPlS7_ZN2at6native12_GLOBAL__N_124unique_dim_cuda_templateItEESt5tupleIJNS8_6TensorESD_SD_EERKSD_lbbbEUlllE1_EE10hipError_tPvRmT2_T3_mT4_P12ihipStream_tbEUlT_E_NS1_11comp_targetILNS1_3genE0ELNS1_11target_archE4294967295ELNS1_3gpuE0ELNS1_3repE0EEENS1_30default_config_static_selectorELNS0_4arch9wavefront6targetE1EEEvT1_, .Lfunc_end1411-_ZN7rocprim17ROCPRIM_400000_NS6detail17trampoline_kernelINS0_14default_configENS1_35adjacent_difference_config_selectorILb1ElEEZNS1_24adjacent_difference_implIS3_Lb1ELb0EPlS7_ZN2at6native12_GLOBAL__N_124unique_dim_cuda_templateItEESt5tupleIJNS8_6TensorESD_SD_EERKSD_lbbbEUlllE1_EE10hipError_tPvRmT2_T3_mT4_P12ihipStream_tbEUlT_E_NS1_11comp_targetILNS1_3genE0ELNS1_11target_archE4294967295ELNS1_3gpuE0ELNS1_3repE0EEENS1_30default_config_static_selectorELNS0_4arch9wavefront6targetE1EEEvT1_
                                        ; -- End function
	.set _ZN7rocprim17ROCPRIM_400000_NS6detail17trampoline_kernelINS0_14default_configENS1_35adjacent_difference_config_selectorILb1ElEEZNS1_24adjacent_difference_implIS3_Lb1ELb0EPlS7_ZN2at6native12_GLOBAL__N_124unique_dim_cuda_templateItEESt5tupleIJNS8_6TensorESD_SD_EERKSD_lbbbEUlllE1_EE10hipError_tPvRmT2_T3_mT4_P12ihipStream_tbEUlT_E_NS1_11comp_targetILNS1_3genE0ELNS1_11target_archE4294967295ELNS1_3gpuE0ELNS1_3repE0EEENS1_30default_config_static_selectorELNS0_4arch9wavefront6targetE1EEEvT1_.num_vgpr, 16
	.set _ZN7rocprim17ROCPRIM_400000_NS6detail17trampoline_kernelINS0_14default_configENS1_35adjacent_difference_config_selectorILb1ElEEZNS1_24adjacent_difference_implIS3_Lb1ELb0EPlS7_ZN2at6native12_GLOBAL__N_124unique_dim_cuda_templateItEESt5tupleIJNS8_6TensorESD_SD_EERKSD_lbbbEUlllE1_EE10hipError_tPvRmT2_T3_mT4_P12ihipStream_tbEUlT_E_NS1_11comp_targetILNS1_3genE0ELNS1_11target_archE4294967295ELNS1_3gpuE0ELNS1_3repE0EEENS1_30default_config_static_selectorELNS0_4arch9wavefront6targetE1EEEvT1_.num_agpr, 0
	.set _ZN7rocprim17ROCPRIM_400000_NS6detail17trampoline_kernelINS0_14default_configENS1_35adjacent_difference_config_selectorILb1ElEEZNS1_24adjacent_difference_implIS3_Lb1ELb0EPlS7_ZN2at6native12_GLOBAL__N_124unique_dim_cuda_templateItEESt5tupleIJNS8_6TensorESD_SD_EERKSD_lbbbEUlllE1_EE10hipError_tPvRmT2_T3_mT4_P12ihipStream_tbEUlT_E_NS1_11comp_targetILNS1_3genE0ELNS1_11target_archE4294967295ELNS1_3gpuE0ELNS1_3repE0EEENS1_30default_config_static_selectorELNS0_4arch9wavefront6targetE1EEEvT1_.numbered_sgpr, 36
	.set _ZN7rocprim17ROCPRIM_400000_NS6detail17trampoline_kernelINS0_14default_configENS1_35adjacent_difference_config_selectorILb1ElEEZNS1_24adjacent_difference_implIS3_Lb1ELb0EPlS7_ZN2at6native12_GLOBAL__N_124unique_dim_cuda_templateItEESt5tupleIJNS8_6TensorESD_SD_EERKSD_lbbbEUlllE1_EE10hipError_tPvRmT2_T3_mT4_P12ihipStream_tbEUlT_E_NS1_11comp_targetILNS1_3genE0ELNS1_11target_archE4294967295ELNS1_3gpuE0ELNS1_3repE0EEENS1_30default_config_static_selectorELNS0_4arch9wavefront6targetE1EEEvT1_.num_named_barrier, 0
	.set _ZN7rocprim17ROCPRIM_400000_NS6detail17trampoline_kernelINS0_14default_configENS1_35adjacent_difference_config_selectorILb1ElEEZNS1_24adjacent_difference_implIS3_Lb1ELb0EPlS7_ZN2at6native12_GLOBAL__N_124unique_dim_cuda_templateItEESt5tupleIJNS8_6TensorESD_SD_EERKSD_lbbbEUlllE1_EE10hipError_tPvRmT2_T3_mT4_P12ihipStream_tbEUlT_E_NS1_11comp_targetILNS1_3genE0ELNS1_11target_archE4294967295ELNS1_3gpuE0ELNS1_3repE0EEENS1_30default_config_static_selectorELNS0_4arch9wavefront6targetE1EEEvT1_.private_seg_size, 0
	.set _ZN7rocprim17ROCPRIM_400000_NS6detail17trampoline_kernelINS0_14default_configENS1_35adjacent_difference_config_selectorILb1ElEEZNS1_24adjacent_difference_implIS3_Lb1ELb0EPlS7_ZN2at6native12_GLOBAL__N_124unique_dim_cuda_templateItEESt5tupleIJNS8_6TensorESD_SD_EERKSD_lbbbEUlllE1_EE10hipError_tPvRmT2_T3_mT4_P12ihipStream_tbEUlT_E_NS1_11comp_targetILNS1_3genE0ELNS1_11target_archE4294967295ELNS1_3gpuE0ELNS1_3repE0EEENS1_30default_config_static_selectorELNS0_4arch9wavefront6targetE1EEEvT1_.uses_vcc, 1
	.set _ZN7rocprim17ROCPRIM_400000_NS6detail17trampoline_kernelINS0_14default_configENS1_35adjacent_difference_config_selectorILb1ElEEZNS1_24adjacent_difference_implIS3_Lb1ELb0EPlS7_ZN2at6native12_GLOBAL__N_124unique_dim_cuda_templateItEESt5tupleIJNS8_6TensorESD_SD_EERKSD_lbbbEUlllE1_EE10hipError_tPvRmT2_T3_mT4_P12ihipStream_tbEUlT_E_NS1_11comp_targetILNS1_3genE0ELNS1_11target_archE4294967295ELNS1_3gpuE0ELNS1_3repE0EEENS1_30default_config_static_selectorELNS0_4arch9wavefront6targetE1EEEvT1_.uses_flat_scratch, 0
	.set _ZN7rocprim17ROCPRIM_400000_NS6detail17trampoline_kernelINS0_14default_configENS1_35adjacent_difference_config_selectorILb1ElEEZNS1_24adjacent_difference_implIS3_Lb1ELb0EPlS7_ZN2at6native12_GLOBAL__N_124unique_dim_cuda_templateItEESt5tupleIJNS8_6TensorESD_SD_EERKSD_lbbbEUlllE1_EE10hipError_tPvRmT2_T3_mT4_P12ihipStream_tbEUlT_E_NS1_11comp_targetILNS1_3genE0ELNS1_11target_archE4294967295ELNS1_3gpuE0ELNS1_3repE0EEENS1_30default_config_static_selectorELNS0_4arch9wavefront6targetE1EEEvT1_.has_dyn_sized_stack, 0
	.set _ZN7rocprim17ROCPRIM_400000_NS6detail17trampoline_kernelINS0_14default_configENS1_35adjacent_difference_config_selectorILb1ElEEZNS1_24adjacent_difference_implIS3_Lb1ELb0EPlS7_ZN2at6native12_GLOBAL__N_124unique_dim_cuda_templateItEESt5tupleIJNS8_6TensorESD_SD_EERKSD_lbbbEUlllE1_EE10hipError_tPvRmT2_T3_mT4_P12ihipStream_tbEUlT_E_NS1_11comp_targetILNS1_3genE0ELNS1_11target_archE4294967295ELNS1_3gpuE0ELNS1_3repE0EEENS1_30default_config_static_selectorELNS0_4arch9wavefront6targetE1EEEvT1_.has_recursion, 0
	.set _ZN7rocprim17ROCPRIM_400000_NS6detail17trampoline_kernelINS0_14default_configENS1_35adjacent_difference_config_selectorILb1ElEEZNS1_24adjacent_difference_implIS3_Lb1ELb0EPlS7_ZN2at6native12_GLOBAL__N_124unique_dim_cuda_templateItEESt5tupleIJNS8_6TensorESD_SD_EERKSD_lbbbEUlllE1_EE10hipError_tPvRmT2_T3_mT4_P12ihipStream_tbEUlT_E_NS1_11comp_targetILNS1_3genE0ELNS1_11target_archE4294967295ELNS1_3gpuE0ELNS1_3repE0EEENS1_30default_config_static_selectorELNS0_4arch9wavefront6targetE1EEEvT1_.has_indirect_call, 0
	.section	.AMDGPU.csdata,"",@progbits
; Kernel info:
; codeLenInByte = 3144
; TotalNumSgprs: 42
; NumVgprs: 16
; NumAgprs: 0
; TotalNumVgprs: 16
; ScratchSize: 0
; MemoryBound: 0
; FloatMode: 240
; IeeeMode: 1
; LDSByteSize: 8448 bytes/workgroup (compile time only)
; SGPRBlocks: 5
; VGPRBlocks: 1
; NumSGPRsForWavesPerEU: 42
; NumVGPRsForWavesPerEU: 16
; AccumOffset: 16
; Occupancy: 8
; WaveLimiterHint : 1
; COMPUTE_PGM_RSRC2:SCRATCH_EN: 0
; COMPUTE_PGM_RSRC2:USER_SGPR: 2
; COMPUTE_PGM_RSRC2:TRAP_HANDLER: 0
; COMPUTE_PGM_RSRC2:TGID_X_EN: 1
; COMPUTE_PGM_RSRC2:TGID_Y_EN: 0
; COMPUTE_PGM_RSRC2:TGID_Z_EN: 0
; COMPUTE_PGM_RSRC2:TIDIG_COMP_CNT: 0
; COMPUTE_PGM_RSRC3_GFX90A:ACCUM_OFFSET: 3
; COMPUTE_PGM_RSRC3_GFX90A:TG_SPLIT: 0
	.section	.text._ZN7rocprim17ROCPRIM_400000_NS6detail17trampoline_kernelINS0_14default_configENS1_35adjacent_difference_config_selectorILb1ElEEZNS1_24adjacent_difference_implIS3_Lb1ELb0EPlS7_ZN2at6native12_GLOBAL__N_124unique_dim_cuda_templateItEESt5tupleIJNS8_6TensorESD_SD_EERKSD_lbbbEUlllE1_EE10hipError_tPvRmT2_T3_mT4_P12ihipStream_tbEUlT_E_NS1_11comp_targetILNS1_3genE10ELNS1_11target_archE1201ELNS1_3gpuE5ELNS1_3repE0EEENS1_30default_config_static_selectorELNS0_4arch9wavefront6targetE1EEEvT1_,"axG",@progbits,_ZN7rocprim17ROCPRIM_400000_NS6detail17trampoline_kernelINS0_14default_configENS1_35adjacent_difference_config_selectorILb1ElEEZNS1_24adjacent_difference_implIS3_Lb1ELb0EPlS7_ZN2at6native12_GLOBAL__N_124unique_dim_cuda_templateItEESt5tupleIJNS8_6TensorESD_SD_EERKSD_lbbbEUlllE1_EE10hipError_tPvRmT2_T3_mT4_P12ihipStream_tbEUlT_E_NS1_11comp_targetILNS1_3genE10ELNS1_11target_archE1201ELNS1_3gpuE5ELNS1_3repE0EEENS1_30default_config_static_selectorELNS0_4arch9wavefront6targetE1EEEvT1_,comdat
	.globl	_ZN7rocprim17ROCPRIM_400000_NS6detail17trampoline_kernelINS0_14default_configENS1_35adjacent_difference_config_selectorILb1ElEEZNS1_24adjacent_difference_implIS3_Lb1ELb0EPlS7_ZN2at6native12_GLOBAL__N_124unique_dim_cuda_templateItEESt5tupleIJNS8_6TensorESD_SD_EERKSD_lbbbEUlllE1_EE10hipError_tPvRmT2_T3_mT4_P12ihipStream_tbEUlT_E_NS1_11comp_targetILNS1_3genE10ELNS1_11target_archE1201ELNS1_3gpuE5ELNS1_3repE0EEENS1_30default_config_static_selectorELNS0_4arch9wavefront6targetE1EEEvT1_ ; -- Begin function _ZN7rocprim17ROCPRIM_400000_NS6detail17trampoline_kernelINS0_14default_configENS1_35adjacent_difference_config_selectorILb1ElEEZNS1_24adjacent_difference_implIS3_Lb1ELb0EPlS7_ZN2at6native12_GLOBAL__N_124unique_dim_cuda_templateItEESt5tupleIJNS8_6TensorESD_SD_EERKSD_lbbbEUlllE1_EE10hipError_tPvRmT2_T3_mT4_P12ihipStream_tbEUlT_E_NS1_11comp_targetILNS1_3genE10ELNS1_11target_archE1201ELNS1_3gpuE5ELNS1_3repE0EEENS1_30default_config_static_selectorELNS0_4arch9wavefront6targetE1EEEvT1_
	.p2align	8
	.type	_ZN7rocprim17ROCPRIM_400000_NS6detail17trampoline_kernelINS0_14default_configENS1_35adjacent_difference_config_selectorILb1ElEEZNS1_24adjacent_difference_implIS3_Lb1ELb0EPlS7_ZN2at6native12_GLOBAL__N_124unique_dim_cuda_templateItEESt5tupleIJNS8_6TensorESD_SD_EERKSD_lbbbEUlllE1_EE10hipError_tPvRmT2_T3_mT4_P12ihipStream_tbEUlT_E_NS1_11comp_targetILNS1_3genE10ELNS1_11target_archE1201ELNS1_3gpuE5ELNS1_3repE0EEENS1_30default_config_static_selectorELNS0_4arch9wavefront6targetE1EEEvT1_,@function
_ZN7rocprim17ROCPRIM_400000_NS6detail17trampoline_kernelINS0_14default_configENS1_35adjacent_difference_config_selectorILb1ElEEZNS1_24adjacent_difference_implIS3_Lb1ELb0EPlS7_ZN2at6native12_GLOBAL__N_124unique_dim_cuda_templateItEESt5tupleIJNS8_6TensorESD_SD_EERKSD_lbbbEUlllE1_EE10hipError_tPvRmT2_T3_mT4_P12ihipStream_tbEUlT_E_NS1_11comp_targetILNS1_3genE10ELNS1_11target_archE1201ELNS1_3gpuE5ELNS1_3repE0EEENS1_30default_config_static_selectorELNS0_4arch9wavefront6targetE1EEEvT1_: ; @_ZN7rocprim17ROCPRIM_400000_NS6detail17trampoline_kernelINS0_14default_configENS1_35adjacent_difference_config_selectorILb1ElEEZNS1_24adjacent_difference_implIS3_Lb1ELb0EPlS7_ZN2at6native12_GLOBAL__N_124unique_dim_cuda_templateItEESt5tupleIJNS8_6TensorESD_SD_EERKSD_lbbbEUlllE1_EE10hipError_tPvRmT2_T3_mT4_P12ihipStream_tbEUlT_E_NS1_11comp_targetILNS1_3genE10ELNS1_11target_archE1201ELNS1_3gpuE5ELNS1_3repE0EEENS1_30default_config_static_selectorELNS0_4arch9wavefront6targetE1EEEvT1_
; %bb.0:
	.section	.rodata,"a",@progbits
	.p2align	6, 0x0
	.amdhsa_kernel _ZN7rocprim17ROCPRIM_400000_NS6detail17trampoline_kernelINS0_14default_configENS1_35adjacent_difference_config_selectorILb1ElEEZNS1_24adjacent_difference_implIS3_Lb1ELb0EPlS7_ZN2at6native12_GLOBAL__N_124unique_dim_cuda_templateItEESt5tupleIJNS8_6TensorESD_SD_EERKSD_lbbbEUlllE1_EE10hipError_tPvRmT2_T3_mT4_P12ihipStream_tbEUlT_E_NS1_11comp_targetILNS1_3genE10ELNS1_11target_archE1201ELNS1_3gpuE5ELNS1_3repE0EEENS1_30default_config_static_selectorELNS0_4arch9wavefront6targetE1EEEvT1_
		.amdhsa_group_segment_fixed_size 0
		.amdhsa_private_segment_fixed_size 0
		.amdhsa_kernarg_size 64
		.amdhsa_user_sgpr_count 2
		.amdhsa_user_sgpr_dispatch_ptr 0
		.amdhsa_user_sgpr_queue_ptr 0
		.amdhsa_user_sgpr_kernarg_segment_ptr 1
		.amdhsa_user_sgpr_dispatch_id 0
		.amdhsa_user_sgpr_kernarg_preload_length 0
		.amdhsa_user_sgpr_kernarg_preload_offset 0
		.amdhsa_user_sgpr_private_segment_size 0
		.amdhsa_uses_dynamic_stack 0
		.amdhsa_enable_private_segment 0
		.amdhsa_system_sgpr_workgroup_id_x 1
		.amdhsa_system_sgpr_workgroup_id_y 0
		.amdhsa_system_sgpr_workgroup_id_z 0
		.amdhsa_system_sgpr_workgroup_info 0
		.amdhsa_system_vgpr_workitem_id 0
		.amdhsa_next_free_vgpr 1
		.amdhsa_next_free_sgpr 0
		.amdhsa_accum_offset 4
		.amdhsa_reserve_vcc 0
		.amdhsa_float_round_mode_32 0
		.amdhsa_float_round_mode_16_64 0
		.amdhsa_float_denorm_mode_32 3
		.amdhsa_float_denorm_mode_16_64 3
		.amdhsa_dx10_clamp 1
		.amdhsa_ieee_mode 1
		.amdhsa_fp16_overflow 0
		.amdhsa_tg_split 0
		.amdhsa_exception_fp_ieee_invalid_op 0
		.amdhsa_exception_fp_denorm_src 0
		.amdhsa_exception_fp_ieee_div_zero 0
		.amdhsa_exception_fp_ieee_overflow 0
		.amdhsa_exception_fp_ieee_underflow 0
		.amdhsa_exception_fp_ieee_inexact 0
		.amdhsa_exception_int_div_zero 0
	.end_amdhsa_kernel
	.section	.text._ZN7rocprim17ROCPRIM_400000_NS6detail17trampoline_kernelINS0_14default_configENS1_35adjacent_difference_config_selectorILb1ElEEZNS1_24adjacent_difference_implIS3_Lb1ELb0EPlS7_ZN2at6native12_GLOBAL__N_124unique_dim_cuda_templateItEESt5tupleIJNS8_6TensorESD_SD_EERKSD_lbbbEUlllE1_EE10hipError_tPvRmT2_T3_mT4_P12ihipStream_tbEUlT_E_NS1_11comp_targetILNS1_3genE10ELNS1_11target_archE1201ELNS1_3gpuE5ELNS1_3repE0EEENS1_30default_config_static_selectorELNS0_4arch9wavefront6targetE1EEEvT1_,"axG",@progbits,_ZN7rocprim17ROCPRIM_400000_NS6detail17trampoline_kernelINS0_14default_configENS1_35adjacent_difference_config_selectorILb1ElEEZNS1_24adjacent_difference_implIS3_Lb1ELb0EPlS7_ZN2at6native12_GLOBAL__N_124unique_dim_cuda_templateItEESt5tupleIJNS8_6TensorESD_SD_EERKSD_lbbbEUlllE1_EE10hipError_tPvRmT2_T3_mT4_P12ihipStream_tbEUlT_E_NS1_11comp_targetILNS1_3genE10ELNS1_11target_archE1201ELNS1_3gpuE5ELNS1_3repE0EEENS1_30default_config_static_selectorELNS0_4arch9wavefront6targetE1EEEvT1_,comdat
.Lfunc_end1412:
	.size	_ZN7rocprim17ROCPRIM_400000_NS6detail17trampoline_kernelINS0_14default_configENS1_35adjacent_difference_config_selectorILb1ElEEZNS1_24adjacent_difference_implIS3_Lb1ELb0EPlS7_ZN2at6native12_GLOBAL__N_124unique_dim_cuda_templateItEESt5tupleIJNS8_6TensorESD_SD_EERKSD_lbbbEUlllE1_EE10hipError_tPvRmT2_T3_mT4_P12ihipStream_tbEUlT_E_NS1_11comp_targetILNS1_3genE10ELNS1_11target_archE1201ELNS1_3gpuE5ELNS1_3repE0EEENS1_30default_config_static_selectorELNS0_4arch9wavefront6targetE1EEEvT1_, .Lfunc_end1412-_ZN7rocprim17ROCPRIM_400000_NS6detail17trampoline_kernelINS0_14default_configENS1_35adjacent_difference_config_selectorILb1ElEEZNS1_24adjacent_difference_implIS3_Lb1ELb0EPlS7_ZN2at6native12_GLOBAL__N_124unique_dim_cuda_templateItEESt5tupleIJNS8_6TensorESD_SD_EERKSD_lbbbEUlllE1_EE10hipError_tPvRmT2_T3_mT4_P12ihipStream_tbEUlT_E_NS1_11comp_targetILNS1_3genE10ELNS1_11target_archE1201ELNS1_3gpuE5ELNS1_3repE0EEENS1_30default_config_static_selectorELNS0_4arch9wavefront6targetE1EEEvT1_
                                        ; -- End function
	.set _ZN7rocprim17ROCPRIM_400000_NS6detail17trampoline_kernelINS0_14default_configENS1_35adjacent_difference_config_selectorILb1ElEEZNS1_24adjacent_difference_implIS3_Lb1ELb0EPlS7_ZN2at6native12_GLOBAL__N_124unique_dim_cuda_templateItEESt5tupleIJNS8_6TensorESD_SD_EERKSD_lbbbEUlllE1_EE10hipError_tPvRmT2_T3_mT4_P12ihipStream_tbEUlT_E_NS1_11comp_targetILNS1_3genE10ELNS1_11target_archE1201ELNS1_3gpuE5ELNS1_3repE0EEENS1_30default_config_static_selectorELNS0_4arch9wavefront6targetE1EEEvT1_.num_vgpr, 0
	.set _ZN7rocprim17ROCPRIM_400000_NS6detail17trampoline_kernelINS0_14default_configENS1_35adjacent_difference_config_selectorILb1ElEEZNS1_24adjacent_difference_implIS3_Lb1ELb0EPlS7_ZN2at6native12_GLOBAL__N_124unique_dim_cuda_templateItEESt5tupleIJNS8_6TensorESD_SD_EERKSD_lbbbEUlllE1_EE10hipError_tPvRmT2_T3_mT4_P12ihipStream_tbEUlT_E_NS1_11comp_targetILNS1_3genE10ELNS1_11target_archE1201ELNS1_3gpuE5ELNS1_3repE0EEENS1_30default_config_static_selectorELNS0_4arch9wavefront6targetE1EEEvT1_.num_agpr, 0
	.set _ZN7rocprim17ROCPRIM_400000_NS6detail17trampoline_kernelINS0_14default_configENS1_35adjacent_difference_config_selectorILb1ElEEZNS1_24adjacent_difference_implIS3_Lb1ELb0EPlS7_ZN2at6native12_GLOBAL__N_124unique_dim_cuda_templateItEESt5tupleIJNS8_6TensorESD_SD_EERKSD_lbbbEUlllE1_EE10hipError_tPvRmT2_T3_mT4_P12ihipStream_tbEUlT_E_NS1_11comp_targetILNS1_3genE10ELNS1_11target_archE1201ELNS1_3gpuE5ELNS1_3repE0EEENS1_30default_config_static_selectorELNS0_4arch9wavefront6targetE1EEEvT1_.numbered_sgpr, 0
	.set _ZN7rocprim17ROCPRIM_400000_NS6detail17trampoline_kernelINS0_14default_configENS1_35adjacent_difference_config_selectorILb1ElEEZNS1_24adjacent_difference_implIS3_Lb1ELb0EPlS7_ZN2at6native12_GLOBAL__N_124unique_dim_cuda_templateItEESt5tupleIJNS8_6TensorESD_SD_EERKSD_lbbbEUlllE1_EE10hipError_tPvRmT2_T3_mT4_P12ihipStream_tbEUlT_E_NS1_11comp_targetILNS1_3genE10ELNS1_11target_archE1201ELNS1_3gpuE5ELNS1_3repE0EEENS1_30default_config_static_selectorELNS0_4arch9wavefront6targetE1EEEvT1_.num_named_barrier, 0
	.set _ZN7rocprim17ROCPRIM_400000_NS6detail17trampoline_kernelINS0_14default_configENS1_35adjacent_difference_config_selectorILb1ElEEZNS1_24adjacent_difference_implIS3_Lb1ELb0EPlS7_ZN2at6native12_GLOBAL__N_124unique_dim_cuda_templateItEESt5tupleIJNS8_6TensorESD_SD_EERKSD_lbbbEUlllE1_EE10hipError_tPvRmT2_T3_mT4_P12ihipStream_tbEUlT_E_NS1_11comp_targetILNS1_3genE10ELNS1_11target_archE1201ELNS1_3gpuE5ELNS1_3repE0EEENS1_30default_config_static_selectorELNS0_4arch9wavefront6targetE1EEEvT1_.private_seg_size, 0
	.set _ZN7rocprim17ROCPRIM_400000_NS6detail17trampoline_kernelINS0_14default_configENS1_35adjacent_difference_config_selectorILb1ElEEZNS1_24adjacent_difference_implIS3_Lb1ELb0EPlS7_ZN2at6native12_GLOBAL__N_124unique_dim_cuda_templateItEESt5tupleIJNS8_6TensorESD_SD_EERKSD_lbbbEUlllE1_EE10hipError_tPvRmT2_T3_mT4_P12ihipStream_tbEUlT_E_NS1_11comp_targetILNS1_3genE10ELNS1_11target_archE1201ELNS1_3gpuE5ELNS1_3repE0EEENS1_30default_config_static_selectorELNS0_4arch9wavefront6targetE1EEEvT1_.uses_vcc, 0
	.set _ZN7rocprim17ROCPRIM_400000_NS6detail17trampoline_kernelINS0_14default_configENS1_35adjacent_difference_config_selectorILb1ElEEZNS1_24adjacent_difference_implIS3_Lb1ELb0EPlS7_ZN2at6native12_GLOBAL__N_124unique_dim_cuda_templateItEESt5tupleIJNS8_6TensorESD_SD_EERKSD_lbbbEUlllE1_EE10hipError_tPvRmT2_T3_mT4_P12ihipStream_tbEUlT_E_NS1_11comp_targetILNS1_3genE10ELNS1_11target_archE1201ELNS1_3gpuE5ELNS1_3repE0EEENS1_30default_config_static_selectorELNS0_4arch9wavefront6targetE1EEEvT1_.uses_flat_scratch, 0
	.set _ZN7rocprim17ROCPRIM_400000_NS6detail17trampoline_kernelINS0_14default_configENS1_35adjacent_difference_config_selectorILb1ElEEZNS1_24adjacent_difference_implIS3_Lb1ELb0EPlS7_ZN2at6native12_GLOBAL__N_124unique_dim_cuda_templateItEESt5tupleIJNS8_6TensorESD_SD_EERKSD_lbbbEUlllE1_EE10hipError_tPvRmT2_T3_mT4_P12ihipStream_tbEUlT_E_NS1_11comp_targetILNS1_3genE10ELNS1_11target_archE1201ELNS1_3gpuE5ELNS1_3repE0EEENS1_30default_config_static_selectorELNS0_4arch9wavefront6targetE1EEEvT1_.has_dyn_sized_stack, 0
	.set _ZN7rocprim17ROCPRIM_400000_NS6detail17trampoline_kernelINS0_14default_configENS1_35adjacent_difference_config_selectorILb1ElEEZNS1_24adjacent_difference_implIS3_Lb1ELb0EPlS7_ZN2at6native12_GLOBAL__N_124unique_dim_cuda_templateItEESt5tupleIJNS8_6TensorESD_SD_EERKSD_lbbbEUlllE1_EE10hipError_tPvRmT2_T3_mT4_P12ihipStream_tbEUlT_E_NS1_11comp_targetILNS1_3genE10ELNS1_11target_archE1201ELNS1_3gpuE5ELNS1_3repE0EEENS1_30default_config_static_selectorELNS0_4arch9wavefront6targetE1EEEvT1_.has_recursion, 0
	.set _ZN7rocprim17ROCPRIM_400000_NS6detail17trampoline_kernelINS0_14default_configENS1_35adjacent_difference_config_selectorILb1ElEEZNS1_24adjacent_difference_implIS3_Lb1ELb0EPlS7_ZN2at6native12_GLOBAL__N_124unique_dim_cuda_templateItEESt5tupleIJNS8_6TensorESD_SD_EERKSD_lbbbEUlllE1_EE10hipError_tPvRmT2_T3_mT4_P12ihipStream_tbEUlT_E_NS1_11comp_targetILNS1_3genE10ELNS1_11target_archE1201ELNS1_3gpuE5ELNS1_3repE0EEENS1_30default_config_static_selectorELNS0_4arch9wavefront6targetE1EEEvT1_.has_indirect_call, 0
	.section	.AMDGPU.csdata,"",@progbits
; Kernel info:
; codeLenInByte = 0
; TotalNumSgprs: 6
; NumVgprs: 0
; NumAgprs: 0
; TotalNumVgprs: 0
; ScratchSize: 0
; MemoryBound: 0
; FloatMode: 240
; IeeeMode: 1
; LDSByteSize: 0 bytes/workgroup (compile time only)
; SGPRBlocks: 0
; VGPRBlocks: 0
; NumSGPRsForWavesPerEU: 6
; NumVGPRsForWavesPerEU: 1
; AccumOffset: 4
; Occupancy: 8
; WaveLimiterHint : 0
; COMPUTE_PGM_RSRC2:SCRATCH_EN: 0
; COMPUTE_PGM_RSRC2:USER_SGPR: 2
; COMPUTE_PGM_RSRC2:TRAP_HANDLER: 0
; COMPUTE_PGM_RSRC2:TGID_X_EN: 1
; COMPUTE_PGM_RSRC2:TGID_Y_EN: 0
; COMPUTE_PGM_RSRC2:TGID_Z_EN: 0
; COMPUTE_PGM_RSRC2:TIDIG_COMP_CNT: 0
; COMPUTE_PGM_RSRC3_GFX90A:ACCUM_OFFSET: 0
; COMPUTE_PGM_RSRC3_GFX90A:TG_SPLIT: 0
	.section	.text._ZN7rocprim17ROCPRIM_400000_NS6detail17trampoline_kernelINS0_14default_configENS1_35adjacent_difference_config_selectorILb1ElEEZNS1_24adjacent_difference_implIS3_Lb1ELb0EPlS7_ZN2at6native12_GLOBAL__N_124unique_dim_cuda_templateItEESt5tupleIJNS8_6TensorESD_SD_EERKSD_lbbbEUlllE1_EE10hipError_tPvRmT2_T3_mT4_P12ihipStream_tbEUlT_E_NS1_11comp_targetILNS1_3genE5ELNS1_11target_archE942ELNS1_3gpuE9ELNS1_3repE0EEENS1_30default_config_static_selectorELNS0_4arch9wavefront6targetE1EEEvT1_,"axG",@progbits,_ZN7rocprim17ROCPRIM_400000_NS6detail17trampoline_kernelINS0_14default_configENS1_35adjacent_difference_config_selectorILb1ElEEZNS1_24adjacent_difference_implIS3_Lb1ELb0EPlS7_ZN2at6native12_GLOBAL__N_124unique_dim_cuda_templateItEESt5tupleIJNS8_6TensorESD_SD_EERKSD_lbbbEUlllE1_EE10hipError_tPvRmT2_T3_mT4_P12ihipStream_tbEUlT_E_NS1_11comp_targetILNS1_3genE5ELNS1_11target_archE942ELNS1_3gpuE9ELNS1_3repE0EEENS1_30default_config_static_selectorELNS0_4arch9wavefront6targetE1EEEvT1_,comdat
	.globl	_ZN7rocprim17ROCPRIM_400000_NS6detail17trampoline_kernelINS0_14default_configENS1_35adjacent_difference_config_selectorILb1ElEEZNS1_24adjacent_difference_implIS3_Lb1ELb0EPlS7_ZN2at6native12_GLOBAL__N_124unique_dim_cuda_templateItEESt5tupleIJNS8_6TensorESD_SD_EERKSD_lbbbEUlllE1_EE10hipError_tPvRmT2_T3_mT4_P12ihipStream_tbEUlT_E_NS1_11comp_targetILNS1_3genE5ELNS1_11target_archE942ELNS1_3gpuE9ELNS1_3repE0EEENS1_30default_config_static_selectorELNS0_4arch9wavefront6targetE1EEEvT1_ ; -- Begin function _ZN7rocprim17ROCPRIM_400000_NS6detail17trampoline_kernelINS0_14default_configENS1_35adjacent_difference_config_selectorILb1ElEEZNS1_24adjacent_difference_implIS3_Lb1ELb0EPlS7_ZN2at6native12_GLOBAL__N_124unique_dim_cuda_templateItEESt5tupleIJNS8_6TensorESD_SD_EERKSD_lbbbEUlllE1_EE10hipError_tPvRmT2_T3_mT4_P12ihipStream_tbEUlT_E_NS1_11comp_targetILNS1_3genE5ELNS1_11target_archE942ELNS1_3gpuE9ELNS1_3repE0EEENS1_30default_config_static_selectorELNS0_4arch9wavefront6targetE1EEEvT1_
	.p2align	8
	.type	_ZN7rocprim17ROCPRIM_400000_NS6detail17trampoline_kernelINS0_14default_configENS1_35adjacent_difference_config_selectorILb1ElEEZNS1_24adjacent_difference_implIS3_Lb1ELb0EPlS7_ZN2at6native12_GLOBAL__N_124unique_dim_cuda_templateItEESt5tupleIJNS8_6TensorESD_SD_EERKSD_lbbbEUlllE1_EE10hipError_tPvRmT2_T3_mT4_P12ihipStream_tbEUlT_E_NS1_11comp_targetILNS1_3genE5ELNS1_11target_archE942ELNS1_3gpuE9ELNS1_3repE0EEENS1_30default_config_static_selectorELNS0_4arch9wavefront6targetE1EEEvT1_,@function
_ZN7rocprim17ROCPRIM_400000_NS6detail17trampoline_kernelINS0_14default_configENS1_35adjacent_difference_config_selectorILb1ElEEZNS1_24adjacent_difference_implIS3_Lb1ELb0EPlS7_ZN2at6native12_GLOBAL__N_124unique_dim_cuda_templateItEESt5tupleIJNS8_6TensorESD_SD_EERKSD_lbbbEUlllE1_EE10hipError_tPvRmT2_T3_mT4_P12ihipStream_tbEUlT_E_NS1_11comp_targetILNS1_3genE5ELNS1_11target_archE942ELNS1_3gpuE9ELNS1_3repE0EEENS1_30default_config_static_selectorELNS0_4arch9wavefront6targetE1EEEvT1_: ; @_ZN7rocprim17ROCPRIM_400000_NS6detail17trampoline_kernelINS0_14default_configENS1_35adjacent_difference_config_selectorILb1ElEEZNS1_24adjacent_difference_implIS3_Lb1ELb0EPlS7_ZN2at6native12_GLOBAL__N_124unique_dim_cuda_templateItEESt5tupleIJNS8_6TensorESD_SD_EERKSD_lbbbEUlllE1_EE10hipError_tPvRmT2_T3_mT4_P12ihipStream_tbEUlT_E_NS1_11comp_targetILNS1_3genE5ELNS1_11target_archE942ELNS1_3gpuE9ELNS1_3repE0EEENS1_30default_config_static_selectorELNS0_4arch9wavefront6targetE1EEEvT1_
; %bb.0:
	.section	.rodata,"a",@progbits
	.p2align	6, 0x0
	.amdhsa_kernel _ZN7rocprim17ROCPRIM_400000_NS6detail17trampoline_kernelINS0_14default_configENS1_35adjacent_difference_config_selectorILb1ElEEZNS1_24adjacent_difference_implIS3_Lb1ELb0EPlS7_ZN2at6native12_GLOBAL__N_124unique_dim_cuda_templateItEESt5tupleIJNS8_6TensorESD_SD_EERKSD_lbbbEUlllE1_EE10hipError_tPvRmT2_T3_mT4_P12ihipStream_tbEUlT_E_NS1_11comp_targetILNS1_3genE5ELNS1_11target_archE942ELNS1_3gpuE9ELNS1_3repE0EEENS1_30default_config_static_selectorELNS0_4arch9wavefront6targetE1EEEvT1_
		.amdhsa_group_segment_fixed_size 0
		.amdhsa_private_segment_fixed_size 0
		.amdhsa_kernarg_size 64
		.amdhsa_user_sgpr_count 2
		.amdhsa_user_sgpr_dispatch_ptr 0
		.amdhsa_user_sgpr_queue_ptr 0
		.amdhsa_user_sgpr_kernarg_segment_ptr 1
		.amdhsa_user_sgpr_dispatch_id 0
		.amdhsa_user_sgpr_kernarg_preload_length 0
		.amdhsa_user_sgpr_kernarg_preload_offset 0
		.amdhsa_user_sgpr_private_segment_size 0
		.amdhsa_uses_dynamic_stack 0
		.amdhsa_enable_private_segment 0
		.amdhsa_system_sgpr_workgroup_id_x 1
		.amdhsa_system_sgpr_workgroup_id_y 0
		.amdhsa_system_sgpr_workgroup_id_z 0
		.amdhsa_system_sgpr_workgroup_info 0
		.amdhsa_system_vgpr_workitem_id 0
		.amdhsa_next_free_vgpr 1
		.amdhsa_next_free_sgpr 0
		.amdhsa_accum_offset 4
		.amdhsa_reserve_vcc 0
		.amdhsa_float_round_mode_32 0
		.amdhsa_float_round_mode_16_64 0
		.amdhsa_float_denorm_mode_32 3
		.amdhsa_float_denorm_mode_16_64 3
		.amdhsa_dx10_clamp 1
		.amdhsa_ieee_mode 1
		.amdhsa_fp16_overflow 0
		.amdhsa_tg_split 0
		.amdhsa_exception_fp_ieee_invalid_op 0
		.amdhsa_exception_fp_denorm_src 0
		.amdhsa_exception_fp_ieee_div_zero 0
		.amdhsa_exception_fp_ieee_overflow 0
		.amdhsa_exception_fp_ieee_underflow 0
		.amdhsa_exception_fp_ieee_inexact 0
		.amdhsa_exception_int_div_zero 0
	.end_amdhsa_kernel
	.section	.text._ZN7rocprim17ROCPRIM_400000_NS6detail17trampoline_kernelINS0_14default_configENS1_35adjacent_difference_config_selectorILb1ElEEZNS1_24adjacent_difference_implIS3_Lb1ELb0EPlS7_ZN2at6native12_GLOBAL__N_124unique_dim_cuda_templateItEESt5tupleIJNS8_6TensorESD_SD_EERKSD_lbbbEUlllE1_EE10hipError_tPvRmT2_T3_mT4_P12ihipStream_tbEUlT_E_NS1_11comp_targetILNS1_3genE5ELNS1_11target_archE942ELNS1_3gpuE9ELNS1_3repE0EEENS1_30default_config_static_selectorELNS0_4arch9wavefront6targetE1EEEvT1_,"axG",@progbits,_ZN7rocprim17ROCPRIM_400000_NS6detail17trampoline_kernelINS0_14default_configENS1_35adjacent_difference_config_selectorILb1ElEEZNS1_24adjacent_difference_implIS3_Lb1ELb0EPlS7_ZN2at6native12_GLOBAL__N_124unique_dim_cuda_templateItEESt5tupleIJNS8_6TensorESD_SD_EERKSD_lbbbEUlllE1_EE10hipError_tPvRmT2_T3_mT4_P12ihipStream_tbEUlT_E_NS1_11comp_targetILNS1_3genE5ELNS1_11target_archE942ELNS1_3gpuE9ELNS1_3repE0EEENS1_30default_config_static_selectorELNS0_4arch9wavefront6targetE1EEEvT1_,comdat
.Lfunc_end1413:
	.size	_ZN7rocprim17ROCPRIM_400000_NS6detail17trampoline_kernelINS0_14default_configENS1_35adjacent_difference_config_selectorILb1ElEEZNS1_24adjacent_difference_implIS3_Lb1ELb0EPlS7_ZN2at6native12_GLOBAL__N_124unique_dim_cuda_templateItEESt5tupleIJNS8_6TensorESD_SD_EERKSD_lbbbEUlllE1_EE10hipError_tPvRmT2_T3_mT4_P12ihipStream_tbEUlT_E_NS1_11comp_targetILNS1_3genE5ELNS1_11target_archE942ELNS1_3gpuE9ELNS1_3repE0EEENS1_30default_config_static_selectorELNS0_4arch9wavefront6targetE1EEEvT1_, .Lfunc_end1413-_ZN7rocprim17ROCPRIM_400000_NS6detail17trampoline_kernelINS0_14default_configENS1_35adjacent_difference_config_selectorILb1ElEEZNS1_24adjacent_difference_implIS3_Lb1ELb0EPlS7_ZN2at6native12_GLOBAL__N_124unique_dim_cuda_templateItEESt5tupleIJNS8_6TensorESD_SD_EERKSD_lbbbEUlllE1_EE10hipError_tPvRmT2_T3_mT4_P12ihipStream_tbEUlT_E_NS1_11comp_targetILNS1_3genE5ELNS1_11target_archE942ELNS1_3gpuE9ELNS1_3repE0EEENS1_30default_config_static_selectorELNS0_4arch9wavefront6targetE1EEEvT1_
                                        ; -- End function
	.set _ZN7rocprim17ROCPRIM_400000_NS6detail17trampoline_kernelINS0_14default_configENS1_35adjacent_difference_config_selectorILb1ElEEZNS1_24adjacent_difference_implIS3_Lb1ELb0EPlS7_ZN2at6native12_GLOBAL__N_124unique_dim_cuda_templateItEESt5tupleIJNS8_6TensorESD_SD_EERKSD_lbbbEUlllE1_EE10hipError_tPvRmT2_T3_mT4_P12ihipStream_tbEUlT_E_NS1_11comp_targetILNS1_3genE5ELNS1_11target_archE942ELNS1_3gpuE9ELNS1_3repE0EEENS1_30default_config_static_selectorELNS0_4arch9wavefront6targetE1EEEvT1_.num_vgpr, 0
	.set _ZN7rocprim17ROCPRIM_400000_NS6detail17trampoline_kernelINS0_14default_configENS1_35adjacent_difference_config_selectorILb1ElEEZNS1_24adjacent_difference_implIS3_Lb1ELb0EPlS7_ZN2at6native12_GLOBAL__N_124unique_dim_cuda_templateItEESt5tupleIJNS8_6TensorESD_SD_EERKSD_lbbbEUlllE1_EE10hipError_tPvRmT2_T3_mT4_P12ihipStream_tbEUlT_E_NS1_11comp_targetILNS1_3genE5ELNS1_11target_archE942ELNS1_3gpuE9ELNS1_3repE0EEENS1_30default_config_static_selectorELNS0_4arch9wavefront6targetE1EEEvT1_.num_agpr, 0
	.set _ZN7rocprim17ROCPRIM_400000_NS6detail17trampoline_kernelINS0_14default_configENS1_35adjacent_difference_config_selectorILb1ElEEZNS1_24adjacent_difference_implIS3_Lb1ELb0EPlS7_ZN2at6native12_GLOBAL__N_124unique_dim_cuda_templateItEESt5tupleIJNS8_6TensorESD_SD_EERKSD_lbbbEUlllE1_EE10hipError_tPvRmT2_T3_mT4_P12ihipStream_tbEUlT_E_NS1_11comp_targetILNS1_3genE5ELNS1_11target_archE942ELNS1_3gpuE9ELNS1_3repE0EEENS1_30default_config_static_selectorELNS0_4arch9wavefront6targetE1EEEvT1_.numbered_sgpr, 0
	.set _ZN7rocprim17ROCPRIM_400000_NS6detail17trampoline_kernelINS0_14default_configENS1_35adjacent_difference_config_selectorILb1ElEEZNS1_24adjacent_difference_implIS3_Lb1ELb0EPlS7_ZN2at6native12_GLOBAL__N_124unique_dim_cuda_templateItEESt5tupleIJNS8_6TensorESD_SD_EERKSD_lbbbEUlllE1_EE10hipError_tPvRmT2_T3_mT4_P12ihipStream_tbEUlT_E_NS1_11comp_targetILNS1_3genE5ELNS1_11target_archE942ELNS1_3gpuE9ELNS1_3repE0EEENS1_30default_config_static_selectorELNS0_4arch9wavefront6targetE1EEEvT1_.num_named_barrier, 0
	.set _ZN7rocprim17ROCPRIM_400000_NS6detail17trampoline_kernelINS0_14default_configENS1_35adjacent_difference_config_selectorILb1ElEEZNS1_24adjacent_difference_implIS3_Lb1ELb0EPlS7_ZN2at6native12_GLOBAL__N_124unique_dim_cuda_templateItEESt5tupleIJNS8_6TensorESD_SD_EERKSD_lbbbEUlllE1_EE10hipError_tPvRmT2_T3_mT4_P12ihipStream_tbEUlT_E_NS1_11comp_targetILNS1_3genE5ELNS1_11target_archE942ELNS1_3gpuE9ELNS1_3repE0EEENS1_30default_config_static_selectorELNS0_4arch9wavefront6targetE1EEEvT1_.private_seg_size, 0
	.set _ZN7rocprim17ROCPRIM_400000_NS6detail17trampoline_kernelINS0_14default_configENS1_35adjacent_difference_config_selectorILb1ElEEZNS1_24adjacent_difference_implIS3_Lb1ELb0EPlS7_ZN2at6native12_GLOBAL__N_124unique_dim_cuda_templateItEESt5tupleIJNS8_6TensorESD_SD_EERKSD_lbbbEUlllE1_EE10hipError_tPvRmT2_T3_mT4_P12ihipStream_tbEUlT_E_NS1_11comp_targetILNS1_3genE5ELNS1_11target_archE942ELNS1_3gpuE9ELNS1_3repE0EEENS1_30default_config_static_selectorELNS0_4arch9wavefront6targetE1EEEvT1_.uses_vcc, 0
	.set _ZN7rocprim17ROCPRIM_400000_NS6detail17trampoline_kernelINS0_14default_configENS1_35adjacent_difference_config_selectorILb1ElEEZNS1_24adjacent_difference_implIS3_Lb1ELb0EPlS7_ZN2at6native12_GLOBAL__N_124unique_dim_cuda_templateItEESt5tupleIJNS8_6TensorESD_SD_EERKSD_lbbbEUlllE1_EE10hipError_tPvRmT2_T3_mT4_P12ihipStream_tbEUlT_E_NS1_11comp_targetILNS1_3genE5ELNS1_11target_archE942ELNS1_3gpuE9ELNS1_3repE0EEENS1_30default_config_static_selectorELNS0_4arch9wavefront6targetE1EEEvT1_.uses_flat_scratch, 0
	.set _ZN7rocprim17ROCPRIM_400000_NS6detail17trampoline_kernelINS0_14default_configENS1_35adjacent_difference_config_selectorILb1ElEEZNS1_24adjacent_difference_implIS3_Lb1ELb0EPlS7_ZN2at6native12_GLOBAL__N_124unique_dim_cuda_templateItEESt5tupleIJNS8_6TensorESD_SD_EERKSD_lbbbEUlllE1_EE10hipError_tPvRmT2_T3_mT4_P12ihipStream_tbEUlT_E_NS1_11comp_targetILNS1_3genE5ELNS1_11target_archE942ELNS1_3gpuE9ELNS1_3repE0EEENS1_30default_config_static_selectorELNS0_4arch9wavefront6targetE1EEEvT1_.has_dyn_sized_stack, 0
	.set _ZN7rocprim17ROCPRIM_400000_NS6detail17trampoline_kernelINS0_14default_configENS1_35adjacent_difference_config_selectorILb1ElEEZNS1_24adjacent_difference_implIS3_Lb1ELb0EPlS7_ZN2at6native12_GLOBAL__N_124unique_dim_cuda_templateItEESt5tupleIJNS8_6TensorESD_SD_EERKSD_lbbbEUlllE1_EE10hipError_tPvRmT2_T3_mT4_P12ihipStream_tbEUlT_E_NS1_11comp_targetILNS1_3genE5ELNS1_11target_archE942ELNS1_3gpuE9ELNS1_3repE0EEENS1_30default_config_static_selectorELNS0_4arch9wavefront6targetE1EEEvT1_.has_recursion, 0
	.set _ZN7rocprim17ROCPRIM_400000_NS6detail17trampoline_kernelINS0_14default_configENS1_35adjacent_difference_config_selectorILb1ElEEZNS1_24adjacent_difference_implIS3_Lb1ELb0EPlS7_ZN2at6native12_GLOBAL__N_124unique_dim_cuda_templateItEESt5tupleIJNS8_6TensorESD_SD_EERKSD_lbbbEUlllE1_EE10hipError_tPvRmT2_T3_mT4_P12ihipStream_tbEUlT_E_NS1_11comp_targetILNS1_3genE5ELNS1_11target_archE942ELNS1_3gpuE9ELNS1_3repE0EEENS1_30default_config_static_selectorELNS0_4arch9wavefront6targetE1EEEvT1_.has_indirect_call, 0
	.section	.AMDGPU.csdata,"",@progbits
; Kernel info:
; codeLenInByte = 0
; TotalNumSgprs: 6
; NumVgprs: 0
; NumAgprs: 0
; TotalNumVgprs: 0
; ScratchSize: 0
; MemoryBound: 0
; FloatMode: 240
; IeeeMode: 1
; LDSByteSize: 0 bytes/workgroup (compile time only)
; SGPRBlocks: 0
; VGPRBlocks: 0
; NumSGPRsForWavesPerEU: 6
; NumVGPRsForWavesPerEU: 1
; AccumOffset: 4
; Occupancy: 8
; WaveLimiterHint : 0
; COMPUTE_PGM_RSRC2:SCRATCH_EN: 0
; COMPUTE_PGM_RSRC2:USER_SGPR: 2
; COMPUTE_PGM_RSRC2:TRAP_HANDLER: 0
; COMPUTE_PGM_RSRC2:TGID_X_EN: 1
; COMPUTE_PGM_RSRC2:TGID_Y_EN: 0
; COMPUTE_PGM_RSRC2:TGID_Z_EN: 0
; COMPUTE_PGM_RSRC2:TIDIG_COMP_CNT: 0
; COMPUTE_PGM_RSRC3_GFX90A:ACCUM_OFFSET: 0
; COMPUTE_PGM_RSRC3_GFX90A:TG_SPLIT: 0
	.section	.text._ZN7rocprim17ROCPRIM_400000_NS6detail17trampoline_kernelINS0_14default_configENS1_35adjacent_difference_config_selectorILb1ElEEZNS1_24adjacent_difference_implIS3_Lb1ELb0EPlS7_ZN2at6native12_GLOBAL__N_124unique_dim_cuda_templateItEESt5tupleIJNS8_6TensorESD_SD_EERKSD_lbbbEUlllE1_EE10hipError_tPvRmT2_T3_mT4_P12ihipStream_tbEUlT_E_NS1_11comp_targetILNS1_3genE4ELNS1_11target_archE910ELNS1_3gpuE8ELNS1_3repE0EEENS1_30default_config_static_selectorELNS0_4arch9wavefront6targetE1EEEvT1_,"axG",@progbits,_ZN7rocprim17ROCPRIM_400000_NS6detail17trampoline_kernelINS0_14default_configENS1_35adjacent_difference_config_selectorILb1ElEEZNS1_24adjacent_difference_implIS3_Lb1ELb0EPlS7_ZN2at6native12_GLOBAL__N_124unique_dim_cuda_templateItEESt5tupleIJNS8_6TensorESD_SD_EERKSD_lbbbEUlllE1_EE10hipError_tPvRmT2_T3_mT4_P12ihipStream_tbEUlT_E_NS1_11comp_targetILNS1_3genE4ELNS1_11target_archE910ELNS1_3gpuE8ELNS1_3repE0EEENS1_30default_config_static_selectorELNS0_4arch9wavefront6targetE1EEEvT1_,comdat
	.globl	_ZN7rocprim17ROCPRIM_400000_NS6detail17trampoline_kernelINS0_14default_configENS1_35adjacent_difference_config_selectorILb1ElEEZNS1_24adjacent_difference_implIS3_Lb1ELb0EPlS7_ZN2at6native12_GLOBAL__N_124unique_dim_cuda_templateItEESt5tupleIJNS8_6TensorESD_SD_EERKSD_lbbbEUlllE1_EE10hipError_tPvRmT2_T3_mT4_P12ihipStream_tbEUlT_E_NS1_11comp_targetILNS1_3genE4ELNS1_11target_archE910ELNS1_3gpuE8ELNS1_3repE0EEENS1_30default_config_static_selectorELNS0_4arch9wavefront6targetE1EEEvT1_ ; -- Begin function _ZN7rocprim17ROCPRIM_400000_NS6detail17trampoline_kernelINS0_14default_configENS1_35adjacent_difference_config_selectorILb1ElEEZNS1_24adjacent_difference_implIS3_Lb1ELb0EPlS7_ZN2at6native12_GLOBAL__N_124unique_dim_cuda_templateItEESt5tupleIJNS8_6TensorESD_SD_EERKSD_lbbbEUlllE1_EE10hipError_tPvRmT2_T3_mT4_P12ihipStream_tbEUlT_E_NS1_11comp_targetILNS1_3genE4ELNS1_11target_archE910ELNS1_3gpuE8ELNS1_3repE0EEENS1_30default_config_static_selectorELNS0_4arch9wavefront6targetE1EEEvT1_
	.p2align	8
	.type	_ZN7rocprim17ROCPRIM_400000_NS6detail17trampoline_kernelINS0_14default_configENS1_35adjacent_difference_config_selectorILb1ElEEZNS1_24adjacent_difference_implIS3_Lb1ELb0EPlS7_ZN2at6native12_GLOBAL__N_124unique_dim_cuda_templateItEESt5tupleIJNS8_6TensorESD_SD_EERKSD_lbbbEUlllE1_EE10hipError_tPvRmT2_T3_mT4_P12ihipStream_tbEUlT_E_NS1_11comp_targetILNS1_3genE4ELNS1_11target_archE910ELNS1_3gpuE8ELNS1_3repE0EEENS1_30default_config_static_selectorELNS0_4arch9wavefront6targetE1EEEvT1_,@function
_ZN7rocprim17ROCPRIM_400000_NS6detail17trampoline_kernelINS0_14default_configENS1_35adjacent_difference_config_selectorILb1ElEEZNS1_24adjacent_difference_implIS3_Lb1ELb0EPlS7_ZN2at6native12_GLOBAL__N_124unique_dim_cuda_templateItEESt5tupleIJNS8_6TensorESD_SD_EERKSD_lbbbEUlllE1_EE10hipError_tPvRmT2_T3_mT4_P12ihipStream_tbEUlT_E_NS1_11comp_targetILNS1_3genE4ELNS1_11target_archE910ELNS1_3gpuE8ELNS1_3repE0EEENS1_30default_config_static_selectorELNS0_4arch9wavefront6targetE1EEEvT1_: ; @_ZN7rocprim17ROCPRIM_400000_NS6detail17trampoline_kernelINS0_14default_configENS1_35adjacent_difference_config_selectorILb1ElEEZNS1_24adjacent_difference_implIS3_Lb1ELb0EPlS7_ZN2at6native12_GLOBAL__N_124unique_dim_cuda_templateItEESt5tupleIJNS8_6TensorESD_SD_EERKSD_lbbbEUlllE1_EE10hipError_tPvRmT2_T3_mT4_P12ihipStream_tbEUlT_E_NS1_11comp_targetILNS1_3genE4ELNS1_11target_archE910ELNS1_3gpuE8ELNS1_3repE0EEENS1_30default_config_static_selectorELNS0_4arch9wavefront6targetE1EEEvT1_
; %bb.0:
	.section	.rodata,"a",@progbits
	.p2align	6, 0x0
	.amdhsa_kernel _ZN7rocprim17ROCPRIM_400000_NS6detail17trampoline_kernelINS0_14default_configENS1_35adjacent_difference_config_selectorILb1ElEEZNS1_24adjacent_difference_implIS3_Lb1ELb0EPlS7_ZN2at6native12_GLOBAL__N_124unique_dim_cuda_templateItEESt5tupleIJNS8_6TensorESD_SD_EERKSD_lbbbEUlllE1_EE10hipError_tPvRmT2_T3_mT4_P12ihipStream_tbEUlT_E_NS1_11comp_targetILNS1_3genE4ELNS1_11target_archE910ELNS1_3gpuE8ELNS1_3repE0EEENS1_30default_config_static_selectorELNS0_4arch9wavefront6targetE1EEEvT1_
		.amdhsa_group_segment_fixed_size 0
		.amdhsa_private_segment_fixed_size 0
		.amdhsa_kernarg_size 64
		.amdhsa_user_sgpr_count 2
		.amdhsa_user_sgpr_dispatch_ptr 0
		.amdhsa_user_sgpr_queue_ptr 0
		.amdhsa_user_sgpr_kernarg_segment_ptr 1
		.amdhsa_user_sgpr_dispatch_id 0
		.amdhsa_user_sgpr_kernarg_preload_length 0
		.amdhsa_user_sgpr_kernarg_preload_offset 0
		.amdhsa_user_sgpr_private_segment_size 0
		.amdhsa_uses_dynamic_stack 0
		.amdhsa_enable_private_segment 0
		.amdhsa_system_sgpr_workgroup_id_x 1
		.amdhsa_system_sgpr_workgroup_id_y 0
		.amdhsa_system_sgpr_workgroup_id_z 0
		.amdhsa_system_sgpr_workgroup_info 0
		.amdhsa_system_vgpr_workitem_id 0
		.amdhsa_next_free_vgpr 1
		.amdhsa_next_free_sgpr 0
		.amdhsa_accum_offset 4
		.amdhsa_reserve_vcc 0
		.amdhsa_float_round_mode_32 0
		.amdhsa_float_round_mode_16_64 0
		.amdhsa_float_denorm_mode_32 3
		.amdhsa_float_denorm_mode_16_64 3
		.amdhsa_dx10_clamp 1
		.amdhsa_ieee_mode 1
		.amdhsa_fp16_overflow 0
		.amdhsa_tg_split 0
		.amdhsa_exception_fp_ieee_invalid_op 0
		.amdhsa_exception_fp_denorm_src 0
		.amdhsa_exception_fp_ieee_div_zero 0
		.amdhsa_exception_fp_ieee_overflow 0
		.amdhsa_exception_fp_ieee_underflow 0
		.amdhsa_exception_fp_ieee_inexact 0
		.amdhsa_exception_int_div_zero 0
	.end_amdhsa_kernel
	.section	.text._ZN7rocprim17ROCPRIM_400000_NS6detail17trampoline_kernelINS0_14default_configENS1_35adjacent_difference_config_selectorILb1ElEEZNS1_24adjacent_difference_implIS3_Lb1ELb0EPlS7_ZN2at6native12_GLOBAL__N_124unique_dim_cuda_templateItEESt5tupleIJNS8_6TensorESD_SD_EERKSD_lbbbEUlllE1_EE10hipError_tPvRmT2_T3_mT4_P12ihipStream_tbEUlT_E_NS1_11comp_targetILNS1_3genE4ELNS1_11target_archE910ELNS1_3gpuE8ELNS1_3repE0EEENS1_30default_config_static_selectorELNS0_4arch9wavefront6targetE1EEEvT1_,"axG",@progbits,_ZN7rocprim17ROCPRIM_400000_NS6detail17trampoline_kernelINS0_14default_configENS1_35adjacent_difference_config_selectorILb1ElEEZNS1_24adjacent_difference_implIS3_Lb1ELb0EPlS7_ZN2at6native12_GLOBAL__N_124unique_dim_cuda_templateItEESt5tupleIJNS8_6TensorESD_SD_EERKSD_lbbbEUlllE1_EE10hipError_tPvRmT2_T3_mT4_P12ihipStream_tbEUlT_E_NS1_11comp_targetILNS1_3genE4ELNS1_11target_archE910ELNS1_3gpuE8ELNS1_3repE0EEENS1_30default_config_static_selectorELNS0_4arch9wavefront6targetE1EEEvT1_,comdat
.Lfunc_end1414:
	.size	_ZN7rocprim17ROCPRIM_400000_NS6detail17trampoline_kernelINS0_14default_configENS1_35adjacent_difference_config_selectorILb1ElEEZNS1_24adjacent_difference_implIS3_Lb1ELb0EPlS7_ZN2at6native12_GLOBAL__N_124unique_dim_cuda_templateItEESt5tupleIJNS8_6TensorESD_SD_EERKSD_lbbbEUlllE1_EE10hipError_tPvRmT2_T3_mT4_P12ihipStream_tbEUlT_E_NS1_11comp_targetILNS1_3genE4ELNS1_11target_archE910ELNS1_3gpuE8ELNS1_3repE0EEENS1_30default_config_static_selectorELNS0_4arch9wavefront6targetE1EEEvT1_, .Lfunc_end1414-_ZN7rocprim17ROCPRIM_400000_NS6detail17trampoline_kernelINS0_14default_configENS1_35adjacent_difference_config_selectorILb1ElEEZNS1_24adjacent_difference_implIS3_Lb1ELb0EPlS7_ZN2at6native12_GLOBAL__N_124unique_dim_cuda_templateItEESt5tupleIJNS8_6TensorESD_SD_EERKSD_lbbbEUlllE1_EE10hipError_tPvRmT2_T3_mT4_P12ihipStream_tbEUlT_E_NS1_11comp_targetILNS1_3genE4ELNS1_11target_archE910ELNS1_3gpuE8ELNS1_3repE0EEENS1_30default_config_static_selectorELNS0_4arch9wavefront6targetE1EEEvT1_
                                        ; -- End function
	.set _ZN7rocprim17ROCPRIM_400000_NS6detail17trampoline_kernelINS0_14default_configENS1_35adjacent_difference_config_selectorILb1ElEEZNS1_24adjacent_difference_implIS3_Lb1ELb0EPlS7_ZN2at6native12_GLOBAL__N_124unique_dim_cuda_templateItEESt5tupleIJNS8_6TensorESD_SD_EERKSD_lbbbEUlllE1_EE10hipError_tPvRmT2_T3_mT4_P12ihipStream_tbEUlT_E_NS1_11comp_targetILNS1_3genE4ELNS1_11target_archE910ELNS1_3gpuE8ELNS1_3repE0EEENS1_30default_config_static_selectorELNS0_4arch9wavefront6targetE1EEEvT1_.num_vgpr, 0
	.set _ZN7rocprim17ROCPRIM_400000_NS6detail17trampoline_kernelINS0_14default_configENS1_35adjacent_difference_config_selectorILb1ElEEZNS1_24adjacent_difference_implIS3_Lb1ELb0EPlS7_ZN2at6native12_GLOBAL__N_124unique_dim_cuda_templateItEESt5tupleIJNS8_6TensorESD_SD_EERKSD_lbbbEUlllE1_EE10hipError_tPvRmT2_T3_mT4_P12ihipStream_tbEUlT_E_NS1_11comp_targetILNS1_3genE4ELNS1_11target_archE910ELNS1_3gpuE8ELNS1_3repE0EEENS1_30default_config_static_selectorELNS0_4arch9wavefront6targetE1EEEvT1_.num_agpr, 0
	.set _ZN7rocprim17ROCPRIM_400000_NS6detail17trampoline_kernelINS0_14default_configENS1_35adjacent_difference_config_selectorILb1ElEEZNS1_24adjacent_difference_implIS3_Lb1ELb0EPlS7_ZN2at6native12_GLOBAL__N_124unique_dim_cuda_templateItEESt5tupleIJNS8_6TensorESD_SD_EERKSD_lbbbEUlllE1_EE10hipError_tPvRmT2_T3_mT4_P12ihipStream_tbEUlT_E_NS1_11comp_targetILNS1_3genE4ELNS1_11target_archE910ELNS1_3gpuE8ELNS1_3repE0EEENS1_30default_config_static_selectorELNS0_4arch9wavefront6targetE1EEEvT1_.numbered_sgpr, 0
	.set _ZN7rocprim17ROCPRIM_400000_NS6detail17trampoline_kernelINS0_14default_configENS1_35adjacent_difference_config_selectorILb1ElEEZNS1_24adjacent_difference_implIS3_Lb1ELb0EPlS7_ZN2at6native12_GLOBAL__N_124unique_dim_cuda_templateItEESt5tupleIJNS8_6TensorESD_SD_EERKSD_lbbbEUlllE1_EE10hipError_tPvRmT2_T3_mT4_P12ihipStream_tbEUlT_E_NS1_11comp_targetILNS1_3genE4ELNS1_11target_archE910ELNS1_3gpuE8ELNS1_3repE0EEENS1_30default_config_static_selectorELNS0_4arch9wavefront6targetE1EEEvT1_.num_named_barrier, 0
	.set _ZN7rocprim17ROCPRIM_400000_NS6detail17trampoline_kernelINS0_14default_configENS1_35adjacent_difference_config_selectorILb1ElEEZNS1_24adjacent_difference_implIS3_Lb1ELb0EPlS7_ZN2at6native12_GLOBAL__N_124unique_dim_cuda_templateItEESt5tupleIJNS8_6TensorESD_SD_EERKSD_lbbbEUlllE1_EE10hipError_tPvRmT2_T3_mT4_P12ihipStream_tbEUlT_E_NS1_11comp_targetILNS1_3genE4ELNS1_11target_archE910ELNS1_3gpuE8ELNS1_3repE0EEENS1_30default_config_static_selectorELNS0_4arch9wavefront6targetE1EEEvT1_.private_seg_size, 0
	.set _ZN7rocprim17ROCPRIM_400000_NS6detail17trampoline_kernelINS0_14default_configENS1_35adjacent_difference_config_selectorILb1ElEEZNS1_24adjacent_difference_implIS3_Lb1ELb0EPlS7_ZN2at6native12_GLOBAL__N_124unique_dim_cuda_templateItEESt5tupleIJNS8_6TensorESD_SD_EERKSD_lbbbEUlllE1_EE10hipError_tPvRmT2_T3_mT4_P12ihipStream_tbEUlT_E_NS1_11comp_targetILNS1_3genE4ELNS1_11target_archE910ELNS1_3gpuE8ELNS1_3repE0EEENS1_30default_config_static_selectorELNS0_4arch9wavefront6targetE1EEEvT1_.uses_vcc, 0
	.set _ZN7rocprim17ROCPRIM_400000_NS6detail17trampoline_kernelINS0_14default_configENS1_35adjacent_difference_config_selectorILb1ElEEZNS1_24adjacent_difference_implIS3_Lb1ELb0EPlS7_ZN2at6native12_GLOBAL__N_124unique_dim_cuda_templateItEESt5tupleIJNS8_6TensorESD_SD_EERKSD_lbbbEUlllE1_EE10hipError_tPvRmT2_T3_mT4_P12ihipStream_tbEUlT_E_NS1_11comp_targetILNS1_3genE4ELNS1_11target_archE910ELNS1_3gpuE8ELNS1_3repE0EEENS1_30default_config_static_selectorELNS0_4arch9wavefront6targetE1EEEvT1_.uses_flat_scratch, 0
	.set _ZN7rocprim17ROCPRIM_400000_NS6detail17trampoline_kernelINS0_14default_configENS1_35adjacent_difference_config_selectorILb1ElEEZNS1_24adjacent_difference_implIS3_Lb1ELb0EPlS7_ZN2at6native12_GLOBAL__N_124unique_dim_cuda_templateItEESt5tupleIJNS8_6TensorESD_SD_EERKSD_lbbbEUlllE1_EE10hipError_tPvRmT2_T3_mT4_P12ihipStream_tbEUlT_E_NS1_11comp_targetILNS1_3genE4ELNS1_11target_archE910ELNS1_3gpuE8ELNS1_3repE0EEENS1_30default_config_static_selectorELNS0_4arch9wavefront6targetE1EEEvT1_.has_dyn_sized_stack, 0
	.set _ZN7rocprim17ROCPRIM_400000_NS6detail17trampoline_kernelINS0_14default_configENS1_35adjacent_difference_config_selectorILb1ElEEZNS1_24adjacent_difference_implIS3_Lb1ELb0EPlS7_ZN2at6native12_GLOBAL__N_124unique_dim_cuda_templateItEESt5tupleIJNS8_6TensorESD_SD_EERKSD_lbbbEUlllE1_EE10hipError_tPvRmT2_T3_mT4_P12ihipStream_tbEUlT_E_NS1_11comp_targetILNS1_3genE4ELNS1_11target_archE910ELNS1_3gpuE8ELNS1_3repE0EEENS1_30default_config_static_selectorELNS0_4arch9wavefront6targetE1EEEvT1_.has_recursion, 0
	.set _ZN7rocprim17ROCPRIM_400000_NS6detail17trampoline_kernelINS0_14default_configENS1_35adjacent_difference_config_selectorILb1ElEEZNS1_24adjacent_difference_implIS3_Lb1ELb0EPlS7_ZN2at6native12_GLOBAL__N_124unique_dim_cuda_templateItEESt5tupleIJNS8_6TensorESD_SD_EERKSD_lbbbEUlllE1_EE10hipError_tPvRmT2_T3_mT4_P12ihipStream_tbEUlT_E_NS1_11comp_targetILNS1_3genE4ELNS1_11target_archE910ELNS1_3gpuE8ELNS1_3repE0EEENS1_30default_config_static_selectorELNS0_4arch9wavefront6targetE1EEEvT1_.has_indirect_call, 0
	.section	.AMDGPU.csdata,"",@progbits
; Kernel info:
; codeLenInByte = 0
; TotalNumSgprs: 6
; NumVgprs: 0
; NumAgprs: 0
; TotalNumVgprs: 0
; ScratchSize: 0
; MemoryBound: 0
; FloatMode: 240
; IeeeMode: 1
; LDSByteSize: 0 bytes/workgroup (compile time only)
; SGPRBlocks: 0
; VGPRBlocks: 0
; NumSGPRsForWavesPerEU: 6
; NumVGPRsForWavesPerEU: 1
; AccumOffset: 4
; Occupancy: 8
; WaveLimiterHint : 0
; COMPUTE_PGM_RSRC2:SCRATCH_EN: 0
; COMPUTE_PGM_RSRC2:USER_SGPR: 2
; COMPUTE_PGM_RSRC2:TRAP_HANDLER: 0
; COMPUTE_PGM_RSRC2:TGID_X_EN: 1
; COMPUTE_PGM_RSRC2:TGID_Y_EN: 0
; COMPUTE_PGM_RSRC2:TGID_Z_EN: 0
; COMPUTE_PGM_RSRC2:TIDIG_COMP_CNT: 0
; COMPUTE_PGM_RSRC3_GFX90A:ACCUM_OFFSET: 0
; COMPUTE_PGM_RSRC3_GFX90A:TG_SPLIT: 0
	.section	.text._ZN7rocprim17ROCPRIM_400000_NS6detail17trampoline_kernelINS0_14default_configENS1_35adjacent_difference_config_selectorILb1ElEEZNS1_24adjacent_difference_implIS3_Lb1ELb0EPlS7_ZN2at6native12_GLOBAL__N_124unique_dim_cuda_templateItEESt5tupleIJNS8_6TensorESD_SD_EERKSD_lbbbEUlllE1_EE10hipError_tPvRmT2_T3_mT4_P12ihipStream_tbEUlT_E_NS1_11comp_targetILNS1_3genE3ELNS1_11target_archE908ELNS1_3gpuE7ELNS1_3repE0EEENS1_30default_config_static_selectorELNS0_4arch9wavefront6targetE1EEEvT1_,"axG",@progbits,_ZN7rocprim17ROCPRIM_400000_NS6detail17trampoline_kernelINS0_14default_configENS1_35adjacent_difference_config_selectorILb1ElEEZNS1_24adjacent_difference_implIS3_Lb1ELb0EPlS7_ZN2at6native12_GLOBAL__N_124unique_dim_cuda_templateItEESt5tupleIJNS8_6TensorESD_SD_EERKSD_lbbbEUlllE1_EE10hipError_tPvRmT2_T3_mT4_P12ihipStream_tbEUlT_E_NS1_11comp_targetILNS1_3genE3ELNS1_11target_archE908ELNS1_3gpuE7ELNS1_3repE0EEENS1_30default_config_static_selectorELNS0_4arch9wavefront6targetE1EEEvT1_,comdat
	.globl	_ZN7rocprim17ROCPRIM_400000_NS6detail17trampoline_kernelINS0_14default_configENS1_35adjacent_difference_config_selectorILb1ElEEZNS1_24adjacent_difference_implIS3_Lb1ELb0EPlS7_ZN2at6native12_GLOBAL__N_124unique_dim_cuda_templateItEESt5tupleIJNS8_6TensorESD_SD_EERKSD_lbbbEUlllE1_EE10hipError_tPvRmT2_T3_mT4_P12ihipStream_tbEUlT_E_NS1_11comp_targetILNS1_3genE3ELNS1_11target_archE908ELNS1_3gpuE7ELNS1_3repE0EEENS1_30default_config_static_selectorELNS0_4arch9wavefront6targetE1EEEvT1_ ; -- Begin function _ZN7rocprim17ROCPRIM_400000_NS6detail17trampoline_kernelINS0_14default_configENS1_35adjacent_difference_config_selectorILb1ElEEZNS1_24adjacent_difference_implIS3_Lb1ELb0EPlS7_ZN2at6native12_GLOBAL__N_124unique_dim_cuda_templateItEESt5tupleIJNS8_6TensorESD_SD_EERKSD_lbbbEUlllE1_EE10hipError_tPvRmT2_T3_mT4_P12ihipStream_tbEUlT_E_NS1_11comp_targetILNS1_3genE3ELNS1_11target_archE908ELNS1_3gpuE7ELNS1_3repE0EEENS1_30default_config_static_selectorELNS0_4arch9wavefront6targetE1EEEvT1_
	.p2align	8
	.type	_ZN7rocprim17ROCPRIM_400000_NS6detail17trampoline_kernelINS0_14default_configENS1_35adjacent_difference_config_selectorILb1ElEEZNS1_24adjacent_difference_implIS3_Lb1ELb0EPlS7_ZN2at6native12_GLOBAL__N_124unique_dim_cuda_templateItEESt5tupleIJNS8_6TensorESD_SD_EERKSD_lbbbEUlllE1_EE10hipError_tPvRmT2_T3_mT4_P12ihipStream_tbEUlT_E_NS1_11comp_targetILNS1_3genE3ELNS1_11target_archE908ELNS1_3gpuE7ELNS1_3repE0EEENS1_30default_config_static_selectorELNS0_4arch9wavefront6targetE1EEEvT1_,@function
_ZN7rocprim17ROCPRIM_400000_NS6detail17trampoline_kernelINS0_14default_configENS1_35adjacent_difference_config_selectorILb1ElEEZNS1_24adjacent_difference_implIS3_Lb1ELb0EPlS7_ZN2at6native12_GLOBAL__N_124unique_dim_cuda_templateItEESt5tupleIJNS8_6TensorESD_SD_EERKSD_lbbbEUlllE1_EE10hipError_tPvRmT2_T3_mT4_P12ihipStream_tbEUlT_E_NS1_11comp_targetILNS1_3genE3ELNS1_11target_archE908ELNS1_3gpuE7ELNS1_3repE0EEENS1_30default_config_static_selectorELNS0_4arch9wavefront6targetE1EEEvT1_: ; @_ZN7rocprim17ROCPRIM_400000_NS6detail17trampoline_kernelINS0_14default_configENS1_35adjacent_difference_config_selectorILb1ElEEZNS1_24adjacent_difference_implIS3_Lb1ELb0EPlS7_ZN2at6native12_GLOBAL__N_124unique_dim_cuda_templateItEESt5tupleIJNS8_6TensorESD_SD_EERKSD_lbbbEUlllE1_EE10hipError_tPvRmT2_T3_mT4_P12ihipStream_tbEUlT_E_NS1_11comp_targetILNS1_3genE3ELNS1_11target_archE908ELNS1_3gpuE7ELNS1_3repE0EEENS1_30default_config_static_selectorELNS0_4arch9wavefront6targetE1EEEvT1_
; %bb.0:
	.section	.rodata,"a",@progbits
	.p2align	6, 0x0
	.amdhsa_kernel _ZN7rocprim17ROCPRIM_400000_NS6detail17trampoline_kernelINS0_14default_configENS1_35adjacent_difference_config_selectorILb1ElEEZNS1_24adjacent_difference_implIS3_Lb1ELb0EPlS7_ZN2at6native12_GLOBAL__N_124unique_dim_cuda_templateItEESt5tupleIJNS8_6TensorESD_SD_EERKSD_lbbbEUlllE1_EE10hipError_tPvRmT2_T3_mT4_P12ihipStream_tbEUlT_E_NS1_11comp_targetILNS1_3genE3ELNS1_11target_archE908ELNS1_3gpuE7ELNS1_3repE0EEENS1_30default_config_static_selectorELNS0_4arch9wavefront6targetE1EEEvT1_
		.amdhsa_group_segment_fixed_size 0
		.amdhsa_private_segment_fixed_size 0
		.amdhsa_kernarg_size 64
		.amdhsa_user_sgpr_count 2
		.amdhsa_user_sgpr_dispatch_ptr 0
		.amdhsa_user_sgpr_queue_ptr 0
		.amdhsa_user_sgpr_kernarg_segment_ptr 1
		.amdhsa_user_sgpr_dispatch_id 0
		.amdhsa_user_sgpr_kernarg_preload_length 0
		.amdhsa_user_sgpr_kernarg_preload_offset 0
		.amdhsa_user_sgpr_private_segment_size 0
		.amdhsa_uses_dynamic_stack 0
		.amdhsa_enable_private_segment 0
		.amdhsa_system_sgpr_workgroup_id_x 1
		.amdhsa_system_sgpr_workgroup_id_y 0
		.amdhsa_system_sgpr_workgroup_id_z 0
		.amdhsa_system_sgpr_workgroup_info 0
		.amdhsa_system_vgpr_workitem_id 0
		.amdhsa_next_free_vgpr 1
		.amdhsa_next_free_sgpr 0
		.amdhsa_accum_offset 4
		.amdhsa_reserve_vcc 0
		.amdhsa_float_round_mode_32 0
		.amdhsa_float_round_mode_16_64 0
		.amdhsa_float_denorm_mode_32 3
		.amdhsa_float_denorm_mode_16_64 3
		.amdhsa_dx10_clamp 1
		.amdhsa_ieee_mode 1
		.amdhsa_fp16_overflow 0
		.amdhsa_tg_split 0
		.amdhsa_exception_fp_ieee_invalid_op 0
		.amdhsa_exception_fp_denorm_src 0
		.amdhsa_exception_fp_ieee_div_zero 0
		.amdhsa_exception_fp_ieee_overflow 0
		.amdhsa_exception_fp_ieee_underflow 0
		.amdhsa_exception_fp_ieee_inexact 0
		.amdhsa_exception_int_div_zero 0
	.end_amdhsa_kernel
	.section	.text._ZN7rocprim17ROCPRIM_400000_NS6detail17trampoline_kernelINS0_14default_configENS1_35adjacent_difference_config_selectorILb1ElEEZNS1_24adjacent_difference_implIS3_Lb1ELb0EPlS7_ZN2at6native12_GLOBAL__N_124unique_dim_cuda_templateItEESt5tupleIJNS8_6TensorESD_SD_EERKSD_lbbbEUlllE1_EE10hipError_tPvRmT2_T3_mT4_P12ihipStream_tbEUlT_E_NS1_11comp_targetILNS1_3genE3ELNS1_11target_archE908ELNS1_3gpuE7ELNS1_3repE0EEENS1_30default_config_static_selectorELNS0_4arch9wavefront6targetE1EEEvT1_,"axG",@progbits,_ZN7rocprim17ROCPRIM_400000_NS6detail17trampoline_kernelINS0_14default_configENS1_35adjacent_difference_config_selectorILb1ElEEZNS1_24adjacent_difference_implIS3_Lb1ELb0EPlS7_ZN2at6native12_GLOBAL__N_124unique_dim_cuda_templateItEESt5tupleIJNS8_6TensorESD_SD_EERKSD_lbbbEUlllE1_EE10hipError_tPvRmT2_T3_mT4_P12ihipStream_tbEUlT_E_NS1_11comp_targetILNS1_3genE3ELNS1_11target_archE908ELNS1_3gpuE7ELNS1_3repE0EEENS1_30default_config_static_selectorELNS0_4arch9wavefront6targetE1EEEvT1_,comdat
.Lfunc_end1415:
	.size	_ZN7rocprim17ROCPRIM_400000_NS6detail17trampoline_kernelINS0_14default_configENS1_35adjacent_difference_config_selectorILb1ElEEZNS1_24adjacent_difference_implIS3_Lb1ELb0EPlS7_ZN2at6native12_GLOBAL__N_124unique_dim_cuda_templateItEESt5tupleIJNS8_6TensorESD_SD_EERKSD_lbbbEUlllE1_EE10hipError_tPvRmT2_T3_mT4_P12ihipStream_tbEUlT_E_NS1_11comp_targetILNS1_3genE3ELNS1_11target_archE908ELNS1_3gpuE7ELNS1_3repE0EEENS1_30default_config_static_selectorELNS0_4arch9wavefront6targetE1EEEvT1_, .Lfunc_end1415-_ZN7rocprim17ROCPRIM_400000_NS6detail17trampoline_kernelINS0_14default_configENS1_35adjacent_difference_config_selectorILb1ElEEZNS1_24adjacent_difference_implIS3_Lb1ELb0EPlS7_ZN2at6native12_GLOBAL__N_124unique_dim_cuda_templateItEESt5tupleIJNS8_6TensorESD_SD_EERKSD_lbbbEUlllE1_EE10hipError_tPvRmT2_T3_mT4_P12ihipStream_tbEUlT_E_NS1_11comp_targetILNS1_3genE3ELNS1_11target_archE908ELNS1_3gpuE7ELNS1_3repE0EEENS1_30default_config_static_selectorELNS0_4arch9wavefront6targetE1EEEvT1_
                                        ; -- End function
	.set _ZN7rocprim17ROCPRIM_400000_NS6detail17trampoline_kernelINS0_14default_configENS1_35adjacent_difference_config_selectorILb1ElEEZNS1_24adjacent_difference_implIS3_Lb1ELb0EPlS7_ZN2at6native12_GLOBAL__N_124unique_dim_cuda_templateItEESt5tupleIJNS8_6TensorESD_SD_EERKSD_lbbbEUlllE1_EE10hipError_tPvRmT2_T3_mT4_P12ihipStream_tbEUlT_E_NS1_11comp_targetILNS1_3genE3ELNS1_11target_archE908ELNS1_3gpuE7ELNS1_3repE0EEENS1_30default_config_static_selectorELNS0_4arch9wavefront6targetE1EEEvT1_.num_vgpr, 0
	.set _ZN7rocprim17ROCPRIM_400000_NS6detail17trampoline_kernelINS0_14default_configENS1_35adjacent_difference_config_selectorILb1ElEEZNS1_24adjacent_difference_implIS3_Lb1ELb0EPlS7_ZN2at6native12_GLOBAL__N_124unique_dim_cuda_templateItEESt5tupleIJNS8_6TensorESD_SD_EERKSD_lbbbEUlllE1_EE10hipError_tPvRmT2_T3_mT4_P12ihipStream_tbEUlT_E_NS1_11comp_targetILNS1_3genE3ELNS1_11target_archE908ELNS1_3gpuE7ELNS1_3repE0EEENS1_30default_config_static_selectorELNS0_4arch9wavefront6targetE1EEEvT1_.num_agpr, 0
	.set _ZN7rocprim17ROCPRIM_400000_NS6detail17trampoline_kernelINS0_14default_configENS1_35adjacent_difference_config_selectorILb1ElEEZNS1_24adjacent_difference_implIS3_Lb1ELb0EPlS7_ZN2at6native12_GLOBAL__N_124unique_dim_cuda_templateItEESt5tupleIJNS8_6TensorESD_SD_EERKSD_lbbbEUlllE1_EE10hipError_tPvRmT2_T3_mT4_P12ihipStream_tbEUlT_E_NS1_11comp_targetILNS1_3genE3ELNS1_11target_archE908ELNS1_3gpuE7ELNS1_3repE0EEENS1_30default_config_static_selectorELNS0_4arch9wavefront6targetE1EEEvT1_.numbered_sgpr, 0
	.set _ZN7rocprim17ROCPRIM_400000_NS6detail17trampoline_kernelINS0_14default_configENS1_35adjacent_difference_config_selectorILb1ElEEZNS1_24adjacent_difference_implIS3_Lb1ELb0EPlS7_ZN2at6native12_GLOBAL__N_124unique_dim_cuda_templateItEESt5tupleIJNS8_6TensorESD_SD_EERKSD_lbbbEUlllE1_EE10hipError_tPvRmT2_T3_mT4_P12ihipStream_tbEUlT_E_NS1_11comp_targetILNS1_3genE3ELNS1_11target_archE908ELNS1_3gpuE7ELNS1_3repE0EEENS1_30default_config_static_selectorELNS0_4arch9wavefront6targetE1EEEvT1_.num_named_barrier, 0
	.set _ZN7rocprim17ROCPRIM_400000_NS6detail17trampoline_kernelINS0_14default_configENS1_35adjacent_difference_config_selectorILb1ElEEZNS1_24adjacent_difference_implIS3_Lb1ELb0EPlS7_ZN2at6native12_GLOBAL__N_124unique_dim_cuda_templateItEESt5tupleIJNS8_6TensorESD_SD_EERKSD_lbbbEUlllE1_EE10hipError_tPvRmT2_T3_mT4_P12ihipStream_tbEUlT_E_NS1_11comp_targetILNS1_3genE3ELNS1_11target_archE908ELNS1_3gpuE7ELNS1_3repE0EEENS1_30default_config_static_selectorELNS0_4arch9wavefront6targetE1EEEvT1_.private_seg_size, 0
	.set _ZN7rocprim17ROCPRIM_400000_NS6detail17trampoline_kernelINS0_14default_configENS1_35adjacent_difference_config_selectorILb1ElEEZNS1_24adjacent_difference_implIS3_Lb1ELb0EPlS7_ZN2at6native12_GLOBAL__N_124unique_dim_cuda_templateItEESt5tupleIJNS8_6TensorESD_SD_EERKSD_lbbbEUlllE1_EE10hipError_tPvRmT2_T3_mT4_P12ihipStream_tbEUlT_E_NS1_11comp_targetILNS1_3genE3ELNS1_11target_archE908ELNS1_3gpuE7ELNS1_3repE0EEENS1_30default_config_static_selectorELNS0_4arch9wavefront6targetE1EEEvT1_.uses_vcc, 0
	.set _ZN7rocprim17ROCPRIM_400000_NS6detail17trampoline_kernelINS0_14default_configENS1_35adjacent_difference_config_selectorILb1ElEEZNS1_24adjacent_difference_implIS3_Lb1ELb0EPlS7_ZN2at6native12_GLOBAL__N_124unique_dim_cuda_templateItEESt5tupleIJNS8_6TensorESD_SD_EERKSD_lbbbEUlllE1_EE10hipError_tPvRmT2_T3_mT4_P12ihipStream_tbEUlT_E_NS1_11comp_targetILNS1_3genE3ELNS1_11target_archE908ELNS1_3gpuE7ELNS1_3repE0EEENS1_30default_config_static_selectorELNS0_4arch9wavefront6targetE1EEEvT1_.uses_flat_scratch, 0
	.set _ZN7rocprim17ROCPRIM_400000_NS6detail17trampoline_kernelINS0_14default_configENS1_35adjacent_difference_config_selectorILb1ElEEZNS1_24adjacent_difference_implIS3_Lb1ELb0EPlS7_ZN2at6native12_GLOBAL__N_124unique_dim_cuda_templateItEESt5tupleIJNS8_6TensorESD_SD_EERKSD_lbbbEUlllE1_EE10hipError_tPvRmT2_T3_mT4_P12ihipStream_tbEUlT_E_NS1_11comp_targetILNS1_3genE3ELNS1_11target_archE908ELNS1_3gpuE7ELNS1_3repE0EEENS1_30default_config_static_selectorELNS0_4arch9wavefront6targetE1EEEvT1_.has_dyn_sized_stack, 0
	.set _ZN7rocprim17ROCPRIM_400000_NS6detail17trampoline_kernelINS0_14default_configENS1_35adjacent_difference_config_selectorILb1ElEEZNS1_24adjacent_difference_implIS3_Lb1ELb0EPlS7_ZN2at6native12_GLOBAL__N_124unique_dim_cuda_templateItEESt5tupleIJNS8_6TensorESD_SD_EERKSD_lbbbEUlllE1_EE10hipError_tPvRmT2_T3_mT4_P12ihipStream_tbEUlT_E_NS1_11comp_targetILNS1_3genE3ELNS1_11target_archE908ELNS1_3gpuE7ELNS1_3repE0EEENS1_30default_config_static_selectorELNS0_4arch9wavefront6targetE1EEEvT1_.has_recursion, 0
	.set _ZN7rocprim17ROCPRIM_400000_NS6detail17trampoline_kernelINS0_14default_configENS1_35adjacent_difference_config_selectorILb1ElEEZNS1_24adjacent_difference_implIS3_Lb1ELb0EPlS7_ZN2at6native12_GLOBAL__N_124unique_dim_cuda_templateItEESt5tupleIJNS8_6TensorESD_SD_EERKSD_lbbbEUlllE1_EE10hipError_tPvRmT2_T3_mT4_P12ihipStream_tbEUlT_E_NS1_11comp_targetILNS1_3genE3ELNS1_11target_archE908ELNS1_3gpuE7ELNS1_3repE0EEENS1_30default_config_static_selectorELNS0_4arch9wavefront6targetE1EEEvT1_.has_indirect_call, 0
	.section	.AMDGPU.csdata,"",@progbits
; Kernel info:
; codeLenInByte = 0
; TotalNumSgprs: 6
; NumVgprs: 0
; NumAgprs: 0
; TotalNumVgprs: 0
; ScratchSize: 0
; MemoryBound: 0
; FloatMode: 240
; IeeeMode: 1
; LDSByteSize: 0 bytes/workgroup (compile time only)
; SGPRBlocks: 0
; VGPRBlocks: 0
; NumSGPRsForWavesPerEU: 6
; NumVGPRsForWavesPerEU: 1
; AccumOffset: 4
; Occupancy: 8
; WaveLimiterHint : 0
; COMPUTE_PGM_RSRC2:SCRATCH_EN: 0
; COMPUTE_PGM_RSRC2:USER_SGPR: 2
; COMPUTE_PGM_RSRC2:TRAP_HANDLER: 0
; COMPUTE_PGM_RSRC2:TGID_X_EN: 1
; COMPUTE_PGM_RSRC2:TGID_Y_EN: 0
; COMPUTE_PGM_RSRC2:TGID_Z_EN: 0
; COMPUTE_PGM_RSRC2:TIDIG_COMP_CNT: 0
; COMPUTE_PGM_RSRC3_GFX90A:ACCUM_OFFSET: 0
; COMPUTE_PGM_RSRC3_GFX90A:TG_SPLIT: 0
	.section	.text._ZN7rocprim17ROCPRIM_400000_NS6detail17trampoline_kernelINS0_14default_configENS1_35adjacent_difference_config_selectorILb1ElEEZNS1_24adjacent_difference_implIS3_Lb1ELb0EPlS7_ZN2at6native12_GLOBAL__N_124unique_dim_cuda_templateItEESt5tupleIJNS8_6TensorESD_SD_EERKSD_lbbbEUlllE1_EE10hipError_tPvRmT2_T3_mT4_P12ihipStream_tbEUlT_E_NS1_11comp_targetILNS1_3genE2ELNS1_11target_archE906ELNS1_3gpuE6ELNS1_3repE0EEENS1_30default_config_static_selectorELNS0_4arch9wavefront6targetE1EEEvT1_,"axG",@progbits,_ZN7rocprim17ROCPRIM_400000_NS6detail17trampoline_kernelINS0_14default_configENS1_35adjacent_difference_config_selectorILb1ElEEZNS1_24adjacent_difference_implIS3_Lb1ELb0EPlS7_ZN2at6native12_GLOBAL__N_124unique_dim_cuda_templateItEESt5tupleIJNS8_6TensorESD_SD_EERKSD_lbbbEUlllE1_EE10hipError_tPvRmT2_T3_mT4_P12ihipStream_tbEUlT_E_NS1_11comp_targetILNS1_3genE2ELNS1_11target_archE906ELNS1_3gpuE6ELNS1_3repE0EEENS1_30default_config_static_selectorELNS0_4arch9wavefront6targetE1EEEvT1_,comdat
	.globl	_ZN7rocprim17ROCPRIM_400000_NS6detail17trampoline_kernelINS0_14default_configENS1_35adjacent_difference_config_selectorILb1ElEEZNS1_24adjacent_difference_implIS3_Lb1ELb0EPlS7_ZN2at6native12_GLOBAL__N_124unique_dim_cuda_templateItEESt5tupleIJNS8_6TensorESD_SD_EERKSD_lbbbEUlllE1_EE10hipError_tPvRmT2_T3_mT4_P12ihipStream_tbEUlT_E_NS1_11comp_targetILNS1_3genE2ELNS1_11target_archE906ELNS1_3gpuE6ELNS1_3repE0EEENS1_30default_config_static_selectorELNS0_4arch9wavefront6targetE1EEEvT1_ ; -- Begin function _ZN7rocprim17ROCPRIM_400000_NS6detail17trampoline_kernelINS0_14default_configENS1_35adjacent_difference_config_selectorILb1ElEEZNS1_24adjacent_difference_implIS3_Lb1ELb0EPlS7_ZN2at6native12_GLOBAL__N_124unique_dim_cuda_templateItEESt5tupleIJNS8_6TensorESD_SD_EERKSD_lbbbEUlllE1_EE10hipError_tPvRmT2_T3_mT4_P12ihipStream_tbEUlT_E_NS1_11comp_targetILNS1_3genE2ELNS1_11target_archE906ELNS1_3gpuE6ELNS1_3repE0EEENS1_30default_config_static_selectorELNS0_4arch9wavefront6targetE1EEEvT1_
	.p2align	8
	.type	_ZN7rocprim17ROCPRIM_400000_NS6detail17trampoline_kernelINS0_14default_configENS1_35adjacent_difference_config_selectorILb1ElEEZNS1_24adjacent_difference_implIS3_Lb1ELb0EPlS7_ZN2at6native12_GLOBAL__N_124unique_dim_cuda_templateItEESt5tupleIJNS8_6TensorESD_SD_EERKSD_lbbbEUlllE1_EE10hipError_tPvRmT2_T3_mT4_P12ihipStream_tbEUlT_E_NS1_11comp_targetILNS1_3genE2ELNS1_11target_archE906ELNS1_3gpuE6ELNS1_3repE0EEENS1_30default_config_static_selectorELNS0_4arch9wavefront6targetE1EEEvT1_,@function
_ZN7rocprim17ROCPRIM_400000_NS6detail17trampoline_kernelINS0_14default_configENS1_35adjacent_difference_config_selectorILb1ElEEZNS1_24adjacent_difference_implIS3_Lb1ELb0EPlS7_ZN2at6native12_GLOBAL__N_124unique_dim_cuda_templateItEESt5tupleIJNS8_6TensorESD_SD_EERKSD_lbbbEUlllE1_EE10hipError_tPvRmT2_T3_mT4_P12ihipStream_tbEUlT_E_NS1_11comp_targetILNS1_3genE2ELNS1_11target_archE906ELNS1_3gpuE6ELNS1_3repE0EEENS1_30default_config_static_selectorELNS0_4arch9wavefront6targetE1EEEvT1_: ; @_ZN7rocprim17ROCPRIM_400000_NS6detail17trampoline_kernelINS0_14default_configENS1_35adjacent_difference_config_selectorILb1ElEEZNS1_24adjacent_difference_implIS3_Lb1ELb0EPlS7_ZN2at6native12_GLOBAL__N_124unique_dim_cuda_templateItEESt5tupleIJNS8_6TensorESD_SD_EERKSD_lbbbEUlllE1_EE10hipError_tPvRmT2_T3_mT4_P12ihipStream_tbEUlT_E_NS1_11comp_targetILNS1_3genE2ELNS1_11target_archE906ELNS1_3gpuE6ELNS1_3repE0EEENS1_30default_config_static_selectorELNS0_4arch9wavefront6targetE1EEEvT1_
; %bb.0:
	.section	.rodata,"a",@progbits
	.p2align	6, 0x0
	.amdhsa_kernel _ZN7rocprim17ROCPRIM_400000_NS6detail17trampoline_kernelINS0_14default_configENS1_35adjacent_difference_config_selectorILb1ElEEZNS1_24adjacent_difference_implIS3_Lb1ELb0EPlS7_ZN2at6native12_GLOBAL__N_124unique_dim_cuda_templateItEESt5tupleIJNS8_6TensorESD_SD_EERKSD_lbbbEUlllE1_EE10hipError_tPvRmT2_T3_mT4_P12ihipStream_tbEUlT_E_NS1_11comp_targetILNS1_3genE2ELNS1_11target_archE906ELNS1_3gpuE6ELNS1_3repE0EEENS1_30default_config_static_selectorELNS0_4arch9wavefront6targetE1EEEvT1_
		.amdhsa_group_segment_fixed_size 0
		.amdhsa_private_segment_fixed_size 0
		.amdhsa_kernarg_size 64
		.amdhsa_user_sgpr_count 2
		.amdhsa_user_sgpr_dispatch_ptr 0
		.amdhsa_user_sgpr_queue_ptr 0
		.amdhsa_user_sgpr_kernarg_segment_ptr 1
		.amdhsa_user_sgpr_dispatch_id 0
		.amdhsa_user_sgpr_kernarg_preload_length 0
		.amdhsa_user_sgpr_kernarg_preload_offset 0
		.amdhsa_user_sgpr_private_segment_size 0
		.amdhsa_uses_dynamic_stack 0
		.amdhsa_enable_private_segment 0
		.amdhsa_system_sgpr_workgroup_id_x 1
		.amdhsa_system_sgpr_workgroup_id_y 0
		.amdhsa_system_sgpr_workgroup_id_z 0
		.amdhsa_system_sgpr_workgroup_info 0
		.amdhsa_system_vgpr_workitem_id 0
		.amdhsa_next_free_vgpr 1
		.amdhsa_next_free_sgpr 0
		.amdhsa_accum_offset 4
		.amdhsa_reserve_vcc 0
		.amdhsa_float_round_mode_32 0
		.amdhsa_float_round_mode_16_64 0
		.amdhsa_float_denorm_mode_32 3
		.amdhsa_float_denorm_mode_16_64 3
		.amdhsa_dx10_clamp 1
		.amdhsa_ieee_mode 1
		.amdhsa_fp16_overflow 0
		.amdhsa_tg_split 0
		.amdhsa_exception_fp_ieee_invalid_op 0
		.amdhsa_exception_fp_denorm_src 0
		.amdhsa_exception_fp_ieee_div_zero 0
		.amdhsa_exception_fp_ieee_overflow 0
		.amdhsa_exception_fp_ieee_underflow 0
		.amdhsa_exception_fp_ieee_inexact 0
		.amdhsa_exception_int_div_zero 0
	.end_amdhsa_kernel
	.section	.text._ZN7rocprim17ROCPRIM_400000_NS6detail17trampoline_kernelINS0_14default_configENS1_35adjacent_difference_config_selectorILb1ElEEZNS1_24adjacent_difference_implIS3_Lb1ELb0EPlS7_ZN2at6native12_GLOBAL__N_124unique_dim_cuda_templateItEESt5tupleIJNS8_6TensorESD_SD_EERKSD_lbbbEUlllE1_EE10hipError_tPvRmT2_T3_mT4_P12ihipStream_tbEUlT_E_NS1_11comp_targetILNS1_3genE2ELNS1_11target_archE906ELNS1_3gpuE6ELNS1_3repE0EEENS1_30default_config_static_selectorELNS0_4arch9wavefront6targetE1EEEvT1_,"axG",@progbits,_ZN7rocprim17ROCPRIM_400000_NS6detail17trampoline_kernelINS0_14default_configENS1_35adjacent_difference_config_selectorILb1ElEEZNS1_24adjacent_difference_implIS3_Lb1ELb0EPlS7_ZN2at6native12_GLOBAL__N_124unique_dim_cuda_templateItEESt5tupleIJNS8_6TensorESD_SD_EERKSD_lbbbEUlllE1_EE10hipError_tPvRmT2_T3_mT4_P12ihipStream_tbEUlT_E_NS1_11comp_targetILNS1_3genE2ELNS1_11target_archE906ELNS1_3gpuE6ELNS1_3repE0EEENS1_30default_config_static_selectorELNS0_4arch9wavefront6targetE1EEEvT1_,comdat
.Lfunc_end1416:
	.size	_ZN7rocprim17ROCPRIM_400000_NS6detail17trampoline_kernelINS0_14default_configENS1_35adjacent_difference_config_selectorILb1ElEEZNS1_24adjacent_difference_implIS3_Lb1ELb0EPlS7_ZN2at6native12_GLOBAL__N_124unique_dim_cuda_templateItEESt5tupleIJNS8_6TensorESD_SD_EERKSD_lbbbEUlllE1_EE10hipError_tPvRmT2_T3_mT4_P12ihipStream_tbEUlT_E_NS1_11comp_targetILNS1_3genE2ELNS1_11target_archE906ELNS1_3gpuE6ELNS1_3repE0EEENS1_30default_config_static_selectorELNS0_4arch9wavefront6targetE1EEEvT1_, .Lfunc_end1416-_ZN7rocprim17ROCPRIM_400000_NS6detail17trampoline_kernelINS0_14default_configENS1_35adjacent_difference_config_selectorILb1ElEEZNS1_24adjacent_difference_implIS3_Lb1ELb0EPlS7_ZN2at6native12_GLOBAL__N_124unique_dim_cuda_templateItEESt5tupleIJNS8_6TensorESD_SD_EERKSD_lbbbEUlllE1_EE10hipError_tPvRmT2_T3_mT4_P12ihipStream_tbEUlT_E_NS1_11comp_targetILNS1_3genE2ELNS1_11target_archE906ELNS1_3gpuE6ELNS1_3repE0EEENS1_30default_config_static_selectorELNS0_4arch9wavefront6targetE1EEEvT1_
                                        ; -- End function
	.set _ZN7rocprim17ROCPRIM_400000_NS6detail17trampoline_kernelINS0_14default_configENS1_35adjacent_difference_config_selectorILb1ElEEZNS1_24adjacent_difference_implIS3_Lb1ELb0EPlS7_ZN2at6native12_GLOBAL__N_124unique_dim_cuda_templateItEESt5tupleIJNS8_6TensorESD_SD_EERKSD_lbbbEUlllE1_EE10hipError_tPvRmT2_T3_mT4_P12ihipStream_tbEUlT_E_NS1_11comp_targetILNS1_3genE2ELNS1_11target_archE906ELNS1_3gpuE6ELNS1_3repE0EEENS1_30default_config_static_selectorELNS0_4arch9wavefront6targetE1EEEvT1_.num_vgpr, 0
	.set _ZN7rocprim17ROCPRIM_400000_NS6detail17trampoline_kernelINS0_14default_configENS1_35adjacent_difference_config_selectorILb1ElEEZNS1_24adjacent_difference_implIS3_Lb1ELb0EPlS7_ZN2at6native12_GLOBAL__N_124unique_dim_cuda_templateItEESt5tupleIJNS8_6TensorESD_SD_EERKSD_lbbbEUlllE1_EE10hipError_tPvRmT2_T3_mT4_P12ihipStream_tbEUlT_E_NS1_11comp_targetILNS1_3genE2ELNS1_11target_archE906ELNS1_3gpuE6ELNS1_3repE0EEENS1_30default_config_static_selectorELNS0_4arch9wavefront6targetE1EEEvT1_.num_agpr, 0
	.set _ZN7rocprim17ROCPRIM_400000_NS6detail17trampoline_kernelINS0_14default_configENS1_35adjacent_difference_config_selectorILb1ElEEZNS1_24adjacent_difference_implIS3_Lb1ELb0EPlS7_ZN2at6native12_GLOBAL__N_124unique_dim_cuda_templateItEESt5tupleIJNS8_6TensorESD_SD_EERKSD_lbbbEUlllE1_EE10hipError_tPvRmT2_T3_mT4_P12ihipStream_tbEUlT_E_NS1_11comp_targetILNS1_3genE2ELNS1_11target_archE906ELNS1_3gpuE6ELNS1_3repE0EEENS1_30default_config_static_selectorELNS0_4arch9wavefront6targetE1EEEvT1_.numbered_sgpr, 0
	.set _ZN7rocprim17ROCPRIM_400000_NS6detail17trampoline_kernelINS0_14default_configENS1_35adjacent_difference_config_selectorILb1ElEEZNS1_24adjacent_difference_implIS3_Lb1ELb0EPlS7_ZN2at6native12_GLOBAL__N_124unique_dim_cuda_templateItEESt5tupleIJNS8_6TensorESD_SD_EERKSD_lbbbEUlllE1_EE10hipError_tPvRmT2_T3_mT4_P12ihipStream_tbEUlT_E_NS1_11comp_targetILNS1_3genE2ELNS1_11target_archE906ELNS1_3gpuE6ELNS1_3repE0EEENS1_30default_config_static_selectorELNS0_4arch9wavefront6targetE1EEEvT1_.num_named_barrier, 0
	.set _ZN7rocprim17ROCPRIM_400000_NS6detail17trampoline_kernelINS0_14default_configENS1_35adjacent_difference_config_selectorILb1ElEEZNS1_24adjacent_difference_implIS3_Lb1ELb0EPlS7_ZN2at6native12_GLOBAL__N_124unique_dim_cuda_templateItEESt5tupleIJNS8_6TensorESD_SD_EERKSD_lbbbEUlllE1_EE10hipError_tPvRmT2_T3_mT4_P12ihipStream_tbEUlT_E_NS1_11comp_targetILNS1_3genE2ELNS1_11target_archE906ELNS1_3gpuE6ELNS1_3repE0EEENS1_30default_config_static_selectorELNS0_4arch9wavefront6targetE1EEEvT1_.private_seg_size, 0
	.set _ZN7rocprim17ROCPRIM_400000_NS6detail17trampoline_kernelINS0_14default_configENS1_35adjacent_difference_config_selectorILb1ElEEZNS1_24adjacent_difference_implIS3_Lb1ELb0EPlS7_ZN2at6native12_GLOBAL__N_124unique_dim_cuda_templateItEESt5tupleIJNS8_6TensorESD_SD_EERKSD_lbbbEUlllE1_EE10hipError_tPvRmT2_T3_mT4_P12ihipStream_tbEUlT_E_NS1_11comp_targetILNS1_3genE2ELNS1_11target_archE906ELNS1_3gpuE6ELNS1_3repE0EEENS1_30default_config_static_selectorELNS0_4arch9wavefront6targetE1EEEvT1_.uses_vcc, 0
	.set _ZN7rocprim17ROCPRIM_400000_NS6detail17trampoline_kernelINS0_14default_configENS1_35adjacent_difference_config_selectorILb1ElEEZNS1_24adjacent_difference_implIS3_Lb1ELb0EPlS7_ZN2at6native12_GLOBAL__N_124unique_dim_cuda_templateItEESt5tupleIJNS8_6TensorESD_SD_EERKSD_lbbbEUlllE1_EE10hipError_tPvRmT2_T3_mT4_P12ihipStream_tbEUlT_E_NS1_11comp_targetILNS1_3genE2ELNS1_11target_archE906ELNS1_3gpuE6ELNS1_3repE0EEENS1_30default_config_static_selectorELNS0_4arch9wavefront6targetE1EEEvT1_.uses_flat_scratch, 0
	.set _ZN7rocprim17ROCPRIM_400000_NS6detail17trampoline_kernelINS0_14default_configENS1_35adjacent_difference_config_selectorILb1ElEEZNS1_24adjacent_difference_implIS3_Lb1ELb0EPlS7_ZN2at6native12_GLOBAL__N_124unique_dim_cuda_templateItEESt5tupleIJNS8_6TensorESD_SD_EERKSD_lbbbEUlllE1_EE10hipError_tPvRmT2_T3_mT4_P12ihipStream_tbEUlT_E_NS1_11comp_targetILNS1_3genE2ELNS1_11target_archE906ELNS1_3gpuE6ELNS1_3repE0EEENS1_30default_config_static_selectorELNS0_4arch9wavefront6targetE1EEEvT1_.has_dyn_sized_stack, 0
	.set _ZN7rocprim17ROCPRIM_400000_NS6detail17trampoline_kernelINS0_14default_configENS1_35adjacent_difference_config_selectorILb1ElEEZNS1_24adjacent_difference_implIS3_Lb1ELb0EPlS7_ZN2at6native12_GLOBAL__N_124unique_dim_cuda_templateItEESt5tupleIJNS8_6TensorESD_SD_EERKSD_lbbbEUlllE1_EE10hipError_tPvRmT2_T3_mT4_P12ihipStream_tbEUlT_E_NS1_11comp_targetILNS1_3genE2ELNS1_11target_archE906ELNS1_3gpuE6ELNS1_3repE0EEENS1_30default_config_static_selectorELNS0_4arch9wavefront6targetE1EEEvT1_.has_recursion, 0
	.set _ZN7rocprim17ROCPRIM_400000_NS6detail17trampoline_kernelINS0_14default_configENS1_35adjacent_difference_config_selectorILb1ElEEZNS1_24adjacent_difference_implIS3_Lb1ELb0EPlS7_ZN2at6native12_GLOBAL__N_124unique_dim_cuda_templateItEESt5tupleIJNS8_6TensorESD_SD_EERKSD_lbbbEUlllE1_EE10hipError_tPvRmT2_T3_mT4_P12ihipStream_tbEUlT_E_NS1_11comp_targetILNS1_3genE2ELNS1_11target_archE906ELNS1_3gpuE6ELNS1_3repE0EEENS1_30default_config_static_selectorELNS0_4arch9wavefront6targetE1EEEvT1_.has_indirect_call, 0
	.section	.AMDGPU.csdata,"",@progbits
; Kernel info:
; codeLenInByte = 0
; TotalNumSgprs: 6
; NumVgprs: 0
; NumAgprs: 0
; TotalNumVgprs: 0
; ScratchSize: 0
; MemoryBound: 0
; FloatMode: 240
; IeeeMode: 1
; LDSByteSize: 0 bytes/workgroup (compile time only)
; SGPRBlocks: 0
; VGPRBlocks: 0
; NumSGPRsForWavesPerEU: 6
; NumVGPRsForWavesPerEU: 1
; AccumOffset: 4
; Occupancy: 8
; WaveLimiterHint : 0
; COMPUTE_PGM_RSRC2:SCRATCH_EN: 0
; COMPUTE_PGM_RSRC2:USER_SGPR: 2
; COMPUTE_PGM_RSRC2:TRAP_HANDLER: 0
; COMPUTE_PGM_RSRC2:TGID_X_EN: 1
; COMPUTE_PGM_RSRC2:TGID_Y_EN: 0
; COMPUTE_PGM_RSRC2:TGID_Z_EN: 0
; COMPUTE_PGM_RSRC2:TIDIG_COMP_CNT: 0
; COMPUTE_PGM_RSRC3_GFX90A:ACCUM_OFFSET: 0
; COMPUTE_PGM_RSRC3_GFX90A:TG_SPLIT: 0
	.section	.text._ZN7rocprim17ROCPRIM_400000_NS6detail17trampoline_kernelINS0_14default_configENS1_35adjacent_difference_config_selectorILb1ElEEZNS1_24adjacent_difference_implIS3_Lb1ELb0EPlS7_ZN2at6native12_GLOBAL__N_124unique_dim_cuda_templateItEESt5tupleIJNS8_6TensorESD_SD_EERKSD_lbbbEUlllE1_EE10hipError_tPvRmT2_T3_mT4_P12ihipStream_tbEUlT_E_NS1_11comp_targetILNS1_3genE9ELNS1_11target_archE1100ELNS1_3gpuE3ELNS1_3repE0EEENS1_30default_config_static_selectorELNS0_4arch9wavefront6targetE1EEEvT1_,"axG",@progbits,_ZN7rocprim17ROCPRIM_400000_NS6detail17trampoline_kernelINS0_14default_configENS1_35adjacent_difference_config_selectorILb1ElEEZNS1_24adjacent_difference_implIS3_Lb1ELb0EPlS7_ZN2at6native12_GLOBAL__N_124unique_dim_cuda_templateItEESt5tupleIJNS8_6TensorESD_SD_EERKSD_lbbbEUlllE1_EE10hipError_tPvRmT2_T3_mT4_P12ihipStream_tbEUlT_E_NS1_11comp_targetILNS1_3genE9ELNS1_11target_archE1100ELNS1_3gpuE3ELNS1_3repE0EEENS1_30default_config_static_selectorELNS0_4arch9wavefront6targetE1EEEvT1_,comdat
	.globl	_ZN7rocprim17ROCPRIM_400000_NS6detail17trampoline_kernelINS0_14default_configENS1_35adjacent_difference_config_selectorILb1ElEEZNS1_24adjacent_difference_implIS3_Lb1ELb0EPlS7_ZN2at6native12_GLOBAL__N_124unique_dim_cuda_templateItEESt5tupleIJNS8_6TensorESD_SD_EERKSD_lbbbEUlllE1_EE10hipError_tPvRmT2_T3_mT4_P12ihipStream_tbEUlT_E_NS1_11comp_targetILNS1_3genE9ELNS1_11target_archE1100ELNS1_3gpuE3ELNS1_3repE0EEENS1_30default_config_static_selectorELNS0_4arch9wavefront6targetE1EEEvT1_ ; -- Begin function _ZN7rocprim17ROCPRIM_400000_NS6detail17trampoline_kernelINS0_14default_configENS1_35adjacent_difference_config_selectorILb1ElEEZNS1_24adjacent_difference_implIS3_Lb1ELb0EPlS7_ZN2at6native12_GLOBAL__N_124unique_dim_cuda_templateItEESt5tupleIJNS8_6TensorESD_SD_EERKSD_lbbbEUlllE1_EE10hipError_tPvRmT2_T3_mT4_P12ihipStream_tbEUlT_E_NS1_11comp_targetILNS1_3genE9ELNS1_11target_archE1100ELNS1_3gpuE3ELNS1_3repE0EEENS1_30default_config_static_selectorELNS0_4arch9wavefront6targetE1EEEvT1_
	.p2align	8
	.type	_ZN7rocprim17ROCPRIM_400000_NS6detail17trampoline_kernelINS0_14default_configENS1_35adjacent_difference_config_selectorILb1ElEEZNS1_24adjacent_difference_implIS3_Lb1ELb0EPlS7_ZN2at6native12_GLOBAL__N_124unique_dim_cuda_templateItEESt5tupleIJNS8_6TensorESD_SD_EERKSD_lbbbEUlllE1_EE10hipError_tPvRmT2_T3_mT4_P12ihipStream_tbEUlT_E_NS1_11comp_targetILNS1_3genE9ELNS1_11target_archE1100ELNS1_3gpuE3ELNS1_3repE0EEENS1_30default_config_static_selectorELNS0_4arch9wavefront6targetE1EEEvT1_,@function
_ZN7rocprim17ROCPRIM_400000_NS6detail17trampoline_kernelINS0_14default_configENS1_35adjacent_difference_config_selectorILb1ElEEZNS1_24adjacent_difference_implIS3_Lb1ELb0EPlS7_ZN2at6native12_GLOBAL__N_124unique_dim_cuda_templateItEESt5tupleIJNS8_6TensorESD_SD_EERKSD_lbbbEUlllE1_EE10hipError_tPvRmT2_T3_mT4_P12ihipStream_tbEUlT_E_NS1_11comp_targetILNS1_3genE9ELNS1_11target_archE1100ELNS1_3gpuE3ELNS1_3repE0EEENS1_30default_config_static_selectorELNS0_4arch9wavefront6targetE1EEEvT1_: ; @_ZN7rocprim17ROCPRIM_400000_NS6detail17trampoline_kernelINS0_14default_configENS1_35adjacent_difference_config_selectorILb1ElEEZNS1_24adjacent_difference_implIS3_Lb1ELb0EPlS7_ZN2at6native12_GLOBAL__N_124unique_dim_cuda_templateItEESt5tupleIJNS8_6TensorESD_SD_EERKSD_lbbbEUlllE1_EE10hipError_tPvRmT2_T3_mT4_P12ihipStream_tbEUlT_E_NS1_11comp_targetILNS1_3genE9ELNS1_11target_archE1100ELNS1_3gpuE3ELNS1_3repE0EEENS1_30default_config_static_selectorELNS0_4arch9wavefront6targetE1EEEvT1_
; %bb.0:
	.section	.rodata,"a",@progbits
	.p2align	6, 0x0
	.amdhsa_kernel _ZN7rocprim17ROCPRIM_400000_NS6detail17trampoline_kernelINS0_14default_configENS1_35adjacent_difference_config_selectorILb1ElEEZNS1_24adjacent_difference_implIS3_Lb1ELb0EPlS7_ZN2at6native12_GLOBAL__N_124unique_dim_cuda_templateItEESt5tupleIJNS8_6TensorESD_SD_EERKSD_lbbbEUlllE1_EE10hipError_tPvRmT2_T3_mT4_P12ihipStream_tbEUlT_E_NS1_11comp_targetILNS1_3genE9ELNS1_11target_archE1100ELNS1_3gpuE3ELNS1_3repE0EEENS1_30default_config_static_selectorELNS0_4arch9wavefront6targetE1EEEvT1_
		.amdhsa_group_segment_fixed_size 0
		.amdhsa_private_segment_fixed_size 0
		.amdhsa_kernarg_size 64
		.amdhsa_user_sgpr_count 2
		.amdhsa_user_sgpr_dispatch_ptr 0
		.amdhsa_user_sgpr_queue_ptr 0
		.amdhsa_user_sgpr_kernarg_segment_ptr 1
		.amdhsa_user_sgpr_dispatch_id 0
		.amdhsa_user_sgpr_kernarg_preload_length 0
		.amdhsa_user_sgpr_kernarg_preload_offset 0
		.amdhsa_user_sgpr_private_segment_size 0
		.amdhsa_uses_dynamic_stack 0
		.amdhsa_enable_private_segment 0
		.amdhsa_system_sgpr_workgroup_id_x 1
		.amdhsa_system_sgpr_workgroup_id_y 0
		.amdhsa_system_sgpr_workgroup_id_z 0
		.amdhsa_system_sgpr_workgroup_info 0
		.amdhsa_system_vgpr_workitem_id 0
		.amdhsa_next_free_vgpr 1
		.amdhsa_next_free_sgpr 0
		.amdhsa_accum_offset 4
		.amdhsa_reserve_vcc 0
		.amdhsa_float_round_mode_32 0
		.amdhsa_float_round_mode_16_64 0
		.amdhsa_float_denorm_mode_32 3
		.amdhsa_float_denorm_mode_16_64 3
		.amdhsa_dx10_clamp 1
		.amdhsa_ieee_mode 1
		.amdhsa_fp16_overflow 0
		.amdhsa_tg_split 0
		.amdhsa_exception_fp_ieee_invalid_op 0
		.amdhsa_exception_fp_denorm_src 0
		.amdhsa_exception_fp_ieee_div_zero 0
		.amdhsa_exception_fp_ieee_overflow 0
		.amdhsa_exception_fp_ieee_underflow 0
		.amdhsa_exception_fp_ieee_inexact 0
		.amdhsa_exception_int_div_zero 0
	.end_amdhsa_kernel
	.section	.text._ZN7rocprim17ROCPRIM_400000_NS6detail17trampoline_kernelINS0_14default_configENS1_35adjacent_difference_config_selectorILb1ElEEZNS1_24adjacent_difference_implIS3_Lb1ELb0EPlS7_ZN2at6native12_GLOBAL__N_124unique_dim_cuda_templateItEESt5tupleIJNS8_6TensorESD_SD_EERKSD_lbbbEUlllE1_EE10hipError_tPvRmT2_T3_mT4_P12ihipStream_tbEUlT_E_NS1_11comp_targetILNS1_3genE9ELNS1_11target_archE1100ELNS1_3gpuE3ELNS1_3repE0EEENS1_30default_config_static_selectorELNS0_4arch9wavefront6targetE1EEEvT1_,"axG",@progbits,_ZN7rocprim17ROCPRIM_400000_NS6detail17trampoline_kernelINS0_14default_configENS1_35adjacent_difference_config_selectorILb1ElEEZNS1_24adjacent_difference_implIS3_Lb1ELb0EPlS7_ZN2at6native12_GLOBAL__N_124unique_dim_cuda_templateItEESt5tupleIJNS8_6TensorESD_SD_EERKSD_lbbbEUlllE1_EE10hipError_tPvRmT2_T3_mT4_P12ihipStream_tbEUlT_E_NS1_11comp_targetILNS1_3genE9ELNS1_11target_archE1100ELNS1_3gpuE3ELNS1_3repE0EEENS1_30default_config_static_selectorELNS0_4arch9wavefront6targetE1EEEvT1_,comdat
.Lfunc_end1417:
	.size	_ZN7rocprim17ROCPRIM_400000_NS6detail17trampoline_kernelINS0_14default_configENS1_35adjacent_difference_config_selectorILb1ElEEZNS1_24adjacent_difference_implIS3_Lb1ELb0EPlS7_ZN2at6native12_GLOBAL__N_124unique_dim_cuda_templateItEESt5tupleIJNS8_6TensorESD_SD_EERKSD_lbbbEUlllE1_EE10hipError_tPvRmT2_T3_mT4_P12ihipStream_tbEUlT_E_NS1_11comp_targetILNS1_3genE9ELNS1_11target_archE1100ELNS1_3gpuE3ELNS1_3repE0EEENS1_30default_config_static_selectorELNS0_4arch9wavefront6targetE1EEEvT1_, .Lfunc_end1417-_ZN7rocprim17ROCPRIM_400000_NS6detail17trampoline_kernelINS0_14default_configENS1_35adjacent_difference_config_selectorILb1ElEEZNS1_24adjacent_difference_implIS3_Lb1ELb0EPlS7_ZN2at6native12_GLOBAL__N_124unique_dim_cuda_templateItEESt5tupleIJNS8_6TensorESD_SD_EERKSD_lbbbEUlllE1_EE10hipError_tPvRmT2_T3_mT4_P12ihipStream_tbEUlT_E_NS1_11comp_targetILNS1_3genE9ELNS1_11target_archE1100ELNS1_3gpuE3ELNS1_3repE0EEENS1_30default_config_static_selectorELNS0_4arch9wavefront6targetE1EEEvT1_
                                        ; -- End function
	.set _ZN7rocprim17ROCPRIM_400000_NS6detail17trampoline_kernelINS0_14default_configENS1_35adjacent_difference_config_selectorILb1ElEEZNS1_24adjacent_difference_implIS3_Lb1ELb0EPlS7_ZN2at6native12_GLOBAL__N_124unique_dim_cuda_templateItEESt5tupleIJNS8_6TensorESD_SD_EERKSD_lbbbEUlllE1_EE10hipError_tPvRmT2_T3_mT4_P12ihipStream_tbEUlT_E_NS1_11comp_targetILNS1_3genE9ELNS1_11target_archE1100ELNS1_3gpuE3ELNS1_3repE0EEENS1_30default_config_static_selectorELNS0_4arch9wavefront6targetE1EEEvT1_.num_vgpr, 0
	.set _ZN7rocprim17ROCPRIM_400000_NS6detail17trampoline_kernelINS0_14default_configENS1_35adjacent_difference_config_selectorILb1ElEEZNS1_24adjacent_difference_implIS3_Lb1ELb0EPlS7_ZN2at6native12_GLOBAL__N_124unique_dim_cuda_templateItEESt5tupleIJNS8_6TensorESD_SD_EERKSD_lbbbEUlllE1_EE10hipError_tPvRmT2_T3_mT4_P12ihipStream_tbEUlT_E_NS1_11comp_targetILNS1_3genE9ELNS1_11target_archE1100ELNS1_3gpuE3ELNS1_3repE0EEENS1_30default_config_static_selectorELNS0_4arch9wavefront6targetE1EEEvT1_.num_agpr, 0
	.set _ZN7rocprim17ROCPRIM_400000_NS6detail17trampoline_kernelINS0_14default_configENS1_35adjacent_difference_config_selectorILb1ElEEZNS1_24adjacent_difference_implIS3_Lb1ELb0EPlS7_ZN2at6native12_GLOBAL__N_124unique_dim_cuda_templateItEESt5tupleIJNS8_6TensorESD_SD_EERKSD_lbbbEUlllE1_EE10hipError_tPvRmT2_T3_mT4_P12ihipStream_tbEUlT_E_NS1_11comp_targetILNS1_3genE9ELNS1_11target_archE1100ELNS1_3gpuE3ELNS1_3repE0EEENS1_30default_config_static_selectorELNS0_4arch9wavefront6targetE1EEEvT1_.numbered_sgpr, 0
	.set _ZN7rocprim17ROCPRIM_400000_NS6detail17trampoline_kernelINS0_14default_configENS1_35adjacent_difference_config_selectorILb1ElEEZNS1_24adjacent_difference_implIS3_Lb1ELb0EPlS7_ZN2at6native12_GLOBAL__N_124unique_dim_cuda_templateItEESt5tupleIJNS8_6TensorESD_SD_EERKSD_lbbbEUlllE1_EE10hipError_tPvRmT2_T3_mT4_P12ihipStream_tbEUlT_E_NS1_11comp_targetILNS1_3genE9ELNS1_11target_archE1100ELNS1_3gpuE3ELNS1_3repE0EEENS1_30default_config_static_selectorELNS0_4arch9wavefront6targetE1EEEvT1_.num_named_barrier, 0
	.set _ZN7rocprim17ROCPRIM_400000_NS6detail17trampoline_kernelINS0_14default_configENS1_35adjacent_difference_config_selectorILb1ElEEZNS1_24adjacent_difference_implIS3_Lb1ELb0EPlS7_ZN2at6native12_GLOBAL__N_124unique_dim_cuda_templateItEESt5tupleIJNS8_6TensorESD_SD_EERKSD_lbbbEUlllE1_EE10hipError_tPvRmT2_T3_mT4_P12ihipStream_tbEUlT_E_NS1_11comp_targetILNS1_3genE9ELNS1_11target_archE1100ELNS1_3gpuE3ELNS1_3repE0EEENS1_30default_config_static_selectorELNS0_4arch9wavefront6targetE1EEEvT1_.private_seg_size, 0
	.set _ZN7rocprim17ROCPRIM_400000_NS6detail17trampoline_kernelINS0_14default_configENS1_35adjacent_difference_config_selectorILb1ElEEZNS1_24adjacent_difference_implIS3_Lb1ELb0EPlS7_ZN2at6native12_GLOBAL__N_124unique_dim_cuda_templateItEESt5tupleIJNS8_6TensorESD_SD_EERKSD_lbbbEUlllE1_EE10hipError_tPvRmT2_T3_mT4_P12ihipStream_tbEUlT_E_NS1_11comp_targetILNS1_3genE9ELNS1_11target_archE1100ELNS1_3gpuE3ELNS1_3repE0EEENS1_30default_config_static_selectorELNS0_4arch9wavefront6targetE1EEEvT1_.uses_vcc, 0
	.set _ZN7rocprim17ROCPRIM_400000_NS6detail17trampoline_kernelINS0_14default_configENS1_35adjacent_difference_config_selectorILb1ElEEZNS1_24adjacent_difference_implIS3_Lb1ELb0EPlS7_ZN2at6native12_GLOBAL__N_124unique_dim_cuda_templateItEESt5tupleIJNS8_6TensorESD_SD_EERKSD_lbbbEUlllE1_EE10hipError_tPvRmT2_T3_mT4_P12ihipStream_tbEUlT_E_NS1_11comp_targetILNS1_3genE9ELNS1_11target_archE1100ELNS1_3gpuE3ELNS1_3repE0EEENS1_30default_config_static_selectorELNS0_4arch9wavefront6targetE1EEEvT1_.uses_flat_scratch, 0
	.set _ZN7rocprim17ROCPRIM_400000_NS6detail17trampoline_kernelINS0_14default_configENS1_35adjacent_difference_config_selectorILb1ElEEZNS1_24adjacent_difference_implIS3_Lb1ELb0EPlS7_ZN2at6native12_GLOBAL__N_124unique_dim_cuda_templateItEESt5tupleIJNS8_6TensorESD_SD_EERKSD_lbbbEUlllE1_EE10hipError_tPvRmT2_T3_mT4_P12ihipStream_tbEUlT_E_NS1_11comp_targetILNS1_3genE9ELNS1_11target_archE1100ELNS1_3gpuE3ELNS1_3repE0EEENS1_30default_config_static_selectorELNS0_4arch9wavefront6targetE1EEEvT1_.has_dyn_sized_stack, 0
	.set _ZN7rocprim17ROCPRIM_400000_NS6detail17trampoline_kernelINS0_14default_configENS1_35adjacent_difference_config_selectorILb1ElEEZNS1_24adjacent_difference_implIS3_Lb1ELb0EPlS7_ZN2at6native12_GLOBAL__N_124unique_dim_cuda_templateItEESt5tupleIJNS8_6TensorESD_SD_EERKSD_lbbbEUlllE1_EE10hipError_tPvRmT2_T3_mT4_P12ihipStream_tbEUlT_E_NS1_11comp_targetILNS1_3genE9ELNS1_11target_archE1100ELNS1_3gpuE3ELNS1_3repE0EEENS1_30default_config_static_selectorELNS0_4arch9wavefront6targetE1EEEvT1_.has_recursion, 0
	.set _ZN7rocprim17ROCPRIM_400000_NS6detail17trampoline_kernelINS0_14default_configENS1_35adjacent_difference_config_selectorILb1ElEEZNS1_24adjacent_difference_implIS3_Lb1ELb0EPlS7_ZN2at6native12_GLOBAL__N_124unique_dim_cuda_templateItEESt5tupleIJNS8_6TensorESD_SD_EERKSD_lbbbEUlllE1_EE10hipError_tPvRmT2_T3_mT4_P12ihipStream_tbEUlT_E_NS1_11comp_targetILNS1_3genE9ELNS1_11target_archE1100ELNS1_3gpuE3ELNS1_3repE0EEENS1_30default_config_static_selectorELNS0_4arch9wavefront6targetE1EEEvT1_.has_indirect_call, 0
	.section	.AMDGPU.csdata,"",@progbits
; Kernel info:
; codeLenInByte = 0
; TotalNumSgprs: 6
; NumVgprs: 0
; NumAgprs: 0
; TotalNumVgprs: 0
; ScratchSize: 0
; MemoryBound: 0
; FloatMode: 240
; IeeeMode: 1
; LDSByteSize: 0 bytes/workgroup (compile time only)
; SGPRBlocks: 0
; VGPRBlocks: 0
; NumSGPRsForWavesPerEU: 6
; NumVGPRsForWavesPerEU: 1
; AccumOffset: 4
; Occupancy: 8
; WaveLimiterHint : 0
; COMPUTE_PGM_RSRC2:SCRATCH_EN: 0
; COMPUTE_PGM_RSRC2:USER_SGPR: 2
; COMPUTE_PGM_RSRC2:TRAP_HANDLER: 0
; COMPUTE_PGM_RSRC2:TGID_X_EN: 1
; COMPUTE_PGM_RSRC2:TGID_Y_EN: 0
; COMPUTE_PGM_RSRC2:TGID_Z_EN: 0
; COMPUTE_PGM_RSRC2:TIDIG_COMP_CNT: 0
; COMPUTE_PGM_RSRC3_GFX90A:ACCUM_OFFSET: 0
; COMPUTE_PGM_RSRC3_GFX90A:TG_SPLIT: 0
	.section	.text._ZN7rocprim17ROCPRIM_400000_NS6detail17trampoline_kernelINS0_14default_configENS1_35adjacent_difference_config_selectorILb1ElEEZNS1_24adjacent_difference_implIS3_Lb1ELb0EPlS7_ZN2at6native12_GLOBAL__N_124unique_dim_cuda_templateItEESt5tupleIJNS8_6TensorESD_SD_EERKSD_lbbbEUlllE1_EE10hipError_tPvRmT2_T3_mT4_P12ihipStream_tbEUlT_E_NS1_11comp_targetILNS1_3genE8ELNS1_11target_archE1030ELNS1_3gpuE2ELNS1_3repE0EEENS1_30default_config_static_selectorELNS0_4arch9wavefront6targetE1EEEvT1_,"axG",@progbits,_ZN7rocprim17ROCPRIM_400000_NS6detail17trampoline_kernelINS0_14default_configENS1_35adjacent_difference_config_selectorILb1ElEEZNS1_24adjacent_difference_implIS3_Lb1ELb0EPlS7_ZN2at6native12_GLOBAL__N_124unique_dim_cuda_templateItEESt5tupleIJNS8_6TensorESD_SD_EERKSD_lbbbEUlllE1_EE10hipError_tPvRmT2_T3_mT4_P12ihipStream_tbEUlT_E_NS1_11comp_targetILNS1_3genE8ELNS1_11target_archE1030ELNS1_3gpuE2ELNS1_3repE0EEENS1_30default_config_static_selectorELNS0_4arch9wavefront6targetE1EEEvT1_,comdat
	.globl	_ZN7rocprim17ROCPRIM_400000_NS6detail17trampoline_kernelINS0_14default_configENS1_35adjacent_difference_config_selectorILb1ElEEZNS1_24adjacent_difference_implIS3_Lb1ELb0EPlS7_ZN2at6native12_GLOBAL__N_124unique_dim_cuda_templateItEESt5tupleIJNS8_6TensorESD_SD_EERKSD_lbbbEUlllE1_EE10hipError_tPvRmT2_T3_mT4_P12ihipStream_tbEUlT_E_NS1_11comp_targetILNS1_3genE8ELNS1_11target_archE1030ELNS1_3gpuE2ELNS1_3repE0EEENS1_30default_config_static_selectorELNS0_4arch9wavefront6targetE1EEEvT1_ ; -- Begin function _ZN7rocprim17ROCPRIM_400000_NS6detail17trampoline_kernelINS0_14default_configENS1_35adjacent_difference_config_selectorILb1ElEEZNS1_24adjacent_difference_implIS3_Lb1ELb0EPlS7_ZN2at6native12_GLOBAL__N_124unique_dim_cuda_templateItEESt5tupleIJNS8_6TensorESD_SD_EERKSD_lbbbEUlllE1_EE10hipError_tPvRmT2_T3_mT4_P12ihipStream_tbEUlT_E_NS1_11comp_targetILNS1_3genE8ELNS1_11target_archE1030ELNS1_3gpuE2ELNS1_3repE0EEENS1_30default_config_static_selectorELNS0_4arch9wavefront6targetE1EEEvT1_
	.p2align	8
	.type	_ZN7rocprim17ROCPRIM_400000_NS6detail17trampoline_kernelINS0_14default_configENS1_35adjacent_difference_config_selectorILb1ElEEZNS1_24adjacent_difference_implIS3_Lb1ELb0EPlS7_ZN2at6native12_GLOBAL__N_124unique_dim_cuda_templateItEESt5tupleIJNS8_6TensorESD_SD_EERKSD_lbbbEUlllE1_EE10hipError_tPvRmT2_T3_mT4_P12ihipStream_tbEUlT_E_NS1_11comp_targetILNS1_3genE8ELNS1_11target_archE1030ELNS1_3gpuE2ELNS1_3repE0EEENS1_30default_config_static_selectorELNS0_4arch9wavefront6targetE1EEEvT1_,@function
_ZN7rocprim17ROCPRIM_400000_NS6detail17trampoline_kernelINS0_14default_configENS1_35adjacent_difference_config_selectorILb1ElEEZNS1_24adjacent_difference_implIS3_Lb1ELb0EPlS7_ZN2at6native12_GLOBAL__N_124unique_dim_cuda_templateItEESt5tupleIJNS8_6TensorESD_SD_EERKSD_lbbbEUlllE1_EE10hipError_tPvRmT2_T3_mT4_P12ihipStream_tbEUlT_E_NS1_11comp_targetILNS1_3genE8ELNS1_11target_archE1030ELNS1_3gpuE2ELNS1_3repE0EEENS1_30default_config_static_selectorELNS0_4arch9wavefront6targetE1EEEvT1_: ; @_ZN7rocprim17ROCPRIM_400000_NS6detail17trampoline_kernelINS0_14default_configENS1_35adjacent_difference_config_selectorILb1ElEEZNS1_24adjacent_difference_implIS3_Lb1ELb0EPlS7_ZN2at6native12_GLOBAL__N_124unique_dim_cuda_templateItEESt5tupleIJNS8_6TensorESD_SD_EERKSD_lbbbEUlllE1_EE10hipError_tPvRmT2_T3_mT4_P12ihipStream_tbEUlT_E_NS1_11comp_targetILNS1_3genE8ELNS1_11target_archE1030ELNS1_3gpuE2ELNS1_3repE0EEENS1_30default_config_static_selectorELNS0_4arch9wavefront6targetE1EEEvT1_
; %bb.0:
	.section	.rodata,"a",@progbits
	.p2align	6, 0x0
	.amdhsa_kernel _ZN7rocprim17ROCPRIM_400000_NS6detail17trampoline_kernelINS0_14default_configENS1_35adjacent_difference_config_selectorILb1ElEEZNS1_24adjacent_difference_implIS3_Lb1ELb0EPlS7_ZN2at6native12_GLOBAL__N_124unique_dim_cuda_templateItEESt5tupleIJNS8_6TensorESD_SD_EERKSD_lbbbEUlllE1_EE10hipError_tPvRmT2_T3_mT4_P12ihipStream_tbEUlT_E_NS1_11comp_targetILNS1_3genE8ELNS1_11target_archE1030ELNS1_3gpuE2ELNS1_3repE0EEENS1_30default_config_static_selectorELNS0_4arch9wavefront6targetE1EEEvT1_
		.amdhsa_group_segment_fixed_size 0
		.amdhsa_private_segment_fixed_size 0
		.amdhsa_kernarg_size 64
		.amdhsa_user_sgpr_count 2
		.amdhsa_user_sgpr_dispatch_ptr 0
		.amdhsa_user_sgpr_queue_ptr 0
		.amdhsa_user_sgpr_kernarg_segment_ptr 1
		.amdhsa_user_sgpr_dispatch_id 0
		.amdhsa_user_sgpr_kernarg_preload_length 0
		.amdhsa_user_sgpr_kernarg_preload_offset 0
		.amdhsa_user_sgpr_private_segment_size 0
		.amdhsa_uses_dynamic_stack 0
		.amdhsa_enable_private_segment 0
		.amdhsa_system_sgpr_workgroup_id_x 1
		.amdhsa_system_sgpr_workgroup_id_y 0
		.amdhsa_system_sgpr_workgroup_id_z 0
		.amdhsa_system_sgpr_workgroup_info 0
		.amdhsa_system_vgpr_workitem_id 0
		.amdhsa_next_free_vgpr 1
		.amdhsa_next_free_sgpr 0
		.amdhsa_accum_offset 4
		.amdhsa_reserve_vcc 0
		.amdhsa_float_round_mode_32 0
		.amdhsa_float_round_mode_16_64 0
		.amdhsa_float_denorm_mode_32 3
		.amdhsa_float_denorm_mode_16_64 3
		.amdhsa_dx10_clamp 1
		.amdhsa_ieee_mode 1
		.amdhsa_fp16_overflow 0
		.amdhsa_tg_split 0
		.amdhsa_exception_fp_ieee_invalid_op 0
		.amdhsa_exception_fp_denorm_src 0
		.amdhsa_exception_fp_ieee_div_zero 0
		.amdhsa_exception_fp_ieee_overflow 0
		.amdhsa_exception_fp_ieee_underflow 0
		.amdhsa_exception_fp_ieee_inexact 0
		.amdhsa_exception_int_div_zero 0
	.end_amdhsa_kernel
	.section	.text._ZN7rocprim17ROCPRIM_400000_NS6detail17trampoline_kernelINS0_14default_configENS1_35adjacent_difference_config_selectorILb1ElEEZNS1_24adjacent_difference_implIS3_Lb1ELb0EPlS7_ZN2at6native12_GLOBAL__N_124unique_dim_cuda_templateItEESt5tupleIJNS8_6TensorESD_SD_EERKSD_lbbbEUlllE1_EE10hipError_tPvRmT2_T3_mT4_P12ihipStream_tbEUlT_E_NS1_11comp_targetILNS1_3genE8ELNS1_11target_archE1030ELNS1_3gpuE2ELNS1_3repE0EEENS1_30default_config_static_selectorELNS0_4arch9wavefront6targetE1EEEvT1_,"axG",@progbits,_ZN7rocprim17ROCPRIM_400000_NS6detail17trampoline_kernelINS0_14default_configENS1_35adjacent_difference_config_selectorILb1ElEEZNS1_24adjacent_difference_implIS3_Lb1ELb0EPlS7_ZN2at6native12_GLOBAL__N_124unique_dim_cuda_templateItEESt5tupleIJNS8_6TensorESD_SD_EERKSD_lbbbEUlllE1_EE10hipError_tPvRmT2_T3_mT4_P12ihipStream_tbEUlT_E_NS1_11comp_targetILNS1_3genE8ELNS1_11target_archE1030ELNS1_3gpuE2ELNS1_3repE0EEENS1_30default_config_static_selectorELNS0_4arch9wavefront6targetE1EEEvT1_,comdat
.Lfunc_end1418:
	.size	_ZN7rocprim17ROCPRIM_400000_NS6detail17trampoline_kernelINS0_14default_configENS1_35adjacent_difference_config_selectorILb1ElEEZNS1_24adjacent_difference_implIS3_Lb1ELb0EPlS7_ZN2at6native12_GLOBAL__N_124unique_dim_cuda_templateItEESt5tupleIJNS8_6TensorESD_SD_EERKSD_lbbbEUlllE1_EE10hipError_tPvRmT2_T3_mT4_P12ihipStream_tbEUlT_E_NS1_11comp_targetILNS1_3genE8ELNS1_11target_archE1030ELNS1_3gpuE2ELNS1_3repE0EEENS1_30default_config_static_selectorELNS0_4arch9wavefront6targetE1EEEvT1_, .Lfunc_end1418-_ZN7rocprim17ROCPRIM_400000_NS6detail17trampoline_kernelINS0_14default_configENS1_35adjacent_difference_config_selectorILb1ElEEZNS1_24adjacent_difference_implIS3_Lb1ELb0EPlS7_ZN2at6native12_GLOBAL__N_124unique_dim_cuda_templateItEESt5tupleIJNS8_6TensorESD_SD_EERKSD_lbbbEUlllE1_EE10hipError_tPvRmT2_T3_mT4_P12ihipStream_tbEUlT_E_NS1_11comp_targetILNS1_3genE8ELNS1_11target_archE1030ELNS1_3gpuE2ELNS1_3repE0EEENS1_30default_config_static_selectorELNS0_4arch9wavefront6targetE1EEEvT1_
                                        ; -- End function
	.set _ZN7rocprim17ROCPRIM_400000_NS6detail17trampoline_kernelINS0_14default_configENS1_35adjacent_difference_config_selectorILb1ElEEZNS1_24adjacent_difference_implIS3_Lb1ELb0EPlS7_ZN2at6native12_GLOBAL__N_124unique_dim_cuda_templateItEESt5tupleIJNS8_6TensorESD_SD_EERKSD_lbbbEUlllE1_EE10hipError_tPvRmT2_T3_mT4_P12ihipStream_tbEUlT_E_NS1_11comp_targetILNS1_3genE8ELNS1_11target_archE1030ELNS1_3gpuE2ELNS1_3repE0EEENS1_30default_config_static_selectorELNS0_4arch9wavefront6targetE1EEEvT1_.num_vgpr, 0
	.set _ZN7rocprim17ROCPRIM_400000_NS6detail17trampoline_kernelINS0_14default_configENS1_35adjacent_difference_config_selectorILb1ElEEZNS1_24adjacent_difference_implIS3_Lb1ELb0EPlS7_ZN2at6native12_GLOBAL__N_124unique_dim_cuda_templateItEESt5tupleIJNS8_6TensorESD_SD_EERKSD_lbbbEUlllE1_EE10hipError_tPvRmT2_T3_mT4_P12ihipStream_tbEUlT_E_NS1_11comp_targetILNS1_3genE8ELNS1_11target_archE1030ELNS1_3gpuE2ELNS1_3repE0EEENS1_30default_config_static_selectorELNS0_4arch9wavefront6targetE1EEEvT1_.num_agpr, 0
	.set _ZN7rocprim17ROCPRIM_400000_NS6detail17trampoline_kernelINS0_14default_configENS1_35adjacent_difference_config_selectorILb1ElEEZNS1_24adjacent_difference_implIS3_Lb1ELb0EPlS7_ZN2at6native12_GLOBAL__N_124unique_dim_cuda_templateItEESt5tupleIJNS8_6TensorESD_SD_EERKSD_lbbbEUlllE1_EE10hipError_tPvRmT2_T3_mT4_P12ihipStream_tbEUlT_E_NS1_11comp_targetILNS1_3genE8ELNS1_11target_archE1030ELNS1_3gpuE2ELNS1_3repE0EEENS1_30default_config_static_selectorELNS0_4arch9wavefront6targetE1EEEvT1_.numbered_sgpr, 0
	.set _ZN7rocprim17ROCPRIM_400000_NS6detail17trampoline_kernelINS0_14default_configENS1_35adjacent_difference_config_selectorILb1ElEEZNS1_24adjacent_difference_implIS3_Lb1ELb0EPlS7_ZN2at6native12_GLOBAL__N_124unique_dim_cuda_templateItEESt5tupleIJNS8_6TensorESD_SD_EERKSD_lbbbEUlllE1_EE10hipError_tPvRmT2_T3_mT4_P12ihipStream_tbEUlT_E_NS1_11comp_targetILNS1_3genE8ELNS1_11target_archE1030ELNS1_3gpuE2ELNS1_3repE0EEENS1_30default_config_static_selectorELNS0_4arch9wavefront6targetE1EEEvT1_.num_named_barrier, 0
	.set _ZN7rocprim17ROCPRIM_400000_NS6detail17trampoline_kernelINS0_14default_configENS1_35adjacent_difference_config_selectorILb1ElEEZNS1_24adjacent_difference_implIS3_Lb1ELb0EPlS7_ZN2at6native12_GLOBAL__N_124unique_dim_cuda_templateItEESt5tupleIJNS8_6TensorESD_SD_EERKSD_lbbbEUlllE1_EE10hipError_tPvRmT2_T3_mT4_P12ihipStream_tbEUlT_E_NS1_11comp_targetILNS1_3genE8ELNS1_11target_archE1030ELNS1_3gpuE2ELNS1_3repE0EEENS1_30default_config_static_selectorELNS0_4arch9wavefront6targetE1EEEvT1_.private_seg_size, 0
	.set _ZN7rocprim17ROCPRIM_400000_NS6detail17trampoline_kernelINS0_14default_configENS1_35adjacent_difference_config_selectorILb1ElEEZNS1_24adjacent_difference_implIS3_Lb1ELb0EPlS7_ZN2at6native12_GLOBAL__N_124unique_dim_cuda_templateItEESt5tupleIJNS8_6TensorESD_SD_EERKSD_lbbbEUlllE1_EE10hipError_tPvRmT2_T3_mT4_P12ihipStream_tbEUlT_E_NS1_11comp_targetILNS1_3genE8ELNS1_11target_archE1030ELNS1_3gpuE2ELNS1_3repE0EEENS1_30default_config_static_selectorELNS0_4arch9wavefront6targetE1EEEvT1_.uses_vcc, 0
	.set _ZN7rocprim17ROCPRIM_400000_NS6detail17trampoline_kernelINS0_14default_configENS1_35adjacent_difference_config_selectorILb1ElEEZNS1_24adjacent_difference_implIS3_Lb1ELb0EPlS7_ZN2at6native12_GLOBAL__N_124unique_dim_cuda_templateItEESt5tupleIJNS8_6TensorESD_SD_EERKSD_lbbbEUlllE1_EE10hipError_tPvRmT2_T3_mT4_P12ihipStream_tbEUlT_E_NS1_11comp_targetILNS1_3genE8ELNS1_11target_archE1030ELNS1_3gpuE2ELNS1_3repE0EEENS1_30default_config_static_selectorELNS0_4arch9wavefront6targetE1EEEvT1_.uses_flat_scratch, 0
	.set _ZN7rocprim17ROCPRIM_400000_NS6detail17trampoline_kernelINS0_14default_configENS1_35adjacent_difference_config_selectorILb1ElEEZNS1_24adjacent_difference_implIS3_Lb1ELb0EPlS7_ZN2at6native12_GLOBAL__N_124unique_dim_cuda_templateItEESt5tupleIJNS8_6TensorESD_SD_EERKSD_lbbbEUlllE1_EE10hipError_tPvRmT2_T3_mT4_P12ihipStream_tbEUlT_E_NS1_11comp_targetILNS1_3genE8ELNS1_11target_archE1030ELNS1_3gpuE2ELNS1_3repE0EEENS1_30default_config_static_selectorELNS0_4arch9wavefront6targetE1EEEvT1_.has_dyn_sized_stack, 0
	.set _ZN7rocprim17ROCPRIM_400000_NS6detail17trampoline_kernelINS0_14default_configENS1_35adjacent_difference_config_selectorILb1ElEEZNS1_24adjacent_difference_implIS3_Lb1ELb0EPlS7_ZN2at6native12_GLOBAL__N_124unique_dim_cuda_templateItEESt5tupleIJNS8_6TensorESD_SD_EERKSD_lbbbEUlllE1_EE10hipError_tPvRmT2_T3_mT4_P12ihipStream_tbEUlT_E_NS1_11comp_targetILNS1_3genE8ELNS1_11target_archE1030ELNS1_3gpuE2ELNS1_3repE0EEENS1_30default_config_static_selectorELNS0_4arch9wavefront6targetE1EEEvT1_.has_recursion, 0
	.set _ZN7rocprim17ROCPRIM_400000_NS6detail17trampoline_kernelINS0_14default_configENS1_35adjacent_difference_config_selectorILb1ElEEZNS1_24adjacent_difference_implIS3_Lb1ELb0EPlS7_ZN2at6native12_GLOBAL__N_124unique_dim_cuda_templateItEESt5tupleIJNS8_6TensorESD_SD_EERKSD_lbbbEUlllE1_EE10hipError_tPvRmT2_T3_mT4_P12ihipStream_tbEUlT_E_NS1_11comp_targetILNS1_3genE8ELNS1_11target_archE1030ELNS1_3gpuE2ELNS1_3repE0EEENS1_30default_config_static_selectorELNS0_4arch9wavefront6targetE1EEEvT1_.has_indirect_call, 0
	.section	.AMDGPU.csdata,"",@progbits
; Kernel info:
; codeLenInByte = 0
; TotalNumSgprs: 6
; NumVgprs: 0
; NumAgprs: 0
; TotalNumVgprs: 0
; ScratchSize: 0
; MemoryBound: 0
; FloatMode: 240
; IeeeMode: 1
; LDSByteSize: 0 bytes/workgroup (compile time only)
; SGPRBlocks: 0
; VGPRBlocks: 0
; NumSGPRsForWavesPerEU: 6
; NumVGPRsForWavesPerEU: 1
; AccumOffset: 4
; Occupancy: 8
; WaveLimiterHint : 0
; COMPUTE_PGM_RSRC2:SCRATCH_EN: 0
; COMPUTE_PGM_RSRC2:USER_SGPR: 2
; COMPUTE_PGM_RSRC2:TRAP_HANDLER: 0
; COMPUTE_PGM_RSRC2:TGID_X_EN: 1
; COMPUTE_PGM_RSRC2:TGID_Y_EN: 0
; COMPUTE_PGM_RSRC2:TGID_Z_EN: 0
; COMPUTE_PGM_RSRC2:TIDIG_COMP_CNT: 0
; COMPUTE_PGM_RSRC3_GFX90A:ACCUM_OFFSET: 0
; COMPUTE_PGM_RSRC3_GFX90A:TG_SPLIT: 0
	.section	.text._ZN7rocprim17ROCPRIM_400000_NS6detail17trampoline_kernelINS0_14default_configENS1_25partition_config_selectorILNS1_17partition_subalgoE8ElNS0_10empty_typeEbEEZZNS1_14partition_implILS5_8ELb0ES3_jPlPS6_PKS6_NS0_5tupleIJS9_S6_EEENSD_IJSA_SA_EEENS0_18inequality_wrapperIZN2at6native12_GLOBAL__N_124unique_dim_cuda_templateItEESt5tupleIJNSH_6TensorESM_SM_EERKSM_lbbbEUlllE0_EEPmJS6_EEE10hipError_tPvRmT3_T4_T5_T6_T7_T9_mT8_P12ihipStream_tbDpT10_ENKUlT_T0_E_clISt17integral_constantIbLb0EES1C_EEDaS17_S18_EUlS17_E_NS1_11comp_targetILNS1_3genE0ELNS1_11target_archE4294967295ELNS1_3gpuE0ELNS1_3repE0EEENS1_30default_config_static_selectorELNS0_4arch9wavefront6targetE1EEEvT1_,"axG",@progbits,_ZN7rocprim17ROCPRIM_400000_NS6detail17trampoline_kernelINS0_14default_configENS1_25partition_config_selectorILNS1_17partition_subalgoE8ElNS0_10empty_typeEbEEZZNS1_14partition_implILS5_8ELb0ES3_jPlPS6_PKS6_NS0_5tupleIJS9_S6_EEENSD_IJSA_SA_EEENS0_18inequality_wrapperIZN2at6native12_GLOBAL__N_124unique_dim_cuda_templateItEESt5tupleIJNSH_6TensorESM_SM_EERKSM_lbbbEUlllE0_EEPmJS6_EEE10hipError_tPvRmT3_T4_T5_T6_T7_T9_mT8_P12ihipStream_tbDpT10_ENKUlT_T0_E_clISt17integral_constantIbLb0EES1C_EEDaS17_S18_EUlS17_E_NS1_11comp_targetILNS1_3genE0ELNS1_11target_archE4294967295ELNS1_3gpuE0ELNS1_3repE0EEENS1_30default_config_static_selectorELNS0_4arch9wavefront6targetE1EEEvT1_,comdat
	.globl	_ZN7rocprim17ROCPRIM_400000_NS6detail17trampoline_kernelINS0_14default_configENS1_25partition_config_selectorILNS1_17partition_subalgoE8ElNS0_10empty_typeEbEEZZNS1_14partition_implILS5_8ELb0ES3_jPlPS6_PKS6_NS0_5tupleIJS9_S6_EEENSD_IJSA_SA_EEENS0_18inequality_wrapperIZN2at6native12_GLOBAL__N_124unique_dim_cuda_templateItEESt5tupleIJNSH_6TensorESM_SM_EERKSM_lbbbEUlllE0_EEPmJS6_EEE10hipError_tPvRmT3_T4_T5_T6_T7_T9_mT8_P12ihipStream_tbDpT10_ENKUlT_T0_E_clISt17integral_constantIbLb0EES1C_EEDaS17_S18_EUlS17_E_NS1_11comp_targetILNS1_3genE0ELNS1_11target_archE4294967295ELNS1_3gpuE0ELNS1_3repE0EEENS1_30default_config_static_selectorELNS0_4arch9wavefront6targetE1EEEvT1_ ; -- Begin function _ZN7rocprim17ROCPRIM_400000_NS6detail17trampoline_kernelINS0_14default_configENS1_25partition_config_selectorILNS1_17partition_subalgoE8ElNS0_10empty_typeEbEEZZNS1_14partition_implILS5_8ELb0ES3_jPlPS6_PKS6_NS0_5tupleIJS9_S6_EEENSD_IJSA_SA_EEENS0_18inequality_wrapperIZN2at6native12_GLOBAL__N_124unique_dim_cuda_templateItEESt5tupleIJNSH_6TensorESM_SM_EERKSM_lbbbEUlllE0_EEPmJS6_EEE10hipError_tPvRmT3_T4_T5_T6_T7_T9_mT8_P12ihipStream_tbDpT10_ENKUlT_T0_E_clISt17integral_constantIbLb0EES1C_EEDaS17_S18_EUlS17_E_NS1_11comp_targetILNS1_3genE0ELNS1_11target_archE4294967295ELNS1_3gpuE0ELNS1_3repE0EEENS1_30default_config_static_selectorELNS0_4arch9wavefront6targetE1EEEvT1_
	.p2align	8
	.type	_ZN7rocprim17ROCPRIM_400000_NS6detail17trampoline_kernelINS0_14default_configENS1_25partition_config_selectorILNS1_17partition_subalgoE8ElNS0_10empty_typeEbEEZZNS1_14partition_implILS5_8ELb0ES3_jPlPS6_PKS6_NS0_5tupleIJS9_S6_EEENSD_IJSA_SA_EEENS0_18inequality_wrapperIZN2at6native12_GLOBAL__N_124unique_dim_cuda_templateItEESt5tupleIJNSH_6TensorESM_SM_EERKSM_lbbbEUlllE0_EEPmJS6_EEE10hipError_tPvRmT3_T4_T5_T6_T7_T9_mT8_P12ihipStream_tbDpT10_ENKUlT_T0_E_clISt17integral_constantIbLb0EES1C_EEDaS17_S18_EUlS17_E_NS1_11comp_targetILNS1_3genE0ELNS1_11target_archE4294967295ELNS1_3gpuE0ELNS1_3repE0EEENS1_30default_config_static_selectorELNS0_4arch9wavefront6targetE1EEEvT1_,@function
_ZN7rocprim17ROCPRIM_400000_NS6detail17trampoline_kernelINS0_14default_configENS1_25partition_config_selectorILNS1_17partition_subalgoE8ElNS0_10empty_typeEbEEZZNS1_14partition_implILS5_8ELb0ES3_jPlPS6_PKS6_NS0_5tupleIJS9_S6_EEENSD_IJSA_SA_EEENS0_18inequality_wrapperIZN2at6native12_GLOBAL__N_124unique_dim_cuda_templateItEESt5tupleIJNSH_6TensorESM_SM_EERKSM_lbbbEUlllE0_EEPmJS6_EEE10hipError_tPvRmT3_T4_T5_T6_T7_T9_mT8_P12ihipStream_tbDpT10_ENKUlT_T0_E_clISt17integral_constantIbLb0EES1C_EEDaS17_S18_EUlS17_E_NS1_11comp_targetILNS1_3genE0ELNS1_11target_archE4294967295ELNS1_3gpuE0ELNS1_3repE0EEENS1_30default_config_static_selectorELNS0_4arch9wavefront6targetE1EEEvT1_: ; @_ZN7rocprim17ROCPRIM_400000_NS6detail17trampoline_kernelINS0_14default_configENS1_25partition_config_selectorILNS1_17partition_subalgoE8ElNS0_10empty_typeEbEEZZNS1_14partition_implILS5_8ELb0ES3_jPlPS6_PKS6_NS0_5tupleIJS9_S6_EEENSD_IJSA_SA_EEENS0_18inequality_wrapperIZN2at6native12_GLOBAL__N_124unique_dim_cuda_templateItEESt5tupleIJNSH_6TensorESM_SM_EERKSM_lbbbEUlllE0_EEPmJS6_EEE10hipError_tPvRmT3_T4_T5_T6_T7_T9_mT8_P12ihipStream_tbDpT10_ENKUlT_T0_E_clISt17integral_constantIbLb0EES1C_EEDaS17_S18_EUlS17_E_NS1_11comp_targetILNS1_3genE0ELNS1_11target_archE4294967295ELNS1_3gpuE0ELNS1_3repE0EEENS1_30default_config_static_selectorELNS0_4arch9wavefront6targetE1EEEvT1_
; %bb.0:
	s_load_dwordx4 s[4:7], s[0:1], 0x8
	s_load_dwordx8 s[24:31], s[0:1], 0x40
	s_load_dwordx4 s[20:23], s[0:1], 0x60
	s_load_dword s3, s[0:1], 0x70
	v_lshlrev_b32_e32 v18, 3, v0
	s_waitcnt lgkmcnt(0)
	s_lshl_b64 s[8:9], s[6:7], 3
	s_add_u32 s12, s4, s8
	s_addc_u32 s13, s5, s9
	s_mul_i32 s8, s3, 0xe00
	s_add_i32 s10, s3, -1
	s_add_i32 s3, s8, s6
	s_sub_i32 s3, s28, s3
	s_add_u32 s8, s6, s8
	s_addc_u32 s9, s7, 0
	v_mov_b64_e32 v[2:3], s[8:9]
	s_cmp_eq_u32 s2, s10
	s_load_dwordx2 s[26:27], s[26:27], 0x0
	v_cmp_le_u64_e32 vcc, s[28:29], v[2:3]
	s_cselect_b64 s[28:29], -1, 0
	s_mul_i32 s4, s2, 0xe00
	s_mov_b32 s5, 0
	s_and_b64 s[8:9], s[28:29], vcc
	s_xor_b64 s[34:35], s[8:9], -1
	s_lshl_b64 s[4:5], s[4:5], 3
	s_add_u32 s4, s12, s4
	s_mov_b64 s[10:11], -1
	s_addc_u32 s5, s13, s5
	s_and_b64 vcc, exec, s[34:35]
	s_cbranch_vccz .LBB1419_2
; %bb.1:
	v_lshlrev_b32_e32 v2, 3, v0
	v_mov_b32_e32 v3, 0
	v_lshl_add_u64 v[4:5], s[4:5], 0, v[2:3]
	v_add_co_u32_e32 v8, vcc, 0x1000, v4
	global_load_dwordx2 v[6:7], v2, s[4:5]
	s_nop 0
	v_addc_co_u32_e32 v9, vcc, 0, v5, vcc
	v_add_co_u32_e32 v10, vcc, 0x2000, v4
	s_mov_b64 s[10:11], 0
	s_nop 0
	v_addc_co_u32_e32 v11, vcc, 0, v5, vcc
	v_add_co_u32_e32 v12, vcc, 0x3000, v4
	s_nop 1
	v_addc_co_u32_e32 v13, vcc, 0, v5, vcc
	v_add_co_u32_e32 v14, vcc, 0x4000, v4
	s_nop 1
	v_addc_co_u32_e32 v15, vcc, 0, v5, vcc
	global_load_dwordx2 v[16:17], v[8:9], off
	global_load_dwordx2 v[20:21], v[10:11], off
	;; [unrolled: 1-line block ×4, first 2 shown]
	v_add_co_u32_e32 v8, vcc, 0x5000, v4
	s_nop 1
	v_addc_co_u32_e32 v9, vcc, 0, v5, vcc
	v_add_co_u32_e32 v4, vcc, 0x6000, v4
	s_nop 1
	v_addc_co_u32_e32 v5, vcc, 0, v5, vcc
	global_load_dwordx2 v[10:11], v[8:9], off
	global_load_dwordx2 v[12:13], v[4:5], off
	s_waitcnt vmcnt(5)
	ds_write2st64_b64 v2, v[6:7], v[16:17] offset1:8
	s_waitcnt vmcnt(3)
	ds_write2st64_b64 v2, v[20:21], v[22:23] offset0:16 offset1:24
	s_waitcnt vmcnt(1)
	ds_write2st64_b64 v2, v[24:25], v[10:11] offset0:32 offset1:40
	s_waitcnt vmcnt(0)
	ds_write_b64 v2, v[12:13] offset:24576
	s_waitcnt lgkmcnt(0)
	s_barrier
.LBB1419_2:
	s_andn2_b64 vcc, exec, s[10:11]
	s_addk_i32 s3, 0xe00
	s_cbranch_vccnz .LBB1419_18
; %bb.3:
	v_mov_b32_e32 v2, 0
	v_cmp_gt_u32_e32 vcc, s3, v0
	v_mov_b32_e32 v3, v2
	v_mov_b32_e32 v4, v2
	;; [unrolled: 1-line block ×13, first 2 shown]
	s_and_saveexec_b64 s[10:11], vcc
	s_cbranch_execz .LBB1419_5
; %bb.4:
	v_lshlrev_b32_e32 v1, 3, v0
	global_load_dwordx2 v[4:5], v1, s[4:5]
	v_mov_b32_e32 v6, v2
	v_mov_b32_e32 v7, v2
	;; [unrolled: 1-line block ×12, first 2 shown]
	s_waitcnt vmcnt(0)
	v_mov_b64_e32 v[2:3], v[4:5]
	v_mov_b64_e32 v[4:5], v[6:7]
	;; [unrolled: 1-line block ×8, first 2 shown]
.LBB1419_5:
	s_or_b64 exec, exec, s[10:11]
	v_or_b32_e32 v1, 0x200, v0
	v_cmp_gt_u32_e32 vcc, s3, v1
	s_and_saveexec_b64 s[10:11], vcc
	s_cbranch_execz .LBB1419_7
; %bb.6:
	v_lshlrev_b32_e32 v1, 3, v1
	global_load_dwordx2 v[4:5], v1, s[4:5]
.LBB1419_7:
	s_or_b64 exec, exec, s[10:11]
	v_or_b32_e32 v1, 0x400, v0
	v_cmp_gt_u32_e32 vcc, s3, v1
	s_and_saveexec_b64 s[10:11], vcc
	s_cbranch_execz .LBB1419_9
; %bb.8:
	v_lshlrev_b32_e32 v1, 3, v1
	global_load_dwordx2 v[6:7], v1, s[4:5]
.LBB1419_9:
	;; [unrolled: 9-line block ×6, first 2 shown]
	s_or_b64 exec, exec, s[10:11]
	v_lshlrev_b32_e32 v1, 3, v0
	s_waitcnt vmcnt(0)
	ds_write2st64_b64 v1, v[2:3], v[4:5] offset1:8
	ds_write2st64_b64 v1, v[6:7], v[8:9] offset0:16 offset1:24
	ds_write2st64_b64 v1, v[10:11], v[12:13] offset0:32 offset1:40
	ds_write_b64 v1, v[14:15] offset:24576
	s_waitcnt lgkmcnt(0)
	s_barrier
.LBB1419_18:
	v_mul_u32_u24_e32 v1, 7, v0
	v_lshlrev_b32_e32 v24, 3, v1
	s_waitcnt lgkmcnt(0)
	ds_read2_b64 v[10:13], v24 offset1:1
	ds_read2_b64 v[6:9], v24 offset0:2 offset1:3
	ds_read2_b64 v[2:5], v24 offset0:4 offset1:5
	ds_read_b64 v[14:15], v24 offset:48
	s_cmp_lg_u32 s2, 0
	s_cselect_b64 s[16:17], -1, 0
	s_cmp_lg_u64 s[6:7], 0
	s_cselect_b64 s[6:7], -1, 0
	s_or_b64 s[6:7], s[16:17], s[6:7]
	s_mov_b64 s[10:11], 0
	s_and_b64 vcc, exec, s[6:7]
	v_cmp_gt_i64_e64 s[12:13], s[30:31], 0
	s_waitcnt lgkmcnt(0)
	s_barrier
	s_cbranch_vccz .LBB1419_34
; %bb.19:
	s_add_u32 s4, s4, -8
	s_addc_u32 s5, s5, -1
	s_load_dwordx2 s[10:11], s[4:5], 0x0
	v_cndmask_b32_e64 v16, 0, 1, s[12:13]
	v_lshlrev_b32_e32 v25, 3, v0
	s_mov_b64 s[6:7], 0
	s_and_b64 vcc, exec, s[34:35]
	v_cmp_ne_u32_e64 s[4:5], 1, v16
	ds_write_b64 v25, v[14:15]
	s_cbranch_vccz .LBB1419_36
; %bb.20:
	s_and_b64 vcc, exec, s[4:5]
	s_cbranch_vccnz .LBB1419_37
; %bb.21:
	v_mul_lo_u32 v19, v5, s30
	v_mul_lo_u32 v20, v4, s31
	v_mad_u64_u32 v[16:17], s[6:7], v4, s30, 0
	v_add3_u32 v17, v17, v20, v19
	v_mul_lo_u32 v19, v15, s30
	v_mul_lo_u32 v22, v14, s31
	v_mad_u64_u32 v[20:21], s[6:7], v14, s30, 0
	s_add_u32 s14, s30, -1
	v_lshl_add_u64 v[16:17], v[16:17], 1, s[20:21]
	v_add3_u32 v21, v21, v22, v19
	s_addc_u32 s15, s31, -1
	v_lshl_add_u64 v[20:21], v[20:21], 1, s[20:21]
	s_mov_b64 s[18:19], 0
	s_mov_b64 s[36:37], s[14:15]
	v_mov_b64_e32 v[22:23], v[16:17]
                                        ; implicit-def: $sgpr12_sgpr13
.LBB1419_22:                            ; =>This Inner Loop Header: Depth=1
	global_load_ushort v19, v[22:23], off
	global_load_ushort v26, v[20:21], off
	s_add_u32 s6, s36, -1
	s_addc_u32 s7, s37, -1
	s_cmp_eq_u64 s[36:37], 0
	s_mov_b64 s[36:37], s[6:7]
	s_cselect_b64 s[38:39], -1, 0
	v_lshl_add_u64 v[22:23], v[22:23], 0, 2
	v_lshl_add_u64 v[20:21], v[20:21], 0, 2
	s_waitcnt vmcnt(0)
	v_cmp_ne_u16_e64 s[6:7], v19, v26
	s_or_b64 s[6:7], s[6:7], s[38:39]
	s_and_b64 s[6:7], exec, s[6:7]
	v_cmp_eq_u16_e32 vcc, v19, v26
	s_or_b64 s[18:19], s[6:7], s[18:19]
	s_andn2_b64 s[6:7], s[12:13], exec
	s_and_b64 s[12:13], vcc, exec
	s_or_b64 s[12:13], s[6:7], s[12:13]
	s_andn2_b64 exec, exec, s[18:19]
	s_cbranch_execnz .LBB1419_22
; %bb.23:
	s_or_b64 exec, exec, s[18:19]
	v_mul_lo_u32 v19, v3, s30
	v_mul_lo_u32 v22, v2, s31
	v_mad_u64_u32 v[20:21], s[6:7], v2, s30, 0
	v_add3_u32 v21, v21, v22, v19
	v_lshl_add_u64 v[20:21], v[20:21], 1, s[20:21]
	s_mov_b64 s[36:37], 0
	s_mov_b64 s[38:39], s[14:15]
	v_mov_b64_e32 v[22:23], v[20:21]
                                        ; implicit-def: $sgpr18_sgpr19
.LBB1419_24:                            ; =>This Inner Loop Header: Depth=1
	global_load_ushort v19, v[22:23], off
	global_load_ushort v26, v[16:17], off
	s_add_u32 s6, s38, -1
	s_addc_u32 s7, s39, -1
	s_cmp_eq_u64 s[38:39], 0
	s_mov_b64 s[38:39], s[6:7]
	s_cselect_b64 s[40:41], -1, 0
	v_lshl_add_u64 v[22:23], v[22:23], 0, 2
	v_lshl_add_u64 v[16:17], v[16:17], 0, 2
	s_waitcnt vmcnt(0)
	v_cmp_ne_u16_e64 s[6:7], v19, v26
	s_or_b64 s[6:7], s[6:7], s[40:41]
	s_and_b64 s[6:7], exec, s[6:7]
	v_cmp_eq_u16_e32 vcc, v19, v26
	s_or_b64 s[36:37], s[6:7], s[36:37]
	s_andn2_b64 s[6:7], s[18:19], exec
	s_and_b64 s[18:19], vcc, exec
	s_or_b64 s[18:19], s[6:7], s[18:19]
	s_andn2_b64 exec, exec, s[36:37]
	s_cbranch_execnz .LBB1419_24
; %bb.25:
	s_or_b64 exec, exec, s[36:37]
	v_mul_lo_u32 v19, v9, s30
	v_mul_lo_u32 v22, v8, s31
	v_mad_u64_u32 v[16:17], s[6:7], v8, s30, 0
	v_add3_u32 v17, v17, v22, v19
	v_lshl_add_u64 v[16:17], v[16:17], 1, s[20:21]
	s_mov_b64 s[38:39], 0
	s_mov_b64 s[40:41], s[14:15]
	v_mov_b64_e32 v[22:23], v[16:17]
                                        ; implicit-def: $sgpr36_sgpr37
.LBB1419_26:                            ; =>This Inner Loop Header: Depth=1
	global_load_ushort v19, v[22:23], off
	global_load_ushort v26, v[20:21], off
	s_add_u32 s6, s40, -1
	s_addc_u32 s7, s41, -1
	s_cmp_eq_u64 s[40:41], 0
	s_mov_b64 s[40:41], s[6:7]
	s_cselect_b64 s[42:43], -1, 0
	v_lshl_add_u64 v[22:23], v[22:23], 0, 2
	v_lshl_add_u64 v[20:21], v[20:21], 0, 2
	s_waitcnt vmcnt(0)
	v_cmp_ne_u16_e64 s[6:7], v19, v26
	s_or_b64 s[6:7], s[6:7], s[42:43]
	s_and_b64 s[6:7], exec, s[6:7]
	v_cmp_eq_u16_e32 vcc, v19, v26
	s_or_b64 s[38:39], s[6:7], s[38:39]
	s_andn2_b64 s[6:7], s[36:37], exec
	s_and_b64 s[36:37], vcc, exec
	s_or_b64 s[36:37], s[6:7], s[36:37]
	s_andn2_b64 exec, exec, s[38:39]
	s_cbranch_execnz .LBB1419_26
; %bb.27:
	s_or_b64 exec, exec, s[38:39]
	v_mul_lo_u32 v19, v7, s30
	v_mul_lo_u32 v22, v6, s31
	v_mad_u64_u32 v[20:21], s[6:7], v6, s30, 0
	v_add3_u32 v21, v21, v22, v19
	v_lshl_add_u64 v[20:21], v[20:21], 1, s[20:21]
	s_mov_b64 s[40:41], 0
	s_mov_b64 s[42:43], s[14:15]
	v_mov_b64_e32 v[22:23], v[20:21]
                                        ; implicit-def: $sgpr38_sgpr39
.LBB1419_28:                            ; =>This Inner Loop Header: Depth=1
	global_load_ushort v19, v[22:23], off
	global_load_ushort v26, v[16:17], off
	s_add_u32 s6, s42, -1
	s_addc_u32 s7, s43, -1
	s_cmp_eq_u64 s[42:43], 0
	s_mov_b64 s[42:43], s[6:7]
	s_cselect_b64 s[44:45], -1, 0
	v_lshl_add_u64 v[22:23], v[22:23], 0, 2
	v_lshl_add_u64 v[16:17], v[16:17], 0, 2
	s_waitcnt vmcnt(0)
	v_cmp_ne_u16_e64 s[6:7], v19, v26
	s_or_b64 s[6:7], s[6:7], s[44:45]
	s_and_b64 s[6:7], exec, s[6:7]
	v_cmp_eq_u16_e32 vcc, v19, v26
	s_or_b64 s[40:41], s[6:7], s[40:41]
	s_andn2_b64 s[6:7], s[38:39], exec
	s_and_b64 s[38:39], vcc, exec
	s_or_b64 s[38:39], s[6:7], s[38:39]
	s_andn2_b64 exec, exec, s[40:41]
	s_cbranch_execnz .LBB1419_28
; %bb.29:
	s_or_b64 exec, exec, s[40:41]
	v_mul_lo_u32 v19, v13, s30
	v_mul_lo_u32 v22, v12, s31
	v_mad_u64_u32 v[16:17], s[6:7], v12, s30, 0
	v_add3_u32 v17, v17, v22, v19
	v_lshl_add_u64 v[16:17], v[16:17], 1, s[20:21]
	s_mov_b64 s[42:43], 0
	s_mov_b64 s[44:45], s[14:15]
	v_mov_b64_e32 v[22:23], v[16:17]
                                        ; implicit-def: $sgpr40_sgpr41
.LBB1419_30:                            ; =>This Inner Loop Header: Depth=1
	global_load_ushort v19, v[22:23], off
	global_load_ushort v26, v[20:21], off
	s_add_u32 s6, s44, -1
	s_addc_u32 s7, s45, -1
	s_cmp_eq_u64 s[44:45], 0
	s_mov_b64 s[44:45], s[6:7]
	s_cselect_b64 s[46:47], -1, 0
	v_lshl_add_u64 v[22:23], v[22:23], 0, 2
	v_lshl_add_u64 v[20:21], v[20:21], 0, 2
	s_waitcnt vmcnt(0)
	v_cmp_ne_u16_e64 s[6:7], v19, v26
	s_or_b64 s[6:7], s[6:7], s[46:47]
	s_and_b64 s[6:7], exec, s[6:7]
	v_cmp_eq_u16_e32 vcc, v19, v26
	s_or_b64 s[42:43], s[6:7], s[42:43]
	s_andn2_b64 s[6:7], s[40:41], exec
	s_and_b64 s[40:41], vcc, exec
	s_or_b64 s[40:41], s[6:7], s[40:41]
	s_andn2_b64 exec, exec, s[42:43]
	s_cbranch_execnz .LBB1419_30
; %bb.31:
	s_or_b64 exec, exec, s[42:43]
	v_mul_lo_u32 v19, v11, s30
	v_mul_lo_u32 v22, v10, s31
	v_mad_u64_u32 v[20:21], s[6:7], v10, s30, 0
	v_add3_u32 v21, v21, v22, v19
	v_lshl_add_u64 v[20:21], v[20:21], 1, s[20:21]
	s_mov_b64 s[44:45], 0
                                        ; implicit-def: $sgpr42_sgpr43
.LBB1419_32:                            ; =>This Inner Loop Header: Depth=1
	global_load_ushort v19, v[20:21], off
	global_load_ushort v22, v[16:17], off
	s_add_u32 s6, s14, -1
	s_addc_u32 s7, s15, -1
	s_cmp_eq_u64 s[14:15], 0
	s_mov_b64 s[14:15], s[6:7]
	s_cselect_b64 s[46:47], -1, 0
	v_lshl_add_u64 v[20:21], v[20:21], 0, 2
	v_lshl_add_u64 v[16:17], v[16:17], 0, 2
	s_waitcnt vmcnt(0)
	v_cmp_ne_u16_e64 s[6:7], v19, v22
	s_or_b64 s[6:7], s[6:7], s[46:47]
	s_and_b64 s[6:7], exec, s[6:7]
	v_cmp_eq_u16_e32 vcc, v19, v22
	s_or_b64 s[44:45], s[6:7], s[44:45]
	s_andn2_b64 s[6:7], s[42:43], exec
	s_and_b64 s[42:43], vcc, exec
	s_or_b64 s[42:43], s[6:7], s[42:43]
	s_andn2_b64 exec, exec, s[44:45]
	s_cbranch_execnz .LBB1419_32
; %bb.33:
	s_or_b64 exec, exec, s[44:45]
	s_xor_b64 s[6:7], s[18:19], -1
	v_cndmask_b32_e64 v40, 0, 1, s[6:7]
	s_xor_b64 s[6:7], s[38:39], -1
	v_cndmask_b32_e64 v16, 0, 1, s[6:7]
	v_lshlrev_b16_e32 v16, 8, v16
	s_xor_b64 s[6:7], s[12:13], -1
	v_lshrrev_b32_e32 v16, 8, v16
	v_mov_b32_e32 v20, 1
	s_xor_b64 s[12:13], s[40:41], -1
	v_cndmask_b32_e64 v19, 0, 1, s[6:7]
	s_xor_b64 s[6:7], s[36:37], -1
	v_and_b32_sdwa v16, v16, v20 dst_sel:BYTE_1 dst_unused:UNUSED_PAD src0_sel:DWORD src1_sel:DWORD
	v_cndmask_b32_e64 v20, 0, 1, s[12:13]
	v_cndmask_b32_e64 v17, 0, 1, s[6:7]
	s_xor_b64 s[6:7], s[42:43], -1
	v_or_b32_sdwa v22, v20, v16 dst_sel:WORD_1 dst_unused:UNUSED_PAD src0_sel:DWORD src1_sel:DWORD
	s_branch .LBB1419_38
.LBB1419_34:
                                        ; implicit-def: $sgpr6_sgpr7
                                        ; implicit-def: $vgpr19
                                        ; implicit-def: $vgpr40
                                        ; implicit-def: $vgpr17
                                        ; implicit-def: $vgpr21
	s_branch .LBB1419_91
.LBB1419_35:
                                        ; implicit-def: $vgpr42
                                        ; implicit-def: $vgpr41
                                        ; implicit-def: $vgpr20
	s_branch .LBB1419_160
.LBB1419_36:
                                        ; implicit-def: $sgpr6_sgpr7
                                        ; implicit-def: $vgpr19
                                        ; implicit-def: $vgpr40
                                        ; implicit-def: $vgpr17
                                        ; implicit-def: $vgpr21
	s_cbranch_execnz .LBB1419_45
	s_branch .LBB1419_90
.LBB1419_37:
	v_mov_b32_e32 v22, 0
	v_mov_b32_e32 v19, 0
	;; [unrolled: 1-line block ×4, first 2 shown]
.LBB1419_38:
	v_cmp_ne_u32_e32 vcc, 0, v0
	s_waitcnt lgkmcnt(0)
	v_mov_b64_e32 v[20:21], s[10:11]
	s_barrier
	s_and_saveexec_b64 s[12:13], vcc
; %bb.39:
	v_add_u32_e32 v16, -8, v25
	ds_read_b64 v[20:21], v16
; %bb.40:
	s_or_b64 exec, exec, s[12:13]
	v_cndmask_b32_e64 v23, 0, 1, s[6:7]
	v_lshrrev_b32_e32 v16, 16, v22
	s_mov_b32 s6, 0xc0c0304
	v_perm_b32 v16, v16, v22, s6
	v_lshlrev_b16_e32 v23, 8, v23
	s_movk_i32 s6, 0xff
	v_bitop3_b16 v22, v22, v23, s6 bitop3:0xec
	v_and_b32_e32 v26, 0xffff, v22
	s_mov_b64 s[12:13], 0
	s_and_b64 vcc, exec, s[4:5]
	s_mov_b64 s[6:7], 0
	s_cbranch_vccnz .LBB1419_44
; %bb.41:
	s_waitcnt lgkmcnt(0)
	v_mul_lo_u32 v22, v21, s30
	v_mul_lo_u32 v23, v20, s31
	v_mad_u64_u32 v[20:21], s[6:7], v20, s30, 0
	v_add3_u32 v21, v21, v23, v22
	v_mul_lo_u32 v27, v11, s30
	v_mul_lo_u32 v28, v10, s31
	v_mad_u64_u32 v[22:23], s[6:7], v10, s30, 0
	v_add3_u32 v23, v23, v28, v27
	s_add_u32 s36, s30, -1
	v_lshl_add_u64 v[20:21], v[20:21], 1, s[20:21]
	v_lshl_add_u64 v[22:23], v[22:23], 1, s[20:21]
	s_addc_u32 s37, s31, -1
	s_mov_b64 s[14:15], 0
                                        ; implicit-def: $sgpr18_sgpr19
.LBB1419_42:                            ; =>This Inner Loop Header: Depth=1
	global_load_ushort v27, v[20:21], off
	global_load_ushort v28, v[22:23], off
	s_add_u32 s6, s36, -1
	s_addc_u32 s7, s37, -1
	s_cmp_eq_u64 s[36:37], 0
	s_mov_b64 s[36:37], s[6:7]
	s_cselect_b64 s[38:39], -1, 0
	v_lshl_add_u64 v[20:21], v[20:21], 0, 2
	v_lshl_add_u64 v[22:23], v[22:23], 0, 2
	s_waitcnt vmcnt(0)
	v_cmp_ne_u16_e64 s[6:7], v27, v28
	s_or_b64 s[6:7], s[6:7], s[38:39]
	s_and_b64 s[6:7], exec, s[6:7]
	v_cmp_eq_u16_e32 vcc, v27, v28
	s_or_b64 s[14:15], s[6:7], s[14:15]
	s_andn2_b64 s[6:7], s[18:19], exec
	s_and_b64 s[18:19], vcc, exec
	s_or_b64 s[18:19], s[6:7], s[18:19]
	s_andn2_b64 exec, exec, s[14:15]
	s_cbranch_execnz .LBB1419_42
; %bb.43:
	s_or_b64 exec, exec, s[14:15]
	s_xor_b64 s[6:7], s[18:19], -1
.LBB1419_44:
	s_waitcnt lgkmcnt(0)
	v_lshl_or_b32 v21, v16, 16, v26
	s_and_b64 vcc, exec, s[12:13]
	s_cbranch_vccz .LBB1419_90
.LBB1419_45:
	v_add_u32_e32 v16, 6, v1
	v_cmp_gt_u32_e32 vcc, s3, v16
	s_mov_b64 s[14:15], 0
	s_mov_b64 s[12:13], 0
	s_and_saveexec_b64 s[18:19], vcc
	s_cbranch_execz .LBB1419_51
; %bb.46:
	s_and_b64 vcc, exec, s[4:5]
	s_mov_b64 s[6:7], 0
	s_cbranch_vccnz .LBB1419_50
; %bb.47:
	v_mul_lo_u32 v19, v5, s30
	v_mul_lo_u32 v20, v4, s31
	v_mad_u64_u32 v[16:17], s[6:7], v4, s30, 0
	v_add3_u32 v17, v17, v20, v19
	v_mul_lo_u32 v19, v15, s30
	v_mul_lo_u32 v22, v14, s31
	v_mad_u64_u32 v[20:21], s[6:7], v14, s30, 0
	v_add3_u32 v21, v21, v22, v19
	s_add_u32 s38, s30, -1
	v_lshl_add_u64 v[16:17], v[16:17], 1, s[20:21]
	v_lshl_add_u64 v[20:21], v[20:21], 1, s[20:21]
	s_addc_u32 s39, s31, -1
                                        ; implicit-def: $sgpr36_sgpr37
.LBB1419_48:                            ; =>This Inner Loop Header: Depth=1
	global_load_ushort v19, v[16:17], off
	global_load_ushort v22, v[20:21], off
	s_add_u32 s6, s38, -1
	s_addc_u32 s7, s39, -1
	s_cmp_eq_u64 s[38:39], 0
	s_mov_b64 s[38:39], s[6:7]
	s_cselect_b64 s[40:41], -1, 0
	v_lshl_add_u64 v[16:17], v[16:17], 0, 2
	v_lshl_add_u64 v[20:21], v[20:21], 0, 2
	s_waitcnt vmcnt(0)
	v_cmp_ne_u16_e64 s[6:7], v19, v22
	s_or_b64 s[6:7], s[6:7], s[40:41]
	s_and_b64 s[6:7], exec, s[6:7]
	v_cmp_eq_u16_e32 vcc, v19, v22
	s_or_b64 s[12:13], s[6:7], s[12:13]
	s_andn2_b64 s[6:7], s[36:37], exec
	s_and_b64 s[36:37], vcc, exec
	s_or_b64 s[36:37], s[6:7], s[36:37]
	s_andn2_b64 exec, exec, s[12:13]
	s_cbranch_execnz .LBB1419_48
; %bb.49:
	s_or_b64 exec, exec, s[12:13]
	s_xor_b64 s[6:7], s[36:37], -1
.LBB1419_50:
	s_and_b64 s[12:13], s[6:7], exec
.LBB1419_51:
	s_or_b64 exec, exec, s[18:19]
	v_add_u32_e32 v16, 5, v1
	v_cmp_gt_u32_e32 vcc, s3, v16
	s_and_saveexec_b64 s[18:19], vcc
	s_cbranch_execz .LBB1419_57
; %bb.52:
	s_and_b64 vcc, exec, s[4:5]
	s_mov_b64 s[6:7], 0
	s_cbranch_vccnz .LBB1419_56
; %bb.53:
	v_mul_lo_u32 v19, v3, s30
	v_mul_lo_u32 v20, v2, s31
	v_mad_u64_u32 v[16:17], s[6:7], v2, s30, 0
	v_add3_u32 v17, v17, v20, v19
	v_mul_lo_u32 v19, v5, s30
	v_mul_lo_u32 v22, v4, s31
	v_mad_u64_u32 v[20:21], s[6:7], v4, s30, 0
	v_add3_u32 v21, v21, v22, v19
	s_add_u32 s38, s30, -1
	v_lshl_add_u64 v[16:17], v[16:17], 1, s[20:21]
	v_lshl_add_u64 v[20:21], v[20:21], 1, s[20:21]
	s_addc_u32 s39, s31, -1
	s_mov_b64 s[14:15], 0
                                        ; implicit-def: $sgpr36_sgpr37
.LBB1419_54:                            ; =>This Inner Loop Header: Depth=1
	global_load_ushort v19, v[16:17], off
	global_load_ushort v22, v[20:21], off
	s_add_u32 s6, s38, -1
	s_addc_u32 s7, s39, -1
	s_cmp_eq_u64 s[38:39], 0
	s_mov_b64 s[38:39], s[6:7]
	s_cselect_b64 s[40:41], -1, 0
	v_lshl_add_u64 v[16:17], v[16:17], 0, 2
	v_lshl_add_u64 v[20:21], v[20:21], 0, 2
	s_waitcnt vmcnt(0)
	v_cmp_ne_u16_e64 s[6:7], v19, v22
	s_or_b64 s[6:7], s[6:7], s[40:41]
	s_and_b64 s[6:7], exec, s[6:7]
	v_cmp_eq_u16_e32 vcc, v19, v22
	s_or_b64 s[14:15], s[6:7], s[14:15]
	s_andn2_b64 s[6:7], s[36:37], exec
	s_and_b64 s[36:37], vcc, exec
	s_or_b64 s[36:37], s[6:7], s[36:37]
	s_andn2_b64 exec, exec, s[14:15]
	s_cbranch_execnz .LBB1419_54
; %bb.55:
	s_or_b64 exec, exec, s[14:15]
	s_xor_b64 s[6:7], s[36:37], -1
.LBB1419_56:
	s_and_b64 s[14:15], s[6:7], exec
.LBB1419_57:
	s_or_b64 exec, exec, s[18:19]
	v_add_u32_e32 v16, 4, v1
	v_cmp_gt_u32_e32 vcc, s3, v16
	s_mov_b64 s[36:37], 0
	s_mov_b64 s[18:19], 0
	s_and_saveexec_b64 s[38:39], vcc
	s_cbranch_execz .LBB1419_63
; %bb.58:
	s_and_b64 vcc, exec, s[4:5]
	s_mov_b64 s[6:7], 0
	s_cbranch_vccnz .LBB1419_62
; %bb.59:
	v_mul_lo_u32 v19, v9, s30
	v_mul_lo_u32 v20, v8, s31
	v_mad_u64_u32 v[16:17], s[6:7], v8, s30, 0
	v_add3_u32 v17, v17, v20, v19
	v_mul_lo_u32 v19, v3, s30
	v_mul_lo_u32 v22, v2, s31
	v_mad_u64_u32 v[20:21], s[6:7], v2, s30, 0
	v_add3_u32 v21, v21, v22, v19
	s_add_u32 s42, s30, -1
	v_lshl_add_u64 v[16:17], v[16:17], 1, s[20:21]
	v_lshl_add_u64 v[20:21], v[20:21], 1, s[20:21]
	s_addc_u32 s43, s31, -1
                                        ; implicit-def: $sgpr40_sgpr41
.LBB1419_60:                            ; =>This Inner Loop Header: Depth=1
	global_load_ushort v19, v[16:17], off
	global_load_ushort v22, v[20:21], off
	s_add_u32 s6, s42, -1
	s_addc_u32 s7, s43, -1
	s_cmp_eq_u64 s[42:43], 0
	s_mov_b64 s[42:43], s[6:7]
	s_cselect_b64 s[44:45], -1, 0
	v_lshl_add_u64 v[16:17], v[16:17], 0, 2
	v_lshl_add_u64 v[20:21], v[20:21], 0, 2
	s_waitcnt vmcnt(0)
	v_cmp_ne_u16_e64 s[6:7], v19, v22
	s_or_b64 s[6:7], s[6:7], s[44:45]
	s_and_b64 s[6:7], exec, s[6:7]
	v_cmp_eq_u16_e32 vcc, v19, v22
	s_or_b64 s[18:19], s[6:7], s[18:19]
	s_andn2_b64 s[6:7], s[40:41], exec
	s_and_b64 s[40:41], vcc, exec
	s_or_b64 s[40:41], s[6:7], s[40:41]
	s_andn2_b64 exec, exec, s[18:19]
	s_cbranch_execnz .LBB1419_60
; %bb.61:
	s_or_b64 exec, exec, s[18:19]
	s_xor_b64 s[6:7], s[40:41], -1
.LBB1419_62:
	s_and_b64 s[18:19], s[6:7], exec
.LBB1419_63:
	s_or_b64 exec, exec, s[38:39]
	v_add_u32_e32 v16, 3, v1
	v_cmp_gt_u32_e32 vcc, s3, v16
	s_and_saveexec_b64 s[38:39], vcc
	s_cbranch_execz .LBB1419_69
; %bb.64:
	s_and_b64 vcc, exec, s[4:5]
	s_mov_b64 s[6:7], 0
	s_cbranch_vccnz .LBB1419_68
; %bb.65:
	v_mul_lo_u32 v19, v7, s30
	v_mul_lo_u32 v20, v6, s31
	v_mad_u64_u32 v[16:17], s[6:7], v6, s30, 0
	v_add3_u32 v17, v17, v20, v19
	v_mul_lo_u32 v19, v9, s30
	v_mul_lo_u32 v22, v8, s31
	v_mad_u64_u32 v[20:21], s[6:7], v8, s30, 0
	v_add3_u32 v21, v21, v22, v19
	s_add_u32 s42, s30, -1
	v_lshl_add_u64 v[16:17], v[16:17], 1, s[20:21]
	v_lshl_add_u64 v[20:21], v[20:21], 1, s[20:21]
	s_addc_u32 s43, s31, -1
	s_mov_b64 s[36:37], 0
                                        ; implicit-def: $sgpr40_sgpr41
.LBB1419_66:                            ; =>This Inner Loop Header: Depth=1
	global_load_ushort v19, v[16:17], off
	global_load_ushort v22, v[20:21], off
	s_add_u32 s6, s42, -1
	s_addc_u32 s7, s43, -1
	s_cmp_eq_u64 s[42:43], 0
	s_mov_b64 s[42:43], s[6:7]
	s_cselect_b64 s[44:45], -1, 0
	v_lshl_add_u64 v[16:17], v[16:17], 0, 2
	v_lshl_add_u64 v[20:21], v[20:21], 0, 2
	s_waitcnt vmcnt(0)
	v_cmp_ne_u16_e64 s[6:7], v19, v22
	s_or_b64 s[6:7], s[6:7], s[44:45]
	s_and_b64 s[6:7], exec, s[6:7]
	v_cmp_eq_u16_e32 vcc, v19, v22
	s_or_b64 s[36:37], s[6:7], s[36:37]
	s_andn2_b64 s[6:7], s[40:41], exec
	s_and_b64 s[40:41], vcc, exec
	s_or_b64 s[40:41], s[6:7], s[40:41]
	s_andn2_b64 exec, exec, s[36:37]
	s_cbranch_execnz .LBB1419_66
; %bb.67:
	s_or_b64 exec, exec, s[36:37]
	s_xor_b64 s[6:7], s[40:41], -1
.LBB1419_68:
	s_and_b64 s[36:37], s[6:7], exec
.LBB1419_69:
	s_or_b64 exec, exec, s[38:39]
	v_add_u32_e32 v16, 2, v1
	v_cmp_gt_u32_e32 vcc, s3, v16
	s_mov_b64 s[38:39], 0
	s_mov_b64 s[40:41], 0
	s_and_saveexec_b64 s[42:43], vcc
	s_cbranch_execz .LBB1419_75
; %bb.70:
	s_and_b64 vcc, exec, s[4:5]
	s_mov_b64 s[6:7], 0
	s_cbranch_vccnz .LBB1419_74
; %bb.71:
	v_mul_lo_u32 v19, v13, s30
	v_mul_lo_u32 v20, v12, s31
	v_mad_u64_u32 v[16:17], s[6:7], v12, s30, 0
	v_add3_u32 v17, v17, v20, v19
	v_mul_lo_u32 v19, v7, s30
	v_mul_lo_u32 v22, v6, s31
	v_mad_u64_u32 v[20:21], s[6:7], v6, s30, 0
	v_add3_u32 v21, v21, v22, v19
	s_add_u32 s46, s30, -1
	v_lshl_add_u64 v[16:17], v[16:17], 1, s[20:21]
	v_lshl_add_u64 v[20:21], v[20:21], 1, s[20:21]
	s_addc_u32 s47, s31, -1
                                        ; implicit-def: $sgpr44_sgpr45
.LBB1419_72:                            ; =>This Inner Loop Header: Depth=1
	global_load_ushort v19, v[16:17], off
	global_load_ushort v22, v[20:21], off
	s_add_u32 s6, s46, -1
	s_addc_u32 s7, s47, -1
	s_cmp_eq_u64 s[46:47], 0
	s_mov_b64 s[46:47], s[6:7]
	s_cselect_b64 s[48:49], -1, 0
	v_lshl_add_u64 v[16:17], v[16:17], 0, 2
	v_lshl_add_u64 v[20:21], v[20:21], 0, 2
	s_waitcnt vmcnt(0)
	v_cmp_ne_u16_e64 s[6:7], v19, v22
	s_or_b64 s[6:7], s[6:7], s[48:49]
	s_and_b64 s[6:7], exec, s[6:7]
	v_cmp_eq_u16_e32 vcc, v19, v22
	s_or_b64 s[40:41], s[6:7], s[40:41]
	s_andn2_b64 s[6:7], s[44:45], exec
	s_and_b64 s[44:45], vcc, exec
	s_or_b64 s[44:45], s[6:7], s[44:45]
	s_andn2_b64 exec, exec, s[40:41]
	s_cbranch_execnz .LBB1419_72
; %bb.73:
	s_or_b64 exec, exec, s[40:41]
	s_xor_b64 s[6:7], s[44:45], -1
.LBB1419_74:
	s_and_b64 s[40:41], s[6:7], exec
.LBB1419_75:
	s_or_b64 exec, exec, s[42:43]
	v_add_u32_e32 v16, 1, v1
	v_cmp_gt_u32_e32 vcc, s3, v16
	s_and_saveexec_b64 s[42:43], vcc
	s_cbranch_execz .LBB1419_81
; %bb.76:
	s_and_b64 vcc, exec, s[4:5]
	s_mov_b64 s[6:7], 0
	s_cbranch_vccnz .LBB1419_80
; %bb.77:
	v_mul_lo_u32 v19, v11, s30
	v_mul_lo_u32 v20, v10, s31
	v_mad_u64_u32 v[16:17], s[6:7], v10, s30, 0
	v_add3_u32 v17, v17, v20, v19
	v_mul_lo_u32 v19, v13, s30
	v_mul_lo_u32 v22, v12, s31
	v_mad_u64_u32 v[20:21], s[6:7], v12, s30, 0
	v_add3_u32 v21, v21, v22, v19
	s_add_u32 s46, s30, -1
	v_lshl_add_u64 v[16:17], v[16:17], 1, s[20:21]
	v_lshl_add_u64 v[20:21], v[20:21], 1, s[20:21]
	s_addc_u32 s47, s31, -1
	s_mov_b64 s[38:39], 0
                                        ; implicit-def: $sgpr44_sgpr45
.LBB1419_78:                            ; =>This Inner Loop Header: Depth=1
	global_load_ushort v19, v[16:17], off
	global_load_ushort v22, v[20:21], off
	s_add_u32 s6, s46, -1
	s_addc_u32 s7, s47, -1
	s_cmp_eq_u64 s[46:47], 0
	s_mov_b64 s[46:47], s[6:7]
	s_cselect_b64 s[48:49], -1, 0
	v_lshl_add_u64 v[16:17], v[16:17], 0, 2
	v_lshl_add_u64 v[20:21], v[20:21], 0, 2
	s_waitcnt vmcnt(0)
	v_cmp_ne_u16_e64 s[6:7], v19, v22
	s_or_b64 s[6:7], s[6:7], s[48:49]
	s_and_b64 s[6:7], exec, s[6:7]
	v_cmp_eq_u16_e32 vcc, v19, v22
	s_or_b64 s[38:39], s[6:7], s[38:39]
	s_andn2_b64 s[6:7], s[44:45], exec
	s_and_b64 s[44:45], vcc, exec
	s_or_b64 s[44:45], s[6:7], s[44:45]
	s_andn2_b64 exec, exec, s[38:39]
	s_cbranch_execnz .LBB1419_78
; %bb.79:
	s_or_b64 exec, exec, s[38:39]
	s_xor_b64 s[6:7], s[44:45], -1
.LBB1419_80:
	s_and_b64 s[38:39], s[6:7], exec
.LBB1419_81:
	s_or_b64 exec, exec, s[42:43]
	v_cmp_ne_u32_e32 vcc, 0, v0
	s_waitcnt lgkmcnt(0)
	v_mov_b64_e32 v[16:17], s[10:11]
	s_barrier
	s_and_saveexec_b64 s[6:7], vcc
; %bb.82:
	v_add_u32_e32 v16, -8, v25
	ds_read_b64 v[16:17], v16
; %bb.83:
	s_or_b64 exec, exec, s[6:7]
	v_cndmask_b32_e64 v20, 0, 1, s[36:37]
	v_cndmask_b32_e64 v19, 0, 1, s[40:41]
	;; [unrolled: 1-line block ×3, first 2 shown]
	v_lshlrev_b16_e32 v20, 8, v20
	v_cmp_gt_u32_e32 vcc, s3, v1
	v_lshlrev_b16_e32 v22, 8, v21
	v_or_b32_sdwa v23, v19, v20 dst_sel:WORD_1 dst_unused:UNUSED_PAD src0_sel:DWORD src1_sel:DWORD
	s_mov_b64 s[6:7], 0
	s_and_saveexec_b64 s[10:11], vcc
	s_cbranch_execz .LBB1419_89
; %bb.84:
	s_and_b64 vcc, exec, s[4:5]
	s_mov_b64 s[4:5], 0
	s_cbranch_vccnz .LBB1419_88
; %bb.85:
	s_waitcnt lgkmcnt(0)
	v_mul_lo_u32 v19, v17, s30
	v_mul_lo_u32 v20, v16, s31
	v_mad_u64_u32 v[16:17], s[4:5], v16, s30, 0
	v_add3_u32 v17, v17, v20, v19
	v_mul_lo_u32 v19, v11, s30
	v_mul_lo_u32 v25, v10, s31
	v_mad_u64_u32 v[20:21], s[4:5], v10, s30, 0
	v_add3_u32 v21, v21, v25, v19
	s_add_u32 s38, s30, -1
	v_lshl_add_u64 v[16:17], v[16:17], 1, s[20:21]
	v_lshl_add_u64 v[20:21], v[20:21], 1, s[20:21]
	s_addc_u32 s39, s31, -1
                                        ; implicit-def: $sgpr36_sgpr37
.LBB1419_86:                            ; =>This Inner Loop Header: Depth=1
	global_load_ushort v19, v[16:17], off
	global_load_ushort v25, v[20:21], off
	s_add_u32 s4, s38, -1
	s_addc_u32 s5, s39, -1
	s_cmp_eq_u64 s[38:39], 0
	s_mov_b64 s[38:39], s[4:5]
	s_cselect_b64 s[40:41], -1, 0
	v_lshl_add_u64 v[16:17], v[16:17], 0, 2
	v_lshl_add_u64 v[20:21], v[20:21], 0, 2
	s_waitcnt vmcnt(0)
	v_cmp_ne_u16_e64 s[4:5], v19, v25
	s_or_b64 s[4:5], s[4:5], s[40:41]
	s_and_b64 s[4:5], exec, s[4:5]
	v_cmp_eq_u16_e32 vcc, v19, v25
	s_or_b64 s[6:7], s[4:5], s[6:7]
	s_andn2_b64 s[4:5], s[36:37], exec
	s_and_b64 s[36:37], vcc, exec
	s_or_b64 s[36:37], s[4:5], s[36:37]
	s_andn2_b64 exec, exec, s[6:7]
	s_cbranch_execnz .LBB1419_86
; %bb.87:
	s_or_b64 exec, exec, s[6:7]
	s_xor_b64 s[4:5], s[36:37], -1
.LBB1419_88:
	s_and_b64 s[6:7], s[4:5], exec
.LBB1419_89:
	s_or_b64 exec, exec, s[10:11]
	s_waitcnt lgkmcnt(0)
	v_cndmask_b32_e64 v17, 0, 1, s[18:19]
	v_cndmask_b32_e64 v40, 0, 1, s[14:15]
	;; [unrolled: 1-line block ×3, first 2 shown]
	v_or_b32_e32 v21, v22, v23
.LBB1419_90:
	s_waitcnt lgkmcnt(0)
	s_mov_b64 s[10:11], -1
	s_cbranch_execnz .LBB1419_35
.LBB1419_91:
	s_movk_i32 s4, 0xffd0
	v_mad_i32_i24 v26, v0, s4, v24
	s_mov_b64 s[6:7], 0
	v_cmp_gt_i64_e64 s[12:13], s[30:31], 0
	s_and_b64 vcc, exec, s[34:35]
	ds_write_b64 v26, v[14:15]
	s_cbranch_vccz .LBB1419_106
; %bb.92:
	v_cndmask_b32_e64 v16, 0, 1, s[12:13]
	v_cmp_ne_u32_e64 s[4:5], 1, v16
	s_andn2_b64 vcc, exec, s[12:13]
	s_cbranch_vccnz .LBB1419_107
; %bb.93:
	v_mul_lo_u32 v19, v5, s30
	v_mul_lo_u32 v20, v4, s31
	v_mad_u64_u32 v[16:17], s[6:7], v4, s30, 0
	v_add3_u32 v17, v17, v20, v19
	v_mul_lo_u32 v19, v15, s30
	v_mul_lo_u32 v22, v14, s31
	v_mad_u64_u32 v[20:21], s[6:7], v14, s30, 0
	s_add_u32 s18, s30, -1
	v_lshl_add_u64 v[16:17], v[16:17], 1, s[20:21]
	v_add3_u32 v21, v21, v22, v19
	s_addc_u32 s19, s31, -1
	v_lshl_add_u64 v[20:21], v[20:21], 1, s[20:21]
	s_mov_b64 s[36:37], 0
	s_mov_b64 s[38:39], s[18:19]
	v_mov_b64_e32 v[22:23], v[16:17]
                                        ; implicit-def: $sgpr14_sgpr15
.LBB1419_94:                            ; =>This Inner Loop Header: Depth=1
	global_load_ushort v19, v[22:23], off
	global_load_ushort v24, v[20:21], off
	s_add_u32 s6, s38, -1
	s_addc_u32 s7, s39, -1
	s_cmp_eq_u64 s[38:39], 0
	s_mov_b64 s[38:39], s[6:7]
	s_cselect_b64 s[40:41], -1, 0
	v_lshl_add_u64 v[22:23], v[22:23], 0, 2
	v_lshl_add_u64 v[20:21], v[20:21], 0, 2
	s_waitcnt vmcnt(0)
	v_cmp_ne_u16_e64 s[6:7], v19, v24
	s_or_b64 s[6:7], s[6:7], s[40:41]
	s_and_b64 s[6:7], exec, s[6:7]
	v_cmp_eq_u16_e32 vcc, v19, v24
	s_or_b64 s[36:37], s[6:7], s[36:37]
	s_andn2_b64 s[6:7], s[14:15], exec
	s_and_b64 s[14:15], vcc, exec
	s_or_b64 s[14:15], s[6:7], s[14:15]
	s_andn2_b64 exec, exec, s[36:37]
	s_cbranch_execnz .LBB1419_94
; %bb.95:
	s_or_b64 exec, exec, s[36:37]
	v_mul_lo_u32 v19, v3, s30
	v_mul_lo_u32 v22, v2, s31
	v_mad_u64_u32 v[20:21], s[6:7], v2, s30, 0
	v_add3_u32 v21, v21, v22, v19
	v_lshl_add_u64 v[20:21], v[20:21], 1, s[20:21]
	s_mov_b64 s[38:39], 0
	s_mov_b64 s[40:41], s[18:19]
	v_mov_b64_e32 v[22:23], v[20:21]
                                        ; implicit-def: $sgpr36_sgpr37
.LBB1419_96:                            ; =>This Inner Loop Header: Depth=1
	global_load_ushort v19, v[22:23], off
	global_load_ushort v24, v[16:17], off
	s_add_u32 s6, s40, -1
	s_addc_u32 s7, s41, -1
	s_cmp_eq_u64 s[40:41], 0
	s_mov_b64 s[40:41], s[6:7]
	s_cselect_b64 s[42:43], -1, 0
	v_lshl_add_u64 v[22:23], v[22:23], 0, 2
	v_lshl_add_u64 v[16:17], v[16:17], 0, 2
	s_waitcnt vmcnt(0)
	v_cmp_ne_u16_e64 s[6:7], v19, v24
	s_or_b64 s[6:7], s[6:7], s[42:43]
	s_and_b64 s[6:7], exec, s[6:7]
	v_cmp_eq_u16_e32 vcc, v19, v24
	s_or_b64 s[38:39], s[6:7], s[38:39]
	s_andn2_b64 s[6:7], s[36:37], exec
	s_and_b64 s[36:37], vcc, exec
	s_or_b64 s[36:37], s[6:7], s[36:37]
	s_andn2_b64 exec, exec, s[38:39]
	s_cbranch_execnz .LBB1419_96
; %bb.97:
	s_or_b64 exec, exec, s[38:39]
	v_mul_lo_u32 v19, v9, s30
	v_mul_lo_u32 v22, v8, s31
	v_mad_u64_u32 v[16:17], s[6:7], v8, s30, 0
	v_add3_u32 v17, v17, v22, v19
	v_lshl_add_u64 v[16:17], v[16:17], 1, s[20:21]
	s_mov_b64 s[40:41], 0
	s_mov_b64 s[42:43], s[18:19]
	v_mov_b64_e32 v[22:23], v[16:17]
                                        ; implicit-def: $sgpr38_sgpr39
.LBB1419_98:                            ; =>This Inner Loop Header: Depth=1
	global_load_ushort v19, v[22:23], off
	global_load_ushort v24, v[20:21], off
	s_add_u32 s6, s42, -1
	s_addc_u32 s7, s43, -1
	s_cmp_eq_u64 s[42:43], 0
	s_mov_b64 s[42:43], s[6:7]
	s_cselect_b64 s[44:45], -1, 0
	v_lshl_add_u64 v[22:23], v[22:23], 0, 2
	v_lshl_add_u64 v[20:21], v[20:21], 0, 2
	s_waitcnt vmcnt(0)
	v_cmp_ne_u16_e64 s[6:7], v19, v24
	s_or_b64 s[6:7], s[6:7], s[44:45]
	s_and_b64 s[6:7], exec, s[6:7]
	v_cmp_eq_u16_e32 vcc, v19, v24
	s_or_b64 s[40:41], s[6:7], s[40:41]
	s_andn2_b64 s[6:7], s[38:39], exec
	s_and_b64 s[38:39], vcc, exec
	s_or_b64 s[38:39], s[6:7], s[38:39]
	s_andn2_b64 exec, exec, s[40:41]
	s_cbranch_execnz .LBB1419_98
; %bb.99:
	s_or_b64 exec, exec, s[40:41]
	v_mul_lo_u32 v19, v7, s30
	v_mul_lo_u32 v22, v6, s31
	v_mad_u64_u32 v[20:21], s[6:7], v6, s30, 0
	v_add3_u32 v21, v21, v22, v19
	v_lshl_add_u64 v[20:21], v[20:21], 1, s[20:21]
	s_mov_b64 s[42:43], 0
	s_mov_b64 s[44:45], s[18:19]
	v_mov_b64_e32 v[22:23], v[20:21]
                                        ; implicit-def: $sgpr40_sgpr41
.LBB1419_100:                           ; =>This Inner Loop Header: Depth=1
	global_load_ushort v19, v[22:23], off
	global_load_ushort v24, v[16:17], off
	s_add_u32 s6, s44, -1
	s_addc_u32 s7, s45, -1
	s_cmp_eq_u64 s[44:45], 0
	s_mov_b64 s[44:45], s[6:7]
	s_cselect_b64 s[46:47], -1, 0
	v_lshl_add_u64 v[22:23], v[22:23], 0, 2
	v_lshl_add_u64 v[16:17], v[16:17], 0, 2
	s_waitcnt vmcnt(0)
	v_cmp_ne_u16_e64 s[6:7], v19, v24
	s_or_b64 s[6:7], s[6:7], s[46:47]
	s_and_b64 s[6:7], exec, s[6:7]
	v_cmp_eq_u16_e32 vcc, v19, v24
	s_or_b64 s[42:43], s[6:7], s[42:43]
	s_andn2_b64 s[6:7], s[40:41], exec
	s_and_b64 s[40:41], vcc, exec
	s_or_b64 s[40:41], s[6:7], s[40:41]
	s_andn2_b64 exec, exec, s[42:43]
	s_cbranch_execnz .LBB1419_100
; %bb.101:
	s_or_b64 exec, exec, s[42:43]
	v_mul_lo_u32 v19, v13, s30
	v_mul_lo_u32 v22, v12, s31
	v_mad_u64_u32 v[16:17], s[6:7], v12, s30, 0
	v_add3_u32 v17, v17, v22, v19
	v_lshl_add_u64 v[16:17], v[16:17], 1, s[20:21]
	s_mov_b64 s[44:45], 0
	s_mov_b64 s[46:47], s[18:19]
	v_mov_b64_e32 v[22:23], v[16:17]
                                        ; implicit-def: $sgpr42_sgpr43
.LBB1419_102:                           ; =>This Inner Loop Header: Depth=1
	global_load_ushort v19, v[22:23], off
	global_load_ushort v24, v[20:21], off
	s_add_u32 s6, s46, -1
	s_addc_u32 s7, s47, -1
	s_cmp_eq_u64 s[46:47], 0
	s_mov_b64 s[46:47], s[6:7]
	s_cselect_b64 s[48:49], -1, 0
	v_lshl_add_u64 v[22:23], v[22:23], 0, 2
	v_lshl_add_u64 v[20:21], v[20:21], 0, 2
	s_waitcnt vmcnt(0)
	v_cmp_ne_u16_e64 s[6:7], v19, v24
	s_or_b64 s[6:7], s[6:7], s[48:49]
	s_and_b64 s[6:7], exec, s[6:7]
	v_cmp_eq_u16_e32 vcc, v19, v24
	s_or_b64 s[44:45], s[6:7], s[44:45]
	s_andn2_b64 s[6:7], s[42:43], exec
	s_and_b64 s[42:43], vcc, exec
	s_or_b64 s[42:43], s[6:7], s[42:43]
	s_andn2_b64 exec, exec, s[44:45]
	s_cbranch_execnz .LBB1419_102
; %bb.103:
	s_or_b64 exec, exec, s[44:45]
	v_mul_lo_u32 v19, v11, s30
	v_mul_lo_u32 v22, v10, s31
	v_mad_u64_u32 v[20:21], s[6:7], v10, s30, 0
	v_add3_u32 v21, v21, v22, v19
	v_lshl_add_u64 v[20:21], v[20:21], 1, s[20:21]
	s_mov_b64 s[46:47], 0
                                        ; implicit-def: $sgpr44_sgpr45
.LBB1419_104:                           ; =>This Inner Loop Header: Depth=1
	global_load_ushort v19, v[20:21], off
	global_load_ushort v22, v[16:17], off
	s_add_u32 s6, s18, -1
	s_addc_u32 s7, s19, -1
	s_cmp_eq_u64 s[18:19], 0
	s_mov_b64 s[18:19], s[6:7]
	s_cselect_b64 s[48:49], -1, 0
	v_lshl_add_u64 v[20:21], v[20:21], 0, 2
	v_lshl_add_u64 v[16:17], v[16:17], 0, 2
	s_waitcnt vmcnt(0)
	v_cmp_ne_u16_e64 s[6:7], v19, v22
	s_or_b64 s[6:7], s[6:7], s[48:49]
	s_and_b64 s[6:7], exec, s[6:7]
	v_cmp_eq_u16_e32 vcc, v19, v22
	s_or_b64 s[46:47], s[6:7], s[46:47]
	s_andn2_b64 s[6:7], s[44:45], exec
	s_and_b64 s[44:45], vcc, exec
	s_or_b64 s[44:45], s[6:7], s[44:45]
	s_andn2_b64 exec, exec, s[46:47]
	s_cbranch_execnz .LBB1419_104
; %bb.105:
	s_or_b64 exec, exec, s[46:47]
	s_xor_b64 s[6:7], s[36:37], -1
	v_cndmask_b32_e64 v40, 0, 1, s[6:7]
	s_xor_b64 s[6:7], s[40:41], -1
	v_cndmask_b32_e64 v16, 0, 1, s[6:7]
	v_lshlrev_b16_e32 v16, 8, v16
	s_xor_b64 s[6:7], s[14:15], -1
	v_lshrrev_b32_e32 v16, 8, v16
	v_mov_b32_e32 v20, 1
	s_xor_b64 s[14:15], s[42:43], -1
	v_cndmask_b32_e64 v19, 0, 1, s[6:7]
	s_xor_b64 s[6:7], s[38:39], -1
	v_and_b32_sdwa v16, v16, v20 dst_sel:BYTE_1 dst_unused:UNUSED_PAD src0_sel:DWORD src1_sel:DWORD
	v_cndmask_b32_e64 v20, 0, 1, s[14:15]
	v_cndmask_b32_e64 v17, 0, 1, s[6:7]
	s_xor_b64 s[6:7], s[44:45], -1
	v_or_b32_sdwa v16, v20, v16 dst_sel:WORD_1 dst_unused:UNUSED_PAD src0_sel:DWORD src1_sel:DWORD
	s_branch .LBB1419_108
.LBB1419_106:
                                        ; implicit-def: $sgpr6_sgpr7
                                        ; implicit-def: $vgpr19
                                        ; implicit-def: $vgpr40
                                        ; implicit-def: $vgpr17
                                        ; implicit-def: $vgpr21
                                        ; implicit-def: $vgpr42
                                        ; implicit-def: $vgpr41
                                        ; implicit-def: $vgpr20
	s_cbranch_execnz .LBB1419_115
	s_branch .LBB1419_160
.LBB1419_107:
	v_mov_b32_e32 v16, 0
	v_mov_b32_e32 v19, 0
	;; [unrolled: 1-line block ×4, first 2 shown]
.LBB1419_108:
	v_lshrrev_b32_e32 v41, 16, v16
	v_lshrrev_b32_e32 v20, 24, v16
	v_cndmask_b32_e64 v42, 0, 1, s[6:7]
	v_mov_b32_e32 v16, 1
	v_cmp_ne_u32_e32 vcc, 0, v0
	s_waitcnt lgkmcnt(0)
	s_barrier
                                        ; implicit-def: $sgpr6_sgpr7
                                        ; implicit-def: $vgpr21
	s_and_saveexec_b64 s[14:15], vcc
	s_xor_b64 s[14:15], exec, s[14:15]
	s_cbranch_execz .LBB1419_114
; %bb.109:
	v_lshlrev_b16_e32 v21, 8, v20
	s_movk_i32 s6, 0xff
	v_bitop3_b16 v21, v41, v21, s6 bitop3:0xec
	v_lshlrev_b16_e32 v22, 8, v42
	v_lshlrev_b32_e32 v21, 16, v21
	v_or_b32_e32 v22, 1, v22
	v_or_b32_sdwa v21, v22, v21 dst_sel:DWORD dst_unused:UNUSED_PAD src0_sel:WORD_0 src1_sel:DWORD
	s_mov_b32 s33, 0x3020104
	s_and_b64 vcc, exec, s[4:5]
	s_mov_b64 s[6:7], 0
	s_cbranch_vccnz .LBB1419_113
; %bb.110:
	v_add_u32_e32 v22, -8, v26
	ds_read_b64 v[22:23], v22
	v_mul_lo_u32 v27, v11, s30
	v_mul_lo_u32 v28, v10, s31
	s_add_u32 s36, s30, -1
	s_addc_u32 s37, s31, -1
	s_waitcnt lgkmcnt(0)
	v_mul_lo_u32 v24, v23, s30
	v_mul_lo_u32 v25, v22, s31
	v_mad_u64_u32 v[22:23], s[4:5], v22, s30, 0
	v_add3_u32 v23, v23, v25, v24
	v_mad_u64_u32 v[24:25], s[4:5], v10, s30, 0
	v_add3_u32 v25, v25, v28, v27
	v_lshl_add_u64 v[22:23], v[22:23], 1, s[20:21]
	v_lshl_add_u64 v[24:25], v[24:25], 1, s[20:21]
                                        ; implicit-def: $sgpr18_sgpr19
.LBB1419_111:                           ; =>This Inner Loop Header: Depth=1
	global_load_ushort v27, v[22:23], off
	global_load_ushort v28, v[24:25], off
	s_add_u32 s4, s36, -1
	s_addc_u32 s5, s37, -1
	s_cmp_eq_u64 s[36:37], 0
	s_mov_b64 s[36:37], s[4:5]
	s_cselect_b64 s[38:39], -1, 0
	v_lshl_add_u64 v[22:23], v[22:23], 0, 2
	v_lshl_add_u64 v[24:25], v[24:25], 0, 2
	s_waitcnt vmcnt(0)
	v_cmp_ne_u16_e64 s[4:5], v27, v28
	s_or_b64 s[4:5], s[4:5], s[38:39]
	s_and_b64 s[4:5], exec, s[4:5]
	v_cmp_eq_u16_e32 vcc, v27, v28
	s_or_b64 s[6:7], s[4:5], s[6:7]
	s_andn2_b64 s[4:5], s[18:19], exec
	s_and_b64 s[18:19], vcc, exec
	s_or_b64 s[18:19], s[4:5], s[18:19]
	s_andn2_b64 exec, exec, s[6:7]
	s_cbranch_execnz .LBB1419_111
; %bb.112:
	s_or_b64 exec, exec, s[6:7]
	s_xor_b64 s[6:7], s[18:19], -1
.LBB1419_113:
	v_perm_b32 v21, v21, v21, s33
	s_or_b64 s[10:11], s[10:11], exec
.LBB1419_114:
	s_or_b64 exec, exec, s[14:15]
	s_branch .LBB1419_160
.LBB1419_115:
	v_add_u32_e32 v16, 6, v1
	v_cmp_gt_u32_e32 vcc, s3, v16
	s_mov_b64 s[14:15], 0
	s_mov_b64 s[6:7], 0
	s_and_saveexec_b64 s[18:19], vcc
	s_cbranch_execz .LBB1419_121
; %bb.116:
	s_andn2_b64 vcc, exec, s[12:13]
	s_mov_b64 s[4:5], 0
	s_cbranch_vccnz .LBB1419_120
; %bb.117:
	v_mul_lo_u32 v19, v5, s30
	v_mul_lo_u32 v20, v4, s31
	v_mad_u64_u32 v[16:17], s[4:5], v4, s30, 0
	v_add3_u32 v17, v17, v20, v19
	v_mul_lo_u32 v19, v15, s30
	v_mul_lo_u32 v22, v14, s31
	v_mad_u64_u32 v[20:21], s[4:5], v14, s30, 0
	v_add3_u32 v21, v21, v22, v19
	s_add_u32 s38, s30, -1
	v_lshl_add_u64 v[16:17], v[16:17], 1, s[20:21]
	v_lshl_add_u64 v[20:21], v[20:21], 1, s[20:21]
	s_addc_u32 s39, s31, -1
                                        ; implicit-def: $sgpr36_sgpr37
.LBB1419_118:                           ; =>This Inner Loop Header: Depth=1
	global_load_ushort v19, v[16:17], off
	global_load_ushort v22, v[20:21], off
	s_add_u32 s4, s38, -1
	s_addc_u32 s5, s39, -1
	s_cmp_eq_u64 s[38:39], 0
	s_mov_b64 s[38:39], s[4:5]
	s_cselect_b64 s[40:41], -1, 0
	v_lshl_add_u64 v[16:17], v[16:17], 0, 2
	v_lshl_add_u64 v[20:21], v[20:21], 0, 2
	s_waitcnt vmcnt(0)
	v_cmp_ne_u16_e64 s[4:5], v19, v22
	s_or_b64 s[4:5], s[4:5], s[40:41]
	s_and_b64 s[4:5], exec, s[4:5]
	v_cmp_eq_u16_e32 vcc, v19, v22
	s_or_b64 s[6:7], s[4:5], s[6:7]
	s_andn2_b64 s[4:5], s[36:37], exec
	s_and_b64 s[36:37], vcc, exec
	s_or_b64 s[36:37], s[4:5], s[36:37]
	s_andn2_b64 exec, exec, s[6:7]
	s_cbranch_execnz .LBB1419_118
; %bb.119:
	s_or_b64 exec, exec, s[6:7]
	s_xor_b64 s[4:5], s[36:37], -1
.LBB1419_120:
	s_and_b64 s[6:7], s[4:5], exec
.LBB1419_121:
	s_or_b64 exec, exec, s[18:19]
	v_add_u32_e32 v16, 5, v1
	v_cmp_gt_u32_e32 vcc, s3, v16
	s_and_saveexec_b64 s[18:19], vcc
	s_cbranch_execz .LBB1419_127
; %bb.122:
	s_andn2_b64 vcc, exec, s[12:13]
	s_mov_b64 s[4:5], 0
	s_cbranch_vccnz .LBB1419_126
; %bb.123:
	v_mul_lo_u32 v19, v3, s30
	v_mul_lo_u32 v20, v2, s31
	v_mad_u64_u32 v[16:17], s[4:5], v2, s30, 0
	v_add3_u32 v17, v17, v20, v19
	v_mul_lo_u32 v19, v5, s30
	v_mul_lo_u32 v22, v4, s31
	v_mad_u64_u32 v[20:21], s[4:5], v4, s30, 0
	v_add3_u32 v21, v21, v22, v19
	s_add_u32 s38, s30, -1
	v_lshl_add_u64 v[16:17], v[16:17], 1, s[20:21]
	v_lshl_add_u64 v[20:21], v[20:21], 1, s[20:21]
	s_addc_u32 s39, s31, -1
	s_mov_b64 s[14:15], 0
                                        ; implicit-def: $sgpr36_sgpr37
.LBB1419_124:                           ; =>This Inner Loop Header: Depth=1
	global_load_ushort v19, v[16:17], off
	global_load_ushort v22, v[20:21], off
	s_add_u32 s4, s38, -1
	s_addc_u32 s5, s39, -1
	s_cmp_eq_u64 s[38:39], 0
	s_mov_b64 s[38:39], s[4:5]
	s_cselect_b64 s[40:41], -1, 0
	v_lshl_add_u64 v[16:17], v[16:17], 0, 2
	v_lshl_add_u64 v[20:21], v[20:21], 0, 2
	s_waitcnt vmcnt(0)
	v_cmp_ne_u16_e64 s[4:5], v19, v22
	s_or_b64 s[4:5], s[4:5], s[40:41]
	s_and_b64 s[4:5], exec, s[4:5]
	v_cmp_eq_u16_e32 vcc, v19, v22
	s_or_b64 s[14:15], s[4:5], s[14:15]
	s_andn2_b64 s[4:5], s[36:37], exec
	s_and_b64 s[36:37], vcc, exec
	s_or_b64 s[36:37], s[4:5], s[36:37]
	s_andn2_b64 exec, exec, s[14:15]
	s_cbranch_execnz .LBB1419_124
; %bb.125:
	s_or_b64 exec, exec, s[14:15]
	s_xor_b64 s[4:5], s[36:37], -1
.LBB1419_126:
	s_and_b64 s[14:15], s[4:5], exec
.LBB1419_127:
	s_or_b64 exec, exec, s[18:19]
	v_add_u32_e32 v16, 4, v1
	v_cmp_gt_u32_e32 vcc, s3, v16
	s_mov_b64 s[18:19], 0
	s_mov_b64 s[36:37], 0
	s_and_saveexec_b64 s[38:39], vcc
	s_cbranch_execz .LBB1419_133
; %bb.128:
	s_andn2_b64 vcc, exec, s[12:13]
	s_mov_b64 s[4:5], 0
	s_cbranch_vccnz .LBB1419_132
; %bb.129:
	v_mul_lo_u32 v19, v9, s30
	v_mul_lo_u32 v20, v8, s31
	v_mad_u64_u32 v[16:17], s[4:5], v8, s30, 0
	v_add3_u32 v17, v17, v20, v19
	v_mul_lo_u32 v19, v3, s30
	v_mul_lo_u32 v22, v2, s31
	v_mad_u64_u32 v[20:21], s[4:5], v2, s30, 0
	v_add3_u32 v21, v21, v22, v19
	s_add_u32 s42, s30, -1
	v_lshl_add_u64 v[16:17], v[16:17], 1, s[20:21]
	v_lshl_add_u64 v[20:21], v[20:21], 1, s[20:21]
	s_addc_u32 s43, s31, -1
                                        ; implicit-def: $sgpr40_sgpr41
.LBB1419_130:                           ; =>This Inner Loop Header: Depth=1
	global_load_ushort v19, v[16:17], off
	global_load_ushort v22, v[20:21], off
	s_add_u32 s4, s42, -1
	s_addc_u32 s5, s43, -1
	s_cmp_eq_u64 s[42:43], 0
	s_mov_b64 s[42:43], s[4:5]
	s_cselect_b64 s[44:45], -1, 0
	v_lshl_add_u64 v[16:17], v[16:17], 0, 2
	v_lshl_add_u64 v[20:21], v[20:21], 0, 2
	s_waitcnt vmcnt(0)
	v_cmp_ne_u16_e64 s[4:5], v19, v22
	s_or_b64 s[4:5], s[4:5], s[44:45]
	s_and_b64 s[4:5], exec, s[4:5]
	v_cmp_eq_u16_e32 vcc, v19, v22
	s_or_b64 s[36:37], s[4:5], s[36:37]
	s_andn2_b64 s[4:5], s[40:41], exec
	s_and_b64 s[40:41], vcc, exec
	s_or_b64 s[40:41], s[4:5], s[40:41]
	s_andn2_b64 exec, exec, s[36:37]
	s_cbranch_execnz .LBB1419_130
; %bb.131:
	s_or_b64 exec, exec, s[36:37]
	s_xor_b64 s[4:5], s[40:41], -1
.LBB1419_132:
	s_and_b64 s[36:37], s[4:5], exec
.LBB1419_133:
	s_or_b64 exec, exec, s[38:39]
	v_add_u32_e32 v16, 3, v1
	v_cmp_gt_u32_e32 vcc, s3, v16
	s_and_saveexec_b64 s[38:39], vcc
	s_cbranch_execz .LBB1419_139
; %bb.134:
	s_andn2_b64 vcc, exec, s[12:13]
	s_mov_b64 s[4:5], 0
	s_cbranch_vccnz .LBB1419_138
; %bb.135:
	v_mul_lo_u32 v19, v7, s30
	v_mul_lo_u32 v20, v6, s31
	v_mad_u64_u32 v[16:17], s[4:5], v6, s30, 0
	v_add3_u32 v17, v17, v20, v19
	v_mul_lo_u32 v19, v9, s30
	v_mul_lo_u32 v22, v8, s31
	v_mad_u64_u32 v[20:21], s[4:5], v8, s30, 0
	v_add3_u32 v21, v21, v22, v19
	s_add_u32 s42, s30, -1
	v_lshl_add_u64 v[16:17], v[16:17], 1, s[20:21]
	v_lshl_add_u64 v[20:21], v[20:21], 1, s[20:21]
	s_addc_u32 s43, s31, -1
	s_mov_b64 s[18:19], 0
                                        ; implicit-def: $sgpr40_sgpr41
.LBB1419_136:                           ; =>This Inner Loop Header: Depth=1
	global_load_ushort v19, v[16:17], off
	global_load_ushort v22, v[20:21], off
	s_add_u32 s4, s42, -1
	s_addc_u32 s5, s43, -1
	s_cmp_eq_u64 s[42:43], 0
	s_mov_b64 s[42:43], s[4:5]
	s_cselect_b64 s[44:45], -1, 0
	v_lshl_add_u64 v[16:17], v[16:17], 0, 2
	v_lshl_add_u64 v[20:21], v[20:21], 0, 2
	s_waitcnt vmcnt(0)
	v_cmp_ne_u16_e64 s[4:5], v19, v22
	s_or_b64 s[4:5], s[4:5], s[44:45]
	s_and_b64 s[4:5], exec, s[4:5]
	v_cmp_eq_u16_e32 vcc, v19, v22
	s_or_b64 s[18:19], s[4:5], s[18:19]
	s_andn2_b64 s[4:5], s[40:41], exec
	s_and_b64 s[40:41], vcc, exec
	s_or_b64 s[40:41], s[4:5], s[40:41]
	s_andn2_b64 exec, exec, s[18:19]
	s_cbranch_execnz .LBB1419_136
; %bb.137:
	s_or_b64 exec, exec, s[18:19]
	s_xor_b64 s[4:5], s[40:41], -1
.LBB1419_138:
	s_and_b64 s[18:19], s[4:5], exec
.LBB1419_139:
	s_or_b64 exec, exec, s[38:39]
	v_add_u32_e32 v16, 2, v1
	v_cmp_gt_u32_e32 vcc, s3, v16
	s_mov_b64 s[38:39], 0
	s_mov_b64 s[40:41], 0
	s_and_saveexec_b64 s[42:43], vcc
	s_cbranch_execz .LBB1419_145
; %bb.140:
	s_andn2_b64 vcc, exec, s[12:13]
	s_mov_b64 s[4:5], 0
	s_cbranch_vccnz .LBB1419_144
; %bb.141:
	v_mul_lo_u32 v19, v13, s30
	v_mul_lo_u32 v20, v12, s31
	v_mad_u64_u32 v[16:17], s[4:5], v12, s30, 0
	v_add3_u32 v17, v17, v20, v19
	v_mul_lo_u32 v19, v7, s30
	v_mul_lo_u32 v22, v6, s31
	v_mad_u64_u32 v[20:21], s[4:5], v6, s30, 0
	v_add3_u32 v21, v21, v22, v19
	s_add_u32 s46, s30, -1
	v_lshl_add_u64 v[16:17], v[16:17], 1, s[20:21]
	v_lshl_add_u64 v[20:21], v[20:21], 1, s[20:21]
	s_addc_u32 s47, s31, -1
                                        ; implicit-def: $sgpr44_sgpr45
.LBB1419_142:                           ; =>This Inner Loop Header: Depth=1
	global_load_ushort v19, v[16:17], off
	global_load_ushort v22, v[20:21], off
	s_add_u32 s4, s46, -1
	s_addc_u32 s5, s47, -1
	s_cmp_eq_u64 s[46:47], 0
	s_mov_b64 s[46:47], s[4:5]
	s_cselect_b64 s[48:49], -1, 0
	v_lshl_add_u64 v[16:17], v[16:17], 0, 2
	v_lshl_add_u64 v[20:21], v[20:21], 0, 2
	s_waitcnt vmcnt(0)
	v_cmp_ne_u16_e64 s[4:5], v19, v22
	s_or_b64 s[4:5], s[4:5], s[48:49]
	s_and_b64 s[4:5], exec, s[4:5]
	v_cmp_eq_u16_e32 vcc, v19, v22
	s_or_b64 s[40:41], s[4:5], s[40:41]
	s_andn2_b64 s[4:5], s[44:45], exec
	s_and_b64 s[44:45], vcc, exec
	s_or_b64 s[44:45], s[4:5], s[44:45]
	s_andn2_b64 exec, exec, s[40:41]
	s_cbranch_execnz .LBB1419_142
; %bb.143:
	s_or_b64 exec, exec, s[40:41]
	s_xor_b64 s[4:5], s[44:45], -1
.LBB1419_144:
	s_and_b64 s[40:41], s[4:5], exec
.LBB1419_145:
	s_or_b64 exec, exec, s[42:43]
	v_add_u32_e32 v16, 1, v1
	v_cmp_gt_u32_e32 vcc, s3, v16
	s_and_saveexec_b64 s[42:43], vcc
	s_cbranch_execz .LBB1419_151
; %bb.146:
	s_andn2_b64 vcc, exec, s[12:13]
	s_mov_b64 s[4:5], 0
	s_cbranch_vccnz .LBB1419_150
; %bb.147:
	v_mul_lo_u32 v19, v11, s30
	v_mul_lo_u32 v20, v10, s31
	v_mad_u64_u32 v[16:17], s[4:5], v10, s30, 0
	v_add3_u32 v17, v17, v20, v19
	v_mul_lo_u32 v19, v13, s30
	v_mul_lo_u32 v22, v12, s31
	v_mad_u64_u32 v[20:21], s[4:5], v12, s30, 0
	v_add3_u32 v21, v21, v22, v19
	s_add_u32 s46, s30, -1
	v_lshl_add_u64 v[16:17], v[16:17], 1, s[20:21]
	v_lshl_add_u64 v[20:21], v[20:21], 1, s[20:21]
	s_addc_u32 s47, s31, -1
	s_mov_b64 s[38:39], 0
                                        ; implicit-def: $sgpr44_sgpr45
.LBB1419_148:                           ; =>This Inner Loop Header: Depth=1
	global_load_ushort v19, v[16:17], off
	global_load_ushort v22, v[20:21], off
	s_add_u32 s4, s46, -1
	s_addc_u32 s5, s47, -1
	s_cmp_eq_u64 s[46:47], 0
	s_mov_b64 s[46:47], s[4:5]
	s_cselect_b64 s[48:49], -1, 0
	v_lshl_add_u64 v[16:17], v[16:17], 0, 2
	v_lshl_add_u64 v[20:21], v[20:21], 0, 2
	s_waitcnt vmcnt(0)
	v_cmp_ne_u16_e64 s[4:5], v19, v22
	s_or_b64 s[4:5], s[4:5], s[48:49]
	s_and_b64 s[4:5], exec, s[4:5]
	v_cmp_eq_u16_e32 vcc, v19, v22
	s_or_b64 s[38:39], s[4:5], s[38:39]
	s_andn2_b64 s[4:5], s[44:45], exec
	s_and_b64 s[44:45], vcc, exec
	s_or_b64 s[44:45], s[4:5], s[44:45]
	s_andn2_b64 exec, exec, s[38:39]
	s_cbranch_execnz .LBB1419_148
; %bb.149:
	s_or_b64 exec, exec, s[38:39]
	s_xor_b64 s[4:5], s[44:45], -1
.LBB1419_150:
	s_and_b64 s[38:39], s[4:5], exec
.LBB1419_151:
	s_or_b64 exec, exec, s[42:43]
	v_cndmask_b32_e64 v17, 0, 1, s[36:37]
	v_cndmask_b32_e64 v40, 0, 1, s[14:15]
	;; [unrolled: 1-line block ×6, first 2 shown]
	v_mov_b32_e32 v16, 1
	v_cmp_ne_u32_e32 vcc, 0, v0
	s_waitcnt lgkmcnt(0)
	s_barrier
                                        ; implicit-def: $sgpr6_sgpr7
                                        ; implicit-def: $vgpr21
	s_and_saveexec_b64 s[14:15], vcc
	s_cbranch_execz .LBB1419_159
; %bb.152:
	v_lshlrev_b16_e32 v21, 8, v42
	v_lshlrev_b16_e32 v22, 8, v20
	v_or_b32_e32 v21, 1, v21
	v_or_b32_sdwa v22, v41, v22 dst_sel:WORD_1 dst_unused:UNUSED_PAD src0_sel:DWORD src1_sel:DWORD
	v_cmp_gt_u32_e32 vcc, s3, v1
	v_or_b32_sdwa v21, v21, v22 dst_sel:DWORD dst_unused:UNUSED_PAD src0_sel:WORD_0 src1_sel:DWORD
	s_mov_b32 s33, 0x3020104
	s_mov_b64 s[6:7], 0
	s_and_saveexec_b64 s[18:19], vcc
	s_cbranch_execz .LBB1419_158
; %bb.153:
	s_andn2_b64 vcc, exec, s[12:13]
	s_mov_b64 s[4:5], 0
	s_cbranch_vccnz .LBB1419_157
; %bb.154:
	v_add_u32_e32 v22, -8, v26
	ds_read_b64 v[22:23], v22
	v_mul_lo_u32 v26, v11, s30
	v_mul_lo_u32 v27, v10, s31
                                        ; implicit-def: $sgpr12_sgpr13
	s_waitcnt lgkmcnt(0)
	v_mul_lo_u32 v24, v23, s30
	v_mul_lo_u32 v25, v22, s31
	v_mad_u64_u32 v[22:23], s[4:5], v22, s30, 0
	v_add3_u32 v23, v23, v25, v24
	v_mad_u64_u32 v[24:25], s[4:5], v10, s30, 0
	v_add3_u32 v25, v25, v27, v26
	v_lshl_add_u64 v[22:23], v[22:23], 1, s[20:21]
	v_lshl_add_u64 v[24:25], v[24:25], 1, s[20:21]
	s_add_u32 s20, s30, -1
	s_addc_u32 s21, s31, -1
.LBB1419_155:                           ; =>This Inner Loop Header: Depth=1
	global_load_ushort v26, v[22:23], off
	global_load_ushort v27, v[24:25], off
	s_add_u32 s4, s20, -1
	s_addc_u32 s5, s21, -1
	s_cmp_eq_u64 s[20:21], 0
	s_mov_b64 s[20:21], s[4:5]
	s_cselect_b64 s[30:31], -1, 0
	v_lshl_add_u64 v[22:23], v[22:23], 0, 2
	v_lshl_add_u64 v[24:25], v[24:25], 0, 2
	s_waitcnt vmcnt(0)
	v_cmp_ne_u16_e64 s[4:5], v26, v27
	s_or_b64 s[4:5], s[4:5], s[30:31]
	s_and_b64 s[4:5], exec, s[4:5]
	v_cmp_eq_u16_e32 vcc, v26, v27
	s_or_b64 s[6:7], s[4:5], s[6:7]
	s_andn2_b64 s[4:5], s[12:13], exec
	s_and_b64 s[12:13], vcc, exec
	s_or_b64 s[12:13], s[4:5], s[12:13]
	s_andn2_b64 exec, exec, s[6:7]
	s_cbranch_execnz .LBB1419_155
; %bb.156:
	s_or_b64 exec, exec, s[6:7]
	s_xor_b64 s[4:5], s[12:13], -1
.LBB1419_157:
	s_and_b64 s[6:7], s[4:5], exec
.LBB1419_158:
	s_or_b64 exec, exec, s[18:19]
	v_perm_b32 v21, v21, v21, s33
	s_or_b64 s[10:11], s[10:11], exec
.LBB1419_159:
	s_or_b64 exec, exec, s[14:15]
.LBB1419_160:
	s_and_saveexec_b64 s[4:5], s[10:11]
; %bb.161:
	v_lshrrev_b32_e32 v20, 24, v21
	v_lshrrev_b32_e32 v41, 16, v21
	v_lshrrev_b32_e32 v42, 8, v21
	v_cndmask_b32_e64 v16, 0, 1, s[6:7]
; %bb.162:
	s_or_b64 exec, exec, s[4:5]
	s_andn2_b64 vcc, exec, s[8:9]
	s_cbranch_vccnz .LBB1419_166
; %bb.163:
	s_mov_b32 s4, 0xc0c0004
	v_perm_b32 v20, v41, v20, s4
	v_perm_b32 v16, v16, v42, s4
	v_lshlrev_b32_e32 v20, 16, v20
	v_or_b32_e32 v16, v16, v20
	v_cmp_gt_u32_e32 vcc, s3, v1
	v_add_u32_e32 v22, 1, v1
	v_perm_b32 v17, v17, v40, s4
	v_cndmask_b32_e32 v20, v20, v16, vcc
	v_and_b32_e32 v20, 0xffff00ff, v20
	v_cmp_gt_u32_e32 vcc, s3, v22
	v_add_u32_e32 v22, 2, v1
	s_mov_b32 s4, 0x40c0100
	v_cndmask_b32_e32 v20, v20, v16, vcc
	v_lshrrev_b32_e32 v23, 24, v20
	v_and_b32_e32 v19, 0xff, v19
	v_perm_b32 v20, v23, v20, s4
	v_cmp_gt_u32_e32 vcc, s3, v22
	v_lshlrev_b32_e32 v19, 16, v19
	v_add_u32_e32 v22, 3, v1
	v_cndmask_b32_e32 v20, v20, v16, vcc
	s_mov_b32 s4, 0xffff00
	v_or_b32_e32 v21, v17, v19
	v_and_b32_e32 v20, 0xffffff, v20
	v_cmp_gt_u32_e32 vcc, s3, v22
	v_bitop3_b32 v17, v17, s4, v19 bitop3:0xc8
	v_add_u32_e32 v19, 4, v1
	v_cndmask_b32_e32 v20, v20, v16, vcc
	v_cmp_gt_u32_e32 vcc, s3, v19
	v_add_u32_e32 v19, 5, v1
	v_cmp_gt_u32_e64 s[4:5], s3, v19
	v_cndmask_b32_e32 v17, v17, v21, vcc
	v_and_b32_e32 v17, 0xffff00ff, v17
	s_or_b64 vcc, s[4:5], vcc
	v_cndmask_b32_e64 v17, v17, v21, s[4:5]
	v_cndmask_b32_e32 v16, v20, v16, vcc
	v_add_u32_e32 v1, 6, v1
	v_lshrrev_b32_e32 v41, 16, v16
	v_lshrrev_b32_e32 v42, 8, v16
	v_lshrrev_b64 v[20:21], 24, v[16:17]
	v_lshrrev_b32_e32 v19, 16, v17
	v_lshrrev_b32_e32 v40, 8, v17
	v_cmp_le_u32_e32 vcc, s3, v1
	s_and_saveexec_b64 s[4:5], vcc
; %bb.164:
	v_mov_b32_e32 v19, 0
; %bb.165:
	s_or_b64 exec, exec, s[4:5]
.LBB1419_166:
	v_and_b32_e32 v1, 0xff, v16
	v_and_b32_e32 v21, 0xff, v42
	;; [unrolled: 1-line block ×5, first 2 shown]
	v_add3_u32 v23, v21, v1, v33
	v_and_b32_e32 v39, 0xff, v40
	v_and_b32_e32 v22, 0xff, v19
	v_add3_u32 v23, v23, v35, v37
	v_add3_u32 v45, v23, v39, v22
	v_mbcnt_lo_u32_b32 v22, -1, 0
	v_mbcnt_hi_u32_b32 v43, -1, v22
	v_and_b32_e32 v22, 15, v43
	v_cmp_eq_u32_e64 s[14:15], 0, v22
	v_cmp_lt_u32_e64 s[12:13], 1, v22
	v_cmp_lt_u32_e64 s[10:11], 3, v22
	v_cmp_lt_u32_e64 s[8:9], 7, v22
	v_and_b32_e32 v22, 16, v43
	v_cmp_eq_u32_e64 s[6:7], 0, v22
	v_or_b32_e32 v22, 63, v0
	v_cmp_lt_u32_e64 s[18:19], 31, v43
	v_lshrrev_b32_e32 v44, 6, v0
	v_cmp_eq_u32_e64 s[4:5], v0, v22
	s_and_b64 vcc, exec, s[16:17]
	s_waitcnt lgkmcnt(0)
	s_barrier
	s_cbranch_vccz .LBB1419_188
; %bb.167:
	v_mov_b32_dpp v22, v45 row_shr:1 row_mask:0xf bank_mask:0xf
	v_cndmask_b32_e64 v22, v22, 0, s[14:15]
	v_add_u32_e32 v22, v22, v45
	s_nop 1
	v_mov_b32_dpp v23, v22 row_shr:2 row_mask:0xf bank_mask:0xf
	v_cndmask_b32_e64 v23, 0, v23, s[12:13]
	v_add_u32_e32 v22, v22, v23
	s_nop 1
	;; [unrolled: 4-line block ×4, first 2 shown]
	v_mov_b32_dpp v23, v22 row_bcast:15 row_mask:0xf bank_mask:0xf
	v_cndmask_b32_e64 v23, v23, 0, s[6:7]
	v_add_u32_e32 v22, v22, v23
	s_nop 1
	v_mov_b32_dpp v23, v22 row_bcast:31 row_mask:0xf bank_mask:0xf
	v_cndmask_b32_e64 v23, 0, v23, s[18:19]
	v_add_u32_e32 v22, v22, v23
	s_and_saveexec_b64 s[16:17], s[4:5]
; %bb.168:
	v_lshlrev_b32_e32 v23, 2, v44
	ds_write_b32 v23, v22
; %bb.169:
	s_or_b64 exec, exec, s[16:17]
	v_cmp_gt_u32_e32 vcc, 8, v0
	s_waitcnt lgkmcnt(0)
	s_barrier
	s_and_saveexec_b64 s[16:17], vcc
	s_cbranch_execz .LBB1419_171
; %bb.170:
	v_lshlrev_b32_e32 v23, 2, v0
	ds_read_b32 v24, v23
	v_and_b32_e32 v25, 7, v43
	v_cmp_ne_u32_e32 vcc, 0, v25
	s_waitcnt lgkmcnt(0)
	v_mov_b32_dpp v26, v24 row_shr:1 row_mask:0xf bank_mask:0xf
	v_cndmask_b32_e32 v26, 0, v26, vcc
	v_add_u32_e32 v24, v26, v24
	v_cmp_lt_u32_e32 vcc, 1, v25
	s_nop 0
	v_mov_b32_dpp v26, v24 row_shr:2 row_mask:0xf bank_mask:0xf
	v_cndmask_b32_e32 v26, 0, v26, vcc
	v_add_u32_e32 v24, v24, v26
	v_cmp_lt_u32_e32 vcc, 3, v25
	s_nop 0
	v_mov_b32_dpp v26, v24 row_shr:4 row_mask:0xf bank_mask:0xf
	v_cndmask_b32_e32 v25, 0, v26, vcc
	v_add_u32_e32 v24, v24, v25
	ds_write_b32 v23, v24
.LBB1419_171:
	s_or_b64 exec, exec, s[16:17]
	v_cmp_gt_u32_e32 vcc, 64, v0
	v_cmp_lt_u32_e64 s[16:17], 63, v0
	s_waitcnt lgkmcnt(0)
	s_barrier
                                        ; implicit-def: $vgpr32
	s_and_saveexec_b64 s[20:21], s[16:17]
	s_cbranch_execz .LBB1419_173
; %bb.172:
	v_lshl_add_u32 v23, v44, 2, -4
	ds_read_b32 v32, v23
	s_waitcnt lgkmcnt(0)
	v_add_u32_e32 v22, v32, v22
.LBB1419_173:
	s_or_b64 exec, exec, s[20:21]
	v_subrev_co_u32_e64 v23, s[16:17], 1, v43
	v_and_b32_e32 v24, 64, v43
	v_cmp_lt_i32_e64 s[20:21], v23, v24
	s_nop 1
	v_cndmask_b32_e64 v23, v23, v43, s[20:21]
	v_lshlrev_b32_e32 v23, 2, v23
	ds_bpermute_b32 v34, v23, v22
	s_and_saveexec_b64 s[20:21], vcc
	s_cbranch_execz .LBB1419_193
; %bb.174:
	v_mov_b32_e32 v29, 0
	ds_read_b32 v22, v29 offset:28
	s_and_saveexec_b64 s[30:31], s[16:17]
	s_cbranch_execz .LBB1419_176
; %bb.175:
	s_add_i32 s36, s2, 64
	s_mov_b32 s37, 0
	s_lshl_b64 s[36:37], s[36:37], 3
	s_add_u32 s36, s22, s36
	v_mov_b32_e32 v23, 1
	s_addc_u32 s37, s23, s37
	s_waitcnt lgkmcnt(0)
	global_store_dwordx2 v29, v[22:23], s[36:37] sc1
.LBB1419_176:
	s_or_b64 exec, exec, s[30:31]
	v_xad_u32 v24, v43, -1, s2
	v_add_u32_e32 v28, 64, v24
	v_lshl_add_u64 v[30:31], v[28:29], 3, s[22:23]
	global_load_dwordx2 v[26:27], v[30:31], off sc1
	s_waitcnt vmcnt(0)
	v_cmp_eq_u16_sdwa s[36:37], v27, v29 src0_sel:BYTE_0 src1_sel:DWORD
	s_and_saveexec_b64 s[30:31], s[36:37]
	s_cbranch_execz .LBB1419_180
; %bb.177:
	s_mov_b64 s[36:37], 0
	v_mov_b32_e32 v23, 0
.LBB1419_178:                           ; =>This Inner Loop Header: Depth=1
	global_load_dwordx2 v[26:27], v[30:31], off sc1
	s_waitcnt vmcnt(0)
	v_cmp_ne_u16_sdwa s[38:39], v27, v23 src0_sel:BYTE_0 src1_sel:DWORD
	s_or_b64 s[36:37], s[38:39], s[36:37]
	s_andn2_b64 exec, exec, s[36:37]
	s_cbranch_execnz .LBB1419_178
; %bb.179:
	s_or_b64 exec, exec, s[36:37]
.LBB1419_180:
	s_or_b64 exec, exec, s[30:31]
	v_and_b32_e32 v38, 63, v43
	v_mov_b32_e32 v36, 2
	v_cmp_ne_u32_e32 vcc, 63, v38
	v_cmp_eq_u16_sdwa s[30:31], v27, v36 src0_sel:BYTE_0 src1_sel:DWORD
	v_lshlrev_b64 v[28:29], v43, -1
	v_addc_co_u32_e32 v30, vcc, 0, v43, vcc
	v_and_b32_e32 v23, s31, v29
	v_lshlrev_b32_e32 v46, 2, v30
	v_or_b32_e32 v23, 0x80000000, v23
	ds_bpermute_b32 v30, v46, v26
	v_and_b32_e32 v25, s30, v28
	v_ffbl_b32_e32 v23, v23
	v_add_u32_e32 v23, 32, v23
	v_ffbl_b32_e32 v25, v25
	v_min_u32_e32 v23, v25, v23
	v_cmp_lt_u32_e32 vcc, v38, v23
	v_add_u32_e32 v48, 2, v38
	v_add_u32_e32 v50, 4, v38
	s_waitcnt lgkmcnt(0)
	v_cndmask_b32_e32 v25, 0, v30, vcc
	v_cmp_gt_u32_e32 vcc, 62, v38
	v_add_u32_e32 v25, v25, v26
	v_add_u32_e32 v52, 8, v38
	v_cndmask_b32_e64 v26, 0, 2, vcc
	v_add_lshl_u32 v47, v26, v43, 2
	ds_bpermute_b32 v26, v47, v25
	v_cmp_le_u32_e32 vcc, v48, v23
	v_add_u32_e32 v54, 16, v38
	v_add_u32_e32 v56, 32, v38
	s_waitcnt lgkmcnt(0)
	v_cndmask_b32_e32 v26, 0, v26, vcc
	v_cmp_gt_u32_e32 vcc, 60, v38
	v_add_u32_e32 v25, v25, v26
	s_nop 0
	v_cndmask_b32_e64 v26, 0, 4, vcc
	v_add_lshl_u32 v49, v26, v43, 2
	ds_bpermute_b32 v26, v49, v25
	v_cmp_le_u32_e32 vcc, v50, v23
	s_waitcnt lgkmcnt(0)
	s_nop 0
	v_cndmask_b32_e32 v26, 0, v26, vcc
	v_cmp_gt_u32_e32 vcc, 56, v38
	v_add_u32_e32 v25, v25, v26
	s_nop 0
	v_cndmask_b32_e64 v26, 0, 8, vcc
	v_add_lshl_u32 v51, v26, v43, 2
	ds_bpermute_b32 v26, v51, v25
	v_cmp_le_u32_e32 vcc, v52, v23
	s_waitcnt lgkmcnt(0)
	s_nop 0
	;; [unrolled: 10-line block ×3, first 2 shown]
	v_cndmask_b32_e32 v26, 0, v26, vcc
	v_add_u32_e32 v25, v25, v26
	v_mov_b32_e32 v26, 0x80
	v_lshl_or_b32 v55, v43, 2, v26
	ds_bpermute_b32 v26, v55, v25
	v_cmp_le_u32_e32 vcc, v56, v23
	s_waitcnt lgkmcnt(0)
	s_nop 0
	v_cndmask_b32_e32 v23, 0, v26, vcc
	v_add_u32_e32 v26, v25, v23
	v_mov_b32_e32 v25, 0
	s_branch .LBB1419_183
.LBB1419_181:                           ;   in Loop: Header=BB1419_183 Depth=1
	s_or_b64 exec, exec, s[30:31]
	v_cmp_eq_u16_sdwa s[30:31], v27, v36 src0_sel:BYTE_0 src1_sel:DWORD
	ds_bpermute_b32 v57, v46, v26
	v_subrev_u32_e32 v24, 64, v24
	v_and_b32_e32 v30, s31, v29
	v_or_b32_e32 v30, 0x80000000, v30
	v_and_b32_e32 v31, s30, v28
	v_ffbl_b32_e32 v30, v30
	v_add_u32_e32 v30, 32, v30
	v_ffbl_b32_e32 v31, v31
	v_min_u32_e32 v30, v31, v30
	v_cmp_lt_u32_e32 vcc, v38, v30
	s_mov_b64 s[30:31], 0
	s_waitcnt lgkmcnt(0)
	v_cndmask_b32_e32 v31, 0, v57, vcc
	v_add_u32_e32 v26, v31, v26
	ds_bpermute_b32 v31, v47, v26
	v_cmp_le_u32_e32 vcc, v48, v30
	s_waitcnt lgkmcnt(0)
	s_nop 0
	v_cndmask_b32_e32 v31, 0, v31, vcc
	v_add_u32_e32 v26, v26, v31
	ds_bpermute_b32 v31, v49, v26
	v_cmp_le_u32_e32 vcc, v50, v30
	s_waitcnt lgkmcnt(0)
	s_nop 0
	;; [unrolled: 6-line block ×5, first 2 shown]
	v_cndmask_b32_e32 v30, 0, v31, vcc
	v_add3_u32 v26, v30, v23, v26
.LBB1419_182:                           ;   in Loop: Header=BB1419_183 Depth=1
	s_and_b64 vcc, exec, s[30:31]
	s_cbranch_vccnz .LBB1419_189
.LBB1419_183:                           ; =>This Loop Header: Depth=1
                                        ;     Child Loop BB1419_186 Depth 2
	v_cmp_ne_u16_sdwa s[30:31], v27, v36 src0_sel:BYTE_0 src1_sel:DWORD
	v_mov_b32_e32 v23, v26
	s_cmp_lg_u64 s[30:31], exec
	s_mov_b64 s[30:31], -1
                                        ; implicit-def: $vgpr26
                                        ; implicit-def: $vgpr27
	s_cbranch_scc1 .LBB1419_182
; %bb.184:                              ;   in Loop: Header=BB1419_183 Depth=1
	v_lshl_add_u64 v[30:31], v[24:25], 3, s[22:23]
	global_load_dwordx2 v[26:27], v[30:31], off sc1
	s_waitcnt vmcnt(0)
	v_cmp_eq_u16_sdwa s[36:37], v27, v25 src0_sel:BYTE_0 src1_sel:DWORD
	s_and_saveexec_b64 s[30:31], s[36:37]
	s_cbranch_execz .LBB1419_181
; %bb.185:                              ;   in Loop: Header=BB1419_183 Depth=1
	s_mov_b64 s[36:37], 0
.LBB1419_186:                           ;   Parent Loop BB1419_183 Depth=1
                                        ; =>  This Inner Loop Header: Depth=2
	global_load_dwordx2 v[26:27], v[30:31], off sc1
	s_waitcnt vmcnt(0)
	v_cmp_ne_u16_sdwa s[38:39], v27, v25 src0_sel:BYTE_0 src1_sel:DWORD
	s_or_b64 s[36:37], s[38:39], s[36:37]
	s_andn2_b64 exec, exec, s[36:37]
	s_cbranch_execnz .LBB1419_186
; %bb.187:                              ;   in Loop: Header=BB1419_183 Depth=1
	s_or_b64 exec, exec, s[36:37]
	s_branch .LBB1419_181
.LBB1419_188:
                                        ; implicit-def: $vgpr26
                                        ; implicit-def: $vgpr28
                                        ; implicit-def: $vgpr30
                                        ; implicit-def: $vgpr32
                                        ; implicit-def: $vgpr34
                                        ; implicit-def: $vgpr36
                                        ; implicit-def: $vgpr38
                                        ; implicit-def: $vgpr24
                                        ; implicit-def: $vgpr22
	s_load_dwordx2 s[2:3], s[0:1], 0x28
	s_cbranch_execnz .LBB1419_194
	s_branch .LBB1419_203
.LBB1419_189:
	s_and_saveexec_b64 s[30:31], s[16:17]
	s_cbranch_execz .LBB1419_191
; %bb.190:
	s_add_i32 s2, s2, 64
	s_mov_b32 s3, 0
	s_lshl_b64 s[2:3], s[2:3], 3
	s_add_u32 s2, s22, s2
	v_add_u32_e32 v24, v23, v22
	v_mov_b32_e32 v25, 2
	s_addc_u32 s3, s23, s3
	v_mov_b32_e32 v26, 0
	global_store_dwordx2 v26, v[24:25], s[2:3] sc1
	ds_write_b64 v26, v[22:23] offset:28672
.LBB1419_191:
	s_or_b64 exec, exec, s[30:31]
	v_cmp_eq_u32_e32 vcc, 0, v0
	s_and_b64 exec, exec, vcc
; %bb.192:
	v_mov_b32_e32 v22, 0
	ds_write_b32 v22, v23 offset:28
.LBB1419_193:
	s_or_b64 exec, exec, s[20:21]
	v_mov_b32_e32 v22, 0
	s_waitcnt lgkmcnt(0)
	s_barrier
	ds_read_b32 v23, v22 offset:28
	v_cndmask_b32_e64 v24, v34, v32, s[16:17]
	v_cmp_ne_u32_e32 vcc, 0, v0
	s_waitcnt lgkmcnt(0)
	s_barrier
	v_cndmask_b32_e32 v24, 0, v24, vcc
	v_add_u32_e32 v38, v23, v24
	v_add_u32_e32 v36, v38, v1
	ds_read_b64 v[22:23], v22 offset:28672
	v_add_u32_e32 v34, v36, v21
	v_add_u32_e32 v32, v34, v33
	;; [unrolled: 1-line block ×5, first 2 shown]
	s_waitcnt lgkmcnt(0)
	v_mov_b32_e32 v24, v23
	s_load_dwordx2 s[2:3], s[0:1], 0x28
	s_branch .LBB1419_203
.LBB1419_194:
	v_mov_b32_dpp v22, v45 row_shr:1 row_mask:0xf bank_mask:0xf
	v_cndmask_b32_e64 v22, v22, 0, s[14:15]
	v_add_u32_e32 v22, v22, v45
	s_nop 1
	v_mov_b32_dpp v23, v22 row_shr:2 row_mask:0xf bank_mask:0xf
	v_cndmask_b32_e64 v23, 0, v23, s[12:13]
	v_add_u32_e32 v22, v22, v23
	s_nop 1
	;; [unrolled: 4-line block ×4, first 2 shown]
	v_mov_b32_dpp v23, v22 row_bcast:15 row_mask:0xf bank_mask:0xf
	v_cndmask_b32_e64 v23, v23, 0, s[6:7]
	v_add_u32_e32 v22, v22, v23
	s_nop 1
	v_mov_b32_dpp v23, v22 row_bcast:31 row_mask:0xf bank_mask:0xf
	v_cndmask_b32_e64 v23, 0, v23, s[18:19]
	v_add_u32_e32 v22, v22, v23
	s_and_saveexec_b64 s[0:1], s[4:5]
; %bb.195:
	v_lshlrev_b32_e32 v23, 2, v44
	ds_write_b32 v23, v22
; %bb.196:
	s_or_b64 exec, exec, s[0:1]
	v_cmp_gt_u32_e32 vcc, 8, v0
	s_waitcnt lgkmcnt(0)
	s_barrier
	s_and_saveexec_b64 s[0:1], vcc
	s_cbranch_execz .LBB1419_198
; %bb.197:
	v_lshlrev_b32_e32 v23, 2, v0
	ds_read_b32 v24, v23
	v_and_b32_e32 v25, 7, v43
	v_cmp_ne_u32_e32 vcc, 0, v25
	s_waitcnt lgkmcnt(0)
	v_mov_b32_dpp v26, v24 row_shr:1 row_mask:0xf bank_mask:0xf
	v_cndmask_b32_e32 v26, 0, v26, vcc
	v_add_u32_e32 v24, v26, v24
	v_cmp_lt_u32_e32 vcc, 1, v25
	s_nop 0
	v_mov_b32_dpp v26, v24 row_shr:2 row_mask:0xf bank_mask:0xf
	v_cndmask_b32_e32 v26, 0, v26, vcc
	v_add_u32_e32 v24, v24, v26
	v_cmp_lt_u32_e32 vcc, 3, v25
	s_nop 0
	v_mov_b32_dpp v26, v24 row_shr:4 row_mask:0xf bank_mask:0xf
	v_cndmask_b32_e32 v25, 0, v26, vcc
	v_add_u32_e32 v24, v24, v25
	ds_write_b32 v23, v24
.LBB1419_198:
	s_or_b64 exec, exec, s[0:1]
	v_cmp_lt_u32_e32 vcc, 63, v0
	v_mov_b32_e32 v23, 0
	v_mov_b32_e32 v24, 0
	s_waitcnt lgkmcnt(0)
	s_barrier
	s_and_saveexec_b64 s[0:1], vcc
; %bb.199:
	v_lshl_add_u32 v24, v44, 2, -4
	ds_read_b32 v24, v24
; %bb.200:
	s_or_b64 exec, exec, s[0:1]
	v_subrev_co_u32_e32 v25, vcc, 1, v43
	v_and_b32_e32 v26, 64, v43
	v_cmp_lt_i32_e64 s[0:1], v25, v26
	s_waitcnt lgkmcnt(0)
	v_add_u32_e32 v22, v24, v22
	v_cndmask_b32_e64 v25, v25, v43, s[0:1]
	v_lshlrev_b32_e32 v25, 2, v25
	ds_bpermute_b32 v25, v25, v22
	ds_read_b32 v22, v23 offset:28
	v_cmp_eq_u32_e64 s[0:1], 0, v0
	s_and_saveexec_b64 s[4:5], s[0:1]
	s_cbranch_execz .LBB1419_202
; %bb.201:
	v_mov_b32_e32 v26, 0
	v_mov_b32_e32 v23, 2
	s_waitcnt lgkmcnt(0)
	global_store_dwordx2 v26, v[22:23], s[22:23] offset:512 sc1
.LBB1419_202:
	s_or_b64 exec, exec, s[4:5]
	s_waitcnt lgkmcnt(1)
	v_cndmask_b32_e32 v23, v25, v24, vcc
	v_cndmask_b32_e64 v38, v23, 0, s[0:1]
	v_add_u32_e32 v36, v38, v1
	v_add_u32_e32 v34, v36, v21
	;; [unrolled: 1-line block ×6, first 2 shown]
	s_waitcnt lgkmcnt(0)
	s_barrier
	v_mov_b32_e32 v24, 0
.LBB1419_203:
	s_movk_i32 s0, 0x201
	v_cmp_gt_u32_e32 vcc, s0, v22
	v_and_b32_e32 v1, 1, v16
	s_mov_b64 s[4:5], -1
	v_cmp_eq_u32_e64 s[0:1], 1, v1
	s_cbranch_vccnz .LBB1419_207
; %bb.204:
	s_and_b64 vcc, exec, s[4:5]
	s_cbranch_vccnz .LBB1419_222
.LBB1419_205:
	v_cmp_eq_u32_e32 vcc, 0, v0
	s_and_b64 s[0:1], vcc, s[28:29]
	s_waitcnt lgkmcnt(0)
	s_and_saveexec_b64 s[2:3], s[0:1]
	s_cbranch_execnz .LBB1419_239
.LBB1419_206:
	s_endpgm
.LBB1419_207:
	v_add_u32_e32 v16, v24, v22
	v_cmp_lt_u32_e32 vcc, v38, v16
	s_or_b64 s[4:5], s[34:35], vcc
	s_and_b64 s[4:5], s[4:5], s[0:1]
	s_and_saveexec_b64 s[0:1], s[4:5]
	s_cbranch_execz .LBB1419_209
; %bb.208:
	s_lshl_b64 s[4:5], s[26:27], 3
	s_waitcnt lgkmcnt(0)
	s_add_u32 s4, s2, s4
	s_addc_u32 s5, s3, s5
	v_mov_b32_e32 v39, 0
	v_lshl_add_u64 v[44:45], v[38:39], 3, s[4:5]
	global_store_dwordx2 v[44:45], v[10:11], off
.LBB1419_209:
	s_or_b64 exec, exec, s[0:1]
	v_cmp_lt_u32_e32 vcc, v36, v16
	v_and_b32_e32 v21, 1, v42
	s_or_b64 s[0:1], s[34:35], vcc
	v_cmp_eq_u32_e32 vcc, 1, v21
	s_and_b64 s[4:5], s[0:1], vcc
	s_and_saveexec_b64 s[0:1], s[4:5]
	s_cbranch_execz .LBB1419_211
; %bb.210:
	s_lshl_b64 s[4:5], s[26:27], 3
	s_waitcnt lgkmcnt(0)
	s_add_u32 s4, s2, s4
	s_addc_u32 s5, s3, s5
	v_mov_b32_e32 v37, 0
	v_lshl_add_u64 v[44:45], v[36:37], 3, s[4:5]
	global_store_dwordx2 v[44:45], v[12:13], off
.LBB1419_211:
	s_or_b64 exec, exec, s[0:1]
	v_cmp_lt_u32_e32 vcc, v34, v16
	v_and_b32_e32 v21, 1, v41
	s_or_b64 s[0:1], s[34:35], vcc
	v_cmp_eq_u32_e32 vcc, 1, v21
	s_and_b64 s[4:5], s[0:1], vcc
	;; [unrolled: 17-line block ×6, first 2 shown]
	s_and_saveexec_b64 s[0:1], s[4:5]
	s_cbranch_execz .LBB1419_221
; %bb.220:
	s_lshl_b64 s[4:5], s[26:27], 3
	s_waitcnt lgkmcnt(0)
	s_add_u32 s4, s2, s4
	s_addc_u32 s5, s3, s5
	v_mov_b32_e32 v27, 0
	v_lshl_add_u64 v[44:45], v[26:27], 3, s[4:5]
	global_store_dwordx2 v[44:45], v[14:15], off
.LBB1419_221:
	s_or_b64 exec, exec, s[0:1]
	s_branch .LBB1419_205
.LBB1419_222:
	v_cmp_eq_u32_e32 vcc, 1, v1
	s_and_saveexec_b64 s[0:1], vcc
; %bb.223:
	v_sub_u32_e32 v1, v38, v24
	v_lshlrev_b32_e32 v1, 3, v1
	ds_write_b64 v1, v[10:11]
; %bb.224:
	s_or_b64 exec, exec, s[0:1]
	v_and_b32_e32 v1, 1, v42
	v_cmp_eq_u32_e32 vcc, 1, v1
	s_and_saveexec_b64 s[0:1], vcc
; %bb.225:
	v_sub_u32_e32 v1, v36, v24
	v_lshlrev_b32_e32 v1, 3, v1
	ds_write_b64 v1, v[12:13]
; %bb.226:
	s_or_b64 exec, exec, s[0:1]
	v_and_b32_e32 v1, 1, v41
	;; [unrolled: 9-line block ×6, first 2 shown]
	v_cmp_eq_u32_e32 vcc, 1, v1
	s_and_saveexec_b64 s[0:1], vcc
; %bb.235:
	v_sub_u32_e32 v1, v26, v24
	v_lshlrev_b32_e32 v1, 3, v1
	ds_write_b64 v1, v[14:15]
; %bb.236:
	s_or_b64 exec, exec, s[0:1]
	v_mov_b32_e32 v25, 0
	s_lshl_b64 s[0:1], s[26:27], 3
	v_lshlrev_b64 v[2:3], 3, v[24:25]
	v_lshl_add_u64 v[2:3], s[0:1], 0, v[2:3]
	v_mov_b32_e32 v19, v25
	s_waitcnt lgkmcnt(0)
	v_lshl_add_u64 v[2:3], s[2:3], 0, v[2:3]
	v_lshl_add_u64 v[2:3], v[2:3], 0, v[18:19]
	s_mov_b64 s[0:1], 0
	s_mov_b64 s[2:3], 0x1000
	v_mov_b32_e32 v1, v0
	s_barrier
.LBB1419_237:                           ; =>This Inner Loop Header: Depth=1
	ds_read_b64 v[4:5], v18
	v_add_u32_e32 v1, 0x200, v1
	v_cmp_ge_u32_e32 vcc, v1, v22
	v_add_u32_e32 v18, 0x1000, v18
	s_or_b64 s[0:1], vcc, s[0:1]
	s_waitcnt lgkmcnt(0)
	global_store_dwordx2 v[2:3], v[4:5], off
	v_lshl_add_u64 v[2:3], v[2:3], 0, s[2:3]
	s_andn2_b64 exec, exec, s[0:1]
	s_cbranch_execnz .LBB1419_237
; %bb.238:
	s_or_b64 exec, exec, s[0:1]
	v_cmp_eq_u32_e32 vcc, 0, v0
	s_and_b64 s[0:1], vcc, s[28:29]
	s_and_saveexec_b64 s[2:3], s[0:1]
	s_cbranch_execz .LBB1419_206
.LBB1419_239:
	v_mov_b32_e32 v23, 0
	v_lshl_add_u64 v[0:1], s[26:27], 0, v[22:23]
	v_mov_b32_e32 v25, v23
	v_lshl_add_u64 v[0:1], v[0:1], 0, v[24:25]
	global_store_dwordx2 v23, v[0:1], s[24:25]
	s_endpgm
	.section	.rodata,"a",@progbits
	.p2align	6, 0x0
	.amdhsa_kernel _ZN7rocprim17ROCPRIM_400000_NS6detail17trampoline_kernelINS0_14default_configENS1_25partition_config_selectorILNS1_17partition_subalgoE8ElNS0_10empty_typeEbEEZZNS1_14partition_implILS5_8ELb0ES3_jPlPS6_PKS6_NS0_5tupleIJS9_S6_EEENSD_IJSA_SA_EEENS0_18inequality_wrapperIZN2at6native12_GLOBAL__N_124unique_dim_cuda_templateItEESt5tupleIJNSH_6TensorESM_SM_EERKSM_lbbbEUlllE0_EEPmJS6_EEE10hipError_tPvRmT3_T4_T5_T6_T7_T9_mT8_P12ihipStream_tbDpT10_ENKUlT_T0_E_clISt17integral_constantIbLb0EES1C_EEDaS17_S18_EUlS17_E_NS1_11comp_targetILNS1_3genE0ELNS1_11target_archE4294967295ELNS1_3gpuE0ELNS1_3repE0EEENS1_30default_config_static_selectorELNS0_4arch9wavefront6targetE1EEEvT1_
		.amdhsa_group_segment_fixed_size 28680
		.amdhsa_private_segment_fixed_size 0
		.amdhsa_kernarg_size 120
		.amdhsa_user_sgpr_count 2
		.amdhsa_user_sgpr_dispatch_ptr 0
		.amdhsa_user_sgpr_queue_ptr 0
		.amdhsa_user_sgpr_kernarg_segment_ptr 1
		.amdhsa_user_sgpr_dispatch_id 0
		.amdhsa_user_sgpr_kernarg_preload_length 0
		.amdhsa_user_sgpr_kernarg_preload_offset 0
		.amdhsa_user_sgpr_private_segment_size 0
		.amdhsa_uses_dynamic_stack 0
		.amdhsa_enable_private_segment 0
		.amdhsa_system_sgpr_workgroup_id_x 1
		.amdhsa_system_sgpr_workgroup_id_y 0
		.amdhsa_system_sgpr_workgroup_id_z 0
		.amdhsa_system_sgpr_workgroup_info 0
		.amdhsa_system_vgpr_workitem_id 0
		.amdhsa_next_free_vgpr 58
		.amdhsa_next_free_sgpr 50
		.amdhsa_accum_offset 60
		.amdhsa_reserve_vcc 1
		.amdhsa_float_round_mode_32 0
		.amdhsa_float_round_mode_16_64 0
		.amdhsa_float_denorm_mode_32 3
		.amdhsa_float_denorm_mode_16_64 3
		.amdhsa_dx10_clamp 1
		.amdhsa_ieee_mode 1
		.amdhsa_fp16_overflow 0
		.amdhsa_tg_split 0
		.amdhsa_exception_fp_ieee_invalid_op 0
		.amdhsa_exception_fp_denorm_src 0
		.amdhsa_exception_fp_ieee_div_zero 0
		.amdhsa_exception_fp_ieee_overflow 0
		.amdhsa_exception_fp_ieee_underflow 0
		.amdhsa_exception_fp_ieee_inexact 0
		.amdhsa_exception_int_div_zero 0
	.end_amdhsa_kernel
	.section	.text._ZN7rocprim17ROCPRIM_400000_NS6detail17trampoline_kernelINS0_14default_configENS1_25partition_config_selectorILNS1_17partition_subalgoE8ElNS0_10empty_typeEbEEZZNS1_14partition_implILS5_8ELb0ES3_jPlPS6_PKS6_NS0_5tupleIJS9_S6_EEENSD_IJSA_SA_EEENS0_18inequality_wrapperIZN2at6native12_GLOBAL__N_124unique_dim_cuda_templateItEESt5tupleIJNSH_6TensorESM_SM_EERKSM_lbbbEUlllE0_EEPmJS6_EEE10hipError_tPvRmT3_T4_T5_T6_T7_T9_mT8_P12ihipStream_tbDpT10_ENKUlT_T0_E_clISt17integral_constantIbLb0EES1C_EEDaS17_S18_EUlS17_E_NS1_11comp_targetILNS1_3genE0ELNS1_11target_archE4294967295ELNS1_3gpuE0ELNS1_3repE0EEENS1_30default_config_static_selectorELNS0_4arch9wavefront6targetE1EEEvT1_,"axG",@progbits,_ZN7rocprim17ROCPRIM_400000_NS6detail17trampoline_kernelINS0_14default_configENS1_25partition_config_selectorILNS1_17partition_subalgoE8ElNS0_10empty_typeEbEEZZNS1_14partition_implILS5_8ELb0ES3_jPlPS6_PKS6_NS0_5tupleIJS9_S6_EEENSD_IJSA_SA_EEENS0_18inequality_wrapperIZN2at6native12_GLOBAL__N_124unique_dim_cuda_templateItEESt5tupleIJNSH_6TensorESM_SM_EERKSM_lbbbEUlllE0_EEPmJS6_EEE10hipError_tPvRmT3_T4_T5_T6_T7_T9_mT8_P12ihipStream_tbDpT10_ENKUlT_T0_E_clISt17integral_constantIbLb0EES1C_EEDaS17_S18_EUlS17_E_NS1_11comp_targetILNS1_3genE0ELNS1_11target_archE4294967295ELNS1_3gpuE0ELNS1_3repE0EEENS1_30default_config_static_selectorELNS0_4arch9wavefront6targetE1EEEvT1_,comdat
.Lfunc_end1419:
	.size	_ZN7rocprim17ROCPRIM_400000_NS6detail17trampoline_kernelINS0_14default_configENS1_25partition_config_selectorILNS1_17partition_subalgoE8ElNS0_10empty_typeEbEEZZNS1_14partition_implILS5_8ELb0ES3_jPlPS6_PKS6_NS0_5tupleIJS9_S6_EEENSD_IJSA_SA_EEENS0_18inequality_wrapperIZN2at6native12_GLOBAL__N_124unique_dim_cuda_templateItEESt5tupleIJNSH_6TensorESM_SM_EERKSM_lbbbEUlllE0_EEPmJS6_EEE10hipError_tPvRmT3_T4_T5_T6_T7_T9_mT8_P12ihipStream_tbDpT10_ENKUlT_T0_E_clISt17integral_constantIbLb0EES1C_EEDaS17_S18_EUlS17_E_NS1_11comp_targetILNS1_3genE0ELNS1_11target_archE4294967295ELNS1_3gpuE0ELNS1_3repE0EEENS1_30default_config_static_selectorELNS0_4arch9wavefront6targetE1EEEvT1_, .Lfunc_end1419-_ZN7rocprim17ROCPRIM_400000_NS6detail17trampoline_kernelINS0_14default_configENS1_25partition_config_selectorILNS1_17partition_subalgoE8ElNS0_10empty_typeEbEEZZNS1_14partition_implILS5_8ELb0ES3_jPlPS6_PKS6_NS0_5tupleIJS9_S6_EEENSD_IJSA_SA_EEENS0_18inequality_wrapperIZN2at6native12_GLOBAL__N_124unique_dim_cuda_templateItEESt5tupleIJNSH_6TensorESM_SM_EERKSM_lbbbEUlllE0_EEPmJS6_EEE10hipError_tPvRmT3_T4_T5_T6_T7_T9_mT8_P12ihipStream_tbDpT10_ENKUlT_T0_E_clISt17integral_constantIbLb0EES1C_EEDaS17_S18_EUlS17_E_NS1_11comp_targetILNS1_3genE0ELNS1_11target_archE4294967295ELNS1_3gpuE0ELNS1_3repE0EEENS1_30default_config_static_selectorELNS0_4arch9wavefront6targetE1EEEvT1_
                                        ; -- End function
	.set _ZN7rocprim17ROCPRIM_400000_NS6detail17trampoline_kernelINS0_14default_configENS1_25partition_config_selectorILNS1_17partition_subalgoE8ElNS0_10empty_typeEbEEZZNS1_14partition_implILS5_8ELb0ES3_jPlPS6_PKS6_NS0_5tupleIJS9_S6_EEENSD_IJSA_SA_EEENS0_18inequality_wrapperIZN2at6native12_GLOBAL__N_124unique_dim_cuda_templateItEESt5tupleIJNSH_6TensorESM_SM_EERKSM_lbbbEUlllE0_EEPmJS6_EEE10hipError_tPvRmT3_T4_T5_T6_T7_T9_mT8_P12ihipStream_tbDpT10_ENKUlT_T0_E_clISt17integral_constantIbLb0EES1C_EEDaS17_S18_EUlS17_E_NS1_11comp_targetILNS1_3genE0ELNS1_11target_archE4294967295ELNS1_3gpuE0ELNS1_3repE0EEENS1_30default_config_static_selectorELNS0_4arch9wavefront6targetE1EEEvT1_.num_vgpr, 58
	.set _ZN7rocprim17ROCPRIM_400000_NS6detail17trampoline_kernelINS0_14default_configENS1_25partition_config_selectorILNS1_17partition_subalgoE8ElNS0_10empty_typeEbEEZZNS1_14partition_implILS5_8ELb0ES3_jPlPS6_PKS6_NS0_5tupleIJS9_S6_EEENSD_IJSA_SA_EEENS0_18inequality_wrapperIZN2at6native12_GLOBAL__N_124unique_dim_cuda_templateItEESt5tupleIJNSH_6TensorESM_SM_EERKSM_lbbbEUlllE0_EEPmJS6_EEE10hipError_tPvRmT3_T4_T5_T6_T7_T9_mT8_P12ihipStream_tbDpT10_ENKUlT_T0_E_clISt17integral_constantIbLb0EES1C_EEDaS17_S18_EUlS17_E_NS1_11comp_targetILNS1_3genE0ELNS1_11target_archE4294967295ELNS1_3gpuE0ELNS1_3repE0EEENS1_30default_config_static_selectorELNS0_4arch9wavefront6targetE1EEEvT1_.num_agpr, 0
	.set _ZN7rocprim17ROCPRIM_400000_NS6detail17trampoline_kernelINS0_14default_configENS1_25partition_config_selectorILNS1_17partition_subalgoE8ElNS0_10empty_typeEbEEZZNS1_14partition_implILS5_8ELb0ES3_jPlPS6_PKS6_NS0_5tupleIJS9_S6_EEENSD_IJSA_SA_EEENS0_18inequality_wrapperIZN2at6native12_GLOBAL__N_124unique_dim_cuda_templateItEESt5tupleIJNSH_6TensorESM_SM_EERKSM_lbbbEUlllE0_EEPmJS6_EEE10hipError_tPvRmT3_T4_T5_T6_T7_T9_mT8_P12ihipStream_tbDpT10_ENKUlT_T0_E_clISt17integral_constantIbLb0EES1C_EEDaS17_S18_EUlS17_E_NS1_11comp_targetILNS1_3genE0ELNS1_11target_archE4294967295ELNS1_3gpuE0ELNS1_3repE0EEENS1_30default_config_static_selectorELNS0_4arch9wavefront6targetE1EEEvT1_.numbered_sgpr, 50
	.set _ZN7rocprim17ROCPRIM_400000_NS6detail17trampoline_kernelINS0_14default_configENS1_25partition_config_selectorILNS1_17partition_subalgoE8ElNS0_10empty_typeEbEEZZNS1_14partition_implILS5_8ELb0ES3_jPlPS6_PKS6_NS0_5tupleIJS9_S6_EEENSD_IJSA_SA_EEENS0_18inequality_wrapperIZN2at6native12_GLOBAL__N_124unique_dim_cuda_templateItEESt5tupleIJNSH_6TensorESM_SM_EERKSM_lbbbEUlllE0_EEPmJS6_EEE10hipError_tPvRmT3_T4_T5_T6_T7_T9_mT8_P12ihipStream_tbDpT10_ENKUlT_T0_E_clISt17integral_constantIbLb0EES1C_EEDaS17_S18_EUlS17_E_NS1_11comp_targetILNS1_3genE0ELNS1_11target_archE4294967295ELNS1_3gpuE0ELNS1_3repE0EEENS1_30default_config_static_selectorELNS0_4arch9wavefront6targetE1EEEvT1_.num_named_barrier, 0
	.set _ZN7rocprim17ROCPRIM_400000_NS6detail17trampoline_kernelINS0_14default_configENS1_25partition_config_selectorILNS1_17partition_subalgoE8ElNS0_10empty_typeEbEEZZNS1_14partition_implILS5_8ELb0ES3_jPlPS6_PKS6_NS0_5tupleIJS9_S6_EEENSD_IJSA_SA_EEENS0_18inequality_wrapperIZN2at6native12_GLOBAL__N_124unique_dim_cuda_templateItEESt5tupleIJNSH_6TensorESM_SM_EERKSM_lbbbEUlllE0_EEPmJS6_EEE10hipError_tPvRmT3_T4_T5_T6_T7_T9_mT8_P12ihipStream_tbDpT10_ENKUlT_T0_E_clISt17integral_constantIbLb0EES1C_EEDaS17_S18_EUlS17_E_NS1_11comp_targetILNS1_3genE0ELNS1_11target_archE4294967295ELNS1_3gpuE0ELNS1_3repE0EEENS1_30default_config_static_selectorELNS0_4arch9wavefront6targetE1EEEvT1_.private_seg_size, 0
	.set _ZN7rocprim17ROCPRIM_400000_NS6detail17trampoline_kernelINS0_14default_configENS1_25partition_config_selectorILNS1_17partition_subalgoE8ElNS0_10empty_typeEbEEZZNS1_14partition_implILS5_8ELb0ES3_jPlPS6_PKS6_NS0_5tupleIJS9_S6_EEENSD_IJSA_SA_EEENS0_18inequality_wrapperIZN2at6native12_GLOBAL__N_124unique_dim_cuda_templateItEESt5tupleIJNSH_6TensorESM_SM_EERKSM_lbbbEUlllE0_EEPmJS6_EEE10hipError_tPvRmT3_T4_T5_T6_T7_T9_mT8_P12ihipStream_tbDpT10_ENKUlT_T0_E_clISt17integral_constantIbLb0EES1C_EEDaS17_S18_EUlS17_E_NS1_11comp_targetILNS1_3genE0ELNS1_11target_archE4294967295ELNS1_3gpuE0ELNS1_3repE0EEENS1_30default_config_static_selectorELNS0_4arch9wavefront6targetE1EEEvT1_.uses_vcc, 1
	.set _ZN7rocprim17ROCPRIM_400000_NS6detail17trampoline_kernelINS0_14default_configENS1_25partition_config_selectorILNS1_17partition_subalgoE8ElNS0_10empty_typeEbEEZZNS1_14partition_implILS5_8ELb0ES3_jPlPS6_PKS6_NS0_5tupleIJS9_S6_EEENSD_IJSA_SA_EEENS0_18inequality_wrapperIZN2at6native12_GLOBAL__N_124unique_dim_cuda_templateItEESt5tupleIJNSH_6TensorESM_SM_EERKSM_lbbbEUlllE0_EEPmJS6_EEE10hipError_tPvRmT3_T4_T5_T6_T7_T9_mT8_P12ihipStream_tbDpT10_ENKUlT_T0_E_clISt17integral_constantIbLb0EES1C_EEDaS17_S18_EUlS17_E_NS1_11comp_targetILNS1_3genE0ELNS1_11target_archE4294967295ELNS1_3gpuE0ELNS1_3repE0EEENS1_30default_config_static_selectorELNS0_4arch9wavefront6targetE1EEEvT1_.uses_flat_scratch, 0
	.set _ZN7rocprim17ROCPRIM_400000_NS6detail17trampoline_kernelINS0_14default_configENS1_25partition_config_selectorILNS1_17partition_subalgoE8ElNS0_10empty_typeEbEEZZNS1_14partition_implILS5_8ELb0ES3_jPlPS6_PKS6_NS0_5tupleIJS9_S6_EEENSD_IJSA_SA_EEENS0_18inequality_wrapperIZN2at6native12_GLOBAL__N_124unique_dim_cuda_templateItEESt5tupleIJNSH_6TensorESM_SM_EERKSM_lbbbEUlllE0_EEPmJS6_EEE10hipError_tPvRmT3_T4_T5_T6_T7_T9_mT8_P12ihipStream_tbDpT10_ENKUlT_T0_E_clISt17integral_constantIbLb0EES1C_EEDaS17_S18_EUlS17_E_NS1_11comp_targetILNS1_3genE0ELNS1_11target_archE4294967295ELNS1_3gpuE0ELNS1_3repE0EEENS1_30default_config_static_selectorELNS0_4arch9wavefront6targetE1EEEvT1_.has_dyn_sized_stack, 0
	.set _ZN7rocprim17ROCPRIM_400000_NS6detail17trampoline_kernelINS0_14default_configENS1_25partition_config_selectorILNS1_17partition_subalgoE8ElNS0_10empty_typeEbEEZZNS1_14partition_implILS5_8ELb0ES3_jPlPS6_PKS6_NS0_5tupleIJS9_S6_EEENSD_IJSA_SA_EEENS0_18inequality_wrapperIZN2at6native12_GLOBAL__N_124unique_dim_cuda_templateItEESt5tupleIJNSH_6TensorESM_SM_EERKSM_lbbbEUlllE0_EEPmJS6_EEE10hipError_tPvRmT3_T4_T5_T6_T7_T9_mT8_P12ihipStream_tbDpT10_ENKUlT_T0_E_clISt17integral_constantIbLb0EES1C_EEDaS17_S18_EUlS17_E_NS1_11comp_targetILNS1_3genE0ELNS1_11target_archE4294967295ELNS1_3gpuE0ELNS1_3repE0EEENS1_30default_config_static_selectorELNS0_4arch9wavefront6targetE1EEEvT1_.has_recursion, 0
	.set _ZN7rocprim17ROCPRIM_400000_NS6detail17trampoline_kernelINS0_14default_configENS1_25partition_config_selectorILNS1_17partition_subalgoE8ElNS0_10empty_typeEbEEZZNS1_14partition_implILS5_8ELb0ES3_jPlPS6_PKS6_NS0_5tupleIJS9_S6_EEENSD_IJSA_SA_EEENS0_18inequality_wrapperIZN2at6native12_GLOBAL__N_124unique_dim_cuda_templateItEESt5tupleIJNSH_6TensorESM_SM_EERKSM_lbbbEUlllE0_EEPmJS6_EEE10hipError_tPvRmT3_T4_T5_T6_T7_T9_mT8_P12ihipStream_tbDpT10_ENKUlT_T0_E_clISt17integral_constantIbLb0EES1C_EEDaS17_S18_EUlS17_E_NS1_11comp_targetILNS1_3genE0ELNS1_11target_archE4294967295ELNS1_3gpuE0ELNS1_3repE0EEENS1_30default_config_static_selectorELNS0_4arch9wavefront6targetE1EEEvT1_.has_indirect_call, 0
	.section	.AMDGPU.csdata,"",@progbits
; Kernel info:
; codeLenInByte = 10796
; TotalNumSgprs: 56
; NumVgprs: 58
; NumAgprs: 0
; TotalNumVgprs: 58
; ScratchSize: 0
; MemoryBound: 0
; FloatMode: 240
; IeeeMode: 1
; LDSByteSize: 28680 bytes/workgroup (compile time only)
; SGPRBlocks: 6
; VGPRBlocks: 7
; NumSGPRsForWavesPerEU: 56
; NumVGPRsForWavesPerEU: 58
; AccumOffset: 60
; Occupancy: 8
; WaveLimiterHint : 1
; COMPUTE_PGM_RSRC2:SCRATCH_EN: 0
; COMPUTE_PGM_RSRC2:USER_SGPR: 2
; COMPUTE_PGM_RSRC2:TRAP_HANDLER: 0
; COMPUTE_PGM_RSRC2:TGID_X_EN: 1
; COMPUTE_PGM_RSRC2:TGID_Y_EN: 0
; COMPUTE_PGM_RSRC2:TGID_Z_EN: 0
; COMPUTE_PGM_RSRC2:TIDIG_COMP_CNT: 0
; COMPUTE_PGM_RSRC3_GFX90A:ACCUM_OFFSET: 14
; COMPUTE_PGM_RSRC3_GFX90A:TG_SPLIT: 0
	.section	.text._ZN7rocprim17ROCPRIM_400000_NS6detail17trampoline_kernelINS0_14default_configENS1_25partition_config_selectorILNS1_17partition_subalgoE8ElNS0_10empty_typeEbEEZZNS1_14partition_implILS5_8ELb0ES3_jPlPS6_PKS6_NS0_5tupleIJS9_S6_EEENSD_IJSA_SA_EEENS0_18inequality_wrapperIZN2at6native12_GLOBAL__N_124unique_dim_cuda_templateItEESt5tupleIJNSH_6TensorESM_SM_EERKSM_lbbbEUlllE0_EEPmJS6_EEE10hipError_tPvRmT3_T4_T5_T6_T7_T9_mT8_P12ihipStream_tbDpT10_ENKUlT_T0_E_clISt17integral_constantIbLb0EES1C_EEDaS17_S18_EUlS17_E_NS1_11comp_targetILNS1_3genE5ELNS1_11target_archE942ELNS1_3gpuE9ELNS1_3repE0EEENS1_30default_config_static_selectorELNS0_4arch9wavefront6targetE1EEEvT1_,"axG",@progbits,_ZN7rocprim17ROCPRIM_400000_NS6detail17trampoline_kernelINS0_14default_configENS1_25partition_config_selectorILNS1_17partition_subalgoE8ElNS0_10empty_typeEbEEZZNS1_14partition_implILS5_8ELb0ES3_jPlPS6_PKS6_NS0_5tupleIJS9_S6_EEENSD_IJSA_SA_EEENS0_18inequality_wrapperIZN2at6native12_GLOBAL__N_124unique_dim_cuda_templateItEESt5tupleIJNSH_6TensorESM_SM_EERKSM_lbbbEUlllE0_EEPmJS6_EEE10hipError_tPvRmT3_T4_T5_T6_T7_T9_mT8_P12ihipStream_tbDpT10_ENKUlT_T0_E_clISt17integral_constantIbLb0EES1C_EEDaS17_S18_EUlS17_E_NS1_11comp_targetILNS1_3genE5ELNS1_11target_archE942ELNS1_3gpuE9ELNS1_3repE0EEENS1_30default_config_static_selectorELNS0_4arch9wavefront6targetE1EEEvT1_,comdat
	.globl	_ZN7rocprim17ROCPRIM_400000_NS6detail17trampoline_kernelINS0_14default_configENS1_25partition_config_selectorILNS1_17partition_subalgoE8ElNS0_10empty_typeEbEEZZNS1_14partition_implILS5_8ELb0ES3_jPlPS6_PKS6_NS0_5tupleIJS9_S6_EEENSD_IJSA_SA_EEENS0_18inequality_wrapperIZN2at6native12_GLOBAL__N_124unique_dim_cuda_templateItEESt5tupleIJNSH_6TensorESM_SM_EERKSM_lbbbEUlllE0_EEPmJS6_EEE10hipError_tPvRmT3_T4_T5_T6_T7_T9_mT8_P12ihipStream_tbDpT10_ENKUlT_T0_E_clISt17integral_constantIbLb0EES1C_EEDaS17_S18_EUlS17_E_NS1_11comp_targetILNS1_3genE5ELNS1_11target_archE942ELNS1_3gpuE9ELNS1_3repE0EEENS1_30default_config_static_selectorELNS0_4arch9wavefront6targetE1EEEvT1_ ; -- Begin function _ZN7rocprim17ROCPRIM_400000_NS6detail17trampoline_kernelINS0_14default_configENS1_25partition_config_selectorILNS1_17partition_subalgoE8ElNS0_10empty_typeEbEEZZNS1_14partition_implILS5_8ELb0ES3_jPlPS6_PKS6_NS0_5tupleIJS9_S6_EEENSD_IJSA_SA_EEENS0_18inequality_wrapperIZN2at6native12_GLOBAL__N_124unique_dim_cuda_templateItEESt5tupleIJNSH_6TensorESM_SM_EERKSM_lbbbEUlllE0_EEPmJS6_EEE10hipError_tPvRmT3_T4_T5_T6_T7_T9_mT8_P12ihipStream_tbDpT10_ENKUlT_T0_E_clISt17integral_constantIbLb0EES1C_EEDaS17_S18_EUlS17_E_NS1_11comp_targetILNS1_3genE5ELNS1_11target_archE942ELNS1_3gpuE9ELNS1_3repE0EEENS1_30default_config_static_selectorELNS0_4arch9wavefront6targetE1EEEvT1_
	.p2align	8
	.type	_ZN7rocprim17ROCPRIM_400000_NS6detail17trampoline_kernelINS0_14default_configENS1_25partition_config_selectorILNS1_17partition_subalgoE8ElNS0_10empty_typeEbEEZZNS1_14partition_implILS5_8ELb0ES3_jPlPS6_PKS6_NS0_5tupleIJS9_S6_EEENSD_IJSA_SA_EEENS0_18inequality_wrapperIZN2at6native12_GLOBAL__N_124unique_dim_cuda_templateItEESt5tupleIJNSH_6TensorESM_SM_EERKSM_lbbbEUlllE0_EEPmJS6_EEE10hipError_tPvRmT3_T4_T5_T6_T7_T9_mT8_P12ihipStream_tbDpT10_ENKUlT_T0_E_clISt17integral_constantIbLb0EES1C_EEDaS17_S18_EUlS17_E_NS1_11comp_targetILNS1_3genE5ELNS1_11target_archE942ELNS1_3gpuE9ELNS1_3repE0EEENS1_30default_config_static_selectorELNS0_4arch9wavefront6targetE1EEEvT1_,@function
_ZN7rocprim17ROCPRIM_400000_NS6detail17trampoline_kernelINS0_14default_configENS1_25partition_config_selectorILNS1_17partition_subalgoE8ElNS0_10empty_typeEbEEZZNS1_14partition_implILS5_8ELb0ES3_jPlPS6_PKS6_NS0_5tupleIJS9_S6_EEENSD_IJSA_SA_EEENS0_18inequality_wrapperIZN2at6native12_GLOBAL__N_124unique_dim_cuda_templateItEESt5tupleIJNSH_6TensorESM_SM_EERKSM_lbbbEUlllE0_EEPmJS6_EEE10hipError_tPvRmT3_T4_T5_T6_T7_T9_mT8_P12ihipStream_tbDpT10_ENKUlT_T0_E_clISt17integral_constantIbLb0EES1C_EEDaS17_S18_EUlS17_E_NS1_11comp_targetILNS1_3genE5ELNS1_11target_archE942ELNS1_3gpuE9ELNS1_3repE0EEENS1_30default_config_static_selectorELNS0_4arch9wavefront6targetE1EEEvT1_: ; @_ZN7rocprim17ROCPRIM_400000_NS6detail17trampoline_kernelINS0_14default_configENS1_25partition_config_selectorILNS1_17partition_subalgoE8ElNS0_10empty_typeEbEEZZNS1_14partition_implILS5_8ELb0ES3_jPlPS6_PKS6_NS0_5tupleIJS9_S6_EEENSD_IJSA_SA_EEENS0_18inequality_wrapperIZN2at6native12_GLOBAL__N_124unique_dim_cuda_templateItEESt5tupleIJNSH_6TensorESM_SM_EERKSM_lbbbEUlllE0_EEPmJS6_EEE10hipError_tPvRmT3_T4_T5_T6_T7_T9_mT8_P12ihipStream_tbDpT10_ENKUlT_T0_E_clISt17integral_constantIbLb0EES1C_EEDaS17_S18_EUlS17_E_NS1_11comp_targetILNS1_3genE5ELNS1_11target_archE942ELNS1_3gpuE9ELNS1_3repE0EEENS1_30default_config_static_selectorELNS0_4arch9wavefront6targetE1EEEvT1_
; %bb.0:
	.section	.rodata,"a",@progbits
	.p2align	6, 0x0
	.amdhsa_kernel _ZN7rocprim17ROCPRIM_400000_NS6detail17trampoline_kernelINS0_14default_configENS1_25partition_config_selectorILNS1_17partition_subalgoE8ElNS0_10empty_typeEbEEZZNS1_14partition_implILS5_8ELb0ES3_jPlPS6_PKS6_NS0_5tupleIJS9_S6_EEENSD_IJSA_SA_EEENS0_18inequality_wrapperIZN2at6native12_GLOBAL__N_124unique_dim_cuda_templateItEESt5tupleIJNSH_6TensorESM_SM_EERKSM_lbbbEUlllE0_EEPmJS6_EEE10hipError_tPvRmT3_T4_T5_T6_T7_T9_mT8_P12ihipStream_tbDpT10_ENKUlT_T0_E_clISt17integral_constantIbLb0EES1C_EEDaS17_S18_EUlS17_E_NS1_11comp_targetILNS1_3genE5ELNS1_11target_archE942ELNS1_3gpuE9ELNS1_3repE0EEENS1_30default_config_static_selectorELNS0_4arch9wavefront6targetE1EEEvT1_
		.amdhsa_group_segment_fixed_size 0
		.amdhsa_private_segment_fixed_size 0
		.amdhsa_kernarg_size 120
		.amdhsa_user_sgpr_count 2
		.amdhsa_user_sgpr_dispatch_ptr 0
		.amdhsa_user_sgpr_queue_ptr 0
		.amdhsa_user_sgpr_kernarg_segment_ptr 1
		.amdhsa_user_sgpr_dispatch_id 0
		.amdhsa_user_sgpr_kernarg_preload_length 0
		.amdhsa_user_sgpr_kernarg_preload_offset 0
		.amdhsa_user_sgpr_private_segment_size 0
		.amdhsa_uses_dynamic_stack 0
		.amdhsa_enable_private_segment 0
		.amdhsa_system_sgpr_workgroup_id_x 1
		.amdhsa_system_sgpr_workgroup_id_y 0
		.amdhsa_system_sgpr_workgroup_id_z 0
		.amdhsa_system_sgpr_workgroup_info 0
		.amdhsa_system_vgpr_workitem_id 0
		.amdhsa_next_free_vgpr 1
		.amdhsa_next_free_sgpr 0
		.amdhsa_accum_offset 4
		.amdhsa_reserve_vcc 0
		.amdhsa_float_round_mode_32 0
		.amdhsa_float_round_mode_16_64 0
		.amdhsa_float_denorm_mode_32 3
		.amdhsa_float_denorm_mode_16_64 3
		.amdhsa_dx10_clamp 1
		.amdhsa_ieee_mode 1
		.amdhsa_fp16_overflow 0
		.amdhsa_tg_split 0
		.amdhsa_exception_fp_ieee_invalid_op 0
		.amdhsa_exception_fp_denorm_src 0
		.amdhsa_exception_fp_ieee_div_zero 0
		.amdhsa_exception_fp_ieee_overflow 0
		.amdhsa_exception_fp_ieee_underflow 0
		.amdhsa_exception_fp_ieee_inexact 0
		.amdhsa_exception_int_div_zero 0
	.end_amdhsa_kernel
	.section	.text._ZN7rocprim17ROCPRIM_400000_NS6detail17trampoline_kernelINS0_14default_configENS1_25partition_config_selectorILNS1_17partition_subalgoE8ElNS0_10empty_typeEbEEZZNS1_14partition_implILS5_8ELb0ES3_jPlPS6_PKS6_NS0_5tupleIJS9_S6_EEENSD_IJSA_SA_EEENS0_18inequality_wrapperIZN2at6native12_GLOBAL__N_124unique_dim_cuda_templateItEESt5tupleIJNSH_6TensorESM_SM_EERKSM_lbbbEUlllE0_EEPmJS6_EEE10hipError_tPvRmT3_T4_T5_T6_T7_T9_mT8_P12ihipStream_tbDpT10_ENKUlT_T0_E_clISt17integral_constantIbLb0EES1C_EEDaS17_S18_EUlS17_E_NS1_11comp_targetILNS1_3genE5ELNS1_11target_archE942ELNS1_3gpuE9ELNS1_3repE0EEENS1_30default_config_static_selectorELNS0_4arch9wavefront6targetE1EEEvT1_,"axG",@progbits,_ZN7rocprim17ROCPRIM_400000_NS6detail17trampoline_kernelINS0_14default_configENS1_25partition_config_selectorILNS1_17partition_subalgoE8ElNS0_10empty_typeEbEEZZNS1_14partition_implILS5_8ELb0ES3_jPlPS6_PKS6_NS0_5tupleIJS9_S6_EEENSD_IJSA_SA_EEENS0_18inequality_wrapperIZN2at6native12_GLOBAL__N_124unique_dim_cuda_templateItEESt5tupleIJNSH_6TensorESM_SM_EERKSM_lbbbEUlllE0_EEPmJS6_EEE10hipError_tPvRmT3_T4_T5_T6_T7_T9_mT8_P12ihipStream_tbDpT10_ENKUlT_T0_E_clISt17integral_constantIbLb0EES1C_EEDaS17_S18_EUlS17_E_NS1_11comp_targetILNS1_3genE5ELNS1_11target_archE942ELNS1_3gpuE9ELNS1_3repE0EEENS1_30default_config_static_selectorELNS0_4arch9wavefront6targetE1EEEvT1_,comdat
.Lfunc_end1420:
	.size	_ZN7rocprim17ROCPRIM_400000_NS6detail17trampoline_kernelINS0_14default_configENS1_25partition_config_selectorILNS1_17partition_subalgoE8ElNS0_10empty_typeEbEEZZNS1_14partition_implILS5_8ELb0ES3_jPlPS6_PKS6_NS0_5tupleIJS9_S6_EEENSD_IJSA_SA_EEENS0_18inequality_wrapperIZN2at6native12_GLOBAL__N_124unique_dim_cuda_templateItEESt5tupleIJNSH_6TensorESM_SM_EERKSM_lbbbEUlllE0_EEPmJS6_EEE10hipError_tPvRmT3_T4_T5_T6_T7_T9_mT8_P12ihipStream_tbDpT10_ENKUlT_T0_E_clISt17integral_constantIbLb0EES1C_EEDaS17_S18_EUlS17_E_NS1_11comp_targetILNS1_3genE5ELNS1_11target_archE942ELNS1_3gpuE9ELNS1_3repE0EEENS1_30default_config_static_selectorELNS0_4arch9wavefront6targetE1EEEvT1_, .Lfunc_end1420-_ZN7rocprim17ROCPRIM_400000_NS6detail17trampoline_kernelINS0_14default_configENS1_25partition_config_selectorILNS1_17partition_subalgoE8ElNS0_10empty_typeEbEEZZNS1_14partition_implILS5_8ELb0ES3_jPlPS6_PKS6_NS0_5tupleIJS9_S6_EEENSD_IJSA_SA_EEENS0_18inequality_wrapperIZN2at6native12_GLOBAL__N_124unique_dim_cuda_templateItEESt5tupleIJNSH_6TensorESM_SM_EERKSM_lbbbEUlllE0_EEPmJS6_EEE10hipError_tPvRmT3_T4_T5_T6_T7_T9_mT8_P12ihipStream_tbDpT10_ENKUlT_T0_E_clISt17integral_constantIbLb0EES1C_EEDaS17_S18_EUlS17_E_NS1_11comp_targetILNS1_3genE5ELNS1_11target_archE942ELNS1_3gpuE9ELNS1_3repE0EEENS1_30default_config_static_selectorELNS0_4arch9wavefront6targetE1EEEvT1_
                                        ; -- End function
	.set _ZN7rocprim17ROCPRIM_400000_NS6detail17trampoline_kernelINS0_14default_configENS1_25partition_config_selectorILNS1_17partition_subalgoE8ElNS0_10empty_typeEbEEZZNS1_14partition_implILS5_8ELb0ES3_jPlPS6_PKS6_NS0_5tupleIJS9_S6_EEENSD_IJSA_SA_EEENS0_18inequality_wrapperIZN2at6native12_GLOBAL__N_124unique_dim_cuda_templateItEESt5tupleIJNSH_6TensorESM_SM_EERKSM_lbbbEUlllE0_EEPmJS6_EEE10hipError_tPvRmT3_T4_T5_T6_T7_T9_mT8_P12ihipStream_tbDpT10_ENKUlT_T0_E_clISt17integral_constantIbLb0EES1C_EEDaS17_S18_EUlS17_E_NS1_11comp_targetILNS1_3genE5ELNS1_11target_archE942ELNS1_3gpuE9ELNS1_3repE0EEENS1_30default_config_static_selectorELNS0_4arch9wavefront6targetE1EEEvT1_.num_vgpr, 0
	.set _ZN7rocprim17ROCPRIM_400000_NS6detail17trampoline_kernelINS0_14default_configENS1_25partition_config_selectorILNS1_17partition_subalgoE8ElNS0_10empty_typeEbEEZZNS1_14partition_implILS5_8ELb0ES3_jPlPS6_PKS6_NS0_5tupleIJS9_S6_EEENSD_IJSA_SA_EEENS0_18inequality_wrapperIZN2at6native12_GLOBAL__N_124unique_dim_cuda_templateItEESt5tupleIJNSH_6TensorESM_SM_EERKSM_lbbbEUlllE0_EEPmJS6_EEE10hipError_tPvRmT3_T4_T5_T6_T7_T9_mT8_P12ihipStream_tbDpT10_ENKUlT_T0_E_clISt17integral_constantIbLb0EES1C_EEDaS17_S18_EUlS17_E_NS1_11comp_targetILNS1_3genE5ELNS1_11target_archE942ELNS1_3gpuE9ELNS1_3repE0EEENS1_30default_config_static_selectorELNS0_4arch9wavefront6targetE1EEEvT1_.num_agpr, 0
	.set _ZN7rocprim17ROCPRIM_400000_NS6detail17trampoline_kernelINS0_14default_configENS1_25partition_config_selectorILNS1_17partition_subalgoE8ElNS0_10empty_typeEbEEZZNS1_14partition_implILS5_8ELb0ES3_jPlPS6_PKS6_NS0_5tupleIJS9_S6_EEENSD_IJSA_SA_EEENS0_18inequality_wrapperIZN2at6native12_GLOBAL__N_124unique_dim_cuda_templateItEESt5tupleIJNSH_6TensorESM_SM_EERKSM_lbbbEUlllE0_EEPmJS6_EEE10hipError_tPvRmT3_T4_T5_T6_T7_T9_mT8_P12ihipStream_tbDpT10_ENKUlT_T0_E_clISt17integral_constantIbLb0EES1C_EEDaS17_S18_EUlS17_E_NS1_11comp_targetILNS1_3genE5ELNS1_11target_archE942ELNS1_3gpuE9ELNS1_3repE0EEENS1_30default_config_static_selectorELNS0_4arch9wavefront6targetE1EEEvT1_.numbered_sgpr, 0
	.set _ZN7rocprim17ROCPRIM_400000_NS6detail17trampoline_kernelINS0_14default_configENS1_25partition_config_selectorILNS1_17partition_subalgoE8ElNS0_10empty_typeEbEEZZNS1_14partition_implILS5_8ELb0ES3_jPlPS6_PKS6_NS0_5tupleIJS9_S6_EEENSD_IJSA_SA_EEENS0_18inequality_wrapperIZN2at6native12_GLOBAL__N_124unique_dim_cuda_templateItEESt5tupleIJNSH_6TensorESM_SM_EERKSM_lbbbEUlllE0_EEPmJS6_EEE10hipError_tPvRmT3_T4_T5_T6_T7_T9_mT8_P12ihipStream_tbDpT10_ENKUlT_T0_E_clISt17integral_constantIbLb0EES1C_EEDaS17_S18_EUlS17_E_NS1_11comp_targetILNS1_3genE5ELNS1_11target_archE942ELNS1_3gpuE9ELNS1_3repE0EEENS1_30default_config_static_selectorELNS0_4arch9wavefront6targetE1EEEvT1_.num_named_barrier, 0
	.set _ZN7rocprim17ROCPRIM_400000_NS6detail17trampoline_kernelINS0_14default_configENS1_25partition_config_selectorILNS1_17partition_subalgoE8ElNS0_10empty_typeEbEEZZNS1_14partition_implILS5_8ELb0ES3_jPlPS6_PKS6_NS0_5tupleIJS9_S6_EEENSD_IJSA_SA_EEENS0_18inequality_wrapperIZN2at6native12_GLOBAL__N_124unique_dim_cuda_templateItEESt5tupleIJNSH_6TensorESM_SM_EERKSM_lbbbEUlllE0_EEPmJS6_EEE10hipError_tPvRmT3_T4_T5_T6_T7_T9_mT8_P12ihipStream_tbDpT10_ENKUlT_T0_E_clISt17integral_constantIbLb0EES1C_EEDaS17_S18_EUlS17_E_NS1_11comp_targetILNS1_3genE5ELNS1_11target_archE942ELNS1_3gpuE9ELNS1_3repE0EEENS1_30default_config_static_selectorELNS0_4arch9wavefront6targetE1EEEvT1_.private_seg_size, 0
	.set _ZN7rocprim17ROCPRIM_400000_NS6detail17trampoline_kernelINS0_14default_configENS1_25partition_config_selectorILNS1_17partition_subalgoE8ElNS0_10empty_typeEbEEZZNS1_14partition_implILS5_8ELb0ES3_jPlPS6_PKS6_NS0_5tupleIJS9_S6_EEENSD_IJSA_SA_EEENS0_18inequality_wrapperIZN2at6native12_GLOBAL__N_124unique_dim_cuda_templateItEESt5tupleIJNSH_6TensorESM_SM_EERKSM_lbbbEUlllE0_EEPmJS6_EEE10hipError_tPvRmT3_T4_T5_T6_T7_T9_mT8_P12ihipStream_tbDpT10_ENKUlT_T0_E_clISt17integral_constantIbLb0EES1C_EEDaS17_S18_EUlS17_E_NS1_11comp_targetILNS1_3genE5ELNS1_11target_archE942ELNS1_3gpuE9ELNS1_3repE0EEENS1_30default_config_static_selectorELNS0_4arch9wavefront6targetE1EEEvT1_.uses_vcc, 0
	.set _ZN7rocprim17ROCPRIM_400000_NS6detail17trampoline_kernelINS0_14default_configENS1_25partition_config_selectorILNS1_17partition_subalgoE8ElNS0_10empty_typeEbEEZZNS1_14partition_implILS5_8ELb0ES3_jPlPS6_PKS6_NS0_5tupleIJS9_S6_EEENSD_IJSA_SA_EEENS0_18inequality_wrapperIZN2at6native12_GLOBAL__N_124unique_dim_cuda_templateItEESt5tupleIJNSH_6TensorESM_SM_EERKSM_lbbbEUlllE0_EEPmJS6_EEE10hipError_tPvRmT3_T4_T5_T6_T7_T9_mT8_P12ihipStream_tbDpT10_ENKUlT_T0_E_clISt17integral_constantIbLb0EES1C_EEDaS17_S18_EUlS17_E_NS1_11comp_targetILNS1_3genE5ELNS1_11target_archE942ELNS1_3gpuE9ELNS1_3repE0EEENS1_30default_config_static_selectorELNS0_4arch9wavefront6targetE1EEEvT1_.uses_flat_scratch, 0
	.set _ZN7rocprim17ROCPRIM_400000_NS6detail17trampoline_kernelINS0_14default_configENS1_25partition_config_selectorILNS1_17partition_subalgoE8ElNS0_10empty_typeEbEEZZNS1_14partition_implILS5_8ELb0ES3_jPlPS6_PKS6_NS0_5tupleIJS9_S6_EEENSD_IJSA_SA_EEENS0_18inequality_wrapperIZN2at6native12_GLOBAL__N_124unique_dim_cuda_templateItEESt5tupleIJNSH_6TensorESM_SM_EERKSM_lbbbEUlllE0_EEPmJS6_EEE10hipError_tPvRmT3_T4_T5_T6_T7_T9_mT8_P12ihipStream_tbDpT10_ENKUlT_T0_E_clISt17integral_constantIbLb0EES1C_EEDaS17_S18_EUlS17_E_NS1_11comp_targetILNS1_3genE5ELNS1_11target_archE942ELNS1_3gpuE9ELNS1_3repE0EEENS1_30default_config_static_selectorELNS0_4arch9wavefront6targetE1EEEvT1_.has_dyn_sized_stack, 0
	.set _ZN7rocprim17ROCPRIM_400000_NS6detail17trampoline_kernelINS0_14default_configENS1_25partition_config_selectorILNS1_17partition_subalgoE8ElNS0_10empty_typeEbEEZZNS1_14partition_implILS5_8ELb0ES3_jPlPS6_PKS6_NS0_5tupleIJS9_S6_EEENSD_IJSA_SA_EEENS0_18inequality_wrapperIZN2at6native12_GLOBAL__N_124unique_dim_cuda_templateItEESt5tupleIJNSH_6TensorESM_SM_EERKSM_lbbbEUlllE0_EEPmJS6_EEE10hipError_tPvRmT3_T4_T5_T6_T7_T9_mT8_P12ihipStream_tbDpT10_ENKUlT_T0_E_clISt17integral_constantIbLb0EES1C_EEDaS17_S18_EUlS17_E_NS1_11comp_targetILNS1_3genE5ELNS1_11target_archE942ELNS1_3gpuE9ELNS1_3repE0EEENS1_30default_config_static_selectorELNS0_4arch9wavefront6targetE1EEEvT1_.has_recursion, 0
	.set _ZN7rocprim17ROCPRIM_400000_NS6detail17trampoline_kernelINS0_14default_configENS1_25partition_config_selectorILNS1_17partition_subalgoE8ElNS0_10empty_typeEbEEZZNS1_14partition_implILS5_8ELb0ES3_jPlPS6_PKS6_NS0_5tupleIJS9_S6_EEENSD_IJSA_SA_EEENS0_18inequality_wrapperIZN2at6native12_GLOBAL__N_124unique_dim_cuda_templateItEESt5tupleIJNSH_6TensorESM_SM_EERKSM_lbbbEUlllE0_EEPmJS6_EEE10hipError_tPvRmT3_T4_T5_T6_T7_T9_mT8_P12ihipStream_tbDpT10_ENKUlT_T0_E_clISt17integral_constantIbLb0EES1C_EEDaS17_S18_EUlS17_E_NS1_11comp_targetILNS1_3genE5ELNS1_11target_archE942ELNS1_3gpuE9ELNS1_3repE0EEENS1_30default_config_static_selectorELNS0_4arch9wavefront6targetE1EEEvT1_.has_indirect_call, 0
	.section	.AMDGPU.csdata,"",@progbits
; Kernel info:
; codeLenInByte = 0
; TotalNumSgprs: 6
; NumVgprs: 0
; NumAgprs: 0
; TotalNumVgprs: 0
; ScratchSize: 0
; MemoryBound: 0
; FloatMode: 240
; IeeeMode: 1
; LDSByteSize: 0 bytes/workgroup (compile time only)
; SGPRBlocks: 0
; VGPRBlocks: 0
; NumSGPRsForWavesPerEU: 6
; NumVGPRsForWavesPerEU: 1
; AccumOffset: 4
; Occupancy: 8
; WaveLimiterHint : 0
; COMPUTE_PGM_RSRC2:SCRATCH_EN: 0
; COMPUTE_PGM_RSRC2:USER_SGPR: 2
; COMPUTE_PGM_RSRC2:TRAP_HANDLER: 0
; COMPUTE_PGM_RSRC2:TGID_X_EN: 1
; COMPUTE_PGM_RSRC2:TGID_Y_EN: 0
; COMPUTE_PGM_RSRC2:TGID_Z_EN: 0
; COMPUTE_PGM_RSRC2:TIDIG_COMP_CNT: 0
; COMPUTE_PGM_RSRC3_GFX90A:ACCUM_OFFSET: 0
; COMPUTE_PGM_RSRC3_GFX90A:TG_SPLIT: 0
	.section	.text._ZN7rocprim17ROCPRIM_400000_NS6detail17trampoline_kernelINS0_14default_configENS1_25partition_config_selectorILNS1_17partition_subalgoE8ElNS0_10empty_typeEbEEZZNS1_14partition_implILS5_8ELb0ES3_jPlPS6_PKS6_NS0_5tupleIJS9_S6_EEENSD_IJSA_SA_EEENS0_18inequality_wrapperIZN2at6native12_GLOBAL__N_124unique_dim_cuda_templateItEESt5tupleIJNSH_6TensorESM_SM_EERKSM_lbbbEUlllE0_EEPmJS6_EEE10hipError_tPvRmT3_T4_T5_T6_T7_T9_mT8_P12ihipStream_tbDpT10_ENKUlT_T0_E_clISt17integral_constantIbLb0EES1C_EEDaS17_S18_EUlS17_E_NS1_11comp_targetILNS1_3genE4ELNS1_11target_archE910ELNS1_3gpuE8ELNS1_3repE0EEENS1_30default_config_static_selectorELNS0_4arch9wavefront6targetE1EEEvT1_,"axG",@progbits,_ZN7rocprim17ROCPRIM_400000_NS6detail17trampoline_kernelINS0_14default_configENS1_25partition_config_selectorILNS1_17partition_subalgoE8ElNS0_10empty_typeEbEEZZNS1_14partition_implILS5_8ELb0ES3_jPlPS6_PKS6_NS0_5tupleIJS9_S6_EEENSD_IJSA_SA_EEENS0_18inequality_wrapperIZN2at6native12_GLOBAL__N_124unique_dim_cuda_templateItEESt5tupleIJNSH_6TensorESM_SM_EERKSM_lbbbEUlllE0_EEPmJS6_EEE10hipError_tPvRmT3_T4_T5_T6_T7_T9_mT8_P12ihipStream_tbDpT10_ENKUlT_T0_E_clISt17integral_constantIbLb0EES1C_EEDaS17_S18_EUlS17_E_NS1_11comp_targetILNS1_3genE4ELNS1_11target_archE910ELNS1_3gpuE8ELNS1_3repE0EEENS1_30default_config_static_selectorELNS0_4arch9wavefront6targetE1EEEvT1_,comdat
	.globl	_ZN7rocprim17ROCPRIM_400000_NS6detail17trampoline_kernelINS0_14default_configENS1_25partition_config_selectorILNS1_17partition_subalgoE8ElNS0_10empty_typeEbEEZZNS1_14partition_implILS5_8ELb0ES3_jPlPS6_PKS6_NS0_5tupleIJS9_S6_EEENSD_IJSA_SA_EEENS0_18inequality_wrapperIZN2at6native12_GLOBAL__N_124unique_dim_cuda_templateItEESt5tupleIJNSH_6TensorESM_SM_EERKSM_lbbbEUlllE0_EEPmJS6_EEE10hipError_tPvRmT3_T4_T5_T6_T7_T9_mT8_P12ihipStream_tbDpT10_ENKUlT_T0_E_clISt17integral_constantIbLb0EES1C_EEDaS17_S18_EUlS17_E_NS1_11comp_targetILNS1_3genE4ELNS1_11target_archE910ELNS1_3gpuE8ELNS1_3repE0EEENS1_30default_config_static_selectorELNS0_4arch9wavefront6targetE1EEEvT1_ ; -- Begin function _ZN7rocprim17ROCPRIM_400000_NS6detail17trampoline_kernelINS0_14default_configENS1_25partition_config_selectorILNS1_17partition_subalgoE8ElNS0_10empty_typeEbEEZZNS1_14partition_implILS5_8ELb0ES3_jPlPS6_PKS6_NS0_5tupleIJS9_S6_EEENSD_IJSA_SA_EEENS0_18inequality_wrapperIZN2at6native12_GLOBAL__N_124unique_dim_cuda_templateItEESt5tupleIJNSH_6TensorESM_SM_EERKSM_lbbbEUlllE0_EEPmJS6_EEE10hipError_tPvRmT3_T4_T5_T6_T7_T9_mT8_P12ihipStream_tbDpT10_ENKUlT_T0_E_clISt17integral_constantIbLb0EES1C_EEDaS17_S18_EUlS17_E_NS1_11comp_targetILNS1_3genE4ELNS1_11target_archE910ELNS1_3gpuE8ELNS1_3repE0EEENS1_30default_config_static_selectorELNS0_4arch9wavefront6targetE1EEEvT1_
	.p2align	8
	.type	_ZN7rocprim17ROCPRIM_400000_NS6detail17trampoline_kernelINS0_14default_configENS1_25partition_config_selectorILNS1_17partition_subalgoE8ElNS0_10empty_typeEbEEZZNS1_14partition_implILS5_8ELb0ES3_jPlPS6_PKS6_NS0_5tupleIJS9_S6_EEENSD_IJSA_SA_EEENS0_18inequality_wrapperIZN2at6native12_GLOBAL__N_124unique_dim_cuda_templateItEESt5tupleIJNSH_6TensorESM_SM_EERKSM_lbbbEUlllE0_EEPmJS6_EEE10hipError_tPvRmT3_T4_T5_T6_T7_T9_mT8_P12ihipStream_tbDpT10_ENKUlT_T0_E_clISt17integral_constantIbLb0EES1C_EEDaS17_S18_EUlS17_E_NS1_11comp_targetILNS1_3genE4ELNS1_11target_archE910ELNS1_3gpuE8ELNS1_3repE0EEENS1_30default_config_static_selectorELNS0_4arch9wavefront6targetE1EEEvT1_,@function
_ZN7rocprim17ROCPRIM_400000_NS6detail17trampoline_kernelINS0_14default_configENS1_25partition_config_selectorILNS1_17partition_subalgoE8ElNS0_10empty_typeEbEEZZNS1_14partition_implILS5_8ELb0ES3_jPlPS6_PKS6_NS0_5tupleIJS9_S6_EEENSD_IJSA_SA_EEENS0_18inequality_wrapperIZN2at6native12_GLOBAL__N_124unique_dim_cuda_templateItEESt5tupleIJNSH_6TensorESM_SM_EERKSM_lbbbEUlllE0_EEPmJS6_EEE10hipError_tPvRmT3_T4_T5_T6_T7_T9_mT8_P12ihipStream_tbDpT10_ENKUlT_T0_E_clISt17integral_constantIbLb0EES1C_EEDaS17_S18_EUlS17_E_NS1_11comp_targetILNS1_3genE4ELNS1_11target_archE910ELNS1_3gpuE8ELNS1_3repE0EEENS1_30default_config_static_selectorELNS0_4arch9wavefront6targetE1EEEvT1_: ; @_ZN7rocprim17ROCPRIM_400000_NS6detail17trampoline_kernelINS0_14default_configENS1_25partition_config_selectorILNS1_17partition_subalgoE8ElNS0_10empty_typeEbEEZZNS1_14partition_implILS5_8ELb0ES3_jPlPS6_PKS6_NS0_5tupleIJS9_S6_EEENSD_IJSA_SA_EEENS0_18inequality_wrapperIZN2at6native12_GLOBAL__N_124unique_dim_cuda_templateItEESt5tupleIJNSH_6TensorESM_SM_EERKSM_lbbbEUlllE0_EEPmJS6_EEE10hipError_tPvRmT3_T4_T5_T6_T7_T9_mT8_P12ihipStream_tbDpT10_ENKUlT_T0_E_clISt17integral_constantIbLb0EES1C_EEDaS17_S18_EUlS17_E_NS1_11comp_targetILNS1_3genE4ELNS1_11target_archE910ELNS1_3gpuE8ELNS1_3repE0EEENS1_30default_config_static_selectorELNS0_4arch9wavefront6targetE1EEEvT1_
; %bb.0:
	.section	.rodata,"a",@progbits
	.p2align	6, 0x0
	.amdhsa_kernel _ZN7rocprim17ROCPRIM_400000_NS6detail17trampoline_kernelINS0_14default_configENS1_25partition_config_selectorILNS1_17partition_subalgoE8ElNS0_10empty_typeEbEEZZNS1_14partition_implILS5_8ELb0ES3_jPlPS6_PKS6_NS0_5tupleIJS9_S6_EEENSD_IJSA_SA_EEENS0_18inequality_wrapperIZN2at6native12_GLOBAL__N_124unique_dim_cuda_templateItEESt5tupleIJNSH_6TensorESM_SM_EERKSM_lbbbEUlllE0_EEPmJS6_EEE10hipError_tPvRmT3_T4_T5_T6_T7_T9_mT8_P12ihipStream_tbDpT10_ENKUlT_T0_E_clISt17integral_constantIbLb0EES1C_EEDaS17_S18_EUlS17_E_NS1_11comp_targetILNS1_3genE4ELNS1_11target_archE910ELNS1_3gpuE8ELNS1_3repE0EEENS1_30default_config_static_selectorELNS0_4arch9wavefront6targetE1EEEvT1_
		.amdhsa_group_segment_fixed_size 0
		.amdhsa_private_segment_fixed_size 0
		.amdhsa_kernarg_size 120
		.amdhsa_user_sgpr_count 2
		.amdhsa_user_sgpr_dispatch_ptr 0
		.amdhsa_user_sgpr_queue_ptr 0
		.amdhsa_user_sgpr_kernarg_segment_ptr 1
		.amdhsa_user_sgpr_dispatch_id 0
		.amdhsa_user_sgpr_kernarg_preload_length 0
		.amdhsa_user_sgpr_kernarg_preload_offset 0
		.amdhsa_user_sgpr_private_segment_size 0
		.amdhsa_uses_dynamic_stack 0
		.amdhsa_enable_private_segment 0
		.amdhsa_system_sgpr_workgroup_id_x 1
		.amdhsa_system_sgpr_workgroup_id_y 0
		.amdhsa_system_sgpr_workgroup_id_z 0
		.amdhsa_system_sgpr_workgroup_info 0
		.amdhsa_system_vgpr_workitem_id 0
		.amdhsa_next_free_vgpr 1
		.amdhsa_next_free_sgpr 0
		.amdhsa_accum_offset 4
		.amdhsa_reserve_vcc 0
		.amdhsa_float_round_mode_32 0
		.amdhsa_float_round_mode_16_64 0
		.amdhsa_float_denorm_mode_32 3
		.amdhsa_float_denorm_mode_16_64 3
		.amdhsa_dx10_clamp 1
		.amdhsa_ieee_mode 1
		.amdhsa_fp16_overflow 0
		.amdhsa_tg_split 0
		.amdhsa_exception_fp_ieee_invalid_op 0
		.amdhsa_exception_fp_denorm_src 0
		.amdhsa_exception_fp_ieee_div_zero 0
		.amdhsa_exception_fp_ieee_overflow 0
		.amdhsa_exception_fp_ieee_underflow 0
		.amdhsa_exception_fp_ieee_inexact 0
		.amdhsa_exception_int_div_zero 0
	.end_amdhsa_kernel
	.section	.text._ZN7rocprim17ROCPRIM_400000_NS6detail17trampoline_kernelINS0_14default_configENS1_25partition_config_selectorILNS1_17partition_subalgoE8ElNS0_10empty_typeEbEEZZNS1_14partition_implILS5_8ELb0ES3_jPlPS6_PKS6_NS0_5tupleIJS9_S6_EEENSD_IJSA_SA_EEENS0_18inequality_wrapperIZN2at6native12_GLOBAL__N_124unique_dim_cuda_templateItEESt5tupleIJNSH_6TensorESM_SM_EERKSM_lbbbEUlllE0_EEPmJS6_EEE10hipError_tPvRmT3_T4_T5_T6_T7_T9_mT8_P12ihipStream_tbDpT10_ENKUlT_T0_E_clISt17integral_constantIbLb0EES1C_EEDaS17_S18_EUlS17_E_NS1_11comp_targetILNS1_3genE4ELNS1_11target_archE910ELNS1_3gpuE8ELNS1_3repE0EEENS1_30default_config_static_selectorELNS0_4arch9wavefront6targetE1EEEvT1_,"axG",@progbits,_ZN7rocprim17ROCPRIM_400000_NS6detail17trampoline_kernelINS0_14default_configENS1_25partition_config_selectorILNS1_17partition_subalgoE8ElNS0_10empty_typeEbEEZZNS1_14partition_implILS5_8ELb0ES3_jPlPS6_PKS6_NS0_5tupleIJS9_S6_EEENSD_IJSA_SA_EEENS0_18inequality_wrapperIZN2at6native12_GLOBAL__N_124unique_dim_cuda_templateItEESt5tupleIJNSH_6TensorESM_SM_EERKSM_lbbbEUlllE0_EEPmJS6_EEE10hipError_tPvRmT3_T4_T5_T6_T7_T9_mT8_P12ihipStream_tbDpT10_ENKUlT_T0_E_clISt17integral_constantIbLb0EES1C_EEDaS17_S18_EUlS17_E_NS1_11comp_targetILNS1_3genE4ELNS1_11target_archE910ELNS1_3gpuE8ELNS1_3repE0EEENS1_30default_config_static_selectorELNS0_4arch9wavefront6targetE1EEEvT1_,comdat
.Lfunc_end1421:
	.size	_ZN7rocprim17ROCPRIM_400000_NS6detail17trampoline_kernelINS0_14default_configENS1_25partition_config_selectorILNS1_17partition_subalgoE8ElNS0_10empty_typeEbEEZZNS1_14partition_implILS5_8ELb0ES3_jPlPS6_PKS6_NS0_5tupleIJS9_S6_EEENSD_IJSA_SA_EEENS0_18inequality_wrapperIZN2at6native12_GLOBAL__N_124unique_dim_cuda_templateItEESt5tupleIJNSH_6TensorESM_SM_EERKSM_lbbbEUlllE0_EEPmJS6_EEE10hipError_tPvRmT3_T4_T5_T6_T7_T9_mT8_P12ihipStream_tbDpT10_ENKUlT_T0_E_clISt17integral_constantIbLb0EES1C_EEDaS17_S18_EUlS17_E_NS1_11comp_targetILNS1_3genE4ELNS1_11target_archE910ELNS1_3gpuE8ELNS1_3repE0EEENS1_30default_config_static_selectorELNS0_4arch9wavefront6targetE1EEEvT1_, .Lfunc_end1421-_ZN7rocprim17ROCPRIM_400000_NS6detail17trampoline_kernelINS0_14default_configENS1_25partition_config_selectorILNS1_17partition_subalgoE8ElNS0_10empty_typeEbEEZZNS1_14partition_implILS5_8ELb0ES3_jPlPS6_PKS6_NS0_5tupleIJS9_S6_EEENSD_IJSA_SA_EEENS0_18inequality_wrapperIZN2at6native12_GLOBAL__N_124unique_dim_cuda_templateItEESt5tupleIJNSH_6TensorESM_SM_EERKSM_lbbbEUlllE0_EEPmJS6_EEE10hipError_tPvRmT3_T4_T5_T6_T7_T9_mT8_P12ihipStream_tbDpT10_ENKUlT_T0_E_clISt17integral_constantIbLb0EES1C_EEDaS17_S18_EUlS17_E_NS1_11comp_targetILNS1_3genE4ELNS1_11target_archE910ELNS1_3gpuE8ELNS1_3repE0EEENS1_30default_config_static_selectorELNS0_4arch9wavefront6targetE1EEEvT1_
                                        ; -- End function
	.set _ZN7rocprim17ROCPRIM_400000_NS6detail17trampoline_kernelINS0_14default_configENS1_25partition_config_selectorILNS1_17partition_subalgoE8ElNS0_10empty_typeEbEEZZNS1_14partition_implILS5_8ELb0ES3_jPlPS6_PKS6_NS0_5tupleIJS9_S6_EEENSD_IJSA_SA_EEENS0_18inequality_wrapperIZN2at6native12_GLOBAL__N_124unique_dim_cuda_templateItEESt5tupleIJNSH_6TensorESM_SM_EERKSM_lbbbEUlllE0_EEPmJS6_EEE10hipError_tPvRmT3_T4_T5_T6_T7_T9_mT8_P12ihipStream_tbDpT10_ENKUlT_T0_E_clISt17integral_constantIbLb0EES1C_EEDaS17_S18_EUlS17_E_NS1_11comp_targetILNS1_3genE4ELNS1_11target_archE910ELNS1_3gpuE8ELNS1_3repE0EEENS1_30default_config_static_selectorELNS0_4arch9wavefront6targetE1EEEvT1_.num_vgpr, 0
	.set _ZN7rocprim17ROCPRIM_400000_NS6detail17trampoline_kernelINS0_14default_configENS1_25partition_config_selectorILNS1_17partition_subalgoE8ElNS0_10empty_typeEbEEZZNS1_14partition_implILS5_8ELb0ES3_jPlPS6_PKS6_NS0_5tupleIJS9_S6_EEENSD_IJSA_SA_EEENS0_18inequality_wrapperIZN2at6native12_GLOBAL__N_124unique_dim_cuda_templateItEESt5tupleIJNSH_6TensorESM_SM_EERKSM_lbbbEUlllE0_EEPmJS6_EEE10hipError_tPvRmT3_T4_T5_T6_T7_T9_mT8_P12ihipStream_tbDpT10_ENKUlT_T0_E_clISt17integral_constantIbLb0EES1C_EEDaS17_S18_EUlS17_E_NS1_11comp_targetILNS1_3genE4ELNS1_11target_archE910ELNS1_3gpuE8ELNS1_3repE0EEENS1_30default_config_static_selectorELNS0_4arch9wavefront6targetE1EEEvT1_.num_agpr, 0
	.set _ZN7rocprim17ROCPRIM_400000_NS6detail17trampoline_kernelINS0_14default_configENS1_25partition_config_selectorILNS1_17partition_subalgoE8ElNS0_10empty_typeEbEEZZNS1_14partition_implILS5_8ELb0ES3_jPlPS6_PKS6_NS0_5tupleIJS9_S6_EEENSD_IJSA_SA_EEENS0_18inequality_wrapperIZN2at6native12_GLOBAL__N_124unique_dim_cuda_templateItEESt5tupleIJNSH_6TensorESM_SM_EERKSM_lbbbEUlllE0_EEPmJS6_EEE10hipError_tPvRmT3_T4_T5_T6_T7_T9_mT8_P12ihipStream_tbDpT10_ENKUlT_T0_E_clISt17integral_constantIbLb0EES1C_EEDaS17_S18_EUlS17_E_NS1_11comp_targetILNS1_3genE4ELNS1_11target_archE910ELNS1_3gpuE8ELNS1_3repE0EEENS1_30default_config_static_selectorELNS0_4arch9wavefront6targetE1EEEvT1_.numbered_sgpr, 0
	.set _ZN7rocprim17ROCPRIM_400000_NS6detail17trampoline_kernelINS0_14default_configENS1_25partition_config_selectorILNS1_17partition_subalgoE8ElNS0_10empty_typeEbEEZZNS1_14partition_implILS5_8ELb0ES3_jPlPS6_PKS6_NS0_5tupleIJS9_S6_EEENSD_IJSA_SA_EEENS0_18inequality_wrapperIZN2at6native12_GLOBAL__N_124unique_dim_cuda_templateItEESt5tupleIJNSH_6TensorESM_SM_EERKSM_lbbbEUlllE0_EEPmJS6_EEE10hipError_tPvRmT3_T4_T5_T6_T7_T9_mT8_P12ihipStream_tbDpT10_ENKUlT_T0_E_clISt17integral_constantIbLb0EES1C_EEDaS17_S18_EUlS17_E_NS1_11comp_targetILNS1_3genE4ELNS1_11target_archE910ELNS1_3gpuE8ELNS1_3repE0EEENS1_30default_config_static_selectorELNS0_4arch9wavefront6targetE1EEEvT1_.num_named_barrier, 0
	.set _ZN7rocprim17ROCPRIM_400000_NS6detail17trampoline_kernelINS0_14default_configENS1_25partition_config_selectorILNS1_17partition_subalgoE8ElNS0_10empty_typeEbEEZZNS1_14partition_implILS5_8ELb0ES3_jPlPS6_PKS6_NS0_5tupleIJS9_S6_EEENSD_IJSA_SA_EEENS0_18inequality_wrapperIZN2at6native12_GLOBAL__N_124unique_dim_cuda_templateItEESt5tupleIJNSH_6TensorESM_SM_EERKSM_lbbbEUlllE0_EEPmJS6_EEE10hipError_tPvRmT3_T4_T5_T6_T7_T9_mT8_P12ihipStream_tbDpT10_ENKUlT_T0_E_clISt17integral_constantIbLb0EES1C_EEDaS17_S18_EUlS17_E_NS1_11comp_targetILNS1_3genE4ELNS1_11target_archE910ELNS1_3gpuE8ELNS1_3repE0EEENS1_30default_config_static_selectorELNS0_4arch9wavefront6targetE1EEEvT1_.private_seg_size, 0
	.set _ZN7rocprim17ROCPRIM_400000_NS6detail17trampoline_kernelINS0_14default_configENS1_25partition_config_selectorILNS1_17partition_subalgoE8ElNS0_10empty_typeEbEEZZNS1_14partition_implILS5_8ELb0ES3_jPlPS6_PKS6_NS0_5tupleIJS9_S6_EEENSD_IJSA_SA_EEENS0_18inequality_wrapperIZN2at6native12_GLOBAL__N_124unique_dim_cuda_templateItEESt5tupleIJNSH_6TensorESM_SM_EERKSM_lbbbEUlllE0_EEPmJS6_EEE10hipError_tPvRmT3_T4_T5_T6_T7_T9_mT8_P12ihipStream_tbDpT10_ENKUlT_T0_E_clISt17integral_constantIbLb0EES1C_EEDaS17_S18_EUlS17_E_NS1_11comp_targetILNS1_3genE4ELNS1_11target_archE910ELNS1_3gpuE8ELNS1_3repE0EEENS1_30default_config_static_selectorELNS0_4arch9wavefront6targetE1EEEvT1_.uses_vcc, 0
	.set _ZN7rocprim17ROCPRIM_400000_NS6detail17trampoline_kernelINS0_14default_configENS1_25partition_config_selectorILNS1_17partition_subalgoE8ElNS0_10empty_typeEbEEZZNS1_14partition_implILS5_8ELb0ES3_jPlPS6_PKS6_NS0_5tupleIJS9_S6_EEENSD_IJSA_SA_EEENS0_18inequality_wrapperIZN2at6native12_GLOBAL__N_124unique_dim_cuda_templateItEESt5tupleIJNSH_6TensorESM_SM_EERKSM_lbbbEUlllE0_EEPmJS6_EEE10hipError_tPvRmT3_T4_T5_T6_T7_T9_mT8_P12ihipStream_tbDpT10_ENKUlT_T0_E_clISt17integral_constantIbLb0EES1C_EEDaS17_S18_EUlS17_E_NS1_11comp_targetILNS1_3genE4ELNS1_11target_archE910ELNS1_3gpuE8ELNS1_3repE0EEENS1_30default_config_static_selectorELNS0_4arch9wavefront6targetE1EEEvT1_.uses_flat_scratch, 0
	.set _ZN7rocprim17ROCPRIM_400000_NS6detail17trampoline_kernelINS0_14default_configENS1_25partition_config_selectorILNS1_17partition_subalgoE8ElNS0_10empty_typeEbEEZZNS1_14partition_implILS5_8ELb0ES3_jPlPS6_PKS6_NS0_5tupleIJS9_S6_EEENSD_IJSA_SA_EEENS0_18inequality_wrapperIZN2at6native12_GLOBAL__N_124unique_dim_cuda_templateItEESt5tupleIJNSH_6TensorESM_SM_EERKSM_lbbbEUlllE0_EEPmJS6_EEE10hipError_tPvRmT3_T4_T5_T6_T7_T9_mT8_P12ihipStream_tbDpT10_ENKUlT_T0_E_clISt17integral_constantIbLb0EES1C_EEDaS17_S18_EUlS17_E_NS1_11comp_targetILNS1_3genE4ELNS1_11target_archE910ELNS1_3gpuE8ELNS1_3repE0EEENS1_30default_config_static_selectorELNS0_4arch9wavefront6targetE1EEEvT1_.has_dyn_sized_stack, 0
	.set _ZN7rocprim17ROCPRIM_400000_NS6detail17trampoline_kernelINS0_14default_configENS1_25partition_config_selectorILNS1_17partition_subalgoE8ElNS0_10empty_typeEbEEZZNS1_14partition_implILS5_8ELb0ES3_jPlPS6_PKS6_NS0_5tupleIJS9_S6_EEENSD_IJSA_SA_EEENS0_18inequality_wrapperIZN2at6native12_GLOBAL__N_124unique_dim_cuda_templateItEESt5tupleIJNSH_6TensorESM_SM_EERKSM_lbbbEUlllE0_EEPmJS6_EEE10hipError_tPvRmT3_T4_T5_T6_T7_T9_mT8_P12ihipStream_tbDpT10_ENKUlT_T0_E_clISt17integral_constantIbLb0EES1C_EEDaS17_S18_EUlS17_E_NS1_11comp_targetILNS1_3genE4ELNS1_11target_archE910ELNS1_3gpuE8ELNS1_3repE0EEENS1_30default_config_static_selectorELNS0_4arch9wavefront6targetE1EEEvT1_.has_recursion, 0
	.set _ZN7rocprim17ROCPRIM_400000_NS6detail17trampoline_kernelINS0_14default_configENS1_25partition_config_selectorILNS1_17partition_subalgoE8ElNS0_10empty_typeEbEEZZNS1_14partition_implILS5_8ELb0ES3_jPlPS6_PKS6_NS0_5tupleIJS9_S6_EEENSD_IJSA_SA_EEENS0_18inequality_wrapperIZN2at6native12_GLOBAL__N_124unique_dim_cuda_templateItEESt5tupleIJNSH_6TensorESM_SM_EERKSM_lbbbEUlllE0_EEPmJS6_EEE10hipError_tPvRmT3_T4_T5_T6_T7_T9_mT8_P12ihipStream_tbDpT10_ENKUlT_T0_E_clISt17integral_constantIbLb0EES1C_EEDaS17_S18_EUlS17_E_NS1_11comp_targetILNS1_3genE4ELNS1_11target_archE910ELNS1_3gpuE8ELNS1_3repE0EEENS1_30default_config_static_selectorELNS0_4arch9wavefront6targetE1EEEvT1_.has_indirect_call, 0
	.section	.AMDGPU.csdata,"",@progbits
; Kernel info:
; codeLenInByte = 0
; TotalNumSgprs: 6
; NumVgprs: 0
; NumAgprs: 0
; TotalNumVgprs: 0
; ScratchSize: 0
; MemoryBound: 0
; FloatMode: 240
; IeeeMode: 1
; LDSByteSize: 0 bytes/workgroup (compile time only)
; SGPRBlocks: 0
; VGPRBlocks: 0
; NumSGPRsForWavesPerEU: 6
; NumVGPRsForWavesPerEU: 1
; AccumOffset: 4
; Occupancy: 8
; WaveLimiterHint : 0
; COMPUTE_PGM_RSRC2:SCRATCH_EN: 0
; COMPUTE_PGM_RSRC2:USER_SGPR: 2
; COMPUTE_PGM_RSRC2:TRAP_HANDLER: 0
; COMPUTE_PGM_RSRC2:TGID_X_EN: 1
; COMPUTE_PGM_RSRC2:TGID_Y_EN: 0
; COMPUTE_PGM_RSRC2:TGID_Z_EN: 0
; COMPUTE_PGM_RSRC2:TIDIG_COMP_CNT: 0
; COMPUTE_PGM_RSRC3_GFX90A:ACCUM_OFFSET: 0
; COMPUTE_PGM_RSRC3_GFX90A:TG_SPLIT: 0
	.section	.text._ZN7rocprim17ROCPRIM_400000_NS6detail17trampoline_kernelINS0_14default_configENS1_25partition_config_selectorILNS1_17partition_subalgoE8ElNS0_10empty_typeEbEEZZNS1_14partition_implILS5_8ELb0ES3_jPlPS6_PKS6_NS0_5tupleIJS9_S6_EEENSD_IJSA_SA_EEENS0_18inequality_wrapperIZN2at6native12_GLOBAL__N_124unique_dim_cuda_templateItEESt5tupleIJNSH_6TensorESM_SM_EERKSM_lbbbEUlllE0_EEPmJS6_EEE10hipError_tPvRmT3_T4_T5_T6_T7_T9_mT8_P12ihipStream_tbDpT10_ENKUlT_T0_E_clISt17integral_constantIbLb0EES1C_EEDaS17_S18_EUlS17_E_NS1_11comp_targetILNS1_3genE3ELNS1_11target_archE908ELNS1_3gpuE7ELNS1_3repE0EEENS1_30default_config_static_selectorELNS0_4arch9wavefront6targetE1EEEvT1_,"axG",@progbits,_ZN7rocprim17ROCPRIM_400000_NS6detail17trampoline_kernelINS0_14default_configENS1_25partition_config_selectorILNS1_17partition_subalgoE8ElNS0_10empty_typeEbEEZZNS1_14partition_implILS5_8ELb0ES3_jPlPS6_PKS6_NS0_5tupleIJS9_S6_EEENSD_IJSA_SA_EEENS0_18inequality_wrapperIZN2at6native12_GLOBAL__N_124unique_dim_cuda_templateItEESt5tupleIJNSH_6TensorESM_SM_EERKSM_lbbbEUlllE0_EEPmJS6_EEE10hipError_tPvRmT3_T4_T5_T6_T7_T9_mT8_P12ihipStream_tbDpT10_ENKUlT_T0_E_clISt17integral_constantIbLb0EES1C_EEDaS17_S18_EUlS17_E_NS1_11comp_targetILNS1_3genE3ELNS1_11target_archE908ELNS1_3gpuE7ELNS1_3repE0EEENS1_30default_config_static_selectorELNS0_4arch9wavefront6targetE1EEEvT1_,comdat
	.globl	_ZN7rocprim17ROCPRIM_400000_NS6detail17trampoline_kernelINS0_14default_configENS1_25partition_config_selectorILNS1_17partition_subalgoE8ElNS0_10empty_typeEbEEZZNS1_14partition_implILS5_8ELb0ES3_jPlPS6_PKS6_NS0_5tupleIJS9_S6_EEENSD_IJSA_SA_EEENS0_18inequality_wrapperIZN2at6native12_GLOBAL__N_124unique_dim_cuda_templateItEESt5tupleIJNSH_6TensorESM_SM_EERKSM_lbbbEUlllE0_EEPmJS6_EEE10hipError_tPvRmT3_T4_T5_T6_T7_T9_mT8_P12ihipStream_tbDpT10_ENKUlT_T0_E_clISt17integral_constantIbLb0EES1C_EEDaS17_S18_EUlS17_E_NS1_11comp_targetILNS1_3genE3ELNS1_11target_archE908ELNS1_3gpuE7ELNS1_3repE0EEENS1_30default_config_static_selectorELNS0_4arch9wavefront6targetE1EEEvT1_ ; -- Begin function _ZN7rocprim17ROCPRIM_400000_NS6detail17trampoline_kernelINS0_14default_configENS1_25partition_config_selectorILNS1_17partition_subalgoE8ElNS0_10empty_typeEbEEZZNS1_14partition_implILS5_8ELb0ES3_jPlPS6_PKS6_NS0_5tupleIJS9_S6_EEENSD_IJSA_SA_EEENS0_18inequality_wrapperIZN2at6native12_GLOBAL__N_124unique_dim_cuda_templateItEESt5tupleIJNSH_6TensorESM_SM_EERKSM_lbbbEUlllE0_EEPmJS6_EEE10hipError_tPvRmT3_T4_T5_T6_T7_T9_mT8_P12ihipStream_tbDpT10_ENKUlT_T0_E_clISt17integral_constantIbLb0EES1C_EEDaS17_S18_EUlS17_E_NS1_11comp_targetILNS1_3genE3ELNS1_11target_archE908ELNS1_3gpuE7ELNS1_3repE0EEENS1_30default_config_static_selectorELNS0_4arch9wavefront6targetE1EEEvT1_
	.p2align	8
	.type	_ZN7rocprim17ROCPRIM_400000_NS6detail17trampoline_kernelINS0_14default_configENS1_25partition_config_selectorILNS1_17partition_subalgoE8ElNS0_10empty_typeEbEEZZNS1_14partition_implILS5_8ELb0ES3_jPlPS6_PKS6_NS0_5tupleIJS9_S6_EEENSD_IJSA_SA_EEENS0_18inequality_wrapperIZN2at6native12_GLOBAL__N_124unique_dim_cuda_templateItEESt5tupleIJNSH_6TensorESM_SM_EERKSM_lbbbEUlllE0_EEPmJS6_EEE10hipError_tPvRmT3_T4_T5_T6_T7_T9_mT8_P12ihipStream_tbDpT10_ENKUlT_T0_E_clISt17integral_constantIbLb0EES1C_EEDaS17_S18_EUlS17_E_NS1_11comp_targetILNS1_3genE3ELNS1_11target_archE908ELNS1_3gpuE7ELNS1_3repE0EEENS1_30default_config_static_selectorELNS0_4arch9wavefront6targetE1EEEvT1_,@function
_ZN7rocprim17ROCPRIM_400000_NS6detail17trampoline_kernelINS0_14default_configENS1_25partition_config_selectorILNS1_17partition_subalgoE8ElNS0_10empty_typeEbEEZZNS1_14partition_implILS5_8ELb0ES3_jPlPS6_PKS6_NS0_5tupleIJS9_S6_EEENSD_IJSA_SA_EEENS0_18inequality_wrapperIZN2at6native12_GLOBAL__N_124unique_dim_cuda_templateItEESt5tupleIJNSH_6TensorESM_SM_EERKSM_lbbbEUlllE0_EEPmJS6_EEE10hipError_tPvRmT3_T4_T5_T6_T7_T9_mT8_P12ihipStream_tbDpT10_ENKUlT_T0_E_clISt17integral_constantIbLb0EES1C_EEDaS17_S18_EUlS17_E_NS1_11comp_targetILNS1_3genE3ELNS1_11target_archE908ELNS1_3gpuE7ELNS1_3repE0EEENS1_30default_config_static_selectorELNS0_4arch9wavefront6targetE1EEEvT1_: ; @_ZN7rocprim17ROCPRIM_400000_NS6detail17trampoline_kernelINS0_14default_configENS1_25partition_config_selectorILNS1_17partition_subalgoE8ElNS0_10empty_typeEbEEZZNS1_14partition_implILS5_8ELb0ES3_jPlPS6_PKS6_NS0_5tupleIJS9_S6_EEENSD_IJSA_SA_EEENS0_18inequality_wrapperIZN2at6native12_GLOBAL__N_124unique_dim_cuda_templateItEESt5tupleIJNSH_6TensorESM_SM_EERKSM_lbbbEUlllE0_EEPmJS6_EEE10hipError_tPvRmT3_T4_T5_T6_T7_T9_mT8_P12ihipStream_tbDpT10_ENKUlT_T0_E_clISt17integral_constantIbLb0EES1C_EEDaS17_S18_EUlS17_E_NS1_11comp_targetILNS1_3genE3ELNS1_11target_archE908ELNS1_3gpuE7ELNS1_3repE0EEENS1_30default_config_static_selectorELNS0_4arch9wavefront6targetE1EEEvT1_
; %bb.0:
	.section	.rodata,"a",@progbits
	.p2align	6, 0x0
	.amdhsa_kernel _ZN7rocprim17ROCPRIM_400000_NS6detail17trampoline_kernelINS0_14default_configENS1_25partition_config_selectorILNS1_17partition_subalgoE8ElNS0_10empty_typeEbEEZZNS1_14partition_implILS5_8ELb0ES3_jPlPS6_PKS6_NS0_5tupleIJS9_S6_EEENSD_IJSA_SA_EEENS0_18inequality_wrapperIZN2at6native12_GLOBAL__N_124unique_dim_cuda_templateItEESt5tupleIJNSH_6TensorESM_SM_EERKSM_lbbbEUlllE0_EEPmJS6_EEE10hipError_tPvRmT3_T4_T5_T6_T7_T9_mT8_P12ihipStream_tbDpT10_ENKUlT_T0_E_clISt17integral_constantIbLb0EES1C_EEDaS17_S18_EUlS17_E_NS1_11comp_targetILNS1_3genE3ELNS1_11target_archE908ELNS1_3gpuE7ELNS1_3repE0EEENS1_30default_config_static_selectorELNS0_4arch9wavefront6targetE1EEEvT1_
		.amdhsa_group_segment_fixed_size 0
		.amdhsa_private_segment_fixed_size 0
		.amdhsa_kernarg_size 120
		.amdhsa_user_sgpr_count 2
		.amdhsa_user_sgpr_dispatch_ptr 0
		.amdhsa_user_sgpr_queue_ptr 0
		.amdhsa_user_sgpr_kernarg_segment_ptr 1
		.amdhsa_user_sgpr_dispatch_id 0
		.amdhsa_user_sgpr_kernarg_preload_length 0
		.amdhsa_user_sgpr_kernarg_preload_offset 0
		.amdhsa_user_sgpr_private_segment_size 0
		.amdhsa_uses_dynamic_stack 0
		.amdhsa_enable_private_segment 0
		.amdhsa_system_sgpr_workgroup_id_x 1
		.amdhsa_system_sgpr_workgroup_id_y 0
		.amdhsa_system_sgpr_workgroup_id_z 0
		.amdhsa_system_sgpr_workgroup_info 0
		.amdhsa_system_vgpr_workitem_id 0
		.amdhsa_next_free_vgpr 1
		.amdhsa_next_free_sgpr 0
		.amdhsa_accum_offset 4
		.amdhsa_reserve_vcc 0
		.amdhsa_float_round_mode_32 0
		.amdhsa_float_round_mode_16_64 0
		.amdhsa_float_denorm_mode_32 3
		.amdhsa_float_denorm_mode_16_64 3
		.amdhsa_dx10_clamp 1
		.amdhsa_ieee_mode 1
		.amdhsa_fp16_overflow 0
		.amdhsa_tg_split 0
		.amdhsa_exception_fp_ieee_invalid_op 0
		.amdhsa_exception_fp_denorm_src 0
		.amdhsa_exception_fp_ieee_div_zero 0
		.amdhsa_exception_fp_ieee_overflow 0
		.amdhsa_exception_fp_ieee_underflow 0
		.amdhsa_exception_fp_ieee_inexact 0
		.amdhsa_exception_int_div_zero 0
	.end_amdhsa_kernel
	.section	.text._ZN7rocprim17ROCPRIM_400000_NS6detail17trampoline_kernelINS0_14default_configENS1_25partition_config_selectorILNS1_17partition_subalgoE8ElNS0_10empty_typeEbEEZZNS1_14partition_implILS5_8ELb0ES3_jPlPS6_PKS6_NS0_5tupleIJS9_S6_EEENSD_IJSA_SA_EEENS0_18inequality_wrapperIZN2at6native12_GLOBAL__N_124unique_dim_cuda_templateItEESt5tupleIJNSH_6TensorESM_SM_EERKSM_lbbbEUlllE0_EEPmJS6_EEE10hipError_tPvRmT3_T4_T5_T6_T7_T9_mT8_P12ihipStream_tbDpT10_ENKUlT_T0_E_clISt17integral_constantIbLb0EES1C_EEDaS17_S18_EUlS17_E_NS1_11comp_targetILNS1_3genE3ELNS1_11target_archE908ELNS1_3gpuE7ELNS1_3repE0EEENS1_30default_config_static_selectorELNS0_4arch9wavefront6targetE1EEEvT1_,"axG",@progbits,_ZN7rocprim17ROCPRIM_400000_NS6detail17trampoline_kernelINS0_14default_configENS1_25partition_config_selectorILNS1_17partition_subalgoE8ElNS0_10empty_typeEbEEZZNS1_14partition_implILS5_8ELb0ES3_jPlPS6_PKS6_NS0_5tupleIJS9_S6_EEENSD_IJSA_SA_EEENS0_18inequality_wrapperIZN2at6native12_GLOBAL__N_124unique_dim_cuda_templateItEESt5tupleIJNSH_6TensorESM_SM_EERKSM_lbbbEUlllE0_EEPmJS6_EEE10hipError_tPvRmT3_T4_T5_T6_T7_T9_mT8_P12ihipStream_tbDpT10_ENKUlT_T0_E_clISt17integral_constantIbLb0EES1C_EEDaS17_S18_EUlS17_E_NS1_11comp_targetILNS1_3genE3ELNS1_11target_archE908ELNS1_3gpuE7ELNS1_3repE0EEENS1_30default_config_static_selectorELNS0_4arch9wavefront6targetE1EEEvT1_,comdat
.Lfunc_end1422:
	.size	_ZN7rocprim17ROCPRIM_400000_NS6detail17trampoline_kernelINS0_14default_configENS1_25partition_config_selectorILNS1_17partition_subalgoE8ElNS0_10empty_typeEbEEZZNS1_14partition_implILS5_8ELb0ES3_jPlPS6_PKS6_NS0_5tupleIJS9_S6_EEENSD_IJSA_SA_EEENS0_18inequality_wrapperIZN2at6native12_GLOBAL__N_124unique_dim_cuda_templateItEESt5tupleIJNSH_6TensorESM_SM_EERKSM_lbbbEUlllE0_EEPmJS6_EEE10hipError_tPvRmT3_T4_T5_T6_T7_T9_mT8_P12ihipStream_tbDpT10_ENKUlT_T0_E_clISt17integral_constantIbLb0EES1C_EEDaS17_S18_EUlS17_E_NS1_11comp_targetILNS1_3genE3ELNS1_11target_archE908ELNS1_3gpuE7ELNS1_3repE0EEENS1_30default_config_static_selectorELNS0_4arch9wavefront6targetE1EEEvT1_, .Lfunc_end1422-_ZN7rocprim17ROCPRIM_400000_NS6detail17trampoline_kernelINS0_14default_configENS1_25partition_config_selectorILNS1_17partition_subalgoE8ElNS0_10empty_typeEbEEZZNS1_14partition_implILS5_8ELb0ES3_jPlPS6_PKS6_NS0_5tupleIJS9_S6_EEENSD_IJSA_SA_EEENS0_18inequality_wrapperIZN2at6native12_GLOBAL__N_124unique_dim_cuda_templateItEESt5tupleIJNSH_6TensorESM_SM_EERKSM_lbbbEUlllE0_EEPmJS6_EEE10hipError_tPvRmT3_T4_T5_T6_T7_T9_mT8_P12ihipStream_tbDpT10_ENKUlT_T0_E_clISt17integral_constantIbLb0EES1C_EEDaS17_S18_EUlS17_E_NS1_11comp_targetILNS1_3genE3ELNS1_11target_archE908ELNS1_3gpuE7ELNS1_3repE0EEENS1_30default_config_static_selectorELNS0_4arch9wavefront6targetE1EEEvT1_
                                        ; -- End function
	.set _ZN7rocprim17ROCPRIM_400000_NS6detail17trampoline_kernelINS0_14default_configENS1_25partition_config_selectorILNS1_17partition_subalgoE8ElNS0_10empty_typeEbEEZZNS1_14partition_implILS5_8ELb0ES3_jPlPS6_PKS6_NS0_5tupleIJS9_S6_EEENSD_IJSA_SA_EEENS0_18inequality_wrapperIZN2at6native12_GLOBAL__N_124unique_dim_cuda_templateItEESt5tupleIJNSH_6TensorESM_SM_EERKSM_lbbbEUlllE0_EEPmJS6_EEE10hipError_tPvRmT3_T4_T5_T6_T7_T9_mT8_P12ihipStream_tbDpT10_ENKUlT_T0_E_clISt17integral_constantIbLb0EES1C_EEDaS17_S18_EUlS17_E_NS1_11comp_targetILNS1_3genE3ELNS1_11target_archE908ELNS1_3gpuE7ELNS1_3repE0EEENS1_30default_config_static_selectorELNS0_4arch9wavefront6targetE1EEEvT1_.num_vgpr, 0
	.set _ZN7rocprim17ROCPRIM_400000_NS6detail17trampoline_kernelINS0_14default_configENS1_25partition_config_selectorILNS1_17partition_subalgoE8ElNS0_10empty_typeEbEEZZNS1_14partition_implILS5_8ELb0ES3_jPlPS6_PKS6_NS0_5tupleIJS9_S6_EEENSD_IJSA_SA_EEENS0_18inequality_wrapperIZN2at6native12_GLOBAL__N_124unique_dim_cuda_templateItEESt5tupleIJNSH_6TensorESM_SM_EERKSM_lbbbEUlllE0_EEPmJS6_EEE10hipError_tPvRmT3_T4_T5_T6_T7_T9_mT8_P12ihipStream_tbDpT10_ENKUlT_T0_E_clISt17integral_constantIbLb0EES1C_EEDaS17_S18_EUlS17_E_NS1_11comp_targetILNS1_3genE3ELNS1_11target_archE908ELNS1_3gpuE7ELNS1_3repE0EEENS1_30default_config_static_selectorELNS0_4arch9wavefront6targetE1EEEvT1_.num_agpr, 0
	.set _ZN7rocprim17ROCPRIM_400000_NS6detail17trampoline_kernelINS0_14default_configENS1_25partition_config_selectorILNS1_17partition_subalgoE8ElNS0_10empty_typeEbEEZZNS1_14partition_implILS5_8ELb0ES3_jPlPS6_PKS6_NS0_5tupleIJS9_S6_EEENSD_IJSA_SA_EEENS0_18inequality_wrapperIZN2at6native12_GLOBAL__N_124unique_dim_cuda_templateItEESt5tupleIJNSH_6TensorESM_SM_EERKSM_lbbbEUlllE0_EEPmJS6_EEE10hipError_tPvRmT3_T4_T5_T6_T7_T9_mT8_P12ihipStream_tbDpT10_ENKUlT_T0_E_clISt17integral_constantIbLb0EES1C_EEDaS17_S18_EUlS17_E_NS1_11comp_targetILNS1_3genE3ELNS1_11target_archE908ELNS1_3gpuE7ELNS1_3repE0EEENS1_30default_config_static_selectorELNS0_4arch9wavefront6targetE1EEEvT1_.numbered_sgpr, 0
	.set _ZN7rocprim17ROCPRIM_400000_NS6detail17trampoline_kernelINS0_14default_configENS1_25partition_config_selectorILNS1_17partition_subalgoE8ElNS0_10empty_typeEbEEZZNS1_14partition_implILS5_8ELb0ES3_jPlPS6_PKS6_NS0_5tupleIJS9_S6_EEENSD_IJSA_SA_EEENS0_18inequality_wrapperIZN2at6native12_GLOBAL__N_124unique_dim_cuda_templateItEESt5tupleIJNSH_6TensorESM_SM_EERKSM_lbbbEUlllE0_EEPmJS6_EEE10hipError_tPvRmT3_T4_T5_T6_T7_T9_mT8_P12ihipStream_tbDpT10_ENKUlT_T0_E_clISt17integral_constantIbLb0EES1C_EEDaS17_S18_EUlS17_E_NS1_11comp_targetILNS1_3genE3ELNS1_11target_archE908ELNS1_3gpuE7ELNS1_3repE0EEENS1_30default_config_static_selectorELNS0_4arch9wavefront6targetE1EEEvT1_.num_named_barrier, 0
	.set _ZN7rocprim17ROCPRIM_400000_NS6detail17trampoline_kernelINS0_14default_configENS1_25partition_config_selectorILNS1_17partition_subalgoE8ElNS0_10empty_typeEbEEZZNS1_14partition_implILS5_8ELb0ES3_jPlPS6_PKS6_NS0_5tupleIJS9_S6_EEENSD_IJSA_SA_EEENS0_18inequality_wrapperIZN2at6native12_GLOBAL__N_124unique_dim_cuda_templateItEESt5tupleIJNSH_6TensorESM_SM_EERKSM_lbbbEUlllE0_EEPmJS6_EEE10hipError_tPvRmT3_T4_T5_T6_T7_T9_mT8_P12ihipStream_tbDpT10_ENKUlT_T0_E_clISt17integral_constantIbLb0EES1C_EEDaS17_S18_EUlS17_E_NS1_11comp_targetILNS1_3genE3ELNS1_11target_archE908ELNS1_3gpuE7ELNS1_3repE0EEENS1_30default_config_static_selectorELNS0_4arch9wavefront6targetE1EEEvT1_.private_seg_size, 0
	.set _ZN7rocprim17ROCPRIM_400000_NS6detail17trampoline_kernelINS0_14default_configENS1_25partition_config_selectorILNS1_17partition_subalgoE8ElNS0_10empty_typeEbEEZZNS1_14partition_implILS5_8ELb0ES3_jPlPS6_PKS6_NS0_5tupleIJS9_S6_EEENSD_IJSA_SA_EEENS0_18inequality_wrapperIZN2at6native12_GLOBAL__N_124unique_dim_cuda_templateItEESt5tupleIJNSH_6TensorESM_SM_EERKSM_lbbbEUlllE0_EEPmJS6_EEE10hipError_tPvRmT3_T4_T5_T6_T7_T9_mT8_P12ihipStream_tbDpT10_ENKUlT_T0_E_clISt17integral_constantIbLb0EES1C_EEDaS17_S18_EUlS17_E_NS1_11comp_targetILNS1_3genE3ELNS1_11target_archE908ELNS1_3gpuE7ELNS1_3repE0EEENS1_30default_config_static_selectorELNS0_4arch9wavefront6targetE1EEEvT1_.uses_vcc, 0
	.set _ZN7rocprim17ROCPRIM_400000_NS6detail17trampoline_kernelINS0_14default_configENS1_25partition_config_selectorILNS1_17partition_subalgoE8ElNS0_10empty_typeEbEEZZNS1_14partition_implILS5_8ELb0ES3_jPlPS6_PKS6_NS0_5tupleIJS9_S6_EEENSD_IJSA_SA_EEENS0_18inequality_wrapperIZN2at6native12_GLOBAL__N_124unique_dim_cuda_templateItEESt5tupleIJNSH_6TensorESM_SM_EERKSM_lbbbEUlllE0_EEPmJS6_EEE10hipError_tPvRmT3_T4_T5_T6_T7_T9_mT8_P12ihipStream_tbDpT10_ENKUlT_T0_E_clISt17integral_constantIbLb0EES1C_EEDaS17_S18_EUlS17_E_NS1_11comp_targetILNS1_3genE3ELNS1_11target_archE908ELNS1_3gpuE7ELNS1_3repE0EEENS1_30default_config_static_selectorELNS0_4arch9wavefront6targetE1EEEvT1_.uses_flat_scratch, 0
	.set _ZN7rocprim17ROCPRIM_400000_NS6detail17trampoline_kernelINS0_14default_configENS1_25partition_config_selectorILNS1_17partition_subalgoE8ElNS0_10empty_typeEbEEZZNS1_14partition_implILS5_8ELb0ES3_jPlPS6_PKS6_NS0_5tupleIJS9_S6_EEENSD_IJSA_SA_EEENS0_18inequality_wrapperIZN2at6native12_GLOBAL__N_124unique_dim_cuda_templateItEESt5tupleIJNSH_6TensorESM_SM_EERKSM_lbbbEUlllE0_EEPmJS6_EEE10hipError_tPvRmT3_T4_T5_T6_T7_T9_mT8_P12ihipStream_tbDpT10_ENKUlT_T0_E_clISt17integral_constantIbLb0EES1C_EEDaS17_S18_EUlS17_E_NS1_11comp_targetILNS1_3genE3ELNS1_11target_archE908ELNS1_3gpuE7ELNS1_3repE0EEENS1_30default_config_static_selectorELNS0_4arch9wavefront6targetE1EEEvT1_.has_dyn_sized_stack, 0
	.set _ZN7rocprim17ROCPRIM_400000_NS6detail17trampoline_kernelINS0_14default_configENS1_25partition_config_selectorILNS1_17partition_subalgoE8ElNS0_10empty_typeEbEEZZNS1_14partition_implILS5_8ELb0ES3_jPlPS6_PKS6_NS0_5tupleIJS9_S6_EEENSD_IJSA_SA_EEENS0_18inequality_wrapperIZN2at6native12_GLOBAL__N_124unique_dim_cuda_templateItEESt5tupleIJNSH_6TensorESM_SM_EERKSM_lbbbEUlllE0_EEPmJS6_EEE10hipError_tPvRmT3_T4_T5_T6_T7_T9_mT8_P12ihipStream_tbDpT10_ENKUlT_T0_E_clISt17integral_constantIbLb0EES1C_EEDaS17_S18_EUlS17_E_NS1_11comp_targetILNS1_3genE3ELNS1_11target_archE908ELNS1_3gpuE7ELNS1_3repE0EEENS1_30default_config_static_selectorELNS0_4arch9wavefront6targetE1EEEvT1_.has_recursion, 0
	.set _ZN7rocprim17ROCPRIM_400000_NS6detail17trampoline_kernelINS0_14default_configENS1_25partition_config_selectorILNS1_17partition_subalgoE8ElNS0_10empty_typeEbEEZZNS1_14partition_implILS5_8ELb0ES3_jPlPS6_PKS6_NS0_5tupleIJS9_S6_EEENSD_IJSA_SA_EEENS0_18inequality_wrapperIZN2at6native12_GLOBAL__N_124unique_dim_cuda_templateItEESt5tupleIJNSH_6TensorESM_SM_EERKSM_lbbbEUlllE0_EEPmJS6_EEE10hipError_tPvRmT3_T4_T5_T6_T7_T9_mT8_P12ihipStream_tbDpT10_ENKUlT_T0_E_clISt17integral_constantIbLb0EES1C_EEDaS17_S18_EUlS17_E_NS1_11comp_targetILNS1_3genE3ELNS1_11target_archE908ELNS1_3gpuE7ELNS1_3repE0EEENS1_30default_config_static_selectorELNS0_4arch9wavefront6targetE1EEEvT1_.has_indirect_call, 0
	.section	.AMDGPU.csdata,"",@progbits
; Kernel info:
; codeLenInByte = 0
; TotalNumSgprs: 6
; NumVgprs: 0
; NumAgprs: 0
; TotalNumVgprs: 0
; ScratchSize: 0
; MemoryBound: 0
; FloatMode: 240
; IeeeMode: 1
; LDSByteSize: 0 bytes/workgroup (compile time only)
; SGPRBlocks: 0
; VGPRBlocks: 0
; NumSGPRsForWavesPerEU: 6
; NumVGPRsForWavesPerEU: 1
; AccumOffset: 4
; Occupancy: 8
; WaveLimiterHint : 0
; COMPUTE_PGM_RSRC2:SCRATCH_EN: 0
; COMPUTE_PGM_RSRC2:USER_SGPR: 2
; COMPUTE_PGM_RSRC2:TRAP_HANDLER: 0
; COMPUTE_PGM_RSRC2:TGID_X_EN: 1
; COMPUTE_PGM_RSRC2:TGID_Y_EN: 0
; COMPUTE_PGM_RSRC2:TGID_Z_EN: 0
; COMPUTE_PGM_RSRC2:TIDIG_COMP_CNT: 0
; COMPUTE_PGM_RSRC3_GFX90A:ACCUM_OFFSET: 0
; COMPUTE_PGM_RSRC3_GFX90A:TG_SPLIT: 0
	.section	.text._ZN7rocprim17ROCPRIM_400000_NS6detail17trampoline_kernelINS0_14default_configENS1_25partition_config_selectorILNS1_17partition_subalgoE8ElNS0_10empty_typeEbEEZZNS1_14partition_implILS5_8ELb0ES3_jPlPS6_PKS6_NS0_5tupleIJS9_S6_EEENSD_IJSA_SA_EEENS0_18inequality_wrapperIZN2at6native12_GLOBAL__N_124unique_dim_cuda_templateItEESt5tupleIJNSH_6TensorESM_SM_EERKSM_lbbbEUlllE0_EEPmJS6_EEE10hipError_tPvRmT3_T4_T5_T6_T7_T9_mT8_P12ihipStream_tbDpT10_ENKUlT_T0_E_clISt17integral_constantIbLb0EES1C_EEDaS17_S18_EUlS17_E_NS1_11comp_targetILNS1_3genE2ELNS1_11target_archE906ELNS1_3gpuE6ELNS1_3repE0EEENS1_30default_config_static_selectorELNS0_4arch9wavefront6targetE1EEEvT1_,"axG",@progbits,_ZN7rocprim17ROCPRIM_400000_NS6detail17trampoline_kernelINS0_14default_configENS1_25partition_config_selectorILNS1_17partition_subalgoE8ElNS0_10empty_typeEbEEZZNS1_14partition_implILS5_8ELb0ES3_jPlPS6_PKS6_NS0_5tupleIJS9_S6_EEENSD_IJSA_SA_EEENS0_18inequality_wrapperIZN2at6native12_GLOBAL__N_124unique_dim_cuda_templateItEESt5tupleIJNSH_6TensorESM_SM_EERKSM_lbbbEUlllE0_EEPmJS6_EEE10hipError_tPvRmT3_T4_T5_T6_T7_T9_mT8_P12ihipStream_tbDpT10_ENKUlT_T0_E_clISt17integral_constantIbLb0EES1C_EEDaS17_S18_EUlS17_E_NS1_11comp_targetILNS1_3genE2ELNS1_11target_archE906ELNS1_3gpuE6ELNS1_3repE0EEENS1_30default_config_static_selectorELNS0_4arch9wavefront6targetE1EEEvT1_,comdat
	.globl	_ZN7rocprim17ROCPRIM_400000_NS6detail17trampoline_kernelINS0_14default_configENS1_25partition_config_selectorILNS1_17partition_subalgoE8ElNS0_10empty_typeEbEEZZNS1_14partition_implILS5_8ELb0ES3_jPlPS6_PKS6_NS0_5tupleIJS9_S6_EEENSD_IJSA_SA_EEENS0_18inequality_wrapperIZN2at6native12_GLOBAL__N_124unique_dim_cuda_templateItEESt5tupleIJNSH_6TensorESM_SM_EERKSM_lbbbEUlllE0_EEPmJS6_EEE10hipError_tPvRmT3_T4_T5_T6_T7_T9_mT8_P12ihipStream_tbDpT10_ENKUlT_T0_E_clISt17integral_constantIbLb0EES1C_EEDaS17_S18_EUlS17_E_NS1_11comp_targetILNS1_3genE2ELNS1_11target_archE906ELNS1_3gpuE6ELNS1_3repE0EEENS1_30default_config_static_selectorELNS0_4arch9wavefront6targetE1EEEvT1_ ; -- Begin function _ZN7rocprim17ROCPRIM_400000_NS6detail17trampoline_kernelINS0_14default_configENS1_25partition_config_selectorILNS1_17partition_subalgoE8ElNS0_10empty_typeEbEEZZNS1_14partition_implILS5_8ELb0ES3_jPlPS6_PKS6_NS0_5tupleIJS9_S6_EEENSD_IJSA_SA_EEENS0_18inequality_wrapperIZN2at6native12_GLOBAL__N_124unique_dim_cuda_templateItEESt5tupleIJNSH_6TensorESM_SM_EERKSM_lbbbEUlllE0_EEPmJS6_EEE10hipError_tPvRmT3_T4_T5_T6_T7_T9_mT8_P12ihipStream_tbDpT10_ENKUlT_T0_E_clISt17integral_constantIbLb0EES1C_EEDaS17_S18_EUlS17_E_NS1_11comp_targetILNS1_3genE2ELNS1_11target_archE906ELNS1_3gpuE6ELNS1_3repE0EEENS1_30default_config_static_selectorELNS0_4arch9wavefront6targetE1EEEvT1_
	.p2align	8
	.type	_ZN7rocprim17ROCPRIM_400000_NS6detail17trampoline_kernelINS0_14default_configENS1_25partition_config_selectorILNS1_17partition_subalgoE8ElNS0_10empty_typeEbEEZZNS1_14partition_implILS5_8ELb0ES3_jPlPS6_PKS6_NS0_5tupleIJS9_S6_EEENSD_IJSA_SA_EEENS0_18inequality_wrapperIZN2at6native12_GLOBAL__N_124unique_dim_cuda_templateItEESt5tupleIJNSH_6TensorESM_SM_EERKSM_lbbbEUlllE0_EEPmJS6_EEE10hipError_tPvRmT3_T4_T5_T6_T7_T9_mT8_P12ihipStream_tbDpT10_ENKUlT_T0_E_clISt17integral_constantIbLb0EES1C_EEDaS17_S18_EUlS17_E_NS1_11comp_targetILNS1_3genE2ELNS1_11target_archE906ELNS1_3gpuE6ELNS1_3repE0EEENS1_30default_config_static_selectorELNS0_4arch9wavefront6targetE1EEEvT1_,@function
_ZN7rocprim17ROCPRIM_400000_NS6detail17trampoline_kernelINS0_14default_configENS1_25partition_config_selectorILNS1_17partition_subalgoE8ElNS0_10empty_typeEbEEZZNS1_14partition_implILS5_8ELb0ES3_jPlPS6_PKS6_NS0_5tupleIJS9_S6_EEENSD_IJSA_SA_EEENS0_18inequality_wrapperIZN2at6native12_GLOBAL__N_124unique_dim_cuda_templateItEESt5tupleIJNSH_6TensorESM_SM_EERKSM_lbbbEUlllE0_EEPmJS6_EEE10hipError_tPvRmT3_T4_T5_T6_T7_T9_mT8_P12ihipStream_tbDpT10_ENKUlT_T0_E_clISt17integral_constantIbLb0EES1C_EEDaS17_S18_EUlS17_E_NS1_11comp_targetILNS1_3genE2ELNS1_11target_archE906ELNS1_3gpuE6ELNS1_3repE0EEENS1_30default_config_static_selectorELNS0_4arch9wavefront6targetE1EEEvT1_: ; @_ZN7rocprim17ROCPRIM_400000_NS6detail17trampoline_kernelINS0_14default_configENS1_25partition_config_selectorILNS1_17partition_subalgoE8ElNS0_10empty_typeEbEEZZNS1_14partition_implILS5_8ELb0ES3_jPlPS6_PKS6_NS0_5tupleIJS9_S6_EEENSD_IJSA_SA_EEENS0_18inequality_wrapperIZN2at6native12_GLOBAL__N_124unique_dim_cuda_templateItEESt5tupleIJNSH_6TensorESM_SM_EERKSM_lbbbEUlllE0_EEPmJS6_EEE10hipError_tPvRmT3_T4_T5_T6_T7_T9_mT8_P12ihipStream_tbDpT10_ENKUlT_T0_E_clISt17integral_constantIbLb0EES1C_EEDaS17_S18_EUlS17_E_NS1_11comp_targetILNS1_3genE2ELNS1_11target_archE906ELNS1_3gpuE6ELNS1_3repE0EEENS1_30default_config_static_selectorELNS0_4arch9wavefront6targetE1EEEvT1_
; %bb.0:
	.section	.rodata,"a",@progbits
	.p2align	6, 0x0
	.amdhsa_kernel _ZN7rocprim17ROCPRIM_400000_NS6detail17trampoline_kernelINS0_14default_configENS1_25partition_config_selectorILNS1_17partition_subalgoE8ElNS0_10empty_typeEbEEZZNS1_14partition_implILS5_8ELb0ES3_jPlPS6_PKS6_NS0_5tupleIJS9_S6_EEENSD_IJSA_SA_EEENS0_18inequality_wrapperIZN2at6native12_GLOBAL__N_124unique_dim_cuda_templateItEESt5tupleIJNSH_6TensorESM_SM_EERKSM_lbbbEUlllE0_EEPmJS6_EEE10hipError_tPvRmT3_T4_T5_T6_T7_T9_mT8_P12ihipStream_tbDpT10_ENKUlT_T0_E_clISt17integral_constantIbLb0EES1C_EEDaS17_S18_EUlS17_E_NS1_11comp_targetILNS1_3genE2ELNS1_11target_archE906ELNS1_3gpuE6ELNS1_3repE0EEENS1_30default_config_static_selectorELNS0_4arch9wavefront6targetE1EEEvT1_
		.amdhsa_group_segment_fixed_size 0
		.amdhsa_private_segment_fixed_size 0
		.amdhsa_kernarg_size 120
		.amdhsa_user_sgpr_count 2
		.amdhsa_user_sgpr_dispatch_ptr 0
		.amdhsa_user_sgpr_queue_ptr 0
		.amdhsa_user_sgpr_kernarg_segment_ptr 1
		.amdhsa_user_sgpr_dispatch_id 0
		.amdhsa_user_sgpr_kernarg_preload_length 0
		.amdhsa_user_sgpr_kernarg_preload_offset 0
		.amdhsa_user_sgpr_private_segment_size 0
		.amdhsa_uses_dynamic_stack 0
		.amdhsa_enable_private_segment 0
		.amdhsa_system_sgpr_workgroup_id_x 1
		.amdhsa_system_sgpr_workgroup_id_y 0
		.amdhsa_system_sgpr_workgroup_id_z 0
		.amdhsa_system_sgpr_workgroup_info 0
		.amdhsa_system_vgpr_workitem_id 0
		.amdhsa_next_free_vgpr 1
		.amdhsa_next_free_sgpr 0
		.amdhsa_accum_offset 4
		.amdhsa_reserve_vcc 0
		.amdhsa_float_round_mode_32 0
		.amdhsa_float_round_mode_16_64 0
		.amdhsa_float_denorm_mode_32 3
		.amdhsa_float_denorm_mode_16_64 3
		.amdhsa_dx10_clamp 1
		.amdhsa_ieee_mode 1
		.amdhsa_fp16_overflow 0
		.amdhsa_tg_split 0
		.amdhsa_exception_fp_ieee_invalid_op 0
		.amdhsa_exception_fp_denorm_src 0
		.amdhsa_exception_fp_ieee_div_zero 0
		.amdhsa_exception_fp_ieee_overflow 0
		.amdhsa_exception_fp_ieee_underflow 0
		.amdhsa_exception_fp_ieee_inexact 0
		.amdhsa_exception_int_div_zero 0
	.end_amdhsa_kernel
	.section	.text._ZN7rocprim17ROCPRIM_400000_NS6detail17trampoline_kernelINS0_14default_configENS1_25partition_config_selectorILNS1_17partition_subalgoE8ElNS0_10empty_typeEbEEZZNS1_14partition_implILS5_8ELb0ES3_jPlPS6_PKS6_NS0_5tupleIJS9_S6_EEENSD_IJSA_SA_EEENS0_18inequality_wrapperIZN2at6native12_GLOBAL__N_124unique_dim_cuda_templateItEESt5tupleIJNSH_6TensorESM_SM_EERKSM_lbbbEUlllE0_EEPmJS6_EEE10hipError_tPvRmT3_T4_T5_T6_T7_T9_mT8_P12ihipStream_tbDpT10_ENKUlT_T0_E_clISt17integral_constantIbLb0EES1C_EEDaS17_S18_EUlS17_E_NS1_11comp_targetILNS1_3genE2ELNS1_11target_archE906ELNS1_3gpuE6ELNS1_3repE0EEENS1_30default_config_static_selectorELNS0_4arch9wavefront6targetE1EEEvT1_,"axG",@progbits,_ZN7rocprim17ROCPRIM_400000_NS6detail17trampoline_kernelINS0_14default_configENS1_25partition_config_selectorILNS1_17partition_subalgoE8ElNS0_10empty_typeEbEEZZNS1_14partition_implILS5_8ELb0ES3_jPlPS6_PKS6_NS0_5tupleIJS9_S6_EEENSD_IJSA_SA_EEENS0_18inequality_wrapperIZN2at6native12_GLOBAL__N_124unique_dim_cuda_templateItEESt5tupleIJNSH_6TensorESM_SM_EERKSM_lbbbEUlllE0_EEPmJS6_EEE10hipError_tPvRmT3_T4_T5_T6_T7_T9_mT8_P12ihipStream_tbDpT10_ENKUlT_T0_E_clISt17integral_constantIbLb0EES1C_EEDaS17_S18_EUlS17_E_NS1_11comp_targetILNS1_3genE2ELNS1_11target_archE906ELNS1_3gpuE6ELNS1_3repE0EEENS1_30default_config_static_selectorELNS0_4arch9wavefront6targetE1EEEvT1_,comdat
.Lfunc_end1423:
	.size	_ZN7rocprim17ROCPRIM_400000_NS6detail17trampoline_kernelINS0_14default_configENS1_25partition_config_selectorILNS1_17partition_subalgoE8ElNS0_10empty_typeEbEEZZNS1_14partition_implILS5_8ELb0ES3_jPlPS6_PKS6_NS0_5tupleIJS9_S6_EEENSD_IJSA_SA_EEENS0_18inequality_wrapperIZN2at6native12_GLOBAL__N_124unique_dim_cuda_templateItEESt5tupleIJNSH_6TensorESM_SM_EERKSM_lbbbEUlllE0_EEPmJS6_EEE10hipError_tPvRmT3_T4_T5_T6_T7_T9_mT8_P12ihipStream_tbDpT10_ENKUlT_T0_E_clISt17integral_constantIbLb0EES1C_EEDaS17_S18_EUlS17_E_NS1_11comp_targetILNS1_3genE2ELNS1_11target_archE906ELNS1_3gpuE6ELNS1_3repE0EEENS1_30default_config_static_selectorELNS0_4arch9wavefront6targetE1EEEvT1_, .Lfunc_end1423-_ZN7rocprim17ROCPRIM_400000_NS6detail17trampoline_kernelINS0_14default_configENS1_25partition_config_selectorILNS1_17partition_subalgoE8ElNS0_10empty_typeEbEEZZNS1_14partition_implILS5_8ELb0ES3_jPlPS6_PKS6_NS0_5tupleIJS9_S6_EEENSD_IJSA_SA_EEENS0_18inequality_wrapperIZN2at6native12_GLOBAL__N_124unique_dim_cuda_templateItEESt5tupleIJNSH_6TensorESM_SM_EERKSM_lbbbEUlllE0_EEPmJS6_EEE10hipError_tPvRmT3_T4_T5_T6_T7_T9_mT8_P12ihipStream_tbDpT10_ENKUlT_T0_E_clISt17integral_constantIbLb0EES1C_EEDaS17_S18_EUlS17_E_NS1_11comp_targetILNS1_3genE2ELNS1_11target_archE906ELNS1_3gpuE6ELNS1_3repE0EEENS1_30default_config_static_selectorELNS0_4arch9wavefront6targetE1EEEvT1_
                                        ; -- End function
	.set _ZN7rocprim17ROCPRIM_400000_NS6detail17trampoline_kernelINS0_14default_configENS1_25partition_config_selectorILNS1_17partition_subalgoE8ElNS0_10empty_typeEbEEZZNS1_14partition_implILS5_8ELb0ES3_jPlPS6_PKS6_NS0_5tupleIJS9_S6_EEENSD_IJSA_SA_EEENS0_18inequality_wrapperIZN2at6native12_GLOBAL__N_124unique_dim_cuda_templateItEESt5tupleIJNSH_6TensorESM_SM_EERKSM_lbbbEUlllE0_EEPmJS6_EEE10hipError_tPvRmT3_T4_T5_T6_T7_T9_mT8_P12ihipStream_tbDpT10_ENKUlT_T0_E_clISt17integral_constantIbLb0EES1C_EEDaS17_S18_EUlS17_E_NS1_11comp_targetILNS1_3genE2ELNS1_11target_archE906ELNS1_3gpuE6ELNS1_3repE0EEENS1_30default_config_static_selectorELNS0_4arch9wavefront6targetE1EEEvT1_.num_vgpr, 0
	.set _ZN7rocprim17ROCPRIM_400000_NS6detail17trampoline_kernelINS0_14default_configENS1_25partition_config_selectorILNS1_17partition_subalgoE8ElNS0_10empty_typeEbEEZZNS1_14partition_implILS5_8ELb0ES3_jPlPS6_PKS6_NS0_5tupleIJS9_S6_EEENSD_IJSA_SA_EEENS0_18inequality_wrapperIZN2at6native12_GLOBAL__N_124unique_dim_cuda_templateItEESt5tupleIJNSH_6TensorESM_SM_EERKSM_lbbbEUlllE0_EEPmJS6_EEE10hipError_tPvRmT3_T4_T5_T6_T7_T9_mT8_P12ihipStream_tbDpT10_ENKUlT_T0_E_clISt17integral_constantIbLb0EES1C_EEDaS17_S18_EUlS17_E_NS1_11comp_targetILNS1_3genE2ELNS1_11target_archE906ELNS1_3gpuE6ELNS1_3repE0EEENS1_30default_config_static_selectorELNS0_4arch9wavefront6targetE1EEEvT1_.num_agpr, 0
	.set _ZN7rocprim17ROCPRIM_400000_NS6detail17trampoline_kernelINS0_14default_configENS1_25partition_config_selectorILNS1_17partition_subalgoE8ElNS0_10empty_typeEbEEZZNS1_14partition_implILS5_8ELb0ES3_jPlPS6_PKS6_NS0_5tupleIJS9_S6_EEENSD_IJSA_SA_EEENS0_18inequality_wrapperIZN2at6native12_GLOBAL__N_124unique_dim_cuda_templateItEESt5tupleIJNSH_6TensorESM_SM_EERKSM_lbbbEUlllE0_EEPmJS6_EEE10hipError_tPvRmT3_T4_T5_T6_T7_T9_mT8_P12ihipStream_tbDpT10_ENKUlT_T0_E_clISt17integral_constantIbLb0EES1C_EEDaS17_S18_EUlS17_E_NS1_11comp_targetILNS1_3genE2ELNS1_11target_archE906ELNS1_3gpuE6ELNS1_3repE0EEENS1_30default_config_static_selectorELNS0_4arch9wavefront6targetE1EEEvT1_.numbered_sgpr, 0
	.set _ZN7rocprim17ROCPRIM_400000_NS6detail17trampoline_kernelINS0_14default_configENS1_25partition_config_selectorILNS1_17partition_subalgoE8ElNS0_10empty_typeEbEEZZNS1_14partition_implILS5_8ELb0ES3_jPlPS6_PKS6_NS0_5tupleIJS9_S6_EEENSD_IJSA_SA_EEENS0_18inequality_wrapperIZN2at6native12_GLOBAL__N_124unique_dim_cuda_templateItEESt5tupleIJNSH_6TensorESM_SM_EERKSM_lbbbEUlllE0_EEPmJS6_EEE10hipError_tPvRmT3_T4_T5_T6_T7_T9_mT8_P12ihipStream_tbDpT10_ENKUlT_T0_E_clISt17integral_constantIbLb0EES1C_EEDaS17_S18_EUlS17_E_NS1_11comp_targetILNS1_3genE2ELNS1_11target_archE906ELNS1_3gpuE6ELNS1_3repE0EEENS1_30default_config_static_selectorELNS0_4arch9wavefront6targetE1EEEvT1_.num_named_barrier, 0
	.set _ZN7rocprim17ROCPRIM_400000_NS6detail17trampoline_kernelINS0_14default_configENS1_25partition_config_selectorILNS1_17partition_subalgoE8ElNS0_10empty_typeEbEEZZNS1_14partition_implILS5_8ELb0ES3_jPlPS6_PKS6_NS0_5tupleIJS9_S6_EEENSD_IJSA_SA_EEENS0_18inequality_wrapperIZN2at6native12_GLOBAL__N_124unique_dim_cuda_templateItEESt5tupleIJNSH_6TensorESM_SM_EERKSM_lbbbEUlllE0_EEPmJS6_EEE10hipError_tPvRmT3_T4_T5_T6_T7_T9_mT8_P12ihipStream_tbDpT10_ENKUlT_T0_E_clISt17integral_constantIbLb0EES1C_EEDaS17_S18_EUlS17_E_NS1_11comp_targetILNS1_3genE2ELNS1_11target_archE906ELNS1_3gpuE6ELNS1_3repE0EEENS1_30default_config_static_selectorELNS0_4arch9wavefront6targetE1EEEvT1_.private_seg_size, 0
	.set _ZN7rocprim17ROCPRIM_400000_NS6detail17trampoline_kernelINS0_14default_configENS1_25partition_config_selectorILNS1_17partition_subalgoE8ElNS0_10empty_typeEbEEZZNS1_14partition_implILS5_8ELb0ES3_jPlPS6_PKS6_NS0_5tupleIJS9_S6_EEENSD_IJSA_SA_EEENS0_18inequality_wrapperIZN2at6native12_GLOBAL__N_124unique_dim_cuda_templateItEESt5tupleIJNSH_6TensorESM_SM_EERKSM_lbbbEUlllE0_EEPmJS6_EEE10hipError_tPvRmT3_T4_T5_T6_T7_T9_mT8_P12ihipStream_tbDpT10_ENKUlT_T0_E_clISt17integral_constantIbLb0EES1C_EEDaS17_S18_EUlS17_E_NS1_11comp_targetILNS1_3genE2ELNS1_11target_archE906ELNS1_3gpuE6ELNS1_3repE0EEENS1_30default_config_static_selectorELNS0_4arch9wavefront6targetE1EEEvT1_.uses_vcc, 0
	.set _ZN7rocprim17ROCPRIM_400000_NS6detail17trampoline_kernelINS0_14default_configENS1_25partition_config_selectorILNS1_17partition_subalgoE8ElNS0_10empty_typeEbEEZZNS1_14partition_implILS5_8ELb0ES3_jPlPS6_PKS6_NS0_5tupleIJS9_S6_EEENSD_IJSA_SA_EEENS0_18inequality_wrapperIZN2at6native12_GLOBAL__N_124unique_dim_cuda_templateItEESt5tupleIJNSH_6TensorESM_SM_EERKSM_lbbbEUlllE0_EEPmJS6_EEE10hipError_tPvRmT3_T4_T5_T6_T7_T9_mT8_P12ihipStream_tbDpT10_ENKUlT_T0_E_clISt17integral_constantIbLb0EES1C_EEDaS17_S18_EUlS17_E_NS1_11comp_targetILNS1_3genE2ELNS1_11target_archE906ELNS1_3gpuE6ELNS1_3repE0EEENS1_30default_config_static_selectorELNS0_4arch9wavefront6targetE1EEEvT1_.uses_flat_scratch, 0
	.set _ZN7rocprim17ROCPRIM_400000_NS6detail17trampoline_kernelINS0_14default_configENS1_25partition_config_selectorILNS1_17partition_subalgoE8ElNS0_10empty_typeEbEEZZNS1_14partition_implILS5_8ELb0ES3_jPlPS6_PKS6_NS0_5tupleIJS9_S6_EEENSD_IJSA_SA_EEENS0_18inequality_wrapperIZN2at6native12_GLOBAL__N_124unique_dim_cuda_templateItEESt5tupleIJNSH_6TensorESM_SM_EERKSM_lbbbEUlllE0_EEPmJS6_EEE10hipError_tPvRmT3_T4_T5_T6_T7_T9_mT8_P12ihipStream_tbDpT10_ENKUlT_T0_E_clISt17integral_constantIbLb0EES1C_EEDaS17_S18_EUlS17_E_NS1_11comp_targetILNS1_3genE2ELNS1_11target_archE906ELNS1_3gpuE6ELNS1_3repE0EEENS1_30default_config_static_selectorELNS0_4arch9wavefront6targetE1EEEvT1_.has_dyn_sized_stack, 0
	.set _ZN7rocprim17ROCPRIM_400000_NS6detail17trampoline_kernelINS0_14default_configENS1_25partition_config_selectorILNS1_17partition_subalgoE8ElNS0_10empty_typeEbEEZZNS1_14partition_implILS5_8ELb0ES3_jPlPS6_PKS6_NS0_5tupleIJS9_S6_EEENSD_IJSA_SA_EEENS0_18inequality_wrapperIZN2at6native12_GLOBAL__N_124unique_dim_cuda_templateItEESt5tupleIJNSH_6TensorESM_SM_EERKSM_lbbbEUlllE0_EEPmJS6_EEE10hipError_tPvRmT3_T4_T5_T6_T7_T9_mT8_P12ihipStream_tbDpT10_ENKUlT_T0_E_clISt17integral_constantIbLb0EES1C_EEDaS17_S18_EUlS17_E_NS1_11comp_targetILNS1_3genE2ELNS1_11target_archE906ELNS1_3gpuE6ELNS1_3repE0EEENS1_30default_config_static_selectorELNS0_4arch9wavefront6targetE1EEEvT1_.has_recursion, 0
	.set _ZN7rocprim17ROCPRIM_400000_NS6detail17trampoline_kernelINS0_14default_configENS1_25partition_config_selectorILNS1_17partition_subalgoE8ElNS0_10empty_typeEbEEZZNS1_14partition_implILS5_8ELb0ES3_jPlPS6_PKS6_NS0_5tupleIJS9_S6_EEENSD_IJSA_SA_EEENS0_18inequality_wrapperIZN2at6native12_GLOBAL__N_124unique_dim_cuda_templateItEESt5tupleIJNSH_6TensorESM_SM_EERKSM_lbbbEUlllE0_EEPmJS6_EEE10hipError_tPvRmT3_T4_T5_T6_T7_T9_mT8_P12ihipStream_tbDpT10_ENKUlT_T0_E_clISt17integral_constantIbLb0EES1C_EEDaS17_S18_EUlS17_E_NS1_11comp_targetILNS1_3genE2ELNS1_11target_archE906ELNS1_3gpuE6ELNS1_3repE0EEENS1_30default_config_static_selectorELNS0_4arch9wavefront6targetE1EEEvT1_.has_indirect_call, 0
	.section	.AMDGPU.csdata,"",@progbits
; Kernel info:
; codeLenInByte = 0
; TotalNumSgprs: 6
; NumVgprs: 0
; NumAgprs: 0
; TotalNumVgprs: 0
; ScratchSize: 0
; MemoryBound: 0
; FloatMode: 240
; IeeeMode: 1
; LDSByteSize: 0 bytes/workgroup (compile time only)
; SGPRBlocks: 0
; VGPRBlocks: 0
; NumSGPRsForWavesPerEU: 6
; NumVGPRsForWavesPerEU: 1
; AccumOffset: 4
; Occupancy: 8
; WaveLimiterHint : 0
; COMPUTE_PGM_RSRC2:SCRATCH_EN: 0
; COMPUTE_PGM_RSRC2:USER_SGPR: 2
; COMPUTE_PGM_RSRC2:TRAP_HANDLER: 0
; COMPUTE_PGM_RSRC2:TGID_X_EN: 1
; COMPUTE_PGM_RSRC2:TGID_Y_EN: 0
; COMPUTE_PGM_RSRC2:TGID_Z_EN: 0
; COMPUTE_PGM_RSRC2:TIDIG_COMP_CNT: 0
; COMPUTE_PGM_RSRC3_GFX90A:ACCUM_OFFSET: 0
; COMPUTE_PGM_RSRC3_GFX90A:TG_SPLIT: 0
	.section	.text._ZN7rocprim17ROCPRIM_400000_NS6detail17trampoline_kernelINS0_14default_configENS1_25partition_config_selectorILNS1_17partition_subalgoE8ElNS0_10empty_typeEbEEZZNS1_14partition_implILS5_8ELb0ES3_jPlPS6_PKS6_NS0_5tupleIJS9_S6_EEENSD_IJSA_SA_EEENS0_18inequality_wrapperIZN2at6native12_GLOBAL__N_124unique_dim_cuda_templateItEESt5tupleIJNSH_6TensorESM_SM_EERKSM_lbbbEUlllE0_EEPmJS6_EEE10hipError_tPvRmT3_T4_T5_T6_T7_T9_mT8_P12ihipStream_tbDpT10_ENKUlT_T0_E_clISt17integral_constantIbLb0EES1C_EEDaS17_S18_EUlS17_E_NS1_11comp_targetILNS1_3genE10ELNS1_11target_archE1200ELNS1_3gpuE4ELNS1_3repE0EEENS1_30default_config_static_selectorELNS0_4arch9wavefront6targetE1EEEvT1_,"axG",@progbits,_ZN7rocprim17ROCPRIM_400000_NS6detail17trampoline_kernelINS0_14default_configENS1_25partition_config_selectorILNS1_17partition_subalgoE8ElNS0_10empty_typeEbEEZZNS1_14partition_implILS5_8ELb0ES3_jPlPS6_PKS6_NS0_5tupleIJS9_S6_EEENSD_IJSA_SA_EEENS0_18inequality_wrapperIZN2at6native12_GLOBAL__N_124unique_dim_cuda_templateItEESt5tupleIJNSH_6TensorESM_SM_EERKSM_lbbbEUlllE0_EEPmJS6_EEE10hipError_tPvRmT3_T4_T5_T6_T7_T9_mT8_P12ihipStream_tbDpT10_ENKUlT_T0_E_clISt17integral_constantIbLb0EES1C_EEDaS17_S18_EUlS17_E_NS1_11comp_targetILNS1_3genE10ELNS1_11target_archE1200ELNS1_3gpuE4ELNS1_3repE0EEENS1_30default_config_static_selectorELNS0_4arch9wavefront6targetE1EEEvT1_,comdat
	.globl	_ZN7rocprim17ROCPRIM_400000_NS6detail17trampoline_kernelINS0_14default_configENS1_25partition_config_selectorILNS1_17partition_subalgoE8ElNS0_10empty_typeEbEEZZNS1_14partition_implILS5_8ELb0ES3_jPlPS6_PKS6_NS0_5tupleIJS9_S6_EEENSD_IJSA_SA_EEENS0_18inequality_wrapperIZN2at6native12_GLOBAL__N_124unique_dim_cuda_templateItEESt5tupleIJNSH_6TensorESM_SM_EERKSM_lbbbEUlllE0_EEPmJS6_EEE10hipError_tPvRmT3_T4_T5_T6_T7_T9_mT8_P12ihipStream_tbDpT10_ENKUlT_T0_E_clISt17integral_constantIbLb0EES1C_EEDaS17_S18_EUlS17_E_NS1_11comp_targetILNS1_3genE10ELNS1_11target_archE1200ELNS1_3gpuE4ELNS1_3repE0EEENS1_30default_config_static_selectorELNS0_4arch9wavefront6targetE1EEEvT1_ ; -- Begin function _ZN7rocprim17ROCPRIM_400000_NS6detail17trampoline_kernelINS0_14default_configENS1_25partition_config_selectorILNS1_17partition_subalgoE8ElNS0_10empty_typeEbEEZZNS1_14partition_implILS5_8ELb0ES3_jPlPS6_PKS6_NS0_5tupleIJS9_S6_EEENSD_IJSA_SA_EEENS0_18inequality_wrapperIZN2at6native12_GLOBAL__N_124unique_dim_cuda_templateItEESt5tupleIJNSH_6TensorESM_SM_EERKSM_lbbbEUlllE0_EEPmJS6_EEE10hipError_tPvRmT3_T4_T5_T6_T7_T9_mT8_P12ihipStream_tbDpT10_ENKUlT_T0_E_clISt17integral_constantIbLb0EES1C_EEDaS17_S18_EUlS17_E_NS1_11comp_targetILNS1_3genE10ELNS1_11target_archE1200ELNS1_3gpuE4ELNS1_3repE0EEENS1_30default_config_static_selectorELNS0_4arch9wavefront6targetE1EEEvT1_
	.p2align	8
	.type	_ZN7rocprim17ROCPRIM_400000_NS6detail17trampoline_kernelINS0_14default_configENS1_25partition_config_selectorILNS1_17partition_subalgoE8ElNS0_10empty_typeEbEEZZNS1_14partition_implILS5_8ELb0ES3_jPlPS6_PKS6_NS0_5tupleIJS9_S6_EEENSD_IJSA_SA_EEENS0_18inequality_wrapperIZN2at6native12_GLOBAL__N_124unique_dim_cuda_templateItEESt5tupleIJNSH_6TensorESM_SM_EERKSM_lbbbEUlllE0_EEPmJS6_EEE10hipError_tPvRmT3_T4_T5_T6_T7_T9_mT8_P12ihipStream_tbDpT10_ENKUlT_T0_E_clISt17integral_constantIbLb0EES1C_EEDaS17_S18_EUlS17_E_NS1_11comp_targetILNS1_3genE10ELNS1_11target_archE1200ELNS1_3gpuE4ELNS1_3repE0EEENS1_30default_config_static_selectorELNS0_4arch9wavefront6targetE1EEEvT1_,@function
_ZN7rocprim17ROCPRIM_400000_NS6detail17trampoline_kernelINS0_14default_configENS1_25partition_config_selectorILNS1_17partition_subalgoE8ElNS0_10empty_typeEbEEZZNS1_14partition_implILS5_8ELb0ES3_jPlPS6_PKS6_NS0_5tupleIJS9_S6_EEENSD_IJSA_SA_EEENS0_18inequality_wrapperIZN2at6native12_GLOBAL__N_124unique_dim_cuda_templateItEESt5tupleIJNSH_6TensorESM_SM_EERKSM_lbbbEUlllE0_EEPmJS6_EEE10hipError_tPvRmT3_T4_T5_T6_T7_T9_mT8_P12ihipStream_tbDpT10_ENKUlT_T0_E_clISt17integral_constantIbLb0EES1C_EEDaS17_S18_EUlS17_E_NS1_11comp_targetILNS1_3genE10ELNS1_11target_archE1200ELNS1_3gpuE4ELNS1_3repE0EEENS1_30default_config_static_selectorELNS0_4arch9wavefront6targetE1EEEvT1_: ; @_ZN7rocprim17ROCPRIM_400000_NS6detail17trampoline_kernelINS0_14default_configENS1_25partition_config_selectorILNS1_17partition_subalgoE8ElNS0_10empty_typeEbEEZZNS1_14partition_implILS5_8ELb0ES3_jPlPS6_PKS6_NS0_5tupleIJS9_S6_EEENSD_IJSA_SA_EEENS0_18inequality_wrapperIZN2at6native12_GLOBAL__N_124unique_dim_cuda_templateItEESt5tupleIJNSH_6TensorESM_SM_EERKSM_lbbbEUlllE0_EEPmJS6_EEE10hipError_tPvRmT3_T4_T5_T6_T7_T9_mT8_P12ihipStream_tbDpT10_ENKUlT_T0_E_clISt17integral_constantIbLb0EES1C_EEDaS17_S18_EUlS17_E_NS1_11comp_targetILNS1_3genE10ELNS1_11target_archE1200ELNS1_3gpuE4ELNS1_3repE0EEENS1_30default_config_static_selectorELNS0_4arch9wavefront6targetE1EEEvT1_
; %bb.0:
	.section	.rodata,"a",@progbits
	.p2align	6, 0x0
	.amdhsa_kernel _ZN7rocprim17ROCPRIM_400000_NS6detail17trampoline_kernelINS0_14default_configENS1_25partition_config_selectorILNS1_17partition_subalgoE8ElNS0_10empty_typeEbEEZZNS1_14partition_implILS5_8ELb0ES3_jPlPS6_PKS6_NS0_5tupleIJS9_S6_EEENSD_IJSA_SA_EEENS0_18inequality_wrapperIZN2at6native12_GLOBAL__N_124unique_dim_cuda_templateItEESt5tupleIJNSH_6TensorESM_SM_EERKSM_lbbbEUlllE0_EEPmJS6_EEE10hipError_tPvRmT3_T4_T5_T6_T7_T9_mT8_P12ihipStream_tbDpT10_ENKUlT_T0_E_clISt17integral_constantIbLb0EES1C_EEDaS17_S18_EUlS17_E_NS1_11comp_targetILNS1_3genE10ELNS1_11target_archE1200ELNS1_3gpuE4ELNS1_3repE0EEENS1_30default_config_static_selectorELNS0_4arch9wavefront6targetE1EEEvT1_
		.amdhsa_group_segment_fixed_size 0
		.amdhsa_private_segment_fixed_size 0
		.amdhsa_kernarg_size 120
		.amdhsa_user_sgpr_count 2
		.amdhsa_user_sgpr_dispatch_ptr 0
		.amdhsa_user_sgpr_queue_ptr 0
		.amdhsa_user_sgpr_kernarg_segment_ptr 1
		.amdhsa_user_sgpr_dispatch_id 0
		.amdhsa_user_sgpr_kernarg_preload_length 0
		.amdhsa_user_sgpr_kernarg_preload_offset 0
		.amdhsa_user_sgpr_private_segment_size 0
		.amdhsa_uses_dynamic_stack 0
		.amdhsa_enable_private_segment 0
		.amdhsa_system_sgpr_workgroup_id_x 1
		.amdhsa_system_sgpr_workgroup_id_y 0
		.amdhsa_system_sgpr_workgroup_id_z 0
		.amdhsa_system_sgpr_workgroup_info 0
		.amdhsa_system_vgpr_workitem_id 0
		.amdhsa_next_free_vgpr 1
		.amdhsa_next_free_sgpr 0
		.amdhsa_accum_offset 4
		.amdhsa_reserve_vcc 0
		.amdhsa_float_round_mode_32 0
		.amdhsa_float_round_mode_16_64 0
		.amdhsa_float_denorm_mode_32 3
		.amdhsa_float_denorm_mode_16_64 3
		.amdhsa_dx10_clamp 1
		.amdhsa_ieee_mode 1
		.amdhsa_fp16_overflow 0
		.amdhsa_tg_split 0
		.amdhsa_exception_fp_ieee_invalid_op 0
		.amdhsa_exception_fp_denorm_src 0
		.amdhsa_exception_fp_ieee_div_zero 0
		.amdhsa_exception_fp_ieee_overflow 0
		.amdhsa_exception_fp_ieee_underflow 0
		.amdhsa_exception_fp_ieee_inexact 0
		.amdhsa_exception_int_div_zero 0
	.end_amdhsa_kernel
	.section	.text._ZN7rocprim17ROCPRIM_400000_NS6detail17trampoline_kernelINS0_14default_configENS1_25partition_config_selectorILNS1_17partition_subalgoE8ElNS0_10empty_typeEbEEZZNS1_14partition_implILS5_8ELb0ES3_jPlPS6_PKS6_NS0_5tupleIJS9_S6_EEENSD_IJSA_SA_EEENS0_18inequality_wrapperIZN2at6native12_GLOBAL__N_124unique_dim_cuda_templateItEESt5tupleIJNSH_6TensorESM_SM_EERKSM_lbbbEUlllE0_EEPmJS6_EEE10hipError_tPvRmT3_T4_T5_T6_T7_T9_mT8_P12ihipStream_tbDpT10_ENKUlT_T0_E_clISt17integral_constantIbLb0EES1C_EEDaS17_S18_EUlS17_E_NS1_11comp_targetILNS1_3genE10ELNS1_11target_archE1200ELNS1_3gpuE4ELNS1_3repE0EEENS1_30default_config_static_selectorELNS0_4arch9wavefront6targetE1EEEvT1_,"axG",@progbits,_ZN7rocprim17ROCPRIM_400000_NS6detail17trampoline_kernelINS0_14default_configENS1_25partition_config_selectorILNS1_17partition_subalgoE8ElNS0_10empty_typeEbEEZZNS1_14partition_implILS5_8ELb0ES3_jPlPS6_PKS6_NS0_5tupleIJS9_S6_EEENSD_IJSA_SA_EEENS0_18inequality_wrapperIZN2at6native12_GLOBAL__N_124unique_dim_cuda_templateItEESt5tupleIJNSH_6TensorESM_SM_EERKSM_lbbbEUlllE0_EEPmJS6_EEE10hipError_tPvRmT3_T4_T5_T6_T7_T9_mT8_P12ihipStream_tbDpT10_ENKUlT_T0_E_clISt17integral_constantIbLb0EES1C_EEDaS17_S18_EUlS17_E_NS1_11comp_targetILNS1_3genE10ELNS1_11target_archE1200ELNS1_3gpuE4ELNS1_3repE0EEENS1_30default_config_static_selectorELNS0_4arch9wavefront6targetE1EEEvT1_,comdat
.Lfunc_end1424:
	.size	_ZN7rocprim17ROCPRIM_400000_NS6detail17trampoline_kernelINS0_14default_configENS1_25partition_config_selectorILNS1_17partition_subalgoE8ElNS0_10empty_typeEbEEZZNS1_14partition_implILS5_8ELb0ES3_jPlPS6_PKS6_NS0_5tupleIJS9_S6_EEENSD_IJSA_SA_EEENS0_18inequality_wrapperIZN2at6native12_GLOBAL__N_124unique_dim_cuda_templateItEESt5tupleIJNSH_6TensorESM_SM_EERKSM_lbbbEUlllE0_EEPmJS6_EEE10hipError_tPvRmT3_T4_T5_T6_T7_T9_mT8_P12ihipStream_tbDpT10_ENKUlT_T0_E_clISt17integral_constantIbLb0EES1C_EEDaS17_S18_EUlS17_E_NS1_11comp_targetILNS1_3genE10ELNS1_11target_archE1200ELNS1_3gpuE4ELNS1_3repE0EEENS1_30default_config_static_selectorELNS0_4arch9wavefront6targetE1EEEvT1_, .Lfunc_end1424-_ZN7rocprim17ROCPRIM_400000_NS6detail17trampoline_kernelINS0_14default_configENS1_25partition_config_selectorILNS1_17partition_subalgoE8ElNS0_10empty_typeEbEEZZNS1_14partition_implILS5_8ELb0ES3_jPlPS6_PKS6_NS0_5tupleIJS9_S6_EEENSD_IJSA_SA_EEENS0_18inequality_wrapperIZN2at6native12_GLOBAL__N_124unique_dim_cuda_templateItEESt5tupleIJNSH_6TensorESM_SM_EERKSM_lbbbEUlllE0_EEPmJS6_EEE10hipError_tPvRmT3_T4_T5_T6_T7_T9_mT8_P12ihipStream_tbDpT10_ENKUlT_T0_E_clISt17integral_constantIbLb0EES1C_EEDaS17_S18_EUlS17_E_NS1_11comp_targetILNS1_3genE10ELNS1_11target_archE1200ELNS1_3gpuE4ELNS1_3repE0EEENS1_30default_config_static_selectorELNS0_4arch9wavefront6targetE1EEEvT1_
                                        ; -- End function
	.set _ZN7rocprim17ROCPRIM_400000_NS6detail17trampoline_kernelINS0_14default_configENS1_25partition_config_selectorILNS1_17partition_subalgoE8ElNS0_10empty_typeEbEEZZNS1_14partition_implILS5_8ELb0ES3_jPlPS6_PKS6_NS0_5tupleIJS9_S6_EEENSD_IJSA_SA_EEENS0_18inequality_wrapperIZN2at6native12_GLOBAL__N_124unique_dim_cuda_templateItEESt5tupleIJNSH_6TensorESM_SM_EERKSM_lbbbEUlllE0_EEPmJS6_EEE10hipError_tPvRmT3_T4_T5_T6_T7_T9_mT8_P12ihipStream_tbDpT10_ENKUlT_T0_E_clISt17integral_constantIbLb0EES1C_EEDaS17_S18_EUlS17_E_NS1_11comp_targetILNS1_3genE10ELNS1_11target_archE1200ELNS1_3gpuE4ELNS1_3repE0EEENS1_30default_config_static_selectorELNS0_4arch9wavefront6targetE1EEEvT1_.num_vgpr, 0
	.set _ZN7rocprim17ROCPRIM_400000_NS6detail17trampoline_kernelINS0_14default_configENS1_25partition_config_selectorILNS1_17partition_subalgoE8ElNS0_10empty_typeEbEEZZNS1_14partition_implILS5_8ELb0ES3_jPlPS6_PKS6_NS0_5tupleIJS9_S6_EEENSD_IJSA_SA_EEENS0_18inequality_wrapperIZN2at6native12_GLOBAL__N_124unique_dim_cuda_templateItEESt5tupleIJNSH_6TensorESM_SM_EERKSM_lbbbEUlllE0_EEPmJS6_EEE10hipError_tPvRmT3_T4_T5_T6_T7_T9_mT8_P12ihipStream_tbDpT10_ENKUlT_T0_E_clISt17integral_constantIbLb0EES1C_EEDaS17_S18_EUlS17_E_NS1_11comp_targetILNS1_3genE10ELNS1_11target_archE1200ELNS1_3gpuE4ELNS1_3repE0EEENS1_30default_config_static_selectorELNS0_4arch9wavefront6targetE1EEEvT1_.num_agpr, 0
	.set _ZN7rocprim17ROCPRIM_400000_NS6detail17trampoline_kernelINS0_14default_configENS1_25partition_config_selectorILNS1_17partition_subalgoE8ElNS0_10empty_typeEbEEZZNS1_14partition_implILS5_8ELb0ES3_jPlPS6_PKS6_NS0_5tupleIJS9_S6_EEENSD_IJSA_SA_EEENS0_18inequality_wrapperIZN2at6native12_GLOBAL__N_124unique_dim_cuda_templateItEESt5tupleIJNSH_6TensorESM_SM_EERKSM_lbbbEUlllE0_EEPmJS6_EEE10hipError_tPvRmT3_T4_T5_T6_T7_T9_mT8_P12ihipStream_tbDpT10_ENKUlT_T0_E_clISt17integral_constantIbLb0EES1C_EEDaS17_S18_EUlS17_E_NS1_11comp_targetILNS1_3genE10ELNS1_11target_archE1200ELNS1_3gpuE4ELNS1_3repE0EEENS1_30default_config_static_selectorELNS0_4arch9wavefront6targetE1EEEvT1_.numbered_sgpr, 0
	.set _ZN7rocprim17ROCPRIM_400000_NS6detail17trampoline_kernelINS0_14default_configENS1_25partition_config_selectorILNS1_17partition_subalgoE8ElNS0_10empty_typeEbEEZZNS1_14partition_implILS5_8ELb0ES3_jPlPS6_PKS6_NS0_5tupleIJS9_S6_EEENSD_IJSA_SA_EEENS0_18inequality_wrapperIZN2at6native12_GLOBAL__N_124unique_dim_cuda_templateItEESt5tupleIJNSH_6TensorESM_SM_EERKSM_lbbbEUlllE0_EEPmJS6_EEE10hipError_tPvRmT3_T4_T5_T6_T7_T9_mT8_P12ihipStream_tbDpT10_ENKUlT_T0_E_clISt17integral_constantIbLb0EES1C_EEDaS17_S18_EUlS17_E_NS1_11comp_targetILNS1_3genE10ELNS1_11target_archE1200ELNS1_3gpuE4ELNS1_3repE0EEENS1_30default_config_static_selectorELNS0_4arch9wavefront6targetE1EEEvT1_.num_named_barrier, 0
	.set _ZN7rocprim17ROCPRIM_400000_NS6detail17trampoline_kernelINS0_14default_configENS1_25partition_config_selectorILNS1_17partition_subalgoE8ElNS0_10empty_typeEbEEZZNS1_14partition_implILS5_8ELb0ES3_jPlPS6_PKS6_NS0_5tupleIJS9_S6_EEENSD_IJSA_SA_EEENS0_18inequality_wrapperIZN2at6native12_GLOBAL__N_124unique_dim_cuda_templateItEESt5tupleIJNSH_6TensorESM_SM_EERKSM_lbbbEUlllE0_EEPmJS6_EEE10hipError_tPvRmT3_T4_T5_T6_T7_T9_mT8_P12ihipStream_tbDpT10_ENKUlT_T0_E_clISt17integral_constantIbLb0EES1C_EEDaS17_S18_EUlS17_E_NS1_11comp_targetILNS1_3genE10ELNS1_11target_archE1200ELNS1_3gpuE4ELNS1_3repE0EEENS1_30default_config_static_selectorELNS0_4arch9wavefront6targetE1EEEvT1_.private_seg_size, 0
	.set _ZN7rocprim17ROCPRIM_400000_NS6detail17trampoline_kernelINS0_14default_configENS1_25partition_config_selectorILNS1_17partition_subalgoE8ElNS0_10empty_typeEbEEZZNS1_14partition_implILS5_8ELb0ES3_jPlPS6_PKS6_NS0_5tupleIJS9_S6_EEENSD_IJSA_SA_EEENS0_18inequality_wrapperIZN2at6native12_GLOBAL__N_124unique_dim_cuda_templateItEESt5tupleIJNSH_6TensorESM_SM_EERKSM_lbbbEUlllE0_EEPmJS6_EEE10hipError_tPvRmT3_T4_T5_T6_T7_T9_mT8_P12ihipStream_tbDpT10_ENKUlT_T0_E_clISt17integral_constantIbLb0EES1C_EEDaS17_S18_EUlS17_E_NS1_11comp_targetILNS1_3genE10ELNS1_11target_archE1200ELNS1_3gpuE4ELNS1_3repE0EEENS1_30default_config_static_selectorELNS0_4arch9wavefront6targetE1EEEvT1_.uses_vcc, 0
	.set _ZN7rocprim17ROCPRIM_400000_NS6detail17trampoline_kernelINS0_14default_configENS1_25partition_config_selectorILNS1_17partition_subalgoE8ElNS0_10empty_typeEbEEZZNS1_14partition_implILS5_8ELb0ES3_jPlPS6_PKS6_NS0_5tupleIJS9_S6_EEENSD_IJSA_SA_EEENS0_18inequality_wrapperIZN2at6native12_GLOBAL__N_124unique_dim_cuda_templateItEESt5tupleIJNSH_6TensorESM_SM_EERKSM_lbbbEUlllE0_EEPmJS6_EEE10hipError_tPvRmT3_T4_T5_T6_T7_T9_mT8_P12ihipStream_tbDpT10_ENKUlT_T0_E_clISt17integral_constantIbLb0EES1C_EEDaS17_S18_EUlS17_E_NS1_11comp_targetILNS1_3genE10ELNS1_11target_archE1200ELNS1_3gpuE4ELNS1_3repE0EEENS1_30default_config_static_selectorELNS0_4arch9wavefront6targetE1EEEvT1_.uses_flat_scratch, 0
	.set _ZN7rocprim17ROCPRIM_400000_NS6detail17trampoline_kernelINS0_14default_configENS1_25partition_config_selectorILNS1_17partition_subalgoE8ElNS0_10empty_typeEbEEZZNS1_14partition_implILS5_8ELb0ES3_jPlPS6_PKS6_NS0_5tupleIJS9_S6_EEENSD_IJSA_SA_EEENS0_18inequality_wrapperIZN2at6native12_GLOBAL__N_124unique_dim_cuda_templateItEESt5tupleIJNSH_6TensorESM_SM_EERKSM_lbbbEUlllE0_EEPmJS6_EEE10hipError_tPvRmT3_T4_T5_T6_T7_T9_mT8_P12ihipStream_tbDpT10_ENKUlT_T0_E_clISt17integral_constantIbLb0EES1C_EEDaS17_S18_EUlS17_E_NS1_11comp_targetILNS1_3genE10ELNS1_11target_archE1200ELNS1_3gpuE4ELNS1_3repE0EEENS1_30default_config_static_selectorELNS0_4arch9wavefront6targetE1EEEvT1_.has_dyn_sized_stack, 0
	.set _ZN7rocprim17ROCPRIM_400000_NS6detail17trampoline_kernelINS0_14default_configENS1_25partition_config_selectorILNS1_17partition_subalgoE8ElNS0_10empty_typeEbEEZZNS1_14partition_implILS5_8ELb0ES3_jPlPS6_PKS6_NS0_5tupleIJS9_S6_EEENSD_IJSA_SA_EEENS0_18inequality_wrapperIZN2at6native12_GLOBAL__N_124unique_dim_cuda_templateItEESt5tupleIJNSH_6TensorESM_SM_EERKSM_lbbbEUlllE0_EEPmJS6_EEE10hipError_tPvRmT3_T4_T5_T6_T7_T9_mT8_P12ihipStream_tbDpT10_ENKUlT_T0_E_clISt17integral_constantIbLb0EES1C_EEDaS17_S18_EUlS17_E_NS1_11comp_targetILNS1_3genE10ELNS1_11target_archE1200ELNS1_3gpuE4ELNS1_3repE0EEENS1_30default_config_static_selectorELNS0_4arch9wavefront6targetE1EEEvT1_.has_recursion, 0
	.set _ZN7rocprim17ROCPRIM_400000_NS6detail17trampoline_kernelINS0_14default_configENS1_25partition_config_selectorILNS1_17partition_subalgoE8ElNS0_10empty_typeEbEEZZNS1_14partition_implILS5_8ELb0ES3_jPlPS6_PKS6_NS0_5tupleIJS9_S6_EEENSD_IJSA_SA_EEENS0_18inequality_wrapperIZN2at6native12_GLOBAL__N_124unique_dim_cuda_templateItEESt5tupleIJNSH_6TensorESM_SM_EERKSM_lbbbEUlllE0_EEPmJS6_EEE10hipError_tPvRmT3_T4_T5_T6_T7_T9_mT8_P12ihipStream_tbDpT10_ENKUlT_T0_E_clISt17integral_constantIbLb0EES1C_EEDaS17_S18_EUlS17_E_NS1_11comp_targetILNS1_3genE10ELNS1_11target_archE1200ELNS1_3gpuE4ELNS1_3repE0EEENS1_30default_config_static_selectorELNS0_4arch9wavefront6targetE1EEEvT1_.has_indirect_call, 0
	.section	.AMDGPU.csdata,"",@progbits
; Kernel info:
; codeLenInByte = 0
; TotalNumSgprs: 6
; NumVgprs: 0
; NumAgprs: 0
; TotalNumVgprs: 0
; ScratchSize: 0
; MemoryBound: 0
; FloatMode: 240
; IeeeMode: 1
; LDSByteSize: 0 bytes/workgroup (compile time only)
; SGPRBlocks: 0
; VGPRBlocks: 0
; NumSGPRsForWavesPerEU: 6
; NumVGPRsForWavesPerEU: 1
; AccumOffset: 4
; Occupancy: 8
; WaveLimiterHint : 0
; COMPUTE_PGM_RSRC2:SCRATCH_EN: 0
; COMPUTE_PGM_RSRC2:USER_SGPR: 2
; COMPUTE_PGM_RSRC2:TRAP_HANDLER: 0
; COMPUTE_PGM_RSRC2:TGID_X_EN: 1
; COMPUTE_PGM_RSRC2:TGID_Y_EN: 0
; COMPUTE_PGM_RSRC2:TGID_Z_EN: 0
; COMPUTE_PGM_RSRC2:TIDIG_COMP_CNT: 0
; COMPUTE_PGM_RSRC3_GFX90A:ACCUM_OFFSET: 0
; COMPUTE_PGM_RSRC3_GFX90A:TG_SPLIT: 0
	.section	.text._ZN7rocprim17ROCPRIM_400000_NS6detail17trampoline_kernelINS0_14default_configENS1_25partition_config_selectorILNS1_17partition_subalgoE8ElNS0_10empty_typeEbEEZZNS1_14partition_implILS5_8ELb0ES3_jPlPS6_PKS6_NS0_5tupleIJS9_S6_EEENSD_IJSA_SA_EEENS0_18inequality_wrapperIZN2at6native12_GLOBAL__N_124unique_dim_cuda_templateItEESt5tupleIJNSH_6TensorESM_SM_EERKSM_lbbbEUlllE0_EEPmJS6_EEE10hipError_tPvRmT3_T4_T5_T6_T7_T9_mT8_P12ihipStream_tbDpT10_ENKUlT_T0_E_clISt17integral_constantIbLb0EES1C_EEDaS17_S18_EUlS17_E_NS1_11comp_targetILNS1_3genE9ELNS1_11target_archE1100ELNS1_3gpuE3ELNS1_3repE0EEENS1_30default_config_static_selectorELNS0_4arch9wavefront6targetE1EEEvT1_,"axG",@progbits,_ZN7rocprim17ROCPRIM_400000_NS6detail17trampoline_kernelINS0_14default_configENS1_25partition_config_selectorILNS1_17partition_subalgoE8ElNS0_10empty_typeEbEEZZNS1_14partition_implILS5_8ELb0ES3_jPlPS6_PKS6_NS0_5tupleIJS9_S6_EEENSD_IJSA_SA_EEENS0_18inequality_wrapperIZN2at6native12_GLOBAL__N_124unique_dim_cuda_templateItEESt5tupleIJNSH_6TensorESM_SM_EERKSM_lbbbEUlllE0_EEPmJS6_EEE10hipError_tPvRmT3_T4_T5_T6_T7_T9_mT8_P12ihipStream_tbDpT10_ENKUlT_T0_E_clISt17integral_constantIbLb0EES1C_EEDaS17_S18_EUlS17_E_NS1_11comp_targetILNS1_3genE9ELNS1_11target_archE1100ELNS1_3gpuE3ELNS1_3repE0EEENS1_30default_config_static_selectorELNS0_4arch9wavefront6targetE1EEEvT1_,comdat
	.globl	_ZN7rocprim17ROCPRIM_400000_NS6detail17trampoline_kernelINS0_14default_configENS1_25partition_config_selectorILNS1_17partition_subalgoE8ElNS0_10empty_typeEbEEZZNS1_14partition_implILS5_8ELb0ES3_jPlPS6_PKS6_NS0_5tupleIJS9_S6_EEENSD_IJSA_SA_EEENS0_18inequality_wrapperIZN2at6native12_GLOBAL__N_124unique_dim_cuda_templateItEESt5tupleIJNSH_6TensorESM_SM_EERKSM_lbbbEUlllE0_EEPmJS6_EEE10hipError_tPvRmT3_T4_T5_T6_T7_T9_mT8_P12ihipStream_tbDpT10_ENKUlT_T0_E_clISt17integral_constantIbLb0EES1C_EEDaS17_S18_EUlS17_E_NS1_11comp_targetILNS1_3genE9ELNS1_11target_archE1100ELNS1_3gpuE3ELNS1_3repE0EEENS1_30default_config_static_selectorELNS0_4arch9wavefront6targetE1EEEvT1_ ; -- Begin function _ZN7rocprim17ROCPRIM_400000_NS6detail17trampoline_kernelINS0_14default_configENS1_25partition_config_selectorILNS1_17partition_subalgoE8ElNS0_10empty_typeEbEEZZNS1_14partition_implILS5_8ELb0ES3_jPlPS6_PKS6_NS0_5tupleIJS9_S6_EEENSD_IJSA_SA_EEENS0_18inequality_wrapperIZN2at6native12_GLOBAL__N_124unique_dim_cuda_templateItEESt5tupleIJNSH_6TensorESM_SM_EERKSM_lbbbEUlllE0_EEPmJS6_EEE10hipError_tPvRmT3_T4_T5_T6_T7_T9_mT8_P12ihipStream_tbDpT10_ENKUlT_T0_E_clISt17integral_constantIbLb0EES1C_EEDaS17_S18_EUlS17_E_NS1_11comp_targetILNS1_3genE9ELNS1_11target_archE1100ELNS1_3gpuE3ELNS1_3repE0EEENS1_30default_config_static_selectorELNS0_4arch9wavefront6targetE1EEEvT1_
	.p2align	8
	.type	_ZN7rocprim17ROCPRIM_400000_NS6detail17trampoline_kernelINS0_14default_configENS1_25partition_config_selectorILNS1_17partition_subalgoE8ElNS0_10empty_typeEbEEZZNS1_14partition_implILS5_8ELb0ES3_jPlPS6_PKS6_NS0_5tupleIJS9_S6_EEENSD_IJSA_SA_EEENS0_18inequality_wrapperIZN2at6native12_GLOBAL__N_124unique_dim_cuda_templateItEESt5tupleIJNSH_6TensorESM_SM_EERKSM_lbbbEUlllE0_EEPmJS6_EEE10hipError_tPvRmT3_T4_T5_T6_T7_T9_mT8_P12ihipStream_tbDpT10_ENKUlT_T0_E_clISt17integral_constantIbLb0EES1C_EEDaS17_S18_EUlS17_E_NS1_11comp_targetILNS1_3genE9ELNS1_11target_archE1100ELNS1_3gpuE3ELNS1_3repE0EEENS1_30default_config_static_selectorELNS0_4arch9wavefront6targetE1EEEvT1_,@function
_ZN7rocprim17ROCPRIM_400000_NS6detail17trampoline_kernelINS0_14default_configENS1_25partition_config_selectorILNS1_17partition_subalgoE8ElNS0_10empty_typeEbEEZZNS1_14partition_implILS5_8ELb0ES3_jPlPS6_PKS6_NS0_5tupleIJS9_S6_EEENSD_IJSA_SA_EEENS0_18inequality_wrapperIZN2at6native12_GLOBAL__N_124unique_dim_cuda_templateItEESt5tupleIJNSH_6TensorESM_SM_EERKSM_lbbbEUlllE0_EEPmJS6_EEE10hipError_tPvRmT3_T4_T5_T6_T7_T9_mT8_P12ihipStream_tbDpT10_ENKUlT_T0_E_clISt17integral_constantIbLb0EES1C_EEDaS17_S18_EUlS17_E_NS1_11comp_targetILNS1_3genE9ELNS1_11target_archE1100ELNS1_3gpuE3ELNS1_3repE0EEENS1_30default_config_static_selectorELNS0_4arch9wavefront6targetE1EEEvT1_: ; @_ZN7rocprim17ROCPRIM_400000_NS6detail17trampoline_kernelINS0_14default_configENS1_25partition_config_selectorILNS1_17partition_subalgoE8ElNS0_10empty_typeEbEEZZNS1_14partition_implILS5_8ELb0ES3_jPlPS6_PKS6_NS0_5tupleIJS9_S6_EEENSD_IJSA_SA_EEENS0_18inequality_wrapperIZN2at6native12_GLOBAL__N_124unique_dim_cuda_templateItEESt5tupleIJNSH_6TensorESM_SM_EERKSM_lbbbEUlllE0_EEPmJS6_EEE10hipError_tPvRmT3_T4_T5_T6_T7_T9_mT8_P12ihipStream_tbDpT10_ENKUlT_T0_E_clISt17integral_constantIbLb0EES1C_EEDaS17_S18_EUlS17_E_NS1_11comp_targetILNS1_3genE9ELNS1_11target_archE1100ELNS1_3gpuE3ELNS1_3repE0EEENS1_30default_config_static_selectorELNS0_4arch9wavefront6targetE1EEEvT1_
; %bb.0:
	.section	.rodata,"a",@progbits
	.p2align	6, 0x0
	.amdhsa_kernel _ZN7rocprim17ROCPRIM_400000_NS6detail17trampoline_kernelINS0_14default_configENS1_25partition_config_selectorILNS1_17partition_subalgoE8ElNS0_10empty_typeEbEEZZNS1_14partition_implILS5_8ELb0ES3_jPlPS6_PKS6_NS0_5tupleIJS9_S6_EEENSD_IJSA_SA_EEENS0_18inequality_wrapperIZN2at6native12_GLOBAL__N_124unique_dim_cuda_templateItEESt5tupleIJNSH_6TensorESM_SM_EERKSM_lbbbEUlllE0_EEPmJS6_EEE10hipError_tPvRmT3_T4_T5_T6_T7_T9_mT8_P12ihipStream_tbDpT10_ENKUlT_T0_E_clISt17integral_constantIbLb0EES1C_EEDaS17_S18_EUlS17_E_NS1_11comp_targetILNS1_3genE9ELNS1_11target_archE1100ELNS1_3gpuE3ELNS1_3repE0EEENS1_30default_config_static_selectorELNS0_4arch9wavefront6targetE1EEEvT1_
		.amdhsa_group_segment_fixed_size 0
		.amdhsa_private_segment_fixed_size 0
		.amdhsa_kernarg_size 120
		.amdhsa_user_sgpr_count 2
		.amdhsa_user_sgpr_dispatch_ptr 0
		.amdhsa_user_sgpr_queue_ptr 0
		.amdhsa_user_sgpr_kernarg_segment_ptr 1
		.amdhsa_user_sgpr_dispatch_id 0
		.amdhsa_user_sgpr_kernarg_preload_length 0
		.amdhsa_user_sgpr_kernarg_preload_offset 0
		.amdhsa_user_sgpr_private_segment_size 0
		.amdhsa_uses_dynamic_stack 0
		.amdhsa_enable_private_segment 0
		.amdhsa_system_sgpr_workgroup_id_x 1
		.amdhsa_system_sgpr_workgroup_id_y 0
		.amdhsa_system_sgpr_workgroup_id_z 0
		.amdhsa_system_sgpr_workgroup_info 0
		.amdhsa_system_vgpr_workitem_id 0
		.amdhsa_next_free_vgpr 1
		.amdhsa_next_free_sgpr 0
		.amdhsa_accum_offset 4
		.amdhsa_reserve_vcc 0
		.amdhsa_float_round_mode_32 0
		.amdhsa_float_round_mode_16_64 0
		.amdhsa_float_denorm_mode_32 3
		.amdhsa_float_denorm_mode_16_64 3
		.amdhsa_dx10_clamp 1
		.amdhsa_ieee_mode 1
		.amdhsa_fp16_overflow 0
		.amdhsa_tg_split 0
		.amdhsa_exception_fp_ieee_invalid_op 0
		.amdhsa_exception_fp_denorm_src 0
		.amdhsa_exception_fp_ieee_div_zero 0
		.amdhsa_exception_fp_ieee_overflow 0
		.amdhsa_exception_fp_ieee_underflow 0
		.amdhsa_exception_fp_ieee_inexact 0
		.amdhsa_exception_int_div_zero 0
	.end_amdhsa_kernel
	.section	.text._ZN7rocprim17ROCPRIM_400000_NS6detail17trampoline_kernelINS0_14default_configENS1_25partition_config_selectorILNS1_17partition_subalgoE8ElNS0_10empty_typeEbEEZZNS1_14partition_implILS5_8ELb0ES3_jPlPS6_PKS6_NS0_5tupleIJS9_S6_EEENSD_IJSA_SA_EEENS0_18inequality_wrapperIZN2at6native12_GLOBAL__N_124unique_dim_cuda_templateItEESt5tupleIJNSH_6TensorESM_SM_EERKSM_lbbbEUlllE0_EEPmJS6_EEE10hipError_tPvRmT3_T4_T5_T6_T7_T9_mT8_P12ihipStream_tbDpT10_ENKUlT_T0_E_clISt17integral_constantIbLb0EES1C_EEDaS17_S18_EUlS17_E_NS1_11comp_targetILNS1_3genE9ELNS1_11target_archE1100ELNS1_3gpuE3ELNS1_3repE0EEENS1_30default_config_static_selectorELNS0_4arch9wavefront6targetE1EEEvT1_,"axG",@progbits,_ZN7rocprim17ROCPRIM_400000_NS6detail17trampoline_kernelINS0_14default_configENS1_25partition_config_selectorILNS1_17partition_subalgoE8ElNS0_10empty_typeEbEEZZNS1_14partition_implILS5_8ELb0ES3_jPlPS6_PKS6_NS0_5tupleIJS9_S6_EEENSD_IJSA_SA_EEENS0_18inequality_wrapperIZN2at6native12_GLOBAL__N_124unique_dim_cuda_templateItEESt5tupleIJNSH_6TensorESM_SM_EERKSM_lbbbEUlllE0_EEPmJS6_EEE10hipError_tPvRmT3_T4_T5_T6_T7_T9_mT8_P12ihipStream_tbDpT10_ENKUlT_T0_E_clISt17integral_constantIbLb0EES1C_EEDaS17_S18_EUlS17_E_NS1_11comp_targetILNS1_3genE9ELNS1_11target_archE1100ELNS1_3gpuE3ELNS1_3repE0EEENS1_30default_config_static_selectorELNS0_4arch9wavefront6targetE1EEEvT1_,comdat
.Lfunc_end1425:
	.size	_ZN7rocprim17ROCPRIM_400000_NS6detail17trampoline_kernelINS0_14default_configENS1_25partition_config_selectorILNS1_17partition_subalgoE8ElNS0_10empty_typeEbEEZZNS1_14partition_implILS5_8ELb0ES3_jPlPS6_PKS6_NS0_5tupleIJS9_S6_EEENSD_IJSA_SA_EEENS0_18inequality_wrapperIZN2at6native12_GLOBAL__N_124unique_dim_cuda_templateItEESt5tupleIJNSH_6TensorESM_SM_EERKSM_lbbbEUlllE0_EEPmJS6_EEE10hipError_tPvRmT3_T4_T5_T6_T7_T9_mT8_P12ihipStream_tbDpT10_ENKUlT_T0_E_clISt17integral_constantIbLb0EES1C_EEDaS17_S18_EUlS17_E_NS1_11comp_targetILNS1_3genE9ELNS1_11target_archE1100ELNS1_3gpuE3ELNS1_3repE0EEENS1_30default_config_static_selectorELNS0_4arch9wavefront6targetE1EEEvT1_, .Lfunc_end1425-_ZN7rocprim17ROCPRIM_400000_NS6detail17trampoline_kernelINS0_14default_configENS1_25partition_config_selectorILNS1_17partition_subalgoE8ElNS0_10empty_typeEbEEZZNS1_14partition_implILS5_8ELb0ES3_jPlPS6_PKS6_NS0_5tupleIJS9_S6_EEENSD_IJSA_SA_EEENS0_18inequality_wrapperIZN2at6native12_GLOBAL__N_124unique_dim_cuda_templateItEESt5tupleIJNSH_6TensorESM_SM_EERKSM_lbbbEUlllE0_EEPmJS6_EEE10hipError_tPvRmT3_T4_T5_T6_T7_T9_mT8_P12ihipStream_tbDpT10_ENKUlT_T0_E_clISt17integral_constantIbLb0EES1C_EEDaS17_S18_EUlS17_E_NS1_11comp_targetILNS1_3genE9ELNS1_11target_archE1100ELNS1_3gpuE3ELNS1_3repE0EEENS1_30default_config_static_selectorELNS0_4arch9wavefront6targetE1EEEvT1_
                                        ; -- End function
	.set _ZN7rocprim17ROCPRIM_400000_NS6detail17trampoline_kernelINS0_14default_configENS1_25partition_config_selectorILNS1_17partition_subalgoE8ElNS0_10empty_typeEbEEZZNS1_14partition_implILS5_8ELb0ES3_jPlPS6_PKS6_NS0_5tupleIJS9_S6_EEENSD_IJSA_SA_EEENS0_18inequality_wrapperIZN2at6native12_GLOBAL__N_124unique_dim_cuda_templateItEESt5tupleIJNSH_6TensorESM_SM_EERKSM_lbbbEUlllE0_EEPmJS6_EEE10hipError_tPvRmT3_T4_T5_T6_T7_T9_mT8_P12ihipStream_tbDpT10_ENKUlT_T0_E_clISt17integral_constantIbLb0EES1C_EEDaS17_S18_EUlS17_E_NS1_11comp_targetILNS1_3genE9ELNS1_11target_archE1100ELNS1_3gpuE3ELNS1_3repE0EEENS1_30default_config_static_selectorELNS0_4arch9wavefront6targetE1EEEvT1_.num_vgpr, 0
	.set _ZN7rocprim17ROCPRIM_400000_NS6detail17trampoline_kernelINS0_14default_configENS1_25partition_config_selectorILNS1_17partition_subalgoE8ElNS0_10empty_typeEbEEZZNS1_14partition_implILS5_8ELb0ES3_jPlPS6_PKS6_NS0_5tupleIJS9_S6_EEENSD_IJSA_SA_EEENS0_18inequality_wrapperIZN2at6native12_GLOBAL__N_124unique_dim_cuda_templateItEESt5tupleIJNSH_6TensorESM_SM_EERKSM_lbbbEUlllE0_EEPmJS6_EEE10hipError_tPvRmT3_T4_T5_T6_T7_T9_mT8_P12ihipStream_tbDpT10_ENKUlT_T0_E_clISt17integral_constantIbLb0EES1C_EEDaS17_S18_EUlS17_E_NS1_11comp_targetILNS1_3genE9ELNS1_11target_archE1100ELNS1_3gpuE3ELNS1_3repE0EEENS1_30default_config_static_selectorELNS0_4arch9wavefront6targetE1EEEvT1_.num_agpr, 0
	.set _ZN7rocprim17ROCPRIM_400000_NS6detail17trampoline_kernelINS0_14default_configENS1_25partition_config_selectorILNS1_17partition_subalgoE8ElNS0_10empty_typeEbEEZZNS1_14partition_implILS5_8ELb0ES3_jPlPS6_PKS6_NS0_5tupleIJS9_S6_EEENSD_IJSA_SA_EEENS0_18inequality_wrapperIZN2at6native12_GLOBAL__N_124unique_dim_cuda_templateItEESt5tupleIJNSH_6TensorESM_SM_EERKSM_lbbbEUlllE0_EEPmJS6_EEE10hipError_tPvRmT3_T4_T5_T6_T7_T9_mT8_P12ihipStream_tbDpT10_ENKUlT_T0_E_clISt17integral_constantIbLb0EES1C_EEDaS17_S18_EUlS17_E_NS1_11comp_targetILNS1_3genE9ELNS1_11target_archE1100ELNS1_3gpuE3ELNS1_3repE0EEENS1_30default_config_static_selectorELNS0_4arch9wavefront6targetE1EEEvT1_.numbered_sgpr, 0
	.set _ZN7rocprim17ROCPRIM_400000_NS6detail17trampoline_kernelINS0_14default_configENS1_25partition_config_selectorILNS1_17partition_subalgoE8ElNS0_10empty_typeEbEEZZNS1_14partition_implILS5_8ELb0ES3_jPlPS6_PKS6_NS0_5tupleIJS9_S6_EEENSD_IJSA_SA_EEENS0_18inequality_wrapperIZN2at6native12_GLOBAL__N_124unique_dim_cuda_templateItEESt5tupleIJNSH_6TensorESM_SM_EERKSM_lbbbEUlllE0_EEPmJS6_EEE10hipError_tPvRmT3_T4_T5_T6_T7_T9_mT8_P12ihipStream_tbDpT10_ENKUlT_T0_E_clISt17integral_constantIbLb0EES1C_EEDaS17_S18_EUlS17_E_NS1_11comp_targetILNS1_3genE9ELNS1_11target_archE1100ELNS1_3gpuE3ELNS1_3repE0EEENS1_30default_config_static_selectorELNS0_4arch9wavefront6targetE1EEEvT1_.num_named_barrier, 0
	.set _ZN7rocprim17ROCPRIM_400000_NS6detail17trampoline_kernelINS0_14default_configENS1_25partition_config_selectorILNS1_17partition_subalgoE8ElNS0_10empty_typeEbEEZZNS1_14partition_implILS5_8ELb0ES3_jPlPS6_PKS6_NS0_5tupleIJS9_S6_EEENSD_IJSA_SA_EEENS0_18inequality_wrapperIZN2at6native12_GLOBAL__N_124unique_dim_cuda_templateItEESt5tupleIJNSH_6TensorESM_SM_EERKSM_lbbbEUlllE0_EEPmJS6_EEE10hipError_tPvRmT3_T4_T5_T6_T7_T9_mT8_P12ihipStream_tbDpT10_ENKUlT_T0_E_clISt17integral_constantIbLb0EES1C_EEDaS17_S18_EUlS17_E_NS1_11comp_targetILNS1_3genE9ELNS1_11target_archE1100ELNS1_3gpuE3ELNS1_3repE0EEENS1_30default_config_static_selectorELNS0_4arch9wavefront6targetE1EEEvT1_.private_seg_size, 0
	.set _ZN7rocprim17ROCPRIM_400000_NS6detail17trampoline_kernelINS0_14default_configENS1_25partition_config_selectorILNS1_17partition_subalgoE8ElNS0_10empty_typeEbEEZZNS1_14partition_implILS5_8ELb0ES3_jPlPS6_PKS6_NS0_5tupleIJS9_S6_EEENSD_IJSA_SA_EEENS0_18inequality_wrapperIZN2at6native12_GLOBAL__N_124unique_dim_cuda_templateItEESt5tupleIJNSH_6TensorESM_SM_EERKSM_lbbbEUlllE0_EEPmJS6_EEE10hipError_tPvRmT3_T4_T5_T6_T7_T9_mT8_P12ihipStream_tbDpT10_ENKUlT_T0_E_clISt17integral_constantIbLb0EES1C_EEDaS17_S18_EUlS17_E_NS1_11comp_targetILNS1_3genE9ELNS1_11target_archE1100ELNS1_3gpuE3ELNS1_3repE0EEENS1_30default_config_static_selectorELNS0_4arch9wavefront6targetE1EEEvT1_.uses_vcc, 0
	.set _ZN7rocprim17ROCPRIM_400000_NS6detail17trampoline_kernelINS0_14default_configENS1_25partition_config_selectorILNS1_17partition_subalgoE8ElNS0_10empty_typeEbEEZZNS1_14partition_implILS5_8ELb0ES3_jPlPS6_PKS6_NS0_5tupleIJS9_S6_EEENSD_IJSA_SA_EEENS0_18inequality_wrapperIZN2at6native12_GLOBAL__N_124unique_dim_cuda_templateItEESt5tupleIJNSH_6TensorESM_SM_EERKSM_lbbbEUlllE0_EEPmJS6_EEE10hipError_tPvRmT3_T4_T5_T6_T7_T9_mT8_P12ihipStream_tbDpT10_ENKUlT_T0_E_clISt17integral_constantIbLb0EES1C_EEDaS17_S18_EUlS17_E_NS1_11comp_targetILNS1_3genE9ELNS1_11target_archE1100ELNS1_3gpuE3ELNS1_3repE0EEENS1_30default_config_static_selectorELNS0_4arch9wavefront6targetE1EEEvT1_.uses_flat_scratch, 0
	.set _ZN7rocprim17ROCPRIM_400000_NS6detail17trampoline_kernelINS0_14default_configENS1_25partition_config_selectorILNS1_17partition_subalgoE8ElNS0_10empty_typeEbEEZZNS1_14partition_implILS5_8ELb0ES3_jPlPS6_PKS6_NS0_5tupleIJS9_S6_EEENSD_IJSA_SA_EEENS0_18inequality_wrapperIZN2at6native12_GLOBAL__N_124unique_dim_cuda_templateItEESt5tupleIJNSH_6TensorESM_SM_EERKSM_lbbbEUlllE0_EEPmJS6_EEE10hipError_tPvRmT3_T4_T5_T6_T7_T9_mT8_P12ihipStream_tbDpT10_ENKUlT_T0_E_clISt17integral_constantIbLb0EES1C_EEDaS17_S18_EUlS17_E_NS1_11comp_targetILNS1_3genE9ELNS1_11target_archE1100ELNS1_3gpuE3ELNS1_3repE0EEENS1_30default_config_static_selectorELNS0_4arch9wavefront6targetE1EEEvT1_.has_dyn_sized_stack, 0
	.set _ZN7rocprim17ROCPRIM_400000_NS6detail17trampoline_kernelINS0_14default_configENS1_25partition_config_selectorILNS1_17partition_subalgoE8ElNS0_10empty_typeEbEEZZNS1_14partition_implILS5_8ELb0ES3_jPlPS6_PKS6_NS0_5tupleIJS9_S6_EEENSD_IJSA_SA_EEENS0_18inequality_wrapperIZN2at6native12_GLOBAL__N_124unique_dim_cuda_templateItEESt5tupleIJNSH_6TensorESM_SM_EERKSM_lbbbEUlllE0_EEPmJS6_EEE10hipError_tPvRmT3_T4_T5_T6_T7_T9_mT8_P12ihipStream_tbDpT10_ENKUlT_T0_E_clISt17integral_constantIbLb0EES1C_EEDaS17_S18_EUlS17_E_NS1_11comp_targetILNS1_3genE9ELNS1_11target_archE1100ELNS1_3gpuE3ELNS1_3repE0EEENS1_30default_config_static_selectorELNS0_4arch9wavefront6targetE1EEEvT1_.has_recursion, 0
	.set _ZN7rocprim17ROCPRIM_400000_NS6detail17trampoline_kernelINS0_14default_configENS1_25partition_config_selectorILNS1_17partition_subalgoE8ElNS0_10empty_typeEbEEZZNS1_14partition_implILS5_8ELb0ES3_jPlPS6_PKS6_NS0_5tupleIJS9_S6_EEENSD_IJSA_SA_EEENS0_18inequality_wrapperIZN2at6native12_GLOBAL__N_124unique_dim_cuda_templateItEESt5tupleIJNSH_6TensorESM_SM_EERKSM_lbbbEUlllE0_EEPmJS6_EEE10hipError_tPvRmT3_T4_T5_T6_T7_T9_mT8_P12ihipStream_tbDpT10_ENKUlT_T0_E_clISt17integral_constantIbLb0EES1C_EEDaS17_S18_EUlS17_E_NS1_11comp_targetILNS1_3genE9ELNS1_11target_archE1100ELNS1_3gpuE3ELNS1_3repE0EEENS1_30default_config_static_selectorELNS0_4arch9wavefront6targetE1EEEvT1_.has_indirect_call, 0
	.section	.AMDGPU.csdata,"",@progbits
; Kernel info:
; codeLenInByte = 0
; TotalNumSgprs: 6
; NumVgprs: 0
; NumAgprs: 0
; TotalNumVgprs: 0
; ScratchSize: 0
; MemoryBound: 0
; FloatMode: 240
; IeeeMode: 1
; LDSByteSize: 0 bytes/workgroup (compile time only)
; SGPRBlocks: 0
; VGPRBlocks: 0
; NumSGPRsForWavesPerEU: 6
; NumVGPRsForWavesPerEU: 1
; AccumOffset: 4
; Occupancy: 8
; WaveLimiterHint : 0
; COMPUTE_PGM_RSRC2:SCRATCH_EN: 0
; COMPUTE_PGM_RSRC2:USER_SGPR: 2
; COMPUTE_PGM_RSRC2:TRAP_HANDLER: 0
; COMPUTE_PGM_RSRC2:TGID_X_EN: 1
; COMPUTE_PGM_RSRC2:TGID_Y_EN: 0
; COMPUTE_PGM_RSRC2:TGID_Z_EN: 0
; COMPUTE_PGM_RSRC2:TIDIG_COMP_CNT: 0
; COMPUTE_PGM_RSRC3_GFX90A:ACCUM_OFFSET: 0
; COMPUTE_PGM_RSRC3_GFX90A:TG_SPLIT: 0
	.section	.text._ZN7rocprim17ROCPRIM_400000_NS6detail17trampoline_kernelINS0_14default_configENS1_25partition_config_selectorILNS1_17partition_subalgoE8ElNS0_10empty_typeEbEEZZNS1_14partition_implILS5_8ELb0ES3_jPlPS6_PKS6_NS0_5tupleIJS9_S6_EEENSD_IJSA_SA_EEENS0_18inequality_wrapperIZN2at6native12_GLOBAL__N_124unique_dim_cuda_templateItEESt5tupleIJNSH_6TensorESM_SM_EERKSM_lbbbEUlllE0_EEPmJS6_EEE10hipError_tPvRmT3_T4_T5_T6_T7_T9_mT8_P12ihipStream_tbDpT10_ENKUlT_T0_E_clISt17integral_constantIbLb0EES1C_EEDaS17_S18_EUlS17_E_NS1_11comp_targetILNS1_3genE8ELNS1_11target_archE1030ELNS1_3gpuE2ELNS1_3repE0EEENS1_30default_config_static_selectorELNS0_4arch9wavefront6targetE1EEEvT1_,"axG",@progbits,_ZN7rocprim17ROCPRIM_400000_NS6detail17trampoline_kernelINS0_14default_configENS1_25partition_config_selectorILNS1_17partition_subalgoE8ElNS0_10empty_typeEbEEZZNS1_14partition_implILS5_8ELb0ES3_jPlPS6_PKS6_NS0_5tupleIJS9_S6_EEENSD_IJSA_SA_EEENS0_18inequality_wrapperIZN2at6native12_GLOBAL__N_124unique_dim_cuda_templateItEESt5tupleIJNSH_6TensorESM_SM_EERKSM_lbbbEUlllE0_EEPmJS6_EEE10hipError_tPvRmT3_T4_T5_T6_T7_T9_mT8_P12ihipStream_tbDpT10_ENKUlT_T0_E_clISt17integral_constantIbLb0EES1C_EEDaS17_S18_EUlS17_E_NS1_11comp_targetILNS1_3genE8ELNS1_11target_archE1030ELNS1_3gpuE2ELNS1_3repE0EEENS1_30default_config_static_selectorELNS0_4arch9wavefront6targetE1EEEvT1_,comdat
	.globl	_ZN7rocprim17ROCPRIM_400000_NS6detail17trampoline_kernelINS0_14default_configENS1_25partition_config_selectorILNS1_17partition_subalgoE8ElNS0_10empty_typeEbEEZZNS1_14partition_implILS5_8ELb0ES3_jPlPS6_PKS6_NS0_5tupleIJS9_S6_EEENSD_IJSA_SA_EEENS0_18inequality_wrapperIZN2at6native12_GLOBAL__N_124unique_dim_cuda_templateItEESt5tupleIJNSH_6TensorESM_SM_EERKSM_lbbbEUlllE0_EEPmJS6_EEE10hipError_tPvRmT3_T4_T5_T6_T7_T9_mT8_P12ihipStream_tbDpT10_ENKUlT_T0_E_clISt17integral_constantIbLb0EES1C_EEDaS17_S18_EUlS17_E_NS1_11comp_targetILNS1_3genE8ELNS1_11target_archE1030ELNS1_3gpuE2ELNS1_3repE0EEENS1_30default_config_static_selectorELNS0_4arch9wavefront6targetE1EEEvT1_ ; -- Begin function _ZN7rocprim17ROCPRIM_400000_NS6detail17trampoline_kernelINS0_14default_configENS1_25partition_config_selectorILNS1_17partition_subalgoE8ElNS0_10empty_typeEbEEZZNS1_14partition_implILS5_8ELb0ES3_jPlPS6_PKS6_NS0_5tupleIJS9_S6_EEENSD_IJSA_SA_EEENS0_18inequality_wrapperIZN2at6native12_GLOBAL__N_124unique_dim_cuda_templateItEESt5tupleIJNSH_6TensorESM_SM_EERKSM_lbbbEUlllE0_EEPmJS6_EEE10hipError_tPvRmT3_T4_T5_T6_T7_T9_mT8_P12ihipStream_tbDpT10_ENKUlT_T0_E_clISt17integral_constantIbLb0EES1C_EEDaS17_S18_EUlS17_E_NS1_11comp_targetILNS1_3genE8ELNS1_11target_archE1030ELNS1_3gpuE2ELNS1_3repE0EEENS1_30default_config_static_selectorELNS0_4arch9wavefront6targetE1EEEvT1_
	.p2align	8
	.type	_ZN7rocprim17ROCPRIM_400000_NS6detail17trampoline_kernelINS0_14default_configENS1_25partition_config_selectorILNS1_17partition_subalgoE8ElNS0_10empty_typeEbEEZZNS1_14partition_implILS5_8ELb0ES3_jPlPS6_PKS6_NS0_5tupleIJS9_S6_EEENSD_IJSA_SA_EEENS0_18inequality_wrapperIZN2at6native12_GLOBAL__N_124unique_dim_cuda_templateItEESt5tupleIJNSH_6TensorESM_SM_EERKSM_lbbbEUlllE0_EEPmJS6_EEE10hipError_tPvRmT3_T4_T5_T6_T7_T9_mT8_P12ihipStream_tbDpT10_ENKUlT_T0_E_clISt17integral_constantIbLb0EES1C_EEDaS17_S18_EUlS17_E_NS1_11comp_targetILNS1_3genE8ELNS1_11target_archE1030ELNS1_3gpuE2ELNS1_3repE0EEENS1_30default_config_static_selectorELNS0_4arch9wavefront6targetE1EEEvT1_,@function
_ZN7rocprim17ROCPRIM_400000_NS6detail17trampoline_kernelINS0_14default_configENS1_25partition_config_selectorILNS1_17partition_subalgoE8ElNS0_10empty_typeEbEEZZNS1_14partition_implILS5_8ELb0ES3_jPlPS6_PKS6_NS0_5tupleIJS9_S6_EEENSD_IJSA_SA_EEENS0_18inequality_wrapperIZN2at6native12_GLOBAL__N_124unique_dim_cuda_templateItEESt5tupleIJNSH_6TensorESM_SM_EERKSM_lbbbEUlllE0_EEPmJS6_EEE10hipError_tPvRmT3_T4_T5_T6_T7_T9_mT8_P12ihipStream_tbDpT10_ENKUlT_T0_E_clISt17integral_constantIbLb0EES1C_EEDaS17_S18_EUlS17_E_NS1_11comp_targetILNS1_3genE8ELNS1_11target_archE1030ELNS1_3gpuE2ELNS1_3repE0EEENS1_30default_config_static_selectorELNS0_4arch9wavefront6targetE1EEEvT1_: ; @_ZN7rocprim17ROCPRIM_400000_NS6detail17trampoline_kernelINS0_14default_configENS1_25partition_config_selectorILNS1_17partition_subalgoE8ElNS0_10empty_typeEbEEZZNS1_14partition_implILS5_8ELb0ES3_jPlPS6_PKS6_NS0_5tupleIJS9_S6_EEENSD_IJSA_SA_EEENS0_18inequality_wrapperIZN2at6native12_GLOBAL__N_124unique_dim_cuda_templateItEESt5tupleIJNSH_6TensorESM_SM_EERKSM_lbbbEUlllE0_EEPmJS6_EEE10hipError_tPvRmT3_T4_T5_T6_T7_T9_mT8_P12ihipStream_tbDpT10_ENKUlT_T0_E_clISt17integral_constantIbLb0EES1C_EEDaS17_S18_EUlS17_E_NS1_11comp_targetILNS1_3genE8ELNS1_11target_archE1030ELNS1_3gpuE2ELNS1_3repE0EEENS1_30default_config_static_selectorELNS0_4arch9wavefront6targetE1EEEvT1_
; %bb.0:
	.section	.rodata,"a",@progbits
	.p2align	6, 0x0
	.amdhsa_kernel _ZN7rocprim17ROCPRIM_400000_NS6detail17trampoline_kernelINS0_14default_configENS1_25partition_config_selectorILNS1_17partition_subalgoE8ElNS0_10empty_typeEbEEZZNS1_14partition_implILS5_8ELb0ES3_jPlPS6_PKS6_NS0_5tupleIJS9_S6_EEENSD_IJSA_SA_EEENS0_18inequality_wrapperIZN2at6native12_GLOBAL__N_124unique_dim_cuda_templateItEESt5tupleIJNSH_6TensorESM_SM_EERKSM_lbbbEUlllE0_EEPmJS6_EEE10hipError_tPvRmT3_T4_T5_T6_T7_T9_mT8_P12ihipStream_tbDpT10_ENKUlT_T0_E_clISt17integral_constantIbLb0EES1C_EEDaS17_S18_EUlS17_E_NS1_11comp_targetILNS1_3genE8ELNS1_11target_archE1030ELNS1_3gpuE2ELNS1_3repE0EEENS1_30default_config_static_selectorELNS0_4arch9wavefront6targetE1EEEvT1_
		.amdhsa_group_segment_fixed_size 0
		.amdhsa_private_segment_fixed_size 0
		.amdhsa_kernarg_size 120
		.amdhsa_user_sgpr_count 2
		.amdhsa_user_sgpr_dispatch_ptr 0
		.amdhsa_user_sgpr_queue_ptr 0
		.amdhsa_user_sgpr_kernarg_segment_ptr 1
		.amdhsa_user_sgpr_dispatch_id 0
		.amdhsa_user_sgpr_kernarg_preload_length 0
		.amdhsa_user_sgpr_kernarg_preload_offset 0
		.amdhsa_user_sgpr_private_segment_size 0
		.amdhsa_uses_dynamic_stack 0
		.amdhsa_enable_private_segment 0
		.amdhsa_system_sgpr_workgroup_id_x 1
		.amdhsa_system_sgpr_workgroup_id_y 0
		.amdhsa_system_sgpr_workgroup_id_z 0
		.amdhsa_system_sgpr_workgroup_info 0
		.amdhsa_system_vgpr_workitem_id 0
		.amdhsa_next_free_vgpr 1
		.amdhsa_next_free_sgpr 0
		.amdhsa_accum_offset 4
		.amdhsa_reserve_vcc 0
		.amdhsa_float_round_mode_32 0
		.amdhsa_float_round_mode_16_64 0
		.amdhsa_float_denorm_mode_32 3
		.amdhsa_float_denorm_mode_16_64 3
		.amdhsa_dx10_clamp 1
		.amdhsa_ieee_mode 1
		.amdhsa_fp16_overflow 0
		.amdhsa_tg_split 0
		.amdhsa_exception_fp_ieee_invalid_op 0
		.amdhsa_exception_fp_denorm_src 0
		.amdhsa_exception_fp_ieee_div_zero 0
		.amdhsa_exception_fp_ieee_overflow 0
		.amdhsa_exception_fp_ieee_underflow 0
		.amdhsa_exception_fp_ieee_inexact 0
		.amdhsa_exception_int_div_zero 0
	.end_amdhsa_kernel
	.section	.text._ZN7rocprim17ROCPRIM_400000_NS6detail17trampoline_kernelINS0_14default_configENS1_25partition_config_selectorILNS1_17partition_subalgoE8ElNS0_10empty_typeEbEEZZNS1_14partition_implILS5_8ELb0ES3_jPlPS6_PKS6_NS0_5tupleIJS9_S6_EEENSD_IJSA_SA_EEENS0_18inequality_wrapperIZN2at6native12_GLOBAL__N_124unique_dim_cuda_templateItEESt5tupleIJNSH_6TensorESM_SM_EERKSM_lbbbEUlllE0_EEPmJS6_EEE10hipError_tPvRmT3_T4_T5_T6_T7_T9_mT8_P12ihipStream_tbDpT10_ENKUlT_T0_E_clISt17integral_constantIbLb0EES1C_EEDaS17_S18_EUlS17_E_NS1_11comp_targetILNS1_3genE8ELNS1_11target_archE1030ELNS1_3gpuE2ELNS1_3repE0EEENS1_30default_config_static_selectorELNS0_4arch9wavefront6targetE1EEEvT1_,"axG",@progbits,_ZN7rocprim17ROCPRIM_400000_NS6detail17trampoline_kernelINS0_14default_configENS1_25partition_config_selectorILNS1_17partition_subalgoE8ElNS0_10empty_typeEbEEZZNS1_14partition_implILS5_8ELb0ES3_jPlPS6_PKS6_NS0_5tupleIJS9_S6_EEENSD_IJSA_SA_EEENS0_18inequality_wrapperIZN2at6native12_GLOBAL__N_124unique_dim_cuda_templateItEESt5tupleIJNSH_6TensorESM_SM_EERKSM_lbbbEUlllE0_EEPmJS6_EEE10hipError_tPvRmT3_T4_T5_T6_T7_T9_mT8_P12ihipStream_tbDpT10_ENKUlT_T0_E_clISt17integral_constantIbLb0EES1C_EEDaS17_S18_EUlS17_E_NS1_11comp_targetILNS1_3genE8ELNS1_11target_archE1030ELNS1_3gpuE2ELNS1_3repE0EEENS1_30default_config_static_selectorELNS0_4arch9wavefront6targetE1EEEvT1_,comdat
.Lfunc_end1426:
	.size	_ZN7rocprim17ROCPRIM_400000_NS6detail17trampoline_kernelINS0_14default_configENS1_25partition_config_selectorILNS1_17partition_subalgoE8ElNS0_10empty_typeEbEEZZNS1_14partition_implILS5_8ELb0ES3_jPlPS6_PKS6_NS0_5tupleIJS9_S6_EEENSD_IJSA_SA_EEENS0_18inequality_wrapperIZN2at6native12_GLOBAL__N_124unique_dim_cuda_templateItEESt5tupleIJNSH_6TensorESM_SM_EERKSM_lbbbEUlllE0_EEPmJS6_EEE10hipError_tPvRmT3_T4_T5_T6_T7_T9_mT8_P12ihipStream_tbDpT10_ENKUlT_T0_E_clISt17integral_constantIbLb0EES1C_EEDaS17_S18_EUlS17_E_NS1_11comp_targetILNS1_3genE8ELNS1_11target_archE1030ELNS1_3gpuE2ELNS1_3repE0EEENS1_30default_config_static_selectorELNS0_4arch9wavefront6targetE1EEEvT1_, .Lfunc_end1426-_ZN7rocprim17ROCPRIM_400000_NS6detail17trampoline_kernelINS0_14default_configENS1_25partition_config_selectorILNS1_17partition_subalgoE8ElNS0_10empty_typeEbEEZZNS1_14partition_implILS5_8ELb0ES3_jPlPS6_PKS6_NS0_5tupleIJS9_S6_EEENSD_IJSA_SA_EEENS0_18inequality_wrapperIZN2at6native12_GLOBAL__N_124unique_dim_cuda_templateItEESt5tupleIJNSH_6TensorESM_SM_EERKSM_lbbbEUlllE0_EEPmJS6_EEE10hipError_tPvRmT3_T4_T5_T6_T7_T9_mT8_P12ihipStream_tbDpT10_ENKUlT_T0_E_clISt17integral_constantIbLb0EES1C_EEDaS17_S18_EUlS17_E_NS1_11comp_targetILNS1_3genE8ELNS1_11target_archE1030ELNS1_3gpuE2ELNS1_3repE0EEENS1_30default_config_static_selectorELNS0_4arch9wavefront6targetE1EEEvT1_
                                        ; -- End function
	.set _ZN7rocprim17ROCPRIM_400000_NS6detail17trampoline_kernelINS0_14default_configENS1_25partition_config_selectorILNS1_17partition_subalgoE8ElNS0_10empty_typeEbEEZZNS1_14partition_implILS5_8ELb0ES3_jPlPS6_PKS6_NS0_5tupleIJS9_S6_EEENSD_IJSA_SA_EEENS0_18inequality_wrapperIZN2at6native12_GLOBAL__N_124unique_dim_cuda_templateItEESt5tupleIJNSH_6TensorESM_SM_EERKSM_lbbbEUlllE0_EEPmJS6_EEE10hipError_tPvRmT3_T4_T5_T6_T7_T9_mT8_P12ihipStream_tbDpT10_ENKUlT_T0_E_clISt17integral_constantIbLb0EES1C_EEDaS17_S18_EUlS17_E_NS1_11comp_targetILNS1_3genE8ELNS1_11target_archE1030ELNS1_3gpuE2ELNS1_3repE0EEENS1_30default_config_static_selectorELNS0_4arch9wavefront6targetE1EEEvT1_.num_vgpr, 0
	.set _ZN7rocprim17ROCPRIM_400000_NS6detail17trampoline_kernelINS0_14default_configENS1_25partition_config_selectorILNS1_17partition_subalgoE8ElNS0_10empty_typeEbEEZZNS1_14partition_implILS5_8ELb0ES3_jPlPS6_PKS6_NS0_5tupleIJS9_S6_EEENSD_IJSA_SA_EEENS0_18inequality_wrapperIZN2at6native12_GLOBAL__N_124unique_dim_cuda_templateItEESt5tupleIJNSH_6TensorESM_SM_EERKSM_lbbbEUlllE0_EEPmJS6_EEE10hipError_tPvRmT3_T4_T5_T6_T7_T9_mT8_P12ihipStream_tbDpT10_ENKUlT_T0_E_clISt17integral_constantIbLb0EES1C_EEDaS17_S18_EUlS17_E_NS1_11comp_targetILNS1_3genE8ELNS1_11target_archE1030ELNS1_3gpuE2ELNS1_3repE0EEENS1_30default_config_static_selectorELNS0_4arch9wavefront6targetE1EEEvT1_.num_agpr, 0
	.set _ZN7rocprim17ROCPRIM_400000_NS6detail17trampoline_kernelINS0_14default_configENS1_25partition_config_selectorILNS1_17partition_subalgoE8ElNS0_10empty_typeEbEEZZNS1_14partition_implILS5_8ELb0ES3_jPlPS6_PKS6_NS0_5tupleIJS9_S6_EEENSD_IJSA_SA_EEENS0_18inequality_wrapperIZN2at6native12_GLOBAL__N_124unique_dim_cuda_templateItEESt5tupleIJNSH_6TensorESM_SM_EERKSM_lbbbEUlllE0_EEPmJS6_EEE10hipError_tPvRmT3_T4_T5_T6_T7_T9_mT8_P12ihipStream_tbDpT10_ENKUlT_T0_E_clISt17integral_constantIbLb0EES1C_EEDaS17_S18_EUlS17_E_NS1_11comp_targetILNS1_3genE8ELNS1_11target_archE1030ELNS1_3gpuE2ELNS1_3repE0EEENS1_30default_config_static_selectorELNS0_4arch9wavefront6targetE1EEEvT1_.numbered_sgpr, 0
	.set _ZN7rocprim17ROCPRIM_400000_NS6detail17trampoline_kernelINS0_14default_configENS1_25partition_config_selectorILNS1_17partition_subalgoE8ElNS0_10empty_typeEbEEZZNS1_14partition_implILS5_8ELb0ES3_jPlPS6_PKS6_NS0_5tupleIJS9_S6_EEENSD_IJSA_SA_EEENS0_18inequality_wrapperIZN2at6native12_GLOBAL__N_124unique_dim_cuda_templateItEESt5tupleIJNSH_6TensorESM_SM_EERKSM_lbbbEUlllE0_EEPmJS6_EEE10hipError_tPvRmT3_T4_T5_T6_T7_T9_mT8_P12ihipStream_tbDpT10_ENKUlT_T0_E_clISt17integral_constantIbLb0EES1C_EEDaS17_S18_EUlS17_E_NS1_11comp_targetILNS1_3genE8ELNS1_11target_archE1030ELNS1_3gpuE2ELNS1_3repE0EEENS1_30default_config_static_selectorELNS0_4arch9wavefront6targetE1EEEvT1_.num_named_barrier, 0
	.set _ZN7rocprim17ROCPRIM_400000_NS6detail17trampoline_kernelINS0_14default_configENS1_25partition_config_selectorILNS1_17partition_subalgoE8ElNS0_10empty_typeEbEEZZNS1_14partition_implILS5_8ELb0ES3_jPlPS6_PKS6_NS0_5tupleIJS9_S6_EEENSD_IJSA_SA_EEENS0_18inequality_wrapperIZN2at6native12_GLOBAL__N_124unique_dim_cuda_templateItEESt5tupleIJNSH_6TensorESM_SM_EERKSM_lbbbEUlllE0_EEPmJS6_EEE10hipError_tPvRmT3_T4_T5_T6_T7_T9_mT8_P12ihipStream_tbDpT10_ENKUlT_T0_E_clISt17integral_constantIbLb0EES1C_EEDaS17_S18_EUlS17_E_NS1_11comp_targetILNS1_3genE8ELNS1_11target_archE1030ELNS1_3gpuE2ELNS1_3repE0EEENS1_30default_config_static_selectorELNS0_4arch9wavefront6targetE1EEEvT1_.private_seg_size, 0
	.set _ZN7rocprim17ROCPRIM_400000_NS6detail17trampoline_kernelINS0_14default_configENS1_25partition_config_selectorILNS1_17partition_subalgoE8ElNS0_10empty_typeEbEEZZNS1_14partition_implILS5_8ELb0ES3_jPlPS6_PKS6_NS0_5tupleIJS9_S6_EEENSD_IJSA_SA_EEENS0_18inequality_wrapperIZN2at6native12_GLOBAL__N_124unique_dim_cuda_templateItEESt5tupleIJNSH_6TensorESM_SM_EERKSM_lbbbEUlllE0_EEPmJS6_EEE10hipError_tPvRmT3_T4_T5_T6_T7_T9_mT8_P12ihipStream_tbDpT10_ENKUlT_T0_E_clISt17integral_constantIbLb0EES1C_EEDaS17_S18_EUlS17_E_NS1_11comp_targetILNS1_3genE8ELNS1_11target_archE1030ELNS1_3gpuE2ELNS1_3repE0EEENS1_30default_config_static_selectorELNS0_4arch9wavefront6targetE1EEEvT1_.uses_vcc, 0
	.set _ZN7rocprim17ROCPRIM_400000_NS6detail17trampoline_kernelINS0_14default_configENS1_25partition_config_selectorILNS1_17partition_subalgoE8ElNS0_10empty_typeEbEEZZNS1_14partition_implILS5_8ELb0ES3_jPlPS6_PKS6_NS0_5tupleIJS9_S6_EEENSD_IJSA_SA_EEENS0_18inequality_wrapperIZN2at6native12_GLOBAL__N_124unique_dim_cuda_templateItEESt5tupleIJNSH_6TensorESM_SM_EERKSM_lbbbEUlllE0_EEPmJS6_EEE10hipError_tPvRmT3_T4_T5_T6_T7_T9_mT8_P12ihipStream_tbDpT10_ENKUlT_T0_E_clISt17integral_constantIbLb0EES1C_EEDaS17_S18_EUlS17_E_NS1_11comp_targetILNS1_3genE8ELNS1_11target_archE1030ELNS1_3gpuE2ELNS1_3repE0EEENS1_30default_config_static_selectorELNS0_4arch9wavefront6targetE1EEEvT1_.uses_flat_scratch, 0
	.set _ZN7rocprim17ROCPRIM_400000_NS6detail17trampoline_kernelINS0_14default_configENS1_25partition_config_selectorILNS1_17partition_subalgoE8ElNS0_10empty_typeEbEEZZNS1_14partition_implILS5_8ELb0ES3_jPlPS6_PKS6_NS0_5tupleIJS9_S6_EEENSD_IJSA_SA_EEENS0_18inequality_wrapperIZN2at6native12_GLOBAL__N_124unique_dim_cuda_templateItEESt5tupleIJNSH_6TensorESM_SM_EERKSM_lbbbEUlllE0_EEPmJS6_EEE10hipError_tPvRmT3_T4_T5_T6_T7_T9_mT8_P12ihipStream_tbDpT10_ENKUlT_T0_E_clISt17integral_constantIbLb0EES1C_EEDaS17_S18_EUlS17_E_NS1_11comp_targetILNS1_3genE8ELNS1_11target_archE1030ELNS1_3gpuE2ELNS1_3repE0EEENS1_30default_config_static_selectorELNS0_4arch9wavefront6targetE1EEEvT1_.has_dyn_sized_stack, 0
	.set _ZN7rocprim17ROCPRIM_400000_NS6detail17trampoline_kernelINS0_14default_configENS1_25partition_config_selectorILNS1_17partition_subalgoE8ElNS0_10empty_typeEbEEZZNS1_14partition_implILS5_8ELb0ES3_jPlPS6_PKS6_NS0_5tupleIJS9_S6_EEENSD_IJSA_SA_EEENS0_18inequality_wrapperIZN2at6native12_GLOBAL__N_124unique_dim_cuda_templateItEESt5tupleIJNSH_6TensorESM_SM_EERKSM_lbbbEUlllE0_EEPmJS6_EEE10hipError_tPvRmT3_T4_T5_T6_T7_T9_mT8_P12ihipStream_tbDpT10_ENKUlT_T0_E_clISt17integral_constantIbLb0EES1C_EEDaS17_S18_EUlS17_E_NS1_11comp_targetILNS1_3genE8ELNS1_11target_archE1030ELNS1_3gpuE2ELNS1_3repE0EEENS1_30default_config_static_selectorELNS0_4arch9wavefront6targetE1EEEvT1_.has_recursion, 0
	.set _ZN7rocprim17ROCPRIM_400000_NS6detail17trampoline_kernelINS0_14default_configENS1_25partition_config_selectorILNS1_17partition_subalgoE8ElNS0_10empty_typeEbEEZZNS1_14partition_implILS5_8ELb0ES3_jPlPS6_PKS6_NS0_5tupleIJS9_S6_EEENSD_IJSA_SA_EEENS0_18inequality_wrapperIZN2at6native12_GLOBAL__N_124unique_dim_cuda_templateItEESt5tupleIJNSH_6TensorESM_SM_EERKSM_lbbbEUlllE0_EEPmJS6_EEE10hipError_tPvRmT3_T4_T5_T6_T7_T9_mT8_P12ihipStream_tbDpT10_ENKUlT_T0_E_clISt17integral_constantIbLb0EES1C_EEDaS17_S18_EUlS17_E_NS1_11comp_targetILNS1_3genE8ELNS1_11target_archE1030ELNS1_3gpuE2ELNS1_3repE0EEENS1_30default_config_static_selectorELNS0_4arch9wavefront6targetE1EEEvT1_.has_indirect_call, 0
	.section	.AMDGPU.csdata,"",@progbits
; Kernel info:
; codeLenInByte = 0
; TotalNumSgprs: 6
; NumVgprs: 0
; NumAgprs: 0
; TotalNumVgprs: 0
; ScratchSize: 0
; MemoryBound: 0
; FloatMode: 240
; IeeeMode: 1
; LDSByteSize: 0 bytes/workgroup (compile time only)
; SGPRBlocks: 0
; VGPRBlocks: 0
; NumSGPRsForWavesPerEU: 6
; NumVGPRsForWavesPerEU: 1
; AccumOffset: 4
; Occupancy: 8
; WaveLimiterHint : 0
; COMPUTE_PGM_RSRC2:SCRATCH_EN: 0
; COMPUTE_PGM_RSRC2:USER_SGPR: 2
; COMPUTE_PGM_RSRC2:TRAP_HANDLER: 0
; COMPUTE_PGM_RSRC2:TGID_X_EN: 1
; COMPUTE_PGM_RSRC2:TGID_Y_EN: 0
; COMPUTE_PGM_RSRC2:TGID_Z_EN: 0
; COMPUTE_PGM_RSRC2:TIDIG_COMP_CNT: 0
; COMPUTE_PGM_RSRC3_GFX90A:ACCUM_OFFSET: 0
; COMPUTE_PGM_RSRC3_GFX90A:TG_SPLIT: 0
	.section	.text._ZN7rocprim17ROCPRIM_400000_NS6detail17trampoline_kernelINS0_14default_configENS1_25partition_config_selectorILNS1_17partition_subalgoE8ElNS0_10empty_typeEbEEZZNS1_14partition_implILS5_8ELb0ES3_jPlPS6_PKS6_NS0_5tupleIJS9_S6_EEENSD_IJSA_SA_EEENS0_18inequality_wrapperIZN2at6native12_GLOBAL__N_124unique_dim_cuda_templateItEESt5tupleIJNSH_6TensorESM_SM_EERKSM_lbbbEUlllE0_EEPmJS6_EEE10hipError_tPvRmT3_T4_T5_T6_T7_T9_mT8_P12ihipStream_tbDpT10_ENKUlT_T0_E_clISt17integral_constantIbLb1EES1C_EEDaS17_S18_EUlS17_E_NS1_11comp_targetILNS1_3genE0ELNS1_11target_archE4294967295ELNS1_3gpuE0ELNS1_3repE0EEENS1_30default_config_static_selectorELNS0_4arch9wavefront6targetE1EEEvT1_,"axG",@progbits,_ZN7rocprim17ROCPRIM_400000_NS6detail17trampoline_kernelINS0_14default_configENS1_25partition_config_selectorILNS1_17partition_subalgoE8ElNS0_10empty_typeEbEEZZNS1_14partition_implILS5_8ELb0ES3_jPlPS6_PKS6_NS0_5tupleIJS9_S6_EEENSD_IJSA_SA_EEENS0_18inequality_wrapperIZN2at6native12_GLOBAL__N_124unique_dim_cuda_templateItEESt5tupleIJNSH_6TensorESM_SM_EERKSM_lbbbEUlllE0_EEPmJS6_EEE10hipError_tPvRmT3_T4_T5_T6_T7_T9_mT8_P12ihipStream_tbDpT10_ENKUlT_T0_E_clISt17integral_constantIbLb1EES1C_EEDaS17_S18_EUlS17_E_NS1_11comp_targetILNS1_3genE0ELNS1_11target_archE4294967295ELNS1_3gpuE0ELNS1_3repE0EEENS1_30default_config_static_selectorELNS0_4arch9wavefront6targetE1EEEvT1_,comdat
	.globl	_ZN7rocprim17ROCPRIM_400000_NS6detail17trampoline_kernelINS0_14default_configENS1_25partition_config_selectorILNS1_17partition_subalgoE8ElNS0_10empty_typeEbEEZZNS1_14partition_implILS5_8ELb0ES3_jPlPS6_PKS6_NS0_5tupleIJS9_S6_EEENSD_IJSA_SA_EEENS0_18inequality_wrapperIZN2at6native12_GLOBAL__N_124unique_dim_cuda_templateItEESt5tupleIJNSH_6TensorESM_SM_EERKSM_lbbbEUlllE0_EEPmJS6_EEE10hipError_tPvRmT3_T4_T5_T6_T7_T9_mT8_P12ihipStream_tbDpT10_ENKUlT_T0_E_clISt17integral_constantIbLb1EES1C_EEDaS17_S18_EUlS17_E_NS1_11comp_targetILNS1_3genE0ELNS1_11target_archE4294967295ELNS1_3gpuE0ELNS1_3repE0EEENS1_30default_config_static_selectorELNS0_4arch9wavefront6targetE1EEEvT1_ ; -- Begin function _ZN7rocprim17ROCPRIM_400000_NS6detail17trampoline_kernelINS0_14default_configENS1_25partition_config_selectorILNS1_17partition_subalgoE8ElNS0_10empty_typeEbEEZZNS1_14partition_implILS5_8ELb0ES3_jPlPS6_PKS6_NS0_5tupleIJS9_S6_EEENSD_IJSA_SA_EEENS0_18inequality_wrapperIZN2at6native12_GLOBAL__N_124unique_dim_cuda_templateItEESt5tupleIJNSH_6TensorESM_SM_EERKSM_lbbbEUlllE0_EEPmJS6_EEE10hipError_tPvRmT3_T4_T5_T6_T7_T9_mT8_P12ihipStream_tbDpT10_ENKUlT_T0_E_clISt17integral_constantIbLb1EES1C_EEDaS17_S18_EUlS17_E_NS1_11comp_targetILNS1_3genE0ELNS1_11target_archE4294967295ELNS1_3gpuE0ELNS1_3repE0EEENS1_30default_config_static_selectorELNS0_4arch9wavefront6targetE1EEEvT1_
	.p2align	8
	.type	_ZN7rocprim17ROCPRIM_400000_NS6detail17trampoline_kernelINS0_14default_configENS1_25partition_config_selectorILNS1_17partition_subalgoE8ElNS0_10empty_typeEbEEZZNS1_14partition_implILS5_8ELb0ES3_jPlPS6_PKS6_NS0_5tupleIJS9_S6_EEENSD_IJSA_SA_EEENS0_18inequality_wrapperIZN2at6native12_GLOBAL__N_124unique_dim_cuda_templateItEESt5tupleIJNSH_6TensorESM_SM_EERKSM_lbbbEUlllE0_EEPmJS6_EEE10hipError_tPvRmT3_T4_T5_T6_T7_T9_mT8_P12ihipStream_tbDpT10_ENKUlT_T0_E_clISt17integral_constantIbLb1EES1C_EEDaS17_S18_EUlS17_E_NS1_11comp_targetILNS1_3genE0ELNS1_11target_archE4294967295ELNS1_3gpuE0ELNS1_3repE0EEENS1_30default_config_static_selectorELNS0_4arch9wavefront6targetE1EEEvT1_,@function
_ZN7rocprim17ROCPRIM_400000_NS6detail17trampoline_kernelINS0_14default_configENS1_25partition_config_selectorILNS1_17partition_subalgoE8ElNS0_10empty_typeEbEEZZNS1_14partition_implILS5_8ELb0ES3_jPlPS6_PKS6_NS0_5tupleIJS9_S6_EEENSD_IJSA_SA_EEENS0_18inequality_wrapperIZN2at6native12_GLOBAL__N_124unique_dim_cuda_templateItEESt5tupleIJNSH_6TensorESM_SM_EERKSM_lbbbEUlllE0_EEPmJS6_EEE10hipError_tPvRmT3_T4_T5_T6_T7_T9_mT8_P12ihipStream_tbDpT10_ENKUlT_T0_E_clISt17integral_constantIbLb1EES1C_EEDaS17_S18_EUlS17_E_NS1_11comp_targetILNS1_3genE0ELNS1_11target_archE4294967295ELNS1_3gpuE0ELNS1_3repE0EEENS1_30default_config_static_selectorELNS0_4arch9wavefront6targetE1EEEvT1_: ; @_ZN7rocprim17ROCPRIM_400000_NS6detail17trampoline_kernelINS0_14default_configENS1_25partition_config_selectorILNS1_17partition_subalgoE8ElNS0_10empty_typeEbEEZZNS1_14partition_implILS5_8ELb0ES3_jPlPS6_PKS6_NS0_5tupleIJS9_S6_EEENSD_IJSA_SA_EEENS0_18inequality_wrapperIZN2at6native12_GLOBAL__N_124unique_dim_cuda_templateItEESt5tupleIJNSH_6TensorESM_SM_EERKSM_lbbbEUlllE0_EEPmJS6_EEE10hipError_tPvRmT3_T4_T5_T6_T7_T9_mT8_P12ihipStream_tbDpT10_ENKUlT_T0_E_clISt17integral_constantIbLb1EES1C_EEDaS17_S18_EUlS17_E_NS1_11comp_targetILNS1_3genE0ELNS1_11target_archE4294967295ELNS1_3gpuE0ELNS1_3repE0EEENS1_30default_config_static_selectorELNS0_4arch9wavefront6targetE1EEEvT1_
; %bb.0:
	s_endpgm
	.section	.rodata,"a",@progbits
	.p2align	6, 0x0
	.amdhsa_kernel _ZN7rocprim17ROCPRIM_400000_NS6detail17trampoline_kernelINS0_14default_configENS1_25partition_config_selectorILNS1_17partition_subalgoE8ElNS0_10empty_typeEbEEZZNS1_14partition_implILS5_8ELb0ES3_jPlPS6_PKS6_NS0_5tupleIJS9_S6_EEENSD_IJSA_SA_EEENS0_18inequality_wrapperIZN2at6native12_GLOBAL__N_124unique_dim_cuda_templateItEESt5tupleIJNSH_6TensorESM_SM_EERKSM_lbbbEUlllE0_EEPmJS6_EEE10hipError_tPvRmT3_T4_T5_T6_T7_T9_mT8_P12ihipStream_tbDpT10_ENKUlT_T0_E_clISt17integral_constantIbLb1EES1C_EEDaS17_S18_EUlS17_E_NS1_11comp_targetILNS1_3genE0ELNS1_11target_archE4294967295ELNS1_3gpuE0ELNS1_3repE0EEENS1_30default_config_static_selectorELNS0_4arch9wavefront6targetE1EEEvT1_
		.amdhsa_group_segment_fixed_size 0
		.amdhsa_private_segment_fixed_size 0
		.amdhsa_kernarg_size 136
		.amdhsa_user_sgpr_count 2
		.amdhsa_user_sgpr_dispatch_ptr 0
		.amdhsa_user_sgpr_queue_ptr 0
		.amdhsa_user_sgpr_kernarg_segment_ptr 1
		.amdhsa_user_sgpr_dispatch_id 0
		.amdhsa_user_sgpr_kernarg_preload_length 0
		.amdhsa_user_sgpr_kernarg_preload_offset 0
		.amdhsa_user_sgpr_private_segment_size 0
		.amdhsa_uses_dynamic_stack 0
		.amdhsa_enable_private_segment 0
		.amdhsa_system_sgpr_workgroup_id_x 1
		.amdhsa_system_sgpr_workgroup_id_y 0
		.amdhsa_system_sgpr_workgroup_id_z 0
		.amdhsa_system_sgpr_workgroup_info 0
		.amdhsa_system_vgpr_workitem_id 0
		.amdhsa_next_free_vgpr 1
		.amdhsa_next_free_sgpr 0
		.amdhsa_accum_offset 4
		.amdhsa_reserve_vcc 0
		.amdhsa_float_round_mode_32 0
		.amdhsa_float_round_mode_16_64 0
		.amdhsa_float_denorm_mode_32 3
		.amdhsa_float_denorm_mode_16_64 3
		.amdhsa_dx10_clamp 1
		.amdhsa_ieee_mode 1
		.amdhsa_fp16_overflow 0
		.amdhsa_tg_split 0
		.amdhsa_exception_fp_ieee_invalid_op 0
		.amdhsa_exception_fp_denorm_src 0
		.amdhsa_exception_fp_ieee_div_zero 0
		.amdhsa_exception_fp_ieee_overflow 0
		.amdhsa_exception_fp_ieee_underflow 0
		.amdhsa_exception_fp_ieee_inexact 0
		.amdhsa_exception_int_div_zero 0
	.end_amdhsa_kernel
	.section	.text._ZN7rocprim17ROCPRIM_400000_NS6detail17trampoline_kernelINS0_14default_configENS1_25partition_config_selectorILNS1_17partition_subalgoE8ElNS0_10empty_typeEbEEZZNS1_14partition_implILS5_8ELb0ES3_jPlPS6_PKS6_NS0_5tupleIJS9_S6_EEENSD_IJSA_SA_EEENS0_18inequality_wrapperIZN2at6native12_GLOBAL__N_124unique_dim_cuda_templateItEESt5tupleIJNSH_6TensorESM_SM_EERKSM_lbbbEUlllE0_EEPmJS6_EEE10hipError_tPvRmT3_T4_T5_T6_T7_T9_mT8_P12ihipStream_tbDpT10_ENKUlT_T0_E_clISt17integral_constantIbLb1EES1C_EEDaS17_S18_EUlS17_E_NS1_11comp_targetILNS1_3genE0ELNS1_11target_archE4294967295ELNS1_3gpuE0ELNS1_3repE0EEENS1_30default_config_static_selectorELNS0_4arch9wavefront6targetE1EEEvT1_,"axG",@progbits,_ZN7rocprim17ROCPRIM_400000_NS6detail17trampoline_kernelINS0_14default_configENS1_25partition_config_selectorILNS1_17partition_subalgoE8ElNS0_10empty_typeEbEEZZNS1_14partition_implILS5_8ELb0ES3_jPlPS6_PKS6_NS0_5tupleIJS9_S6_EEENSD_IJSA_SA_EEENS0_18inequality_wrapperIZN2at6native12_GLOBAL__N_124unique_dim_cuda_templateItEESt5tupleIJNSH_6TensorESM_SM_EERKSM_lbbbEUlllE0_EEPmJS6_EEE10hipError_tPvRmT3_T4_T5_T6_T7_T9_mT8_P12ihipStream_tbDpT10_ENKUlT_T0_E_clISt17integral_constantIbLb1EES1C_EEDaS17_S18_EUlS17_E_NS1_11comp_targetILNS1_3genE0ELNS1_11target_archE4294967295ELNS1_3gpuE0ELNS1_3repE0EEENS1_30default_config_static_selectorELNS0_4arch9wavefront6targetE1EEEvT1_,comdat
.Lfunc_end1427:
	.size	_ZN7rocprim17ROCPRIM_400000_NS6detail17trampoline_kernelINS0_14default_configENS1_25partition_config_selectorILNS1_17partition_subalgoE8ElNS0_10empty_typeEbEEZZNS1_14partition_implILS5_8ELb0ES3_jPlPS6_PKS6_NS0_5tupleIJS9_S6_EEENSD_IJSA_SA_EEENS0_18inequality_wrapperIZN2at6native12_GLOBAL__N_124unique_dim_cuda_templateItEESt5tupleIJNSH_6TensorESM_SM_EERKSM_lbbbEUlllE0_EEPmJS6_EEE10hipError_tPvRmT3_T4_T5_T6_T7_T9_mT8_P12ihipStream_tbDpT10_ENKUlT_T0_E_clISt17integral_constantIbLb1EES1C_EEDaS17_S18_EUlS17_E_NS1_11comp_targetILNS1_3genE0ELNS1_11target_archE4294967295ELNS1_3gpuE0ELNS1_3repE0EEENS1_30default_config_static_selectorELNS0_4arch9wavefront6targetE1EEEvT1_, .Lfunc_end1427-_ZN7rocprim17ROCPRIM_400000_NS6detail17trampoline_kernelINS0_14default_configENS1_25partition_config_selectorILNS1_17partition_subalgoE8ElNS0_10empty_typeEbEEZZNS1_14partition_implILS5_8ELb0ES3_jPlPS6_PKS6_NS0_5tupleIJS9_S6_EEENSD_IJSA_SA_EEENS0_18inequality_wrapperIZN2at6native12_GLOBAL__N_124unique_dim_cuda_templateItEESt5tupleIJNSH_6TensorESM_SM_EERKSM_lbbbEUlllE0_EEPmJS6_EEE10hipError_tPvRmT3_T4_T5_T6_T7_T9_mT8_P12ihipStream_tbDpT10_ENKUlT_T0_E_clISt17integral_constantIbLb1EES1C_EEDaS17_S18_EUlS17_E_NS1_11comp_targetILNS1_3genE0ELNS1_11target_archE4294967295ELNS1_3gpuE0ELNS1_3repE0EEENS1_30default_config_static_selectorELNS0_4arch9wavefront6targetE1EEEvT1_
                                        ; -- End function
	.set _ZN7rocprim17ROCPRIM_400000_NS6detail17trampoline_kernelINS0_14default_configENS1_25partition_config_selectorILNS1_17partition_subalgoE8ElNS0_10empty_typeEbEEZZNS1_14partition_implILS5_8ELb0ES3_jPlPS6_PKS6_NS0_5tupleIJS9_S6_EEENSD_IJSA_SA_EEENS0_18inequality_wrapperIZN2at6native12_GLOBAL__N_124unique_dim_cuda_templateItEESt5tupleIJNSH_6TensorESM_SM_EERKSM_lbbbEUlllE0_EEPmJS6_EEE10hipError_tPvRmT3_T4_T5_T6_T7_T9_mT8_P12ihipStream_tbDpT10_ENKUlT_T0_E_clISt17integral_constantIbLb1EES1C_EEDaS17_S18_EUlS17_E_NS1_11comp_targetILNS1_3genE0ELNS1_11target_archE4294967295ELNS1_3gpuE0ELNS1_3repE0EEENS1_30default_config_static_selectorELNS0_4arch9wavefront6targetE1EEEvT1_.num_vgpr, 0
	.set _ZN7rocprim17ROCPRIM_400000_NS6detail17trampoline_kernelINS0_14default_configENS1_25partition_config_selectorILNS1_17partition_subalgoE8ElNS0_10empty_typeEbEEZZNS1_14partition_implILS5_8ELb0ES3_jPlPS6_PKS6_NS0_5tupleIJS9_S6_EEENSD_IJSA_SA_EEENS0_18inequality_wrapperIZN2at6native12_GLOBAL__N_124unique_dim_cuda_templateItEESt5tupleIJNSH_6TensorESM_SM_EERKSM_lbbbEUlllE0_EEPmJS6_EEE10hipError_tPvRmT3_T4_T5_T6_T7_T9_mT8_P12ihipStream_tbDpT10_ENKUlT_T0_E_clISt17integral_constantIbLb1EES1C_EEDaS17_S18_EUlS17_E_NS1_11comp_targetILNS1_3genE0ELNS1_11target_archE4294967295ELNS1_3gpuE0ELNS1_3repE0EEENS1_30default_config_static_selectorELNS0_4arch9wavefront6targetE1EEEvT1_.num_agpr, 0
	.set _ZN7rocprim17ROCPRIM_400000_NS6detail17trampoline_kernelINS0_14default_configENS1_25partition_config_selectorILNS1_17partition_subalgoE8ElNS0_10empty_typeEbEEZZNS1_14partition_implILS5_8ELb0ES3_jPlPS6_PKS6_NS0_5tupleIJS9_S6_EEENSD_IJSA_SA_EEENS0_18inequality_wrapperIZN2at6native12_GLOBAL__N_124unique_dim_cuda_templateItEESt5tupleIJNSH_6TensorESM_SM_EERKSM_lbbbEUlllE0_EEPmJS6_EEE10hipError_tPvRmT3_T4_T5_T6_T7_T9_mT8_P12ihipStream_tbDpT10_ENKUlT_T0_E_clISt17integral_constantIbLb1EES1C_EEDaS17_S18_EUlS17_E_NS1_11comp_targetILNS1_3genE0ELNS1_11target_archE4294967295ELNS1_3gpuE0ELNS1_3repE0EEENS1_30default_config_static_selectorELNS0_4arch9wavefront6targetE1EEEvT1_.numbered_sgpr, 0
	.set _ZN7rocprim17ROCPRIM_400000_NS6detail17trampoline_kernelINS0_14default_configENS1_25partition_config_selectorILNS1_17partition_subalgoE8ElNS0_10empty_typeEbEEZZNS1_14partition_implILS5_8ELb0ES3_jPlPS6_PKS6_NS0_5tupleIJS9_S6_EEENSD_IJSA_SA_EEENS0_18inequality_wrapperIZN2at6native12_GLOBAL__N_124unique_dim_cuda_templateItEESt5tupleIJNSH_6TensorESM_SM_EERKSM_lbbbEUlllE0_EEPmJS6_EEE10hipError_tPvRmT3_T4_T5_T6_T7_T9_mT8_P12ihipStream_tbDpT10_ENKUlT_T0_E_clISt17integral_constantIbLb1EES1C_EEDaS17_S18_EUlS17_E_NS1_11comp_targetILNS1_3genE0ELNS1_11target_archE4294967295ELNS1_3gpuE0ELNS1_3repE0EEENS1_30default_config_static_selectorELNS0_4arch9wavefront6targetE1EEEvT1_.num_named_barrier, 0
	.set _ZN7rocprim17ROCPRIM_400000_NS6detail17trampoline_kernelINS0_14default_configENS1_25partition_config_selectorILNS1_17partition_subalgoE8ElNS0_10empty_typeEbEEZZNS1_14partition_implILS5_8ELb0ES3_jPlPS6_PKS6_NS0_5tupleIJS9_S6_EEENSD_IJSA_SA_EEENS0_18inequality_wrapperIZN2at6native12_GLOBAL__N_124unique_dim_cuda_templateItEESt5tupleIJNSH_6TensorESM_SM_EERKSM_lbbbEUlllE0_EEPmJS6_EEE10hipError_tPvRmT3_T4_T5_T6_T7_T9_mT8_P12ihipStream_tbDpT10_ENKUlT_T0_E_clISt17integral_constantIbLb1EES1C_EEDaS17_S18_EUlS17_E_NS1_11comp_targetILNS1_3genE0ELNS1_11target_archE4294967295ELNS1_3gpuE0ELNS1_3repE0EEENS1_30default_config_static_selectorELNS0_4arch9wavefront6targetE1EEEvT1_.private_seg_size, 0
	.set _ZN7rocprim17ROCPRIM_400000_NS6detail17trampoline_kernelINS0_14default_configENS1_25partition_config_selectorILNS1_17partition_subalgoE8ElNS0_10empty_typeEbEEZZNS1_14partition_implILS5_8ELb0ES3_jPlPS6_PKS6_NS0_5tupleIJS9_S6_EEENSD_IJSA_SA_EEENS0_18inequality_wrapperIZN2at6native12_GLOBAL__N_124unique_dim_cuda_templateItEESt5tupleIJNSH_6TensorESM_SM_EERKSM_lbbbEUlllE0_EEPmJS6_EEE10hipError_tPvRmT3_T4_T5_T6_T7_T9_mT8_P12ihipStream_tbDpT10_ENKUlT_T0_E_clISt17integral_constantIbLb1EES1C_EEDaS17_S18_EUlS17_E_NS1_11comp_targetILNS1_3genE0ELNS1_11target_archE4294967295ELNS1_3gpuE0ELNS1_3repE0EEENS1_30default_config_static_selectorELNS0_4arch9wavefront6targetE1EEEvT1_.uses_vcc, 0
	.set _ZN7rocprim17ROCPRIM_400000_NS6detail17trampoline_kernelINS0_14default_configENS1_25partition_config_selectorILNS1_17partition_subalgoE8ElNS0_10empty_typeEbEEZZNS1_14partition_implILS5_8ELb0ES3_jPlPS6_PKS6_NS0_5tupleIJS9_S6_EEENSD_IJSA_SA_EEENS0_18inequality_wrapperIZN2at6native12_GLOBAL__N_124unique_dim_cuda_templateItEESt5tupleIJNSH_6TensorESM_SM_EERKSM_lbbbEUlllE0_EEPmJS6_EEE10hipError_tPvRmT3_T4_T5_T6_T7_T9_mT8_P12ihipStream_tbDpT10_ENKUlT_T0_E_clISt17integral_constantIbLb1EES1C_EEDaS17_S18_EUlS17_E_NS1_11comp_targetILNS1_3genE0ELNS1_11target_archE4294967295ELNS1_3gpuE0ELNS1_3repE0EEENS1_30default_config_static_selectorELNS0_4arch9wavefront6targetE1EEEvT1_.uses_flat_scratch, 0
	.set _ZN7rocprim17ROCPRIM_400000_NS6detail17trampoline_kernelINS0_14default_configENS1_25partition_config_selectorILNS1_17partition_subalgoE8ElNS0_10empty_typeEbEEZZNS1_14partition_implILS5_8ELb0ES3_jPlPS6_PKS6_NS0_5tupleIJS9_S6_EEENSD_IJSA_SA_EEENS0_18inequality_wrapperIZN2at6native12_GLOBAL__N_124unique_dim_cuda_templateItEESt5tupleIJNSH_6TensorESM_SM_EERKSM_lbbbEUlllE0_EEPmJS6_EEE10hipError_tPvRmT3_T4_T5_T6_T7_T9_mT8_P12ihipStream_tbDpT10_ENKUlT_T0_E_clISt17integral_constantIbLb1EES1C_EEDaS17_S18_EUlS17_E_NS1_11comp_targetILNS1_3genE0ELNS1_11target_archE4294967295ELNS1_3gpuE0ELNS1_3repE0EEENS1_30default_config_static_selectorELNS0_4arch9wavefront6targetE1EEEvT1_.has_dyn_sized_stack, 0
	.set _ZN7rocprim17ROCPRIM_400000_NS6detail17trampoline_kernelINS0_14default_configENS1_25partition_config_selectorILNS1_17partition_subalgoE8ElNS0_10empty_typeEbEEZZNS1_14partition_implILS5_8ELb0ES3_jPlPS6_PKS6_NS0_5tupleIJS9_S6_EEENSD_IJSA_SA_EEENS0_18inequality_wrapperIZN2at6native12_GLOBAL__N_124unique_dim_cuda_templateItEESt5tupleIJNSH_6TensorESM_SM_EERKSM_lbbbEUlllE0_EEPmJS6_EEE10hipError_tPvRmT3_T4_T5_T6_T7_T9_mT8_P12ihipStream_tbDpT10_ENKUlT_T0_E_clISt17integral_constantIbLb1EES1C_EEDaS17_S18_EUlS17_E_NS1_11comp_targetILNS1_3genE0ELNS1_11target_archE4294967295ELNS1_3gpuE0ELNS1_3repE0EEENS1_30default_config_static_selectorELNS0_4arch9wavefront6targetE1EEEvT1_.has_recursion, 0
	.set _ZN7rocprim17ROCPRIM_400000_NS6detail17trampoline_kernelINS0_14default_configENS1_25partition_config_selectorILNS1_17partition_subalgoE8ElNS0_10empty_typeEbEEZZNS1_14partition_implILS5_8ELb0ES3_jPlPS6_PKS6_NS0_5tupleIJS9_S6_EEENSD_IJSA_SA_EEENS0_18inequality_wrapperIZN2at6native12_GLOBAL__N_124unique_dim_cuda_templateItEESt5tupleIJNSH_6TensorESM_SM_EERKSM_lbbbEUlllE0_EEPmJS6_EEE10hipError_tPvRmT3_T4_T5_T6_T7_T9_mT8_P12ihipStream_tbDpT10_ENKUlT_T0_E_clISt17integral_constantIbLb1EES1C_EEDaS17_S18_EUlS17_E_NS1_11comp_targetILNS1_3genE0ELNS1_11target_archE4294967295ELNS1_3gpuE0ELNS1_3repE0EEENS1_30default_config_static_selectorELNS0_4arch9wavefront6targetE1EEEvT1_.has_indirect_call, 0
	.section	.AMDGPU.csdata,"",@progbits
; Kernel info:
; codeLenInByte = 4
; TotalNumSgprs: 6
; NumVgprs: 0
; NumAgprs: 0
; TotalNumVgprs: 0
; ScratchSize: 0
; MemoryBound: 0
; FloatMode: 240
; IeeeMode: 1
; LDSByteSize: 0 bytes/workgroup (compile time only)
; SGPRBlocks: 0
; VGPRBlocks: 0
; NumSGPRsForWavesPerEU: 6
; NumVGPRsForWavesPerEU: 1
; AccumOffset: 4
; Occupancy: 8
; WaveLimiterHint : 0
; COMPUTE_PGM_RSRC2:SCRATCH_EN: 0
; COMPUTE_PGM_RSRC2:USER_SGPR: 2
; COMPUTE_PGM_RSRC2:TRAP_HANDLER: 0
; COMPUTE_PGM_RSRC2:TGID_X_EN: 1
; COMPUTE_PGM_RSRC2:TGID_Y_EN: 0
; COMPUTE_PGM_RSRC2:TGID_Z_EN: 0
; COMPUTE_PGM_RSRC2:TIDIG_COMP_CNT: 0
; COMPUTE_PGM_RSRC3_GFX90A:ACCUM_OFFSET: 0
; COMPUTE_PGM_RSRC3_GFX90A:TG_SPLIT: 0
	.section	.text._ZN7rocprim17ROCPRIM_400000_NS6detail17trampoline_kernelINS0_14default_configENS1_25partition_config_selectorILNS1_17partition_subalgoE8ElNS0_10empty_typeEbEEZZNS1_14partition_implILS5_8ELb0ES3_jPlPS6_PKS6_NS0_5tupleIJS9_S6_EEENSD_IJSA_SA_EEENS0_18inequality_wrapperIZN2at6native12_GLOBAL__N_124unique_dim_cuda_templateItEESt5tupleIJNSH_6TensorESM_SM_EERKSM_lbbbEUlllE0_EEPmJS6_EEE10hipError_tPvRmT3_T4_T5_T6_T7_T9_mT8_P12ihipStream_tbDpT10_ENKUlT_T0_E_clISt17integral_constantIbLb1EES1C_EEDaS17_S18_EUlS17_E_NS1_11comp_targetILNS1_3genE5ELNS1_11target_archE942ELNS1_3gpuE9ELNS1_3repE0EEENS1_30default_config_static_selectorELNS0_4arch9wavefront6targetE1EEEvT1_,"axG",@progbits,_ZN7rocprim17ROCPRIM_400000_NS6detail17trampoline_kernelINS0_14default_configENS1_25partition_config_selectorILNS1_17partition_subalgoE8ElNS0_10empty_typeEbEEZZNS1_14partition_implILS5_8ELb0ES3_jPlPS6_PKS6_NS0_5tupleIJS9_S6_EEENSD_IJSA_SA_EEENS0_18inequality_wrapperIZN2at6native12_GLOBAL__N_124unique_dim_cuda_templateItEESt5tupleIJNSH_6TensorESM_SM_EERKSM_lbbbEUlllE0_EEPmJS6_EEE10hipError_tPvRmT3_T4_T5_T6_T7_T9_mT8_P12ihipStream_tbDpT10_ENKUlT_T0_E_clISt17integral_constantIbLb1EES1C_EEDaS17_S18_EUlS17_E_NS1_11comp_targetILNS1_3genE5ELNS1_11target_archE942ELNS1_3gpuE9ELNS1_3repE0EEENS1_30default_config_static_selectorELNS0_4arch9wavefront6targetE1EEEvT1_,comdat
	.globl	_ZN7rocprim17ROCPRIM_400000_NS6detail17trampoline_kernelINS0_14default_configENS1_25partition_config_selectorILNS1_17partition_subalgoE8ElNS0_10empty_typeEbEEZZNS1_14partition_implILS5_8ELb0ES3_jPlPS6_PKS6_NS0_5tupleIJS9_S6_EEENSD_IJSA_SA_EEENS0_18inequality_wrapperIZN2at6native12_GLOBAL__N_124unique_dim_cuda_templateItEESt5tupleIJNSH_6TensorESM_SM_EERKSM_lbbbEUlllE0_EEPmJS6_EEE10hipError_tPvRmT3_T4_T5_T6_T7_T9_mT8_P12ihipStream_tbDpT10_ENKUlT_T0_E_clISt17integral_constantIbLb1EES1C_EEDaS17_S18_EUlS17_E_NS1_11comp_targetILNS1_3genE5ELNS1_11target_archE942ELNS1_3gpuE9ELNS1_3repE0EEENS1_30default_config_static_selectorELNS0_4arch9wavefront6targetE1EEEvT1_ ; -- Begin function _ZN7rocprim17ROCPRIM_400000_NS6detail17trampoline_kernelINS0_14default_configENS1_25partition_config_selectorILNS1_17partition_subalgoE8ElNS0_10empty_typeEbEEZZNS1_14partition_implILS5_8ELb0ES3_jPlPS6_PKS6_NS0_5tupleIJS9_S6_EEENSD_IJSA_SA_EEENS0_18inequality_wrapperIZN2at6native12_GLOBAL__N_124unique_dim_cuda_templateItEESt5tupleIJNSH_6TensorESM_SM_EERKSM_lbbbEUlllE0_EEPmJS6_EEE10hipError_tPvRmT3_T4_T5_T6_T7_T9_mT8_P12ihipStream_tbDpT10_ENKUlT_T0_E_clISt17integral_constantIbLb1EES1C_EEDaS17_S18_EUlS17_E_NS1_11comp_targetILNS1_3genE5ELNS1_11target_archE942ELNS1_3gpuE9ELNS1_3repE0EEENS1_30default_config_static_selectorELNS0_4arch9wavefront6targetE1EEEvT1_
	.p2align	8
	.type	_ZN7rocprim17ROCPRIM_400000_NS6detail17trampoline_kernelINS0_14default_configENS1_25partition_config_selectorILNS1_17partition_subalgoE8ElNS0_10empty_typeEbEEZZNS1_14partition_implILS5_8ELb0ES3_jPlPS6_PKS6_NS0_5tupleIJS9_S6_EEENSD_IJSA_SA_EEENS0_18inequality_wrapperIZN2at6native12_GLOBAL__N_124unique_dim_cuda_templateItEESt5tupleIJNSH_6TensorESM_SM_EERKSM_lbbbEUlllE0_EEPmJS6_EEE10hipError_tPvRmT3_T4_T5_T6_T7_T9_mT8_P12ihipStream_tbDpT10_ENKUlT_T0_E_clISt17integral_constantIbLb1EES1C_EEDaS17_S18_EUlS17_E_NS1_11comp_targetILNS1_3genE5ELNS1_11target_archE942ELNS1_3gpuE9ELNS1_3repE0EEENS1_30default_config_static_selectorELNS0_4arch9wavefront6targetE1EEEvT1_,@function
_ZN7rocprim17ROCPRIM_400000_NS6detail17trampoline_kernelINS0_14default_configENS1_25partition_config_selectorILNS1_17partition_subalgoE8ElNS0_10empty_typeEbEEZZNS1_14partition_implILS5_8ELb0ES3_jPlPS6_PKS6_NS0_5tupleIJS9_S6_EEENSD_IJSA_SA_EEENS0_18inequality_wrapperIZN2at6native12_GLOBAL__N_124unique_dim_cuda_templateItEESt5tupleIJNSH_6TensorESM_SM_EERKSM_lbbbEUlllE0_EEPmJS6_EEE10hipError_tPvRmT3_T4_T5_T6_T7_T9_mT8_P12ihipStream_tbDpT10_ENKUlT_T0_E_clISt17integral_constantIbLb1EES1C_EEDaS17_S18_EUlS17_E_NS1_11comp_targetILNS1_3genE5ELNS1_11target_archE942ELNS1_3gpuE9ELNS1_3repE0EEENS1_30default_config_static_selectorELNS0_4arch9wavefront6targetE1EEEvT1_: ; @_ZN7rocprim17ROCPRIM_400000_NS6detail17trampoline_kernelINS0_14default_configENS1_25partition_config_selectorILNS1_17partition_subalgoE8ElNS0_10empty_typeEbEEZZNS1_14partition_implILS5_8ELb0ES3_jPlPS6_PKS6_NS0_5tupleIJS9_S6_EEENSD_IJSA_SA_EEENS0_18inequality_wrapperIZN2at6native12_GLOBAL__N_124unique_dim_cuda_templateItEESt5tupleIJNSH_6TensorESM_SM_EERKSM_lbbbEUlllE0_EEPmJS6_EEE10hipError_tPvRmT3_T4_T5_T6_T7_T9_mT8_P12ihipStream_tbDpT10_ENKUlT_T0_E_clISt17integral_constantIbLb1EES1C_EEDaS17_S18_EUlS17_E_NS1_11comp_targetILNS1_3genE5ELNS1_11target_archE942ELNS1_3gpuE9ELNS1_3repE0EEENS1_30default_config_static_selectorELNS0_4arch9wavefront6targetE1EEEvT1_
; %bb.0:
	.section	.rodata,"a",@progbits
	.p2align	6, 0x0
	.amdhsa_kernel _ZN7rocprim17ROCPRIM_400000_NS6detail17trampoline_kernelINS0_14default_configENS1_25partition_config_selectorILNS1_17partition_subalgoE8ElNS0_10empty_typeEbEEZZNS1_14partition_implILS5_8ELb0ES3_jPlPS6_PKS6_NS0_5tupleIJS9_S6_EEENSD_IJSA_SA_EEENS0_18inequality_wrapperIZN2at6native12_GLOBAL__N_124unique_dim_cuda_templateItEESt5tupleIJNSH_6TensorESM_SM_EERKSM_lbbbEUlllE0_EEPmJS6_EEE10hipError_tPvRmT3_T4_T5_T6_T7_T9_mT8_P12ihipStream_tbDpT10_ENKUlT_T0_E_clISt17integral_constantIbLb1EES1C_EEDaS17_S18_EUlS17_E_NS1_11comp_targetILNS1_3genE5ELNS1_11target_archE942ELNS1_3gpuE9ELNS1_3repE0EEENS1_30default_config_static_selectorELNS0_4arch9wavefront6targetE1EEEvT1_
		.amdhsa_group_segment_fixed_size 0
		.amdhsa_private_segment_fixed_size 0
		.amdhsa_kernarg_size 136
		.amdhsa_user_sgpr_count 2
		.amdhsa_user_sgpr_dispatch_ptr 0
		.amdhsa_user_sgpr_queue_ptr 0
		.amdhsa_user_sgpr_kernarg_segment_ptr 1
		.amdhsa_user_sgpr_dispatch_id 0
		.amdhsa_user_sgpr_kernarg_preload_length 0
		.amdhsa_user_sgpr_kernarg_preload_offset 0
		.amdhsa_user_sgpr_private_segment_size 0
		.amdhsa_uses_dynamic_stack 0
		.amdhsa_enable_private_segment 0
		.amdhsa_system_sgpr_workgroup_id_x 1
		.amdhsa_system_sgpr_workgroup_id_y 0
		.amdhsa_system_sgpr_workgroup_id_z 0
		.amdhsa_system_sgpr_workgroup_info 0
		.amdhsa_system_vgpr_workitem_id 0
		.amdhsa_next_free_vgpr 1
		.amdhsa_next_free_sgpr 0
		.amdhsa_accum_offset 4
		.amdhsa_reserve_vcc 0
		.amdhsa_float_round_mode_32 0
		.amdhsa_float_round_mode_16_64 0
		.amdhsa_float_denorm_mode_32 3
		.amdhsa_float_denorm_mode_16_64 3
		.amdhsa_dx10_clamp 1
		.amdhsa_ieee_mode 1
		.amdhsa_fp16_overflow 0
		.amdhsa_tg_split 0
		.amdhsa_exception_fp_ieee_invalid_op 0
		.amdhsa_exception_fp_denorm_src 0
		.amdhsa_exception_fp_ieee_div_zero 0
		.amdhsa_exception_fp_ieee_overflow 0
		.amdhsa_exception_fp_ieee_underflow 0
		.amdhsa_exception_fp_ieee_inexact 0
		.amdhsa_exception_int_div_zero 0
	.end_amdhsa_kernel
	.section	.text._ZN7rocprim17ROCPRIM_400000_NS6detail17trampoline_kernelINS0_14default_configENS1_25partition_config_selectorILNS1_17partition_subalgoE8ElNS0_10empty_typeEbEEZZNS1_14partition_implILS5_8ELb0ES3_jPlPS6_PKS6_NS0_5tupleIJS9_S6_EEENSD_IJSA_SA_EEENS0_18inequality_wrapperIZN2at6native12_GLOBAL__N_124unique_dim_cuda_templateItEESt5tupleIJNSH_6TensorESM_SM_EERKSM_lbbbEUlllE0_EEPmJS6_EEE10hipError_tPvRmT3_T4_T5_T6_T7_T9_mT8_P12ihipStream_tbDpT10_ENKUlT_T0_E_clISt17integral_constantIbLb1EES1C_EEDaS17_S18_EUlS17_E_NS1_11comp_targetILNS1_3genE5ELNS1_11target_archE942ELNS1_3gpuE9ELNS1_3repE0EEENS1_30default_config_static_selectorELNS0_4arch9wavefront6targetE1EEEvT1_,"axG",@progbits,_ZN7rocprim17ROCPRIM_400000_NS6detail17trampoline_kernelINS0_14default_configENS1_25partition_config_selectorILNS1_17partition_subalgoE8ElNS0_10empty_typeEbEEZZNS1_14partition_implILS5_8ELb0ES3_jPlPS6_PKS6_NS0_5tupleIJS9_S6_EEENSD_IJSA_SA_EEENS0_18inequality_wrapperIZN2at6native12_GLOBAL__N_124unique_dim_cuda_templateItEESt5tupleIJNSH_6TensorESM_SM_EERKSM_lbbbEUlllE0_EEPmJS6_EEE10hipError_tPvRmT3_T4_T5_T6_T7_T9_mT8_P12ihipStream_tbDpT10_ENKUlT_T0_E_clISt17integral_constantIbLb1EES1C_EEDaS17_S18_EUlS17_E_NS1_11comp_targetILNS1_3genE5ELNS1_11target_archE942ELNS1_3gpuE9ELNS1_3repE0EEENS1_30default_config_static_selectorELNS0_4arch9wavefront6targetE1EEEvT1_,comdat
.Lfunc_end1428:
	.size	_ZN7rocprim17ROCPRIM_400000_NS6detail17trampoline_kernelINS0_14default_configENS1_25partition_config_selectorILNS1_17partition_subalgoE8ElNS0_10empty_typeEbEEZZNS1_14partition_implILS5_8ELb0ES3_jPlPS6_PKS6_NS0_5tupleIJS9_S6_EEENSD_IJSA_SA_EEENS0_18inequality_wrapperIZN2at6native12_GLOBAL__N_124unique_dim_cuda_templateItEESt5tupleIJNSH_6TensorESM_SM_EERKSM_lbbbEUlllE0_EEPmJS6_EEE10hipError_tPvRmT3_T4_T5_T6_T7_T9_mT8_P12ihipStream_tbDpT10_ENKUlT_T0_E_clISt17integral_constantIbLb1EES1C_EEDaS17_S18_EUlS17_E_NS1_11comp_targetILNS1_3genE5ELNS1_11target_archE942ELNS1_3gpuE9ELNS1_3repE0EEENS1_30default_config_static_selectorELNS0_4arch9wavefront6targetE1EEEvT1_, .Lfunc_end1428-_ZN7rocprim17ROCPRIM_400000_NS6detail17trampoline_kernelINS0_14default_configENS1_25partition_config_selectorILNS1_17partition_subalgoE8ElNS0_10empty_typeEbEEZZNS1_14partition_implILS5_8ELb0ES3_jPlPS6_PKS6_NS0_5tupleIJS9_S6_EEENSD_IJSA_SA_EEENS0_18inequality_wrapperIZN2at6native12_GLOBAL__N_124unique_dim_cuda_templateItEESt5tupleIJNSH_6TensorESM_SM_EERKSM_lbbbEUlllE0_EEPmJS6_EEE10hipError_tPvRmT3_T4_T5_T6_T7_T9_mT8_P12ihipStream_tbDpT10_ENKUlT_T0_E_clISt17integral_constantIbLb1EES1C_EEDaS17_S18_EUlS17_E_NS1_11comp_targetILNS1_3genE5ELNS1_11target_archE942ELNS1_3gpuE9ELNS1_3repE0EEENS1_30default_config_static_selectorELNS0_4arch9wavefront6targetE1EEEvT1_
                                        ; -- End function
	.set _ZN7rocprim17ROCPRIM_400000_NS6detail17trampoline_kernelINS0_14default_configENS1_25partition_config_selectorILNS1_17partition_subalgoE8ElNS0_10empty_typeEbEEZZNS1_14partition_implILS5_8ELb0ES3_jPlPS6_PKS6_NS0_5tupleIJS9_S6_EEENSD_IJSA_SA_EEENS0_18inequality_wrapperIZN2at6native12_GLOBAL__N_124unique_dim_cuda_templateItEESt5tupleIJNSH_6TensorESM_SM_EERKSM_lbbbEUlllE0_EEPmJS6_EEE10hipError_tPvRmT3_T4_T5_T6_T7_T9_mT8_P12ihipStream_tbDpT10_ENKUlT_T0_E_clISt17integral_constantIbLb1EES1C_EEDaS17_S18_EUlS17_E_NS1_11comp_targetILNS1_3genE5ELNS1_11target_archE942ELNS1_3gpuE9ELNS1_3repE0EEENS1_30default_config_static_selectorELNS0_4arch9wavefront6targetE1EEEvT1_.num_vgpr, 0
	.set _ZN7rocprim17ROCPRIM_400000_NS6detail17trampoline_kernelINS0_14default_configENS1_25partition_config_selectorILNS1_17partition_subalgoE8ElNS0_10empty_typeEbEEZZNS1_14partition_implILS5_8ELb0ES3_jPlPS6_PKS6_NS0_5tupleIJS9_S6_EEENSD_IJSA_SA_EEENS0_18inequality_wrapperIZN2at6native12_GLOBAL__N_124unique_dim_cuda_templateItEESt5tupleIJNSH_6TensorESM_SM_EERKSM_lbbbEUlllE0_EEPmJS6_EEE10hipError_tPvRmT3_T4_T5_T6_T7_T9_mT8_P12ihipStream_tbDpT10_ENKUlT_T0_E_clISt17integral_constantIbLb1EES1C_EEDaS17_S18_EUlS17_E_NS1_11comp_targetILNS1_3genE5ELNS1_11target_archE942ELNS1_3gpuE9ELNS1_3repE0EEENS1_30default_config_static_selectorELNS0_4arch9wavefront6targetE1EEEvT1_.num_agpr, 0
	.set _ZN7rocprim17ROCPRIM_400000_NS6detail17trampoline_kernelINS0_14default_configENS1_25partition_config_selectorILNS1_17partition_subalgoE8ElNS0_10empty_typeEbEEZZNS1_14partition_implILS5_8ELb0ES3_jPlPS6_PKS6_NS0_5tupleIJS9_S6_EEENSD_IJSA_SA_EEENS0_18inequality_wrapperIZN2at6native12_GLOBAL__N_124unique_dim_cuda_templateItEESt5tupleIJNSH_6TensorESM_SM_EERKSM_lbbbEUlllE0_EEPmJS6_EEE10hipError_tPvRmT3_T4_T5_T6_T7_T9_mT8_P12ihipStream_tbDpT10_ENKUlT_T0_E_clISt17integral_constantIbLb1EES1C_EEDaS17_S18_EUlS17_E_NS1_11comp_targetILNS1_3genE5ELNS1_11target_archE942ELNS1_3gpuE9ELNS1_3repE0EEENS1_30default_config_static_selectorELNS0_4arch9wavefront6targetE1EEEvT1_.numbered_sgpr, 0
	.set _ZN7rocprim17ROCPRIM_400000_NS6detail17trampoline_kernelINS0_14default_configENS1_25partition_config_selectorILNS1_17partition_subalgoE8ElNS0_10empty_typeEbEEZZNS1_14partition_implILS5_8ELb0ES3_jPlPS6_PKS6_NS0_5tupleIJS9_S6_EEENSD_IJSA_SA_EEENS0_18inequality_wrapperIZN2at6native12_GLOBAL__N_124unique_dim_cuda_templateItEESt5tupleIJNSH_6TensorESM_SM_EERKSM_lbbbEUlllE0_EEPmJS6_EEE10hipError_tPvRmT3_T4_T5_T6_T7_T9_mT8_P12ihipStream_tbDpT10_ENKUlT_T0_E_clISt17integral_constantIbLb1EES1C_EEDaS17_S18_EUlS17_E_NS1_11comp_targetILNS1_3genE5ELNS1_11target_archE942ELNS1_3gpuE9ELNS1_3repE0EEENS1_30default_config_static_selectorELNS0_4arch9wavefront6targetE1EEEvT1_.num_named_barrier, 0
	.set _ZN7rocprim17ROCPRIM_400000_NS6detail17trampoline_kernelINS0_14default_configENS1_25partition_config_selectorILNS1_17partition_subalgoE8ElNS0_10empty_typeEbEEZZNS1_14partition_implILS5_8ELb0ES3_jPlPS6_PKS6_NS0_5tupleIJS9_S6_EEENSD_IJSA_SA_EEENS0_18inequality_wrapperIZN2at6native12_GLOBAL__N_124unique_dim_cuda_templateItEESt5tupleIJNSH_6TensorESM_SM_EERKSM_lbbbEUlllE0_EEPmJS6_EEE10hipError_tPvRmT3_T4_T5_T6_T7_T9_mT8_P12ihipStream_tbDpT10_ENKUlT_T0_E_clISt17integral_constantIbLb1EES1C_EEDaS17_S18_EUlS17_E_NS1_11comp_targetILNS1_3genE5ELNS1_11target_archE942ELNS1_3gpuE9ELNS1_3repE0EEENS1_30default_config_static_selectorELNS0_4arch9wavefront6targetE1EEEvT1_.private_seg_size, 0
	.set _ZN7rocprim17ROCPRIM_400000_NS6detail17trampoline_kernelINS0_14default_configENS1_25partition_config_selectorILNS1_17partition_subalgoE8ElNS0_10empty_typeEbEEZZNS1_14partition_implILS5_8ELb0ES3_jPlPS6_PKS6_NS0_5tupleIJS9_S6_EEENSD_IJSA_SA_EEENS0_18inequality_wrapperIZN2at6native12_GLOBAL__N_124unique_dim_cuda_templateItEESt5tupleIJNSH_6TensorESM_SM_EERKSM_lbbbEUlllE0_EEPmJS6_EEE10hipError_tPvRmT3_T4_T5_T6_T7_T9_mT8_P12ihipStream_tbDpT10_ENKUlT_T0_E_clISt17integral_constantIbLb1EES1C_EEDaS17_S18_EUlS17_E_NS1_11comp_targetILNS1_3genE5ELNS1_11target_archE942ELNS1_3gpuE9ELNS1_3repE0EEENS1_30default_config_static_selectorELNS0_4arch9wavefront6targetE1EEEvT1_.uses_vcc, 0
	.set _ZN7rocprim17ROCPRIM_400000_NS6detail17trampoline_kernelINS0_14default_configENS1_25partition_config_selectorILNS1_17partition_subalgoE8ElNS0_10empty_typeEbEEZZNS1_14partition_implILS5_8ELb0ES3_jPlPS6_PKS6_NS0_5tupleIJS9_S6_EEENSD_IJSA_SA_EEENS0_18inequality_wrapperIZN2at6native12_GLOBAL__N_124unique_dim_cuda_templateItEESt5tupleIJNSH_6TensorESM_SM_EERKSM_lbbbEUlllE0_EEPmJS6_EEE10hipError_tPvRmT3_T4_T5_T6_T7_T9_mT8_P12ihipStream_tbDpT10_ENKUlT_T0_E_clISt17integral_constantIbLb1EES1C_EEDaS17_S18_EUlS17_E_NS1_11comp_targetILNS1_3genE5ELNS1_11target_archE942ELNS1_3gpuE9ELNS1_3repE0EEENS1_30default_config_static_selectorELNS0_4arch9wavefront6targetE1EEEvT1_.uses_flat_scratch, 0
	.set _ZN7rocprim17ROCPRIM_400000_NS6detail17trampoline_kernelINS0_14default_configENS1_25partition_config_selectorILNS1_17partition_subalgoE8ElNS0_10empty_typeEbEEZZNS1_14partition_implILS5_8ELb0ES3_jPlPS6_PKS6_NS0_5tupleIJS9_S6_EEENSD_IJSA_SA_EEENS0_18inequality_wrapperIZN2at6native12_GLOBAL__N_124unique_dim_cuda_templateItEESt5tupleIJNSH_6TensorESM_SM_EERKSM_lbbbEUlllE0_EEPmJS6_EEE10hipError_tPvRmT3_T4_T5_T6_T7_T9_mT8_P12ihipStream_tbDpT10_ENKUlT_T0_E_clISt17integral_constantIbLb1EES1C_EEDaS17_S18_EUlS17_E_NS1_11comp_targetILNS1_3genE5ELNS1_11target_archE942ELNS1_3gpuE9ELNS1_3repE0EEENS1_30default_config_static_selectorELNS0_4arch9wavefront6targetE1EEEvT1_.has_dyn_sized_stack, 0
	.set _ZN7rocprim17ROCPRIM_400000_NS6detail17trampoline_kernelINS0_14default_configENS1_25partition_config_selectorILNS1_17partition_subalgoE8ElNS0_10empty_typeEbEEZZNS1_14partition_implILS5_8ELb0ES3_jPlPS6_PKS6_NS0_5tupleIJS9_S6_EEENSD_IJSA_SA_EEENS0_18inequality_wrapperIZN2at6native12_GLOBAL__N_124unique_dim_cuda_templateItEESt5tupleIJNSH_6TensorESM_SM_EERKSM_lbbbEUlllE0_EEPmJS6_EEE10hipError_tPvRmT3_T4_T5_T6_T7_T9_mT8_P12ihipStream_tbDpT10_ENKUlT_T0_E_clISt17integral_constantIbLb1EES1C_EEDaS17_S18_EUlS17_E_NS1_11comp_targetILNS1_3genE5ELNS1_11target_archE942ELNS1_3gpuE9ELNS1_3repE0EEENS1_30default_config_static_selectorELNS0_4arch9wavefront6targetE1EEEvT1_.has_recursion, 0
	.set _ZN7rocprim17ROCPRIM_400000_NS6detail17trampoline_kernelINS0_14default_configENS1_25partition_config_selectorILNS1_17partition_subalgoE8ElNS0_10empty_typeEbEEZZNS1_14partition_implILS5_8ELb0ES3_jPlPS6_PKS6_NS0_5tupleIJS9_S6_EEENSD_IJSA_SA_EEENS0_18inequality_wrapperIZN2at6native12_GLOBAL__N_124unique_dim_cuda_templateItEESt5tupleIJNSH_6TensorESM_SM_EERKSM_lbbbEUlllE0_EEPmJS6_EEE10hipError_tPvRmT3_T4_T5_T6_T7_T9_mT8_P12ihipStream_tbDpT10_ENKUlT_T0_E_clISt17integral_constantIbLb1EES1C_EEDaS17_S18_EUlS17_E_NS1_11comp_targetILNS1_3genE5ELNS1_11target_archE942ELNS1_3gpuE9ELNS1_3repE0EEENS1_30default_config_static_selectorELNS0_4arch9wavefront6targetE1EEEvT1_.has_indirect_call, 0
	.section	.AMDGPU.csdata,"",@progbits
; Kernel info:
; codeLenInByte = 0
; TotalNumSgprs: 6
; NumVgprs: 0
; NumAgprs: 0
; TotalNumVgprs: 0
; ScratchSize: 0
; MemoryBound: 0
; FloatMode: 240
; IeeeMode: 1
; LDSByteSize: 0 bytes/workgroup (compile time only)
; SGPRBlocks: 0
; VGPRBlocks: 0
; NumSGPRsForWavesPerEU: 6
; NumVGPRsForWavesPerEU: 1
; AccumOffset: 4
; Occupancy: 8
; WaveLimiterHint : 0
; COMPUTE_PGM_RSRC2:SCRATCH_EN: 0
; COMPUTE_PGM_RSRC2:USER_SGPR: 2
; COMPUTE_PGM_RSRC2:TRAP_HANDLER: 0
; COMPUTE_PGM_RSRC2:TGID_X_EN: 1
; COMPUTE_PGM_RSRC2:TGID_Y_EN: 0
; COMPUTE_PGM_RSRC2:TGID_Z_EN: 0
; COMPUTE_PGM_RSRC2:TIDIG_COMP_CNT: 0
; COMPUTE_PGM_RSRC3_GFX90A:ACCUM_OFFSET: 0
; COMPUTE_PGM_RSRC3_GFX90A:TG_SPLIT: 0
	.section	.text._ZN7rocprim17ROCPRIM_400000_NS6detail17trampoline_kernelINS0_14default_configENS1_25partition_config_selectorILNS1_17partition_subalgoE8ElNS0_10empty_typeEbEEZZNS1_14partition_implILS5_8ELb0ES3_jPlPS6_PKS6_NS0_5tupleIJS9_S6_EEENSD_IJSA_SA_EEENS0_18inequality_wrapperIZN2at6native12_GLOBAL__N_124unique_dim_cuda_templateItEESt5tupleIJNSH_6TensorESM_SM_EERKSM_lbbbEUlllE0_EEPmJS6_EEE10hipError_tPvRmT3_T4_T5_T6_T7_T9_mT8_P12ihipStream_tbDpT10_ENKUlT_T0_E_clISt17integral_constantIbLb1EES1C_EEDaS17_S18_EUlS17_E_NS1_11comp_targetILNS1_3genE4ELNS1_11target_archE910ELNS1_3gpuE8ELNS1_3repE0EEENS1_30default_config_static_selectorELNS0_4arch9wavefront6targetE1EEEvT1_,"axG",@progbits,_ZN7rocprim17ROCPRIM_400000_NS6detail17trampoline_kernelINS0_14default_configENS1_25partition_config_selectorILNS1_17partition_subalgoE8ElNS0_10empty_typeEbEEZZNS1_14partition_implILS5_8ELb0ES3_jPlPS6_PKS6_NS0_5tupleIJS9_S6_EEENSD_IJSA_SA_EEENS0_18inequality_wrapperIZN2at6native12_GLOBAL__N_124unique_dim_cuda_templateItEESt5tupleIJNSH_6TensorESM_SM_EERKSM_lbbbEUlllE0_EEPmJS6_EEE10hipError_tPvRmT3_T4_T5_T6_T7_T9_mT8_P12ihipStream_tbDpT10_ENKUlT_T0_E_clISt17integral_constantIbLb1EES1C_EEDaS17_S18_EUlS17_E_NS1_11comp_targetILNS1_3genE4ELNS1_11target_archE910ELNS1_3gpuE8ELNS1_3repE0EEENS1_30default_config_static_selectorELNS0_4arch9wavefront6targetE1EEEvT1_,comdat
	.globl	_ZN7rocprim17ROCPRIM_400000_NS6detail17trampoline_kernelINS0_14default_configENS1_25partition_config_selectorILNS1_17partition_subalgoE8ElNS0_10empty_typeEbEEZZNS1_14partition_implILS5_8ELb0ES3_jPlPS6_PKS6_NS0_5tupleIJS9_S6_EEENSD_IJSA_SA_EEENS0_18inequality_wrapperIZN2at6native12_GLOBAL__N_124unique_dim_cuda_templateItEESt5tupleIJNSH_6TensorESM_SM_EERKSM_lbbbEUlllE0_EEPmJS6_EEE10hipError_tPvRmT3_T4_T5_T6_T7_T9_mT8_P12ihipStream_tbDpT10_ENKUlT_T0_E_clISt17integral_constantIbLb1EES1C_EEDaS17_S18_EUlS17_E_NS1_11comp_targetILNS1_3genE4ELNS1_11target_archE910ELNS1_3gpuE8ELNS1_3repE0EEENS1_30default_config_static_selectorELNS0_4arch9wavefront6targetE1EEEvT1_ ; -- Begin function _ZN7rocprim17ROCPRIM_400000_NS6detail17trampoline_kernelINS0_14default_configENS1_25partition_config_selectorILNS1_17partition_subalgoE8ElNS0_10empty_typeEbEEZZNS1_14partition_implILS5_8ELb0ES3_jPlPS6_PKS6_NS0_5tupleIJS9_S6_EEENSD_IJSA_SA_EEENS0_18inequality_wrapperIZN2at6native12_GLOBAL__N_124unique_dim_cuda_templateItEESt5tupleIJNSH_6TensorESM_SM_EERKSM_lbbbEUlllE0_EEPmJS6_EEE10hipError_tPvRmT3_T4_T5_T6_T7_T9_mT8_P12ihipStream_tbDpT10_ENKUlT_T0_E_clISt17integral_constantIbLb1EES1C_EEDaS17_S18_EUlS17_E_NS1_11comp_targetILNS1_3genE4ELNS1_11target_archE910ELNS1_3gpuE8ELNS1_3repE0EEENS1_30default_config_static_selectorELNS0_4arch9wavefront6targetE1EEEvT1_
	.p2align	8
	.type	_ZN7rocprim17ROCPRIM_400000_NS6detail17trampoline_kernelINS0_14default_configENS1_25partition_config_selectorILNS1_17partition_subalgoE8ElNS0_10empty_typeEbEEZZNS1_14partition_implILS5_8ELb0ES3_jPlPS6_PKS6_NS0_5tupleIJS9_S6_EEENSD_IJSA_SA_EEENS0_18inequality_wrapperIZN2at6native12_GLOBAL__N_124unique_dim_cuda_templateItEESt5tupleIJNSH_6TensorESM_SM_EERKSM_lbbbEUlllE0_EEPmJS6_EEE10hipError_tPvRmT3_T4_T5_T6_T7_T9_mT8_P12ihipStream_tbDpT10_ENKUlT_T0_E_clISt17integral_constantIbLb1EES1C_EEDaS17_S18_EUlS17_E_NS1_11comp_targetILNS1_3genE4ELNS1_11target_archE910ELNS1_3gpuE8ELNS1_3repE0EEENS1_30default_config_static_selectorELNS0_4arch9wavefront6targetE1EEEvT1_,@function
_ZN7rocprim17ROCPRIM_400000_NS6detail17trampoline_kernelINS0_14default_configENS1_25partition_config_selectorILNS1_17partition_subalgoE8ElNS0_10empty_typeEbEEZZNS1_14partition_implILS5_8ELb0ES3_jPlPS6_PKS6_NS0_5tupleIJS9_S6_EEENSD_IJSA_SA_EEENS0_18inequality_wrapperIZN2at6native12_GLOBAL__N_124unique_dim_cuda_templateItEESt5tupleIJNSH_6TensorESM_SM_EERKSM_lbbbEUlllE0_EEPmJS6_EEE10hipError_tPvRmT3_T4_T5_T6_T7_T9_mT8_P12ihipStream_tbDpT10_ENKUlT_T0_E_clISt17integral_constantIbLb1EES1C_EEDaS17_S18_EUlS17_E_NS1_11comp_targetILNS1_3genE4ELNS1_11target_archE910ELNS1_3gpuE8ELNS1_3repE0EEENS1_30default_config_static_selectorELNS0_4arch9wavefront6targetE1EEEvT1_: ; @_ZN7rocprim17ROCPRIM_400000_NS6detail17trampoline_kernelINS0_14default_configENS1_25partition_config_selectorILNS1_17partition_subalgoE8ElNS0_10empty_typeEbEEZZNS1_14partition_implILS5_8ELb0ES3_jPlPS6_PKS6_NS0_5tupleIJS9_S6_EEENSD_IJSA_SA_EEENS0_18inequality_wrapperIZN2at6native12_GLOBAL__N_124unique_dim_cuda_templateItEESt5tupleIJNSH_6TensorESM_SM_EERKSM_lbbbEUlllE0_EEPmJS6_EEE10hipError_tPvRmT3_T4_T5_T6_T7_T9_mT8_P12ihipStream_tbDpT10_ENKUlT_T0_E_clISt17integral_constantIbLb1EES1C_EEDaS17_S18_EUlS17_E_NS1_11comp_targetILNS1_3genE4ELNS1_11target_archE910ELNS1_3gpuE8ELNS1_3repE0EEENS1_30default_config_static_selectorELNS0_4arch9wavefront6targetE1EEEvT1_
; %bb.0:
	.section	.rodata,"a",@progbits
	.p2align	6, 0x0
	.amdhsa_kernel _ZN7rocprim17ROCPRIM_400000_NS6detail17trampoline_kernelINS0_14default_configENS1_25partition_config_selectorILNS1_17partition_subalgoE8ElNS0_10empty_typeEbEEZZNS1_14partition_implILS5_8ELb0ES3_jPlPS6_PKS6_NS0_5tupleIJS9_S6_EEENSD_IJSA_SA_EEENS0_18inequality_wrapperIZN2at6native12_GLOBAL__N_124unique_dim_cuda_templateItEESt5tupleIJNSH_6TensorESM_SM_EERKSM_lbbbEUlllE0_EEPmJS6_EEE10hipError_tPvRmT3_T4_T5_T6_T7_T9_mT8_P12ihipStream_tbDpT10_ENKUlT_T0_E_clISt17integral_constantIbLb1EES1C_EEDaS17_S18_EUlS17_E_NS1_11comp_targetILNS1_3genE4ELNS1_11target_archE910ELNS1_3gpuE8ELNS1_3repE0EEENS1_30default_config_static_selectorELNS0_4arch9wavefront6targetE1EEEvT1_
		.amdhsa_group_segment_fixed_size 0
		.amdhsa_private_segment_fixed_size 0
		.amdhsa_kernarg_size 136
		.amdhsa_user_sgpr_count 2
		.amdhsa_user_sgpr_dispatch_ptr 0
		.amdhsa_user_sgpr_queue_ptr 0
		.amdhsa_user_sgpr_kernarg_segment_ptr 1
		.amdhsa_user_sgpr_dispatch_id 0
		.amdhsa_user_sgpr_kernarg_preload_length 0
		.amdhsa_user_sgpr_kernarg_preload_offset 0
		.amdhsa_user_sgpr_private_segment_size 0
		.amdhsa_uses_dynamic_stack 0
		.amdhsa_enable_private_segment 0
		.amdhsa_system_sgpr_workgroup_id_x 1
		.amdhsa_system_sgpr_workgroup_id_y 0
		.amdhsa_system_sgpr_workgroup_id_z 0
		.amdhsa_system_sgpr_workgroup_info 0
		.amdhsa_system_vgpr_workitem_id 0
		.amdhsa_next_free_vgpr 1
		.amdhsa_next_free_sgpr 0
		.amdhsa_accum_offset 4
		.amdhsa_reserve_vcc 0
		.amdhsa_float_round_mode_32 0
		.amdhsa_float_round_mode_16_64 0
		.amdhsa_float_denorm_mode_32 3
		.amdhsa_float_denorm_mode_16_64 3
		.amdhsa_dx10_clamp 1
		.amdhsa_ieee_mode 1
		.amdhsa_fp16_overflow 0
		.amdhsa_tg_split 0
		.amdhsa_exception_fp_ieee_invalid_op 0
		.amdhsa_exception_fp_denorm_src 0
		.amdhsa_exception_fp_ieee_div_zero 0
		.amdhsa_exception_fp_ieee_overflow 0
		.amdhsa_exception_fp_ieee_underflow 0
		.amdhsa_exception_fp_ieee_inexact 0
		.amdhsa_exception_int_div_zero 0
	.end_amdhsa_kernel
	.section	.text._ZN7rocprim17ROCPRIM_400000_NS6detail17trampoline_kernelINS0_14default_configENS1_25partition_config_selectorILNS1_17partition_subalgoE8ElNS0_10empty_typeEbEEZZNS1_14partition_implILS5_8ELb0ES3_jPlPS6_PKS6_NS0_5tupleIJS9_S6_EEENSD_IJSA_SA_EEENS0_18inequality_wrapperIZN2at6native12_GLOBAL__N_124unique_dim_cuda_templateItEESt5tupleIJNSH_6TensorESM_SM_EERKSM_lbbbEUlllE0_EEPmJS6_EEE10hipError_tPvRmT3_T4_T5_T6_T7_T9_mT8_P12ihipStream_tbDpT10_ENKUlT_T0_E_clISt17integral_constantIbLb1EES1C_EEDaS17_S18_EUlS17_E_NS1_11comp_targetILNS1_3genE4ELNS1_11target_archE910ELNS1_3gpuE8ELNS1_3repE0EEENS1_30default_config_static_selectorELNS0_4arch9wavefront6targetE1EEEvT1_,"axG",@progbits,_ZN7rocprim17ROCPRIM_400000_NS6detail17trampoline_kernelINS0_14default_configENS1_25partition_config_selectorILNS1_17partition_subalgoE8ElNS0_10empty_typeEbEEZZNS1_14partition_implILS5_8ELb0ES3_jPlPS6_PKS6_NS0_5tupleIJS9_S6_EEENSD_IJSA_SA_EEENS0_18inequality_wrapperIZN2at6native12_GLOBAL__N_124unique_dim_cuda_templateItEESt5tupleIJNSH_6TensorESM_SM_EERKSM_lbbbEUlllE0_EEPmJS6_EEE10hipError_tPvRmT3_T4_T5_T6_T7_T9_mT8_P12ihipStream_tbDpT10_ENKUlT_T0_E_clISt17integral_constantIbLb1EES1C_EEDaS17_S18_EUlS17_E_NS1_11comp_targetILNS1_3genE4ELNS1_11target_archE910ELNS1_3gpuE8ELNS1_3repE0EEENS1_30default_config_static_selectorELNS0_4arch9wavefront6targetE1EEEvT1_,comdat
.Lfunc_end1429:
	.size	_ZN7rocprim17ROCPRIM_400000_NS6detail17trampoline_kernelINS0_14default_configENS1_25partition_config_selectorILNS1_17partition_subalgoE8ElNS0_10empty_typeEbEEZZNS1_14partition_implILS5_8ELb0ES3_jPlPS6_PKS6_NS0_5tupleIJS9_S6_EEENSD_IJSA_SA_EEENS0_18inequality_wrapperIZN2at6native12_GLOBAL__N_124unique_dim_cuda_templateItEESt5tupleIJNSH_6TensorESM_SM_EERKSM_lbbbEUlllE0_EEPmJS6_EEE10hipError_tPvRmT3_T4_T5_T6_T7_T9_mT8_P12ihipStream_tbDpT10_ENKUlT_T0_E_clISt17integral_constantIbLb1EES1C_EEDaS17_S18_EUlS17_E_NS1_11comp_targetILNS1_3genE4ELNS1_11target_archE910ELNS1_3gpuE8ELNS1_3repE0EEENS1_30default_config_static_selectorELNS0_4arch9wavefront6targetE1EEEvT1_, .Lfunc_end1429-_ZN7rocprim17ROCPRIM_400000_NS6detail17trampoline_kernelINS0_14default_configENS1_25partition_config_selectorILNS1_17partition_subalgoE8ElNS0_10empty_typeEbEEZZNS1_14partition_implILS5_8ELb0ES3_jPlPS6_PKS6_NS0_5tupleIJS9_S6_EEENSD_IJSA_SA_EEENS0_18inequality_wrapperIZN2at6native12_GLOBAL__N_124unique_dim_cuda_templateItEESt5tupleIJNSH_6TensorESM_SM_EERKSM_lbbbEUlllE0_EEPmJS6_EEE10hipError_tPvRmT3_T4_T5_T6_T7_T9_mT8_P12ihipStream_tbDpT10_ENKUlT_T0_E_clISt17integral_constantIbLb1EES1C_EEDaS17_S18_EUlS17_E_NS1_11comp_targetILNS1_3genE4ELNS1_11target_archE910ELNS1_3gpuE8ELNS1_3repE0EEENS1_30default_config_static_selectorELNS0_4arch9wavefront6targetE1EEEvT1_
                                        ; -- End function
	.set _ZN7rocprim17ROCPRIM_400000_NS6detail17trampoline_kernelINS0_14default_configENS1_25partition_config_selectorILNS1_17partition_subalgoE8ElNS0_10empty_typeEbEEZZNS1_14partition_implILS5_8ELb0ES3_jPlPS6_PKS6_NS0_5tupleIJS9_S6_EEENSD_IJSA_SA_EEENS0_18inequality_wrapperIZN2at6native12_GLOBAL__N_124unique_dim_cuda_templateItEESt5tupleIJNSH_6TensorESM_SM_EERKSM_lbbbEUlllE0_EEPmJS6_EEE10hipError_tPvRmT3_T4_T5_T6_T7_T9_mT8_P12ihipStream_tbDpT10_ENKUlT_T0_E_clISt17integral_constantIbLb1EES1C_EEDaS17_S18_EUlS17_E_NS1_11comp_targetILNS1_3genE4ELNS1_11target_archE910ELNS1_3gpuE8ELNS1_3repE0EEENS1_30default_config_static_selectorELNS0_4arch9wavefront6targetE1EEEvT1_.num_vgpr, 0
	.set _ZN7rocprim17ROCPRIM_400000_NS6detail17trampoline_kernelINS0_14default_configENS1_25partition_config_selectorILNS1_17partition_subalgoE8ElNS0_10empty_typeEbEEZZNS1_14partition_implILS5_8ELb0ES3_jPlPS6_PKS6_NS0_5tupleIJS9_S6_EEENSD_IJSA_SA_EEENS0_18inequality_wrapperIZN2at6native12_GLOBAL__N_124unique_dim_cuda_templateItEESt5tupleIJNSH_6TensorESM_SM_EERKSM_lbbbEUlllE0_EEPmJS6_EEE10hipError_tPvRmT3_T4_T5_T6_T7_T9_mT8_P12ihipStream_tbDpT10_ENKUlT_T0_E_clISt17integral_constantIbLb1EES1C_EEDaS17_S18_EUlS17_E_NS1_11comp_targetILNS1_3genE4ELNS1_11target_archE910ELNS1_3gpuE8ELNS1_3repE0EEENS1_30default_config_static_selectorELNS0_4arch9wavefront6targetE1EEEvT1_.num_agpr, 0
	.set _ZN7rocprim17ROCPRIM_400000_NS6detail17trampoline_kernelINS0_14default_configENS1_25partition_config_selectorILNS1_17partition_subalgoE8ElNS0_10empty_typeEbEEZZNS1_14partition_implILS5_8ELb0ES3_jPlPS6_PKS6_NS0_5tupleIJS9_S6_EEENSD_IJSA_SA_EEENS0_18inequality_wrapperIZN2at6native12_GLOBAL__N_124unique_dim_cuda_templateItEESt5tupleIJNSH_6TensorESM_SM_EERKSM_lbbbEUlllE0_EEPmJS6_EEE10hipError_tPvRmT3_T4_T5_T6_T7_T9_mT8_P12ihipStream_tbDpT10_ENKUlT_T0_E_clISt17integral_constantIbLb1EES1C_EEDaS17_S18_EUlS17_E_NS1_11comp_targetILNS1_3genE4ELNS1_11target_archE910ELNS1_3gpuE8ELNS1_3repE0EEENS1_30default_config_static_selectorELNS0_4arch9wavefront6targetE1EEEvT1_.numbered_sgpr, 0
	.set _ZN7rocprim17ROCPRIM_400000_NS6detail17trampoline_kernelINS0_14default_configENS1_25partition_config_selectorILNS1_17partition_subalgoE8ElNS0_10empty_typeEbEEZZNS1_14partition_implILS5_8ELb0ES3_jPlPS6_PKS6_NS0_5tupleIJS9_S6_EEENSD_IJSA_SA_EEENS0_18inequality_wrapperIZN2at6native12_GLOBAL__N_124unique_dim_cuda_templateItEESt5tupleIJNSH_6TensorESM_SM_EERKSM_lbbbEUlllE0_EEPmJS6_EEE10hipError_tPvRmT3_T4_T5_T6_T7_T9_mT8_P12ihipStream_tbDpT10_ENKUlT_T0_E_clISt17integral_constantIbLb1EES1C_EEDaS17_S18_EUlS17_E_NS1_11comp_targetILNS1_3genE4ELNS1_11target_archE910ELNS1_3gpuE8ELNS1_3repE0EEENS1_30default_config_static_selectorELNS0_4arch9wavefront6targetE1EEEvT1_.num_named_barrier, 0
	.set _ZN7rocprim17ROCPRIM_400000_NS6detail17trampoline_kernelINS0_14default_configENS1_25partition_config_selectorILNS1_17partition_subalgoE8ElNS0_10empty_typeEbEEZZNS1_14partition_implILS5_8ELb0ES3_jPlPS6_PKS6_NS0_5tupleIJS9_S6_EEENSD_IJSA_SA_EEENS0_18inequality_wrapperIZN2at6native12_GLOBAL__N_124unique_dim_cuda_templateItEESt5tupleIJNSH_6TensorESM_SM_EERKSM_lbbbEUlllE0_EEPmJS6_EEE10hipError_tPvRmT3_T4_T5_T6_T7_T9_mT8_P12ihipStream_tbDpT10_ENKUlT_T0_E_clISt17integral_constantIbLb1EES1C_EEDaS17_S18_EUlS17_E_NS1_11comp_targetILNS1_3genE4ELNS1_11target_archE910ELNS1_3gpuE8ELNS1_3repE0EEENS1_30default_config_static_selectorELNS0_4arch9wavefront6targetE1EEEvT1_.private_seg_size, 0
	.set _ZN7rocprim17ROCPRIM_400000_NS6detail17trampoline_kernelINS0_14default_configENS1_25partition_config_selectorILNS1_17partition_subalgoE8ElNS0_10empty_typeEbEEZZNS1_14partition_implILS5_8ELb0ES3_jPlPS6_PKS6_NS0_5tupleIJS9_S6_EEENSD_IJSA_SA_EEENS0_18inequality_wrapperIZN2at6native12_GLOBAL__N_124unique_dim_cuda_templateItEESt5tupleIJNSH_6TensorESM_SM_EERKSM_lbbbEUlllE0_EEPmJS6_EEE10hipError_tPvRmT3_T4_T5_T6_T7_T9_mT8_P12ihipStream_tbDpT10_ENKUlT_T0_E_clISt17integral_constantIbLb1EES1C_EEDaS17_S18_EUlS17_E_NS1_11comp_targetILNS1_3genE4ELNS1_11target_archE910ELNS1_3gpuE8ELNS1_3repE0EEENS1_30default_config_static_selectorELNS0_4arch9wavefront6targetE1EEEvT1_.uses_vcc, 0
	.set _ZN7rocprim17ROCPRIM_400000_NS6detail17trampoline_kernelINS0_14default_configENS1_25partition_config_selectorILNS1_17partition_subalgoE8ElNS0_10empty_typeEbEEZZNS1_14partition_implILS5_8ELb0ES3_jPlPS6_PKS6_NS0_5tupleIJS9_S6_EEENSD_IJSA_SA_EEENS0_18inequality_wrapperIZN2at6native12_GLOBAL__N_124unique_dim_cuda_templateItEESt5tupleIJNSH_6TensorESM_SM_EERKSM_lbbbEUlllE0_EEPmJS6_EEE10hipError_tPvRmT3_T4_T5_T6_T7_T9_mT8_P12ihipStream_tbDpT10_ENKUlT_T0_E_clISt17integral_constantIbLb1EES1C_EEDaS17_S18_EUlS17_E_NS1_11comp_targetILNS1_3genE4ELNS1_11target_archE910ELNS1_3gpuE8ELNS1_3repE0EEENS1_30default_config_static_selectorELNS0_4arch9wavefront6targetE1EEEvT1_.uses_flat_scratch, 0
	.set _ZN7rocprim17ROCPRIM_400000_NS6detail17trampoline_kernelINS0_14default_configENS1_25partition_config_selectorILNS1_17partition_subalgoE8ElNS0_10empty_typeEbEEZZNS1_14partition_implILS5_8ELb0ES3_jPlPS6_PKS6_NS0_5tupleIJS9_S6_EEENSD_IJSA_SA_EEENS0_18inequality_wrapperIZN2at6native12_GLOBAL__N_124unique_dim_cuda_templateItEESt5tupleIJNSH_6TensorESM_SM_EERKSM_lbbbEUlllE0_EEPmJS6_EEE10hipError_tPvRmT3_T4_T5_T6_T7_T9_mT8_P12ihipStream_tbDpT10_ENKUlT_T0_E_clISt17integral_constantIbLb1EES1C_EEDaS17_S18_EUlS17_E_NS1_11comp_targetILNS1_3genE4ELNS1_11target_archE910ELNS1_3gpuE8ELNS1_3repE0EEENS1_30default_config_static_selectorELNS0_4arch9wavefront6targetE1EEEvT1_.has_dyn_sized_stack, 0
	.set _ZN7rocprim17ROCPRIM_400000_NS6detail17trampoline_kernelINS0_14default_configENS1_25partition_config_selectorILNS1_17partition_subalgoE8ElNS0_10empty_typeEbEEZZNS1_14partition_implILS5_8ELb0ES3_jPlPS6_PKS6_NS0_5tupleIJS9_S6_EEENSD_IJSA_SA_EEENS0_18inequality_wrapperIZN2at6native12_GLOBAL__N_124unique_dim_cuda_templateItEESt5tupleIJNSH_6TensorESM_SM_EERKSM_lbbbEUlllE0_EEPmJS6_EEE10hipError_tPvRmT3_T4_T5_T6_T7_T9_mT8_P12ihipStream_tbDpT10_ENKUlT_T0_E_clISt17integral_constantIbLb1EES1C_EEDaS17_S18_EUlS17_E_NS1_11comp_targetILNS1_3genE4ELNS1_11target_archE910ELNS1_3gpuE8ELNS1_3repE0EEENS1_30default_config_static_selectorELNS0_4arch9wavefront6targetE1EEEvT1_.has_recursion, 0
	.set _ZN7rocprim17ROCPRIM_400000_NS6detail17trampoline_kernelINS0_14default_configENS1_25partition_config_selectorILNS1_17partition_subalgoE8ElNS0_10empty_typeEbEEZZNS1_14partition_implILS5_8ELb0ES3_jPlPS6_PKS6_NS0_5tupleIJS9_S6_EEENSD_IJSA_SA_EEENS0_18inequality_wrapperIZN2at6native12_GLOBAL__N_124unique_dim_cuda_templateItEESt5tupleIJNSH_6TensorESM_SM_EERKSM_lbbbEUlllE0_EEPmJS6_EEE10hipError_tPvRmT3_T4_T5_T6_T7_T9_mT8_P12ihipStream_tbDpT10_ENKUlT_T0_E_clISt17integral_constantIbLb1EES1C_EEDaS17_S18_EUlS17_E_NS1_11comp_targetILNS1_3genE4ELNS1_11target_archE910ELNS1_3gpuE8ELNS1_3repE0EEENS1_30default_config_static_selectorELNS0_4arch9wavefront6targetE1EEEvT1_.has_indirect_call, 0
	.section	.AMDGPU.csdata,"",@progbits
; Kernel info:
; codeLenInByte = 0
; TotalNumSgprs: 6
; NumVgprs: 0
; NumAgprs: 0
; TotalNumVgprs: 0
; ScratchSize: 0
; MemoryBound: 0
; FloatMode: 240
; IeeeMode: 1
; LDSByteSize: 0 bytes/workgroup (compile time only)
; SGPRBlocks: 0
; VGPRBlocks: 0
; NumSGPRsForWavesPerEU: 6
; NumVGPRsForWavesPerEU: 1
; AccumOffset: 4
; Occupancy: 8
; WaveLimiterHint : 0
; COMPUTE_PGM_RSRC2:SCRATCH_EN: 0
; COMPUTE_PGM_RSRC2:USER_SGPR: 2
; COMPUTE_PGM_RSRC2:TRAP_HANDLER: 0
; COMPUTE_PGM_RSRC2:TGID_X_EN: 1
; COMPUTE_PGM_RSRC2:TGID_Y_EN: 0
; COMPUTE_PGM_RSRC2:TGID_Z_EN: 0
; COMPUTE_PGM_RSRC2:TIDIG_COMP_CNT: 0
; COMPUTE_PGM_RSRC3_GFX90A:ACCUM_OFFSET: 0
; COMPUTE_PGM_RSRC3_GFX90A:TG_SPLIT: 0
	.section	.text._ZN7rocprim17ROCPRIM_400000_NS6detail17trampoline_kernelINS0_14default_configENS1_25partition_config_selectorILNS1_17partition_subalgoE8ElNS0_10empty_typeEbEEZZNS1_14partition_implILS5_8ELb0ES3_jPlPS6_PKS6_NS0_5tupleIJS9_S6_EEENSD_IJSA_SA_EEENS0_18inequality_wrapperIZN2at6native12_GLOBAL__N_124unique_dim_cuda_templateItEESt5tupleIJNSH_6TensorESM_SM_EERKSM_lbbbEUlllE0_EEPmJS6_EEE10hipError_tPvRmT3_T4_T5_T6_T7_T9_mT8_P12ihipStream_tbDpT10_ENKUlT_T0_E_clISt17integral_constantIbLb1EES1C_EEDaS17_S18_EUlS17_E_NS1_11comp_targetILNS1_3genE3ELNS1_11target_archE908ELNS1_3gpuE7ELNS1_3repE0EEENS1_30default_config_static_selectorELNS0_4arch9wavefront6targetE1EEEvT1_,"axG",@progbits,_ZN7rocprim17ROCPRIM_400000_NS6detail17trampoline_kernelINS0_14default_configENS1_25partition_config_selectorILNS1_17partition_subalgoE8ElNS0_10empty_typeEbEEZZNS1_14partition_implILS5_8ELb0ES3_jPlPS6_PKS6_NS0_5tupleIJS9_S6_EEENSD_IJSA_SA_EEENS0_18inequality_wrapperIZN2at6native12_GLOBAL__N_124unique_dim_cuda_templateItEESt5tupleIJNSH_6TensorESM_SM_EERKSM_lbbbEUlllE0_EEPmJS6_EEE10hipError_tPvRmT3_T4_T5_T6_T7_T9_mT8_P12ihipStream_tbDpT10_ENKUlT_T0_E_clISt17integral_constantIbLb1EES1C_EEDaS17_S18_EUlS17_E_NS1_11comp_targetILNS1_3genE3ELNS1_11target_archE908ELNS1_3gpuE7ELNS1_3repE0EEENS1_30default_config_static_selectorELNS0_4arch9wavefront6targetE1EEEvT1_,comdat
	.globl	_ZN7rocprim17ROCPRIM_400000_NS6detail17trampoline_kernelINS0_14default_configENS1_25partition_config_selectorILNS1_17partition_subalgoE8ElNS0_10empty_typeEbEEZZNS1_14partition_implILS5_8ELb0ES3_jPlPS6_PKS6_NS0_5tupleIJS9_S6_EEENSD_IJSA_SA_EEENS0_18inequality_wrapperIZN2at6native12_GLOBAL__N_124unique_dim_cuda_templateItEESt5tupleIJNSH_6TensorESM_SM_EERKSM_lbbbEUlllE0_EEPmJS6_EEE10hipError_tPvRmT3_T4_T5_T6_T7_T9_mT8_P12ihipStream_tbDpT10_ENKUlT_T0_E_clISt17integral_constantIbLb1EES1C_EEDaS17_S18_EUlS17_E_NS1_11comp_targetILNS1_3genE3ELNS1_11target_archE908ELNS1_3gpuE7ELNS1_3repE0EEENS1_30default_config_static_selectorELNS0_4arch9wavefront6targetE1EEEvT1_ ; -- Begin function _ZN7rocprim17ROCPRIM_400000_NS6detail17trampoline_kernelINS0_14default_configENS1_25partition_config_selectorILNS1_17partition_subalgoE8ElNS0_10empty_typeEbEEZZNS1_14partition_implILS5_8ELb0ES3_jPlPS6_PKS6_NS0_5tupleIJS9_S6_EEENSD_IJSA_SA_EEENS0_18inequality_wrapperIZN2at6native12_GLOBAL__N_124unique_dim_cuda_templateItEESt5tupleIJNSH_6TensorESM_SM_EERKSM_lbbbEUlllE0_EEPmJS6_EEE10hipError_tPvRmT3_T4_T5_T6_T7_T9_mT8_P12ihipStream_tbDpT10_ENKUlT_T0_E_clISt17integral_constantIbLb1EES1C_EEDaS17_S18_EUlS17_E_NS1_11comp_targetILNS1_3genE3ELNS1_11target_archE908ELNS1_3gpuE7ELNS1_3repE0EEENS1_30default_config_static_selectorELNS0_4arch9wavefront6targetE1EEEvT1_
	.p2align	8
	.type	_ZN7rocprim17ROCPRIM_400000_NS6detail17trampoline_kernelINS0_14default_configENS1_25partition_config_selectorILNS1_17partition_subalgoE8ElNS0_10empty_typeEbEEZZNS1_14partition_implILS5_8ELb0ES3_jPlPS6_PKS6_NS0_5tupleIJS9_S6_EEENSD_IJSA_SA_EEENS0_18inequality_wrapperIZN2at6native12_GLOBAL__N_124unique_dim_cuda_templateItEESt5tupleIJNSH_6TensorESM_SM_EERKSM_lbbbEUlllE0_EEPmJS6_EEE10hipError_tPvRmT3_T4_T5_T6_T7_T9_mT8_P12ihipStream_tbDpT10_ENKUlT_T0_E_clISt17integral_constantIbLb1EES1C_EEDaS17_S18_EUlS17_E_NS1_11comp_targetILNS1_3genE3ELNS1_11target_archE908ELNS1_3gpuE7ELNS1_3repE0EEENS1_30default_config_static_selectorELNS0_4arch9wavefront6targetE1EEEvT1_,@function
_ZN7rocprim17ROCPRIM_400000_NS6detail17trampoline_kernelINS0_14default_configENS1_25partition_config_selectorILNS1_17partition_subalgoE8ElNS0_10empty_typeEbEEZZNS1_14partition_implILS5_8ELb0ES3_jPlPS6_PKS6_NS0_5tupleIJS9_S6_EEENSD_IJSA_SA_EEENS0_18inequality_wrapperIZN2at6native12_GLOBAL__N_124unique_dim_cuda_templateItEESt5tupleIJNSH_6TensorESM_SM_EERKSM_lbbbEUlllE0_EEPmJS6_EEE10hipError_tPvRmT3_T4_T5_T6_T7_T9_mT8_P12ihipStream_tbDpT10_ENKUlT_T0_E_clISt17integral_constantIbLb1EES1C_EEDaS17_S18_EUlS17_E_NS1_11comp_targetILNS1_3genE3ELNS1_11target_archE908ELNS1_3gpuE7ELNS1_3repE0EEENS1_30default_config_static_selectorELNS0_4arch9wavefront6targetE1EEEvT1_: ; @_ZN7rocprim17ROCPRIM_400000_NS6detail17trampoline_kernelINS0_14default_configENS1_25partition_config_selectorILNS1_17partition_subalgoE8ElNS0_10empty_typeEbEEZZNS1_14partition_implILS5_8ELb0ES3_jPlPS6_PKS6_NS0_5tupleIJS9_S6_EEENSD_IJSA_SA_EEENS0_18inequality_wrapperIZN2at6native12_GLOBAL__N_124unique_dim_cuda_templateItEESt5tupleIJNSH_6TensorESM_SM_EERKSM_lbbbEUlllE0_EEPmJS6_EEE10hipError_tPvRmT3_T4_T5_T6_T7_T9_mT8_P12ihipStream_tbDpT10_ENKUlT_T0_E_clISt17integral_constantIbLb1EES1C_EEDaS17_S18_EUlS17_E_NS1_11comp_targetILNS1_3genE3ELNS1_11target_archE908ELNS1_3gpuE7ELNS1_3repE0EEENS1_30default_config_static_selectorELNS0_4arch9wavefront6targetE1EEEvT1_
; %bb.0:
	.section	.rodata,"a",@progbits
	.p2align	6, 0x0
	.amdhsa_kernel _ZN7rocprim17ROCPRIM_400000_NS6detail17trampoline_kernelINS0_14default_configENS1_25partition_config_selectorILNS1_17partition_subalgoE8ElNS0_10empty_typeEbEEZZNS1_14partition_implILS5_8ELb0ES3_jPlPS6_PKS6_NS0_5tupleIJS9_S6_EEENSD_IJSA_SA_EEENS0_18inequality_wrapperIZN2at6native12_GLOBAL__N_124unique_dim_cuda_templateItEESt5tupleIJNSH_6TensorESM_SM_EERKSM_lbbbEUlllE0_EEPmJS6_EEE10hipError_tPvRmT3_T4_T5_T6_T7_T9_mT8_P12ihipStream_tbDpT10_ENKUlT_T0_E_clISt17integral_constantIbLb1EES1C_EEDaS17_S18_EUlS17_E_NS1_11comp_targetILNS1_3genE3ELNS1_11target_archE908ELNS1_3gpuE7ELNS1_3repE0EEENS1_30default_config_static_selectorELNS0_4arch9wavefront6targetE1EEEvT1_
		.amdhsa_group_segment_fixed_size 0
		.amdhsa_private_segment_fixed_size 0
		.amdhsa_kernarg_size 136
		.amdhsa_user_sgpr_count 2
		.amdhsa_user_sgpr_dispatch_ptr 0
		.amdhsa_user_sgpr_queue_ptr 0
		.amdhsa_user_sgpr_kernarg_segment_ptr 1
		.amdhsa_user_sgpr_dispatch_id 0
		.amdhsa_user_sgpr_kernarg_preload_length 0
		.amdhsa_user_sgpr_kernarg_preload_offset 0
		.amdhsa_user_sgpr_private_segment_size 0
		.amdhsa_uses_dynamic_stack 0
		.amdhsa_enable_private_segment 0
		.amdhsa_system_sgpr_workgroup_id_x 1
		.amdhsa_system_sgpr_workgroup_id_y 0
		.amdhsa_system_sgpr_workgroup_id_z 0
		.amdhsa_system_sgpr_workgroup_info 0
		.amdhsa_system_vgpr_workitem_id 0
		.amdhsa_next_free_vgpr 1
		.amdhsa_next_free_sgpr 0
		.amdhsa_accum_offset 4
		.amdhsa_reserve_vcc 0
		.amdhsa_float_round_mode_32 0
		.amdhsa_float_round_mode_16_64 0
		.amdhsa_float_denorm_mode_32 3
		.amdhsa_float_denorm_mode_16_64 3
		.amdhsa_dx10_clamp 1
		.amdhsa_ieee_mode 1
		.amdhsa_fp16_overflow 0
		.amdhsa_tg_split 0
		.amdhsa_exception_fp_ieee_invalid_op 0
		.amdhsa_exception_fp_denorm_src 0
		.amdhsa_exception_fp_ieee_div_zero 0
		.amdhsa_exception_fp_ieee_overflow 0
		.amdhsa_exception_fp_ieee_underflow 0
		.amdhsa_exception_fp_ieee_inexact 0
		.amdhsa_exception_int_div_zero 0
	.end_amdhsa_kernel
	.section	.text._ZN7rocprim17ROCPRIM_400000_NS6detail17trampoline_kernelINS0_14default_configENS1_25partition_config_selectorILNS1_17partition_subalgoE8ElNS0_10empty_typeEbEEZZNS1_14partition_implILS5_8ELb0ES3_jPlPS6_PKS6_NS0_5tupleIJS9_S6_EEENSD_IJSA_SA_EEENS0_18inequality_wrapperIZN2at6native12_GLOBAL__N_124unique_dim_cuda_templateItEESt5tupleIJNSH_6TensorESM_SM_EERKSM_lbbbEUlllE0_EEPmJS6_EEE10hipError_tPvRmT3_T4_T5_T6_T7_T9_mT8_P12ihipStream_tbDpT10_ENKUlT_T0_E_clISt17integral_constantIbLb1EES1C_EEDaS17_S18_EUlS17_E_NS1_11comp_targetILNS1_3genE3ELNS1_11target_archE908ELNS1_3gpuE7ELNS1_3repE0EEENS1_30default_config_static_selectorELNS0_4arch9wavefront6targetE1EEEvT1_,"axG",@progbits,_ZN7rocprim17ROCPRIM_400000_NS6detail17trampoline_kernelINS0_14default_configENS1_25partition_config_selectorILNS1_17partition_subalgoE8ElNS0_10empty_typeEbEEZZNS1_14partition_implILS5_8ELb0ES3_jPlPS6_PKS6_NS0_5tupleIJS9_S6_EEENSD_IJSA_SA_EEENS0_18inequality_wrapperIZN2at6native12_GLOBAL__N_124unique_dim_cuda_templateItEESt5tupleIJNSH_6TensorESM_SM_EERKSM_lbbbEUlllE0_EEPmJS6_EEE10hipError_tPvRmT3_T4_T5_T6_T7_T9_mT8_P12ihipStream_tbDpT10_ENKUlT_T0_E_clISt17integral_constantIbLb1EES1C_EEDaS17_S18_EUlS17_E_NS1_11comp_targetILNS1_3genE3ELNS1_11target_archE908ELNS1_3gpuE7ELNS1_3repE0EEENS1_30default_config_static_selectorELNS0_4arch9wavefront6targetE1EEEvT1_,comdat
.Lfunc_end1430:
	.size	_ZN7rocprim17ROCPRIM_400000_NS6detail17trampoline_kernelINS0_14default_configENS1_25partition_config_selectorILNS1_17partition_subalgoE8ElNS0_10empty_typeEbEEZZNS1_14partition_implILS5_8ELb0ES3_jPlPS6_PKS6_NS0_5tupleIJS9_S6_EEENSD_IJSA_SA_EEENS0_18inequality_wrapperIZN2at6native12_GLOBAL__N_124unique_dim_cuda_templateItEESt5tupleIJNSH_6TensorESM_SM_EERKSM_lbbbEUlllE0_EEPmJS6_EEE10hipError_tPvRmT3_T4_T5_T6_T7_T9_mT8_P12ihipStream_tbDpT10_ENKUlT_T0_E_clISt17integral_constantIbLb1EES1C_EEDaS17_S18_EUlS17_E_NS1_11comp_targetILNS1_3genE3ELNS1_11target_archE908ELNS1_3gpuE7ELNS1_3repE0EEENS1_30default_config_static_selectorELNS0_4arch9wavefront6targetE1EEEvT1_, .Lfunc_end1430-_ZN7rocprim17ROCPRIM_400000_NS6detail17trampoline_kernelINS0_14default_configENS1_25partition_config_selectorILNS1_17partition_subalgoE8ElNS0_10empty_typeEbEEZZNS1_14partition_implILS5_8ELb0ES3_jPlPS6_PKS6_NS0_5tupleIJS9_S6_EEENSD_IJSA_SA_EEENS0_18inequality_wrapperIZN2at6native12_GLOBAL__N_124unique_dim_cuda_templateItEESt5tupleIJNSH_6TensorESM_SM_EERKSM_lbbbEUlllE0_EEPmJS6_EEE10hipError_tPvRmT3_T4_T5_T6_T7_T9_mT8_P12ihipStream_tbDpT10_ENKUlT_T0_E_clISt17integral_constantIbLb1EES1C_EEDaS17_S18_EUlS17_E_NS1_11comp_targetILNS1_3genE3ELNS1_11target_archE908ELNS1_3gpuE7ELNS1_3repE0EEENS1_30default_config_static_selectorELNS0_4arch9wavefront6targetE1EEEvT1_
                                        ; -- End function
	.set _ZN7rocprim17ROCPRIM_400000_NS6detail17trampoline_kernelINS0_14default_configENS1_25partition_config_selectorILNS1_17partition_subalgoE8ElNS0_10empty_typeEbEEZZNS1_14partition_implILS5_8ELb0ES3_jPlPS6_PKS6_NS0_5tupleIJS9_S6_EEENSD_IJSA_SA_EEENS0_18inequality_wrapperIZN2at6native12_GLOBAL__N_124unique_dim_cuda_templateItEESt5tupleIJNSH_6TensorESM_SM_EERKSM_lbbbEUlllE0_EEPmJS6_EEE10hipError_tPvRmT3_T4_T5_T6_T7_T9_mT8_P12ihipStream_tbDpT10_ENKUlT_T0_E_clISt17integral_constantIbLb1EES1C_EEDaS17_S18_EUlS17_E_NS1_11comp_targetILNS1_3genE3ELNS1_11target_archE908ELNS1_3gpuE7ELNS1_3repE0EEENS1_30default_config_static_selectorELNS0_4arch9wavefront6targetE1EEEvT1_.num_vgpr, 0
	.set _ZN7rocprim17ROCPRIM_400000_NS6detail17trampoline_kernelINS0_14default_configENS1_25partition_config_selectorILNS1_17partition_subalgoE8ElNS0_10empty_typeEbEEZZNS1_14partition_implILS5_8ELb0ES3_jPlPS6_PKS6_NS0_5tupleIJS9_S6_EEENSD_IJSA_SA_EEENS0_18inequality_wrapperIZN2at6native12_GLOBAL__N_124unique_dim_cuda_templateItEESt5tupleIJNSH_6TensorESM_SM_EERKSM_lbbbEUlllE0_EEPmJS6_EEE10hipError_tPvRmT3_T4_T5_T6_T7_T9_mT8_P12ihipStream_tbDpT10_ENKUlT_T0_E_clISt17integral_constantIbLb1EES1C_EEDaS17_S18_EUlS17_E_NS1_11comp_targetILNS1_3genE3ELNS1_11target_archE908ELNS1_3gpuE7ELNS1_3repE0EEENS1_30default_config_static_selectorELNS0_4arch9wavefront6targetE1EEEvT1_.num_agpr, 0
	.set _ZN7rocprim17ROCPRIM_400000_NS6detail17trampoline_kernelINS0_14default_configENS1_25partition_config_selectorILNS1_17partition_subalgoE8ElNS0_10empty_typeEbEEZZNS1_14partition_implILS5_8ELb0ES3_jPlPS6_PKS6_NS0_5tupleIJS9_S6_EEENSD_IJSA_SA_EEENS0_18inequality_wrapperIZN2at6native12_GLOBAL__N_124unique_dim_cuda_templateItEESt5tupleIJNSH_6TensorESM_SM_EERKSM_lbbbEUlllE0_EEPmJS6_EEE10hipError_tPvRmT3_T4_T5_T6_T7_T9_mT8_P12ihipStream_tbDpT10_ENKUlT_T0_E_clISt17integral_constantIbLb1EES1C_EEDaS17_S18_EUlS17_E_NS1_11comp_targetILNS1_3genE3ELNS1_11target_archE908ELNS1_3gpuE7ELNS1_3repE0EEENS1_30default_config_static_selectorELNS0_4arch9wavefront6targetE1EEEvT1_.numbered_sgpr, 0
	.set _ZN7rocprim17ROCPRIM_400000_NS6detail17trampoline_kernelINS0_14default_configENS1_25partition_config_selectorILNS1_17partition_subalgoE8ElNS0_10empty_typeEbEEZZNS1_14partition_implILS5_8ELb0ES3_jPlPS6_PKS6_NS0_5tupleIJS9_S6_EEENSD_IJSA_SA_EEENS0_18inequality_wrapperIZN2at6native12_GLOBAL__N_124unique_dim_cuda_templateItEESt5tupleIJNSH_6TensorESM_SM_EERKSM_lbbbEUlllE0_EEPmJS6_EEE10hipError_tPvRmT3_T4_T5_T6_T7_T9_mT8_P12ihipStream_tbDpT10_ENKUlT_T0_E_clISt17integral_constantIbLb1EES1C_EEDaS17_S18_EUlS17_E_NS1_11comp_targetILNS1_3genE3ELNS1_11target_archE908ELNS1_3gpuE7ELNS1_3repE0EEENS1_30default_config_static_selectorELNS0_4arch9wavefront6targetE1EEEvT1_.num_named_barrier, 0
	.set _ZN7rocprim17ROCPRIM_400000_NS6detail17trampoline_kernelINS0_14default_configENS1_25partition_config_selectorILNS1_17partition_subalgoE8ElNS0_10empty_typeEbEEZZNS1_14partition_implILS5_8ELb0ES3_jPlPS6_PKS6_NS0_5tupleIJS9_S6_EEENSD_IJSA_SA_EEENS0_18inequality_wrapperIZN2at6native12_GLOBAL__N_124unique_dim_cuda_templateItEESt5tupleIJNSH_6TensorESM_SM_EERKSM_lbbbEUlllE0_EEPmJS6_EEE10hipError_tPvRmT3_T4_T5_T6_T7_T9_mT8_P12ihipStream_tbDpT10_ENKUlT_T0_E_clISt17integral_constantIbLb1EES1C_EEDaS17_S18_EUlS17_E_NS1_11comp_targetILNS1_3genE3ELNS1_11target_archE908ELNS1_3gpuE7ELNS1_3repE0EEENS1_30default_config_static_selectorELNS0_4arch9wavefront6targetE1EEEvT1_.private_seg_size, 0
	.set _ZN7rocprim17ROCPRIM_400000_NS6detail17trampoline_kernelINS0_14default_configENS1_25partition_config_selectorILNS1_17partition_subalgoE8ElNS0_10empty_typeEbEEZZNS1_14partition_implILS5_8ELb0ES3_jPlPS6_PKS6_NS0_5tupleIJS9_S6_EEENSD_IJSA_SA_EEENS0_18inequality_wrapperIZN2at6native12_GLOBAL__N_124unique_dim_cuda_templateItEESt5tupleIJNSH_6TensorESM_SM_EERKSM_lbbbEUlllE0_EEPmJS6_EEE10hipError_tPvRmT3_T4_T5_T6_T7_T9_mT8_P12ihipStream_tbDpT10_ENKUlT_T0_E_clISt17integral_constantIbLb1EES1C_EEDaS17_S18_EUlS17_E_NS1_11comp_targetILNS1_3genE3ELNS1_11target_archE908ELNS1_3gpuE7ELNS1_3repE0EEENS1_30default_config_static_selectorELNS0_4arch9wavefront6targetE1EEEvT1_.uses_vcc, 0
	.set _ZN7rocprim17ROCPRIM_400000_NS6detail17trampoline_kernelINS0_14default_configENS1_25partition_config_selectorILNS1_17partition_subalgoE8ElNS0_10empty_typeEbEEZZNS1_14partition_implILS5_8ELb0ES3_jPlPS6_PKS6_NS0_5tupleIJS9_S6_EEENSD_IJSA_SA_EEENS0_18inequality_wrapperIZN2at6native12_GLOBAL__N_124unique_dim_cuda_templateItEESt5tupleIJNSH_6TensorESM_SM_EERKSM_lbbbEUlllE0_EEPmJS6_EEE10hipError_tPvRmT3_T4_T5_T6_T7_T9_mT8_P12ihipStream_tbDpT10_ENKUlT_T0_E_clISt17integral_constantIbLb1EES1C_EEDaS17_S18_EUlS17_E_NS1_11comp_targetILNS1_3genE3ELNS1_11target_archE908ELNS1_3gpuE7ELNS1_3repE0EEENS1_30default_config_static_selectorELNS0_4arch9wavefront6targetE1EEEvT1_.uses_flat_scratch, 0
	.set _ZN7rocprim17ROCPRIM_400000_NS6detail17trampoline_kernelINS0_14default_configENS1_25partition_config_selectorILNS1_17partition_subalgoE8ElNS0_10empty_typeEbEEZZNS1_14partition_implILS5_8ELb0ES3_jPlPS6_PKS6_NS0_5tupleIJS9_S6_EEENSD_IJSA_SA_EEENS0_18inequality_wrapperIZN2at6native12_GLOBAL__N_124unique_dim_cuda_templateItEESt5tupleIJNSH_6TensorESM_SM_EERKSM_lbbbEUlllE0_EEPmJS6_EEE10hipError_tPvRmT3_T4_T5_T6_T7_T9_mT8_P12ihipStream_tbDpT10_ENKUlT_T0_E_clISt17integral_constantIbLb1EES1C_EEDaS17_S18_EUlS17_E_NS1_11comp_targetILNS1_3genE3ELNS1_11target_archE908ELNS1_3gpuE7ELNS1_3repE0EEENS1_30default_config_static_selectorELNS0_4arch9wavefront6targetE1EEEvT1_.has_dyn_sized_stack, 0
	.set _ZN7rocprim17ROCPRIM_400000_NS6detail17trampoline_kernelINS0_14default_configENS1_25partition_config_selectorILNS1_17partition_subalgoE8ElNS0_10empty_typeEbEEZZNS1_14partition_implILS5_8ELb0ES3_jPlPS6_PKS6_NS0_5tupleIJS9_S6_EEENSD_IJSA_SA_EEENS0_18inequality_wrapperIZN2at6native12_GLOBAL__N_124unique_dim_cuda_templateItEESt5tupleIJNSH_6TensorESM_SM_EERKSM_lbbbEUlllE0_EEPmJS6_EEE10hipError_tPvRmT3_T4_T5_T6_T7_T9_mT8_P12ihipStream_tbDpT10_ENKUlT_T0_E_clISt17integral_constantIbLb1EES1C_EEDaS17_S18_EUlS17_E_NS1_11comp_targetILNS1_3genE3ELNS1_11target_archE908ELNS1_3gpuE7ELNS1_3repE0EEENS1_30default_config_static_selectorELNS0_4arch9wavefront6targetE1EEEvT1_.has_recursion, 0
	.set _ZN7rocprim17ROCPRIM_400000_NS6detail17trampoline_kernelINS0_14default_configENS1_25partition_config_selectorILNS1_17partition_subalgoE8ElNS0_10empty_typeEbEEZZNS1_14partition_implILS5_8ELb0ES3_jPlPS6_PKS6_NS0_5tupleIJS9_S6_EEENSD_IJSA_SA_EEENS0_18inequality_wrapperIZN2at6native12_GLOBAL__N_124unique_dim_cuda_templateItEESt5tupleIJNSH_6TensorESM_SM_EERKSM_lbbbEUlllE0_EEPmJS6_EEE10hipError_tPvRmT3_T4_T5_T6_T7_T9_mT8_P12ihipStream_tbDpT10_ENKUlT_T0_E_clISt17integral_constantIbLb1EES1C_EEDaS17_S18_EUlS17_E_NS1_11comp_targetILNS1_3genE3ELNS1_11target_archE908ELNS1_3gpuE7ELNS1_3repE0EEENS1_30default_config_static_selectorELNS0_4arch9wavefront6targetE1EEEvT1_.has_indirect_call, 0
	.section	.AMDGPU.csdata,"",@progbits
; Kernel info:
; codeLenInByte = 0
; TotalNumSgprs: 6
; NumVgprs: 0
; NumAgprs: 0
; TotalNumVgprs: 0
; ScratchSize: 0
; MemoryBound: 0
; FloatMode: 240
; IeeeMode: 1
; LDSByteSize: 0 bytes/workgroup (compile time only)
; SGPRBlocks: 0
; VGPRBlocks: 0
; NumSGPRsForWavesPerEU: 6
; NumVGPRsForWavesPerEU: 1
; AccumOffset: 4
; Occupancy: 8
; WaveLimiterHint : 0
; COMPUTE_PGM_RSRC2:SCRATCH_EN: 0
; COMPUTE_PGM_RSRC2:USER_SGPR: 2
; COMPUTE_PGM_RSRC2:TRAP_HANDLER: 0
; COMPUTE_PGM_RSRC2:TGID_X_EN: 1
; COMPUTE_PGM_RSRC2:TGID_Y_EN: 0
; COMPUTE_PGM_RSRC2:TGID_Z_EN: 0
; COMPUTE_PGM_RSRC2:TIDIG_COMP_CNT: 0
; COMPUTE_PGM_RSRC3_GFX90A:ACCUM_OFFSET: 0
; COMPUTE_PGM_RSRC3_GFX90A:TG_SPLIT: 0
	.section	.text._ZN7rocprim17ROCPRIM_400000_NS6detail17trampoline_kernelINS0_14default_configENS1_25partition_config_selectorILNS1_17partition_subalgoE8ElNS0_10empty_typeEbEEZZNS1_14partition_implILS5_8ELb0ES3_jPlPS6_PKS6_NS0_5tupleIJS9_S6_EEENSD_IJSA_SA_EEENS0_18inequality_wrapperIZN2at6native12_GLOBAL__N_124unique_dim_cuda_templateItEESt5tupleIJNSH_6TensorESM_SM_EERKSM_lbbbEUlllE0_EEPmJS6_EEE10hipError_tPvRmT3_T4_T5_T6_T7_T9_mT8_P12ihipStream_tbDpT10_ENKUlT_T0_E_clISt17integral_constantIbLb1EES1C_EEDaS17_S18_EUlS17_E_NS1_11comp_targetILNS1_3genE2ELNS1_11target_archE906ELNS1_3gpuE6ELNS1_3repE0EEENS1_30default_config_static_selectorELNS0_4arch9wavefront6targetE1EEEvT1_,"axG",@progbits,_ZN7rocprim17ROCPRIM_400000_NS6detail17trampoline_kernelINS0_14default_configENS1_25partition_config_selectorILNS1_17partition_subalgoE8ElNS0_10empty_typeEbEEZZNS1_14partition_implILS5_8ELb0ES3_jPlPS6_PKS6_NS0_5tupleIJS9_S6_EEENSD_IJSA_SA_EEENS0_18inequality_wrapperIZN2at6native12_GLOBAL__N_124unique_dim_cuda_templateItEESt5tupleIJNSH_6TensorESM_SM_EERKSM_lbbbEUlllE0_EEPmJS6_EEE10hipError_tPvRmT3_T4_T5_T6_T7_T9_mT8_P12ihipStream_tbDpT10_ENKUlT_T0_E_clISt17integral_constantIbLb1EES1C_EEDaS17_S18_EUlS17_E_NS1_11comp_targetILNS1_3genE2ELNS1_11target_archE906ELNS1_3gpuE6ELNS1_3repE0EEENS1_30default_config_static_selectorELNS0_4arch9wavefront6targetE1EEEvT1_,comdat
	.globl	_ZN7rocprim17ROCPRIM_400000_NS6detail17trampoline_kernelINS0_14default_configENS1_25partition_config_selectorILNS1_17partition_subalgoE8ElNS0_10empty_typeEbEEZZNS1_14partition_implILS5_8ELb0ES3_jPlPS6_PKS6_NS0_5tupleIJS9_S6_EEENSD_IJSA_SA_EEENS0_18inequality_wrapperIZN2at6native12_GLOBAL__N_124unique_dim_cuda_templateItEESt5tupleIJNSH_6TensorESM_SM_EERKSM_lbbbEUlllE0_EEPmJS6_EEE10hipError_tPvRmT3_T4_T5_T6_T7_T9_mT8_P12ihipStream_tbDpT10_ENKUlT_T0_E_clISt17integral_constantIbLb1EES1C_EEDaS17_S18_EUlS17_E_NS1_11comp_targetILNS1_3genE2ELNS1_11target_archE906ELNS1_3gpuE6ELNS1_3repE0EEENS1_30default_config_static_selectorELNS0_4arch9wavefront6targetE1EEEvT1_ ; -- Begin function _ZN7rocprim17ROCPRIM_400000_NS6detail17trampoline_kernelINS0_14default_configENS1_25partition_config_selectorILNS1_17partition_subalgoE8ElNS0_10empty_typeEbEEZZNS1_14partition_implILS5_8ELb0ES3_jPlPS6_PKS6_NS0_5tupleIJS9_S6_EEENSD_IJSA_SA_EEENS0_18inequality_wrapperIZN2at6native12_GLOBAL__N_124unique_dim_cuda_templateItEESt5tupleIJNSH_6TensorESM_SM_EERKSM_lbbbEUlllE0_EEPmJS6_EEE10hipError_tPvRmT3_T4_T5_T6_T7_T9_mT8_P12ihipStream_tbDpT10_ENKUlT_T0_E_clISt17integral_constantIbLb1EES1C_EEDaS17_S18_EUlS17_E_NS1_11comp_targetILNS1_3genE2ELNS1_11target_archE906ELNS1_3gpuE6ELNS1_3repE0EEENS1_30default_config_static_selectorELNS0_4arch9wavefront6targetE1EEEvT1_
	.p2align	8
	.type	_ZN7rocprim17ROCPRIM_400000_NS6detail17trampoline_kernelINS0_14default_configENS1_25partition_config_selectorILNS1_17partition_subalgoE8ElNS0_10empty_typeEbEEZZNS1_14partition_implILS5_8ELb0ES3_jPlPS6_PKS6_NS0_5tupleIJS9_S6_EEENSD_IJSA_SA_EEENS0_18inequality_wrapperIZN2at6native12_GLOBAL__N_124unique_dim_cuda_templateItEESt5tupleIJNSH_6TensorESM_SM_EERKSM_lbbbEUlllE0_EEPmJS6_EEE10hipError_tPvRmT3_T4_T5_T6_T7_T9_mT8_P12ihipStream_tbDpT10_ENKUlT_T0_E_clISt17integral_constantIbLb1EES1C_EEDaS17_S18_EUlS17_E_NS1_11comp_targetILNS1_3genE2ELNS1_11target_archE906ELNS1_3gpuE6ELNS1_3repE0EEENS1_30default_config_static_selectorELNS0_4arch9wavefront6targetE1EEEvT1_,@function
_ZN7rocprim17ROCPRIM_400000_NS6detail17trampoline_kernelINS0_14default_configENS1_25partition_config_selectorILNS1_17partition_subalgoE8ElNS0_10empty_typeEbEEZZNS1_14partition_implILS5_8ELb0ES3_jPlPS6_PKS6_NS0_5tupleIJS9_S6_EEENSD_IJSA_SA_EEENS0_18inequality_wrapperIZN2at6native12_GLOBAL__N_124unique_dim_cuda_templateItEESt5tupleIJNSH_6TensorESM_SM_EERKSM_lbbbEUlllE0_EEPmJS6_EEE10hipError_tPvRmT3_T4_T5_T6_T7_T9_mT8_P12ihipStream_tbDpT10_ENKUlT_T0_E_clISt17integral_constantIbLb1EES1C_EEDaS17_S18_EUlS17_E_NS1_11comp_targetILNS1_3genE2ELNS1_11target_archE906ELNS1_3gpuE6ELNS1_3repE0EEENS1_30default_config_static_selectorELNS0_4arch9wavefront6targetE1EEEvT1_: ; @_ZN7rocprim17ROCPRIM_400000_NS6detail17trampoline_kernelINS0_14default_configENS1_25partition_config_selectorILNS1_17partition_subalgoE8ElNS0_10empty_typeEbEEZZNS1_14partition_implILS5_8ELb0ES3_jPlPS6_PKS6_NS0_5tupleIJS9_S6_EEENSD_IJSA_SA_EEENS0_18inequality_wrapperIZN2at6native12_GLOBAL__N_124unique_dim_cuda_templateItEESt5tupleIJNSH_6TensorESM_SM_EERKSM_lbbbEUlllE0_EEPmJS6_EEE10hipError_tPvRmT3_T4_T5_T6_T7_T9_mT8_P12ihipStream_tbDpT10_ENKUlT_T0_E_clISt17integral_constantIbLb1EES1C_EEDaS17_S18_EUlS17_E_NS1_11comp_targetILNS1_3genE2ELNS1_11target_archE906ELNS1_3gpuE6ELNS1_3repE0EEENS1_30default_config_static_selectorELNS0_4arch9wavefront6targetE1EEEvT1_
; %bb.0:
	.section	.rodata,"a",@progbits
	.p2align	6, 0x0
	.amdhsa_kernel _ZN7rocprim17ROCPRIM_400000_NS6detail17trampoline_kernelINS0_14default_configENS1_25partition_config_selectorILNS1_17partition_subalgoE8ElNS0_10empty_typeEbEEZZNS1_14partition_implILS5_8ELb0ES3_jPlPS6_PKS6_NS0_5tupleIJS9_S6_EEENSD_IJSA_SA_EEENS0_18inequality_wrapperIZN2at6native12_GLOBAL__N_124unique_dim_cuda_templateItEESt5tupleIJNSH_6TensorESM_SM_EERKSM_lbbbEUlllE0_EEPmJS6_EEE10hipError_tPvRmT3_T4_T5_T6_T7_T9_mT8_P12ihipStream_tbDpT10_ENKUlT_T0_E_clISt17integral_constantIbLb1EES1C_EEDaS17_S18_EUlS17_E_NS1_11comp_targetILNS1_3genE2ELNS1_11target_archE906ELNS1_3gpuE6ELNS1_3repE0EEENS1_30default_config_static_selectorELNS0_4arch9wavefront6targetE1EEEvT1_
		.amdhsa_group_segment_fixed_size 0
		.amdhsa_private_segment_fixed_size 0
		.amdhsa_kernarg_size 136
		.amdhsa_user_sgpr_count 2
		.amdhsa_user_sgpr_dispatch_ptr 0
		.amdhsa_user_sgpr_queue_ptr 0
		.amdhsa_user_sgpr_kernarg_segment_ptr 1
		.amdhsa_user_sgpr_dispatch_id 0
		.amdhsa_user_sgpr_kernarg_preload_length 0
		.amdhsa_user_sgpr_kernarg_preload_offset 0
		.amdhsa_user_sgpr_private_segment_size 0
		.amdhsa_uses_dynamic_stack 0
		.amdhsa_enable_private_segment 0
		.amdhsa_system_sgpr_workgroup_id_x 1
		.amdhsa_system_sgpr_workgroup_id_y 0
		.amdhsa_system_sgpr_workgroup_id_z 0
		.amdhsa_system_sgpr_workgroup_info 0
		.amdhsa_system_vgpr_workitem_id 0
		.amdhsa_next_free_vgpr 1
		.amdhsa_next_free_sgpr 0
		.amdhsa_accum_offset 4
		.amdhsa_reserve_vcc 0
		.amdhsa_float_round_mode_32 0
		.amdhsa_float_round_mode_16_64 0
		.amdhsa_float_denorm_mode_32 3
		.amdhsa_float_denorm_mode_16_64 3
		.amdhsa_dx10_clamp 1
		.amdhsa_ieee_mode 1
		.amdhsa_fp16_overflow 0
		.amdhsa_tg_split 0
		.amdhsa_exception_fp_ieee_invalid_op 0
		.amdhsa_exception_fp_denorm_src 0
		.amdhsa_exception_fp_ieee_div_zero 0
		.amdhsa_exception_fp_ieee_overflow 0
		.amdhsa_exception_fp_ieee_underflow 0
		.amdhsa_exception_fp_ieee_inexact 0
		.amdhsa_exception_int_div_zero 0
	.end_amdhsa_kernel
	.section	.text._ZN7rocprim17ROCPRIM_400000_NS6detail17trampoline_kernelINS0_14default_configENS1_25partition_config_selectorILNS1_17partition_subalgoE8ElNS0_10empty_typeEbEEZZNS1_14partition_implILS5_8ELb0ES3_jPlPS6_PKS6_NS0_5tupleIJS9_S6_EEENSD_IJSA_SA_EEENS0_18inequality_wrapperIZN2at6native12_GLOBAL__N_124unique_dim_cuda_templateItEESt5tupleIJNSH_6TensorESM_SM_EERKSM_lbbbEUlllE0_EEPmJS6_EEE10hipError_tPvRmT3_T4_T5_T6_T7_T9_mT8_P12ihipStream_tbDpT10_ENKUlT_T0_E_clISt17integral_constantIbLb1EES1C_EEDaS17_S18_EUlS17_E_NS1_11comp_targetILNS1_3genE2ELNS1_11target_archE906ELNS1_3gpuE6ELNS1_3repE0EEENS1_30default_config_static_selectorELNS0_4arch9wavefront6targetE1EEEvT1_,"axG",@progbits,_ZN7rocprim17ROCPRIM_400000_NS6detail17trampoline_kernelINS0_14default_configENS1_25partition_config_selectorILNS1_17partition_subalgoE8ElNS0_10empty_typeEbEEZZNS1_14partition_implILS5_8ELb0ES3_jPlPS6_PKS6_NS0_5tupleIJS9_S6_EEENSD_IJSA_SA_EEENS0_18inequality_wrapperIZN2at6native12_GLOBAL__N_124unique_dim_cuda_templateItEESt5tupleIJNSH_6TensorESM_SM_EERKSM_lbbbEUlllE0_EEPmJS6_EEE10hipError_tPvRmT3_T4_T5_T6_T7_T9_mT8_P12ihipStream_tbDpT10_ENKUlT_T0_E_clISt17integral_constantIbLb1EES1C_EEDaS17_S18_EUlS17_E_NS1_11comp_targetILNS1_3genE2ELNS1_11target_archE906ELNS1_3gpuE6ELNS1_3repE0EEENS1_30default_config_static_selectorELNS0_4arch9wavefront6targetE1EEEvT1_,comdat
.Lfunc_end1431:
	.size	_ZN7rocprim17ROCPRIM_400000_NS6detail17trampoline_kernelINS0_14default_configENS1_25partition_config_selectorILNS1_17partition_subalgoE8ElNS0_10empty_typeEbEEZZNS1_14partition_implILS5_8ELb0ES3_jPlPS6_PKS6_NS0_5tupleIJS9_S6_EEENSD_IJSA_SA_EEENS0_18inequality_wrapperIZN2at6native12_GLOBAL__N_124unique_dim_cuda_templateItEESt5tupleIJNSH_6TensorESM_SM_EERKSM_lbbbEUlllE0_EEPmJS6_EEE10hipError_tPvRmT3_T4_T5_T6_T7_T9_mT8_P12ihipStream_tbDpT10_ENKUlT_T0_E_clISt17integral_constantIbLb1EES1C_EEDaS17_S18_EUlS17_E_NS1_11comp_targetILNS1_3genE2ELNS1_11target_archE906ELNS1_3gpuE6ELNS1_3repE0EEENS1_30default_config_static_selectorELNS0_4arch9wavefront6targetE1EEEvT1_, .Lfunc_end1431-_ZN7rocprim17ROCPRIM_400000_NS6detail17trampoline_kernelINS0_14default_configENS1_25partition_config_selectorILNS1_17partition_subalgoE8ElNS0_10empty_typeEbEEZZNS1_14partition_implILS5_8ELb0ES3_jPlPS6_PKS6_NS0_5tupleIJS9_S6_EEENSD_IJSA_SA_EEENS0_18inequality_wrapperIZN2at6native12_GLOBAL__N_124unique_dim_cuda_templateItEESt5tupleIJNSH_6TensorESM_SM_EERKSM_lbbbEUlllE0_EEPmJS6_EEE10hipError_tPvRmT3_T4_T5_T6_T7_T9_mT8_P12ihipStream_tbDpT10_ENKUlT_T0_E_clISt17integral_constantIbLb1EES1C_EEDaS17_S18_EUlS17_E_NS1_11comp_targetILNS1_3genE2ELNS1_11target_archE906ELNS1_3gpuE6ELNS1_3repE0EEENS1_30default_config_static_selectorELNS0_4arch9wavefront6targetE1EEEvT1_
                                        ; -- End function
	.set _ZN7rocprim17ROCPRIM_400000_NS6detail17trampoline_kernelINS0_14default_configENS1_25partition_config_selectorILNS1_17partition_subalgoE8ElNS0_10empty_typeEbEEZZNS1_14partition_implILS5_8ELb0ES3_jPlPS6_PKS6_NS0_5tupleIJS9_S6_EEENSD_IJSA_SA_EEENS0_18inequality_wrapperIZN2at6native12_GLOBAL__N_124unique_dim_cuda_templateItEESt5tupleIJNSH_6TensorESM_SM_EERKSM_lbbbEUlllE0_EEPmJS6_EEE10hipError_tPvRmT3_T4_T5_T6_T7_T9_mT8_P12ihipStream_tbDpT10_ENKUlT_T0_E_clISt17integral_constantIbLb1EES1C_EEDaS17_S18_EUlS17_E_NS1_11comp_targetILNS1_3genE2ELNS1_11target_archE906ELNS1_3gpuE6ELNS1_3repE0EEENS1_30default_config_static_selectorELNS0_4arch9wavefront6targetE1EEEvT1_.num_vgpr, 0
	.set _ZN7rocprim17ROCPRIM_400000_NS6detail17trampoline_kernelINS0_14default_configENS1_25partition_config_selectorILNS1_17partition_subalgoE8ElNS0_10empty_typeEbEEZZNS1_14partition_implILS5_8ELb0ES3_jPlPS6_PKS6_NS0_5tupleIJS9_S6_EEENSD_IJSA_SA_EEENS0_18inequality_wrapperIZN2at6native12_GLOBAL__N_124unique_dim_cuda_templateItEESt5tupleIJNSH_6TensorESM_SM_EERKSM_lbbbEUlllE0_EEPmJS6_EEE10hipError_tPvRmT3_T4_T5_T6_T7_T9_mT8_P12ihipStream_tbDpT10_ENKUlT_T0_E_clISt17integral_constantIbLb1EES1C_EEDaS17_S18_EUlS17_E_NS1_11comp_targetILNS1_3genE2ELNS1_11target_archE906ELNS1_3gpuE6ELNS1_3repE0EEENS1_30default_config_static_selectorELNS0_4arch9wavefront6targetE1EEEvT1_.num_agpr, 0
	.set _ZN7rocprim17ROCPRIM_400000_NS6detail17trampoline_kernelINS0_14default_configENS1_25partition_config_selectorILNS1_17partition_subalgoE8ElNS0_10empty_typeEbEEZZNS1_14partition_implILS5_8ELb0ES3_jPlPS6_PKS6_NS0_5tupleIJS9_S6_EEENSD_IJSA_SA_EEENS0_18inequality_wrapperIZN2at6native12_GLOBAL__N_124unique_dim_cuda_templateItEESt5tupleIJNSH_6TensorESM_SM_EERKSM_lbbbEUlllE0_EEPmJS6_EEE10hipError_tPvRmT3_T4_T5_T6_T7_T9_mT8_P12ihipStream_tbDpT10_ENKUlT_T0_E_clISt17integral_constantIbLb1EES1C_EEDaS17_S18_EUlS17_E_NS1_11comp_targetILNS1_3genE2ELNS1_11target_archE906ELNS1_3gpuE6ELNS1_3repE0EEENS1_30default_config_static_selectorELNS0_4arch9wavefront6targetE1EEEvT1_.numbered_sgpr, 0
	.set _ZN7rocprim17ROCPRIM_400000_NS6detail17trampoline_kernelINS0_14default_configENS1_25partition_config_selectorILNS1_17partition_subalgoE8ElNS0_10empty_typeEbEEZZNS1_14partition_implILS5_8ELb0ES3_jPlPS6_PKS6_NS0_5tupleIJS9_S6_EEENSD_IJSA_SA_EEENS0_18inequality_wrapperIZN2at6native12_GLOBAL__N_124unique_dim_cuda_templateItEESt5tupleIJNSH_6TensorESM_SM_EERKSM_lbbbEUlllE0_EEPmJS6_EEE10hipError_tPvRmT3_T4_T5_T6_T7_T9_mT8_P12ihipStream_tbDpT10_ENKUlT_T0_E_clISt17integral_constantIbLb1EES1C_EEDaS17_S18_EUlS17_E_NS1_11comp_targetILNS1_3genE2ELNS1_11target_archE906ELNS1_3gpuE6ELNS1_3repE0EEENS1_30default_config_static_selectorELNS0_4arch9wavefront6targetE1EEEvT1_.num_named_barrier, 0
	.set _ZN7rocprim17ROCPRIM_400000_NS6detail17trampoline_kernelINS0_14default_configENS1_25partition_config_selectorILNS1_17partition_subalgoE8ElNS0_10empty_typeEbEEZZNS1_14partition_implILS5_8ELb0ES3_jPlPS6_PKS6_NS0_5tupleIJS9_S6_EEENSD_IJSA_SA_EEENS0_18inequality_wrapperIZN2at6native12_GLOBAL__N_124unique_dim_cuda_templateItEESt5tupleIJNSH_6TensorESM_SM_EERKSM_lbbbEUlllE0_EEPmJS6_EEE10hipError_tPvRmT3_T4_T5_T6_T7_T9_mT8_P12ihipStream_tbDpT10_ENKUlT_T0_E_clISt17integral_constantIbLb1EES1C_EEDaS17_S18_EUlS17_E_NS1_11comp_targetILNS1_3genE2ELNS1_11target_archE906ELNS1_3gpuE6ELNS1_3repE0EEENS1_30default_config_static_selectorELNS0_4arch9wavefront6targetE1EEEvT1_.private_seg_size, 0
	.set _ZN7rocprim17ROCPRIM_400000_NS6detail17trampoline_kernelINS0_14default_configENS1_25partition_config_selectorILNS1_17partition_subalgoE8ElNS0_10empty_typeEbEEZZNS1_14partition_implILS5_8ELb0ES3_jPlPS6_PKS6_NS0_5tupleIJS9_S6_EEENSD_IJSA_SA_EEENS0_18inequality_wrapperIZN2at6native12_GLOBAL__N_124unique_dim_cuda_templateItEESt5tupleIJNSH_6TensorESM_SM_EERKSM_lbbbEUlllE0_EEPmJS6_EEE10hipError_tPvRmT3_T4_T5_T6_T7_T9_mT8_P12ihipStream_tbDpT10_ENKUlT_T0_E_clISt17integral_constantIbLb1EES1C_EEDaS17_S18_EUlS17_E_NS1_11comp_targetILNS1_3genE2ELNS1_11target_archE906ELNS1_3gpuE6ELNS1_3repE0EEENS1_30default_config_static_selectorELNS0_4arch9wavefront6targetE1EEEvT1_.uses_vcc, 0
	.set _ZN7rocprim17ROCPRIM_400000_NS6detail17trampoline_kernelINS0_14default_configENS1_25partition_config_selectorILNS1_17partition_subalgoE8ElNS0_10empty_typeEbEEZZNS1_14partition_implILS5_8ELb0ES3_jPlPS6_PKS6_NS0_5tupleIJS9_S6_EEENSD_IJSA_SA_EEENS0_18inequality_wrapperIZN2at6native12_GLOBAL__N_124unique_dim_cuda_templateItEESt5tupleIJNSH_6TensorESM_SM_EERKSM_lbbbEUlllE0_EEPmJS6_EEE10hipError_tPvRmT3_T4_T5_T6_T7_T9_mT8_P12ihipStream_tbDpT10_ENKUlT_T0_E_clISt17integral_constantIbLb1EES1C_EEDaS17_S18_EUlS17_E_NS1_11comp_targetILNS1_3genE2ELNS1_11target_archE906ELNS1_3gpuE6ELNS1_3repE0EEENS1_30default_config_static_selectorELNS0_4arch9wavefront6targetE1EEEvT1_.uses_flat_scratch, 0
	.set _ZN7rocprim17ROCPRIM_400000_NS6detail17trampoline_kernelINS0_14default_configENS1_25partition_config_selectorILNS1_17partition_subalgoE8ElNS0_10empty_typeEbEEZZNS1_14partition_implILS5_8ELb0ES3_jPlPS6_PKS6_NS0_5tupleIJS9_S6_EEENSD_IJSA_SA_EEENS0_18inequality_wrapperIZN2at6native12_GLOBAL__N_124unique_dim_cuda_templateItEESt5tupleIJNSH_6TensorESM_SM_EERKSM_lbbbEUlllE0_EEPmJS6_EEE10hipError_tPvRmT3_T4_T5_T6_T7_T9_mT8_P12ihipStream_tbDpT10_ENKUlT_T0_E_clISt17integral_constantIbLb1EES1C_EEDaS17_S18_EUlS17_E_NS1_11comp_targetILNS1_3genE2ELNS1_11target_archE906ELNS1_3gpuE6ELNS1_3repE0EEENS1_30default_config_static_selectorELNS0_4arch9wavefront6targetE1EEEvT1_.has_dyn_sized_stack, 0
	.set _ZN7rocprim17ROCPRIM_400000_NS6detail17trampoline_kernelINS0_14default_configENS1_25partition_config_selectorILNS1_17partition_subalgoE8ElNS0_10empty_typeEbEEZZNS1_14partition_implILS5_8ELb0ES3_jPlPS6_PKS6_NS0_5tupleIJS9_S6_EEENSD_IJSA_SA_EEENS0_18inequality_wrapperIZN2at6native12_GLOBAL__N_124unique_dim_cuda_templateItEESt5tupleIJNSH_6TensorESM_SM_EERKSM_lbbbEUlllE0_EEPmJS6_EEE10hipError_tPvRmT3_T4_T5_T6_T7_T9_mT8_P12ihipStream_tbDpT10_ENKUlT_T0_E_clISt17integral_constantIbLb1EES1C_EEDaS17_S18_EUlS17_E_NS1_11comp_targetILNS1_3genE2ELNS1_11target_archE906ELNS1_3gpuE6ELNS1_3repE0EEENS1_30default_config_static_selectorELNS0_4arch9wavefront6targetE1EEEvT1_.has_recursion, 0
	.set _ZN7rocprim17ROCPRIM_400000_NS6detail17trampoline_kernelINS0_14default_configENS1_25partition_config_selectorILNS1_17partition_subalgoE8ElNS0_10empty_typeEbEEZZNS1_14partition_implILS5_8ELb0ES3_jPlPS6_PKS6_NS0_5tupleIJS9_S6_EEENSD_IJSA_SA_EEENS0_18inequality_wrapperIZN2at6native12_GLOBAL__N_124unique_dim_cuda_templateItEESt5tupleIJNSH_6TensorESM_SM_EERKSM_lbbbEUlllE0_EEPmJS6_EEE10hipError_tPvRmT3_T4_T5_T6_T7_T9_mT8_P12ihipStream_tbDpT10_ENKUlT_T0_E_clISt17integral_constantIbLb1EES1C_EEDaS17_S18_EUlS17_E_NS1_11comp_targetILNS1_3genE2ELNS1_11target_archE906ELNS1_3gpuE6ELNS1_3repE0EEENS1_30default_config_static_selectorELNS0_4arch9wavefront6targetE1EEEvT1_.has_indirect_call, 0
	.section	.AMDGPU.csdata,"",@progbits
; Kernel info:
; codeLenInByte = 0
; TotalNumSgprs: 6
; NumVgprs: 0
; NumAgprs: 0
; TotalNumVgprs: 0
; ScratchSize: 0
; MemoryBound: 0
; FloatMode: 240
; IeeeMode: 1
; LDSByteSize: 0 bytes/workgroup (compile time only)
; SGPRBlocks: 0
; VGPRBlocks: 0
; NumSGPRsForWavesPerEU: 6
; NumVGPRsForWavesPerEU: 1
; AccumOffset: 4
; Occupancy: 8
; WaveLimiterHint : 0
; COMPUTE_PGM_RSRC2:SCRATCH_EN: 0
; COMPUTE_PGM_RSRC2:USER_SGPR: 2
; COMPUTE_PGM_RSRC2:TRAP_HANDLER: 0
; COMPUTE_PGM_RSRC2:TGID_X_EN: 1
; COMPUTE_PGM_RSRC2:TGID_Y_EN: 0
; COMPUTE_PGM_RSRC2:TGID_Z_EN: 0
; COMPUTE_PGM_RSRC2:TIDIG_COMP_CNT: 0
; COMPUTE_PGM_RSRC3_GFX90A:ACCUM_OFFSET: 0
; COMPUTE_PGM_RSRC3_GFX90A:TG_SPLIT: 0
	.section	.text._ZN7rocprim17ROCPRIM_400000_NS6detail17trampoline_kernelINS0_14default_configENS1_25partition_config_selectorILNS1_17partition_subalgoE8ElNS0_10empty_typeEbEEZZNS1_14partition_implILS5_8ELb0ES3_jPlPS6_PKS6_NS0_5tupleIJS9_S6_EEENSD_IJSA_SA_EEENS0_18inequality_wrapperIZN2at6native12_GLOBAL__N_124unique_dim_cuda_templateItEESt5tupleIJNSH_6TensorESM_SM_EERKSM_lbbbEUlllE0_EEPmJS6_EEE10hipError_tPvRmT3_T4_T5_T6_T7_T9_mT8_P12ihipStream_tbDpT10_ENKUlT_T0_E_clISt17integral_constantIbLb1EES1C_EEDaS17_S18_EUlS17_E_NS1_11comp_targetILNS1_3genE10ELNS1_11target_archE1200ELNS1_3gpuE4ELNS1_3repE0EEENS1_30default_config_static_selectorELNS0_4arch9wavefront6targetE1EEEvT1_,"axG",@progbits,_ZN7rocprim17ROCPRIM_400000_NS6detail17trampoline_kernelINS0_14default_configENS1_25partition_config_selectorILNS1_17partition_subalgoE8ElNS0_10empty_typeEbEEZZNS1_14partition_implILS5_8ELb0ES3_jPlPS6_PKS6_NS0_5tupleIJS9_S6_EEENSD_IJSA_SA_EEENS0_18inequality_wrapperIZN2at6native12_GLOBAL__N_124unique_dim_cuda_templateItEESt5tupleIJNSH_6TensorESM_SM_EERKSM_lbbbEUlllE0_EEPmJS6_EEE10hipError_tPvRmT3_T4_T5_T6_T7_T9_mT8_P12ihipStream_tbDpT10_ENKUlT_T0_E_clISt17integral_constantIbLb1EES1C_EEDaS17_S18_EUlS17_E_NS1_11comp_targetILNS1_3genE10ELNS1_11target_archE1200ELNS1_3gpuE4ELNS1_3repE0EEENS1_30default_config_static_selectorELNS0_4arch9wavefront6targetE1EEEvT1_,comdat
	.globl	_ZN7rocprim17ROCPRIM_400000_NS6detail17trampoline_kernelINS0_14default_configENS1_25partition_config_selectorILNS1_17partition_subalgoE8ElNS0_10empty_typeEbEEZZNS1_14partition_implILS5_8ELb0ES3_jPlPS6_PKS6_NS0_5tupleIJS9_S6_EEENSD_IJSA_SA_EEENS0_18inequality_wrapperIZN2at6native12_GLOBAL__N_124unique_dim_cuda_templateItEESt5tupleIJNSH_6TensorESM_SM_EERKSM_lbbbEUlllE0_EEPmJS6_EEE10hipError_tPvRmT3_T4_T5_T6_T7_T9_mT8_P12ihipStream_tbDpT10_ENKUlT_T0_E_clISt17integral_constantIbLb1EES1C_EEDaS17_S18_EUlS17_E_NS1_11comp_targetILNS1_3genE10ELNS1_11target_archE1200ELNS1_3gpuE4ELNS1_3repE0EEENS1_30default_config_static_selectorELNS0_4arch9wavefront6targetE1EEEvT1_ ; -- Begin function _ZN7rocprim17ROCPRIM_400000_NS6detail17trampoline_kernelINS0_14default_configENS1_25partition_config_selectorILNS1_17partition_subalgoE8ElNS0_10empty_typeEbEEZZNS1_14partition_implILS5_8ELb0ES3_jPlPS6_PKS6_NS0_5tupleIJS9_S6_EEENSD_IJSA_SA_EEENS0_18inequality_wrapperIZN2at6native12_GLOBAL__N_124unique_dim_cuda_templateItEESt5tupleIJNSH_6TensorESM_SM_EERKSM_lbbbEUlllE0_EEPmJS6_EEE10hipError_tPvRmT3_T4_T5_T6_T7_T9_mT8_P12ihipStream_tbDpT10_ENKUlT_T0_E_clISt17integral_constantIbLb1EES1C_EEDaS17_S18_EUlS17_E_NS1_11comp_targetILNS1_3genE10ELNS1_11target_archE1200ELNS1_3gpuE4ELNS1_3repE0EEENS1_30default_config_static_selectorELNS0_4arch9wavefront6targetE1EEEvT1_
	.p2align	8
	.type	_ZN7rocprim17ROCPRIM_400000_NS6detail17trampoline_kernelINS0_14default_configENS1_25partition_config_selectorILNS1_17partition_subalgoE8ElNS0_10empty_typeEbEEZZNS1_14partition_implILS5_8ELb0ES3_jPlPS6_PKS6_NS0_5tupleIJS9_S6_EEENSD_IJSA_SA_EEENS0_18inequality_wrapperIZN2at6native12_GLOBAL__N_124unique_dim_cuda_templateItEESt5tupleIJNSH_6TensorESM_SM_EERKSM_lbbbEUlllE0_EEPmJS6_EEE10hipError_tPvRmT3_T4_T5_T6_T7_T9_mT8_P12ihipStream_tbDpT10_ENKUlT_T0_E_clISt17integral_constantIbLb1EES1C_EEDaS17_S18_EUlS17_E_NS1_11comp_targetILNS1_3genE10ELNS1_11target_archE1200ELNS1_3gpuE4ELNS1_3repE0EEENS1_30default_config_static_selectorELNS0_4arch9wavefront6targetE1EEEvT1_,@function
_ZN7rocprim17ROCPRIM_400000_NS6detail17trampoline_kernelINS0_14default_configENS1_25partition_config_selectorILNS1_17partition_subalgoE8ElNS0_10empty_typeEbEEZZNS1_14partition_implILS5_8ELb0ES3_jPlPS6_PKS6_NS0_5tupleIJS9_S6_EEENSD_IJSA_SA_EEENS0_18inequality_wrapperIZN2at6native12_GLOBAL__N_124unique_dim_cuda_templateItEESt5tupleIJNSH_6TensorESM_SM_EERKSM_lbbbEUlllE0_EEPmJS6_EEE10hipError_tPvRmT3_T4_T5_T6_T7_T9_mT8_P12ihipStream_tbDpT10_ENKUlT_T0_E_clISt17integral_constantIbLb1EES1C_EEDaS17_S18_EUlS17_E_NS1_11comp_targetILNS1_3genE10ELNS1_11target_archE1200ELNS1_3gpuE4ELNS1_3repE0EEENS1_30default_config_static_selectorELNS0_4arch9wavefront6targetE1EEEvT1_: ; @_ZN7rocprim17ROCPRIM_400000_NS6detail17trampoline_kernelINS0_14default_configENS1_25partition_config_selectorILNS1_17partition_subalgoE8ElNS0_10empty_typeEbEEZZNS1_14partition_implILS5_8ELb0ES3_jPlPS6_PKS6_NS0_5tupleIJS9_S6_EEENSD_IJSA_SA_EEENS0_18inequality_wrapperIZN2at6native12_GLOBAL__N_124unique_dim_cuda_templateItEESt5tupleIJNSH_6TensorESM_SM_EERKSM_lbbbEUlllE0_EEPmJS6_EEE10hipError_tPvRmT3_T4_T5_T6_T7_T9_mT8_P12ihipStream_tbDpT10_ENKUlT_T0_E_clISt17integral_constantIbLb1EES1C_EEDaS17_S18_EUlS17_E_NS1_11comp_targetILNS1_3genE10ELNS1_11target_archE1200ELNS1_3gpuE4ELNS1_3repE0EEENS1_30default_config_static_selectorELNS0_4arch9wavefront6targetE1EEEvT1_
; %bb.0:
	.section	.rodata,"a",@progbits
	.p2align	6, 0x0
	.amdhsa_kernel _ZN7rocprim17ROCPRIM_400000_NS6detail17trampoline_kernelINS0_14default_configENS1_25partition_config_selectorILNS1_17partition_subalgoE8ElNS0_10empty_typeEbEEZZNS1_14partition_implILS5_8ELb0ES3_jPlPS6_PKS6_NS0_5tupleIJS9_S6_EEENSD_IJSA_SA_EEENS0_18inequality_wrapperIZN2at6native12_GLOBAL__N_124unique_dim_cuda_templateItEESt5tupleIJNSH_6TensorESM_SM_EERKSM_lbbbEUlllE0_EEPmJS6_EEE10hipError_tPvRmT3_T4_T5_T6_T7_T9_mT8_P12ihipStream_tbDpT10_ENKUlT_T0_E_clISt17integral_constantIbLb1EES1C_EEDaS17_S18_EUlS17_E_NS1_11comp_targetILNS1_3genE10ELNS1_11target_archE1200ELNS1_3gpuE4ELNS1_3repE0EEENS1_30default_config_static_selectorELNS0_4arch9wavefront6targetE1EEEvT1_
		.amdhsa_group_segment_fixed_size 0
		.amdhsa_private_segment_fixed_size 0
		.amdhsa_kernarg_size 136
		.amdhsa_user_sgpr_count 2
		.amdhsa_user_sgpr_dispatch_ptr 0
		.amdhsa_user_sgpr_queue_ptr 0
		.amdhsa_user_sgpr_kernarg_segment_ptr 1
		.amdhsa_user_sgpr_dispatch_id 0
		.amdhsa_user_sgpr_kernarg_preload_length 0
		.amdhsa_user_sgpr_kernarg_preload_offset 0
		.amdhsa_user_sgpr_private_segment_size 0
		.amdhsa_uses_dynamic_stack 0
		.amdhsa_enable_private_segment 0
		.amdhsa_system_sgpr_workgroup_id_x 1
		.amdhsa_system_sgpr_workgroup_id_y 0
		.amdhsa_system_sgpr_workgroup_id_z 0
		.amdhsa_system_sgpr_workgroup_info 0
		.amdhsa_system_vgpr_workitem_id 0
		.amdhsa_next_free_vgpr 1
		.amdhsa_next_free_sgpr 0
		.amdhsa_accum_offset 4
		.amdhsa_reserve_vcc 0
		.amdhsa_float_round_mode_32 0
		.amdhsa_float_round_mode_16_64 0
		.amdhsa_float_denorm_mode_32 3
		.amdhsa_float_denorm_mode_16_64 3
		.amdhsa_dx10_clamp 1
		.amdhsa_ieee_mode 1
		.amdhsa_fp16_overflow 0
		.amdhsa_tg_split 0
		.amdhsa_exception_fp_ieee_invalid_op 0
		.amdhsa_exception_fp_denorm_src 0
		.amdhsa_exception_fp_ieee_div_zero 0
		.amdhsa_exception_fp_ieee_overflow 0
		.amdhsa_exception_fp_ieee_underflow 0
		.amdhsa_exception_fp_ieee_inexact 0
		.amdhsa_exception_int_div_zero 0
	.end_amdhsa_kernel
	.section	.text._ZN7rocprim17ROCPRIM_400000_NS6detail17trampoline_kernelINS0_14default_configENS1_25partition_config_selectorILNS1_17partition_subalgoE8ElNS0_10empty_typeEbEEZZNS1_14partition_implILS5_8ELb0ES3_jPlPS6_PKS6_NS0_5tupleIJS9_S6_EEENSD_IJSA_SA_EEENS0_18inequality_wrapperIZN2at6native12_GLOBAL__N_124unique_dim_cuda_templateItEESt5tupleIJNSH_6TensorESM_SM_EERKSM_lbbbEUlllE0_EEPmJS6_EEE10hipError_tPvRmT3_T4_T5_T6_T7_T9_mT8_P12ihipStream_tbDpT10_ENKUlT_T0_E_clISt17integral_constantIbLb1EES1C_EEDaS17_S18_EUlS17_E_NS1_11comp_targetILNS1_3genE10ELNS1_11target_archE1200ELNS1_3gpuE4ELNS1_3repE0EEENS1_30default_config_static_selectorELNS0_4arch9wavefront6targetE1EEEvT1_,"axG",@progbits,_ZN7rocprim17ROCPRIM_400000_NS6detail17trampoline_kernelINS0_14default_configENS1_25partition_config_selectorILNS1_17partition_subalgoE8ElNS0_10empty_typeEbEEZZNS1_14partition_implILS5_8ELb0ES3_jPlPS6_PKS6_NS0_5tupleIJS9_S6_EEENSD_IJSA_SA_EEENS0_18inequality_wrapperIZN2at6native12_GLOBAL__N_124unique_dim_cuda_templateItEESt5tupleIJNSH_6TensorESM_SM_EERKSM_lbbbEUlllE0_EEPmJS6_EEE10hipError_tPvRmT3_T4_T5_T6_T7_T9_mT8_P12ihipStream_tbDpT10_ENKUlT_T0_E_clISt17integral_constantIbLb1EES1C_EEDaS17_S18_EUlS17_E_NS1_11comp_targetILNS1_3genE10ELNS1_11target_archE1200ELNS1_3gpuE4ELNS1_3repE0EEENS1_30default_config_static_selectorELNS0_4arch9wavefront6targetE1EEEvT1_,comdat
.Lfunc_end1432:
	.size	_ZN7rocprim17ROCPRIM_400000_NS6detail17trampoline_kernelINS0_14default_configENS1_25partition_config_selectorILNS1_17partition_subalgoE8ElNS0_10empty_typeEbEEZZNS1_14partition_implILS5_8ELb0ES3_jPlPS6_PKS6_NS0_5tupleIJS9_S6_EEENSD_IJSA_SA_EEENS0_18inequality_wrapperIZN2at6native12_GLOBAL__N_124unique_dim_cuda_templateItEESt5tupleIJNSH_6TensorESM_SM_EERKSM_lbbbEUlllE0_EEPmJS6_EEE10hipError_tPvRmT3_T4_T5_T6_T7_T9_mT8_P12ihipStream_tbDpT10_ENKUlT_T0_E_clISt17integral_constantIbLb1EES1C_EEDaS17_S18_EUlS17_E_NS1_11comp_targetILNS1_3genE10ELNS1_11target_archE1200ELNS1_3gpuE4ELNS1_3repE0EEENS1_30default_config_static_selectorELNS0_4arch9wavefront6targetE1EEEvT1_, .Lfunc_end1432-_ZN7rocprim17ROCPRIM_400000_NS6detail17trampoline_kernelINS0_14default_configENS1_25partition_config_selectorILNS1_17partition_subalgoE8ElNS0_10empty_typeEbEEZZNS1_14partition_implILS5_8ELb0ES3_jPlPS6_PKS6_NS0_5tupleIJS9_S6_EEENSD_IJSA_SA_EEENS0_18inequality_wrapperIZN2at6native12_GLOBAL__N_124unique_dim_cuda_templateItEESt5tupleIJNSH_6TensorESM_SM_EERKSM_lbbbEUlllE0_EEPmJS6_EEE10hipError_tPvRmT3_T4_T5_T6_T7_T9_mT8_P12ihipStream_tbDpT10_ENKUlT_T0_E_clISt17integral_constantIbLb1EES1C_EEDaS17_S18_EUlS17_E_NS1_11comp_targetILNS1_3genE10ELNS1_11target_archE1200ELNS1_3gpuE4ELNS1_3repE0EEENS1_30default_config_static_selectorELNS0_4arch9wavefront6targetE1EEEvT1_
                                        ; -- End function
	.set _ZN7rocprim17ROCPRIM_400000_NS6detail17trampoline_kernelINS0_14default_configENS1_25partition_config_selectorILNS1_17partition_subalgoE8ElNS0_10empty_typeEbEEZZNS1_14partition_implILS5_8ELb0ES3_jPlPS6_PKS6_NS0_5tupleIJS9_S6_EEENSD_IJSA_SA_EEENS0_18inequality_wrapperIZN2at6native12_GLOBAL__N_124unique_dim_cuda_templateItEESt5tupleIJNSH_6TensorESM_SM_EERKSM_lbbbEUlllE0_EEPmJS6_EEE10hipError_tPvRmT3_T4_T5_T6_T7_T9_mT8_P12ihipStream_tbDpT10_ENKUlT_T0_E_clISt17integral_constantIbLb1EES1C_EEDaS17_S18_EUlS17_E_NS1_11comp_targetILNS1_3genE10ELNS1_11target_archE1200ELNS1_3gpuE4ELNS1_3repE0EEENS1_30default_config_static_selectorELNS0_4arch9wavefront6targetE1EEEvT1_.num_vgpr, 0
	.set _ZN7rocprim17ROCPRIM_400000_NS6detail17trampoline_kernelINS0_14default_configENS1_25partition_config_selectorILNS1_17partition_subalgoE8ElNS0_10empty_typeEbEEZZNS1_14partition_implILS5_8ELb0ES3_jPlPS6_PKS6_NS0_5tupleIJS9_S6_EEENSD_IJSA_SA_EEENS0_18inequality_wrapperIZN2at6native12_GLOBAL__N_124unique_dim_cuda_templateItEESt5tupleIJNSH_6TensorESM_SM_EERKSM_lbbbEUlllE0_EEPmJS6_EEE10hipError_tPvRmT3_T4_T5_T6_T7_T9_mT8_P12ihipStream_tbDpT10_ENKUlT_T0_E_clISt17integral_constantIbLb1EES1C_EEDaS17_S18_EUlS17_E_NS1_11comp_targetILNS1_3genE10ELNS1_11target_archE1200ELNS1_3gpuE4ELNS1_3repE0EEENS1_30default_config_static_selectorELNS0_4arch9wavefront6targetE1EEEvT1_.num_agpr, 0
	.set _ZN7rocprim17ROCPRIM_400000_NS6detail17trampoline_kernelINS0_14default_configENS1_25partition_config_selectorILNS1_17partition_subalgoE8ElNS0_10empty_typeEbEEZZNS1_14partition_implILS5_8ELb0ES3_jPlPS6_PKS6_NS0_5tupleIJS9_S6_EEENSD_IJSA_SA_EEENS0_18inequality_wrapperIZN2at6native12_GLOBAL__N_124unique_dim_cuda_templateItEESt5tupleIJNSH_6TensorESM_SM_EERKSM_lbbbEUlllE0_EEPmJS6_EEE10hipError_tPvRmT3_T4_T5_T6_T7_T9_mT8_P12ihipStream_tbDpT10_ENKUlT_T0_E_clISt17integral_constantIbLb1EES1C_EEDaS17_S18_EUlS17_E_NS1_11comp_targetILNS1_3genE10ELNS1_11target_archE1200ELNS1_3gpuE4ELNS1_3repE0EEENS1_30default_config_static_selectorELNS0_4arch9wavefront6targetE1EEEvT1_.numbered_sgpr, 0
	.set _ZN7rocprim17ROCPRIM_400000_NS6detail17trampoline_kernelINS0_14default_configENS1_25partition_config_selectorILNS1_17partition_subalgoE8ElNS0_10empty_typeEbEEZZNS1_14partition_implILS5_8ELb0ES3_jPlPS6_PKS6_NS0_5tupleIJS9_S6_EEENSD_IJSA_SA_EEENS0_18inequality_wrapperIZN2at6native12_GLOBAL__N_124unique_dim_cuda_templateItEESt5tupleIJNSH_6TensorESM_SM_EERKSM_lbbbEUlllE0_EEPmJS6_EEE10hipError_tPvRmT3_T4_T5_T6_T7_T9_mT8_P12ihipStream_tbDpT10_ENKUlT_T0_E_clISt17integral_constantIbLb1EES1C_EEDaS17_S18_EUlS17_E_NS1_11comp_targetILNS1_3genE10ELNS1_11target_archE1200ELNS1_3gpuE4ELNS1_3repE0EEENS1_30default_config_static_selectorELNS0_4arch9wavefront6targetE1EEEvT1_.num_named_barrier, 0
	.set _ZN7rocprim17ROCPRIM_400000_NS6detail17trampoline_kernelINS0_14default_configENS1_25partition_config_selectorILNS1_17partition_subalgoE8ElNS0_10empty_typeEbEEZZNS1_14partition_implILS5_8ELb0ES3_jPlPS6_PKS6_NS0_5tupleIJS9_S6_EEENSD_IJSA_SA_EEENS0_18inequality_wrapperIZN2at6native12_GLOBAL__N_124unique_dim_cuda_templateItEESt5tupleIJNSH_6TensorESM_SM_EERKSM_lbbbEUlllE0_EEPmJS6_EEE10hipError_tPvRmT3_T4_T5_T6_T7_T9_mT8_P12ihipStream_tbDpT10_ENKUlT_T0_E_clISt17integral_constantIbLb1EES1C_EEDaS17_S18_EUlS17_E_NS1_11comp_targetILNS1_3genE10ELNS1_11target_archE1200ELNS1_3gpuE4ELNS1_3repE0EEENS1_30default_config_static_selectorELNS0_4arch9wavefront6targetE1EEEvT1_.private_seg_size, 0
	.set _ZN7rocprim17ROCPRIM_400000_NS6detail17trampoline_kernelINS0_14default_configENS1_25partition_config_selectorILNS1_17partition_subalgoE8ElNS0_10empty_typeEbEEZZNS1_14partition_implILS5_8ELb0ES3_jPlPS6_PKS6_NS0_5tupleIJS9_S6_EEENSD_IJSA_SA_EEENS0_18inequality_wrapperIZN2at6native12_GLOBAL__N_124unique_dim_cuda_templateItEESt5tupleIJNSH_6TensorESM_SM_EERKSM_lbbbEUlllE0_EEPmJS6_EEE10hipError_tPvRmT3_T4_T5_T6_T7_T9_mT8_P12ihipStream_tbDpT10_ENKUlT_T0_E_clISt17integral_constantIbLb1EES1C_EEDaS17_S18_EUlS17_E_NS1_11comp_targetILNS1_3genE10ELNS1_11target_archE1200ELNS1_3gpuE4ELNS1_3repE0EEENS1_30default_config_static_selectorELNS0_4arch9wavefront6targetE1EEEvT1_.uses_vcc, 0
	.set _ZN7rocprim17ROCPRIM_400000_NS6detail17trampoline_kernelINS0_14default_configENS1_25partition_config_selectorILNS1_17partition_subalgoE8ElNS0_10empty_typeEbEEZZNS1_14partition_implILS5_8ELb0ES3_jPlPS6_PKS6_NS0_5tupleIJS9_S6_EEENSD_IJSA_SA_EEENS0_18inequality_wrapperIZN2at6native12_GLOBAL__N_124unique_dim_cuda_templateItEESt5tupleIJNSH_6TensorESM_SM_EERKSM_lbbbEUlllE0_EEPmJS6_EEE10hipError_tPvRmT3_T4_T5_T6_T7_T9_mT8_P12ihipStream_tbDpT10_ENKUlT_T0_E_clISt17integral_constantIbLb1EES1C_EEDaS17_S18_EUlS17_E_NS1_11comp_targetILNS1_3genE10ELNS1_11target_archE1200ELNS1_3gpuE4ELNS1_3repE0EEENS1_30default_config_static_selectorELNS0_4arch9wavefront6targetE1EEEvT1_.uses_flat_scratch, 0
	.set _ZN7rocprim17ROCPRIM_400000_NS6detail17trampoline_kernelINS0_14default_configENS1_25partition_config_selectorILNS1_17partition_subalgoE8ElNS0_10empty_typeEbEEZZNS1_14partition_implILS5_8ELb0ES3_jPlPS6_PKS6_NS0_5tupleIJS9_S6_EEENSD_IJSA_SA_EEENS0_18inequality_wrapperIZN2at6native12_GLOBAL__N_124unique_dim_cuda_templateItEESt5tupleIJNSH_6TensorESM_SM_EERKSM_lbbbEUlllE0_EEPmJS6_EEE10hipError_tPvRmT3_T4_T5_T6_T7_T9_mT8_P12ihipStream_tbDpT10_ENKUlT_T0_E_clISt17integral_constantIbLb1EES1C_EEDaS17_S18_EUlS17_E_NS1_11comp_targetILNS1_3genE10ELNS1_11target_archE1200ELNS1_3gpuE4ELNS1_3repE0EEENS1_30default_config_static_selectorELNS0_4arch9wavefront6targetE1EEEvT1_.has_dyn_sized_stack, 0
	.set _ZN7rocprim17ROCPRIM_400000_NS6detail17trampoline_kernelINS0_14default_configENS1_25partition_config_selectorILNS1_17partition_subalgoE8ElNS0_10empty_typeEbEEZZNS1_14partition_implILS5_8ELb0ES3_jPlPS6_PKS6_NS0_5tupleIJS9_S6_EEENSD_IJSA_SA_EEENS0_18inequality_wrapperIZN2at6native12_GLOBAL__N_124unique_dim_cuda_templateItEESt5tupleIJNSH_6TensorESM_SM_EERKSM_lbbbEUlllE0_EEPmJS6_EEE10hipError_tPvRmT3_T4_T5_T6_T7_T9_mT8_P12ihipStream_tbDpT10_ENKUlT_T0_E_clISt17integral_constantIbLb1EES1C_EEDaS17_S18_EUlS17_E_NS1_11comp_targetILNS1_3genE10ELNS1_11target_archE1200ELNS1_3gpuE4ELNS1_3repE0EEENS1_30default_config_static_selectorELNS0_4arch9wavefront6targetE1EEEvT1_.has_recursion, 0
	.set _ZN7rocprim17ROCPRIM_400000_NS6detail17trampoline_kernelINS0_14default_configENS1_25partition_config_selectorILNS1_17partition_subalgoE8ElNS0_10empty_typeEbEEZZNS1_14partition_implILS5_8ELb0ES3_jPlPS6_PKS6_NS0_5tupleIJS9_S6_EEENSD_IJSA_SA_EEENS0_18inequality_wrapperIZN2at6native12_GLOBAL__N_124unique_dim_cuda_templateItEESt5tupleIJNSH_6TensorESM_SM_EERKSM_lbbbEUlllE0_EEPmJS6_EEE10hipError_tPvRmT3_T4_T5_T6_T7_T9_mT8_P12ihipStream_tbDpT10_ENKUlT_T0_E_clISt17integral_constantIbLb1EES1C_EEDaS17_S18_EUlS17_E_NS1_11comp_targetILNS1_3genE10ELNS1_11target_archE1200ELNS1_3gpuE4ELNS1_3repE0EEENS1_30default_config_static_selectorELNS0_4arch9wavefront6targetE1EEEvT1_.has_indirect_call, 0
	.section	.AMDGPU.csdata,"",@progbits
; Kernel info:
; codeLenInByte = 0
; TotalNumSgprs: 6
; NumVgprs: 0
; NumAgprs: 0
; TotalNumVgprs: 0
; ScratchSize: 0
; MemoryBound: 0
; FloatMode: 240
; IeeeMode: 1
; LDSByteSize: 0 bytes/workgroup (compile time only)
; SGPRBlocks: 0
; VGPRBlocks: 0
; NumSGPRsForWavesPerEU: 6
; NumVGPRsForWavesPerEU: 1
; AccumOffset: 4
; Occupancy: 8
; WaveLimiterHint : 0
; COMPUTE_PGM_RSRC2:SCRATCH_EN: 0
; COMPUTE_PGM_RSRC2:USER_SGPR: 2
; COMPUTE_PGM_RSRC2:TRAP_HANDLER: 0
; COMPUTE_PGM_RSRC2:TGID_X_EN: 1
; COMPUTE_PGM_RSRC2:TGID_Y_EN: 0
; COMPUTE_PGM_RSRC2:TGID_Z_EN: 0
; COMPUTE_PGM_RSRC2:TIDIG_COMP_CNT: 0
; COMPUTE_PGM_RSRC3_GFX90A:ACCUM_OFFSET: 0
; COMPUTE_PGM_RSRC3_GFX90A:TG_SPLIT: 0
	.section	.text._ZN7rocprim17ROCPRIM_400000_NS6detail17trampoline_kernelINS0_14default_configENS1_25partition_config_selectorILNS1_17partition_subalgoE8ElNS0_10empty_typeEbEEZZNS1_14partition_implILS5_8ELb0ES3_jPlPS6_PKS6_NS0_5tupleIJS9_S6_EEENSD_IJSA_SA_EEENS0_18inequality_wrapperIZN2at6native12_GLOBAL__N_124unique_dim_cuda_templateItEESt5tupleIJNSH_6TensorESM_SM_EERKSM_lbbbEUlllE0_EEPmJS6_EEE10hipError_tPvRmT3_T4_T5_T6_T7_T9_mT8_P12ihipStream_tbDpT10_ENKUlT_T0_E_clISt17integral_constantIbLb1EES1C_EEDaS17_S18_EUlS17_E_NS1_11comp_targetILNS1_3genE9ELNS1_11target_archE1100ELNS1_3gpuE3ELNS1_3repE0EEENS1_30default_config_static_selectorELNS0_4arch9wavefront6targetE1EEEvT1_,"axG",@progbits,_ZN7rocprim17ROCPRIM_400000_NS6detail17trampoline_kernelINS0_14default_configENS1_25partition_config_selectorILNS1_17partition_subalgoE8ElNS0_10empty_typeEbEEZZNS1_14partition_implILS5_8ELb0ES3_jPlPS6_PKS6_NS0_5tupleIJS9_S6_EEENSD_IJSA_SA_EEENS0_18inequality_wrapperIZN2at6native12_GLOBAL__N_124unique_dim_cuda_templateItEESt5tupleIJNSH_6TensorESM_SM_EERKSM_lbbbEUlllE0_EEPmJS6_EEE10hipError_tPvRmT3_T4_T5_T6_T7_T9_mT8_P12ihipStream_tbDpT10_ENKUlT_T0_E_clISt17integral_constantIbLb1EES1C_EEDaS17_S18_EUlS17_E_NS1_11comp_targetILNS1_3genE9ELNS1_11target_archE1100ELNS1_3gpuE3ELNS1_3repE0EEENS1_30default_config_static_selectorELNS0_4arch9wavefront6targetE1EEEvT1_,comdat
	.globl	_ZN7rocprim17ROCPRIM_400000_NS6detail17trampoline_kernelINS0_14default_configENS1_25partition_config_selectorILNS1_17partition_subalgoE8ElNS0_10empty_typeEbEEZZNS1_14partition_implILS5_8ELb0ES3_jPlPS6_PKS6_NS0_5tupleIJS9_S6_EEENSD_IJSA_SA_EEENS0_18inequality_wrapperIZN2at6native12_GLOBAL__N_124unique_dim_cuda_templateItEESt5tupleIJNSH_6TensorESM_SM_EERKSM_lbbbEUlllE0_EEPmJS6_EEE10hipError_tPvRmT3_T4_T5_T6_T7_T9_mT8_P12ihipStream_tbDpT10_ENKUlT_T0_E_clISt17integral_constantIbLb1EES1C_EEDaS17_S18_EUlS17_E_NS1_11comp_targetILNS1_3genE9ELNS1_11target_archE1100ELNS1_3gpuE3ELNS1_3repE0EEENS1_30default_config_static_selectorELNS0_4arch9wavefront6targetE1EEEvT1_ ; -- Begin function _ZN7rocprim17ROCPRIM_400000_NS6detail17trampoline_kernelINS0_14default_configENS1_25partition_config_selectorILNS1_17partition_subalgoE8ElNS0_10empty_typeEbEEZZNS1_14partition_implILS5_8ELb0ES3_jPlPS6_PKS6_NS0_5tupleIJS9_S6_EEENSD_IJSA_SA_EEENS0_18inequality_wrapperIZN2at6native12_GLOBAL__N_124unique_dim_cuda_templateItEESt5tupleIJNSH_6TensorESM_SM_EERKSM_lbbbEUlllE0_EEPmJS6_EEE10hipError_tPvRmT3_T4_T5_T6_T7_T9_mT8_P12ihipStream_tbDpT10_ENKUlT_T0_E_clISt17integral_constantIbLb1EES1C_EEDaS17_S18_EUlS17_E_NS1_11comp_targetILNS1_3genE9ELNS1_11target_archE1100ELNS1_3gpuE3ELNS1_3repE0EEENS1_30default_config_static_selectorELNS0_4arch9wavefront6targetE1EEEvT1_
	.p2align	8
	.type	_ZN7rocprim17ROCPRIM_400000_NS6detail17trampoline_kernelINS0_14default_configENS1_25partition_config_selectorILNS1_17partition_subalgoE8ElNS0_10empty_typeEbEEZZNS1_14partition_implILS5_8ELb0ES3_jPlPS6_PKS6_NS0_5tupleIJS9_S6_EEENSD_IJSA_SA_EEENS0_18inequality_wrapperIZN2at6native12_GLOBAL__N_124unique_dim_cuda_templateItEESt5tupleIJNSH_6TensorESM_SM_EERKSM_lbbbEUlllE0_EEPmJS6_EEE10hipError_tPvRmT3_T4_T5_T6_T7_T9_mT8_P12ihipStream_tbDpT10_ENKUlT_T0_E_clISt17integral_constantIbLb1EES1C_EEDaS17_S18_EUlS17_E_NS1_11comp_targetILNS1_3genE9ELNS1_11target_archE1100ELNS1_3gpuE3ELNS1_3repE0EEENS1_30default_config_static_selectorELNS0_4arch9wavefront6targetE1EEEvT1_,@function
_ZN7rocprim17ROCPRIM_400000_NS6detail17trampoline_kernelINS0_14default_configENS1_25partition_config_selectorILNS1_17partition_subalgoE8ElNS0_10empty_typeEbEEZZNS1_14partition_implILS5_8ELb0ES3_jPlPS6_PKS6_NS0_5tupleIJS9_S6_EEENSD_IJSA_SA_EEENS0_18inequality_wrapperIZN2at6native12_GLOBAL__N_124unique_dim_cuda_templateItEESt5tupleIJNSH_6TensorESM_SM_EERKSM_lbbbEUlllE0_EEPmJS6_EEE10hipError_tPvRmT3_T4_T5_T6_T7_T9_mT8_P12ihipStream_tbDpT10_ENKUlT_T0_E_clISt17integral_constantIbLb1EES1C_EEDaS17_S18_EUlS17_E_NS1_11comp_targetILNS1_3genE9ELNS1_11target_archE1100ELNS1_3gpuE3ELNS1_3repE0EEENS1_30default_config_static_selectorELNS0_4arch9wavefront6targetE1EEEvT1_: ; @_ZN7rocprim17ROCPRIM_400000_NS6detail17trampoline_kernelINS0_14default_configENS1_25partition_config_selectorILNS1_17partition_subalgoE8ElNS0_10empty_typeEbEEZZNS1_14partition_implILS5_8ELb0ES3_jPlPS6_PKS6_NS0_5tupleIJS9_S6_EEENSD_IJSA_SA_EEENS0_18inequality_wrapperIZN2at6native12_GLOBAL__N_124unique_dim_cuda_templateItEESt5tupleIJNSH_6TensorESM_SM_EERKSM_lbbbEUlllE0_EEPmJS6_EEE10hipError_tPvRmT3_T4_T5_T6_T7_T9_mT8_P12ihipStream_tbDpT10_ENKUlT_T0_E_clISt17integral_constantIbLb1EES1C_EEDaS17_S18_EUlS17_E_NS1_11comp_targetILNS1_3genE9ELNS1_11target_archE1100ELNS1_3gpuE3ELNS1_3repE0EEENS1_30default_config_static_selectorELNS0_4arch9wavefront6targetE1EEEvT1_
; %bb.0:
	.section	.rodata,"a",@progbits
	.p2align	6, 0x0
	.amdhsa_kernel _ZN7rocprim17ROCPRIM_400000_NS6detail17trampoline_kernelINS0_14default_configENS1_25partition_config_selectorILNS1_17partition_subalgoE8ElNS0_10empty_typeEbEEZZNS1_14partition_implILS5_8ELb0ES3_jPlPS6_PKS6_NS0_5tupleIJS9_S6_EEENSD_IJSA_SA_EEENS0_18inequality_wrapperIZN2at6native12_GLOBAL__N_124unique_dim_cuda_templateItEESt5tupleIJNSH_6TensorESM_SM_EERKSM_lbbbEUlllE0_EEPmJS6_EEE10hipError_tPvRmT3_T4_T5_T6_T7_T9_mT8_P12ihipStream_tbDpT10_ENKUlT_T0_E_clISt17integral_constantIbLb1EES1C_EEDaS17_S18_EUlS17_E_NS1_11comp_targetILNS1_3genE9ELNS1_11target_archE1100ELNS1_3gpuE3ELNS1_3repE0EEENS1_30default_config_static_selectorELNS0_4arch9wavefront6targetE1EEEvT1_
		.amdhsa_group_segment_fixed_size 0
		.amdhsa_private_segment_fixed_size 0
		.amdhsa_kernarg_size 136
		.amdhsa_user_sgpr_count 2
		.amdhsa_user_sgpr_dispatch_ptr 0
		.amdhsa_user_sgpr_queue_ptr 0
		.amdhsa_user_sgpr_kernarg_segment_ptr 1
		.amdhsa_user_sgpr_dispatch_id 0
		.amdhsa_user_sgpr_kernarg_preload_length 0
		.amdhsa_user_sgpr_kernarg_preload_offset 0
		.amdhsa_user_sgpr_private_segment_size 0
		.amdhsa_uses_dynamic_stack 0
		.amdhsa_enable_private_segment 0
		.amdhsa_system_sgpr_workgroup_id_x 1
		.amdhsa_system_sgpr_workgroup_id_y 0
		.amdhsa_system_sgpr_workgroup_id_z 0
		.amdhsa_system_sgpr_workgroup_info 0
		.amdhsa_system_vgpr_workitem_id 0
		.amdhsa_next_free_vgpr 1
		.amdhsa_next_free_sgpr 0
		.amdhsa_accum_offset 4
		.amdhsa_reserve_vcc 0
		.amdhsa_float_round_mode_32 0
		.amdhsa_float_round_mode_16_64 0
		.amdhsa_float_denorm_mode_32 3
		.amdhsa_float_denorm_mode_16_64 3
		.amdhsa_dx10_clamp 1
		.amdhsa_ieee_mode 1
		.amdhsa_fp16_overflow 0
		.amdhsa_tg_split 0
		.amdhsa_exception_fp_ieee_invalid_op 0
		.amdhsa_exception_fp_denorm_src 0
		.amdhsa_exception_fp_ieee_div_zero 0
		.amdhsa_exception_fp_ieee_overflow 0
		.amdhsa_exception_fp_ieee_underflow 0
		.amdhsa_exception_fp_ieee_inexact 0
		.amdhsa_exception_int_div_zero 0
	.end_amdhsa_kernel
	.section	.text._ZN7rocprim17ROCPRIM_400000_NS6detail17trampoline_kernelINS0_14default_configENS1_25partition_config_selectorILNS1_17partition_subalgoE8ElNS0_10empty_typeEbEEZZNS1_14partition_implILS5_8ELb0ES3_jPlPS6_PKS6_NS0_5tupleIJS9_S6_EEENSD_IJSA_SA_EEENS0_18inequality_wrapperIZN2at6native12_GLOBAL__N_124unique_dim_cuda_templateItEESt5tupleIJNSH_6TensorESM_SM_EERKSM_lbbbEUlllE0_EEPmJS6_EEE10hipError_tPvRmT3_T4_T5_T6_T7_T9_mT8_P12ihipStream_tbDpT10_ENKUlT_T0_E_clISt17integral_constantIbLb1EES1C_EEDaS17_S18_EUlS17_E_NS1_11comp_targetILNS1_3genE9ELNS1_11target_archE1100ELNS1_3gpuE3ELNS1_3repE0EEENS1_30default_config_static_selectorELNS0_4arch9wavefront6targetE1EEEvT1_,"axG",@progbits,_ZN7rocprim17ROCPRIM_400000_NS6detail17trampoline_kernelINS0_14default_configENS1_25partition_config_selectorILNS1_17partition_subalgoE8ElNS0_10empty_typeEbEEZZNS1_14partition_implILS5_8ELb0ES3_jPlPS6_PKS6_NS0_5tupleIJS9_S6_EEENSD_IJSA_SA_EEENS0_18inequality_wrapperIZN2at6native12_GLOBAL__N_124unique_dim_cuda_templateItEESt5tupleIJNSH_6TensorESM_SM_EERKSM_lbbbEUlllE0_EEPmJS6_EEE10hipError_tPvRmT3_T4_T5_T6_T7_T9_mT8_P12ihipStream_tbDpT10_ENKUlT_T0_E_clISt17integral_constantIbLb1EES1C_EEDaS17_S18_EUlS17_E_NS1_11comp_targetILNS1_3genE9ELNS1_11target_archE1100ELNS1_3gpuE3ELNS1_3repE0EEENS1_30default_config_static_selectorELNS0_4arch9wavefront6targetE1EEEvT1_,comdat
.Lfunc_end1433:
	.size	_ZN7rocprim17ROCPRIM_400000_NS6detail17trampoline_kernelINS0_14default_configENS1_25partition_config_selectorILNS1_17partition_subalgoE8ElNS0_10empty_typeEbEEZZNS1_14partition_implILS5_8ELb0ES3_jPlPS6_PKS6_NS0_5tupleIJS9_S6_EEENSD_IJSA_SA_EEENS0_18inequality_wrapperIZN2at6native12_GLOBAL__N_124unique_dim_cuda_templateItEESt5tupleIJNSH_6TensorESM_SM_EERKSM_lbbbEUlllE0_EEPmJS6_EEE10hipError_tPvRmT3_T4_T5_T6_T7_T9_mT8_P12ihipStream_tbDpT10_ENKUlT_T0_E_clISt17integral_constantIbLb1EES1C_EEDaS17_S18_EUlS17_E_NS1_11comp_targetILNS1_3genE9ELNS1_11target_archE1100ELNS1_3gpuE3ELNS1_3repE0EEENS1_30default_config_static_selectorELNS0_4arch9wavefront6targetE1EEEvT1_, .Lfunc_end1433-_ZN7rocprim17ROCPRIM_400000_NS6detail17trampoline_kernelINS0_14default_configENS1_25partition_config_selectorILNS1_17partition_subalgoE8ElNS0_10empty_typeEbEEZZNS1_14partition_implILS5_8ELb0ES3_jPlPS6_PKS6_NS0_5tupleIJS9_S6_EEENSD_IJSA_SA_EEENS0_18inequality_wrapperIZN2at6native12_GLOBAL__N_124unique_dim_cuda_templateItEESt5tupleIJNSH_6TensorESM_SM_EERKSM_lbbbEUlllE0_EEPmJS6_EEE10hipError_tPvRmT3_T4_T5_T6_T7_T9_mT8_P12ihipStream_tbDpT10_ENKUlT_T0_E_clISt17integral_constantIbLb1EES1C_EEDaS17_S18_EUlS17_E_NS1_11comp_targetILNS1_3genE9ELNS1_11target_archE1100ELNS1_3gpuE3ELNS1_3repE0EEENS1_30default_config_static_selectorELNS0_4arch9wavefront6targetE1EEEvT1_
                                        ; -- End function
	.set _ZN7rocprim17ROCPRIM_400000_NS6detail17trampoline_kernelINS0_14default_configENS1_25partition_config_selectorILNS1_17partition_subalgoE8ElNS0_10empty_typeEbEEZZNS1_14partition_implILS5_8ELb0ES3_jPlPS6_PKS6_NS0_5tupleIJS9_S6_EEENSD_IJSA_SA_EEENS0_18inequality_wrapperIZN2at6native12_GLOBAL__N_124unique_dim_cuda_templateItEESt5tupleIJNSH_6TensorESM_SM_EERKSM_lbbbEUlllE0_EEPmJS6_EEE10hipError_tPvRmT3_T4_T5_T6_T7_T9_mT8_P12ihipStream_tbDpT10_ENKUlT_T0_E_clISt17integral_constantIbLb1EES1C_EEDaS17_S18_EUlS17_E_NS1_11comp_targetILNS1_3genE9ELNS1_11target_archE1100ELNS1_3gpuE3ELNS1_3repE0EEENS1_30default_config_static_selectorELNS0_4arch9wavefront6targetE1EEEvT1_.num_vgpr, 0
	.set _ZN7rocprim17ROCPRIM_400000_NS6detail17trampoline_kernelINS0_14default_configENS1_25partition_config_selectorILNS1_17partition_subalgoE8ElNS0_10empty_typeEbEEZZNS1_14partition_implILS5_8ELb0ES3_jPlPS6_PKS6_NS0_5tupleIJS9_S6_EEENSD_IJSA_SA_EEENS0_18inequality_wrapperIZN2at6native12_GLOBAL__N_124unique_dim_cuda_templateItEESt5tupleIJNSH_6TensorESM_SM_EERKSM_lbbbEUlllE0_EEPmJS6_EEE10hipError_tPvRmT3_T4_T5_T6_T7_T9_mT8_P12ihipStream_tbDpT10_ENKUlT_T0_E_clISt17integral_constantIbLb1EES1C_EEDaS17_S18_EUlS17_E_NS1_11comp_targetILNS1_3genE9ELNS1_11target_archE1100ELNS1_3gpuE3ELNS1_3repE0EEENS1_30default_config_static_selectorELNS0_4arch9wavefront6targetE1EEEvT1_.num_agpr, 0
	.set _ZN7rocprim17ROCPRIM_400000_NS6detail17trampoline_kernelINS0_14default_configENS1_25partition_config_selectorILNS1_17partition_subalgoE8ElNS0_10empty_typeEbEEZZNS1_14partition_implILS5_8ELb0ES3_jPlPS6_PKS6_NS0_5tupleIJS9_S6_EEENSD_IJSA_SA_EEENS0_18inequality_wrapperIZN2at6native12_GLOBAL__N_124unique_dim_cuda_templateItEESt5tupleIJNSH_6TensorESM_SM_EERKSM_lbbbEUlllE0_EEPmJS6_EEE10hipError_tPvRmT3_T4_T5_T6_T7_T9_mT8_P12ihipStream_tbDpT10_ENKUlT_T0_E_clISt17integral_constantIbLb1EES1C_EEDaS17_S18_EUlS17_E_NS1_11comp_targetILNS1_3genE9ELNS1_11target_archE1100ELNS1_3gpuE3ELNS1_3repE0EEENS1_30default_config_static_selectorELNS0_4arch9wavefront6targetE1EEEvT1_.numbered_sgpr, 0
	.set _ZN7rocprim17ROCPRIM_400000_NS6detail17trampoline_kernelINS0_14default_configENS1_25partition_config_selectorILNS1_17partition_subalgoE8ElNS0_10empty_typeEbEEZZNS1_14partition_implILS5_8ELb0ES3_jPlPS6_PKS6_NS0_5tupleIJS9_S6_EEENSD_IJSA_SA_EEENS0_18inequality_wrapperIZN2at6native12_GLOBAL__N_124unique_dim_cuda_templateItEESt5tupleIJNSH_6TensorESM_SM_EERKSM_lbbbEUlllE0_EEPmJS6_EEE10hipError_tPvRmT3_T4_T5_T6_T7_T9_mT8_P12ihipStream_tbDpT10_ENKUlT_T0_E_clISt17integral_constantIbLb1EES1C_EEDaS17_S18_EUlS17_E_NS1_11comp_targetILNS1_3genE9ELNS1_11target_archE1100ELNS1_3gpuE3ELNS1_3repE0EEENS1_30default_config_static_selectorELNS0_4arch9wavefront6targetE1EEEvT1_.num_named_barrier, 0
	.set _ZN7rocprim17ROCPRIM_400000_NS6detail17trampoline_kernelINS0_14default_configENS1_25partition_config_selectorILNS1_17partition_subalgoE8ElNS0_10empty_typeEbEEZZNS1_14partition_implILS5_8ELb0ES3_jPlPS6_PKS6_NS0_5tupleIJS9_S6_EEENSD_IJSA_SA_EEENS0_18inequality_wrapperIZN2at6native12_GLOBAL__N_124unique_dim_cuda_templateItEESt5tupleIJNSH_6TensorESM_SM_EERKSM_lbbbEUlllE0_EEPmJS6_EEE10hipError_tPvRmT3_T4_T5_T6_T7_T9_mT8_P12ihipStream_tbDpT10_ENKUlT_T0_E_clISt17integral_constantIbLb1EES1C_EEDaS17_S18_EUlS17_E_NS1_11comp_targetILNS1_3genE9ELNS1_11target_archE1100ELNS1_3gpuE3ELNS1_3repE0EEENS1_30default_config_static_selectorELNS0_4arch9wavefront6targetE1EEEvT1_.private_seg_size, 0
	.set _ZN7rocprim17ROCPRIM_400000_NS6detail17trampoline_kernelINS0_14default_configENS1_25partition_config_selectorILNS1_17partition_subalgoE8ElNS0_10empty_typeEbEEZZNS1_14partition_implILS5_8ELb0ES3_jPlPS6_PKS6_NS0_5tupleIJS9_S6_EEENSD_IJSA_SA_EEENS0_18inequality_wrapperIZN2at6native12_GLOBAL__N_124unique_dim_cuda_templateItEESt5tupleIJNSH_6TensorESM_SM_EERKSM_lbbbEUlllE0_EEPmJS6_EEE10hipError_tPvRmT3_T4_T5_T6_T7_T9_mT8_P12ihipStream_tbDpT10_ENKUlT_T0_E_clISt17integral_constantIbLb1EES1C_EEDaS17_S18_EUlS17_E_NS1_11comp_targetILNS1_3genE9ELNS1_11target_archE1100ELNS1_3gpuE3ELNS1_3repE0EEENS1_30default_config_static_selectorELNS0_4arch9wavefront6targetE1EEEvT1_.uses_vcc, 0
	.set _ZN7rocprim17ROCPRIM_400000_NS6detail17trampoline_kernelINS0_14default_configENS1_25partition_config_selectorILNS1_17partition_subalgoE8ElNS0_10empty_typeEbEEZZNS1_14partition_implILS5_8ELb0ES3_jPlPS6_PKS6_NS0_5tupleIJS9_S6_EEENSD_IJSA_SA_EEENS0_18inequality_wrapperIZN2at6native12_GLOBAL__N_124unique_dim_cuda_templateItEESt5tupleIJNSH_6TensorESM_SM_EERKSM_lbbbEUlllE0_EEPmJS6_EEE10hipError_tPvRmT3_T4_T5_T6_T7_T9_mT8_P12ihipStream_tbDpT10_ENKUlT_T0_E_clISt17integral_constantIbLb1EES1C_EEDaS17_S18_EUlS17_E_NS1_11comp_targetILNS1_3genE9ELNS1_11target_archE1100ELNS1_3gpuE3ELNS1_3repE0EEENS1_30default_config_static_selectorELNS0_4arch9wavefront6targetE1EEEvT1_.uses_flat_scratch, 0
	.set _ZN7rocprim17ROCPRIM_400000_NS6detail17trampoline_kernelINS0_14default_configENS1_25partition_config_selectorILNS1_17partition_subalgoE8ElNS0_10empty_typeEbEEZZNS1_14partition_implILS5_8ELb0ES3_jPlPS6_PKS6_NS0_5tupleIJS9_S6_EEENSD_IJSA_SA_EEENS0_18inequality_wrapperIZN2at6native12_GLOBAL__N_124unique_dim_cuda_templateItEESt5tupleIJNSH_6TensorESM_SM_EERKSM_lbbbEUlllE0_EEPmJS6_EEE10hipError_tPvRmT3_T4_T5_T6_T7_T9_mT8_P12ihipStream_tbDpT10_ENKUlT_T0_E_clISt17integral_constantIbLb1EES1C_EEDaS17_S18_EUlS17_E_NS1_11comp_targetILNS1_3genE9ELNS1_11target_archE1100ELNS1_3gpuE3ELNS1_3repE0EEENS1_30default_config_static_selectorELNS0_4arch9wavefront6targetE1EEEvT1_.has_dyn_sized_stack, 0
	.set _ZN7rocprim17ROCPRIM_400000_NS6detail17trampoline_kernelINS0_14default_configENS1_25partition_config_selectorILNS1_17partition_subalgoE8ElNS0_10empty_typeEbEEZZNS1_14partition_implILS5_8ELb0ES3_jPlPS6_PKS6_NS0_5tupleIJS9_S6_EEENSD_IJSA_SA_EEENS0_18inequality_wrapperIZN2at6native12_GLOBAL__N_124unique_dim_cuda_templateItEESt5tupleIJNSH_6TensorESM_SM_EERKSM_lbbbEUlllE0_EEPmJS6_EEE10hipError_tPvRmT3_T4_T5_T6_T7_T9_mT8_P12ihipStream_tbDpT10_ENKUlT_T0_E_clISt17integral_constantIbLb1EES1C_EEDaS17_S18_EUlS17_E_NS1_11comp_targetILNS1_3genE9ELNS1_11target_archE1100ELNS1_3gpuE3ELNS1_3repE0EEENS1_30default_config_static_selectorELNS0_4arch9wavefront6targetE1EEEvT1_.has_recursion, 0
	.set _ZN7rocprim17ROCPRIM_400000_NS6detail17trampoline_kernelINS0_14default_configENS1_25partition_config_selectorILNS1_17partition_subalgoE8ElNS0_10empty_typeEbEEZZNS1_14partition_implILS5_8ELb0ES3_jPlPS6_PKS6_NS0_5tupleIJS9_S6_EEENSD_IJSA_SA_EEENS0_18inequality_wrapperIZN2at6native12_GLOBAL__N_124unique_dim_cuda_templateItEESt5tupleIJNSH_6TensorESM_SM_EERKSM_lbbbEUlllE0_EEPmJS6_EEE10hipError_tPvRmT3_T4_T5_T6_T7_T9_mT8_P12ihipStream_tbDpT10_ENKUlT_T0_E_clISt17integral_constantIbLb1EES1C_EEDaS17_S18_EUlS17_E_NS1_11comp_targetILNS1_3genE9ELNS1_11target_archE1100ELNS1_3gpuE3ELNS1_3repE0EEENS1_30default_config_static_selectorELNS0_4arch9wavefront6targetE1EEEvT1_.has_indirect_call, 0
	.section	.AMDGPU.csdata,"",@progbits
; Kernel info:
; codeLenInByte = 0
; TotalNumSgprs: 6
; NumVgprs: 0
; NumAgprs: 0
; TotalNumVgprs: 0
; ScratchSize: 0
; MemoryBound: 0
; FloatMode: 240
; IeeeMode: 1
; LDSByteSize: 0 bytes/workgroup (compile time only)
; SGPRBlocks: 0
; VGPRBlocks: 0
; NumSGPRsForWavesPerEU: 6
; NumVGPRsForWavesPerEU: 1
; AccumOffset: 4
; Occupancy: 8
; WaveLimiterHint : 0
; COMPUTE_PGM_RSRC2:SCRATCH_EN: 0
; COMPUTE_PGM_RSRC2:USER_SGPR: 2
; COMPUTE_PGM_RSRC2:TRAP_HANDLER: 0
; COMPUTE_PGM_RSRC2:TGID_X_EN: 1
; COMPUTE_PGM_RSRC2:TGID_Y_EN: 0
; COMPUTE_PGM_RSRC2:TGID_Z_EN: 0
; COMPUTE_PGM_RSRC2:TIDIG_COMP_CNT: 0
; COMPUTE_PGM_RSRC3_GFX90A:ACCUM_OFFSET: 0
; COMPUTE_PGM_RSRC3_GFX90A:TG_SPLIT: 0
	.section	.text._ZN7rocprim17ROCPRIM_400000_NS6detail17trampoline_kernelINS0_14default_configENS1_25partition_config_selectorILNS1_17partition_subalgoE8ElNS0_10empty_typeEbEEZZNS1_14partition_implILS5_8ELb0ES3_jPlPS6_PKS6_NS0_5tupleIJS9_S6_EEENSD_IJSA_SA_EEENS0_18inequality_wrapperIZN2at6native12_GLOBAL__N_124unique_dim_cuda_templateItEESt5tupleIJNSH_6TensorESM_SM_EERKSM_lbbbEUlllE0_EEPmJS6_EEE10hipError_tPvRmT3_T4_T5_T6_T7_T9_mT8_P12ihipStream_tbDpT10_ENKUlT_T0_E_clISt17integral_constantIbLb1EES1C_EEDaS17_S18_EUlS17_E_NS1_11comp_targetILNS1_3genE8ELNS1_11target_archE1030ELNS1_3gpuE2ELNS1_3repE0EEENS1_30default_config_static_selectorELNS0_4arch9wavefront6targetE1EEEvT1_,"axG",@progbits,_ZN7rocprim17ROCPRIM_400000_NS6detail17trampoline_kernelINS0_14default_configENS1_25partition_config_selectorILNS1_17partition_subalgoE8ElNS0_10empty_typeEbEEZZNS1_14partition_implILS5_8ELb0ES3_jPlPS6_PKS6_NS0_5tupleIJS9_S6_EEENSD_IJSA_SA_EEENS0_18inequality_wrapperIZN2at6native12_GLOBAL__N_124unique_dim_cuda_templateItEESt5tupleIJNSH_6TensorESM_SM_EERKSM_lbbbEUlllE0_EEPmJS6_EEE10hipError_tPvRmT3_T4_T5_T6_T7_T9_mT8_P12ihipStream_tbDpT10_ENKUlT_T0_E_clISt17integral_constantIbLb1EES1C_EEDaS17_S18_EUlS17_E_NS1_11comp_targetILNS1_3genE8ELNS1_11target_archE1030ELNS1_3gpuE2ELNS1_3repE0EEENS1_30default_config_static_selectorELNS0_4arch9wavefront6targetE1EEEvT1_,comdat
	.globl	_ZN7rocprim17ROCPRIM_400000_NS6detail17trampoline_kernelINS0_14default_configENS1_25partition_config_selectorILNS1_17partition_subalgoE8ElNS0_10empty_typeEbEEZZNS1_14partition_implILS5_8ELb0ES3_jPlPS6_PKS6_NS0_5tupleIJS9_S6_EEENSD_IJSA_SA_EEENS0_18inequality_wrapperIZN2at6native12_GLOBAL__N_124unique_dim_cuda_templateItEESt5tupleIJNSH_6TensorESM_SM_EERKSM_lbbbEUlllE0_EEPmJS6_EEE10hipError_tPvRmT3_T4_T5_T6_T7_T9_mT8_P12ihipStream_tbDpT10_ENKUlT_T0_E_clISt17integral_constantIbLb1EES1C_EEDaS17_S18_EUlS17_E_NS1_11comp_targetILNS1_3genE8ELNS1_11target_archE1030ELNS1_3gpuE2ELNS1_3repE0EEENS1_30default_config_static_selectorELNS0_4arch9wavefront6targetE1EEEvT1_ ; -- Begin function _ZN7rocprim17ROCPRIM_400000_NS6detail17trampoline_kernelINS0_14default_configENS1_25partition_config_selectorILNS1_17partition_subalgoE8ElNS0_10empty_typeEbEEZZNS1_14partition_implILS5_8ELb0ES3_jPlPS6_PKS6_NS0_5tupleIJS9_S6_EEENSD_IJSA_SA_EEENS0_18inequality_wrapperIZN2at6native12_GLOBAL__N_124unique_dim_cuda_templateItEESt5tupleIJNSH_6TensorESM_SM_EERKSM_lbbbEUlllE0_EEPmJS6_EEE10hipError_tPvRmT3_T4_T5_T6_T7_T9_mT8_P12ihipStream_tbDpT10_ENKUlT_T0_E_clISt17integral_constantIbLb1EES1C_EEDaS17_S18_EUlS17_E_NS1_11comp_targetILNS1_3genE8ELNS1_11target_archE1030ELNS1_3gpuE2ELNS1_3repE0EEENS1_30default_config_static_selectorELNS0_4arch9wavefront6targetE1EEEvT1_
	.p2align	8
	.type	_ZN7rocprim17ROCPRIM_400000_NS6detail17trampoline_kernelINS0_14default_configENS1_25partition_config_selectorILNS1_17partition_subalgoE8ElNS0_10empty_typeEbEEZZNS1_14partition_implILS5_8ELb0ES3_jPlPS6_PKS6_NS0_5tupleIJS9_S6_EEENSD_IJSA_SA_EEENS0_18inequality_wrapperIZN2at6native12_GLOBAL__N_124unique_dim_cuda_templateItEESt5tupleIJNSH_6TensorESM_SM_EERKSM_lbbbEUlllE0_EEPmJS6_EEE10hipError_tPvRmT3_T4_T5_T6_T7_T9_mT8_P12ihipStream_tbDpT10_ENKUlT_T0_E_clISt17integral_constantIbLb1EES1C_EEDaS17_S18_EUlS17_E_NS1_11comp_targetILNS1_3genE8ELNS1_11target_archE1030ELNS1_3gpuE2ELNS1_3repE0EEENS1_30default_config_static_selectorELNS0_4arch9wavefront6targetE1EEEvT1_,@function
_ZN7rocprim17ROCPRIM_400000_NS6detail17trampoline_kernelINS0_14default_configENS1_25partition_config_selectorILNS1_17partition_subalgoE8ElNS0_10empty_typeEbEEZZNS1_14partition_implILS5_8ELb0ES3_jPlPS6_PKS6_NS0_5tupleIJS9_S6_EEENSD_IJSA_SA_EEENS0_18inequality_wrapperIZN2at6native12_GLOBAL__N_124unique_dim_cuda_templateItEESt5tupleIJNSH_6TensorESM_SM_EERKSM_lbbbEUlllE0_EEPmJS6_EEE10hipError_tPvRmT3_T4_T5_T6_T7_T9_mT8_P12ihipStream_tbDpT10_ENKUlT_T0_E_clISt17integral_constantIbLb1EES1C_EEDaS17_S18_EUlS17_E_NS1_11comp_targetILNS1_3genE8ELNS1_11target_archE1030ELNS1_3gpuE2ELNS1_3repE0EEENS1_30default_config_static_selectorELNS0_4arch9wavefront6targetE1EEEvT1_: ; @_ZN7rocprim17ROCPRIM_400000_NS6detail17trampoline_kernelINS0_14default_configENS1_25partition_config_selectorILNS1_17partition_subalgoE8ElNS0_10empty_typeEbEEZZNS1_14partition_implILS5_8ELb0ES3_jPlPS6_PKS6_NS0_5tupleIJS9_S6_EEENSD_IJSA_SA_EEENS0_18inequality_wrapperIZN2at6native12_GLOBAL__N_124unique_dim_cuda_templateItEESt5tupleIJNSH_6TensorESM_SM_EERKSM_lbbbEUlllE0_EEPmJS6_EEE10hipError_tPvRmT3_T4_T5_T6_T7_T9_mT8_P12ihipStream_tbDpT10_ENKUlT_T0_E_clISt17integral_constantIbLb1EES1C_EEDaS17_S18_EUlS17_E_NS1_11comp_targetILNS1_3genE8ELNS1_11target_archE1030ELNS1_3gpuE2ELNS1_3repE0EEENS1_30default_config_static_selectorELNS0_4arch9wavefront6targetE1EEEvT1_
; %bb.0:
	.section	.rodata,"a",@progbits
	.p2align	6, 0x0
	.amdhsa_kernel _ZN7rocprim17ROCPRIM_400000_NS6detail17trampoline_kernelINS0_14default_configENS1_25partition_config_selectorILNS1_17partition_subalgoE8ElNS0_10empty_typeEbEEZZNS1_14partition_implILS5_8ELb0ES3_jPlPS6_PKS6_NS0_5tupleIJS9_S6_EEENSD_IJSA_SA_EEENS0_18inequality_wrapperIZN2at6native12_GLOBAL__N_124unique_dim_cuda_templateItEESt5tupleIJNSH_6TensorESM_SM_EERKSM_lbbbEUlllE0_EEPmJS6_EEE10hipError_tPvRmT3_T4_T5_T6_T7_T9_mT8_P12ihipStream_tbDpT10_ENKUlT_T0_E_clISt17integral_constantIbLb1EES1C_EEDaS17_S18_EUlS17_E_NS1_11comp_targetILNS1_3genE8ELNS1_11target_archE1030ELNS1_3gpuE2ELNS1_3repE0EEENS1_30default_config_static_selectorELNS0_4arch9wavefront6targetE1EEEvT1_
		.amdhsa_group_segment_fixed_size 0
		.amdhsa_private_segment_fixed_size 0
		.amdhsa_kernarg_size 136
		.amdhsa_user_sgpr_count 2
		.amdhsa_user_sgpr_dispatch_ptr 0
		.amdhsa_user_sgpr_queue_ptr 0
		.amdhsa_user_sgpr_kernarg_segment_ptr 1
		.amdhsa_user_sgpr_dispatch_id 0
		.amdhsa_user_sgpr_kernarg_preload_length 0
		.amdhsa_user_sgpr_kernarg_preload_offset 0
		.amdhsa_user_sgpr_private_segment_size 0
		.amdhsa_uses_dynamic_stack 0
		.amdhsa_enable_private_segment 0
		.amdhsa_system_sgpr_workgroup_id_x 1
		.amdhsa_system_sgpr_workgroup_id_y 0
		.amdhsa_system_sgpr_workgroup_id_z 0
		.amdhsa_system_sgpr_workgroup_info 0
		.amdhsa_system_vgpr_workitem_id 0
		.amdhsa_next_free_vgpr 1
		.amdhsa_next_free_sgpr 0
		.amdhsa_accum_offset 4
		.amdhsa_reserve_vcc 0
		.amdhsa_float_round_mode_32 0
		.amdhsa_float_round_mode_16_64 0
		.amdhsa_float_denorm_mode_32 3
		.amdhsa_float_denorm_mode_16_64 3
		.amdhsa_dx10_clamp 1
		.amdhsa_ieee_mode 1
		.amdhsa_fp16_overflow 0
		.amdhsa_tg_split 0
		.amdhsa_exception_fp_ieee_invalid_op 0
		.amdhsa_exception_fp_denorm_src 0
		.amdhsa_exception_fp_ieee_div_zero 0
		.amdhsa_exception_fp_ieee_overflow 0
		.amdhsa_exception_fp_ieee_underflow 0
		.amdhsa_exception_fp_ieee_inexact 0
		.amdhsa_exception_int_div_zero 0
	.end_amdhsa_kernel
	.section	.text._ZN7rocprim17ROCPRIM_400000_NS6detail17trampoline_kernelINS0_14default_configENS1_25partition_config_selectorILNS1_17partition_subalgoE8ElNS0_10empty_typeEbEEZZNS1_14partition_implILS5_8ELb0ES3_jPlPS6_PKS6_NS0_5tupleIJS9_S6_EEENSD_IJSA_SA_EEENS0_18inequality_wrapperIZN2at6native12_GLOBAL__N_124unique_dim_cuda_templateItEESt5tupleIJNSH_6TensorESM_SM_EERKSM_lbbbEUlllE0_EEPmJS6_EEE10hipError_tPvRmT3_T4_T5_T6_T7_T9_mT8_P12ihipStream_tbDpT10_ENKUlT_T0_E_clISt17integral_constantIbLb1EES1C_EEDaS17_S18_EUlS17_E_NS1_11comp_targetILNS1_3genE8ELNS1_11target_archE1030ELNS1_3gpuE2ELNS1_3repE0EEENS1_30default_config_static_selectorELNS0_4arch9wavefront6targetE1EEEvT1_,"axG",@progbits,_ZN7rocprim17ROCPRIM_400000_NS6detail17trampoline_kernelINS0_14default_configENS1_25partition_config_selectorILNS1_17partition_subalgoE8ElNS0_10empty_typeEbEEZZNS1_14partition_implILS5_8ELb0ES3_jPlPS6_PKS6_NS0_5tupleIJS9_S6_EEENSD_IJSA_SA_EEENS0_18inequality_wrapperIZN2at6native12_GLOBAL__N_124unique_dim_cuda_templateItEESt5tupleIJNSH_6TensorESM_SM_EERKSM_lbbbEUlllE0_EEPmJS6_EEE10hipError_tPvRmT3_T4_T5_T6_T7_T9_mT8_P12ihipStream_tbDpT10_ENKUlT_T0_E_clISt17integral_constantIbLb1EES1C_EEDaS17_S18_EUlS17_E_NS1_11comp_targetILNS1_3genE8ELNS1_11target_archE1030ELNS1_3gpuE2ELNS1_3repE0EEENS1_30default_config_static_selectorELNS0_4arch9wavefront6targetE1EEEvT1_,comdat
.Lfunc_end1434:
	.size	_ZN7rocprim17ROCPRIM_400000_NS6detail17trampoline_kernelINS0_14default_configENS1_25partition_config_selectorILNS1_17partition_subalgoE8ElNS0_10empty_typeEbEEZZNS1_14partition_implILS5_8ELb0ES3_jPlPS6_PKS6_NS0_5tupleIJS9_S6_EEENSD_IJSA_SA_EEENS0_18inequality_wrapperIZN2at6native12_GLOBAL__N_124unique_dim_cuda_templateItEESt5tupleIJNSH_6TensorESM_SM_EERKSM_lbbbEUlllE0_EEPmJS6_EEE10hipError_tPvRmT3_T4_T5_T6_T7_T9_mT8_P12ihipStream_tbDpT10_ENKUlT_T0_E_clISt17integral_constantIbLb1EES1C_EEDaS17_S18_EUlS17_E_NS1_11comp_targetILNS1_3genE8ELNS1_11target_archE1030ELNS1_3gpuE2ELNS1_3repE0EEENS1_30default_config_static_selectorELNS0_4arch9wavefront6targetE1EEEvT1_, .Lfunc_end1434-_ZN7rocprim17ROCPRIM_400000_NS6detail17trampoline_kernelINS0_14default_configENS1_25partition_config_selectorILNS1_17partition_subalgoE8ElNS0_10empty_typeEbEEZZNS1_14partition_implILS5_8ELb0ES3_jPlPS6_PKS6_NS0_5tupleIJS9_S6_EEENSD_IJSA_SA_EEENS0_18inequality_wrapperIZN2at6native12_GLOBAL__N_124unique_dim_cuda_templateItEESt5tupleIJNSH_6TensorESM_SM_EERKSM_lbbbEUlllE0_EEPmJS6_EEE10hipError_tPvRmT3_T4_T5_T6_T7_T9_mT8_P12ihipStream_tbDpT10_ENKUlT_T0_E_clISt17integral_constantIbLb1EES1C_EEDaS17_S18_EUlS17_E_NS1_11comp_targetILNS1_3genE8ELNS1_11target_archE1030ELNS1_3gpuE2ELNS1_3repE0EEENS1_30default_config_static_selectorELNS0_4arch9wavefront6targetE1EEEvT1_
                                        ; -- End function
	.set _ZN7rocprim17ROCPRIM_400000_NS6detail17trampoline_kernelINS0_14default_configENS1_25partition_config_selectorILNS1_17partition_subalgoE8ElNS0_10empty_typeEbEEZZNS1_14partition_implILS5_8ELb0ES3_jPlPS6_PKS6_NS0_5tupleIJS9_S6_EEENSD_IJSA_SA_EEENS0_18inequality_wrapperIZN2at6native12_GLOBAL__N_124unique_dim_cuda_templateItEESt5tupleIJNSH_6TensorESM_SM_EERKSM_lbbbEUlllE0_EEPmJS6_EEE10hipError_tPvRmT3_T4_T5_T6_T7_T9_mT8_P12ihipStream_tbDpT10_ENKUlT_T0_E_clISt17integral_constantIbLb1EES1C_EEDaS17_S18_EUlS17_E_NS1_11comp_targetILNS1_3genE8ELNS1_11target_archE1030ELNS1_3gpuE2ELNS1_3repE0EEENS1_30default_config_static_selectorELNS0_4arch9wavefront6targetE1EEEvT1_.num_vgpr, 0
	.set _ZN7rocprim17ROCPRIM_400000_NS6detail17trampoline_kernelINS0_14default_configENS1_25partition_config_selectorILNS1_17partition_subalgoE8ElNS0_10empty_typeEbEEZZNS1_14partition_implILS5_8ELb0ES3_jPlPS6_PKS6_NS0_5tupleIJS9_S6_EEENSD_IJSA_SA_EEENS0_18inequality_wrapperIZN2at6native12_GLOBAL__N_124unique_dim_cuda_templateItEESt5tupleIJNSH_6TensorESM_SM_EERKSM_lbbbEUlllE0_EEPmJS6_EEE10hipError_tPvRmT3_T4_T5_T6_T7_T9_mT8_P12ihipStream_tbDpT10_ENKUlT_T0_E_clISt17integral_constantIbLb1EES1C_EEDaS17_S18_EUlS17_E_NS1_11comp_targetILNS1_3genE8ELNS1_11target_archE1030ELNS1_3gpuE2ELNS1_3repE0EEENS1_30default_config_static_selectorELNS0_4arch9wavefront6targetE1EEEvT1_.num_agpr, 0
	.set _ZN7rocprim17ROCPRIM_400000_NS6detail17trampoline_kernelINS0_14default_configENS1_25partition_config_selectorILNS1_17partition_subalgoE8ElNS0_10empty_typeEbEEZZNS1_14partition_implILS5_8ELb0ES3_jPlPS6_PKS6_NS0_5tupleIJS9_S6_EEENSD_IJSA_SA_EEENS0_18inequality_wrapperIZN2at6native12_GLOBAL__N_124unique_dim_cuda_templateItEESt5tupleIJNSH_6TensorESM_SM_EERKSM_lbbbEUlllE0_EEPmJS6_EEE10hipError_tPvRmT3_T4_T5_T6_T7_T9_mT8_P12ihipStream_tbDpT10_ENKUlT_T0_E_clISt17integral_constantIbLb1EES1C_EEDaS17_S18_EUlS17_E_NS1_11comp_targetILNS1_3genE8ELNS1_11target_archE1030ELNS1_3gpuE2ELNS1_3repE0EEENS1_30default_config_static_selectorELNS0_4arch9wavefront6targetE1EEEvT1_.numbered_sgpr, 0
	.set _ZN7rocprim17ROCPRIM_400000_NS6detail17trampoline_kernelINS0_14default_configENS1_25partition_config_selectorILNS1_17partition_subalgoE8ElNS0_10empty_typeEbEEZZNS1_14partition_implILS5_8ELb0ES3_jPlPS6_PKS6_NS0_5tupleIJS9_S6_EEENSD_IJSA_SA_EEENS0_18inequality_wrapperIZN2at6native12_GLOBAL__N_124unique_dim_cuda_templateItEESt5tupleIJNSH_6TensorESM_SM_EERKSM_lbbbEUlllE0_EEPmJS6_EEE10hipError_tPvRmT3_T4_T5_T6_T7_T9_mT8_P12ihipStream_tbDpT10_ENKUlT_T0_E_clISt17integral_constantIbLb1EES1C_EEDaS17_S18_EUlS17_E_NS1_11comp_targetILNS1_3genE8ELNS1_11target_archE1030ELNS1_3gpuE2ELNS1_3repE0EEENS1_30default_config_static_selectorELNS0_4arch9wavefront6targetE1EEEvT1_.num_named_barrier, 0
	.set _ZN7rocprim17ROCPRIM_400000_NS6detail17trampoline_kernelINS0_14default_configENS1_25partition_config_selectorILNS1_17partition_subalgoE8ElNS0_10empty_typeEbEEZZNS1_14partition_implILS5_8ELb0ES3_jPlPS6_PKS6_NS0_5tupleIJS9_S6_EEENSD_IJSA_SA_EEENS0_18inequality_wrapperIZN2at6native12_GLOBAL__N_124unique_dim_cuda_templateItEESt5tupleIJNSH_6TensorESM_SM_EERKSM_lbbbEUlllE0_EEPmJS6_EEE10hipError_tPvRmT3_T4_T5_T6_T7_T9_mT8_P12ihipStream_tbDpT10_ENKUlT_T0_E_clISt17integral_constantIbLb1EES1C_EEDaS17_S18_EUlS17_E_NS1_11comp_targetILNS1_3genE8ELNS1_11target_archE1030ELNS1_3gpuE2ELNS1_3repE0EEENS1_30default_config_static_selectorELNS0_4arch9wavefront6targetE1EEEvT1_.private_seg_size, 0
	.set _ZN7rocprim17ROCPRIM_400000_NS6detail17trampoline_kernelINS0_14default_configENS1_25partition_config_selectorILNS1_17partition_subalgoE8ElNS0_10empty_typeEbEEZZNS1_14partition_implILS5_8ELb0ES3_jPlPS6_PKS6_NS0_5tupleIJS9_S6_EEENSD_IJSA_SA_EEENS0_18inequality_wrapperIZN2at6native12_GLOBAL__N_124unique_dim_cuda_templateItEESt5tupleIJNSH_6TensorESM_SM_EERKSM_lbbbEUlllE0_EEPmJS6_EEE10hipError_tPvRmT3_T4_T5_T6_T7_T9_mT8_P12ihipStream_tbDpT10_ENKUlT_T0_E_clISt17integral_constantIbLb1EES1C_EEDaS17_S18_EUlS17_E_NS1_11comp_targetILNS1_3genE8ELNS1_11target_archE1030ELNS1_3gpuE2ELNS1_3repE0EEENS1_30default_config_static_selectorELNS0_4arch9wavefront6targetE1EEEvT1_.uses_vcc, 0
	.set _ZN7rocprim17ROCPRIM_400000_NS6detail17trampoline_kernelINS0_14default_configENS1_25partition_config_selectorILNS1_17partition_subalgoE8ElNS0_10empty_typeEbEEZZNS1_14partition_implILS5_8ELb0ES3_jPlPS6_PKS6_NS0_5tupleIJS9_S6_EEENSD_IJSA_SA_EEENS0_18inequality_wrapperIZN2at6native12_GLOBAL__N_124unique_dim_cuda_templateItEESt5tupleIJNSH_6TensorESM_SM_EERKSM_lbbbEUlllE0_EEPmJS6_EEE10hipError_tPvRmT3_T4_T5_T6_T7_T9_mT8_P12ihipStream_tbDpT10_ENKUlT_T0_E_clISt17integral_constantIbLb1EES1C_EEDaS17_S18_EUlS17_E_NS1_11comp_targetILNS1_3genE8ELNS1_11target_archE1030ELNS1_3gpuE2ELNS1_3repE0EEENS1_30default_config_static_selectorELNS0_4arch9wavefront6targetE1EEEvT1_.uses_flat_scratch, 0
	.set _ZN7rocprim17ROCPRIM_400000_NS6detail17trampoline_kernelINS0_14default_configENS1_25partition_config_selectorILNS1_17partition_subalgoE8ElNS0_10empty_typeEbEEZZNS1_14partition_implILS5_8ELb0ES3_jPlPS6_PKS6_NS0_5tupleIJS9_S6_EEENSD_IJSA_SA_EEENS0_18inequality_wrapperIZN2at6native12_GLOBAL__N_124unique_dim_cuda_templateItEESt5tupleIJNSH_6TensorESM_SM_EERKSM_lbbbEUlllE0_EEPmJS6_EEE10hipError_tPvRmT3_T4_T5_T6_T7_T9_mT8_P12ihipStream_tbDpT10_ENKUlT_T0_E_clISt17integral_constantIbLb1EES1C_EEDaS17_S18_EUlS17_E_NS1_11comp_targetILNS1_3genE8ELNS1_11target_archE1030ELNS1_3gpuE2ELNS1_3repE0EEENS1_30default_config_static_selectorELNS0_4arch9wavefront6targetE1EEEvT1_.has_dyn_sized_stack, 0
	.set _ZN7rocprim17ROCPRIM_400000_NS6detail17trampoline_kernelINS0_14default_configENS1_25partition_config_selectorILNS1_17partition_subalgoE8ElNS0_10empty_typeEbEEZZNS1_14partition_implILS5_8ELb0ES3_jPlPS6_PKS6_NS0_5tupleIJS9_S6_EEENSD_IJSA_SA_EEENS0_18inequality_wrapperIZN2at6native12_GLOBAL__N_124unique_dim_cuda_templateItEESt5tupleIJNSH_6TensorESM_SM_EERKSM_lbbbEUlllE0_EEPmJS6_EEE10hipError_tPvRmT3_T4_T5_T6_T7_T9_mT8_P12ihipStream_tbDpT10_ENKUlT_T0_E_clISt17integral_constantIbLb1EES1C_EEDaS17_S18_EUlS17_E_NS1_11comp_targetILNS1_3genE8ELNS1_11target_archE1030ELNS1_3gpuE2ELNS1_3repE0EEENS1_30default_config_static_selectorELNS0_4arch9wavefront6targetE1EEEvT1_.has_recursion, 0
	.set _ZN7rocprim17ROCPRIM_400000_NS6detail17trampoline_kernelINS0_14default_configENS1_25partition_config_selectorILNS1_17partition_subalgoE8ElNS0_10empty_typeEbEEZZNS1_14partition_implILS5_8ELb0ES3_jPlPS6_PKS6_NS0_5tupleIJS9_S6_EEENSD_IJSA_SA_EEENS0_18inequality_wrapperIZN2at6native12_GLOBAL__N_124unique_dim_cuda_templateItEESt5tupleIJNSH_6TensorESM_SM_EERKSM_lbbbEUlllE0_EEPmJS6_EEE10hipError_tPvRmT3_T4_T5_T6_T7_T9_mT8_P12ihipStream_tbDpT10_ENKUlT_T0_E_clISt17integral_constantIbLb1EES1C_EEDaS17_S18_EUlS17_E_NS1_11comp_targetILNS1_3genE8ELNS1_11target_archE1030ELNS1_3gpuE2ELNS1_3repE0EEENS1_30default_config_static_selectorELNS0_4arch9wavefront6targetE1EEEvT1_.has_indirect_call, 0
	.section	.AMDGPU.csdata,"",@progbits
; Kernel info:
; codeLenInByte = 0
; TotalNumSgprs: 6
; NumVgprs: 0
; NumAgprs: 0
; TotalNumVgprs: 0
; ScratchSize: 0
; MemoryBound: 0
; FloatMode: 240
; IeeeMode: 1
; LDSByteSize: 0 bytes/workgroup (compile time only)
; SGPRBlocks: 0
; VGPRBlocks: 0
; NumSGPRsForWavesPerEU: 6
; NumVGPRsForWavesPerEU: 1
; AccumOffset: 4
; Occupancy: 8
; WaveLimiterHint : 0
; COMPUTE_PGM_RSRC2:SCRATCH_EN: 0
; COMPUTE_PGM_RSRC2:USER_SGPR: 2
; COMPUTE_PGM_RSRC2:TRAP_HANDLER: 0
; COMPUTE_PGM_RSRC2:TGID_X_EN: 1
; COMPUTE_PGM_RSRC2:TGID_Y_EN: 0
; COMPUTE_PGM_RSRC2:TGID_Z_EN: 0
; COMPUTE_PGM_RSRC2:TIDIG_COMP_CNT: 0
; COMPUTE_PGM_RSRC3_GFX90A:ACCUM_OFFSET: 0
; COMPUTE_PGM_RSRC3_GFX90A:TG_SPLIT: 0
	.section	.text._ZN7rocprim17ROCPRIM_400000_NS6detail17trampoline_kernelINS0_14default_configENS1_25partition_config_selectorILNS1_17partition_subalgoE8ElNS0_10empty_typeEbEEZZNS1_14partition_implILS5_8ELb0ES3_jPlPS6_PKS6_NS0_5tupleIJS9_S6_EEENSD_IJSA_SA_EEENS0_18inequality_wrapperIZN2at6native12_GLOBAL__N_124unique_dim_cuda_templateItEESt5tupleIJNSH_6TensorESM_SM_EERKSM_lbbbEUlllE0_EEPmJS6_EEE10hipError_tPvRmT3_T4_T5_T6_T7_T9_mT8_P12ihipStream_tbDpT10_ENKUlT_T0_E_clISt17integral_constantIbLb1EES1B_IbLb0EEEEDaS17_S18_EUlS17_E_NS1_11comp_targetILNS1_3genE0ELNS1_11target_archE4294967295ELNS1_3gpuE0ELNS1_3repE0EEENS1_30default_config_static_selectorELNS0_4arch9wavefront6targetE1EEEvT1_,"axG",@progbits,_ZN7rocprim17ROCPRIM_400000_NS6detail17trampoline_kernelINS0_14default_configENS1_25partition_config_selectorILNS1_17partition_subalgoE8ElNS0_10empty_typeEbEEZZNS1_14partition_implILS5_8ELb0ES3_jPlPS6_PKS6_NS0_5tupleIJS9_S6_EEENSD_IJSA_SA_EEENS0_18inequality_wrapperIZN2at6native12_GLOBAL__N_124unique_dim_cuda_templateItEESt5tupleIJNSH_6TensorESM_SM_EERKSM_lbbbEUlllE0_EEPmJS6_EEE10hipError_tPvRmT3_T4_T5_T6_T7_T9_mT8_P12ihipStream_tbDpT10_ENKUlT_T0_E_clISt17integral_constantIbLb1EES1B_IbLb0EEEEDaS17_S18_EUlS17_E_NS1_11comp_targetILNS1_3genE0ELNS1_11target_archE4294967295ELNS1_3gpuE0ELNS1_3repE0EEENS1_30default_config_static_selectorELNS0_4arch9wavefront6targetE1EEEvT1_,comdat
	.globl	_ZN7rocprim17ROCPRIM_400000_NS6detail17trampoline_kernelINS0_14default_configENS1_25partition_config_selectorILNS1_17partition_subalgoE8ElNS0_10empty_typeEbEEZZNS1_14partition_implILS5_8ELb0ES3_jPlPS6_PKS6_NS0_5tupleIJS9_S6_EEENSD_IJSA_SA_EEENS0_18inequality_wrapperIZN2at6native12_GLOBAL__N_124unique_dim_cuda_templateItEESt5tupleIJNSH_6TensorESM_SM_EERKSM_lbbbEUlllE0_EEPmJS6_EEE10hipError_tPvRmT3_T4_T5_T6_T7_T9_mT8_P12ihipStream_tbDpT10_ENKUlT_T0_E_clISt17integral_constantIbLb1EES1B_IbLb0EEEEDaS17_S18_EUlS17_E_NS1_11comp_targetILNS1_3genE0ELNS1_11target_archE4294967295ELNS1_3gpuE0ELNS1_3repE0EEENS1_30default_config_static_selectorELNS0_4arch9wavefront6targetE1EEEvT1_ ; -- Begin function _ZN7rocprim17ROCPRIM_400000_NS6detail17trampoline_kernelINS0_14default_configENS1_25partition_config_selectorILNS1_17partition_subalgoE8ElNS0_10empty_typeEbEEZZNS1_14partition_implILS5_8ELb0ES3_jPlPS6_PKS6_NS0_5tupleIJS9_S6_EEENSD_IJSA_SA_EEENS0_18inequality_wrapperIZN2at6native12_GLOBAL__N_124unique_dim_cuda_templateItEESt5tupleIJNSH_6TensorESM_SM_EERKSM_lbbbEUlllE0_EEPmJS6_EEE10hipError_tPvRmT3_T4_T5_T6_T7_T9_mT8_P12ihipStream_tbDpT10_ENKUlT_T0_E_clISt17integral_constantIbLb1EES1B_IbLb0EEEEDaS17_S18_EUlS17_E_NS1_11comp_targetILNS1_3genE0ELNS1_11target_archE4294967295ELNS1_3gpuE0ELNS1_3repE0EEENS1_30default_config_static_selectorELNS0_4arch9wavefront6targetE1EEEvT1_
	.p2align	8
	.type	_ZN7rocprim17ROCPRIM_400000_NS6detail17trampoline_kernelINS0_14default_configENS1_25partition_config_selectorILNS1_17partition_subalgoE8ElNS0_10empty_typeEbEEZZNS1_14partition_implILS5_8ELb0ES3_jPlPS6_PKS6_NS0_5tupleIJS9_S6_EEENSD_IJSA_SA_EEENS0_18inequality_wrapperIZN2at6native12_GLOBAL__N_124unique_dim_cuda_templateItEESt5tupleIJNSH_6TensorESM_SM_EERKSM_lbbbEUlllE0_EEPmJS6_EEE10hipError_tPvRmT3_T4_T5_T6_T7_T9_mT8_P12ihipStream_tbDpT10_ENKUlT_T0_E_clISt17integral_constantIbLb1EES1B_IbLb0EEEEDaS17_S18_EUlS17_E_NS1_11comp_targetILNS1_3genE0ELNS1_11target_archE4294967295ELNS1_3gpuE0ELNS1_3repE0EEENS1_30default_config_static_selectorELNS0_4arch9wavefront6targetE1EEEvT1_,@function
_ZN7rocprim17ROCPRIM_400000_NS6detail17trampoline_kernelINS0_14default_configENS1_25partition_config_selectorILNS1_17partition_subalgoE8ElNS0_10empty_typeEbEEZZNS1_14partition_implILS5_8ELb0ES3_jPlPS6_PKS6_NS0_5tupleIJS9_S6_EEENSD_IJSA_SA_EEENS0_18inequality_wrapperIZN2at6native12_GLOBAL__N_124unique_dim_cuda_templateItEESt5tupleIJNSH_6TensorESM_SM_EERKSM_lbbbEUlllE0_EEPmJS6_EEE10hipError_tPvRmT3_T4_T5_T6_T7_T9_mT8_P12ihipStream_tbDpT10_ENKUlT_T0_E_clISt17integral_constantIbLb1EES1B_IbLb0EEEEDaS17_S18_EUlS17_E_NS1_11comp_targetILNS1_3genE0ELNS1_11target_archE4294967295ELNS1_3gpuE0ELNS1_3repE0EEENS1_30default_config_static_selectorELNS0_4arch9wavefront6targetE1EEEvT1_: ; @_ZN7rocprim17ROCPRIM_400000_NS6detail17trampoline_kernelINS0_14default_configENS1_25partition_config_selectorILNS1_17partition_subalgoE8ElNS0_10empty_typeEbEEZZNS1_14partition_implILS5_8ELb0ES3_jPlPS6_PKS6_NS0_5tupleIJS9_S6_EEENSD_IJSA_SA_EEENS0_18inequality_wrapperIZN2at6native12_GLOBAL__N_124unique_dim_cuda_templateItEESt5tupleIJNSH_6TensorESM_SM_EERKSM_lbbbEUlllE0_EEPmJS6_EEE10hipError_tPvRmT3_T4_T5_T6_T7_T9_mT8_P12ihipStream_tbDpT10_ENKUlT_T0_E_clISt17integral_constantIbLb1EES1B_IbLb0EEEEDaS17_S18_EUlS17_E_NS1_11comp_targetILNS1_3genE0ELNS1_11target_archE4294967295ELNS1_3gpuE0ELNS1_3repE0EEENS1_30default_config_static_selectorELNS0_4arch9wavefront6targetE1EEEvT1_
; %bb.0:
	s_endpgm
	.section	.rodata,"a",@progbits
	.p2align	6, 0x0
	.amdhsa_kernel _ZN7rocprim17ROCPRIM_400000_NS6detail17trampoline_kernelINS0_14default_configENS1_25partition_config_selectorILNS1_17partition_subalgoE8ElNS0_10empty_typeEbEEZZNS1_14partition_implILS5_8ELb0ES3_jPlPS6_PKS6_NS0_5tupleIJS9_S6_EEENSD_IJSA_SA_EEENS0_18inequality_wrapperIZN2at6native12_GLOBAL__N_124unique_dim_cuda_templateItEESt5tupleIJNSH_6TensorESM_SM_EERKSM_lbbbEUlllE0_EEPmJS6_EEE10hipError_tPvRmT3_T4_T5_T6_T7_T9_mT8_P12ihipStream_tbDpT10_ENKUlT_T0_E_clISt17integral_constantIbLb1EES1B_IbLb0EEEEDaS17_S18_EUlS17_E_NS1_11comp_targetILNS1_3genE0ELNS1_11target_archE4294967295ELNS1_3gpuE0ELNS1_3repE0EEENS1_30default_config_static_selectorELNS0_4arch9wavefront6targetE1EEEvT1_
		.amdhsa_group_segment_fixed_size 0
		.amdhsa_private_segment_fixed_size 0
		.amdhsa_kernarg_size 120
		.amdhsa_user_sgpr_count 2
		.amdhsa_user_sgpr_dispatch_ptr 0
		.amdhsa_user_sgpr_queue_ptr 0
		.amdhsa_user_sgpr_kernarg_segment_ptr 1
		.amdhsa_user_sgpr_dispatch_id 0
		.amdhsa_user_sgpr_kernarg_preload_length 0
		.amdhsa_user_sgpr_kernarg_preload_offset 0
		.amdhsa_user_sgpr_private_segment_size 0
		.amdhsa_uses_dynamic_stack 0
		.amdhsa_enable_private_segment 0
		.amdhsa_system_sgpr_workgroup_id_x 1
		.amdhsa_system_sgpr_workgroup_id_y 0
		.amdhsa_system_sgpr_workgroup_id_z 0
		.amdhsa_system_sgpr_workgroup_info 0
		.amdhsa_system_vgpr_workitem_id 0
		.amdhsa_next_free_vgpr 1
		.amdhsa_next_free_sgpr 0
		.amdhsa_accum_offset 4
		.amdhsa_reserve_vcc 0
		.amdhsa_float_round_mode_32 0
		.amdhsa_float_round_mode_16_64 0
		.amdhsa_float_denorm_mode_32 3
		.amdhsa_float_denorm_mode_16_64 3
		.amdhsa_dx10_clamp 1
		.amdhsa_ieee_mode 1
		.amdhsa_fp16_overflow 0
		.amdhsa_tg_split 0
		.amdhsa_exception_fp_ieee_invalid_op 0
		.amdhsa_exception_fp_denorm_src 0
		.amdhsa_exception_fp_ieee_div_zero 0
		.amdhsa_exception_fp_ieee_overflow 0
		.amdhsa_exception_fp_ieee_underflow 0
		.amdhsa_exception_fp_ieee_inexact 0
		.amdhsa_exception_int_div_zero 0
	.end_amdhsa_kernel
	.section	.text._ZN7rocprim17ROCPRIM_400000_NS6detail17trampoline_kernelINS0_14default_configENS1_25partition_config_selectorILNS1_17partition_subalgoE8ElNS0_10empty_typeEbEEZZNS1_14partition_implILS5_8ELb0ES3_jPlPS6_PKS6_NS0_5tupleIJS9_S6_EEENSD_IJSA_SA_EEENS0_18inequality_wrapperIZN2at6native12_GLOBAL__N_124unique_dim_cuda_templateItEESt5tupleIJNSH_6TensorESM_SM_EERKSM_lbbbEUlllE0_EEPmJS6_EEE10hipError_tPvRmT3_T4_T5_T6_T7_T9_mT8_P12ihipStream_tbDpT10_ENKUlT_T0_E_clISt17integral_constantIbLb1EES1B_IbLb0EEEEDaS17_S18_EUlS17_E_NS1_11comp_targetILNS1_3genE0ELNS1_11target_archE4294967295ELNS1_3gpuE0ELNS1_3repE0EEENS1_30default_config_static_selectorELNS0_4arch9wavefront6targetE1EEEvT1_,"axG",@progbits,_ZN7rocprim17ROCPRIM_400000_NS6detail17trampoline_kernelINS0_14default_configENS1_25partition_config_selectorILNS1_17partition_subalgoE8ElNS0_10empty_typeEbEEZZNS1_14partition_implILS5_8ELb0ES3_jPlPS6_PKS6_NS0_5tupleIJS9_S6_EEENSD_IJSA_SA_EEENS0_18inequality_wrapperIZN2at6native12_GLOBAL__N_124unique_dim_cuda_templateItEESt5tupleIJNSH_6TensorESM_SM_EERKSM_lbbbEUlllE0_EEPmJS6_EEE10hipError_tPvRmT3_T4_T5_T6_T7_T9_mT8_P12ihipStream_tbDpT10_ENKUlT_T0_E_clISt17integral_constantIbLb1EES1B_IbLb0EEEEDaS17_S18_EUlS17_E_NS1_11comp_targetILNS1_3genE0ELNS1_11target_archE4294967295ELNS1_3gpuE0ELNS1_3repE0EEENS1_30default_config_static_selectorELNS0_4arch9wavefront6targetE1EEEvT1_,comdat
.Lfunc_end1435:
	.size	_ZN7rocprim17ROCPRIM_400000_NS6detail17trampoline_kernelINS0_14default_configENS1_25partition_config_selectorILNS1_17partition_subalgoE8ElNS0_10empty_typeEbEEZZNS1_14partition_implILS5_8ELb0ES3_jPlPS6_PKS6_NS0_5tupleIJS9_S6_EEENSD_IJSA_SA_EEENS0_18inequality_wrapperIZN2at6native12_GLOBAL__N_124unique_dim_cuda_templateItEESt5tupleIJNSH_6TensorESM_SM_EERKSM_lbbbEUlllE0_EEPmJS6_EEE10hipError_tPvRmT3_T4_T5_T6_T7_T9_mT8_P12ihipStream_tbDpT10_ENKUlT_T0_E_clISt17integral_constantIbLb1EES1B_IbLb0EEEEDaS17_S18_EUlS17_E_NS1_11comp_targetILNS1_3genE0ELNS1_11target_archE4294967295ELNS1_3gpuE0ELNS1_3repE0EEENS1_30default_config_static_selectorELNS0_4arch9wavefront6targetE1EEEvT1_, .Lfunc_end1435-_ZN7rocprim17ROCPRIM_400000_NS6detail17trampoline_kernelINS0_14default_configENS1_25partition_config_selectorILNS1_17partition_subalgoE8ElNS0_10empty_typeEbEEZZNS1_14partition_implILS5_8ELb0ES3_jPlPS6_PKS6_NS0_5tupleIJS9_S6_EEENSD_IJSA_SA_EEENS0_18inequality_wrapperIZN2at6native12_GLOBAL__N_124unique_dim_cuda_templateItEESt5tupleIJNSH_6TensorESM_SM_EERKSM_lbbbEUlllE0_EEPmJS6_EEE10hipError_tPvRmT3_T4_T5_T6_T7_T9_mT8_P12ihipStream_tbDpT10_ENKUlT_T0_E_clISt17integral_constantIbLb1EES1B_IbLb0EEEEDaS17_S18_EUlS17_E_NS1_11comp_targetILNS1_3genE0ELNS1_11target_archE4294967295ELNS1_3gpuE0ELNS1_3repE0EEENS1_30default_config_static_selectorELNS0_4arch9wavefront6targetE1EEEvT1_
                                        ; -- End function
	.set _ZN7rocprim17ROCPRIM_400000_NS6detail17trampoline_kernelINS0_14default_configENS1_25partition_config_selectorILNS1_17partition_subalgoE8ElNS0_10empty_typeEbEEZZNS1_14partition_implILS5_8ELb0ES3_jPlPS6_PKS6_NS0_5tupleIJS9_S6_EEENSD_IJSA_SA_EEENS0_18inequality_wrapperIZN2at6native12_GLOBAL__N_124unique_dim_cuda_templateItEESt5tupleIJNSH_6TensorESM_SM_EERKSM_lbbbEUlllE0_EEPmJS6_EEE10hipError_tPvRmT3_T4_T5_T6_T7_T9_mT8_P12ihipStream_tbDpT10_ENKUlT_T0_E_clISt17integral_constantIbLb1EES1B_IbLb0EEEEDaS17_S18_EUlS17_E_NS1_11comp_targetILNS1_3genE0ELNS1_11target_archE4294967295ELNS1_3gpuE0ELNS1_3repE0EEENS1_30default_config_static_selectorELNS0_4arch9wavefront6targetE1EEEvT1_.num_vgpr, 0
	.set _ZN7rocprim17ROCPRIM_400000_NS6detail17trampoline_kernelINS0_14default_configENS1_25partition_config_selectorILNS1_17partition_subalgoE8ElNS0_10empty_typeEbEEZZNS1_14partition_implILS5_8ELb0ES3_jPlPS6_PKS6_NS0_5tupleIJS9_S6_EEENSD_IJSA_SA_EEENS0_18inequality_wrapperIZN2at6native12_GLOBAL__N_124unique_dim_cuda_templateItEESt5tupleIJNSH_6TensorESM_SM_EERKSM_lbbbEUlllE0_EEPmJS6_EEE10hipError_tPvRmT3_T4_T5_T6_T7_T9_mT8_P12ihipStream_tbDpT10_ENKUlT_T0_E_clISt17integral_constantIbLb1EES1B_IbLb0EEEEDaS17_S18_EUlS17_E_NS1_11comp_targetILNS1_3genE0ELNS1_11target_archE4294967295ELNS1_3gpuE0ELNS1_3repE0EEENS1_30default_config_static_selectorELNS0_4arch9wavefront6targetE1EEEvT1_.num_agpr, 0
	.set _ZN7rocprim17ROCPRIM_400000_NS6detail17trampoline_kernelINS0_14default_configENS1_25partition_config_selectorILNS1_17partition_subalgoE8ElNS0_10empty_typeEbEEZZNS1_14partition_implILS5_8ELb0ES3_jPlPS6_PKS6_NS0_5tupleIJS9_S6_EEENSD_IJSA_SA_EEENS0_18inequality_wrapperIZN2at6native12_GLOBAL__N_124unique_dim_cuda_templateItEESt5tupleIJNSH_6TensorESM_SM_EERKSM_lbbbEUlllE0_EEPmJS6_EEE10hipError_tPvRmT3_T4_T5_T6_T7_T9_mT8_P12ihipStream_tbDpT10_ENKUlT_T0_E_clISt17integral_constantIbLb1EES1B_IbLb0EEEEDaS17_S18_EUlS17_E_NS1_11comp_targetILNS1_3genE0ELNS1_11target_archE4294967295ELNS1_3gpuE0ELNS1_3repE0EEENS1_30default_config_static_selectorELNS0_4arch9wavefront6targetE1EEEvT1_.numbered_sgpr, 0
	.set _ZN7rocprim17ROCPRIM_400000_NS6detail17trampoline_kernelINS0_14default_configENS1_25partition_config_selectorILNS1_17partition_subalgoE8ElNS0_10empty_typeEbEEZZNS1_14partition_implILS5_8ELb0ES3_jPlPS6_PKS6_NS0_5tupleIJS9_S6_EEENSD_IJSA_SA_EEENS0_18inequality_wrapperIZN2at6native12_GLOBAL__N_124unique_dim_cuda_templateItEESt5tupleIJNSH_6TensorESM_SM_EERKSM_lbbbEUlllE0_EEPmJS6_EEE10hipError_tPvRmT3_T4_T5_T6_T7_T9_mT8_P12ihipStream_tbDpT10_ENKUlT_T0_E_clISt17integral_constantIbLb1EES1B_IbLb0EEEEDaS17_S18_EUlS17_E_NS1_11comp_targetILNS1_3genE0ELNS1_11target_archE4294967295ELNS1_3gpuE0ELNS1_3repE0EEENS1_30default_config_static_selectorELNS0_4arch9wavefront6targetE1EEEvT1_.num_named_barrier, 0
	.set _ZN7rocprim17ROCPRIM_400000_NS6detail17trampoline_kernelINS0_14default_configENS1_25partition_config_selectorILNS1_17partition_subalgoE8ElNS0_10empty_typeEbEEZZNS1_14partition_implILS5_8ELb0ES3_jPlPS6_PKS6_NS0_5tupleIJS9_S6_EEENSD_IJSA_SA_EEENS0_18inequality_wrapperIZN2at6native12_GLOBAL__N_124unique_dim_cuda_templateItEESt5tupleIJNSH_6TensorESM_SM_EERKSM_lbbbEUlllE0_EEPmJS6_EEE10hipError_tPvRmT3_T4_T5_T6_T7_T9_mT8_P12ihipStream_tbDpT10_ENKUlT_T0_E_clISt17integral_constantIbLb1EES1B_IbLb0EEEEDaS17_S18_EUlS17_E_NS1_11comp_targetILNS1_3genE0ELNS1_11target_archE4294967295ELNS1_3gpuE0ELNS1_3repE0EEENS1_30default_config_static_selectorELNS0_4arch9wavefront6targetE1EEEvT1_.private_seg_size, 0
	.set _ZN7rocprim17ROCPRIM_400000_NS6detail17trampoline_kernelINS0_14default_configENS1_25partition_config_selectorILNS1_17partition_subalgoE8ElNS0_10empty_typeEbEEZZNS1_14partition_implILS5_8ELb0ES3_jPlPS6_PKS6_NS0_5tupleIJS9_S6_EEENSD_IJSA_SA_EEENS0_18inequality_wrapperIZN2at6native12_GLOBAL__N_124unique_dim_cuda_templateItEESt5tupleIJNSH_6TensorESM_SM_EERKSM_lbbbEUlllE0_EEPmJS6_EEE10hipError_tPvRmT3_T4_T5_T6_T7_T9_mT8_P12ihipStream_tbDpT10_ENKUlT_T0_E_clISt17integral_constantIbLb1EES1B_IbLb0EEEEDaS17_S18_EUlS17_E_NS1_11comp_targetILNS1_3genE0ELNS1_11target_archE4294967295ELNS1_3gpuE0ELNS1_3repE0EEENS1_30default_config_static_selectorELNS0_4arch9wavefront6targetE1EEEvT1_.uses_vcc, 0
	.set _ZN7rocprim17ROCPRIM_400000_NS6detail17trampoline_kernelINS0_14default_configENS1_25partition_config_selectorILNS1_17partition_subalgoE8ElNS0_10empty_typeEbEEZZNS1_14partition_implILS5_8ELb0ES3_jPlPS6_PKS6_NS0_5tupleIJS9_S6_EEENSD_IJSA_SA_EEENS0_18inequality_wrapperIZN2at6native12_GLOBAL__N_124unique_dim_cuda_templateItEESt5tupleIJNSH_6TensorESM_SM_EERKSM_lbbbEUlllE0_EEPmJS6_EEE10hipError_tPvRmT3_T4_T5_T6_T7_T9_mT8_P12ihipStream_tbDpT10_ENKUlT_T0_E_clISt17integral_constantIbLb1EES1B_IbLb0EEEEDaS17_S18_EUlS17_E_NS1_11comp_targetILNS1_3genE0ELNS1_11target_archE4294967295ELNS1_3gpuE0ELNS1_3repE0EEENS1_30default_config_static_selectorELNS0_4arch9wavefront6targetE1EEEvT1_.uses_flat_scratch, 0
	.set _ZN7rocprim17ROCPRIM_400000_NS6detail17trampoline_kernelINS0_14default_configENS1_25partition_config_selectorILNS1_17partition_subalgoE8ElNS0_10empty_typeEbEEZZNS1_14partition_implILS5_8ELb0ES3_jPlPS6_PKS6_NS0_5tupleIJS9_S6_EEENSD_IJSA_SA_EEENS0_18inequality_wrapperIZN2at6native12_GLOBAL__N_124unique_dim_cuda_templateItEESt5tupleIJNSH_6TensorESM_SM_EERKSM_lbbbEUlllE0_EEPmJS6_EEE10hipError_tPvRmT3_T4_T5_T6_T7_T9_mT8_P12ihipStream_tbDpT10_ENKUlT_T0_E_clISt17integral_constantIbLb1EES1B_IbLb0EEEEDaS17_S18_EUlS17_E_NS1_11comp_targetILNS1_3genE0ELNS1_11target_archE4294967295ELNS1_3gpuE0ELNS1_3repE0EEENS1_30default_config_static_selectorELNS0_4arch9wavefront6targetE1EEEvT1_.has_dyn_sized_stack, 0
	.set _ZN7rocprim17ROCPRIM_400000_NS6detail17trampoline_kernelINS0_14default_configENS1_25partition_config_selectorILNS1_17partition_subalgoE8ElNS0_10empty_typeEbEEZZNS1_14partition_implILS5_8ELb0ES3_jPlPS6_PKS6_NS0_5tupleIJS9_S6_EEENSD_IJSA_SA_EEENS0_18inequality_wrapperIZN2at6native12_GLOBAL__N_124unique_dim_cuda_templateItEESt5tupleIJNSH_6TensorESM_SM_EERKSM_lbbbEUlllE0_EEPmJS6_EEE10hipError_tPvRmT3_T4_T5_T6_T7_T9_mT8_P12ihipStream_tbDpT10_ENKUlT_T0_E_clISt17integral_constantIbLb1EES1B_IbLb0EEEEDaS17_S18_EUlS17_E_NS1_11comp_targetILNS1_3genE0ELNS1_11target_archE4294967295ELNS1_3gpuE0ELNS1_3repE0EEENS1_30default_config_static_selectorELNS0_4arch9wavefront6targetE1EEEvT1_.has_recursion, 0
	.set _ZN7rocprim17ROCPRIM_400000_NS6detail17trampoline_kernelINS0_14default_configENS1_25partition_config_selectorILNS1_17partition_subalgoE8ElNS0_10empty_typeEbEEZZNS1_14partition_implILS5_8ELb0ES3_jPlPS6_PKS6_NS0_5tupleIJS9_S6_EEENSD_IJSA_SA_EEENS0_18inequality_wrapperIZN2at6native12_GLOBAL__N_124unique_dim_cuda_templateItEESt5tupleIJNSH_6TensorESM_SM_EERKSM_lbbbEUlllE0_EEPmJS6_EEE10hipError_tPvRmT3_T4_T5_T6_T7_T9_mT8_P12ihipStream_tbDpT10_ENKUlT_T0_E_clISt17integral_constantIbLb1EES1B_IbLb0EEEEDaS17_S18_EUlS17_E_NS1_11comp_targetILNS1_3genE0ELNS1_11target_archE4294967295ELNS1_3gpuE0ELNS1_3repE0EEENS1_30default_config_static_selectorELNS0_4arch9wavefront6targetE1EEEvT1_.has_indirect_call, 0
	.section	.AMDGPU.csdata,"",@progbits
; Kernel info:
; codeLenInByte = 4
; TotalNumSgprs: 6
; NumVgprs: 0
; NumAgprs: 0
; TotalNumVgprs: 0
; ScratchSize: 0
; MemoryBound: 0
; FloatMode: 240
; IeeeMode: 1
; LDSByteSize: 0 bytes/workgroup (compile time only)
; SGPRBlocks: 0
; VGPRBlocks: 0
; NumSGPRsForWavesPerEU: 6
; NumVGPRsForWavesPerEU: 1
; AccumOffset: 4
; Occupancy: 8
; WaveLimiterHint : 0
; COMPUTE_PGM_RSRC2:SCRATCH_EN: 0
; COMPUTE_PGM_RSRC2:USER_SGPR: 2
; COMPUTE_PGM_RSRC2:TRAP_HANDLER: 0
; COMPUTE_PGM_RSRC2:TGID_X_EN: 1
; COMPUTE_PGM_RSRC2:TGID_Y_EN: 0
; COMPUTE_PGM_RSRC2:TGID_Z_EN: 0
; COMPUTE_PGM_RSRC2:TIDIG_COMP_CNT: 0
; COMPUTE_PGM_RSRC3_GFX90A:ACCUM_OFFSET: 0
; COMPUTE_PGM_RSRC3_GFX90A:TG_SPLIT: 0
	.section	.text._ZN7rocprim17ROCPRIM_400000_NS6detail17trampoline_kernelINS0_14default_configENS1_25partition_config_selectorILNS1_17partition_subalgoE8ElNS0_10empty_typeEbEEZZNS1_14partition_implILS5_8ELb0ES3_jPlPS6_PKS6_NS0_5tupleIJS9_S6_EEENSD_IJSA_SA_EEENS0_18inequality_wrapperIZN2at6native12_GLOBAL__N_124unique_dim_cuda_templateItEESt5tupleIJNSH_6TensorESM_SM_EERKSM_lbbbEUlllE0_EEPmJS6_EEE10hipError_tPvRmT3_T4_T5_T6_T7_T9_mT8_P12ihipStream_tbDpT10_ENKUlT_T0_E_clISt17integral_constantIbLb1EES1B_IbLb0EEEEDaS17_S18_EUlS17_E_NS1_11comp_targetILNS1_3genE5ELNS1_11target_archE942ELNS1_3gpuE9ELNS1_3repE0EEENS1_30default_config_static_selectorELNS0_4arch9wavefront6targetE1EEEvT1_,"axG",@progbits,_ZN7rocprim17ROCPRIM_400000_NS6detail17trampoline_kernelINS0_14default_configENS1_25partition_config_selectorILNS1_17partition_subalgoE8ElNS0_10empty_typeEbEEZZNS1_14partition_implILS5_8ELb0ES3_jPlPS6_PKS6_NS0_5tupleIJS9_S6_EEENSD_IJSA_SA_EEENS0_18inequality_wrapperIZN2at6native12_GLOBAL__N_124unique_dim_cuda_templateItEESt5tupleIJNSH_6TensorESM_SM_EERKSM_lbbbEUlllE0_EEPmJS6_EEE10hipError_tPvRmT3_T4_T5_T6_T7_T9_mT8_P12ihipStream_tbDpT10_ENKUlT_T0_E_clISt17integral_constantIbLb1EES1B_IbLb0EEEEDaS17_S18_EUlS17_E_NS1_11comp_targetILNS1_3genE5ELNS1_11target_archE942ELNS1_3gpuE9ELNS1_3repE0EEENS1_30default_config_static_selectorELNS0_4arch9wavefront6targetE1EEEvT1_,comdat
	.globl	_ZN7rocprim17ROCPRIM_400000_NS6detail17trampoline_kernelINS0_14default_configENS1_25partition_config_selectorILNS1_17partition_subalgoE8ElNS0_10empty_typeEbEEZZNS1_14partition_implILS5_8ELb0ES3_jPlPS6_PKS6_NS0_5tupleIJS9_S6_EEENSD_IJSA_SA_EEENS0_18inequality_wrapperIZN2at6native12_GLOBAL__N_124unique_dim_cuda_templateItEESt5tupleIJNSH_6TensorESM_SM_EERKSM_lbbbEUlllE0_EEPmJS6_EEE10hipError_tPvRmT3_T4_T5_T6_T7_T9_mT8_P12ihipStream_tbDpT10_ENKUlT_T0_E_clISt17integral_constantIbLb1EES1B_IbLb0EEEEDaS17_S18_EUlS17_E_NS1_11comp_targetILNS1_3genE5ELNS1_11target_archE942ELNS1_3gpuE9ELNS1_3repE0EEENS1_30default_config_static_selectorELNS0_4arch9wavefront6targetE1EEEvT1_ ; -- Begin function _ZN7rocprim17ROCPRIM_400000_NS6detail17trampoline_kernelINS0_14default_configENS1_25partition_config_selectorILNS1_17partition_subalgoE8ElNS0_10empty_typeEbEEZZNS1_14partition_implILS5_8ELb0ES3_jPlPS6_PKS6_NS0_5tupleIJS9_S6_EEENSD_IJSA_SA_EEENS0_18inequality_wrapperIZN2at6native12_GLOBAL__N_124unique_dim_cuda_templateItEESt5tupleIJNSH_6TensorESM_SM_EERKSM_lbbbEUlllE0_EEPmJS6_EEE10hipError_tPvRmT3_T4_T5_T6_T7_T9_mT8_P12ihipStream_tbDpT10_ENKUlT_T0_E_clISt17integral_constantIbLb1EES1B_IbLb0EEEEDaS17_S18_EUlS17_E_NS1_11comp_targetILNS1_3genE5ELNS1_11target_archE942ELNS1_3gpuE9ELNS1_3repE0EEENS1_30default_config_static_selectorELNS0_4arch9wavefront6targetE1EEEvT1_
	.p2align	8
	.type	_ZN7rocprim17ROCPRIM_400000_NS6detail17trampoline_kernelINS0_14default_configENS1_25partition_config_selectorILNS1_17partition_subalgoE8ElNS0_10empty_typeEbEEZZNS1_14partition_implILS5_8ELb0ES3_jPlPS6_PKS6_NS0_5tupleIJS9_S6_EEENSD_IJSA_SA_EEENS0_18inequality_wrapperIZN2at6native12_GLOBAL__N_124unique_dim_cuda_templateItEESt5tupleIJNSH_6TensorESM_SM_EERKSM_lbbbEUlllE0_EEPmJS6_EEE10hipError_tPvRmT3_T4_T5_T6_T7_T9_mT8_P12ihipStream_tbDpT10_ENKUlT_T0_E_clISt17integral_constantIbLb1EES1B_IbLb0EEEEDaS17_S18_EUlS17_E_NS1_11comp_targetILNS1_3genE5ELNS1_11target_archE942ELNS1_3gpuE9ELNS1_3repE0EEENS1_30default_config_static_selectorELNS0_4arch9wavefront6targetE1EEEvT1_,@function
_ZN7rocprim17ROCPRIM_400000_NS6detail17trampoline_kernelINS0_14default_configENS1_25partition_config_selectorILNS1_17partition_subalgoE8ElNS0_10empty_typeEbEEZZNS1_14partition_implILS5_8ELb0ES3_jPlPS6_PKS6_NS0_5tupleIJS9_S6_EEENSD_IJSA_SA_EEENS0_18inequality_wrapperIZN2at6native12_GLOBAL__N_124unique_dim_cuda_templateItEESt5tupleIJNSH_6TensorESM_SM_EERKSM_lbbbEUlllE0_EEPmJS6_EEE10hipError_tPvRmT3_T4_T5_T6_T7_T9_mT8_P12ihipStream_tbDpT10_ENKUlT_T0_E_clISt17integral_constantIbLb1EES1B_IbLb0EEEEDaS17_S18_EUlS17_E_NS1_11comp_targetILNS1_3genE5ELNS1_11target_archE942ELNS1_3gpuE9ELNS1_3repE0EEENS1_30default_config_static_selectorELNS0_4arch9wavefront6targetE1EEEvT1_: ; @_ZN7rocprim17ROCPRIM_400000_NS6detail17trampoline_kernelINS0_14default_configENS1_25partition_config_selectorILNS1_17partition_subalgoE8ElNS0_10empty_typeEbEEZZNS1_14partition_implILS5_8ELb0ES3_jPlPS6_PKS6_NS0_5tupleIJS9_S6_EEENSD_IJSA_SA_EEENS0_18inequality_wrapperIZN2at6native12_GLOBAL__N_124unique_dim_cuda_templateItEESt5tupleIJNSH_6TensorESM_SM_EERKSM_lbbbEUlllE0_EEPmJS6_EEE10hipError_tPvRmT3_T4_T5_T6_T7_T9_mT8_P12ihipStream_tbDpT10_ENKUlT_T0_E_clISt17integral_constantIbLb1EES1B_IbLb0EEEEDaS17_S18_EUlS17_E_NS1_11comp_targetILNS1_3genE5ELNS1_11target_archE942ELNS1_3gpuE9ELNS1_3repE0EEENS1_30default_config_static_selectorELNS0_4arch9wavefront6targetE1EEEvT1_
; %bb.0:
	.section	.rodata,"a",@progbits
	.p2align	6, 0x0
	.amdhsa_kernel _ZN7rocprim17ROCPRIM_400000_NS6detail17trampoline_kernelINS0_14default_configENS1_25partition_config_selectorILNS1_17partition_subalgoE8ElNS0_10empty_typeEbEEZZNS1_14partition_implILS5_8ELb0ES3_jPlPS6_PKS6_NS0_5tupleIJS9_S6_EEENSD_IJSA_SA_EEENS0_18inequality_wrapperIZN2at6native12_GLOBAL__N_124unique_dim_cuda_templateItEESt5tupleIJNSH_6TensorESM_SM_EERKSM_lbbbEUlllE0_EEPmJS6_EEE10hipError_tPvRmT3_T4_T5_T6_T7_T9_mT8_P12ihipStream_tbDpT10_ENKUlT_T0_E_clISt17integral_constantIbLb1EES1B_IbLb0EEEEDaS17_S18_EUlS17_E_NS1_11comp_targetILNS1_3genE5ELNS1_11target_archE942ELNS1_3gpuE9ELNS1_3repE0EEENS1_30default_config_static_selectorELNS0_4arch9wavefront6targetE1EEEvT1_
		.amdhsa_group_segment_fixed_size 0
		.amdhsa_private_segment_fixed_size 0
		.amdhsa_kernarg_size 120
		.amdhsa_user_sgpr_count 2
		.amdhsa_user_sgpr_dispatch_ptr 0
		.amdhsa_user_sgpr_queue_ptr 0
		.amdhsa_user_sgpr_kernarg_segment_ptr 1
		.amdhsa_user_sgpr_dispatch_id 0
		.amdhsa_user_sgpr_kernarg_preload_length 0
		.amdhsa_user_sgpr_kernarg_preload_offset 0
		.amdhsa_user_sgpr_private_segment_size 0
		.amdhsa_uses_dynamic_stack 0
		.amdhsa_enable_private_segment 0
		.amdhsa_system_sgpr_workgroup_id_x 1
		.amdhsa_system_sgpr_workgroup_id_y 0
		.amdhsa_system_sgpr_workgroup_id_z 0
		.amdhsa_system_sgpr_workgroup_info 0
		.amdhsa_system_vgpr_workitem_id 0
		.amdhsa_next_free_vgpr 1
		.amdhsa_next_free_sgpr 0
		.amdhsa_accum_offset 4
		.amdhsa_reserve_vcc 0
		.amdhsa_float_round_mode_32 0
		.amdhsa_float_round_mode_16_64 0
		.amdhsa_float_denorm_mode_32 3
		.amdhsa_float_denorm_mode_16_64 3
		.amdhsa_dx10_clamp 1
		.amdhsa_ieee_mode 1
		.amdhsa_fp16_overflow 0
		.amdhsa_tg_split 0
		.amdhsa_exception_fp_ieee_invalid_op 0
		.amdhsa_exception_fp_denorm_src 0
		.amdhsa_exception_fp_ieee_div_zero 0
		.amdhsa_exception_fp_ieee_overflow 0
		.amdhsa_exception_fp_ieee_underflow 0
		.amdhsa_exception_fp_ieee_inexact 0
		.amdhsa_exception_int_div_zero 0
	.end_amdhsa_kernel
	.section	.text._ZN7rocprim17ROCPRIM_400000_NS6detail17trampoline_kernelINS0_14default_configENS1_25partition_config_selectorILNS1_17partition_subalgoE8ElNS0_10empty_typeEbEEZZNS1_14partition_implILS5_8ELb0ES3_jPlPS6_PKS6_NS0_5tupleIJS9_S6_EEENSD_IJSA_SA_EEENS0_18inequality_wrapperIZN2at6native12_GLOBAL__N_124unique_dim_cuda_templateItEESt5tupleIJNSH_6TensorESM_SM_EERKSM_lbbbEUlllE0_EEPmJS6_EEE10hipError_tPvRmT3_T4_T5_T6_T7_T9_mT8_P12ihipStream_tbDpT10_ENKUlT_T0_E_clISt17integral_constantIbLb1EES1B_IbLb0EEEEDaS17_S18_EUlS17_E_NS1_11comp_targetILNS1_3genE5ELNS1_11target_archE942ELNS1_3gpuE9ELNS1_3repE0EEENS1_30default_config_static_selectorELNS0_4arch9wavefront6targetE1EEEvT1_,"axG",@progbits,_ZN7rocprim17ROCPRIM_400000_NS6detail17trampoline_kernelINS0_14default_configENS1_25partition_config_selectorILNS1_17partition_subalgoE8ElNS0_10empty_typeEbEEZZNS1_14partition_implILS5_8ELb0ES3_jPlPS6_PKS6_NS0_5tupleIJS9_S6_EEENSD_IJSA_SA_EEENS0_18inequality_wrapperIZN2at6native12_GLOBAL__N_124unique_dim_cuda_templateItEESt5tupleIJNSH_6TensorESM_SM_EERKSM_lbbbEUlllE0_EEPmJS6_EEE10hipError_tPvRmT3_T4_T5_T6_T7_T9_mT8_P12ihipStream_tbDpT10_ENKUlT_T0_E_clISt17integral_constantIbLb1EES1B_IbLb0EEEEDaS17_S18_EUlS17_E_NS1_11comp_targetILNS1_3genE5ELNS1_11target_archE942ELNS1_3gpuE9ELNS1_3repE0EEENS1_30default_config_static_selectorELNS0_4arch9wavefront6targetE1EEEvT1_,comdat
.Lfunc_end1436:
	.size	_ZN7rocprim17ROCPRIM_400000_NS6detail17trampoline_kernelINS0_14default_configENS1_25partition_config_selectorILNS1_17partition_subalgoE8ElNS0_10empty_typeEbEEZZNS1_14partition_implILS5_8ELb0ES3_jPlPS6_PKS6_NS0_5tupleIJS9_S6_EEENSD_IJSA_SA_EEENS0_18inequality_wrapperIZN2at6native12_GLOBAL__N_124unique_dim_cuda_templateItEESt5tupleIJNSH_6TensorESM_SM_EERKSM_lbbbEUlllE0_EEPmJS6_EEE10hipError_tPvRmT3_T4_T5_T6_T7_T9_mT8_P12ihipStream_tbDpT10_ENKUlT_T0_E_clISt17integral_constantIbLb1EES1B_IbLb0EEEEDaS17_S18_EUlS17_E_NS1_11comp_targetILNS1_3genE5ELNS1_11target_archE942ELNS1_3gpuE9ELNS1_3repE0EEENS1_30default_config_static_selectorELNS0_4arch9wavefront6targetE1EEEvT1_, .Lfunc_end1436-_ZN7rocprim17ROCPRIM_400000_NS6detail17trampoline_kernelINS0_14default_configENS1_25partition_config_selectorILNS1_17partition_subalgoE8ElNS0_10empty_typeEbEEZZNS1_14partition_implILS5_8ELb0ES3_jPlPS6_PKS6_NS0_5tupleIJS9_S6_EEENSD_IJSA_SA_EEENS0_18inequality_wrapperIZN2at6native12_GLOBAL__N_124unique_dim_cuda_templateItEESt5tupleIJNSH_6TensorESM_SM_EERKSM_lbbbEUlllE0_EEPmJS6_EEE10hipError_tPvRmT3_T4_T5_T6_T7_T9_mT8_P12ihipStream_tbDpT10_ENKUlT_T0_E_clISt17integral_constantIbLb1EES1B_IbLb0EEEEDaS17_S18_EUlS17_E_NS1_11comp_targetILNS1_3genE5ELNS1_11target_archE942ELNS1_3gpuE9ELNS1_3repE0EEENS1_30default_config_static_selectorELNS0_4arch9wavefront6targetE1EEEvT1_
                                        ; -- End function
	.set _ZN7rocprim17ROCPRIM_400000_NS6detail17trampoline_kernelINS0_14default_configENS1_25partition_config_selectorILNS1_17partition_subalgoE8ElNS0_10empty_typeEbEEZZNS1_14partition_implILS5_8ELb0ES3_jPlPS6_PKS6_NS0_5tupleIJS9_S6_EEENSD_IJSA_SA_EEENS0_18inequality_wrapperIZN2at6native12_GLOBAL__N_124unique_dim_cuda_templateItEESt5tupleIJNSH_6TensorESM_SM_EERKSM_lbbbEUlllE0_EEPmJS6_EEE10hipError_tPvRmT3_T4_T5_T6_T7_T9_mT8_P12ihipStream_tbDpT10_ENKUlT_T0_E_clISt17integral_constantIbLb1EES1B_IbLb0EEEEDaS17_S18_EUlS17_E_NS1_11comp_targetILNS1_3genE5ELNS1_11target_archE942ELNS1_3gpuE9ELNS1_3repE0EEENS1_30default_config_static_selectorELNS0_4arch9wavefront6targetE1EEEvT1_.num_vgpr, 0
	.set _ZN7rocprim17ROCPRIM_400000_NS6detail17trampoline_kernelINS0_14default_configENS1_25partition_config_selectorILNS1_17partition_subalgoE8ElNS0_10empty_typeEbEEZZNS1_14partition_implILS5_8ELb0ES3_jPlPS6_PKS6_NS0_5tupleIJS9_S6_EEENSD_IJSA_SA_EEENS0_18inequality_wrapperIZN2at6native12_GLOBAL__N_124unique_dim_cuda_templateItEESt5tupleIJNSH_6TensorESM_SM_EERKSM_lbbbEUlllE0_EEPmJS6_EEE10hipError_tPvRmT3_T4_T5_T6_T7_T9_mT8_P12ihipStream_tbDpT10_ENKUlT_T0_E_clISt17integral_constantIbLb1EES1B_IbLb0EEEEDaS17_S18_EUlS17_E_NS1_11comp_targetILNS1_3genE5ELNS1_11target_archE942ELNS1_3gpuE9ELNS1_3repE0EEENS1_30default_config_static_selectorELNS0_4arch9wavefront6targetE1EEEvT1_.num_agpr, 0
	.set _ZN7rocprim17ROCPRIM_400000_NS6detail17trampoline_kernelINS0_14default_configENS1_25partition_config_selectorILNS1_17partition_subalgoE8ElNS0_10empty_typeEbEEZZNS1_14partition_implILS5_8ELb0ES3_jPlPS6_PKS6_NS0_5tupleIJS9_S6_EEENSD_IJSA_SA_EEENS0_18inequality_wrapperIZN2at6native12_GLOBAL__N_124unique_dim_cuda_templateItEESt5tupleIJNSH_6TensorESM_SM_EERKSM_lbbbEUlllE0_EEPmJS6_EEE10hipError_tPvRmT3_T4_T5_T6_T7_T9_mT8_P12ihipStream_tbDpT10_ENKUlT_T0_E_clISt17integral_constantIbLb1EES1B_IbLb0EEEEDaS17_S18_EUlS17_E_NS1_11comp_targetILNS1_3genE5ELNS1_11target_archE942ELNS1_3gpuE9ELNS1_3repE0EEENS1_30default_config_static_selectorELNS0_4arch9wavefront6targetE1EEEvT1_.numbered_sgpr, 0
	.set _ZN7rocprim17ROCPRIM_400000_NS6detail17trampoline_kernelINS0_14default_configENS1_25partition_config_selectorILNS1_17partition_subalgoE8ElNS0_10empty_typeEbEEZZNS1_14partition_implILS5_8ELb0ES3_jPlPS6_PKS6_NS0_5tupleIJS9_S6_EEENSD_IJSA_SA_EEENS0_18inequality_wrapperIZN2at6native12_GLOBAL__N_124unique_dim_cuda_templateItEESt5tupleIJNSH_6TensorESM_SM_EERKSM_lbbbEUlllE0_EEPmJS6_EEE10hipError_tPvRmT3_T4_T5_T6_T7_T9_mT8_P12ihipStream_tbDpT10_ENKUlT_T0_E_clISt17integral_constantIbLb1EES1B_IbLb0EEEEDaS17_S18_EUlS17_E_NS1_11comp_targetILNS1_3genE5ELNS1_11target_archE942ELNS1_3gpuE9ELNS1_3repE0EEENS1_30default_config_static_selectorELNS0_4arch9wavefront6targetE1EEEvT1_.num_named_barrier, 0
	.set _ZN7rocprim17ROCPRIM_400000_NS6detail17trampoline_kernelINS0_14default_configENS1_25partition_config_selectorILNS1_17partition_subalgoE8ElNS0_10empty_typeEbEEZZNS1_14partition_implILS5_8ELb0ES3_jPlPS6_PKS6_NS0_5tupleIJS9_S6_EEENSD_IJSA_SA_EEENS0_18inequality_wrapperIZN2at6native12_GLOBAL__N_124unique_dim_cuda_templateItEESt5tupleIJNSH_6TensorESM_SM_EERKSM_lbbbEUlllE0_EEPmJS6_EEE10hipError_tPvRmT3_T4_T5_T6_T7_T9_mT8_P12ihipStream_tbDpT10_ENKUlT_T0_E_clISt17integral_constantIbLb1EES1B_IbLb0EEEEDaS17_S18_EUlS17_E_NS1_11comp_targetILNS1_3genE5ELNS1_11target_archE942ELNS1_3gpuE9ELNS1_3repE0EEENS1_30default_config_static_selectorELNS0_4arch9wavefront6targetE1EEEvT1_.private_seg_size, 0
	.set _ZN7rocprim17ROCPRIM_400000_NS6detail17trampoline_kernelINS0_14default_configENS1_25partition_config_selectorILNS1_17partition_subalgoE8ElNS0_10empty_typeEbEEZZNS1_14partition_implILS5_8ELb0ES3_jPlPS6_PKS6_NS0_5tupleIJS9_S6_EEENSD_IJSA_SA_EEENS0_18inequality_wrapperIZN2at6native12_GLOBAL__N_124unique_dim_cuda_templateItEESt5tupleIJNSH_6TensorESM_SM_EERKSM_lbbbEUlllE0_EEPmJS6_EEE10hipError_tPvRmT3_T4_T5_T6_T7_T9_mT8_P12ihipStream_tbDpT10_ENKUlT_T0_E_clISt17integral_constantIbLb1EES1B_IbLb0EEEEDaS17_S18_EUlS17_E_NS1_11comp_targetILNS1_3genE5ELNS1_11target_archE942ELNS1_3gpuE9ELNS1_3repE0EEENS1_30default_config_static_selectorELNS0_4arch9wavefront6targetE1EEEvT1_.uses_vcc, 0
	.set _ZN7rocprim17ROCPRIM_400000_NS6detail17trampoline_kernelINS0_14default_configENS1_25partition_config_selectorILNS1_17partition_subalgoE8ElNS0_10empty_typeEbEEZZNS1_14partition_implILS5_8ELb0ES3_jPlPS6_PKS6_NS0_5tupleIJS9_S6_EEENSD_IJSA_SA_EEENS0_18inequality_wrapperIZN2at6native12_GLOBAL__N_124unique_dim_cuda_templateItEESt5tupleIJNSH_6TensorESM_SM_EERKSM_lbbbEUlllE0_EEPmJS6_EEE10hipError_tPvRmT3_T4_T5_T6_T7_T9_mT8_P12ihipStream_tbDpT10_ENKUlT_T0_E_clISt17integral_constantIbLb1EES1B_IbLb0EEEEDaS17_S18_EUlS17_E_NS1_11comp_targetILNS1_3genE5ELNS1_11target_archE942ELNS1_3gpuE9ELNS1_3repE0EEENS1_30default_config_static_selectorELNS0_4arch9wavefront6targetE1EEEvT1_.uses_flat_scratch, 0
	.set _ZN7rocprim17ROCPRIM_400000_NS6detail17trampoline_kernelINS0_14default_configENS1_25partition_config_selectorILNS1_17partition_subalgoE8ElNS0_10empty_typeEbEEZZNS1_14partition_implILS5_8ELb0ES3_jPlPS6_PKS6_NS0_5tupleIJS9_S6_EEENSD_IJSA_SA_EEENS0_18inequality_wrapperIZN2at6native12_GLOBAL__N_124unique_dim_cuda_templateItEESt5tupleIJNSH_6TensorESM_SM_EERKSM_lbbbEUlllE0_EEPmJS6_EEE10hipError_tPvRmT3_T4_T5_T6_T7_T9_mT8_P12ihipStream_tbDpT10_ENKUlT_T0_E_clISt17integral_constantIbLb1EES1B_IbLb0EEEEDaS17_S18_EUlS17_E_NS1_11comp_targetILNS1_3genE5ELNS1_11target_archE942ELNS1_3gpuE9ELNS1_3repE0EEENS1_30default_config_static_selectorELNS0_4arch9wavefront6targetE1EEEvT1_.has_dyn_sized_stack, 0
	.set _ZN7rocprim17ROCPRIM_400000_NS6detail17trampoline_kernelINS0_14default_configENS1_25partition_config_selectorILNS1_17partition_subalgoE8ElNS0_10empty_typeEbEEZZNS1_14partition_implILS5_8ELb0ES3_jPlPS6_PKS6_NS0_5tupleIJS9_S6_EEENSD_IJSA_SA_EEENS0_18inequality_wrapperIZN2at6native12_GLOBAL__N_124unique_dim_cuda_templateItEESt5tupleIJNSH_6TensorESM_SM_EERKSM_lbbbEUlllE0_EEPmJS6_EEE10hipError_tPvRmT3_T4_T5_T6_T7_T9_mT8_P12ihipStream_tbDpT10_ENKUlT_T0_E_clISt17integral_constantIbLb1EES1B_IbLb0EEEEDaS17_S18_EUlS17_E_NS1_11comp_targetILNS1_3genE5ELNS1_11target_archE942ELNS1_3gpuE9ELNS1_3repE0EEENS1_30default_config_static_selectorELNS0_4arch9wavefront6targetE1EEEvT1_.has_recursion, 0
	.set _ZN7rocprim17ROCPRIM_400000_NS6detail17trampoline_kernelINS0_14default_configENS1_25partition_config_selectorILNS1_17partition_subalgoE8ElNS0_10empty_typeEbEEZZNS1_14partition_implILS5_8ELb0ES3_jPlPS6_PKS6_NS0_5tupleIJS9_S6_EEENSD_IJSA_SA_EEENS0_18inequality_wrapperIZN2at6native12_GLOBAL__N_124unique_dim_cuda_templateItEESt5tupleIJNSH_6TensorESM_SM_EERKSM_lbbbEUlllE0_EEPmJS6_EEE10hipError_tPvRmT3_T4_T5_T6_T7_T9_mT8_P12ihipStream_tbDpT10_ENKUlT_T0_E_clISt17integral_constantIbLb1EES1B_IbLb0EEEEDaS17_S18_EUlS17_E_NS1_11comp_targetILNS1_3genE5ELNS1_11target_archE942ELNS1_3gpuE9ELNS1_3repE0EEENS1_30default_config_static_selectorELNS0_4arch9wavefront6targetE1EEEvT1_.has_indirect_call, 0
	.section	.AMDGPU.csdata,"",@progbits
; Kernel info:
; codeLenInByte = 0
; TotalNumSgprs: 6
; NumVgprs: 0
; NumAgprs: 0
; TotalNumVgprs: 0
; ScratchSize: 0
; MemoryBound: 0
; FloatMode: 240
; IeeeMode: 1
; LDSByteSize: 0 bytes/workgroup (compile time only)
; SGPRBlocks: 0
; VGPRBlocks: 0
; NumSGPRsForWavesPerEU: 6
; NumVGPRsForWavesPerEU: 1
; AccumOffset: 4
; Occupancy: 8
; WaveLimiterHint : 0
; COMPUTE_PGM_RSRC2:SCRATCH_EN: 0
; COMPUTE_PGM_RSRC2:USER_SGPR: 2
; COMPUTE_PGM_RSRC2:TRAP_HANDLER: 0
; COMPUTE_PGM_RSRC2:TGID_X_EN: 1
; COMPUTE_PGM_RSRC2:TGID_Y_EN: 0
; COMPUTE_PGM_RSRC2:TGID_Z_EN: 0
; COMPUTE_PGM_RSRC2:TIDIG_COMP_CNT: 0
; COMPUTE_PGM_RSRC3_GFX90A:ACCUM_OFFSET: 0
; COMPUTE_PGM_RSRC3_GFX90A:TG_SPLIT: 0
	.section	.text._ZN7rocprim17ROCPRIM_400000_NS6detail17trampoline_kernelINS0_14default_configENS1_25partition_config_selectorILNS1_17partition_subalgoE8ElNS0_10empty_typeEbEEZZNS1_14partition_implILS5_8ELb0ES3_jPlPS6_PKS6_NS0_5tupleIJS9_S6_EEENSD_IJSA_SA_EEENS0_18inequality_wrapperIZN2at6native12_GLOBAL__N_124unique_dim_cuda_templateItEESt5tupleIJNSH_6TensorESM_SM_EERKSM_lbbbEUlllE0_EEPmJS6_EEE10hipError_tPvRmT3_T4_T5_T6_T7_T9_mT8_P12ihipStream_tbDpT10_ENKUlT_T0_E_clISt17integral_constantIbLb1EES1B_IbLb0EEEEDaS17_S18_EUlS17_E_NS1_11comp_targetILNS1_3genE4ELNS1_11target_archE910ELNS1_3gpuE8ELNS1_3repE0EEENS1_30default_config_static_selectorELNS0_4arch9wavefront6targetE1EEEvT1_,"axG",@progbits,_ZN7rocprim17ROCPRIM_400000_NS6detail17trampoline_kernelINS0_14default_configENS1_25partition_config_selectorILNS1_17partition_subalgoE8ElNS0_10empty_typeEbEEZZNS1_14partition_implILS5_8ELb0ES3_jPlPS6_PKS6_NS0_5tupleIJS9_S6_EEENSD_IJSA_SA_EEENS0_18inequality_wrapperIZN2at6native12_GLOBAL__N_124unique_dim_cuda_templateItEESt5tupleIJNSH_6TensorESM_SM_EERKSM_lbbbEUlllE0_EEPmJS6_EEE10hipError_tPvRmT3_T4_T5_T6_T7_T9_mT8_P12ihipStream_tbDpT10_ENKUlT_T0_E_clISt17integral_constantIbLb1EES1B_IbLb0EEEEDaS17_S18_EUlS17_E_NS1_11comp_targetILNS1_3genE4ELNS1_11target_archE910ELNS1_3gpuE8ELNS1_3repE0EEENS1_30default_config_static_selectorELNS0_4arch9wavefront6targetE1EEEvT1_,comdat
	.globl	_ZN7rocprim17ROCPRIM_400000_NS6detail17trampoline_kernelINS0_14default_configENS1_25partition_config_selectorILNS1_17partition_subalgoE8ElNS0_10empty_typeEbEEZZNS1_14partition_implILS5_8ELb0ES3_jPlPS6_PKS6_NS0_5tupleIJS9_S6_EEENSD_IJSA_SA_EEENS0_18inequality_wrapperIZN2at6native12_GLOBAL__N_124unique_dim_cuda_templateItEESt5tupleIJNSH_6TensorESM_SM_EERKSM_lbbbEUlllE0_EEPmJS6_EEE10hipError_tPvRmT3_T4_T5_T6_T7_T9_mT8_P12ihipStream_tbDpT10_ENKUlT_T0_E_clISt17integral_constantIbLb1EES1B_IbLb0EEEEDaS17_S18_EUlS17_E_NS1_11comp_targetILNS1_3genE4ELNS1_11target_archE910ELNS1_3gpuE8ELNS1_3repE0EEENS1_30default_config_static_selectorELNS0_4arch9wavefront6targetE1EEEvT1_ ; -- Begin function _ZN7rocprim17ROCPRIM_400000_NS6detail17trampoline_kernelINS0_14default_configENS1_25partition_config_selectorILNS1_17partition_subalgoE8ElNS0_10empty_typeEbEEZZNS1_14partition_implILS5_8ELb0ES3_jPlPS6_PKS6_NS0_5tupleIJS9_S6_EEENSD_IJSA_SA_EEENS0_18inequality_wrapperIZN2at6native12_GLOBAL__N_124unique_dim_cuda_templateItEESt5tupleIJNSH_6TensorESM_SM_EERKSM_lbbbEUlllE0_EEPmJS6_EEE10hipError_tPvRmT3_T4_T5_T6_T7_T9_mT8_P12ihipStream_tbDpT10_ENKUlT_T0_E_clISt17integral_constantIbLb1EES1B_IbLb0EEEEDaS17_S18_EUlS17_E_NS1_11comp_targetILNS1_3genE4ELNS1_11target_archE910ELNS1_3gpuE8ELNS1_3repE0EEENS1_30default_config_static_selectorELNS0_4arch9wavefront6targetE1EEEvT1_
	.p2align	8
	.type	_ZN7rocprim17ROCPRIM_400000_NS6detail17trampoline_kernelINS0_14default_configENS1_25partition_config_selectorILNS1_17partition_subalgoE8ElNS0_10empty_typeEbEEZZNS1_14partition_implILS5_8ELb0ES3_jPlPS6_PKS6_NS0_5tupleIJS9_S6_EEENSD_IJSA_SA_EEENS0_18inequality_wrapperIZN2at6native12_GLOBAL__N_124unique_dim_cuda_templateItEESt5tupleIJNSH_6TensorESM_SM_EERKSM_lbbbEUlllE0_EEPmJS6_EEE10hipError_tPvRmT3_T4_T5_T6_T7_T9_mT8_P12ihipStream_tbDpT10_ENKUlT_T0_E_clISt17integral_constantIbLb1EES1B_IbLb0EEEEDaS17_S18_EUlS17_E_NS1_11comp_targetILNS1_3genE4ELNS1_11target_archE910ELNS1_3gpuE8ELNS1_3repE0EEENS1_30default_config_static_selectorELNS0_4arch9wavefront6targetE1EEEvT1_,@function
_ZN7rocprim17ROCPRIM_400000_NS6detail17trampoline_kernelINS0_14default_configENS1_25partition_config_selectorILNS1_17partition_subalgoE8ElNS0_10empty_typeEbEEZZNS1_14partition_implILS5_8ELb0ES3_jPlPS6_PKS6_NS0_5tupleIJS9_S6_EEENSD_IJSA_SA_EEENS0_18inequality_wrapperIZN2at6native12_GLOBAL__N_124unique_dim_cuda_templateItEESt5tupleIJNSH_6TensorESM_SM_EERKSM_lbbbEUlllE0_EEPmJS6_EEE10hipError_tPvRmT3_T4_T5_T6_T7_T9_mT8_P12ihipStream_tbDpT10_ENKUlT_T0_E_clISt17integral_constantIbLb1EES1B_IbLb0EEEEDaS17_S18_EUlS17_E_NS1_11comp_targetILNS1_3genE4ELNS1_11target_archE910ELNS1_3gpuE8ELNS1_3repE0EEENS1_30default_config_static_selectorELNS0_4arch9wavefront6targetE1EEEvT1_: ; @_ZN7rocprim17ROCPRIM_400000_NS6detail17trampoline_kernelINS0_14default_configENS1_25partition_config_selectorILNS1_17partition_subalgoE8ElNS0_10empty_typeEbEEZZNS1_14partition_implILS5_8ELb0ES3_jPlPS6_PKS6_NS0_5tupleIJS9_S6_EEENSD_IJSA_SA_EEENS0_18inequality_wrapperIZN2at6native12_GLOBAL__N_124unique_dim_cuda_templateItEESt5tupleIJNSH_6TensorESM_SM_EERKSM_lbbbEUlllE0_EEPmJS6_EEE10hipError_tPvRmT3_T4_T5_T6_T7_T9_mT8_P12ihipStream_tbDpT10_ENKUlT_T0_E_clISt17integral_constantIbLb1EES1B_IbLb0EEEEDaS17_S18_EUlS17_E_NS1_11comp_targetILNS1_3genE4ELNS1_11target_archE910ELNS1_3gpuE8ELNS1_3repE0EEENS1_30default_config_static_selectorELNS0_4arch9wavefront6targetE1EEEvT1_
; %bb.0:
	.section	.rodata,"a",@progbits
	.p2align	6, 0x0
	.amdhsa_kernel _ZN7rocprim17ROCPRIM_400000_NS6detail17trampoline_kernelINS0_14default_configENS1_25partition_config_selectorILNS1_17partition_subalgoE8ElNS0_10empty_typeEbEEZZNS1_14partition_implILS5_8ELb0ES3_jPlPS6_PKS6_NS0_5tupleIJS9_S6_EEENSD_IJSA_SA_EEENS0_18inequality_wrapperIZN2at6native12_GLOBAL__N_124unique_dim_cuda_templateItEESt5tupleIJNSH_6TensorESM_SM_EERKSM_lbbbEUlllE0_EEPmJS6_EEE10hipError_tPvRmT3_T4_T5_T6_T7_T9_mT8_P12ihipStream_tbDpT10_ENKUlT_T0_E_clISt17integral_constantIbLb1EES1B_IbLb0EEEEDaS17_S18_EUlS17_E_NS1_11comp_targetILNS1_3genE4ELNS1_11target_archE910ELNS1_3gpuE8ELNS1_3repE0EEENS1_30default_config_static_selectorELNS0_4arch9wavefront6targetE1EEEvT1_
		.amdhsa_group_segment_fixed_size 0
		.amdhsa_private_segment_fixed_size 0
		.amdhsa_kernarg_size 120
		.amdhsa_user_sgpr_count 2
		.amdhsa_user_sgpr_dispatch_ptr 0
		.amdhsa_user_sgpr_queue_ptr 0
		.amdhsa_user_sgpr_kernarg_segment_ptr 1
		.amdhsa_user_sgpr_dispatch_id 0
		.amdhsa_user_sgpr_kernarg_preload_length 0
		.amdhsa_user_sgpr_kernarg_preload_offset 0
		.amdhsa_user_sgpr_private_segment_size 0
		.amdhsa_uses_dynamic_stack 0
		.amdhsa_enable_private_segment 0
		.amdhsa_system_sgpr_workgroup_id_x 1
		.amdhsa_system_sgpr_workgroup_id_y 0
		.amdhsa_system_sgpr_workgroup_id_z 0
		.amdhsa_system_sgpr_workgroup_info 0
		.amdhsa_system_vgpr_workitem_id 0
		.amdhsa_next_free_vgpr 1
		.amdhsa_next_free_sgpr 0
		.amdhsa_accum_offset 4
		.amdhsa_reserve_vcc 0
		.amdhsa_float_round_mode_32 0
		.amdhsa_float_round_mode_16_64 0
		.amdhsa_float_denorm_mode_32 3
		.amdhsa_float_denorm_mode_16_64 3
		.amdhsa_dx10_clamp 1
		.amdhsa_ieee_mode 1
		.amdhsa_fp16_overflow 0
		.amdhsa_tg_split 0
		.amdhsa_exception_fp_ieee_invalid_op 0
		.amdhsa_exception_fp_denorm_src 0
		.amdhsa_exception_fp_ieee_div_zero 0
		.amdhsa_exception_fp_ieee_overflow 0
		.amdhsa_exception_fp_ieee_underflow 0
		.amdhsa_exception_fp_ieee_inexact 0
		.amdhsa_exception_int_div_zero 0
	.end_amdhsa_kernel
	.section	.text._ZN7rocprim17ROCPRIM_400000_NS6detail17trampoline_kernelINS0_14default_configENS1_25partition_config_selectorILNS1_17partition_subalgoE8ElNS0_10empty_typeEbEEZZNS1_14partition_implILS5_8ELb0ES3_jPlPS6_PKS6_NS0_5tupleIJS9_S6_EEENSD_IJSA_SA_EEENS0_18inequality_wrapperIZN2at6native12_GLOBAL__N_124unique_dim_cuda_templateItEESt5tupleIJNSH_6TensorESM_SM_EERKSM_lbbbEUlllE0_EEPmJS6_EEE10hipError_tPvRmT3_T4_T5_T6_T7_T9_mT8_P12ihipStream_tbDpT10_ENKUlT_T0_E_clISt17integral_constantIbLb1EES1B_IbLb0EEEEDaS17_S18_EUlS17_E_NS1_11comp_targetILNS1_3genE4ELNS1_11target_archE910ELNS1_3gpuE8ELNS1_3repE0EEENS1_30default_config_static_selectorELNS0_4arch9wavefront6targetE1EEEvT1_,"axG",@progbits,_ZN7rocprim17ROCPRIM_400000_NS6detail17trampoline_kernelINS0_14default_configENS1_25partition_config_selectorILNS1_17partition_subalgoE8ElNS0_10empty_typeEbEEZZNS1_14partition_implILS5_8ELb0ES3_jPlPS6_PKS6_NS0_5tupleIJS9_S6_EEENSD_IJSA_SA_EEENS0_18inequality_wrapperIZN2at6native12_GLOBAL__N_124unique_dim_cuda_templateItEESt5tupleIJNSH_6TensorESM_SM_EERKSM_lbbbEUlllE0_EEPmJS6_EEE10hipError_tPvRmT3_T4_T5_T6_T7_T9_mT8_P12ihipStream_tbDpT10_ENKUlT_T0_E_clISt17integral_constantIbLb1EES1B_IbLb0EEEEDaS17_S18_EUlS17_E_NS1_11comp_targetILNS1_3genE4ELNS1_11target_archE910ELNS1_3gpuE8ELNS1_3repE0EEENS1_30default_config_static_selectorELNS0_4arch9wavefront6targetE1EEEvT1_,comdat
.Lfunc_end1437:
	.size	_ZN7rocprim17ROCPRIM_400000_NS6detail17trampoline_kernelINS0_14default_configENS1_25partition_config_selectorILNS1_17partition_subalgoE8ElNS0_10empty_typeEbEEZZNS1_14partition_implILS5_8ELb0ES3_jPlPS6_PKS6_NS0_5tupleIJS9_S6_EEENSD_IJSA_SA_EEENS0_18inequality_wrapperIZN2at6native12_GLOBAL__N_124unique_dim_cuda_templateItEESt5tupleIJNSH_6TensorESM_SM_EERKSM_lbbbEUlllE0_EEPmJS6_EEE10hipError_tPvRmT3_T4_T5_T6_T7_T9_mT8_P12ihipStream_tbDpT10_ENKUlT_T0_E_clISt17integral_constantIbLb1EES1B_IbLb0EEEEDaS17_S18_EUlS17_E_NS1_11comp_targetILNS1_3genE4ELNS1_11target_archE910ELNS1_3gpuE8ELNS1_3repE0EEENS1_30default_config_static_selectorELNS0_4arch9wavefront6targetE1EEEvT1_, .Lfunc_end1437-_ZN7rocprim17ROCPRIM_400000_NS6detail17trampoline_kernelINS0_14default_configENS1_25partition_config_selectorILNS1_17partition_subalgoE8ElNS0_10empty_typeEbEEZZNS1_14partition_implILS5_8ELb0ES3_jPlPS6_PKS6_NS0_5tupleIJS9_S6_EEENSD_IJSA_SA_EEENS0_18inequality_wrapperIZN2at6native12_GLOBAL__N_124unique_dim_cuda_templateItEESt5tupleIJNSH_6TensorESM_SM_EERKSM_lbbbEUlllE0_EEPmJS6_EEE10hipError_tPvRmT3_T4_T5_T6_T7_T9_mT8_P12ihipStream_tbDpT10_ENKUlT_T0_E_clISt17integral_constantIbLb1EES1B_IbLb0EEEEDaS17_S18_EUlS17_E_NS1_11comp_targetILNS1_3genE4ELNS1_11target_archE910ELNS1_3gpuE8ELNS1_3repE0EEENS1_30default_config_static_selectorELNS0_4arch9wavefront6targetE1EEEvT1_
                                        ; -- End function
	.set _ZN7rocprim17ROCPRIM_400000_NS6detail17trampoline_kernelINS0_14default_configENS1_25partition_config_selectorILNS1_17partition_subalgoE8ElNS0_10empty_typeEbEEZZNS1_14partition_implILS5_8ELb0ES3_jPlPS6_PKS6_NS0_5tupleIJS9_S6_EEENSD_IJSA_SA_EEENS0_18inequality_wrapperIZN2at6native12_GLOBAL__N_124unique_dim_cuda_templateItEESt5tupleIJNSH_6TensorESM_SM_EERKSM_lbbbEUlllE0_EEPmJS6_EEE10hipError_tPvRmT3_T4_T5_T6_T7_T9_mT8_P12ihipStream_tbDpT10_ENKUlT_T0_E_clISt17integral_constantIbLb1EES1B_IbLb0EEEEDaS17_S18_EUlS17_E_NS1_11comp_targetILNS1_3genE4ELNS1_11target_archE910ELNS1_3gpuE8ELNS1_3repE0EEENS1_30default_config_static_selectorELNS0_4arch9wavefront6targetE1EEEvT1_.num_vgpr, 0
	.set _ZN7rocprim17ROCPRIM_400000_NS6detail17trampoline_kernelINS0_14default_configENS1_25partition_config_selectorILNS1_17partition_subalgoE8ElNS0_10empty_typeEbEEZZNS1_14partition_implILS5_8ELb0ES3_jPlPS6_PKS6_NS0_5tupleIJS9_S6_EEENSD_IJSA_SA_EEENS0_18inequality_wrapperIZN2at6native12_GLOBAL__N_124unique_dim_cuda_templateItEESt5tupleIJNSH_6TensorESM_SM_EERKSM_lbbbEUlllE0_EEPmJS6_EEE10hipError_tPvRmT3_T4_T5_T6_T7_T9_mT8_P12ihipStream_tbDpT10_ENKUlT_T0_E_clISt17integral_constantIbLb1EES1B_IbLb0EEEEDaS17_S18_EUlS17_E_NS1_11comp_targetILNS1_3genE4ELNS1_11target_archE910ELNS1_3gpuE8ELNS1_3repE0EEENS1_30default_config_static_selectorELNS0_4arch9wavefront6targetE1EEEvT1_.num_agpr, 0
	.set _ZN7rocprim17ROCPRIM_400000_NS6detail17trampoline_kernelINS0_14default_configENS1_25partition_config_selectorILNS1_17partition_subalgoE8ElNS0_10empty_typeEbEEZZNS1_14partition_implILS5_8ELb0ES3_jPlPS6_PKS6_NS0_5tupleIJS9_S6_EEENSD_IJSA_SA_EEENS0_18inequality_wrapperIZN2at6native12_GLOBAL__N_124unique_dim_cuda_templateItEESt5tupleIJNSH_6TensorESM_SM_EERKSM_lbbbEUlllE0_EEPmJS6_EEE10hipError_tPvRmT3_T4_T5_T6_T7_T9_mT8_P12ihipStream_tbDpT10_ENKUlT_T0_E_clISt17integral_constantIbLb1EES1B_IbLb0EEEEDaS17_S18_EUlS17_E_NS1_11comp_targetILNS1_3genE4ELNS1_11target_archE910ELNS1_3gpuE8ELNS1_3repE0EEENS1_30default_config_static_selectorELNS0_4arch9wavefront6targetE1EEEvT1_.numbered_sgpr, 0
	.set _ZN7rocprim17ROCPRIM_400000_NS6detail17trampoline_kernelINS0_14default_configENS1_25partition_config_selectorILNS1_17partition_subalgoE8ElNS0_10empty_typeEbEEZZNS1_14partition_implILS5_8ELb0ES3_jPlPS6_PKS6_NS0_5tupleIJS9_S6_EEENSD_IJSA_SA_EEENS0_18inequality_wrapperIZN2at6native12_GLOBAL__N_124unique_dim_cuda_templateItEESt5tupleIJNSH_6TensorESM_SM_EERKSM_lbbbEUlllE0_EEPmJS6_EEE10hipError_tPvRmT3_T4_T5_T6_T7_T9_mT8_P12ihipStream_tbDpT10_ENKUlT_T0_E_clISt17integral_constantIbLb1EES1B_IbLb0EEEEDaS17_S18_EUlS17_E_NS1_11comp_targetILNS1_3genE4ELNS1_11target_archE910ELNS1_3gpuE8ELNS1_3repE0EEENS1_30default_config_static_selectorELNS0_4arch9wavefront6targetE1EEEvT1_.num_named_barrier, 0
	.set _ZN7rocprim17ROCPRIM_400000_NS6detail17trampoline_kernelINS0_14default_configENS1_25partition_config_selectorILNS1_17partition_subalgoE8ElNS0_10empty_typeEbEEZZNS1_14partition_implILS5_8ELb0ES3_jPlPS6_PKS6_NS0_5tupleIJS9_S6_EEENSD_IJSA_SA_EEENS0_18inequality_wrapperIZN2at6native12_GLOBAL__N_124unique_dim_cuda_templateItEESt5tupleIJNSH_6TensorESM_SM_EERKSM_lbbbEUlllE0_EEPmJS6_EEE10hipError_tPvRmT3_T4_T5_T6_T7_T9_mT8_P12ihipStream_tbDpT10_ENKUlT_T0_E_clISt17integral_constantIbLb1EES1B_IbLb0EEEEDaS17_S18_EUlS17_E_NS1_11comp_targetILNS1_3genE4ELNS1_11target_archE910ELNS1_3gpuE8ELNS1_3repE0EEENS1_30default_config_static_selectorELNS0_4arch9wavefront6targetE1EEEvT1_.private_seg_size, 0
	.set _ZN7rocprim17ROCPRIM_400000_NS6detail17trampoline_kernelINS0_14default_configENS1_25partition_config_selectorILNS1_17partition_subalgoE8ElNS0_10empty_typeEbEEZZNS1_14partition_implILS5_8ELb0ES3_jPlPS6_PKS6_NS0_5tupleIJS9_S6_EEENSD_IJSA_SA_EEENS0_18inequality_wrapperIZN2at6native12_GLOBAL__N_124unique_dim_cuda_templateItEESt5tupleIJNSH_6TensorESM_SM_EERKSM_lbbbEUlllE0_EEPmJS6_EEE10hipError_tPvRmT3_T4_T5_T6_T7_T9_mT8_P12ihipStream_tbDpT10_ENKUlT_T0_E_clISt17integral_constantIbLb1EES1B_IbLb0EEEEDaS17_S18_EUlS17_E_NS1_11comp_targetILNS1_3genE4ELNS1_11target_archE910ELNS1_3gpuE8ELNS1_3repE0EEENS1_30default_config_static_selectorELNS0_4arch9wavefront6targetE1EEEvT1_.uses_vcc, 0
	.set _ZN7rocprim17ROCPRIM_400000_NS6detail17trampoline_kernelINS0_14default_configENS1_25partition_config_selectorILNS1_17partition_subalgoE8ElNS0_10empty_typeEbEEZZNS1_14partition_implILS5_8ELb0ES3_jPlPS6_PKS6_NS0_5tupleIJS9_S6_EEENSD_IJSA_SA_EEENS0_18inequality_wrapperIZN2at6native12_GLOBAL__N_124unique_dim_cuda_templateItEESt5tupleIJNSH_6TensorESM_SM_EERKSM_lbbbEUlllE0_EEPmJS6_EEE10hipError_tPvRmT3_T4_T5_T6_T7_T9_mT8_P12ihipStream_tbDpT10_ENKUlT_T0_E_clISt17integral_constantIbLb1EES1B_IbLb0EEEEDaS17_S18_EUlS17_E_NS1_11comp_targetILNS1_3genE4ELNS1_11target_archE910ELNS1_3gpuE8ELNS1_3repE0EEENS1_30default_config_static_selectorELNS0_4arch9wavefront6targetE1EEEvT1_.uses_flat_scratch, 0
	.set _ZN7rocprim17ROCPRIM_400000_NS6detail17trampoline_kernelINS0_14default_configENS1_25partition_config_selectorILNS1_17partition_subalgoE8ElNS0_10empty_typeEbEEZZNS1_14partition_implILS5_8ELb0ES3_jPlPS6_PKS6_NS0_5tupleIJS9_S6_EEENSD_IJSA_SA_EEENS0_18inequality_wrapperIZN2at6native12_GLOBAL__N_124unique_dim_cuda_templateItEESt5tupleIJNSH_6TensorESM_SM_EERKSM_lbbbEUlllE0_EEPmJS6_EEE10hipError_tPvRmT3_T4_T5_T6_T7_T9_mT8_P12ihipStream_tbDpT10_ENKUlT_T0_E_clISt17integral_constantIbLb1EES1B_IbLb0EEEEDaS17_S18_EUlS17_E_NS1_11comp_targetILNS1_3genE4ELNS1_11target_archE910ELNS1_3gpuE8ELNS1_3repE0EEENS1_30default_config_static_selectorELNS0_4arch9wavefront6targetE1EEEvT1_.has_dyn_sized_stack, 0
	.set _ZN7rocprim17ROCPRIM_400000_NS6detail17trampoline_kernelINS0_14default_configENS1_25partition_config_selectorILNS1_17partition_subalgoE8ElNS0_10empty_typeEbEEZZNS1_14partition_implILS5_8ELb0ES3_jPlPS6_PKS6_NS0_5tupleIJS9_S6_EEENSD_IJSA_SA_EEENS0_18inequality_wrapperIZN2at6native12_GLOBAL__N_124unique_dim_cuda_templateItEESt5tupleIJNSH_6TensorESM_SM_EERKSM_lbbbEUlllE0_EEPmJS6_EEE10hipError_tPvRmT3_T4_T5_T6_T7_T9_mT8_P12ihipStream_tbDpT10_ENKUlT_T0_E_clISt17integral_constantIbLb1EES1B_IbLb0EEEEDaS17_S18_EUlS17_E_NS1_11comp_targetILNS1_3genE4ELNS1_11target_archE910ELNS1_3gpuE8ELNS1_3repE0EEENS1_30default_config_static_selectorELNS0_4arch9wavefront6targetE1EEEvT1_.has_recursion, 0
	.set _ZN7rocprim17ROCPRIM_400000_NS6detail17trampoline_kernelINS0_14default_configENS1_25partition_config_selectorILNS1_17partition_subalgoE8ElNS0_10empty_typeEbEEZZNS1_14partition_implILS5_8ELb0ES3_jPlPS6_PKS6_NS0_5tupleIJS9_S6_EEENSD_IJSA_SA_EEENS0_18inequality_wrapperIZN2at6native12_GLOBAL__N_124unique_dim_cuda_templateItEESt5tupleIJNSH_6TensorESM_SM_EERKSM_lbbbEUlllE0_EEPmJS6_EEE10hipError_tPvRmT3_T4_T5_T6_T7_T9_mT8_P12ihipStream_tbDpT10_ENKUlT_T0_E_clISt17integral_constantIbLb1EES1B_IbLb0EEEEDaS17_S18_EUlS17_E_NS1_11comp_targetILNS1_3genE4ELNS1_11target_archE910ELNS1_3gpuE8ELNS1_3repE0EEENS1_30default_config_static_selectorELNS0_4arch9wavefront6targetE1EEEvT1_.has_indirect_call, 0
	.section	.AMDGPU.csdata,"",@progbits
; Kernel info:
; codeLenInByte = 0
; TotalNumSgprs: 6
; NumVgprs: 0
; NumAgprs: 0
; TotalNumVgprs: 0
; ScratchSize: 0
; MemoryBound: 0
; FloatMode: 240
; IeeeMode: 1
; LDSByteSize: 0 bytes/workgroup (compile time only)
; SGPRBlocks: 0
; VGPRBlocks: 0
; NumSGPRsForWavesPerEU: 6
; NumVGPRsForWavesPerEU: 1
; AccumOffset: 4
; Occupancy: 8
; WaveLimiterHint : 0
; COMPUTE_PGM_RSRC2:SCRATCH_EN: 0
; COMPUTE_PGM_RSRC2:USER_SGPR: 2
; COMPUTE_PGM_RSRC2:TRAP_HANDLER: 0
; COMPUTE_PGM_RSRC2:TGID_X_EN: 1
; COMPUTE_PGM_RSRC2:TGID_Y_EN: 0
; COMPUTE_PGM_RSRC2:TGID_Z_EN: 0
; COMPUTE_PGM_RSRC2:TIDIG_COMP_CNT: 0
; COMPUTE_PGM_RSRC3_GFX90A:ACCUM_OFFSET: 0
; COMPUTE_PGM_RSRC3_GFX90A:TG_SPLIT: 0
	.section	.text._ZN7rocprim17ROCPRIM_400000_NS6detail17trampoline_kernelINS0_14default_configENS1_25partition_config_selectorILNS1_17partition_subalgoE8ElNS0_10empty_typeEbEEZZNS1_14partition_implILS5_8ELb0ES3_jPlPS6_PKS6_NS0_5tupleIJS9_S6_EEENSD_IJSA_SA_EEENS0_18inequality_wrapperIZN2at6native12_GLOBAL__N_124unique_dim_cuda_templateItEESt5tupleIJNSH_6TensorESM_SM_EERKSM_lbbbEUlllE0_EEPmJS6_EEE10hipError_tPvRmT3_T4_T5_T6_T7_T9_mT8_P12ihipStream_tbDpT10_ENKUlT_T0_E_clISt17integral_constantIbLb1EES1B_IbLb0EEEEDaS17_S18_EUlS17_E_NS1_11comp_targetILNS1_3genE3ELNS1_11target_archE908ELNS1_3gpuE7ELNS1_3repE0EEENS1_30default_config_static_selectorELNS0_4arch9wavefront6targetE1EEEvT1_,"axG",@progbits,_ZN7rocprim17ROCPRIM_400000_NS6detail17trampoline_kernelINS0_14default_configENS1_25partition_config_selectorILNS1_17partition_subalgoE8ElNS0_10empty_typeEbEEZZNS1_14partition_implILS5_8ELb0ES3_jPlPS6_PKS6_NS0_5tupleIJS9_S6_EEENSD_IJSA_SA_EEENS0_18inequality_wrapperIZN2at6native12_GLOBAL__N_124unique_dim_cuda_templateItEESt5tupleIJNSH_6TensorESM_SM_EERKSM_lbbbEUlllE0_EEPmJS6_EEE10hipError_tPvRmT3_T4_T5_T6_T7_T9_mT8_P12ihipStream_tbDpT10_ENKUlT_T0_E_clISt17integral_constantIbLb1EES1B_IbLb0EEEEDaS17_S18_EUlS17_E_NS1_11comp_targetILNS1_3genE3ELNS1_11target_archE908ELNS1_3gpuE7ELNS1_3repE0EEENS1_30default_config_static_selectorELNS0_4arch9wavefront6targetE1EEEvT1_,comdat
	.globl	_ZN7rocprim17ROCPRIM_400000_NS6detail17trampoline_kernelINS0_14default_configENS1_25partition_config_selectorILNS1_17partition_subalgoE8ElNS0_10empty_typeEbEEZZNS1_14partition_implILS5_8ELb0ES3_jPlPS6_PKS6_NS0_5tupleIJS9_S6_EEENSD_IJSA_SA_EEENS0_18inequality_wrapperIZN2at6native12_GLOBAL__N_124unique_dim_cuda_templateItEESt5tupleIJNSH_6TensorESM_SM_EERKSM_lbbbEUlllE0_EEPmJS6_EEE10hipError_tPvRmT3_T4_T5_T6_T7_T9_mT8_P12ihipStream_tbDpT10_ENKUlT_T0_E_clISt17integral_constantIbLb1EES1B_IbLb0EEEEDaS17_S18_EUlS17_E_NS1_11comp_targetILNS1_3genE3ELNS1_11target_archE908ELNS1_3gpuE7ELNS1_3repE0EEENS1_30default_config_static_selectorELNS0_4arch9wavefront6targetE1EEEvT1_ ; -- Begin function _ZN7rocprim17ROCPRIM_400000_NS6detail17trampoline_kernelINS0_14default_configENS1_25partition_config_selectorILNS1_17partition_subalgoE8ElNS0_10empty_typeEbEEZZNS1_14partition_implILS5_8ELb0ES3_jPlPS6_PKS6_NS0_5tupleIJS9_S6_EEENSD_IJSA_SA_EEENS0_18inequality_wrapperIZN2at6native12_GLOBAL__N_124unique_dim_cuda_templateItEESt5tupleIJNSH_6TensorESM_SM_EERKSM_lbbbEUlllE0_EEPmJS6_EEE10hipError_tPvRmT3_T4_T5_T6_T7_T9_mT8_P12ihipStream_tbDpT10_ENKUlT_T0_E_clISt17integral_constantIbLb1EES1B_IbLb0EEEEDaS17_S18_EUlS17_E_NS1_11comp_targetILNS1_3genE3ELNS1_11target_archE908ELNS1_3gpuE7ELNS1_3repE0EEENS1_30default_config_static_selectorELNS0_4arch9wavefront6targetE1EEEvT1_
	.p2align	8
	.type	_ZN7rocprim17ROCPRIM_400000_NS6detail17trampoline_kernelINS0_14default_configENS1_25partition_config_selectorILNS1_17partition_subalgoE8ElNS0_10empty_typeEbEEZZNS1_14partition_implILS5_8ELb0ES3_jPlPS6_PKS6_NS0_5tupleIJS9_S6_EEENSD_IJSA_SA_EEENS0_18inequality_wrapperIZN2at6native12_GLOBAL__N_124unique_dim_cuda_templateItEESt5tupleIJNSH_6TensorESM_SM_EERKSM_lbbbEUlllE0_EEPmJS6_EEE10hipError_tPvRmT3_T4_T5_T6_T7_T9_mT8_P12ihipStream_tbDpT10_ENKUlT_T0_E_clISt17integral_constantIbLb1EES1B_IbLb0EEEEDaS17_S18_EUlS17_E_NS1_11comp_targetILNS1_3genE3ELNS1_11target_archE908ELNS1_3gpuE7ELNS1_3repE0EEENS1_30default_config_static_selectorELNS0_4arch9wavefront6targetE1EEEvT1_,@function
_ZN7rocprim17ROCPRIM_400000_NS6detail17trampoline_kernelINS0_14default_configENS1_25partition_config_selectorILNS1_17partition_subalgoE8ElNS0_10empty_typeEbEEZZNS1_14partition_implILS5_8ELb0ES3_jPlPS6_PKS6_NS0_5tupleIJS9_S6_EEENSD_IJSA_SA_EEENS0_18inequality_wrapperIZN2at6native12_GLOBAL__N_124unique_dim_cuda_templateItEESt5tupleIJNSH_6TensorESM_SM_EERKSM_lbbbEUlllE0_EEPmJS6_EEE10hipError_tPvRmT3_T4_T5_T6_T7_T9_mT8_P12ihipStream_tbDpT10_ENKUlT_T0_E_clISt17integral_constantIbLb1EES1B_IbLb0EEEEDaS17_S18_EUlS17_E_NS1_11comp_targetILNS1_3genE3ELNS1_11target_archE908ELNS1_3gpuE7ELNS1_3repE0EEENS1_30default_config_static_selectorELNS0_4arch9wavefront6targetE1EEEvT1_: ; @_ZN7rocprim17ROCPRIM_400000_NS6detail17trampoline_kernelINS0_14default_configENS1_25partition_config_selectorILNS1_17partition_subalgoE8ElNS0_10empty_typeEbEEZZNS1_14partition_implILS5_8ELb0ES3_jPlPS6_PKS6_NS0_5tupleIJS9_S6_EEENSD_IJSA_SA_EEENS0_18inequality_wrapperIZN2at6native12_GLOBAL__N_124unique_dim_cuda_templateItEESt5tupleIJNSH_6TensorESM_SM_EERKSM_lbbbEUlllE0_EEPmJS6_EEE10hipError_tPvRmT3_T4_T5_T6_T7_T9_mT8_P12ihipStream_tbDpT10_ENKUlT_T0_E_clISt17integral_constantIbLb1EES1B_IbLb0EEEEDaS17_S18_EUlS17_E_NS1_11comp_targetILNS1_3genE3ELNS1_11target_archE908ELNS1_3gpuE7ELNS1_3repE0EEENS1_30default_config_static_selectorELNS0_4arch9wavefront6targetE1EEEvT1_
; %bb.0:
	.section	.rodata,"a",@progbits
	.p2align	6, 0x0
	.amdhsa_kernel _ZN7rocprim17ROCPRIM_400000_NS6detail17trampoline_kernelINS0_14default_configENS1_25partition_config_selectorILNS1_17partition_subalgoE8ElNS0_10empty_typeEbEEZZNS1_14partition_implILS5_8ELb0ES3_jPlPS6_PKS6_NS0_5tupleIJS9_S6_EEENSD_IJSA_SA_EEENS0_18inequality_wrapperIZN2at6native12_GLOBAL__N_124unique_dim_cuda_templateItEESt5tupleIJNSH_6TensorESM_SM_EERKSM_lbbbEUlllE0_EEPmJS6_EEE10hipError_tPvRmT3_T4_T5_T6_T7_T9_mT8_P12ihipStream_tbDpT10_ENKUlT_T0_E_clISt17integral_constantIbLb1EES1B_IbLb0EEEEDaS17_S18_EUlS17_E_NS1_11comp_targetILNS1_3genE3ELNS1_11target_archE908ELNS1_3gpuE7ELNS1_3repE0EEENS1_30default_config_static_selectorELNS0_4arch9wavefront6targetE1EEEvT1_
		.amdhsa_group_segment_fixed_size 0
		.amdhsa_private_segment_fixed_size 0
		.amdhsa_kernarg_size 120
		.amdhsa_user_sgpr_count 2
		.amdhsa_user_sgpr_dispatch_ptr 0
		.amdhsa_user_sgpr_queue_ptr 0
		.amdhsa_user_sgpr_kernarg_segment_ptr 1
		.amdhsa_user_sgpr_dispatch_id 0
		.amdhsa_user_sgpr_kernarg_preload_length 0
		.amdhsa_user_sgpr_kernarg_preload_offset 0
		.amdhsa_user_sgpr_private_segment_size 0
		.amdhsa_uses_dynamic_stack 0
		.amdhsa_enable_private_segment 0
		.amdhsa_system_sgpr_workgroup_id_x 1
		.amdhsa_system_sgpr_workgroup_id_y 0
		.amdhsa_system_sgpr_workgroup_id_z 0
		.amdhsa_system_sgpr_workgroup_info 0
		.amdhsa_system_vgpr_workitem_id 0
		.amdhsa_next_free_vgpr 1
		.amdhsa_next_free_sgpr 0
		.amdhsa_accum_offset 4
		.amdhsa_reserve_vcc 0
		.amdhsa_float_round_mode_32 0
		.amdhsa_float_round_mode_16_64 0
		.amdhsa_float_denorm_mode_32 3
		.amdhsa_float_denorm_mode_16_64 3
		.amdhsa_dx10_clamp 1
		.amdhsa_ieee_mode 1
		.amdhsa_fp16_overflow 0
		.amdhsa_tg_split 0
		.amdhsa_exception_fp_ieee_invalid_op 0
		.amdhsa_exception_fp_denorm_src 0
		.amdhsa_exception_fp_ieee_div_zero 0
		.amdhsa_exception_fp_ieee_overflow 0
		.amdhsa_exception_fp_ieee_underflow 0
		.amdhsa_exception_fp_ieee_inexact 0
		.amdhsa_exception_int_div_zero 0
	.end_amdhsa_kernel
	.section	.text._ZN7rocprim17ROCPRIM_400000_NS6detail17trampoline_kernelINS0_14default_configENS1_25partition_config_selectorILNS1_17partition_subalgoE8ElNS0_10empty_typeEbEEZZNS1_14partition_implILS5_8ELb0ES3_jPlPS6_PKS6_NS0_5tupleIJS9_S6_EEENSD_IJSA_SA_EEENS0_18inequality_wrapperIZN2at6native12_GLOBAL__N_124unique_dim_cuda_templateItEESt5tupleIJNSH_6TensorESM_SM_EERKSM_lbbbEUlllE0_EEPmJS6_EEE10hipError_tPvRmT3_T4_T5_T6_T7_T9_mT8_P12ihipStream_tbDpT10_ENKUlT_T0_E_clISt17integral_constantIbLb1EES1B_IbLb0EEEEDaS17_S18_EUlS17_E_NS1_11comp_targetILNS1_3genE3ELNS1_11target_archE908ELNS1_3gpuE7ELNS1_3repE0EEENS1_30default_config_static_selectorELNS0_4arch9wavefront6targetE1EEEvT1_,"axG",@progbits,_ZN7rocprim17ROCPRIM_400000_NS6detail17trampoline_kernelINS0_14default_configENS1_25partition_config_selectorILNS1_17partition_subalgoE8ElNS0_10empty_typeEbEEZZNS1_14partition_implILS5_8ELb0ES3_jPlPS6_PKS6_NS0_5tupleIJS9_S6_EEENSD_IJSA_SA_EEENS0_18inequality_wrapperIZN2at6native12_GLOBAL__N_124unique_dim_cuda_templateItEESt5tupleIJNSH_6TensorESM_SM_EERKSM_lbbbEUlllE0_EEPmJS6_EEE10hipError_tPvRmT3_T4_T5_T6_T7_T9_mT8_P12ihipStream_tbDpT10_ENKUlT_T0_E_clISt17integral_constantIbLb1EES1B_IbLb0EEEEDaS17_S18_EUlS17_E_NS1_11comp_targetILNS1_3genE3ELNS1_11target_archE908ELNS1_3gpuE7ELNS1_3repE0EEENS1_30default_config_static_selectorELNS0_4arch9wavefront6targetE1EEEvT1_,comdat
.Lfunc_end1438:
	.size	_ZN7rocprim17ROCPRIM_400000_NS6detail17trampoline_kernelINS0_14default_configENS1_25partition_config_selectorILNS1_17partition_subalgoE8ElNS0_10empty_typeEbEEZZNS1_14partition_implILS5_8ELb0ES3_jPlPS6_PKS6_NS0_5tupleIJS9_S6_EEENSD_IJSA_SA_EEENS0_18inequality_wrapperIZN2at6native12_GLOBAL__N_124unique_dim_cuda_templateItEESt5tupleIJNSH_6TensorESM_SM_EERKSM_lbbbEUlllE0_EEPmJS6_EEE10hipError_tPvRmT3_T4_T5_T6_T7_T9_mT8_P12ihipStream_tbDpT10_ENKUlT_T0_E_clISt17integral_constantIbLb1EES1B_IbLb0EEEEDaS17_S18_EUlS17_E_NS1_11comp_targetILNS1_3genE3ELNS1_11target_archE908ELNS1_3gpuE7ELNS1_3repE0EEENS1_30default_config_static_selectorELNS0_4arch9wavefront6targetE1EEEvT1_, .Lfunc_end1438-_ZN7rocprim17ROCPRIM_400000_NS6detail17trampoline_kernelINS0_14default_configENS1_25partition_config_selectorILNS1_17partition_subalgoE8ElNS0_10empty_typeEbEEZZNS1_14partition_implILS5_8ELb0ES3_jPlPS6_PKS6_NS0_5tupleIJS9_S6_EEENSD_IJSA_SA_EEENS0_18inequality_wrapperIZN2at6native12_GLOBAL__N_124unique_dim_cuda_templateItEESt5tupleIJNSH_6TensorESM_SM_EERKSM_lbbbEUlllE0_EEPmJS6_EEE10hipError_tPvRmT3_T4_T5_T6_T7_T9_mT8_P12ihipStream_tbDpT10_ENKUlT_T0_E_clISt17integral_constantIbLb1EES1B_IbLb0EEEEDaS17_S18_EUlS17_E_NS1_11comp_targetILNS1_3genE3ELNS1_11target_archE908ELNS1_3gpuE7ELNS1_3repE0EEENS1_30default_config_static_selectorELNS0_4arch9wavefront6targetE1EEEvT1_
                                        ; -- End function
	.set _ZN7rocprim17ROCPRIM_400000_NS6detail17trampoline_kernelINS0_14default_configENS1_25partition_config_selectorILNS1_17partition_subalgoE8ElNS0_10empty_typeEbEEZZNS1_14partition_implILS5_8ELb0ES3_jPlPS6_PKS6_NS0_5tupleIJS9_S6_EEENSD_IJSA_SA_EEENS0_18inequality_wrapperIZN2at6native12_GLOBAL__N_124unique_dim_cuda_templateItEESt5tupleIJNSH_6TensorESM_SM_EERKSM_lbbbEUlllE0_EEPmJS6_EEE10hipError_tPvRmT3_T4_T5_T6_T7_T9_mT8_P12ihipStream_tbDpT10_ENKUlT_T0_E_clISt17integral_constantIbLb1EES1B_IbLb0EEEEDaS17_S18_EUlS17_E_NS1_11comp_targetILNS1_3genE3ELNS1_11target_archE908ELNS1_3gpuE7ELNS1_3repE0EEENS1_30default_config_static_selectorELNS0_4arch9wavefront6targetE1EEEvT1_.num_vgpr, 0
	.set _ZN7rocprim17ROCPRIM_400000_NS6detail17trampoline_kernelINS0_14default_configENS1_25partition_config_selectorILNS1_17partition_subalgoE8ElNS0_10empty_typeEbEEZZNS1_14partition_implILS5_8ELb0ES3_jPlPS6_PKS6_NS0_5tupleIJS9_S6_EEENSD_IJSA_SA_EEENS0_18inequality_wrapperIZN2at6native12_GLOBAL__N_124unique_dim_cuda_templateItEESt5tupleIJNSH_6TensorESM_SM_EERKSM_lbbbEUlllE0_EEPmJS6_EEE10hipError_tPvRmT3_T4_T5_T6_T7_T9_mT8_P12ihipStream_tbDpT10_ENKUlT_T0_E_clISt17integral_constantIbLb1EES1B_IbLb0EEEEDaS17_S18_EUlS17_E_NS1_11comp_targetILNS1_3genE3ELNS1_11target_archE908ELNS1_3gpuE7ELNS1_3repE0EEENS1_30default_config_static_selectorELNS0_4arch9wavefront6targetE1EEEvT1_.num_agpr, 0
	.set _ZN7rocprim17ROCPRIM_400000_NS6detail17trampoline_kernelINS0_14default_configENS1_25partition_config_selectorILNS1_17partition_subalgoE8ElNS0_10empty_typeEbEEZZNS1_14partition_implILS5_8ELb0ES3_jPlPS6_PKS6_NS0_5tupleIJS9_S6_EEENSD_IJSA_SA_EEENS0_18inequality_wrapperIZN2at6native12_GLOBAL__N_124unique_dim_cuda_templateItEESt5tupleIJNSH_6TensorESM_SM_EERKSM_lbbbEUlllE0_EEPmJS6_EEE10hipError_tPvRmT3_T4_T5_T6_T7_T9_mT8_P12ihipStream_tbDpT10_ENKUlT_T0_E_clISt17integral_constantIbLb1EES1B_IbLb0EEEEDaS17_S18_EUlS17_E_NS1_11comp_targetILNS1_3genE3ELNS1_11target_archE908ELNS1_3gpuE7ELNS1_3repE0EEENS1_30default_config_static_selectorELNS0_4arch9wavefront6targetE1EEEvT1_.numbered_sgpr, 0
	.set _ZN7rocprim17ROCPRIM_400000_NS6detail17trampoline_kernelINS0_14default_configENS1_25partition_config_selectorILNS1_17partition_subalgoE8ElNS0_10empty_typeEbEEZZNS1_14partition_implILS5_8ELb0ES3_jPlPS6_PKS6_NS0_5tupleIJS9_S6_EEENSD_IJSA_SA_EEENS0_18inequality_wrapperIZN2at6native12_GLOBAL__N_124unique_dim_cuda_templateItEESt5tupleIJNSH_6TensorESM_SM_EERKSM_lbbbEUlllE0_EEPmJS6_EEE10hipError_tPvRmT3_T4_T5_T6_T7_T9_mT8_P12ihipStream_tbDpT10_ENKUlT_T0_E_clISt17integral_constantIbLb1EES1B_IbLb0EEEEDaS17_S18_EUlS17_E_NS1_11comp_targetILNS1_3genE3ELNS1_11target_archE908ELNS1_3gpuE7ELNS1_3repE0EEENS1_30default_config_static_selectorELNS0_4arch9wavefront6targetE1EEEvT1_.num_named_barrier, 0
	.set _ZN7rocprim17ROCPRIM_400000_NS6detail17trampoline_kernelINS0_14default_configENS1_25partition_config_selectorILNS1_17partition_subalgoE8ElNS0_10empty_typeEbEEZZNS1_14partition_implILS5_8ELb0ES3_jPlPS6_PKS6_NS0_5tupleIJS9_S6_EEENSD_IJSA_SA_EEENS0_18inequality_wrapperIZN2at6native12_GLOBAL__N_124unique_dim_cuda_templateItEESt5tupleIJNSH_6TensorESM_SM_EERKSM_lbbbEUlllE0_EEPmJS6_EEE10hipError_tPvRmT3_T4_T5_T6_T7_T9_mT8_P12ihipStream_tbDpT10_ENKUlT_T0_E_clISt17integral_constantIbLb1EES1B_IbLb0EEEEDaS17_S18_EUlS17_E_NS1_11comp_targetILNS1_3genE3ELNS1_11target_archE908ELNS1_3gpuE7ELNS1_3repE0EEENS1_30default_config_static_selectorELNS0_4arch9wavefront6targetE1EEEvT1_.private_seg_size, 0
	.set _ZN7rocprim17ROCPRIM_400000_NS6detail17trampoline_kernelINS0_14default_configENS1_25partition_config_selectorILNS1_17partition_subalgoE8ElNS0_10empty_typeEbEEZZNS1_14partition_implILS5_8ELb0ES3_jPlPS6_PKS6_NS0_5tupleIJS9_S6_EEENSD_IJSA_SA_EEENS0_18inequality_wrapperIZN2at6native12_GLOBAL__N_124unique_dim_cuda_templateItEESt5tupleIJNSH_6TensorESM_SM_EERKSM_lbbbEUlllE0_EEPmJS6_EEE10hipError_tPvRmT3_T4_T5_T6_T7_T9_mT8_P12ihipStream_tbDpT10_ENKUlT_T0_E_clISt17integral_constantIbLb1EES1B_IbLb0EEEEDaS17_S18_EUlS17_E_NS1_11comp_targetILNS1_3genE3ELNS1_11target_archE908ELNS1_3gpuE7ELNS1_3repE0EEENS1_30default_config_static_selectorELNS0_4arch9wavefront6targetE1EEEvT1_.uses_vcc, 0
	.set _ZN7rocprim17ROCPRIM_400000_NS6detail17trampoline_kernelINS0_14default_configENS1_25partition_config_selectorILNS1_17partition_subalgoE8ElNS0_10empty_typeEbEEZZNS1_14partition_implILS5_8ELb0ES3_jPlPS6_PKS6_NS0_5tupleIJS9_S6_EEENSD_IJSA_SA_EEENS0_18inequality_wrapperIZN2at6native12_GLOBAL__N_124unique_dim_cuda_templateItEESt5tupleIJNSH_6TensorESM_SM_EERKSM_lbbbEUlllE0_EEPmJS6_EEE10hipError_tPvRmT3_T4_T5_T6_T7_T9_mT8_P12ihipStream_tbDpT10_ENKUlT_T0_E_clISt17integral_constantIbLb1EES1B_IbLb0EEEEDaS17_S18_EUlS17_E_NS1_11comp_targetILNS1_3genE3ELNS1_11target_archE908ELNS1_3gpuE7ELNS1_3repE0EEENS1_30default_config_static_selectorELNS0_4arch9wavefront6targetE1EEEvT1_.uses_flat_scratch, 0
	.set _ZN7rocprim17ROCPRIM_400000_NS6detail17trampoline_kernelINS0_14default_configENS1_25partition_config_selectorILNS1_17partition_subalgoE8ElNS0_10empty_typeEbEEZZNS1_14partition_implILS5_8ELb0ES3_jPlPS6_PKS6_NS0_5tupleIJS9_S6_EEENSD_IJSA_SA_EEENS0_18inequality_wrapperIZN2at6native12_GLOBAL__N_124unique_dim_cuda_templateItEESt5tupleIJNSH_6TensorESM_SM_EERKSM_lbbbEUlllE0_EEPmJS6_EEE10hipError_tPvRmT3_T4_T5_T6_T7_T9_mT8_P12ihipStream_tbDpT10_ENKUlT_T0_E_clISt17integral_constantIbLb1EES1B_IbLb0EEEEDaS17_S18_EUlS17_E_NS1_11comp_targetILNS1_3genE3ELNS1_11target_archE908ELNS1_3gpuE7ELNS1_3repE0EEENS1_30default_config_static_selectorELNS0_4arch9wavefront6targetE1EEEvT1_.has_dyn_sized_stack, 0
	.set _ZN7rocprim17ROCPRIM_400000_NS6detail17trampoline_kernelINS0_14default_configENS1_25partition_config_selectorILNS1_17partition_subalgoE8ElNS0_10empty_typeEbEEZZNS1_14partition_implILS5_8ELb0ES3_jPlPS6_PKS6_NS0_5tupleIJS9_S6_EEENSD_IJSA_SA_EEENS0_18inequality_wrapperIZN2at6native12_GLOBAL__N_124unique_dim_cuda_templateItEESt5tupleIJNSH_6TensorESM_SM_EERKSM_lbbbEUlllE0_EEPmJS6_EEE10hipError_tPvRmT3_T4_T5_T6_T7_T9_mT8_P12ihipStream_tbDpT10_ENKUlT_T0_E_clISt17integral_constantIbLb1EES1B_IbLb0EEEEDaS17_S18_EUlS17_E_NS1_11comp_targetILNS1_3genE3ELNS1_11target_archE908ELNS1_3gpuE7ELNS1_3repE0EEENS1_30default_config_static_selectorELNS0_4arch9wavefront6targetE1EEEvT1_.has_recursion, 0
	.set _ZN7rocprim17ROCPRIM_400000_NS6detail17trampoline_kernelINS0_14default_configENS1_25partition_config_selectorILNS1_17partition_subalgoE8ElNS0_10empty_typeEbEEZZNS1_14partition_implILS5_8ELb0ES3_jPlPS6_PKS6_NS0_5tupleIJS9_S6_EEENSD_IJSA_SA_EEENS0_18inequality_wrapperIZN2at6native12_GLOBAL__N_124unique_dim_cuda_templateItEESt5tupleIJNSH_6TensorESM_SM_EERKSM_lbbbEUlllE0_EEPmJS6_EEE10hipError_tPvRmT3_T4_T5_T6_T7_T9_mT8_P12ihipStream_tbDpT10_ENKUlT_T0_E_clISt17integral_constantIbLb1EES1B_IbLb0EEEEDaS17_S18_EUlS17_E_NS1_11comp_targetILNS1_3genE3ELNS1_11target_archE908ELNS1_3gpuE7ELNS1_3repE0EEENS1_30default_config_static_selectorELNS0_4arch9wavefront6targetE1EEEvT1_.has_indirect_call, 0
	.section	.AMDGPU.csdata,"",@progbits
; Kernel info:
; codeLenInByte = 0
; TotalNumSgprs: 6
; NumVgprs: 0
; NumAgprs: 0
; TotalNumVgprs: 0
; ScratchSize: 0
; MemoryBound: 0
; FloatMode: 240
; IeeeMode: 1
; LDSByteSize: 0 bytes/workgroup (compile time only)
; SGPRBlocks: 0
; VGPRBlocks: 0
; NumSGPRsForWavesPerEU: 6
; NumVGPRsForWavesPerEU: 1
; AccumOffset: 4
; Occupancy: 8
; WaveLimiterHint : 0
; COMPUTE_PGM_RSRC2:SCRATCH_EN: 0
; COMPUTE_PGM_RSRC2:USER_SGPR: 2
; COMPUTE_PGM_RSRC2:TRAP_HANDLER: 0
; COMPUTE_PGM_RSRC2:TGID_X_EN: 1
; COMPUTE_PGM_RSRC2:TGID_Y_EN: 0
; COMPUTE_PGM_RSRC2:TGID_Z_EN: 0
; COMPUTE_PGM_RSRC2:TIDIG_COMP_CNT: 0
; COMPUTE_PGM_RSRC3_GFX90A:ACCUM_OFFSET: 0
; COMPUTE_PGM_RSRC3_GFX90A:TG_SPLIT: 0
	.section	.text._ZN7rocprim17ROCPRIM_400000_NS6detail17trampoline_kernelINS0_14default_configENS1_25partition_config_selectorILNS1_17partition_subalgoE8ElNS0_10empty_typeEbEEZZNS1_14partition_implILS5_8ELb0ES3_jPlPS6_PKS6_NS0_5tupleIJS9_S6_EEENSD_IJSA_SA_EEENS0_18inequality_wrapperIZN2at6native12_GLOBAL__N_124unique_dim_cuda_templateItEESt5tupleIJNSH_6TensorESM_SM_EERKSM_lbbbEUlllE0_EEPmJS6_EEE10hipError_tPvRmT3_T4_T5_T6_T7_T9_mT8_P12ihipStream_tbDpT10_ENKUlT_T0_E_clISt17integral_constantIbLb1EES1B_IbLb0EEEEDaS17_S18_EUlS17_E_NS1_11comp_targetILNS1_3genE2ELNS1_11target_archE906ELNS1_3gpuE6ELNS1_3repE0EEENS1_30default_config_static_selectorELNS0_4arch9wavefront6targetE1EEEvT1_,"axG",@progbits,_ZN7rocprim17ROCPRIM_400000_NS6detail17trampoline_kernelINS0_14default_configENS1_25partition_config_selectorILNS1_17partition_subalgoE8ElNS0_10empty_typeEbEEZZNS1_14partition_implILS5_8ELb0ES3_jPlPS6_PKS6_NS0_5tupleIJS9_S6_EEENSD_IJSA_SA_EEENS0_18inequality_wrapperIZN2at6native12_GLOBAL__N_124unique_dim_cuda_templateItEESt5tupleIJNSH_6TensorESM_SM_EERKSM_lbbbEUlllE0_EEPmJS6_EEE10hipError_tPvRmT3_T4_T5_T6_T7_T9_mT8_P12ihipStream_tbDpT10_ENKUlT_T0_E_clISt17integral_constantIbLb1EES1B_IbLb0EEEEDaS17_S18_EUlS17_E_NS1_11comp_targetILNS1_3genE2ELNS1_11target_archE906ELNS1_3gpuE6ELNS1_3repE0EEENS1_30default_config_static_selectorELNS0_4arch9wavefront6targetE1EEEvT1_,comdat
	.globl	_ZN7rocprim17ROCPRIM_400000_NS6detail17trampoline_kernelINS0_14default_configENS1_25partition_config_selectorILNS1_17partition_subalgoE8ElNS0_10empty_typeEbEEZZNS1_14partition_implILS5_8ELb0ES3_jPlPS6_PKS6_NS0_5tupleIJS9_S6_EEENSD_IJSA_SA_EEENS0_18inequality_wrapperIZN2at6native12_GLOBAL__N_124unique_dim_cuda_templateItEESt5tupleIJNSH_6TensorESM_SM_EERKSM_lbbbEUlllE0_EEPmJS6_EEE10hipError_tPvRmT3_T4_T5_T6_T7_T9_mT8_P12ihipStream_tbDpT10_ENKUlT_T0_E_clISt17integral_constantIbLb1EES1B_IbLb0EEEEDaS17_S18_EUlS17_E_NS1_11comp_targetILNS1_3genE2ELNS1_11target_archE906ELNS1_3gpuE6ELNS1_3repE0EEENS1_30default_config_static_selectorELNS0_4arch9wavefront6targetE1EEEvT1_ ; -- Begin function _ZN7rocprim17ROCPRIM_400000_NS6detail17trampoline_kernelINS0_14default_configENS1_25partition_config_selectorILNS1_17partition_subalgoE8ElNS0_10empty_typeEbEEZZNS1_14partition_implILS5_8ELb0ES3_jPlPS6_PKS6_NS0_5tupleIJS9_S6_EEENSD_IJSA_SA_EEENS0_18inequality_wrapperIZN2at6native12_GLOBAL__N_124unique_dim_cuda_templateItEESt5tupleIJNSH_6TensorESM_SM_EERKSM_lbbbEUlllE0_EEPmJS6_EEE10hipError_tPvRmT3_T4_T5_T6_T7_T9_mT8_P12ihipStream_tbDpT10_ENKUlT_T0_E_clISt17integral_constantIbLb1EES1B_IbLb0EEEEDaS17_S18_EUlS17_E_NS1_11comp_targetILNS1_3genE2ELNS1_11target_archE906ELNS1_3gpuE6ELNS1_3repE0EEENS1_30default_config_static_selectorELNS0_4arch9wavefront6targetE1EEEvT1_
	.p2align	8
	.type	_ZN7rocprim17ROCPRIM_400000_NS6detail17trampoline_kernelINS0_14default_configENS1_25partition_config_selectorILNS1_17partition_subalgoE8ElNS0_10empty_typeEbEEZZNS1_14partition_implILS5_8ELb0ES3_jPlPS6_PKS6_NS0_5tupleIJS9_S6_EEENSD_IJSA_SA_EEENS0_18inequality_wrapperIZN2at6native12_GLOBAL__N_124unique_dim_cuda_templateItEESt5tupleIJNSH_6TensorESM_SM_EERKSM_lbbbEUlllE0_EEPmJS6_EEE10hipError_tPvRmT3_T4_T5_T6_T7_T9_mT8_P12ihipStream_tbDpT10_ENKUlT_T0_E_clISt17integral_constantIbLb1EES1B_IbLb0EEEEDaS17_S18_EUlS17_E_NS1_11comp_targetILNS1_3genE2ELNS1_11target_archE906ELNS1_3gpuE6ELNS1_3repE0EEENS1_30default_config_static_selectorELNS0_4arch9wavefront6targetE1EEEvT1_,@function
_ZN7rocprim17ROCPRIM_400000_NS6detail17trampoline_kernelINS0_14default_configENS1_25partition_config_selectorILNS1_17partition_subalgoE8ElNS0_10empty_typeEbEEZZNS1_14partition_implILS5_8ELb0ES3_jPlPS6_PKS6_NS0_5tupleIJS9_S6_EEENSD_IJSA_SA_EEENS0_18inequality_wrapperIZN2at6native12_GLOBAL__N_124unique_dim_cuda_templateItEESt5tupleIJNSH_6TensorESM_SM_EERKSM_lbbbEUlllE0_EEPmJS6_EEE10hipError_tPvRmT3_T4_T5_T6_T7_T9_mT8_P12ihipStream_tbDpT10_ENKUlT_T0_E_clISt17integral_constantIbLb1EES1B_IbLb0EEEEDaS17_S18_EUlS17_E_NS1_11comp_targetILNS1_3genE2ELNS1_11target_archE906ELNS1_3gpuE6ELNS1_3repE0EEENS1_30default_config_static_selectorELNS0_4arch9wavefront6targetE1EEEvT1_: ; @_ZN7rocprim17ROCPRIM_400000_NS6detail17trampoline_kernelINS0_14default_configENS1_25partition_config_selectorILNS1_17partition_subalgoE8ElNS0_10empty_typeEbEEZZNS1_14partition_implILS5_8ELb0ES3_jPlPS6_PKS6_NS0_5tupleIJS9_S6_EEENSD_IJSA_SA_EEENS0_18inequality_wrapperIZN2at6native12_GLOBAL__N_124unique_dim_cuda_templateItEESt5tupleIJNSH_6TensorESM_SM_EERKSM_lbbbEUlllE0_EEPmJS6_EEE10hipError_tPvRmT3_T4_T5_T6_T7_T9_mT8_P12ihipStream_tbDpT10_ENKUlT_T0_E_clISt17integral_constantIbLb1EES1B_IbLb0EEEEDaS17_S18_EUlS17_E_NS1_11comp_targetILNS1_3genE2ELNS1_11target_archE906ELNS1_3gpuE6ELNS1_3repE0EEENS1_30default_config_static_selectorELNS0_4arch9wavefront6targetE1EEEvT1_
; %bb.0:
	.section	.rodata,"a",@progbits
	.p2align	6, 0x0
	.amdhsa_kernel _ZN7rocprim17ROCPRIM_400000_NS6detail17trampoline_kernelINS0_14default_configENS1_25partition_config_selectorILNS1_17partition_subalgoE8ElNS0_10empty_typeEbEEZZNS1_14partition_implILS5_8ELb0ES3_jPlPS6_PKS6_NS0_5tupleIJS9_S6_EEENSD_IJSA_SA_EEENS0_18inequality_wrapperIZN2at6native12_GLOBAL__N_124unique_dim_cuda_templateItEESt5tupleIJNSH_6TensorESM_SM_EERKSM_lbbbEUlllE0_EEPmJS6_EEE10hipError_tPvRmT3_T4_T5_T6_T7_T9_mT8_P12ihipStream_tbDpT10_ENKUlT_T0_E_clISt17integral_constantIbLb1EES1B_IbLb0EEEEDaS17_S18_EUlS17_E_NS1_11comp_targetILNS1_3genE2ELNS1_11target_archE906ELNS1_3gpuE6ELNS1_3repE0EEENS1_30default_config_static_selectorELNS0_4arch9wavefront6targetE1EEEvT1_
		.amdhsa_group_segment_fixed_size 0
		.amdhsa_private_segment_fixed_size 0
		.amdhsa_kernarg_size 120
		.amdhsa_user_sgpr_count 2
		.amdhsa_user_sgpr_dispatch_ptr 0
		.amdhsa_user_sgpr_queue_ptr 0
		.amdhsa_user_sgpr_kernarg_segment_ptr 1
		.amdhsa_user_sgpr_dispatch_id 0
		.amdhsa_user_sgpr_kernarg_preload_length 0
		.amdhsa_user_sgpr_kernarg_preload_offset 0
		.amdhsa_user_sgpr_private_segment_size 0
		.amdhsa_uses_dynamic_stack 0
		.amdhsa_enable_private_segment 0
		.amdhsa_system_sgpr_workgroup_id_x 1
		.amdhsa_system_sgpr_workgroup_id_y 0
		.amdhsa_system_sgpr_workgroup_id_z 0
		.amdhsa_system_sgpr_workgroup_info 0
		.amdhsa_system_vgpr_workitem_id 0
		.amdhsa_next_free_vgpr 1
		.amdhsa_next_free_sgpr 0
		.amdhsa_accum_offset 4
		.amdhsa_reserve_vcc 0
		.amdhsa_float_round_mode_32 0
		.amdhsa_float_round_mode_16_64 0
		.amdhsa_float_denorm_mode_32 3
		.amdhsa_float_denorm_mode_16_64 3
		.amdhsa_dx10_clamp 1
		.amdhsa_ieee_mode 1
		.amdhsa_fp16_overflow 0
		.amdhsa_tg_split 0
		.amdhsa_exception_fp_ieee_invalid_op 0
		.amdhsa_exception_fp_denorm_src 0
		.amdhsa_exception_fp_ieee_div_zero 0
		.amdhsa_exception_fp_ieee_overflow 0
		.amdhsa_exception_fp_ieee_underflow 0
		.amdhsa_exception_fp_ieee_inexact 0
		.amdhsa_exception_int_div_zero 0
	.end_amdhsa_kernel
	.section	.text._ZN7rocprim17ROCPRIM_400000_NS6detail17trampoline_kernelINS0_14default_configENS1_25partition_config_selectorILNS1_17partition_subalgoE8ElNS0_10empty_typeEbEEZZNS1_14partition_implILS5_8ELb0ES3_jPlPS6_PKS6_NS0_5tupleIJS9_S6_EEENSD_IJSA_SA_EEENS0_18inequality_wrapperIZN2at6native12_GLOBAL__N_124unique_dim_cuda_templateItEESt5tupleIJNSH_6TensorESM_SM_EERKSM_lbbbEUlllE0_EEPmJS6_EEE10hipError_tPvRmT3_T4_T5_T6_T7_T9_mT8_P12ihipStream_tbDpT10_ENKUlT_T0_E_clISt17integral_constantIbLb1EES1B_IbLb0EEEEDaS17_S18_EUlS17_E_NS1_11comp_targetILNS1_3genE2ELNS1_11target_archE906ELNS1_3gpuE6ELNS1_3repE0EEENS1_30default_config_static_selectorELNS0_4arch9wavefront6targetE1EEEvT1_,"axG",@progbits,_ZN7rocprim17ROCPRIM_400000_NS6detail17trampoline_kernelINS0_14default_configENS1_25partition_config_selectorILNS1_17partition_subalgoE8ElNS0_10empty_typeEbEEZZNS1_14partition_implILS5_8ELb0ES3_jPlPS6_PKS6_NS0_5tupleIJS9_S6_EEENSD_IJSA_SA_EEENS0_18inequality_wrapperIZN2at6native12_GLOBAL__N_124unique_dim_cuda_templateItEESt5tupleIJNSH_6TensorESM_SM_EERKSM_lbbbEUlllE0_EEPmJS6_EEE10hipError_tPvRmT3_T4_T5_T6_T7_T9_mT8_P12ihipStream_tbDpT10_ENKUlT_T0_E_clISt17integral_constantIbLb1EES1B_IbLb0EEEEDaS17_S18_EUlS17_E_NS1_11comp_targetILNS1_3genE2ELNS1_11target_archE906ELNS1_3gpuE6ELNS1_3repE0EEENS1_30default_config_static_selectorELNS0_4arch9wavefront6targetE1EEEvT1_,comdat
.Lfunc_end1439:
	.size	_ZN7rocprim17ROCPRIM_400000_NS6detail17trampoline_kernelINS0_14default_configENS1_25partition_config_selectorILNS1_17partition_subalgoE8ElNS0_10empty_typeEbEEZZNS1_14partition_implILS5_8ELb0ES3_jPlPS6_PKS6_NS0_5tupleIJS9_S6_EEENSD_IJSA_SA_EEENS0_18inequality_wrapperIZN2at6native12_GLOBAL__N_124unique_dim_cuda_templateItEESt5tupleIJNSH_6TensorESM_SM_EERKSM_lbbbEUlllE0_EEPmJS6_EEE10hipError_tPvRmT3_T4_T5_T6_T7_T9_mT8_P12ihipStream_tbDpT10_ENKUlT_T0_E_clISt17integral_constantIbLb1EES1B_IbLb0EEEEDaS17_S18_EUlS17_E_NS1_11comp_targetILNS1_3genE2ELNS1_11target_archE906ELNS1_3gpuE6ELNS1_3repE0EEENS1_30default_config_static_selectorELNS0_4arch9wavefront6targetE1EEEvT1_, .Lfunc_end1439-_ZN7rocprim17ROCPRIM_400000_NS6detail17trampoline_kernelINS0_14default_configENS1_25partition_config_selectorILNS1_17partition_subalgoE8ElNS0_10empty_typeEbEEZZNS1_14partition_implILS5_8ELb0ES3_jPlPS6_PKS6_NS0_5tupleIJS9_S6_EEENSD_IJSA_SA_EEENS0_18inequality_wrapperIZN2at6native12_GLOBAL__N_124unique_dim_cuda_templateItEESt5tupleIJNSH_6TensorESM_SM_EERKSM_lbbbEUlllE0_EEPmJS6_EEE10hipError_tPvRmT3_T4_T5_T6_T7_T9_mT8_P12ihipStream_tbDpT10_ENKUlT_T0_E_clISt17integral_constantIbLb1EES1B_IbLb0EEEEDaS17_S18_EUlS17_E_NS1_11comp_targetILNS1_3genE2ELNS1_11target_archE906ELNS1_3gpuE6ELNS1_3repE0EEENS1_30default_config_static_selectorELNS0_4arch9wavefront6targetE1EEEvT1_
                                        ; -- End function
	.set _ZN7rocprim17ROCPRIM_400000_NS6detail17trampoline_kernelINS0_14default_configENS1_25partition_config_selectorILNS1_17partition_subalgoE8ElNS0_10empty_typeEbEEZZNS1_14partition_implILS5_8ELb0ES3_jPlPS6_PKS6_NS0_5tupleIJS9_S6_EEENSD_IJSA_SA_EEENS0_18inequality_wrapperIZN2at6native12_GLOBAL__N_124unique_dim_cuda_templateItEESt5tupleIJNSH_6TensorESM_SM_EERKSM_lbbbEUlllE0_EEPmJS6_EEE10hipError_tPvRmT3_T4_T5_T6_T7_T9_mT8_P12ihipStream_tbDpT10_ENKUlT_T0_E_clISt17integral_constantIbLb1EES1B_IbLb0EEEEDaS17_S18_EUlS17_E_NS1_11comp_targetILNS1_3genE2ELNS1_11target_archE906ELNS1_3gpuE6ELNS1_3repE0EEENS1_30default_config_static_selectorELNS0_4arch9wavefront6targetE1EEEvT1_.num_vgpr, 0
	.set _ZN7rocprim17ROCPRIM_400000_NS6detail17trampoline_kernelINS0_14default_configENS1_25partition_config_selectorILNS1_17partition_subalgoE8ElNS0_10empty_typeEbEEZZNS1_14partition_implILS5_8ELb0ES3_jPlPS6_PKS6_NS0_5tupleIJS9_S6_EEENSD_IJSA_SA_EEENS0_18inequality_wrapperIZN2at6native12_GLOBAL__N_124unique_dim_cuda_templateItEESt5tupleIJNSH_6TensorESM_SM_EERKSM_lbbbEUlllE0_EEPmJS6_EEE10hipError_tPvRmT3_T4_T5_T6_T7_T9_mT8_P12ihipStream_tbDpT10_ENKUlT_T0_E_clISt17integral_constantIbLb1EES1B_IbLb0EEEEDaS17_S18_EUlS17_E_NS1_11comp_targetILNS1_3genE2ELNS1_11target_archE906ELNS1_3gpuE6ELNS1_3repE0EEENS1_30default_config_static_selectorELNS0_4arch9wavefront6targetE1EEEvT1_.num_agpr, 0
	.set _ZN7rocprim17ROCPRIM_400000_NS6detail17trampoline_kernelINS0_14default_configENS1_25partition_config_selectorILNS1_17partition_subalgoE8ElNS0_10empty_typeEbEEZZNS1_14partition_implILS5_8ELb0ES3_jPlPS6_PKS6_NS0_5tupleIJS9_S6_EEENSD_IJSA_SA_EEENS0_18inequality_wrapperIZN2at6native12_GLOBAL__N_124unique_dim_cuda_templateItEESt5tupleIJNSH_6TensorESM_SM_EERKSM_lbbbEUlllE0_EEPmJS6_EEE10hipError_tPvRmT3_T4_T5_T6_T7_T9_mT8_P12ihipStream_tbDpT10_ENKUlT_T0_E_clISt17integral_constantIbLb1EES1B_IbLb0EEEEDaS17_S18_EUlS17_E_NS1_11comp_targetILNS1_3genE2ELNS1_11target_archE906ELNS1_3gpuE6ELNS1_3repE0EEENS1_30default_config_static_selectorELNS0_4arch9wavefront6targetE1EEEvT1_.numbered_sgpr, 0
	.set _ZN7rocprim17ROCPRIM_400000_NS6detail17trampoline_kernelINS0_14default_configENS1_25partition_config_selectorILNS1_17partition_subalgoE8ElNS0_10empty_typeEbEEZZNS1_14partition_implILS5_8ELb0ES3_jPlPS6_PKS6_NS0_5tupleIJS9_S6_EEENSD_IJSA_SA_EEENS0_18inequality_wrapperIZN2at6native12_GLOBAL__N_124unique_dim_cuda_templateItEESt5tupleIJNSH_6TensorESM_SM_EERKSM_lbbbEUlllE0_EEPmJS6_EEE10hipError_tPvRmT3_T4_T5_T6_T7_T9_mT8_P12ihipStream_tbDpT10_ENKUlT_T0_E_clISt17integral_constantIbLb1EES1B_IbLb0EEEEDaS17_S18_EUlS17_E_NS1_11comp_targetILNS1_3genE2ELNS1_11target_archE906ELNS1_3gpuE6ELNS1_3repE0EEENS1_30default_config_static_selectorELNS0_4arch9wavefront6targetE1EEEvT1_.num_named_barrier, 0
	.set _ZN7rocprim17ROCPRIM_400000_NS6detail17trampoline_kernelINS0_14default_configENS1_25partition_config_selectorILNS1_17partition_subalgoE8ElNS0_10empty_typeEbEEZZNS1_14partition_implILS5_8ELb0ES3_jPlPS6_PKS6_NS0_5tupleIJS9_S6_EEENSD_IJSA_SA_EEENS0_18inequality_wrapperIZN2at6native12_GLOBAL__N_124unique_dim_cuda_templateItEESt5tupleIJNSH_6TensorESM_SM_EERKSM_lbbbEUlllE0_EEPmJS6_EEE10hipError_tPvRmT3_T4_T5_T6_T7_T9_mT8_P12ihipStream_tbDpT10_ENKUlT_T0_E_clISt17integral_constantIbLb1EES1B_IbLb0EEEEDaS17_S18_EUlS17_E_NS1_11comp_targetILNS1_3genE2ELNS1_11target_archE906ELNS1_3gpuE6ELNS1_3repE0EEENS1_30default_config_static_selectorELNS0_4arch9wavefront6targetE1EEEvT1_.private_seg_size, 0
	.set _ZN7rocprim17ROCPRIM_400000_NS6detail17trampoline_kernelINS0_14default_configENS1_25partition_config_selectorILNS1_17partition_subalgoE8ElNS0_10empty_typeEbEEZZNS1_14partition_implILS5_8ELb0ES3_jPlPS6_PKS6_NS0_5tupleIJS9_S6_EEENSD_IJSA_SA_EEENS0_18inequality_wrapperIZN2at6native12_GLOBAL__N_124unique_dim_cuda_templateItEESt5tupleIJNSH_6TensorESM_SM_EERKSM_lbbbEUlllE0_EEPmJS6_EEE10hipError_tPvRmT3_T4_T5_T6_T7_T9_mT8_P12ihipStream_tbDpT10_ENKUlT_T0_E_clISt17integral_constantIbLb1EES1B_IbLb0EEEEDaS17_S18_EUlS17_E_NS1_11comp_targetILNS1_3genE2ELNS1_11target_archE906ELNS1_3gpuE6ELNS1_3repE0EEENS1_30default_config_static_selectorELNS0_4arch9wavefront6targetE1EEEvT1_.uses_vcc, 0
	.set _ZN7rocprim17ROCPRIM_400000_NS6detail17trampoline_kernelINS0_14default_configENS1_25partition_config_selectorILNS1_17partition_subalgoE8ElNS0_10empty_typeEbEEZZNS1_14partition_implILS5_8ELb0ES3_jPlPS6_PKS6_NS0_5tupleIJS9_S6_EEENSD_IJSA_SA_EEENS0_18inequality_wrapperIZN2at6native12_GLOBAL__N_124unique_dim_cuda_templateItEESt5tupleIJNSH_6TensorESM_SM_EERKSM_lbbbEUlllE0_EEPmJS6_EEE10hipError_tPvRmT3_T4_T5_T6_T7_T9_mT8_P12ihipStream_tbDpT10_ENKUlT_T0_E_clISt17integral_constantIbLb1EES1B_IbLb0EEEEDaS17_S18_EUlS17_E_NS1_11comp_targetILNS1_3genE2ELNS1_11target_archE906ELNS1_3gpuE6ELNS1_3repE0EEENS1_30default_config_static_selectorELNS0_4arch9wavefront6targetE1EEEvT1_.uses_flat_scratch, 0
	.set _ZN7rocprim17ROCPRIM_400000_NS6detail17trampoline_kernelINS0_14default_configENS1_25partition_config_selectorILNS1_17partition_subalgoE8ElNS0_10empty_typeEbEEZZNS1_14partition_implILS5_8ELb0ES3_jPlPS6_PKS6_NS0_5tupleIJS9_S6_EEENSD_IJSA_SA_EEENS0_18inequality_wrapperIZN2at6native12_GLOBAL__N_124unique_dim_cuda_templateItEESt5tupleIJNSH_6TensorESM_SM_EERKSM_lbbbEUlllE0_EEPmJS6_EEE10hipError_tPvRmT3_T4_T5_T6_T7_T9_mT8_P12ihipStream_tbDpT10_ENKUlT_T0_E_clISt17integral_constantIbLb1EES1B_IbLb0EEEEDaS17_S18_EUlS17_E_NS1_11comp_targetILNS1_3genE2ELNS1_11target_archE906ELNS1_3gpuE6ELNS1_3repE0EEENS1_30default_config_static_selectorELNS0_4arch9wavefront6targetE1EEEvT1_.has_dyn_sized_stack, 0
	.set _ZN7rocprim17ROCPRIM_400000_NS6detail17trampoline_kernelINS0_14default_configENS1_25partition_config_selectorILNS1_17partition_subalgoE8ElNS0_10empty_typeEbEEZZNS1_14partition_implILS5_8ELb0ES3_jPlPS6_PKS6_NS0_5tupleIJS9_S6_EEENSD_IJSA_SA_EEENS0_18inequality_wrapperIZN2at6native12_GLOBAL__N_124unique_dim_cuda_templateItEESt5tupleIJNSH_6TensorESM_SM_EERKSM_lbbbEUlllE0_EEPmJS6_EEE10hipError_tPvRmT3_T4_T5_T6_T7_T9_mT8_P12ihipStream_tbDpT10_ENKUlT_T0_E_clISt17integral_constantIbLb1EES1B_IbLb0EEEEDaS17_S18_EUlS17_E_NS1_11comp_targetILNS1_3genE2ELNS1_11target_archE906ELNS1_3gpuE6ELNS1_3repE0EEENS1_30default_config_static_selectorELNS0_4arch9wavefront6targetE1EEEvT1_.has_recursion, 0
	.set _ZN7rocprim17ROCPRIM_400000_NS6detail17trampoline_kernelINS0_14default_configENS1_25partition_config_selectorILNS1_17partition_subalgoE8ElNS0_10empty_typeEbEEZZNS1_14partition_implILS5_8ELb0ES3_jPlPS6_PKS6_NS0_5tupleIJS9_S6_EEENSD_IJSA_SA_EEENS0_18inequality_wrapperIZN2at6native12_GLOBAL__N_124unique_dim_cuda_templateItEESt5tupleIJNSH_6TensorESM_SM_EERKSM_lbbbEUlllE0_EEPmJS6_EEE10hipError_tPvRmT3_T4_T5_T6_T7_T9_mT8_P12ihipStream_tbDpT10_ENKUlT_T0_E_clISt17integral_constantIbLb1EES1B_IbLb0EEEEDaS17_S18_EUlS17_E_NS1_11comp_targetILNS1_3genE2ELNS1_11target_archE906ELNS1_3gpuE6ELNS1_3repE0EEENS1_30default_config_static_selectorELNS0_4arch9wavefront6targetE1EEEvT1_.has_indirect_call, 0
	.section	.AMDGPU.csdata,"",@progbits
; Kernel info:
; codeLenInByte = 0
; TotalNumSgprs: 6
; NumVgprs: 0
; NumAgprs: 0
; TotalNumVgprs: 0
; ScratchSize: 0
; MemoryBound: 0
; FloatMode: 240
; IeeeMode: 1
; LDSByteSize: 0 bytes/workgroup (compile time only)
; SGPRBlocks: 0
; VGPRBlocks: 0
; NumSGPRsForWavesPerEU: 6
; NumVGPRsForWavesPerEU: 1
; AccumOffset: 4
; Occupancy: 8
; WaveLimiterHint : 0
; COMPUTE_PGM_RSRC2:SCRATCH_EN: 0
; COMPUTE_PGM_RSRC2:USER_SGPR: 2
; COMPUTE_PGM_RSRC2:TRAP_HANDLER: 0
; COMPUTE_PGM_RSRC2:TGID_X_EN: 1
; COMPUTE_PGM_RSRC2:TGID_Y_EN: 0
; COMPUTE_PGM_RSRC2:TGID_Z_EN: 0
; COMPUTE_PGM_RSRC2:TIDIG_COMP_CNT: 0
; COMPUTE_PGM_RSRC3_GFX90A:ACCUM_OFFSET: 0
; COMPUTE_PGM_RSRC3_GFX90A:TG_SPLIT: 0
	.section	.text._ZN7rocprim17ROCPRIM_400000_NS6detail17trampoline_kernelINS0_14default_configENS1_25partition_config_selectorILNS1_17partition_subalgoE8ElNS0_10empty_typeEbEEZZNS1_14partition_implILS5_8ELb0ES3_jPlPS6_PKS6_NS0_5tupleIJS9_S6_EEENSD_IJSA_SA_EEENS0_18inequality_wrapperIZN2at6native12_GLOBAL__N_124unique_dim_cuda_templateItEESt5tupleIJNSH_6TensorESM_SM_EERKSM_lbbbEUlllE0_EEPmJS6_EEE10hipError_tPvRmT3_T4_T5_T6_T7_T9_mT8_P12ihipStream_tbDpT10_ENKUlT_T0_E_clISt17integral_constantIbLb1EES1B_IbLb0EEEEDaS17_S18_EUlS17_E_NS1_11comp_targetILNS1_3genE10ELNS1_11target_archE1200ELNS1_3gpuE4ELNS1_3repE0EEENS1_30default_config_static_selectorELNS0_4arch9wavefront6targetE1EEEvT1_,"axG",@progbits,_ZN7rocprim17ROCPRIM_400000_NS6detail17trampoline_kernelINS0_14default_configENS1_25partition_config_selectorILNS1_17partition_subalgoE8ElNS0_10empty_typeEbEEZZNS1_14partition_implILS5_8ELb0ES3_jPlPS6_PKS6_NS0_5tupleIJS9_S6_EEENSD_IJSA_SA_EEENS0_18inequality_wrapperIZN2at6native12_GLOBAL__N_124unique_dim_cuda_templateItEESt5tupleIJNSH_6TensorESM_SM_EERKSM_lbbbEUlllE0_EEPmJS6_EEE10hipError_tPvRmT3_T4_T5_T6_T7_T9_mT8_P12ihipStream_tbDpT10_ENKUlT_T0_E_clISt17integral_constantIbLb1EES1B_IbLb0EEEEDaS17_S18_EUlS17_E_NS1_11comp_targetILNS1_3genE10ELNS1_11target_archE1200ELNS1_3gpuE4ELNS1_3repE0EEENS1_30default_config_static_selectorELNS0_4arch9wavefront6targetE1EEEvT1_,comdat
	.globl	_ZN7rocprim17ROCPRIM_400000_NS6detail17trampoline_kernelINS0_14default_configENS1_25partition_config_selectorILNS1_17partition_subalgoE8ElNS0_10empty_typeEbEEZZNS1_14partition_implILS5_8ELb0ES3_jPlPS6_PKS6_NS0_5tupleIJS9_S6_EEENSD_IJSA_SA_EEENS0_18inequality_wrapperIZN2at6native12_GLOBAL__N_124unique_dim_cuda_templateItEESt5tupleIJNSH_6TensorESM_SM_EERKSM_lbbbEUlllE0_EEPmJS6_EEE10hipError_tPvRmT3_T4_T5_T6_T7_T9_mT8_P12ihipStream_tbDpT10_ENKUlT_T0_E_clISt17integral_constantIbLb1EES1B_IbLb0EEEEDaS17_S18_EUlS17_E_NS1_11comp_targetILNS1_3genE10ELNS1_11target_archE1200ELNS1_3gpuE4ELNS1_3repE0EEENS1_30default_config_static_selectorELNS0_4arch9wavefront6targetE1EEEvT1_ ; -- Begin function _ZN7rocprim17ROCPRIM_400000_NS6detail17trampoline_kernelINS0_14default_configENS1_25partition_config_selectorILNS1_17partition_subalgoE8ElNS0_10empty_typeEbEEZZNS1_14partition_implILS5_8ELb0ES3_jPlPS6_PKS6_NS0_5tupleIJS9_S6_EEENSD_IJSA_SA_EEENS0_18inequality_wrapperIZN2at6native12_GLOBAL__N_124unique_dim_cuda_templateItEESt5tupleIJNSH_6TensorESM_SM_EERKSM_lbbbEUlllE0_EEPmJS6_EEE10hipError_tPvRmT3_T4_T5_T6_T7_T9_mT8_P12ihipStream_tbDpT10_ENKUlT_T0_E_clISt17integral_constantIbLb1EES1B_IbLb0EEEEDaS17_S18_EUlS17_E_NS1_11comp_targetILNS1_3genE10ELNS1_11target_archE1200ELNS1_3gpuE4ELNS1_3repE0EEENS1_30default_config_static_selectorELNS0_4arch9wavefront6targetE1EEEvT1_
	.p2align	8
	.type	_ZN7rocprim17ROCPRIM_400000_NS6detail17trampoline_kernelINS0_14default_configENS1_25partition_config_selectorILNS1_17partition_subalgoE8ElNS0_10empty_typeEbEEZZNS1_14partition_implILS5_8ELb0ES3_jPlPS6_PKS6_NS0_5tupleIJS9_S6_EEENSD_IJSA_SA_EEENS0_18inequality_wrapperIZN2at6native12_GLOBAL__N_124unique_dim_cuda_templateItEESt5tupleIJNSH_6TensorESM_SM_EERKSM_lbbbEUlllE0_EEPmJS6_EEE10hipError_tPvRmT3_T4_T5_T6_T7_T9_mT8_P12ihipStream_tbDpT10_ENKUlT_T0_E_clISt17integral_constantIbLb1EES1B_IbLb0EEEEDaS17_S18_EUlS17_E_NS1_11comp_targetILNS1_3genE10ELNS1_11target_archE1200ELNS1_3gpuE4ELNS1_3repE0EEENS1_30default_config_static_selectorELNS0_4arch9wavefront6targetE1EEEvT1_,@function
_ZN7rocprim17ROCPRIM_400000_NS6detail17trampoline_kernelINS0_14default_configENS1_25partition_config_selectorILNS1_17partition_subalgoE8ElNS0_10empty_typeEbEEZZNS1_14partition_implILS5_8ELb0ES3_jPlPS6_PKS6_NS0_5tupleIJS9_S6_EEENSD_IJSA_SA_EEENS0_18inequality_wrapperIZN2at6native12_GLOBAL__N_124unique_dim_cuda_templateItEESt5tupleIJNSH_6TensorESM_SM_EERKSM_lbbbEUlllE0_EEPmJS6_EEE10hipError_tPvRmT3_T4_T5_T6_T7_T9_mT8_P12ihipStream_tbDpT10_ENKUlT_T0_E_clISt17integral_constantIbLb1EES1B_IbLb0EEEEDaS17_S18_EUlS17_E_NS1_11comp_targetILNS1_3genE10ELNS1_11target_archE1200ELNS1_3gpuE4ELNS1_3repE0EEENS1_30default_config_static_selectorELNS0_4arch9wavefront6targetE1EEEvT1_: ; @_ZN7rocprim17ROCPRIM_400000_NS6detail17trampoline_kernelINS0_14default_configENS1_25partition_config_selectorILNS1_17partition_subalgoE8ElNS0_10empty_typeEbEEZZNS1_14partition_implILS5_8ELb0ES3_jPlPS6_PKS6_NS0_5tupleIJS9_S6_EEENSD_IJSA_SA_EEENS0_18inequality_wrapperIZN2at6native12_GLOBAL__N_124unique_dim_cuda_templateItEESt5tupleIJNSH_6TensorESM_SM_EERKSM_lbbbEUlllE0_EEPmJS6_EEE10hipError_tPvRmT3_T4_T5_T6_T7_T9_mT8_P12ihipStream_tbDpT10_ENKUlT_T0_E_clISt17integral_constantIbLb1EES1B_IbLb0EEEEDaS17_S18_EUlS17_E_NS1_11comp_targetILNS1_3genE10ELNS1_11target_archE1200ELNS1_3gpuE4ELNS1_3repE0EEENS1_30default_config_static_selectorELNS0_4arch9wavefront6targetE1EEEvT1_
; %bb.0:
	.section	.rodata,"a",@progbits
	.p2align	6, 0x0
	.amdhsa_kernel _ZN7rocprim17ROCPRIM_400000_NS6detail17trampoline_kernelINS0_14default_configENS1_25partition_config_selectorILNS1_17partition_subalgoE8ElNS0_10empty_typeEbEEZZNS1_14partition_implILS5_8ELb0ES3_jPlPS6_PKS6_NS0_5tupleIJS9_S6_EEENSD_IJSA_SA_EEENS0_18inequality_wrapperIZN2at6native12_GLOBAL__N_124unique_dim_cuda_templateItEESt5tupleIJNSH_6TensorESM_SM_EERKSM_lbbbEUlllE0_EEPmJS6_EEE10hipError_tPvRmT3_T4_T5_T6_T7_T9_mT8_P12ihipStream_tbDpT10_ENKUlT_T0_E_clISt17integral_constantIbLb1EES1B_IbLb0EEEEDaS17_S18_EUlS17_E_NS1_11comp_targetILNS1_3genE10ELNS1_11target_archE1200ELNS1_3gpuE4ELNS1_3repE0EEENS1_30default_config_static_selectorELNS0_4arch9wavefront6targetE1EEEvT1_
		.amdhsa_group_segment_fixed_size 0
		.amdhsa_private_segment_fixed_size 0
		.amdhsa_kernarg_size 120
		.amdhsa_user_sgpr_count 2
		.amdhsa_user_sgpr_dispatch_ptr 0
		.amdhsa_user_sgpr_queue_ptr 0
		.amdhsa_user_sgpr_kernarg_segment_ptr 1
		.amdhsa_user_sgpr_dispatch_id 0
		.amdhsa_user_sgpr_kernarg_preload_length 0
		.amdhsa_user_sgpr_kernarg_preload_offset 0
		.amdhsa_user_sgpr_private_segment_size 0
		.amdhsa_uses_dynamic_stack 0
		.amdhsa_enable_private_segment 0
		.amdhsa_system_sgpr_workgroup_id_x 1
		.amdhsa_system_sgpr_workgroup_id_y 0
		.amdhsa_system_sgpr_workgroup_id_z 0
		.amdhsa_system_sgpr_workgroup_info 0
		.amdhsa_system_vgpr_workitem_id 0
		.amdhsa_next_free_vgpr 1
		.amdhsa_next_free_sgpr 0
		.amdhsa_accum_offset 4
		.amdhsa_reserve_vcc 0
		.amdhsa_float_round_mode_32 0
		.amdhsa_float_round_mode_16_64 0
		.amdhsa_float_denorm_mode_32 3
		.amdhsa_float_denorm_mode_16_64 3
		.amdhsa_dx10_clamp 1
		.amdhsa_ieee_mode 1
		.amdhsa_fp16_overflow 0
		.amdhsa_tg_split 0
		.amdhsa_exception_fp_ieee_invalid_op 0
		.amdhsa_exception_fp_denorm_src 0
		.amdhsa_exception_fp_ieee_div_zero 0
		.amdhsa_exception_fp_ieee_overflow 0
		.amdhsa_exception_fp_ieee_underflow 0
		.amdhsa_exception_fp_ieee_inexact 0
		.amdhsa_exception_int_div_zero 0
	.end_amdhsa_kernel
	.section	.text._ZN7rocprim17ROCPRIM_400000_NS6detail17trampoline_kernelINS0_14default_configENS1_25partition_config_selectorILNS1_17partition_subalgoE8ElNS0_10empty_typeEbEEZZNS1_14partition_implILS5_8ELb0ES3_jPlPS6_PKS6_NS0_5tupleIJS9_S6_EEENSD_IJSA_SA_EEENS0_18inequality_wrapperIZN2at6native12_GLOBAL__N_124unique_dim_cuda_templateItEESt5tupleIJNSH_6TensorESM_SM_EERKSM_lbbbEUlllE0_EEPmJS6_EEE10hipError_tPvRmT3_T4_T5_T6_T7_T9_mT8_P12ihipStream_tbDpT10_ENKUlT_T0_E_clISt17integral_constantIbLb1EES1B_IbLb0EEEEDaS17_S18_EUlS17_E_NS1_11comp_targetILNS1_3genE10ELNS1_11target_archE1200ELNS1_3gpuE4ELNS1_3repE0EEENS1_30default_config_static_selectorELNS0_4arch9wavefront6targetE1EEEvT1_,"axG",@progbits,_ZN7rocprim17ROCPRIM_400000_NS6detail17trampoline_kernelINS0_14default_configENS1_25partition_config_selectorILNS1_17partition_subalgoE8ElNS0_10empty_typeEbEEZZNS1_14partition_implILS5_8ELb0ES3_jPlPS6_PKS6_NS0_5tupleIJS9_S6_EEENSD_IJSA_SA_EEENS0_18inequality_wrapperIZN2at6native12_GLOBAL__N_124unique_dim_cuda_templateItEESt5tupleIJNSH_6TensorESM_SM_EERKSM_lbbbEUlllE0_EEPmJS6_EEE10hipError_tPvRmT3_T4_T5_T6_T7_T9_mT8_P12ihipStream_tbDpT10_ENKUlT_T0_E_clISt17integral_constantIbLb1EES1B_IbLb0EEEEDaS17_S18_EUlS17_E_NS1_11comp_targetILNS1_3genE10ELNS1_11target_archE1200ELNS1_3gpuE4ELNS1_3repE0EEENS1_30default_config_static_selectorELNS0_4arch9wavefront6targetE1EEEvT1_,comdat
.Lfunc_end1440:
	.size	_ZN7rocprim17ROCPRIM_400000_NS6detail17trampoline_kernelINS0_14default_configENS1_25partition_config_selectorILNS1_17partition_subalgoE8ElNS0_10empty_typeEbEEZZNS1_14partition_implILS5_8ELb0ES3_jPlPS6_PKS6_NS0_5tupleIJS9_S6_EEENSD_IJSA_SA_EEENS0_18inequality_wrapperIZN2at6native12_GLOBAL__N_124unique_dim_cuda_templateItEESt5tupleIJNSH_6TensorESM_SM_EERKSM_lbbbEUlllE0_EEPmJS6_EEE10hipError_tPvRmT3_T4_T5_T6_T7_T9_mT8_P12ihipStream_tbDpT10_ENKUlT_T0_E_clISt17integral_constantIbLb1EES1B_IbLb0EEEEDaS17_S18_EUlS17_E_NS1_11comp_targetILNS1_3genE10ELNS1_11target_archE1200ELNS1_3gpuE4ELNS1_3repE0EEENS1_30default_config_static_selectorELNS0_4arch9wavefront6targetE1EEEvT1_, .Lfunc_end1440-_ZN7rocprim17ROCPRIM_400000_NS6detail17trampoline_kernelINS0_14default_configENS1_25partition_config_selectorILNS1_17partition_subalgoE8ElNS0_10empty_typeEbEEZZNS1_14partition_implILS5_8ELb0ES3_jPlPS6_PKS6_NS0_5tupleIJS9_S6_EEENSD_IJSA_SA_EEENS0_18inequality_wrapperIZN2at6native12_GLOBAL__N_124unique_dim_cuda_templateItEESt5tupleIJNSH_6TensorESM_SM_EERKSM_lbbbEUlllE0_EEPmJS6_EEE10hipError_tPvRmT3_T4_T5_T6_T7_T9_mT8_P12ihipStream_tbDpT10_ENKUlT_T0_E_clISt17integral_constantIbLb1EES1B_IbLb0EEEEDaS17_S18_EUlS17_E_NS1_11comp_targetILNS1_3genE10ELNS1_11target_archE1200ELNS1_3gpuE4ELNS1_3repE0EEENS1_30default_config_static_selectorELNS0_4arch9wavefront6targetE1EEEvT1_
                                        ; -- End function
	.set _ZN7rocprim17ROCPRIM_400000_NS6detail17trampoline_kernelINS0_14default_configENS1_25partition_config_selectorILNS1_17partition_subalgoE8ElNS0_10empty_typeEbEEZZNS1_14partition_implILS5_8ELb0ES3_jPlPS6_PKS6_NS0_5tupleIJS9_S6_EEENSD_IJSA_SA_EEENS0_18inequality_wrapperIZN2at6native12_GLOBAL__N_124unique_dim_cuda_templateItEESt5tupleIJNSH_6TensorESM_SM_EERKSM_lbbbEUlllE0_EEPmJS6_EEE10hipError_tPvRmT3_T4_T5_T6_T7_T9_mT8_P12ihipStream_tbDpT10_ENKUlT_T0_E_clISt17integral_constantIbLb1EES1B_IbLb0EEEEDaS17_S18_EUlS17_E_NS1_11comp_targetILNS1_3genE10ELNS1_11target_archE1200ELNS1_3gpuE4ELNS1_3repE0EEENS1_30default_config_static_selectorELNS0_4arch9wavefront6targetE1EEEvT1_.num_vgpr, 0
	.set _ZN7rocprim17ROCPRIM_400000_NS6detail17trampoline_kernelINS0_14default_configENS1_25partition_config_selectorILNS1_17partition_subalgoE8ElNS0_10empty_typeEbEEZZNS1_14partition_implILS5_8ELb0ES3_jPlPS6_PKS6_NS0_5tupleIJS9_S6_EEENSD_IJSA_SA_EEENS0_18inequality_wrapperIZN2at6native12_GLOBAL__N_124unique_dim_cuda_templateItEESt5tupleIJNSH_6TensorESM_SM_EERKSM_lbbbEUlllE0_EEPmJS6_EEE10hipError_tPvRmT3_T4_T5_T6_T7_T9_mT8_P12ihipStream_tbDpT10_ENKUlT_T0_E_clISt17integral_constantIbLb1EES1B_IbLb0EEEEDaS17_S18_EUlS17_E_NS1_11comp_targetILNS1_3genE10ELNS1_11target_archE1200ELNS1_3gpuE4ELNS1_3repE0EEENS1_30default_config_static_selectorELNS0_4arch9wavefront6targetE1EEEvT1_.num_agpr, 0
	.set _ZN7rocprim17ROCPRIM_400000_NS6detail17trampoline_kernelINS0_14default_configENS1_25partition_config_selectorILNS1_17partition_subalgoE8ElNS0_10empty_typeEbEEZZNS1_14partition_implILS5_8ELb0ES3_jPlPS6_PKS6_NS0_5tupleIJS9_S6_EEENSD_IJSA_SA_EEENS0_18inequality_wrapperIZN2at6native12_GLOBAL__N_124unique_dim_cuda_templateItEESt5tupleIJNSH_6TensorESM_SM_EERKSM_lbbbEUlllE0_EEPmJS6_EEE10hipError_tPvRmT3_T4_T5_T6_T7_T9_mT8_P12ihipStream_tbDpT10_ENKUlT_T0_E_clISt17integral_constantIbLb1EES1B_IbLb0EEEEDaS17_S18_EUlS17_E_NS1_11comp_targetILNS1_3genE10ELNS1_11target_archE1200ELNS1_3gpuE4ELNS1_3repE0EEENS1_30default_config_static_selectorELNS0_4arch9wavefront6targetE1EEEvT1_.numbered_sgpr, 0
	.set _ZN7rocprim17ROCPRIM_400000_NS6detail17trampoline_kernelINS0_14default_configENS1_25partition_config_selectorILNS1_17partition_subalgoE8ElNS0_10empty_typeEbEEZZNS1_14partition_implILS5_8ELb0ES3_jPlPS6_PKS6_NS0_5tupleIJS9_S6_EEENSD_IJSA_SA_EEENS0_18inequality_wrapperIZN2at6native12_GLOBAL__N_124unique_dim_cuda_templateItEESt5tupleIJNSH_6TensorESM_SM_EERKSM_lbbbEUlllE0_EEPmJS6_EEE10hipError_tPvRmT3_T4_T5_T6_T7_T9_mT8_P12ihipStream_tbDpT10_ENKUlT_T0_E_clISt17integral_constantIbLb1EES1B_IbLb0EEEEDaS17_S18_EUlS17_E_NS1_11comp_targetILNS1_3genE10ELNS1_11target_archE1200ELNS1_3gpuE4ELNS1_3repE0EEENS1_30default_config_static_selectorELNS0_4arch9wavefront6targetE1EEEvT1_.num_named_barrier, 0
	.set _ZN7rocprim17ROCPRIM_400000_NS6detail17trampoline_kernelINS0_14default_configENS1_25partition_config_selectorILNS1_17partition_subalgoE8ElNS0_10empty_typeEbEEZZNS1_14partition_implILS5_8ELb0ES3_jPlPS6_PKS6_NS0_5tupleIJS9_S6_EEENSD_IJSA_SA_EEENS0_18inequality_wrapperIZN2at6native12_GLOBAL__N_124unique_dim_cuda_templateItEESt5tupleIJNSH_6TensorESM_SM_EERKSM_lbbbEUlllE0_EEPmJS6_EEE10hipError_tPvRmT3_T4_T5_T6_T7_T9_mT8_P12ihipStream_tbDpT10_ENKUlT_T0_E_clISt17integral_constantIbLb1EES1B_IbLb0EEEEDaS17_S18_EUlS17_E_NS1_11comp_targetILNS1_3genE10ELNS1_11target_archE1200ELNS1_3gpuE4ELNS1_3repE0EEENS1_30default_config_static_selectorELNS0_4arch9wavefront6targetE1EEEvT1_.private_seg_size, 0
	.set _ZN7rocprim17ROCPRIM_400000_NS6detail17trampoline_kernelINS0_14default_configENS1_25partition_config_selectorILNS1_17partition_subalgoE8ElNS0_10empty_typeEbEEZZNS1_14partition_implILS5_8ELb0ES3_jPlPS6_PKS6_NS0_5tupleIJS9_S6_EEENSD_IJSA_SA_EEENS0_18inequality_wrapperIZN2at6native12_GLOBAL__N_124unique_dim_cuda_templateItEESt5tupleIJNSH_6TensorESM_SM_EERKSM_lbbbEUlllE0_EEPmJS6_EEE10hipError_tPvRmT3_T4_T5_T6_T7_T9_mT8_P12ihipStream_tbDpT10_ENKUlT_T0_E_clISt17integral_constantIbLb1EES1B_IbLb0EEEEDaS17_S18_EUlS17_E_NS1_11comp_targetILNS1_3genE10ELNS1_11target_archE1200ELNS1_3gpuE4ELNS1_3repE0EEENS1_30default_config_static_selectorELNS0_4arch9wavefront6targetE1EEEvT1_.uses_vcc, 0
	.set _ZN7rocprim17ROCPRIM_400000_NS6detail17trampoline_kernelINS0_14default_configENS1_25partition_config_selectorILNS1_17partition_subalgoE8ElNS0_10empty_typeEbEEZZNS1_14partition_implILS5_8ELb0ES3_jPlPS6_PKS6_NS0_5tupleIJS9_S6_EEENSD_IJSA_SA_EEENS0_18inequality_wrapperIZN2at6native12_GLOBAL__N_124unique_dim_cuda_templateItEESt5tupleIJNSH_6TensorESM_SM_EERKSM_lbbbEUlllE0_EEPmJS6_EEE10hipError_tPvRmT3_T4_T5_T6_T7_T9_mT8_P12ihipStream_tbDpT10_ENKUlT_T0_E_clISt17integral_constantIbLb1EES1B_IbLb0EEEEDaS17_S18_EUlS17_E_NS1_11comp_targetILNS1_3genE10ELNS1_11target_archE1200ELNS1_3gpuE4ELNS1_3repE0EEENS1_30default_config_static_selectorELNS0_4arch9wavefront6targetE1EEEvT1_.uses_flat_scratch, 0
	.set _ZN7rocprim17ROCPRIM_400000_NS6detail17trampoline_kernelINS0_14default_configENS1_25partition_config_selectorILNS1_17partition_subalgoE8ElNS0_10empty_typeEbEEZZNS1_14partition_implILS5_8ELb0ES3_jPlPS6_PKS6_NS0_5tupleIJS9_S6_EEENSD_IJSA_SA_EEENS0_18inequality_wrapperIZN2at6native12_GLOBAL__N_124unique_dim_cuda_templateItEESt5tupleIJNSH_6TensorESM_SM_EERKSM_lbbbEUlllE0_EEPmJS6_EEE10hipError_tPvRmT3_T4_T5_T6_T7_T9_mT8_P12ihipStream_tbDpT10_ENKUlT_T0_E_clISt17integral_constantIbLb1EES1B_IbLb0EEEEDaS17_S18_EUlS17_E_NS1_11comp_targetILNS1_3genE10ELNS1_11target_archE1200ELNS1_3gpuE4ELNS1_3repE0EEENS1_30default_config_static_selectorELNS0_4arch9wavefront6targetE1EEEvT1_.has_dyn_sized_stack, 0
	.set _ZN7rocprim17ROCPRIM_400000_NS6detail17trampoline_kernelINS0_14default_configENS1_25partition_config_selectorILNS1_17partition_subalgoE8ElNS0_10empty_typeEbEEZZNS1_14partition_implILS5_8ELb0ES3_jPlPS6_PKS6_NS0_5tupleIJS9_S6_EEENSD_IJSA_SA_EEENS0_18inequality_wrapperIZN2at6native12_GLOBAL__N_124unique_dim_cuda_templateItEESt5tupleIJNSH_6TensorESM_SM_EERKSM_lbbbEUlllE0_EEPmJS6_EEE10hipError_tPvRmT3_T4_T5_T6_T7_T9_mT8_P12ihipStream_tbDpT10_ENKUlT_T0_E_clISt17integral_constantIbLb1EES1B_IbLb0EEEEDaS17_S18_EUlS17_E_NS1_11comp_targetILNS1_3genE10ELNS1_11target_archE1200ELNS1_3gpuE4ELNS1_3repE0EEENS1_30default_config_static_selectorELNS0_4arch9wavefront6targetE1EEEvT1_.has_recursion, 0
	.set _ZN7rocprim17ROCPRIM_400000_NS6detail17trampoline_kernelINS0_14default_configENS1_25partition_config_selectorILNS1_17partition_subalgoE8ElNS0_10empty_typeEbEEZZNS1_14partition_implILS5_8ELb0ES3_jPlPS6_PKS6_NS0_5tupleIJS9_S6_EEENSD_IJSA_SA_EEENS0_18inequality_wrapperIZN2at6native12_GLOBAL__N_124unique_dim_cuda_templateItEESt5tupleIJNSH_6TensorESM_SM_EERKSM_lbbbEUlllE0_EEPmJS6_EEE10hipError_tPvRmT3_T4_T5_T6_T7_T9_mT8_P12ihipStream_tbDpT10_ENKUlT_T0_E_clISt17integral_constantIbLb1EES1B_IbLb0EEEEDaS17_S18_EUlS17_E_NS1_11comp_targetILNS1_3genE10ELNS1_11target_archE1200ELNS1_3gpuE4ELNS1_3repE0EEENS1_30default_config_static_selectorELNS0_4arch9wavefront6targetE1EEEvT1_.has_indirect_call, 0
	.section	.AMDGPU.csdata,"",@progbits
; Kernel info:
; codeLenInByte = 0
; TotalNumSgprs: 6
; NumVgprs: 0
; NumAgprs: 0
; TotalNumVgprs: 0
; ScratchSize: 0
; MemoryBound: 0
; FloatMode: 240
; IeeeMode: 1
; LDSByteSize: 0 bytes/workgroup (compile time only)
; SGPRBlocks: 0
; VGPRBlocks: 0
; NumSGPRsForWavesPerEU: 6
; NumVGPRsForWavesPerEU: 1
; AccumOffset: 4
; Occupancy: 8
; WaveLimiterHint : 0
; COMPUTE_PGM_RSRC2:SCRATCH_EN: 0
; COMPUTE_PGM_RSRC2:USER_SGPR: 2
; COMPUTE_PGM_RSRC2:TRAP_HANDLER: 0
; COMPUTE_PGM_RSRC2:TGID_X_EN: 1
; COMPUTE_PGM_RSRC2:TGID_Y_EN: 0
; COMPUTE_PGM_RSRC2:TGID_Z_EN: 0
; COMPUTE_PGM_RSRC2:TIDIG_COMP_CNT: 0
; COMPUTE_PGM_RSRC3_GFX90A:ACCUM_OFFSET: 0
; COMPUTE_PGM_RSRC3_GFX90A:TG_SPLIT: 0
	.section	.text._ZN7rocprim17ROCPRIM_400000_NS6detail17trampoline_kernelINS0_14default_configENS1_25partition_config_selectorILNS1_17partition_subalgoE8ElNS0_10empty_typeEbEEZZNS1_14partition_implILS5_8ELb0ES3_jPlPS6_PKS6_NS0_5tupleIJS9_S6_EEENSD_IJSA_SA_EEENS0_18inequality_wrapperIZN2at6native12_GLOBAL__N_124unique_dim_cuda_templateItEESt5tupleIJNSH_6TensorESM_SM_EERKSM_lbbbEUlllE0_EEPmJS6_EEE10hipError_tPvRmT3_T4_T5_T6_T7_T9_mT8_P12ihipStream_tbDpT10_ENKUlT_T0_E_clISt17integral_constantIbLb1EES1B_IbLb0EEEEDaS17_S18_EUlS17_E_NS1_11comp_targetILNS1_3genE9ELNS1_11target_archE1100ELNS1_3gpuE3ELNS1_3repE0EEENS1_30default_config_static_selectorELNS0_4arch9wavefront6targetE1EEEvT1_,"axG",@progbits,_ZN7rocprim17ROCPRIM_400000_NS6detail17trampoline_kernelINS0_14default_configENS1_25partition_config_selectorILNS1_17partition_subalgoE8ElNS0_10empty_typeEbEEZZNS1_14partition_implILS5_8ELb0ES3_jPlPS6_PKS6_NS0_5tupleIJS9_S6_EEENSD_IJSA_SA_EEENS0_18inequality_wrapperIZN2at6native12_GLOBAL__N_124unique_dim_cuda_templateItEESt5tupleIJNSH_6TensorESM_SM_EERKSM_lbbbEUlllE0_EEPmJS6_EEE10hipError_tPvRmT3_T4_T5_T6_T7_T9_mT8_P12ihipStream_tbDpT10_ENKUlT_T0_E_clISt17integral_constantIbLb1EES1B_IbLb0EEEEDaS17_S18_EUlS17_E_NS1_11comp_targetILNS1_3genE9ELNS1_11target_archE1100ELNS1_3gpuE3ELNS1_3repE0EEENS1_30default_config_static_selectorELNS0_4arch9wavefront6targetE1EEEvT1_,comdat
	.globl	_ZN7rocprim17ROCPRIM_400000_NS6detail17trampoline_kernelINS0_14default_configENS1_25partition_config_selectorILNS1_17partition_subalgoE8ElNS0_10empty_typeEbEEZZNS1_14partition_implILS5_8ELb0ES3_jPlPS6_PKS6_NS0_5tupleIJS9_S6_EEENSD_IJSA_SA_EEENS0_18inequality_wrapperIZN2at6native12_GLOBAL__N_124unique_dim_cuda_templateItEESt5tupleIJNSH_6TensorESM_SM_EERKSM_lbbbEUlllE0_EEPmJS6_EEE10hipError_tPvRmT3_T4_T5_T6_T7_T9_mT8_P12ihipStream_tbDpT10_ENKUlT_T0_E_clISt17integral_constantIbLb1EES1B_IbLb0EEEEDaS17_S18_EUlS17_E_NS1_11comp_targetILNS1_3genE9ELNS1_11target_archE1100ELNS1_3gpuE3ELNS1_3repE0EEENS1_30default_config_static_selectorELNS0_4arch9wavefront6targetE1EEEvT1_ ; -- Begin function _ZN7rocprim17ROCPRIM_400000_NS6detail17trampoline_kernelINS0_14default_configENS1_25partition_config_selectorILNS1_17partition_subalgoE8ElNS0_10empty_typeEbEEZZNS1_14partition_implILS5_8ELb0ES3_jPlPS6_PKS6_NS0_5tupleIJS9_S6_EEENSD_IJSA_SA_EEENS0_18inequality_wrapperIZN2at6native12_GLOBAL__N_124unique_dim_cuda_templateItEESt5tupleIJNSH_6TensorESM_SM_EERKSM_lbbbEUlllE0_EEPmJS6_EEE10hipError_tPvRmT3_T4_T5_T6_T7_T9_mT8_P12ihipStream_tbDpT10_ENKUlT_T0_E_clISt17integral_constantIbLb1EES1B_IbLb0EEEEDaS17_S18_EUlS17_E_NS1_11comp_targetILNS1_3genE9ELNS1_11target_archE1100ELNS1_3gpuE3ELNS1_3repE0EEENS1_30default_config_static_selectorELNS0_4arch9wavefront6targetE1EEEvT1_
	.p2align	8
	.type	_ZN7rocprim17ROCPRIM_400000_NS6detail17trampoline_kernelINS0_14default_configENS1_25partition_config_selectorILNS1_17partition_subalgoE8ElNS0_10empty_typeEbEEZZNS1_14partition_implILS5_8ELb0ES3_jPlPS6_PKS6_NS0_5tupleIJS9_S6_EEENSD_IJSA_SA_EEENS0_18inequality_wrapperIZN2at6native12_GLOBAL__N_124unique_dim_cuda_templateItEESt5tupleIJNSH_6TensorESM_SM_EERKSM_lbbbEUlllE0_EEPmJS6_EEE10hipError_tPvRmT3_T4_T5_T6_T7_T9_mT8_P12ihipStream_tbDpT10_ENKUlT_T0_E_clISt17integral_constantIbLb1EES1B_IbLb0EEEEDaS17_S18_EUlS17_E_NS1_11comp_targetILNS1_3genE9ELNS1_11target_archE1100ELNS1_3gpuE3ELNS1_3repE0EEENS1_30default_config_static_selectorELNS0_4arch9wavefront6targetE1EEEvT1_,@function
_ZN7rocprim17ROCPRIM_400000_NS6detail17trampoline_kernelINS0_14default_configENS1_25partition_config_selectorILNS1_17partition_subalgoE8ElNS0_10empty_typeEbEEZZNS1_14partition_implILS5_8ELb0ES3_jPlPS6_PKS6_NS0_5tupleIJS9_S6_EEENSD_IJSA_SA_EEENS0_18inequality_wrapperIZN2at6native12_GLOBAL__N_124unique_dim_cuda_templateItEESt5tupleIJNSH_6TensorESM_SM_EERKSM_lbbbEUlllE0_EEPmJS6_EEE10hipError_tPvRmT3_T4_T5_T6_T7_T9_mT8_P12ihipStream_tbDpT10_ENKUlT_T0_E_clISt17integral_constantIbLb1EES1B_IbLb0EEEEDaS17_S18_EUlS17_E_NS1_11comp_targetILNS1_3genE9ELNS1_11target_archE1100ELNS1_3gpuE3ELNS1_3repE0EEENS1_30default_config_static_selectorELNS0_4arch9wavefront6targetE1EEEvT1_: ; @_ZN7rocprim17ROCPRIM_400000_NS6detail17trampoline_kernelINS0_14default_configENS1_25partition_config_selectorILNS1_17partition_subalgoE8ElNS0_10empty_typeEbEEZZNS1_14partition_implILS5_8ELb0ES3_jPlPS6_PKS6_NS0_5tupleIJS9_S6_EEENSD_IJSA_SA_EEENS0_18inequality_wrapperIZN2at6native12_GLOBAL__N_124unique_dim_cuda_templateItEESt5tupleIJNSH_6TensorESM_SM_EERKSM_lbbbEUlllE0_EEPmJS6_EEE10hipError_tPvRmT3_T4_T5_T6_T7_T9_mT8_P12ihipStream_tbDpT10_ENKUlT_T0_E_clISt17integral_constantIbLb1EES1B_IbLb0EEEEDaS17_S18_EUlS17_E_NS1_11comp_targetILNS1_3genE9ELNS1_11target_archE1100ELNS1_3gpuE3ELNS1_3repE0EEENS1_30default_config_static_selectorELNS0_4arch9wavefront6targetE1EEEvT1_
; %bb.0:
	.section	.rodata,"a",@progbits
	.p2align	6, 0x0
	.amdhsa_kernel _ZN7rocprim17ROCPRIM_400000_NS6detail17trampoline_kernelINS0_14default_configENS1_25partition_config_selectorILNS1_17partition_subalgoE8ElNS0_10empty_typeEbEEZZNS1_14partition_implILS5_8ELb0ES3_jPlPS6_PKS6_NS0_5tupleIJS9_S6_EEENSD_IJSA_SA_EEENS0_18inequality_wrapperIZN2at6native12_GLOBAL__N_124unique_dim_cuda_templateItEESt5tupleIJNSH_6TensorESM_SM_EERKSM_lbbbEUlllE0_EEPmJS6_EEE10hipError_tPvRmT3_T4_T5_T6_T7_T9_mT8_P12ihipStream_tbDpT10_ENKUlT_T0_E_clISt17integral_constantIbLb1EES1B_IbLb0EEEEDaS17_S18_EUlS17_E_NS1_11comp_targetILNS1_3genE9ELNS1_11target_archE1100ELNS1_3gpuE3ELNS1_3repE0EEENS1_30default_config_static_selectorELNS0_4arch9wavefront6targetE1EEEvT1_
		.amdhsa_group_segment_fixed_size 0
		.amdhsa_private_segment_fixed_size 0
		.amdhsa_kernarg_size 120
		.amdhsa_user_sgpr_count 2
		.amdhsa_user_sgpr_dispatch_ptr 0
		.amdhsa_user_sgpr_queue_ptr 0
		.amdhsa_user_sgpr_kernarg_segment_ptr 1
		.amdhsa_user_sgpr_dispatch_id 0
		.amdhsa_user_sgpr_kernarg_preload_length 0
		.amdhsa_user_sgpr_kernarg_preload_offset 0
		.amdhsa_user_sgpr_private_segment_size 0
		.amdhsa_uses_dynamic_stack 0
		.amdhsa_enable_private_segment 0
		.amdhsa_system_sgpr_workgroup_id_x 1
		.amdhsa_system_sgpr_workgroup_id_y 0
		.amdhsa_system_sgpr_workgroup_id_z 0
		.amdhsa_system_sgpr_workgroup_info 0
		.amdhsa_system_vgpr_workitem_id 0
		.amdhsa_next_free_vgpr 1
		.amdhsa_next_free_sgpr 0
		.amdhsa_accum_offset 4
		.amdhsa_reserve_vcc 0
		.amdhsa_float_round_mode_32 0
		.amdhsa_float_round_mode_16_64 0
		.amdhsa_float_denorm_mode_32 3
		.amdhsa_float_denorm_mode_16_64 3
		.amdhsa_dx10_clamp 1
		.amdhsa_ieee_mode 1
		.amdhsa_fp16_overflow 0
		.amdhsa_tg_split 0
		.amdhsa_exception_fp_ieee_invalid_op 0
		.amdhsa_exception_fp_denorm_src 0
		.amdhsa_exception_fp_ieee_div_zero 0
		.amdhsa_exception_fp_ieee_overflow 0
		.amdhsa_exception_fp_ieee_underflow 0
		.amdhsa_exception_fp_ieee_inexact 0
		.amdhsa_exception_int_div_zero 0
	.end_amdhsa_kernel
	.section	.text._ZN7rocprim17ROCPRIM_400000_NS6detail17trampoline_kernelINS0_14default_configENS1_25partition_config_selectorILNS1_17partition_subalgoE8ElNS0_10empty_typeEbEEZZNS1_14partition_implILS5_8ELb0ES3_jPlPS6_PKS6_NS0_5tupleIJS9_S6_EEENSD_IJSA_SA_EEENS0_18inequality_wrapperIZN2at6native12_GLOBAL__N_124unique_dim_cuda_templateItEESt5tupleIJNSH_6TensorESM_SM_EERKSM_lbbbEUlllE0_EEPmJS6_EEE10hipError_tPvRmT3_T4_T5_T6_T7_T9_mT8_P12ihipStream_tbDpT10_ENKUlT_T0_E_clISt17integral_constantIbLb1EES1B_IbLb0EEEEDaS17_S18_EUlS17_E_NS1_11comp_targetILNS1_3genE9ELNS1_11target_archE1100ELNS1_3gpuE3ELNS1_3repE0EEENS1_30default_config_static_selectorELNS0_4arch9wavefront6targetE1EEEvT1_,"axG",@progbits,_ZN7rocprim17ROCPRIM_400000_NS6detail17trampoline_kernelINS0_14default_configENS1_25partition_config_selectorILNS1_17partition_subalgoE8ElNS0_10empty_typeEbEEZZNS1_14partition_implILS5_8ELb0ES3_jPlPS6_PKS6_NS0_5tupleIJS9_S6_EEENSD_IJSA_SA_EEENS0_18inequality_wrapperIZN2at6native12_GLOBAL__N_124unique_dim_cuda_templateItEESt5tupleIJNSH_6TensorESM_SM_EERKSM_lbbbEUlllE0_EEPmJS6_EEE10hipError_tPvRmT3_T4_T5_T6_T7_T9_mT8_P12ihipStream_tbDpT10_ENKUlT_T0_E_clISt17integral_constantIbLb1EES1B_IbLb0EEEEDaS17_S18_EUlS17_E_NS1_11comp_targetILNS1_3genE9ELNS1_11target_archE1100ELNS1_3gpuE3ELNS1_3repE0EEENS1_30default_config_static_selectorELNS0_4arch9wavefront6targetE1EEEvT1_,comdat
.Lfunc_end1441:
	.size	_ZN7rocprim17ROCPRIM_400000_NS6detail17trampoline_kernelINS0_14default_configENS1_25partition_config_selectorILNS1_17partition_subalgoE8ElNS0_10empty_typeEbEEZZNS1_14partition_implILS5_8ELb0ES3_jPlPS6_PKS6_NS0_5tupleIJS9_S6_EEENSD_IJSA_SA_EEENS0_18inequality_wrapperIZN2at6native12_GLOBAL__N_124unique_dim_cuda_templateItEESt5tupleIJNSH_6TensorESM_SM_EERKSM_lbbbEUlllE0_EEPmJS6_EEE10hipError_tPvRmT3_T4_T5_T6_T7_T9_mT8_P12ihipStream_tbDpT10_ENKUlT_T0_E_clISt17integral_constantIbLb1EES1B_IbLb0EEEEDaS17_S18_EUlS17_E_NS1_11comp_targetILNS1_3genE9ELNS1_11target_archE1100ELNS1_3gpuE3ELNS1_3repE0EEENS1_30default_config_static_selectorELNS0_4arch9wavefront6targetE1EEEvT1_, .Lfunc_end1441-_ZN7rocprim17ROCPRIM_400000_NS6detail17trampoline_kernelINS0_14default_configENS1_25partition_config_selectorILNS1_17partition_subalgoE8ElNS0_10empty_typeEbEEZZNS1_14partition_implILS5_8ELb0ES3_jPlPS6_PKS6_NS0_5tupleIJS9_S6_EEENSD_IJSA_SA_EEENS0_18inequality_wrapperIZN2at6native12_GLOBAL__N_124unique_dim_cuda_templateItEESt5tupleIJNSH_6TensorESM_SM_EERKSM_lbbbEUlllE0_EEPmJS6_EEE10hipError_tPvRmT3_T4_T5_T6_T7_T9_mT8_P12ihipStream_tbDpT10_ENKUlT_T0_E_clISt17integral_constantIbLb1EES1B_IbLb0EEEEDaS17_S18_EUlS17_E_NS1_11comp_targetILNS1_3genE9ELNS1_11target_archE1100ELNS1_3gpuE3ELNS1_3repE0EEENS1_30default_config_static_selectorELNS0_4arch9wavefront6targetE1EEEvT1_
                                        ; -- End function
	.set _ZN7rocprim17ROCPRIM_400000_NS6detail17trampoline_kernelINS0_14default_configENS1_25partition_config_selectorILNS1_17partition_subalgoE8ElNS0_10empty_typeEbEEZZNS1_14partition_implILS5_8ELb0ES3_jPlPS6_PKS6_NS0_5tupleIJS9_S6_EEENSD_IJSA_SA_EEENS0_18inequality_wrapperIZN2at6native12_GLOBAL__N_124unique_dim_cuda_templateItEESt5tupleIJNSH_6TensorESM_SM_EERKSM_lbbbEUlllE0_EEPmJS6_EEE10hipError_tPvRmT3_T4_T5_T6_T7_T9_mT8_P12ihipStream_tbDpT10_ENKUlT_T0_E_clISt17integral_constantIbLb1EES1B_IbLb0EEEEDaS17_S18_EUlS17_E_NS1_11comp_targetILNS1_3genE9ELNS1_11target_archE1100ELNS1_3gpuE3ELNS1_3repE0EEENS1_30default_config_static_selectorELNS0_4arch9wavefront6targetE1EEEvT1_.num_vgpr, 0
	.set _ZN7rocprim17ROCPRIM_400000_NS6detail17trampoline_kernelINS0_14default_configENS1_25partition_config_selectorILNS1_17partition_subalgoE8ElNS0_10empty_typeEbEEZZNS1_14partition_implILS5_8ELb0ES3_jPlPS6_PKS6_NS0_5tupleIJS9_S6_EEENSD_IJSA_SA_EEENS0_18inequality_wrapperIZN2at6native12_GLOBAL__N_124unique_dim_cuda_templateItEESt5tupleIJNSH_6TensorESM_SM_EERKSM_lbbbEUlllE0_EEPmJS6_EEE10hipError_tPvRmT3_T4_T5_T6_T7_T9_mT8_P12ihipStream_tbDpT10_ENKUlT_T0_E_clISt17integral_constantIbLb1EES1B_IbLb0EEEEDaS17_S18_EUlS17_E_NS1_11comp_targetILNS1_3genE9ELNS1_11target_archE1100ELNS1_3gpuE3ELNS1_3repE0EEENS1_30default_config_static_selectorELNS0_4arch9wavefront6targetE1EEEvT1_.num_agpr, 0
	.set _ZN7rocprim17ROCPRIM_400000_NS6detail17trampoline_kernelINS0_14default_configENS1_25partition_config_selectorILNS1_17partition_subalgoE8ElNS0_10empty_typeEbEEZZNS1_14partition_implILS5_8ELb0ES3_jPlPS6_PKS6_NS0_5tupleIJS9_S6_EEENSD_IJSA_SA_EEENS0_18inequality_wrapperIZN2at6native12_GLOBAL__N_124unique_dim_cuda_templateItEESt5tupleIJNSH_6TensorESM_SM_EERKSM_lbbbEUlllE0_EEPmJS6_EEE10hipError_tPvRmT3_T4_T5_T6_T7_T9_mT8_P12ihipStream_tbDpT10_ENKUlT_T0_E_clISt17integral_constantIbLb1EES1B_IbLb0EEEEDaS17_S18_EUlS17_E_NS1_11comp_targetILNS1_3genE9ELNS1_11target_archE1100ELNS1_3gpuE3ELNS1_3repE0EEENS1_30default_config_static_selectorELNS0_4arch9wavefront6targetE1EEEvT1_.numbered_sgpr, 0
	.set _ZN7rocprim17ROCPRIM_400000_NS6detail17trampoline_kernelINS0_14default_configENS1_25partition_config_selectorILNS1_17partition_subalgoE8ElNS0_10empty_typeEbEEZZNS1_14partition_implILS5_8ELb0ES3_jPlPS6_PKS6_NS0_5tupleIJS9_S6_EEENSD_IJSA_SA_EEENS0_18inequality_wrapperIZN2at6native12_GLOBAL__N_124unique_dim_cuda_templateItEESt5tupleIJNSH_6TensorESM_SM_EERKSM_lbbbEUlllE0_EEPmJS6_EEE10hipError_tPvRmT3_T4_T5_T6_T7_T9_mT8_P12ihipStream_tbDpT10_ENKUlT_T0_E_clISt17integral_constantIbLb1EES1B_IbLb0EEEEDaS17_S18_EUlS17_E_NS1_11comp_targetILNS1_3genE9ELNS1_11target_archE1100ELNS1_3gpuE3ELNS1_3repE0EEENS1_30default_config_static_selectorELNS0_4arch9wavefront6targetE1EEEvT1_.num_named_barrier, 0
	.set _ZN7rocprim17ROCPRIM_400000_NS6detail17trampoline_kernelINS0_14default_configENS1_25partition_config_selectorILNS1_17partition_subalgoE8ElNS0_10empty_typeEbEEZZNS1_14partition_implILS5_8ELb0ES3_jPlPS6_PKS6_NS0_5tupleIJS9_S6_EEENSD_IJSA_SA_EEENS0_18inequality_wrapperIZN2at6native12_GLOBAL__N_124unique_dim_cuda_templateItEESt5tupleIJNSH_6TensorESM_SM_EERKSM_lbbbEUlllE0_EEPmJS6_EEE10hipError_tPvRmT3_T4_T5_T6_T7_T9_mT8_P12ihipStream_tbDpT10_ENKUlT_T0_E_clISt17integral_constantIbLb1EES1B_IbLb0EEEEDaS17_S18_EUlS17_E_NS1_11comp_targetILNS1_3genE9ELNS1_11target_archE1100ELNS1_3gpuE3ELNS1_3repE0EEENS1_30default_config_static_selectorELNS0_4arch9wavefront6targetE1EEEvT1_.private_seg_size, 0
	.set _ZN7rocprim17ROCPRIM_400000_NS6detail17trampoline_kernelINS0_14default_configENS1_25partition_config_selectorILNS1_17partition_subalgoE8ElNS0_10empty_typeEbEEZZNS1_14partition_implILS5_8ELb0ES3_jPlPS6_PKS6_NS0_5tupleIJS9_S6_EEENSD_IJSA_SA_EEENS0_18inequality_wrapperIZN2at6native12_GLOBAL__N_124unique_dim_cuda_templateItEESt5tupleIJNSH_6TensorESM_SM_EERKSM_lbbbEUlllE0_EEPmJS6_EEE10hipError_tPvRmT3_T4_T5_T6_T7_T9_mT8_P12ihipStream_tbDpT10_ENKUlT_T0_E_clISt17integral_constantIbLb1EES1B_IbLb0EEEEDaS17_S18_EUlS17_E_NS1_11comp_targetILNS1_3genE9ELNS1_11target_archE1100ELNS1_3gpuE3ELNS1_3repE0EEENS1_30default_config_static_selectorELNS0_4arch9wavefront6targetE1EEEvT1_.uses_vcc, 0
	.set _ZN7rocprim17ROCPRIM_400000_NS6detail17trampoline_kernelINS0_14default_configENS1_25partition_config_selectorILNS1_17partition_subalgoE8ElNS0_10empty_typeEbEEZZNS1_14partition_implILS5_8ELb0ES3_jPlPS6_PKS6_NS0_5tupleIJS9_S6_EEENSD_IJSA_SA_EEENS0_18inequality_wrapperIZN2at6native12_GLOBAL__N_124unique_dim_cuda_templateItEESt5tupleIJNSH_6TensorESM_SM_EERKSM_lbbbEUlllE0_EEPmJS6_EEE10hipError_tPvRmT3_T4_T5_T6_T7_T9_mT8_P12ihipStream_tbDpT10_ENKUlT_T0_E_clISt17integral_constantIbLb1EES1B_IbLb0EEEEDaS17_S18_EUlS17_E_NS1_11comp_targetILNS1_3genE9ELNS1_11target_archE1100ELNS1_3gpuE3ELNS1_3repE0EEENS1_30default_config_static_selectorELNS0_4arch9wavefront6targetE1EEEvT1_.uses_flat_scratch, 0
	.set _ZN7rocprim17ROCPRIM_400000_NS6detail17trampoline_kernelINS0_14default_configENS1_25partition_config_selectorILNS1_17partition_subalgoE8ElNS0_10empty_typeEbEEZZNS1_14partition_implILS5_8ELb0ES3_jPlPS6_PKS6_NS0_5tupleIJS9_S6_EEENSD_IJSA_SA_EEENS0_18inequality_wrapperIZN2at6native12_GLOBAL__N_124unique_dim_cuda_templateItEESt5tupleIJNSH_6TensorESM_SM_EERKSM_lbbbEUlllE0_EEPmJS6_EEE10hipError_tPvRmT3_T4_T5_T6_T7_T9_mT8_P12ihipStream_tbDpT10_ENKUlT_T0_E_clISt17integral_constantIbLb1EES1B_IbLb0EEEEDaS17_S18_EUlS17_E_NS1_11comp_targetILNS1_3genE9ELNS1_11target_archE1100ELNS1_3gpuE3ELNS1_3repE0EEENS1_30default_config_static_selectorELNS0_4arch9wavefront6targetE1EEEvT1_.has_dyn_sized_stack, 0
	.set _ZN7rocprim17ROCPRIM_400000_NS6detail17trampoline_kernelINS0_14default_configENS1_25partition_config_selectorILNS1_17partition_subalgoE8ElNS0_10empty_typeEbEEZZNS1_14partition_implILS5_8ELb0ES3_jPlPS6_PKS6_NS0_5tupleIJS9_S6_EEENSD_IJSA_SA_EEENS0_18inequality_wrapperIZN2at6native12_GLOBAL__N_124unique_dim_cuda_templateItEESt5tupleIJNSH_6TensorESM_SM_EERKSM_lbbbEUlllE0_EEPmJS6_EEE10hipError_tPvRmT3_T4_T5_T6_T7_T9_mT8_P12ihipStream_tbDpT10_ENKUlT_T0_E_clISt17integral_constantIbLb1EES1B_IbLb0EEEEDaS17_S18_EUlS17_E_NS1_11comp_targetILNS1_3genE9ELNS1_11target_archE1100ELNS1_3gpuE3ELNS1_3repE0EEENS1_30default_config_static_selectorELNS0_4arch9wavefront6targetE1EEEvT1_.has_recursion, 0
	.set _ZN7rocprim17ROCPRIM_400000_NS6detail17trampoline_kernelINS0_14default_configENS1_25partition_config_selectorILNS1_17partition_subalgoE8ElNS0_10empty_typeEbEEZZNS1_14partition_implILS5_8ELb0ES3_jPlPS6_PKS6_NS0_5tupleIJS9_S6_EEENSD_IJSA_SA_EEENS0_18inequality_wrapperIZN2at6native12_GLOBAL__N_124unique_dim_cuda_templateItEESt5tupleIJNSH_6TensorESM_SM_EERKSM_lbbbEUlllE0_EEPmJS6_EEE10hipError_tPvRmT3_T4_T5_T6_T7_T9_mT8_P12ihipStream_tbDpT10_ENKUlT_T0_E_clISt17integral_constantIbLb1EES1B_IbLb0EEEEDaS17_S18_EUlS17_E_NS1_11comp_targetILNS1_3genE9ELNS1_11target_archE1100ELNS1_3gpuE3ELNS1_3repE0EEENS1_30default_config_static_selectorELNS0_4arch9wavefront6targetE1EEEvT1_.has_indirect_call, 0
	.section	.AMDGPU.csdata,"",@progbits
; Kernel info:
; codeLenInByte = 0
; TotalNumSgprs: 6
; NumVgprs: 0
; NumAgprs: 0
; TotalNumVgprs: 0
; ScratchSize: 0
; MemoryBound: 0
; FloatMode: 240
; IeeeMode: 1
; LDSByteSize: 0 bytes/workgroup (compile time only)
; SGPRBlocks: 0
; VGPRBlocks: 0
; NumSGPRsForWavesPerEU: 6
; NumVGPRsForWavesPerEU: 1
; AccumOffset: 4
; Occupancy: 8
; WaveLimiterHint : 0
; COMPUTE_PGM_RSRC2:SCRATCH_EN: 0
; COMPUTE_PGM_RSRC2:USER_SGPR: 2
; COMPUTE_PGM_RSRC2:TRAP_HANDLER: 0
; COMPUTE_PGM_RSRC2:TGID_X_EN: 1
; COMPUTE_PGM_RSRC2:TGID_Y_EN: 0
; COMPUTE_PGM_RSRC2:TGID_Z_EN: 0
; COMPUTE_PGM_RSRC2:TIDIG_COMP_CNT: 0
; COMPUTE_PGM_RSRC3_GFX90A:ACCUM_OFFSET: 0
; COMPUTE_PGM_RSRC3_GFX90A:TG_SPLIT: 0
	.section	.text._ZN7rocprim17ROCPRIM_400000_NS6detail17trampoline_kernelINS0_14default_configENS1_25partition_config_selectorILNS1_17partition_subalgoE8ElNS0_10empty_typeEbEEZZNS1_14partition_implILS5_8ELb0ES3_jPlPS6_PKS6_NS0_5tupleIJS9_S6_EEENSD_IJSA_SA_EEENS0_18inequality_wrapperIZN2at6native12_GLOBAL__N_124unique_dim_cuda_templateItEESt5tupleIJNSH_6TensorESM_SM_EERKSM_lbbbEUlllE0_EEPmJS6_EEE10hipError_tPvRmT3_T4_T5_T6_T7_T9_mT8_P12ihipStream_tbDpT10_ENKUlT_T0_E_clISt17integral_constantIbLb1EES1B_IbLb0EEEEDaS17_S18_EUlS17_E_NS1_11comp_targetILNS1_3genE8ELNS1_11target_archE1030ELNS1_3gpuE2ELNS1_3repE0EEENS1_30default_config_static_selectorELNS0_4arch9wavefront6targetE1EEEvT1_,"axG",@progbits,_ZN7rocprim17ROCPRIM_400000_NS6detail17trampoline_kernelINS0_14default_configENS1_25partition_config_selectorILNS1_17partition_subalgoE8ElNS0_10empty_typeEbEEZZNS1_14partition_implILS5_8ELb0ES3_jPlPS6_PKS6_NS0_5tupleIJS9_S6_EEENSD_IJSA_SA_EEENS0_18inequality_wrapperIZN2at6native12_GLOBAL__N_124unique_dim_cuda_templateItEESt5tupleIJNSH_6TensorESM_SM_EERKSM_lbbbEUlllE0_EEPmJS6_EEE10hipError_tPvRmT3_T4_T5_T6_T7_T9_mT8_P12ihipStream_tbDpT10_ENKUlT_T0_E_clISt17integral_constantIbLb1EES1B_IbLb0EEEEDaS17_S18_EUlS17_E_NS1_11comp_targetILNS1_3genE8ELNS1_11target_archE1030ELNS1_3gpuE2ELNS1_3repE0EEENS1_30default_config_static_selectorELNS0_4arch9wavefront6targetE1EEEvT1_,comdat
	.globl	_ZN7rocprim17ROCPRIM_400000_NS6detail17trampoline_kernelINS0_14default_configENS1_25partition_config_selectorILNS1_17partition_subalgoE8ElNS0_10empty_typeEbEEZZNS1_14partition_implILS5_8ELb0ES3_jPlPS6_PKS6_NS0_5tupleIJS9_S6_EEENSD_IJSA_SA_EEENS0_18inequality_wrapperIZN2at6native12_GLOBAL__N_124unique_dim_cuda_templateItEESt5tupleIJNSH_6TensorESM_SM_EERKSM_lbbbEUlllE0_EEPmJS6_EEE10hipError_tPvRmT3_T4_T5_T6_T7_T9_mT8_P12ihipStream_tbDpT10_ENKUlT_T0_E_clISt17integral_constantIbLb1EES1B_IbLb0EEEEDaS17_S18_EUlS17_E_NS1_11comp_targetILNS1_3genE8ELNS1_11target_archE1030ELNS1_3gpuE2ELNS1_3repE0EEENS1_30default_config_static_selectorELNS0_4arch9wavefront6targetE1EEEvT1_ ; -- Begin function _ZN7rocprim17ROCPRIM_400000_NS6detail17trampoline_kernelINS0_14default_configENS1_25partition_config_selectorILNS1_17partition_subalgoE8ElNS0_10empty_typeEbEEZZNS1_14partition_implILS5_8ELb0ES3_jPlPS6_PKS6_NS0_5tupleIJS9_S6_EEENSD_IJSA_SA_EEENS0_18inequality_wrapperIZN2at6native12_GLOBAL__N_124unique_dim_cuda_templateItEESt5tupleIJNSH_6TensorESM_SM_EERKSM_lbbbEUlllE0_EEPmJS6_EEE10hipError_tPvRmT3_T4_T5_T6_T7_T9_mT8_P12ihipStream_tbDpT10_ENKUlT_T0_E_clISt17integral_constantIbLb1EES1B_IbLb0EEEEDaS17_S18_EUlS17_E_NS1_11comp_targetILNS1_3genE8ELNS1_11target_archE1030ELNS1_3gpuE2ELNS1_3repE0EEENS1_30default_config_static_selectorELNS0_4arch9wavefront6targetE1EEEvT1_
	.p2align	8
	.type	_ZN7rocprim17ROCPRIM_400000_NS6detail17trampoline_kernelINS0_14default_configENS1_25partition_config_selectorILNS1_17partition_subalgoE8ElNS0_10empty_typeEbEEZZNS1_14partition_implILS5_8ELb0ES3_jPlPS6_PKS6_NS0_5tupleIJS9_S6_EEENSD_IJSA_SA_EEENS0_18inequality_wrapperIZN2at6native12_GLOBAL__N_124unique_dim_cuda_templateItEESt5tupleIJNSH_6TensorESM_SM_EERKSM_lbbbEUlllE0_EEPmJS6_EEE10hipError_tPvRmT3_T4_T5_T6_T7_T9_mT8_P12ihipStream_tbDpT10_ENKUlT_T0_E_clISt17integral_constantIbLb1EES1B_IbLb0EEEEDaS17_S18_EUlS17_E_NS1_11comp_targetILNS1_3genE8ELNS1_11target_archE1030ELNS1_3gpuE2ELNS1_3repE0EEENS1_30default_config_static_selectorELNS0_4arch9wavefront6targetE1EEEvT1_,@function
_ZN7rocprim17ROCPRIM_400000_NS6detail17trampoline_kernelINS0_14default_configENS1_25partition_config_selectorILNS1_17partition_subalgoE8ElNS0_10empty_typeEbEEZZNS1_14partition_implILS5_8ELb0ES3_jPlPS6_PKS6_NS0_5tupleIJS9_S6_EEENSD_IJSA_SA_EEENS0_18inequality_wrapperIZN2at6native12_GLOBAL__N_124unique_dim_cuda_templateItEESt5tupleIJNSH_6TensorESM_SM_EERKSM_lbbbEUlllE0_EEPmJS6_EEE10hipError_tPvRmT3_T4_T5_T6_T7_T9_mT8_P12ihipStream_tbDpT10_ENKUlT_T0_E_clISt17integral_constantIbLb1EES1B_IbLb0EEEEDaS17_S18_EUlS17_E_NS1_11comp_targetILNS1_3genE8ELNS1_11target_archE1030ELNS1_3gpuE2ELNS1_3repE0EEENS1_30default_config_static_selectorELNS0_4arch9wavefront6targetE1EEEvT1_: ; @_ZN7rocprim17ROCPRIM_400000_NS6detail17trampoline_kernelINS0_14default_configENS1_25partition_config_selectorILNS1_17partition_subalgoE8ElNS0_10empty_typeEbEEZZNS1_14partition_implILS5_8ELb0ES3_jPlPS6_PKS6_NS0_5tupleIJS9_S6_EEENSD_IJSA_SA_EEENS0_18inequality_wrapperIZN2at6native12_GLOBAL__N_124unique_dim_cuda_templateItEESt5tupleIJNSH_6TensorESM_SM_EERKSM_lbbbEUlllE0_EEPmJS6_EEE10hipError_tPvRmT3_T4_T5_T6_T7_T9_mT8_P12ihipStream_tbDpT10_ENKUlT_T0_E_clISt17integral_constantIbLb1EES1B_IbLb0EEEEDaS17_S18_EUlS17_E_NS1_11comp_targetILNS1_3genE8ELNS1_11target_archE1030ELNS1_3gpuE2ELNS1_3repE0EEENS1_30default_config_static_selectorELNS0_4arch9wavefront6targetE1EEEvT1_
; %bb.0:
	.section	.rodata,"a",@progbits
	.p2align	6, 0x0
	.amdhsa_kernel _ZN7rocprim17ROCPRIM_400000_NS6detail17trampoline_kernelINS0_14default_configENS1_25partition_config_selectorILNS1_17partition_subalgoE8ElNS0_10empty_typeEbEEZZNS1_14partition_implILS5_8ELb0ES3_jPlPS6_PKS6_NS0_5tupleIJS9_S6_EEENSD_IJSA_SA_EEENS0_18inequality_wrapperIZN2at6native12_GLOBAL__N_124unique_dim_cuda_templateItEESt5tupleIJNSH_6TensorESM_SM_EERKSM_lbbbEUlllE0_EEPmJS6_EEE10hipError_tPvRmT3_T4_T5_T6_T7_T9_mT8_P12ihipStream_tbDpT10_ENKUlT_T0_E_clISt17integral_constantIbLb1EES1B_IbLb0EEEEDaS17_S18_EUlS17_E_NS1_11comp_targetILNS1_3genE8ELNS1_11target_archE1030ELNS1_3gpuE2ELNS1_3repE0EEENS1_30default_config_static_selectorELNS0_4arch9wavefront6targetE1EEEvT1_
		.amdhsa_group_segment_fixed_size 0
		.amdhsa_private_segment_fixed_size 0
		.amdhsa_kernarg_size 120
		.amdhsa_user_sgpr_count 2
		.amdhsa_user_sgpr_dispatch_ptr 0
		.amdhsa_user_sgpr_queue_ptr 0
		.amdhsa_user_sgpr_kernarg_segment_ptr 1
		.amdhsa_user_sgpr_dispatch_id 0
		.amdhsa_user_sgpr_kernarg_preload_length 0
		.amdhsa_user_sgpr_kernarg_preload_offset 0
		.amdhsa_user_sgpr_private_segment_size 0
		.amdhsa_uses_dynamic_stack 0
		.amdhsa_enable_private_segment 0
		.amdhsa_system_sgpr_workgroup_id_x 1
		.amdhsa_system_sgpr_workgroup_id_y 0
		.amdhsa_system_sgpr_workgroup_id_z 0
		.amdhsa_system_sgpr_workgroup_info 0
		.amdhsa_system_vgpr_workitem_id 0
		.amdhsa_next_free_vgpr 1
		.amdhsa_next_free_sgpr 0
		.amdhsa_accum_offset 4
		.amdhsa_reserve_vcc 0
		.amdhsa_float_round_mode_32 0
		.amdhsa_float_round_mode_16_64 0
		.amdhsa_float_denorm_mode_32 3
		.amdhsa_float_denorm_mode_16_64 3
		.amdhsa_dx10_clamp 1
		.amdhsa_ieee_mode 1
		.amdhsa_fp16_overflow 0
		.amdhsa_tg_split 0
		.amdhsa_exception_fp_ieee_invalid_op 0
		.amdhsa_exception_fp_denorm_src 0
		.amdhsa_exception_fp_ieee_div_zero 0
		.amdhsa_exception_fp_ieee_overflow 0
		.amdhsa_exception_fp_ieee_underflow 0
		.amdhsa_exception_fp_ieee_inexact 0
		.amdhsa_exception_int_div_zero 0
	.end_amdhsa_kernel
	.section	.text._ZN7rocprim17ROCPRIM_400000_NS6detail17trampoline_kernelINS0_14default_configENS1_25partition_config_selectorILNS1_17partition_subalgoE8ElNS0_10empty_typeEbEEZZNS1_14partition_implILS5_8ELb0ES3_jPlPS6_PKS6_NS0_5tupleIJS9_S6_EEENSD_IJSA_SA_EEENS0_18inequality_wrapperIZN2at6native12_GLOBAL__N_124unique_dim_cuda_templateItEESt5tupleIJNSH_6TensorESM_SM_EERKSM_lbbbEUlllE0_EEPmJS6_EEE10hipError_tPvRmT3_T4_T5_T6_T7_T9_mT8_P12ihipStream_tbDpT10_ENKUlT_T0_E_clISt17integral_constantIbLb1EES1B_IbLb0EEEEDaS17_S18_EUlS17_E_NS1_11comp_targetILNS1_3genE8ELNS1_11target_archE1030ELNS1_3gpuE2ELNS1_3repE0EEENS1_30default_config_static_selectorELNS0_4arch9wavefront6targetE1EEEvT1_,"axG",@progbits,_ZN7rocprim17ROCPRIM_400000_NS6detail17trampoline_kernelINS0_14default_configENS1_25partition_config_selectorILNS1_17partition_subalgoE8ElNS0_10empty_typeEbEEZZNS1_14partition_implILS5_8ELb0ES3_jPlPS6_PKS6_NS0_5tupleIJS9_S6_EEENSD_IJSA_SA_EEENS0_18inequality_wrapperIZN2at6native12_GLOBAL__N_124unique_dim_cuda_templateItEESt5tupleIJNSH_6TensorESM_SM_EERKSM_lbbbEUlllE0_EEPmJS6_EEE10hipError_tPvRmT3_T4_T5_T6_T7_T9_mT8_P12ihipStream_tbDpT10_ENKUlT_T0_E_clISt17integral_constantIbLb1EES1B_IbLb0EEEEDaS17_S18_EUlS17_E_NS1_11comp_targetILNS1_3genE8ELNS1_11target_archE1030ELNS1_3gpuE2ELNS1_3repE0EEENS1_30default_config_static_selectorELNS0_4arch9wavefront6targetE1EEEvT1_,comdat
.Lfunc_end1442:
	.size	_ZN7rocprim17ROCPRIM_400000_NS6detail17trampoline_kernelINS0_14default_configENS1_25partition_config_selectorILNS1_17partition_subalgoE8ElNS0_10empty_typeEbEEZZNS1_14partition_implILS5_8ELb0ES3_jPlPS6_PKS6_NS0_5tupleIJS9_S6_EEENSD_IJSA_SA_EEENS0_18inequality_wrapperIZN2at6native12_GLOBAL__N_124unique_dim_cuda_templateItEESt5tupleIJNSH_6TensorESM_SM_EERKSM_lbbbEUlllE0_EEPmJS6_EEE10hipError_tPvRmT3_T4_T5_T6_T7_T9_mT8_P12ihipStream_tbDpT10_ENKUlT_T0_E_clISt17integral_constantIbLb1EES1B_IbLb0EEEEDaS17_S18_EUlS17_E_NS1_11comp_targetILNS1_3genE8ELNS1_11target_archE1030ELNS1_3gpuE2ELNS1_3repE0EEENS1_30default_config_static_selectorELNS0_4arch9wavefront6targetE1EEEvT1_, .Lfunc_end1442-_ZN7rocprim17ROCPRIM_400000_NS6detail17trampoline_kernelINS0_14default_configENS1_25partition_config_selectorILNS1_17partition_subalgoE8ElNS0_10empty_typeEbEEZZNS1_14partition_implILS5_8ELb0ES3_jPlPS6_PKS6_NS0_5tupleIJS9_S6_EEENSD_IJSA_SA_EEENS0_18inequality_wrapperIZN2at6native12_GLOBAL__N_124unique_dim_cuda_templateItEESt5tupleIJNSH_6TensorESM_SM_EERKSM_lbbbEUlllE0_EEPmJS6_EEE10hipError_tPvRmT3_T4_T5_T6_T7_T9_mT8_P12ihipStream_tbDpT10_ENKUlT_T0_E_clISt17integral_constantIbLb1EES1B_IbLb0EEEEDaS17_S18_EUlS17_E_NS1_11comp_targetILNS1_3genE8ELNS1_11target_archE1030ELNS1_3gpuE2ELNS1_3repE0EEENS1_30default_config_static_selectorELNS0_4arch9wavefront6targetE1EEEvT1_
                                        ; -- End function
	.set _ZN7rocprim17ROCPRIM_400000_NS6detail17trampoline_kernelINS0_14default_configENS1_25partition_config_selectorILNS1_17partition_subalgoE8ElNS0_10empty_typeEbEEZZNS1_14partition_implILS5_8ELb0ES3_jPlPS6_PKS6_NS0_5tupleIJS9_S6_EEENSD_IJSA_SA_EEENS0_18inequality_wrapperIZN2at6native12_GLOBAL__N_124unique_dim_cuda_templateItEESt5tupleIJNSH_6TensorESM_SM_EERKSM_lbbbEUlllE0_EEPmJS6_EEE10hipError_tPvRmT3_T4_T5_T6_T7_T9_mT8_P12ihipStream_tbDpT10_ENKUlT_T0_E_clISt17integral_constantIbLb1EES1B_IbLb0EEEEDaS17_S18_EUlS17_E_NS1_11comp_targetILNS1_3genE8ELNS1_11target_archE1030ELNS1_3gpuE2ELNS1_3repE0EEENS1_30default_config_static_selectorELNS0_4arch9wavefront6targetE1EEEvT1_.num_vgpr, 0
	.set _ZN7rocprim17ROCPRIM_400000_NS6detail17trampoline_kernelINS0_14default_configENS1_25partition_config_selectorILNS1_17partition_subalgoE8ElNS0_10empty_typeEbEEZZNS1_14partition_implILS5_8ELb0ES3_jPlPS6_PKS6_NS0_5tupleIJS9_S6_EEENSD_IJSA_SA_EEENS0_18inequality_wrapperIZN2at6native12_GLOBAL__N_124unique_dim_cuda_templateItEESt5tupleIJNSH_6TensorESM_SM_EERKSM_lbbbEUlllE0_EEPmJS6_EEE10hipError_tPvRmT3_T4_T5_T6_T7_T9_mT8_P12ihipStream_tbDpT10_ENKUlT_T0_E_clISt17integral_constantIbLb1EES1B_IbLb0EEEEDaS17_S18_EUlS17_E_NS1_11comp_targetILNS1_3genE8ELNS1_11target_archE1030ELNS1_3gpuE2ELNS1_3repE0EEENS1_30default_config_static_selectorELNS0_4arch9wavefront6targetE1EEEvT1_.num_agpr, 0
	.set _ZN7rocprim17ROCPRIM_400000_NS6detail17trampoline_kernelINS0_14default_configENS1_25partition_config_selectorILNS1_17partition_subalgoE8ElNS0_10empty_typeEbEEZZNS1_14partition_implILS5_8ELb0ES3_jPlPS6_PKS6_NS0_5tupleIJS9_S6_EEENSD_IJSA_SA_EEENS0_18inequality_wrapperIZN2at6native12_GLOBAL__N_124unique_dim_cuda_templateItEESt5tupleIJNSH_6TensorESM_SM_EERKSM_lbbbEUlllE0_EEPmJS6_EEE10hipError_tPvRmT3_T4_T5_T6_T7_T9_mT8_P12ihipStream_tbDpT10_ENKUlT_T0_E_clISt17integral_constantIbLb1EES1B_IbLb0EEEEDaS17_S18_EUlS17_E_NS1_11comp_targetILNS1_3genE8ELNS1_11target_archE1030ELNS1_3gpuE2ELNS1_3repE0EEENS1_30default_config_static_selectorELNS0_4arch9wavefront6targetE1EEEvT1_.numbered_sgpr, 0
	.set _ZN7rocprim17ROCPRIM_400000_NS6detail17trampoline_kernelINS0_14default_configENS1_25partition_config_selectorILNS1_17partition_subalgoE8ElNS0_10empty_typeEbEEZZNS1_14partition_implILS5_8ELb0ES3_jPlPS6_PKS6_NS0_5tupleIJS9_S6_EEENSD_IJSA_SA_EEENS0_18inequality_wrapperIZN2at6native12_GLOBAL__N_124unique_dim_cuda_templateItEESt5tupleIJNSH_6TensorESM_SM_EERKSM_lbbbEUlllE0_EEPmJS6_EEE10hipError_tPvRmT3_T4_T5_T6_T7_T9_mT8_P12ihipStream_tbDpT10_ENKUlT_T0_E_clISt17integral_constantIbLb1EES1B_IbLb0EEEEDaS17_S18_EUlS17_E_NS1_11comp_targetILNS1_3genE8ELNS1_11target_archE1030ELNS1_3gpuE2ELNS1_3repE0EEENS1_30default_config_static_selectorELNS0_4arch9wavefront6targetE1EEEvT1_.num_named_barrier, 0
	.set _ZN7rocprim17ROCPRIM_400000_NS6detail17trampoline_kernelINS0_14default_configENS1_25partition_config_selectorILNS1_17partition_subalgoE8ElNS0_10empty_typeEbEEZZNS1_14partition_implILS5_8ELb0ES3_jPlPS6_PKS6_NS0_5tupleIJS9_S6_EEENSD_IJSA_SA_EEENS0_18inequality_wrapperIZN2at6native12_GLOBAL__N_124unique_dim_cuda_templateItEESt5tupleIJNSH_6TensorESM_SM_EERKSM_lbbbEUlllE0_EEPmJS6_EEE10hipError_tPvRmT3_T4_T5_T6_T7_T9_mT8_P12ihipStream_tbDpT10_ENKUlT_T0_E_clISt17integral_constantIbLb1EES1B_IbLb0EEEEDaS17_S18_EUlS17_E_NS1_11comp_targetILNS1_3genE8ELNS1_11target_archE1030ELNS1_3gpuE2ELNS1_3repE0EEENS1_30default_config_static_selectorELNS0_4arch9wavefront6targetE1EEEvT1_.private_seg_size, 0
	.set _ZN7rocprim17ROCPRIM_400000_NS6detail17trampoline_kernelINS0_14default_configENS1_25partition_config_selectorILNS1_17partition_subalgoE8ElNS0_10empty_typeEbEEZZNS1_14partition_implILS5_8ELb0ES3_jPlPS6_PKS6_NS0_5tupleIJS9_S6_EEENSD_IJSA_SA_EEENS0_18inequality_wrapperIZN2at6native12_GLOBAL__N_124unique_dim_cuda_templateItEESt5tupleIJNSH_6TensorESM_SM_EERKSM_lbbbEUlllE0_EEPmJS6_EEE10hipError_tPvRmT3_T4_T5_T6_T7_T9_mT8_P12ihipStream_tbDpT10_ENKUlT_T0_E_clISt17integral_constantIbLb1EES1B_IbLb0EEEEDaS17_S18_EUlS17_E_NS1_11comp_targetILNS1_3genE8ELNS1_11target_archE1030ELNS1_3gpuE2ELNS1_3repE0EEENS1_30default_config_static_selectorELNS0_4arch9wavefront6targetE1EEEvT1_.uses_vcc, 0
	.set _ZN7rocprim17ROCPRIM_400000_NS6detail17trampoline_kernelINS0_14default_configENS1_25partition_config_selectorILNS1_17partition_subalgoE8ElNS0_10empty_typeEbEEZZNS1_14partition_implILS5_8ELb0ES3_jPlPS6_PKS6_NS0_5tupleIJS9_S6_EEENSD_IJSA_SA_EEENS0_18inequality_wrapperIZN2at6native12_GLOBAL__N_124unique_dim_cuda_templateItEESt5tupleIJNSH_6TensorESM_SM_EERKSM_lbbbEUlllE0_EEPmJS6_EEE10hipError_tPvRmT3_T4_T5_T6_T7_T9_mT8_P12ihipStream_tbDpT10_ENKUlT_T0_E_clISt17integral_constantIbLb1EES1B_IbLb0EEEEDaS17_S18_EUlS17_E_NS1_11comp_targetILNS1_3genE8ELNS1_11target_archE1030ELNS1_3gpuE2ELNS1_3repE0EEENS1_30default_config_static_selectorELNS0_4arch9wavefront6targetE1EEEvT1_.uses_flat_scratch, 0
	.set _ZN7rocprim17ROCPRIM_400000_NS6detail17trampoline_kernelINS0_14default_configENS1_25partition_config_selectorILNS1_17partition_subalgoE8ElNS0_10empty_typeEbEEZZNS1_14partition_implILS5_8ELb0ES3_jPlPS6_PKS6_NS0_5tupleIJS9_S6_EEENSD_IJSA_SA_EEENS0_18inequality_wrapperIZN2at6native12_GLOBAL__N_124unique_dim_cuda_templateItEESt5tupleIJNSH_6TensorESM_SM_EERKSM_lbbbEUlllE0_EEPmJS6_EEE10hipError_tPvRmT3_T4_T5_T6_T7_T9_mT8_P12ihipStream_tbDpT10_ENKUlT_T0_E_clISt17integral_constantIbLb1EES1B_IbLb0EEEEDaS17_S18_EUlS17_E_NS1_11comp_targetILNS1_3genE8ELNS1_11target_archE1030ELNS1_3gpuE2ELNS1_3repE0EEENS1_30default_config_static_selectorELNS0_4arch9wavefront6targetE1EEEvT1_.has_dyn_sized_stack, 0
	.set _ZN7rocprim17ROCPRIM_400000_NS6detail17trampoline_kernelINS0_14default_configENS1_25partition_config_selectorILNS1_17partition_subalgoE8ElNS0_10empty_typeEbEEZZNS1_14partition_implILS5_8ELb0ES3_jPlPS6_PKS6_NS0_5tupleIJS9_S6_EEENSD_IJSA_SA_EEENS0_18inequality_wrapperIZN2at6native12_GLOBAL__N_124unique_dim_cuda_templateItEESt5tupleIJNSH_6TensorESM_SM_EERKSM_lbbbEUlllE0_EEPmJS6_EEE10hipError_tPvRmT3_T4_T5_T6_T7_T9_mT8_P12ihipStream_tbDpT10_ENKUlT_T0_E_clISt17integral_constantIbLb1EES1B_IbLb0EEEEDaS17_S18_EUlS17_E_NS1_11comp_targetILNS1_3genE8ELNS1_11target_archE1030ELNS1_3gpuE2ELNS1_3repE0EEENS1_30default_config_static_selectorELNS0_4arch9wavefront6targetE1EEEvT1_.has_recursion, 0
	.set _ZN7rocprim17ROCPRIM_400000_NS6detail17trampoline_kernelINS0_14default_configENS1_25partition_config_selectorILNS1_17partition_subalgoE8ElNS0_10empty_typeEbEEZZNS1_14partition_implILS5_8ELb0ES3_jPlPS6_PKS6_NS0_5tupleIJS9_S6_EEENSD_IJSA_SA_EEENS0_18inequality_wrapperIZN2at6native12_GLOBAL__N_124unique_dim_cuda_templateItEESt5tupleIJNSH_6TensorESM_SM_EERKSM_lbbbEUlllE0_EEPmJS6_EEE10hipError_tPvRmT3_T4_T5_T6_T7_T9_mT8_P12ihipStream_tbDpT10_ENKUlT_T0_E_clISt17integral_constantIbLb1EES1B_IbLb0EEEEDaS17_S18_EUlS17_E_NS1_11comp_targetILNS1_3genE8ELNS1_11target_archE1030ELNS1_3gpuE2ELNS1_3repE0EEENS1_30default_config_static_selectorELNS0_4arch9wavefront6targetE1EEEvT1_.has_indirect_call, 0
	.section	.AMDGPU.csdata,"",@progbits
; Kernel info:
; codeLenInByte = 0
; TotalNumSgprs: 6
; NumVgprs: 0
; NumAgprs: 0
; TotalNumVgprs: 0
; ScratchSize: 0
; MemoryBound: 0
; FloatMode: 240
; IeeeMode: 1
; LDSByteSize: 0 bytes/workgroup (compile time only)
; SGPRBlocks: 0
; VGPRBlocks: 0
; NumSGPRsForWavesPerEU: 6
; NumVGPRsForWavesPerEU: 1
; AccumOffset: 4
; Occupancy: 8
; WaveLimiterHint : 0
; COMPUTE_PGM_RSRC2:SCRATCH_EN: 0
; COMPUTE_PGM_RSRC2:USER_SGPR: 2
; COMPUTE_PGM_RSRC2:TRAP_HANDLER: 0
; COMPUTE_PGM_RSRC2:TGID_X_EN: 1
; COMPUTE_PGM_RSRC2:TGID_Y_EN: 0
; COMPUTE_PGM_RSRC2:TGID_Z_EN: 0
; COMPUTE_PGM_RSRC2:TIDIG_COMP_CNT: 0
; COMPUTE_PGM_RSRC3_GFX90A:ACCUM_OFFSET: 0
; COMPUTE_PGM_RSRC3_GFX90A:TG_SPLIT: 0
	.section	.text._ZN7rocprim17ROCPRIM_400000_NS6detail17trampoline_kernelINS0_14default_configENS1_25partition_config_selectorILNS1_17partition_subalgoE8ElNS0_10empty_typeEbEEZZNS1_14partition_implILS5_8ELb0ES3_jPlPS6_PKS6_NS0_5tupleIJS9_S6_EEENSD_IJSA_SA_EEENS0_18inequality_wrapperIZN2at6native12_GLOBAL__N_124unique_dim_cuda_templateItEESt5tupleIJNSH_6TensorESM_SM_EERKSM_lbbbEUlllE0_EEPmJS6_EEE10hipError_tPvRmT3_T4_T5_T6_T7_T9_mT8_P12ihipStream_tbDpT10_ENKUlT_T0_E_clISt17integral_constantIbLb0EES1B_IbLb1EEEEDaS17_S18_EUlS17_E_NS1_11comp_targetILNS1_3genE0ELNS1_11target_archE4294967295ELNS1_3gpuE0ELNS1_3repE0EEENS1_30default_config_static_selectorELNS0_4arch9wavefront6targetE1EEEvT1_,"axG",@progbits,_ZN7rocprim17ROCPRIM_400000_NS6detail17trampoline_kernelINS0_14default_configENS1_25partition_config_selectorILNS1_17partition_subalgoE8ElNS0_10empty_typeEbEEZZNS1_14partition_implILS5_8ELb0ES3_jPlPS6_PKS6_NS0_5tupleIJS9_S6_EEENSD_IJSA_SA_EEENS0_18inequality_wrapperIZN2at6native12_GLOBAL__N_124unique_dim_cuda_templateItEESt5tupleIJNSH_6TensorESM_SM_EERKSM_lbbbEUlllE0_EEPmJS6_EEE10hipError_tPvRmT3_T4_T5_T6_T7_T9_mT8_P12ihipStream_tbDpT10_ENKUlT_T0_E_clISt17integral_constantIbLb0EES1B_IbLb1EEEEDaS17_S18_EUlS17_E_NS1_11comp_targetILNS1_3genE0ELNS1_11target_archE4294967295ELNS1_3gpuE0ELNS1_3repE0EEENS1_30default_config_static_selectorELNS0_4arch9wavefront6targetE1EEEvT1_,comdat
	.globl	_ZN7rocprim17ROCPRIM_400000_NS6detail17trampoline_kernelINS0_14default_configENS1_25partition_config_selectorILNS1_17partition_subalgoE8ElNS0_10empty_typeEbEEZZNS1_14partition_implILS5_8ELb0ES3_jPlPS6_PKS6_NS0_5tupleIJS9_S6_EEENSD_IJSA_SA_EEENS0_18inequality_wrapperIZN2at6native12_GLOBAL__N_124unique_dim_cuda_templateItEESt5tupleIJNSH_6TensorESM_SM_EERKSM_lbbbEUlllE0_EEPmJS6_EEE10hipError_tPvRmT3_T4_T5_T6_T7_T9_mT8_P12ihipStream_tbDpT10_ENKUlT_T0_E_clISt17integral_constantIbLb0EES1B_IbLb1EEEEDaS17_S18_EUlS17_E_NS1_11comp_targetILNS1_3genE0ELNS1_11target_archE4294967295ELNS1_3gpuE0ELNS1_3repE0EEENS1_30default_config_static_selectorELNS0_4arch9wavefront6targetE1EEEvT1_ ; -- Begin function _ZN7rocprim17ROCPRIM_400000_NS6detail17trampoline_kernelINS0_14default_configENS1_25partition_config_selectorILNS1_17partition_subalgoE8ElNS0_10empty_typeEbEEZZNS1_14partition_implILS5_8ELb0ES3_jPlPS6_PKS6_NS0_5tupleIJS9_S6_EEENSD_IJSA_SA_EEENS0_18inequality_wrapperIZN2at6native12_GLOBAL__N_124unique_dim_cuda_templateItEESt5tupleIJNSH_6TensorESM_SM_EERKSM_lbbbEUlllE0_EEPmJS6_EEE10hipError_tPvRmT3_T4_T5_T6_T7_T9_mT8_P12ihipStream_tbDpT10_ENKUlT_T0_E_clISt17integral_constantIbLb0EES1B_IbLb1EEEEDaS17_S18_EUlS17_E_NS1_11comp_targetILNS1_3genE0ELNS1_11target_archE4294967295ELNS1_3gpuE0ELNS1_3repE0EEENS1_30default_config_static_selectorELNS0_4arch9wavefront6targetE1EEEvT1_
	.p2align	8
	.type	_ZN7rocprim17ROCPRIM_400000_NS6detail17trampoline_kernelINS0_14default_configENS1_25partition_config_selectorILNS1_17partition_subalgoE8ElNS0_10empty_typeEbEEZZNS1_14partition_implILS5_8ELb0ES3_jPlPS6_PKS6_NS0_5tupleIJS9_S6_EEENSD_IJSA_SA_EEENS0_18inequality_wrapperIZN2at6native12_GLOBAL__N_124unique_dim_cuda_templateItEESt5tupleIJNSH_6TensorESM_SM_EERKSM_lbbbEUlllE0_EEPmJS6_EEE10hipError_tPvRmT3_T4_T5_T6_T7_T9_mT8_P12ihipStream_tbDpT10_ENKUlT_T0_E_clISt17integral_constantIbLb0EES1B_IbLb1EEEEDaS17_S18_EUlS17_E_NS1_11comp_targetILNS1_3genE0ELNS1_11target_archE4294967295ELNS1_3gpuE0ELNS1_3repE0EEENS1_30default_config_static_selectorELNS0_4arch9wavefront6targetE1EEEvT1_,@function
_ZN7rocprim17ROCPRIM_400000_NS6detail17trampoline_kernelINS0_14default_configENS1_25partition_config_selectorILNS1_17partition_subalgoE8ElNS0_10empty_typeEbEEZZNS1_14partition_implILS5_8ELb0ES3_jPlPS6_PKS6_NS0_5tupleIJS9_S6_EEENSD_IJSA_SA_EEENS0_18inequality_wrapperIZN2at6native12_GLOBAL__N_124unique_dim_cuda_templateItEESt5tupleIJNSH_6TensorESM_SM_EERKSM_lbbbEUlllE0_EEPmJS6_EEE10hipError_tPvRmT3_T4_T5_T6_T7_T9_mT8_P12ihipStream_tbDpT10_ENKUlT_T0_E_clISt17integral_constantIbLb0EES1B_IbLb1EEEEDaS17_S18_EUlS17_E_NS1_11comp_targetILNS1_3genE0ELNS1_11target_archE4294967295ELNS1_3gpuE0ELNS1_3repE0EEENS1_30default_config_static_selectorELNS0_4arch9wavefront6targetE1EEEvT1_: ; @_ZN7rocprim17ROCPRIM_400000_NS6detail17trampoline_kernelINS0_14default_configENS1_25partition_config_selectorILNS1_17partition_subalgoE8ElNS0_10empty_typeEbEEZZNS1_14partition_implILS5_8ELb0ES3_jPlPS6_PKS6_NS0_5tupleIJS9_S6_EEENSD_IJSA_SA_EEENS0_18inequality_wrapperIZN2at6native12_GLOBAL__N_124unique_dim_cuda_templateItEESt5tupleIJNSH_6TensorESM_SM_EERKSM_lbbbEUlllE0_EEPmJS6_EEE10hipError_tPvRmT3_T4_T5_T6_T7_T9_mT8_P12ihipStream_tbDpT10_ENKUlT_T0_E_clISt17integral_constantIbLb0EES1B_IbLb1EEEEDaS17_S18_EUlS17_E_NS1_11comp_targetILNS1_3genE0ELNS1_11target_archE4294967295ELNS1_3gpuE0ELNS1_3repE0EEENS1_30default_config_static_selectorELNS0_4arch9wavefront6targetE1EEEvT1_
; %bb.0:
	s_load_dwordx2 s[34:35], s[0:1], 0x28
	s_load_dwordx8 s[20:27], s[0:1], 0x40
	s_load_dwordx4 s[28:31], s[0:1], 0x60
	v_cmp_ne_u32_e64 s[2:3], 0, v0
	v_cmp_eq_u32_e64 s[18:19], 0, v0
	s_and_saveexec_b64 s[4:5], s[18:19]
	s_cbranch_execz .LBB1443_4
; %bb.1:
	s_mov_b64 s[8:9], exec
	v_mbcnt_lo_u32_b32 v1, s8, 0
	v_mbcnt_hi_u32_b32 v1, s9, v1
	v_cmp_eq_u32_e32 vcc, 0, v1
                                        ; implicit-def: $vgpr2
	s_and_saveexec_b64 s[6:7], vcc
	s_cbranch_execz .LBB1443_3
; %bb.2:
	s_load_dwordx2 s[10:11], s[0:1], 0x78
	s_bcnt1_i32_b64 s8, s[8:9]
	v_mov_b32_e32 v2, 0
	v_mov_b32_e32 v3, s8
	s_waitcnt lgkmcnt(0)
	global_atomic_add v2, v2, v3, s[10:11] sc0
.LBB1443_3:
	s_or_b64 exec, exec, s[6:7]
	s_waitcnt vmcnt(0)
	v_readfirstlane_b32 s6, v2
	v_mov_b32_e32 v2, 0
	s_nop 0
	v_add_u32_e32 v1, s6, v1
	ds_write_b32 v2, v1
.LBB1443_4:
	s_or_b64 exec, exec, s[4:5]
	v_mov_b32_e32 v3, 0
	s_load_dwordx4 s[4:7], s[0:1], 0x8
	s_load_dword s8, s[0:1], 0x70
	s_waitcnt lgkmcnt(0)
	s_barrier
	ds_read_b32 v1, v3
	s_waitcnt lgkmcnt(0)
	s_barrier
	global_load_dwordx2 v[4:5], v3, s[22:23]
	s_lshl_b64 s[10:11], s[6:7], 3
	s_mul_i32 s9, s8, 0xe00
	s_add_u32 s4, s4, s10
	s_addc_u32 s5, s5, s11
	s_add_i32 s10, s8, -1
	s_add_i32 s8, s9, s6
	s_sub_i32 s50, s24, s8
	s_add_u32 s8, s6, s9
	s_addc_u32 s9, s7, 0
	v_readfirstlane_b32 s33, v1
	v_mov_b64_e32 v[6:7], s[8:9]
	s_cmp_eq_u32 s33, s10
	s_movk_i32 s12, 0xe00
	v_cmp_le_u64_e32 vcc, s[24:25], v[6:7]
	s_cselect_b64 s[24:25], -1, 0
	v_mul_lo_u32 v2, v1, s12
	s_and_b64 s[8:9], vcc, s[24:25]
	v_lshlrev_b64 v[6:7], 3, v[2:3]
	s_xor_b64 s[36:37], s[8:9], -1
	s_mov_b64 s[0:1], -1
	v_lshlrev_b32_e32 v18, 3, v0
	v_lshl_add_u64 v[20:21], s[4:5], 0, v[6:7]
	s_and_b64 vcc, exec, s[36:37]
	s_waitcnt vmcnt(0)
	v_readfirstlane_b32 s22, v4
	v_readfirstlane_b32 s23, v5
	s_cbranch_vccz .LBB1443_6
; %bb.5:
	v_lshlrev_b32_e32 v2, 3, v0
	v_lshl_add_u64 v[4:5], v[20:21], 0, v[2:3]
	v_add_co_u32_e32 v8, vcc, 0x1000, v4
	v_readfirstlane_b32 s0, v20
	s_nop 0
	v_addc_co_u32_e32 v9, vcc, 0, v5, vcc
	v_add_co_u32_e32 v10, vcc, 0x2000, v4
	v_readfirstlane_b32 s1, v21
	s_nop 0
	v_addc_co_u32_e32 v11, vcc, 0, v5, vcc
	v_add_co_u32_e32 v12, vcc, 0x3000, v4
	s_nop 1
	v_addc_co_u32_e32 v13, vcc, 0, v5, vcc
	v_add_co_u32_e32 v14, vcc, 0x4000, v4
	global_load_dwordx2 v[6:7], v2, s[0:1]
	s_nop 0
	v_addc_co_u32_e32 v15, vcc, 0, v5, vcc
	global_load_dwordx2 v[16:17], v[8:9], off
	global_load_dwordx2 v[22:23], v[10:11], off
	;; [unrolled: 1-line block ×4, first 2 shown]
	v_add_co_u32_e32 v8, vcc, 0x5000, v4
	s_mov_b64 s[0:1], 0
	s_nop 0
	v_addc_co_u32_e32 v9, vcc, 0, v5, vcc
	v_add_co_u32_e32 v4, vcc, 0x6000, v4
	s_nop 1
	v_addc_co_u32_e32 v5, vcc, 0, v5, vcc
	global_load_dwordx2 v[10:11], v[8:9], off
	global_load_dwordx2 v[12:13], v[4:5], off
	s_waitcnt vmcnt(5)
	ds_write2st64_b64 v2, v[6:7], v[16:17] offset1:8
	s_waitcnt vmcnt(3)
	ds_write2st64_b64 v2, v[22:23], v[24:25] offset0:16 offset1:24
	s_waitcnt vmcnt(1)
	ds_write2st64_b64 v2, v[26:27], v[10:11] offset0:32 offset1:40
	s_waitcnt vmcnt(0)
	ds_write_b64 v2, v[12:13] offset:24576
	s_waitcnt lgkmcnt(0)
	s_barrier
.LBB1443_6:
	s_andn2_b64 vcc, exec, s[0:1]
	s_addk_i32 s50, 0xe00
	s_cbranch_vccnz .LBB1443_22
; %bb.7:
	v_mov_b32_e32 v2, 0
	v_cmp_gt_u32_e32 vcc, s50, v0
	v_mov_b32_e32 v3, v2
	v_mov_b32_e32 v4, v2
	;; [unrolled: 1-line block ×13, first 2 shown]
	s_and_saveexec_b64 s[0:1], vcc
	s_cbranch_execz .LBB1443_9
; %bb.8:
	v_lshlrev_b32_e32 v1, 3, v0
	v_readfirstlane_b32 s4, v20
	v_readfirstlane_b32 s5, v21
	v_mov_b32_e32 v6, v2
	v_mov_b32_e32 v7, v2
	;; [unrolled: 1-line block ×5, first 2 shown]
	global_load_dwordx2 v[4:5], v1, s[4:5]
	v_mov_b32_e32 v11, v2
	v_mov_b32_e32 v12, v2
	;; [unrolled: 1-line block ×7, first 2 shown]
	s_waitcnt vmcnt(0)
	v_mov_b64_e32 v[2:3], v[4:5]
	v_mov_b64_e32 v[4:5], v[6:7]
	;; [unrolled: 1-line block ×8, first 2 shown]
.LBB1443_9:
	s_or_b64 exec, exec, s[0:1]
	v_or_b32_e32 v1, 0x200, v0
	v_cmp_gt_u32_e32 vcc, s50, v1
	s_and_saveexec_b64 s[0:1], vcc
	s_cbranch_execz .LBB1443_11
; %bb.10:
	v_lshlrev_b32_e32 v1, 3, v1
	v_readfirstlane_b32 s4, v20
	v_readfirstlane_b32 s5, v21
	s_nop 4
	global_load_dwordx2 v[4:5], v1, s[4:5]
.LBB1443_11:
	s_or_b64 exec, exec, s[0:1]
	v_or_b32_e32 v1, 0x400, v0
	v_cmp_gt_u32_e32 vcc, s50, v1
	s_and_saveexec_b64 s[0:1], vcc
	s_cbranch_execz .LBB1443_13
; %bb.12:
	v_lshlrev_b32_e32 v1, 3, v1
	v_readfirstlane_b32 s4, v20
	v_readfirstlane_b32 s5, v21
	s_nop 4
	global_load_dwordx2 v[6:7], v1, s[4:5]
.LBB1443_13:
	;; [unrolled: 12-line block ×6, first 2 shown]
	s_or_b64 exec, exec, s[0:1]
	v_lshlrev_b32_e32 v1, 3, v0
	s_waitcnt vmcnt(0)
	ds_write2st64_b64 v1, v[2:3], v[4:5] offset1:8
	ds_write2st64_b64 v1, v[6:7], v[8:9] offset0:16 offset1:24
	ds_write2st64_b64 v1, v[10:11], v[12:13] offset0:32 offset1:40
	ds_write_b64 v1, v[14:15] offset:24576
	s_waitcnt lgkmcnt(0)
	s_barrier
.LBB1443_22:
	v_mul_u32_u24_e32 v1, 7, v0
	v_lshlrev_b32_e32 v26, 3, v1
	ds_read2_b64 v[10:13], v26 offset1:1
	ds_read2_b64 v[6:9], v26 offset0:2 offset1:3
	ds_read2_b64 v[2:5], v26 offset0:4 offset1:5
	ds_read_b64 v[14:15], v26 offset:48
	s_cmp_lg_u32 s33, 0
	s_cselect_b64 s[16:17], -1, 0
	s_cmp_lg_u64 s[6:7], 0
	s_cselect_b64 s[0:1], -1, 0
	s_or_b64 s[0:1], s[0:1], s[16:17]
	s_mov_b64 s[10:11], 0
	s_and_b64 vcc, exec, s[0:1]
	v_cmp_gt_i64_e64 s[4:5], s[26:27], 0
	s_waitcnt lgkmcnt(0)
	s_barrier
	s_cbranch_vccz .LBB1443_38
; %bb.23:
	global_load_dwordx2 v[20:21], v[20:21], off offset:-8
	v_cndmask_b32_e64 v16, 0, 1, s[4:5]
	v_lshlrev_b32_e32 v27, 3, v0
	s_mov_b64 s[0:1], 0
	s_and_b64 vcc, exec, s[36:37]
	v_cmp_ne_u32_e64 s[4:5], 1, v16
	ds_write_b64 v27, v[14:15]
	s_cbranch_vccz .LBB1443_40
; %bb.24:
	s_and_b64 vcc, exec, s[4:5]
	s_cbranch_vccnz .LBB1443_41
; %bb.25:
	v_mul_lo_u32 v19, v5, s26
	v_mul_lo_u32 v22, v4, s27
	v_mad_u64_u32 v[16:17], s[0:1], v4, s26, 0
	v_add3_u32 v17, v17, v22, v19
	v_mul_lo_u32 v19, v15, s26
	v_mul_lo_u32 v24, v14, s27
	v_mad_u64_u32 v[22:23], s[0:1], v14, s26, 0
	s_add_u32 s10, s26, -1
	v_lshl_add_u64 v[16:17], v[16:17], 1, s[28:29]
	v_add3_u32 v23, v23, v24, v19
	s_addc_u32 s11, s27, -1
	v_lshl_add_u64 v[22:23], v[22:23], 1, s[28:29]
	s_mov_b64 s[12:13], 0
	s_mov_b64 s[14:15], s[10:11]
	v_mov_b64_e32 v[24:25], v[16:17]
                                        ; implicit-def: $sgpr6_sgpr7
.LBB1443_26:                            ; =>This Inner Loop Header: Depth=1
	global_load_ushort v19, v[24:25], off
	global_load_ushort v28, v[22:23], off
	s_add_u32 s0, s14, -1
	s_addc_u32 s1, s15, -1
	s_cmp_eq_u64 s[14:15], 0
	s_mov_b64 s[14:15], s[0:1]
	s_cselect_b64 s[38:39], -1, 0
	v_lshl_add_u64 v[24:25], v[24:25], 0, 2
	v_lshl_add_u64 v[22:23], v[22:23], 0, 2
	s_waitcnt vmcnt(0)
	v_cmp_ne_u16_e64 s[0:1], v19, v28
	s_or_b64 s[0:1], s[0:1], s[38:39]
	s_and_b64 s[0:1], exec, s[0:1]
	v_cmp_eq_u16_e32 vcc, v19, v28
	s_or_b64 s[12:13], s[0:1], s[12:13]
	s_andn2_b64 s[0:1], s[6:7], exec
	s_and_b64 s[6:7], vcc, exec
	s_or_b64 s[6:7], s[0:1], s[6:7]
	s_andn2_b64 exec, exec, s[12:13]
	s_cbranch_execnz .LBB1443_26
; %bb.27:
	s_or_b64 exec, exec, s[12:13]
	v_mul_lo_u32 v19, v3, s26
	v_mul_lo_u32 v24, v2, s27
	v_mad_u64_u32 v[22:23], s[0:1], v2, s26, 0
	v_add3_u32 v23, v23, v24, v19
	v_lshl_add_u64 v[22:23], v[22:23], 1, s[28:29]
	s_mov_b64 s[14:15], 0
	s_mov_b64 s[38:39], s[10:11]
	v_mov_b64_e32 v[24:25], v[22:23]
                                        ; implicit-def: $sgpr12_sgpr13
.LBB1443_28:                            ; =>This Inner Loop Header: Depth=1
	global_load_ushort v19, v[24:25], off
	global_load_ushort v28, v[16:17], off
	s_add_u32 s0, s38, -1
	s_addc_u32 s1, s39, -1
	s_cmp_eq_u64 s[38:39], 0
	s_mov_b64 s[38:39], s[0:1]
	s_cselect_b64 s[40:41], -1, 0
	v_lshl_add_u64 v[24:25], v[24:25], 0, 2
	v_lshl_add_u64 v[16:17], v[16:17], 0, 2
	s_waitcnt vmcnt(0)
	v_cmp_ne_u16_e64 s[0:1], v19, v28
	s_or_b64 s[0:1], s[0:1], s[40:41]
	s_and_b64 s[0:1], exec, s[0:1]
	v_cmp_eq_u16_e32 vcc, v19, v28
	s_or_b64 s[14:15], s[0:1], s[14:15]
	s_andn2_b64 s[0:1], s[12:13], exec
	s_and_b64 s[12:13], vcc, exec
	s_or_b64 s[12:13], s[0:1], s[12:13]
	s_andn2_b64 exec, exec, s[14:15]
	s_cbranch_execnz .LBB1443_28
; %bb.29:
	s_or_b64 exec, exec, s[14:15]
	v_mul_lo_u32 v19, v9, s26
	v_mul_lo_u32 v24, v8, s27
	v_mad_u64_u32 v[16:17], s[0:1], v8, s26, 0
	v_add3_u32 v17, v17, v24, v19
	v_lshl_add_u64 v[16:17], v[16:17], 1, s[28:29]
	s_mov_b64 s[38:39], 0
	s_mov_b64 s[40:41], s[10:11]
	v_mov_b64_e32 v[24:25], v[16:17]
                                        ; implicit-def: $sgpr14_sgpr15
.LBB1443_30:                            ; =>This Inner Loop Header: Depth=1
	global_load_ushort v19, v[24:25], off
	global_load_ushort v28, v[22:23], off
	s_add_u32 s0, s40, -1
	s_addc_u32 s1, s41, -1
	s_cmp_eq_u64 s[40:41], 0
	s_mov_b64 s[40:41], s[0:1]
	s_cselect_b64 s[42:43], -1, 0
	v_lshl_add_u64 v[24:25], v[24:25], 0, 2
	v_lshl_add_u64 v[22:23], v[22:23], 0, 2
	s_waitcnt vmcnt(0)
	v_cmp_ne_u16_e64 s[0:1], v19, v28
	s_or_b64 s[0:1], s[0:1], s[42:43]
	s_and_b64 s[0:1], exec, s[0:1]
	v_cmp_eq_u16_e32 vcc, v19, v28
	s_or_b64 s[38:39], s[0:1], s[38:39]
	s_andn2_b64 s[0:1], s[14:15], exec
	s_and_b64 s[14:15], vcc, exec
	s_or_b64 s[14:15], s[0:1], s[14:15]
	s_andn2_b64 exec, exec, s[38:39]
	s_cbranch_execnz .LBB1443_30
; %bb.31:
	s_or_b64 exec, exec, s[38:39]
	v_mul_lo_u32 v19, v7, s26
	v_mul_lo_u32 v24, v6, s27
	v_mad_u64_u32 v[22:23], s[0:1], v6, s26, 0
	v_add3_u32 v23, v23, v24, v19
	v_lshl_add_u64 v[22:23], v[22:23], 1, s[28:29]
	s_mov_b64 s[40:41], 0
	s_mov_b64 s[42:43], s[10:11]
	v_mov_b64_e32 v[24:25], v[22:23]
                                        ; implicit-def: $sgpr38_sgpr39
.LBB1443_32:                            ; =>This Inner Loop Header: Depth=1
	global_load_ushort v19, v[24:25], off
	global_load_ushort v28, v[16:17], off
	s_add_u32 s0, s42, -1
	s_addc_u32 s1, s43, -1
	s_cmp_eq_u64 s[42:43], 0
	s_mov_b64 s[42:43], s[0:1]
	s_cselect_b64 s[44:45], -1, 0
	v_lshl_add_u64 v[24:25], v[24:25], 0, 2
	v_lshl_add_u64 v[16:17], v[16:17], 0, 2
	s_waitcnt vmcnt(0)
	v_cmp_ne_u16_e64 s[0:1], v19, v28
	s_or_b64 s[0:1], s[0:1], s[44:45]
	s_and_b64 s[0:1], exec, s[0:1]
	v_cmp_eq_u16_e32 vcc, v19, v28
	s_or_b64 s[40:41], s[0:1], s[40:41]
	s_andn2_b64 s[0:1], s[38:39], exec
	s_and_b64 s[38:39], vcc, exec
	s_or_b64 s[38:39], s[0:1], s[38:39]
	s_andn2_b64 exec, exec, s[40:41]
	s_cbranch_execnz .LBB1443_32
; %bb.33:
	s_or_b64 exec, exec, s[40:41]
	v_mul_lo_u32 v19, v13, s26
	v_mul_lo_u32 v24, v12, s27
	v_mad_u64_u32 v[16:17], s[0:1], v12, s26, 0
	v_add3_u32 v17, v17, v24, v19
	v_lshl_add_u64 v[16:17], v[16:17], 1, s[28:29]
	s_mov_b64 s[42:43], 0
	s_mov_b64 s[44:45], s[10:11]
	v_mov_b64_e32 v[24:25], v[16:17]
                                        ; implicit-def: $sgpr40_sgpr41
.LBB1443_34:                            ; =>This Inner Loop Header: Depth=1
	global_load_ushort v19, v[24:25], off
	global_load_ushort v28, v[22:23], off
	s_add_u32 s0, s44, -1
	s_addc_u32 s1, s45, -1
	s_cmp_eq_u64 s[44:45], 0
	s_mov_b64 s[44:45], s[0:1]
	s_cselect_b64 s[46:47], -1, 0
	v_lshl_add_u64 v[24:25], v[24:25], 0, 2
	v_lshl_add_u64 v[22:23], v[22:23], 0, 2
	s_waitcnt vmcnt(0)
	v_cmp_ne_u16_e64 s[0:1], v19, v28
	s_or_b64 s[0:1], s[0:1], s[46:47]
	s_and_b64 s[0:1], exec, s[0:1]
	v_cmp_eq_u16_e32 vcc, v19, v28
	s_or_b64 s[42:43], s[0:1], s[42:43]
	s_andn2_b64 s[0:1], s[40:41], exec
	s_and_b64 s[40:41], vcc, exec
	s_or_b64 s[40:41], s[0:1], s[40:41]
	s_andn2_b64 exec, exec, s[42:43]
	s_cbranch_execnz .LBB1443_34
; %bb.35:
	s_or_b64 exec, exec, s[42:43]
	v_mul_lo_u32 v19, v11, s26
	v_mul_lo_u32 v24, v10, s27
	v_mad_u64_u32 v[22:23], s[0:1], v10, s26, 0
	v_add3_u32 v23, v23, v24, v19
	v_lshl_add_u64 v[22:23], v[22:23], 1, s[28:29]
	s_mov_b64 s[44:45], 0
                                        ; implicit-def: $sgpr42_sgpr43
.LBB1443_36:                            ; =>This Inner Loop Header: Depth=1
	global_load_ushort v19, v[22:23], off
	global_load_ushort v24, v[16:17], off
	s_add_u32 s0, s10, -1
	s_addc_u32 s1, s11, -1
	s_cmp_eq_u64 s[10:11], 0
	s_mov_b64 s[10:11], s[0:1]
	s_cselect_b64 s[46:47], -1, 0
	v_lshl_add_u64 v[22:23], v[22:23], 0, 2
	v_lshl_add_u64 v[16:17], v[16:17], 0, 2
	s_waitcnt vmcnt(0)
	v_cmp_ne_u16_e64 s[0:1], v19, v24
	s_or_b64 s[0:1], s[0:1], s[46:47]
	s_and_b64 s[0:1], exec, s[0:1]
	v_cmp_eq_u16_e32 vcc, v19, v24
	s_or_b64 s[44:45], s[0:1], s[44:45]
	s_andn2_b64 s[0:1], s[42:43], exec
	s_and_b64 s[42:43], vcc, exec
	s_or_b64 s[42:43], s[0:1], s[42:43]
	s_andn2_b64 exec, exec, s[44:45]
	s_cbranch_execnz .LBB1443_36
; %bb.37:
	s_or_b64 exec, exec, s[44:45]
	s_xor_b64 s[0:1], s[12:13], -1
	v_cndmask_b32_e64 v40, 0, 1, s[0:1]
	s_xor_b64 s[0:1], s[38:39], -1
	v_cndmask_b32_e64 v16, 0, 1, s[0:1]
	v_lshlrev_b16_e32 v16, 8, v16
	s_xor_b64 s[0:1], s[6:7], -1
	v_lshrrev_b32_e32 v16, 8, v16
	v_mov_b32_e32 v22, 1
	s_xor_b64 s[6:7], s[40:41], -1
	v_cndmask_b32_e64 v19, 0, 1, s[0:1]
	s_xor_b64 s[0:1], s[14:15], -1
	v_and_b32_sdwa v16, v16, v22 dst_sel:BYTE_1 dst_unused:UNUSED_PAD src0_sel:DWORD src1_sel:DWORD
	v_cndmask_b32_e64 v22, 0, 1, s[6:7]
	v_cndmask_b32_e64 v17, 0, 1, s[0:1]
	s_xor_b64 s[0:1], s[42:43], -1
	v_or_b32_sdwa v24, v22, v16 dst_sel:WORD_1 dst_unused:UNUSED_PAD src0_sel:DWORD src1_sel:DWORD
	s_branch .LBB1443_42
.LBB1443_38:
                                        ; implicit-def: $sgpr0_sgpr1
                                        ; implicit-def: $vgpr19
                                        ; implicit-def: $vgpr40
                                        ; implicit-def: $vgpr17
                                        ; implicit-def: $vgpr22
	s_branch .LBB1443_95
.LBB1443_39:
                                        ; implicit-def: $vgpr42
                                        ; implicit-def: $vgpr41
                                        ; implicit-def: $vgpr20
	s_branch .LBB1443_164
.LBB1443_40:
                                        ; implicit-def: $sgpr0_sgpr1
                                        ; implicit-def: $vgpr19
                                        ; implicit-def: $vgpr40
                                        ; implicit-def: $vgpr17
                                        ; implicit-def: $vgpr22
	s_cbranch_execnz .LBB1443_49
	s_branch .LBB1443_94
.LBB1443_41:
	v_mov_b32_e32 v24, 0
	v_mov_b32_e32 v19, 0
	;; [unrolled: 1-line block ×4, first 2 shown]
.LBB1443_42:
	s_waitcnt vmcnt(0)
	v_mov_b64_e32 v[22:23], v[20:21]
	s_waitcnt lgkmcnt(0)
	s_barrier
	s_and_saveexec_b64 s[6:7], s[2:3]
; %bb.43:
	v_add_u32_e32 v16, -8, v27
	ds_read_b64 v[22:23], v16
; %bb.44:
	s_or_b64 exec, exec, s[6:7]
	v_cndmask_b32_e64 v25, 0, 1, s[0:1]
	v_lshrrev_b32_e32 v16, 16, v24
	s_mov_b32 s0, 0xc0c0304
	v_perm_b32 v16, v16, v24, s0
	v_lshlrev_b16_e32 v25, 8, v25
	s_movk_i32 s0, 0xff
	v_bitop3_b16 v24, v24, v25, s0 bitop3:0xec
	v_and_b32_e32 v28, 0xffff, v24
	s_mov_b64 s[6:7], 0
	s_and_b64 vcc, exec, s[4:5]
	s_mov_b64 s[0:1], 0
	s_cbranch_vccnz .LBB1443_48
; %bb.45:
	s_waitcnt lgkmcnt(0)
	v_mul_lo_u32 v24, v23, s26
	v_mul_lo_u32 v25, v22, s27
	v_mad_u64_u32 v[22:23], s[0:1], v22, s26, 0
	v_add3_u32 v23, v23, v25, v24
	v_mul_lo_u32 v29, v11, s26
	v_mul_lo_u32 v30, v10, s27
	v_mad_u64_u32 v[24:25], s[0:1], v10, s26, 0
	v_add3_u32 v25, v25, v30, v29
	s_add_u32 s14, s26, -1
	v_lshl_add_u64 v[22:23], v[22:23], 1, s[28:29]
	v_lshl_add_u64 v[24:25], v[24:25], 1, s[28:29]
	s_addc_u32 s15, s27, -1
	s_mov_b64 s[10:11], 0
                                        ; implicit-def: $sgpr12_sgpr13
.LBB1443_46:                            ; =>This Inner Loop Header: Depth=1
	global_load_ushort v29, v[22:23], off
	global_load_ushort v30, v[24:25], off
	s_add_u32 s0, s14, -1
	s_addc_u32 s1, s15, -1
	s_cmp_eq_u64 s[14:15], 0
	s_mov_b64 s[14:15], s[0:1]
	s_cselect_b64 s[38:39], -1, 0
	v_lshl_add_u64 v[22:23], v[22:23], 0, 2
	v_lshl_add_u64 v[24:25], v[24:25], 0, 2
	s_waitcnt vmcnt(0)
	v_cmp_ne_u16_e64 s[0:1], v29, v30
	s_or_b64 s[0:1], s[0:1], s[38:39]
	s_and_b64 s[0:1], exec, s[0:1]
	v_cmp_eq_u16_e32 vcc, v29, v30
	s_or_b64 s[10:11], s[0:1], s[10:11]
	s_andn2_b64 s[0:1], s[12:13], exec
	s_and_b64 s[12:13], vcc, exec
	s_or_b64 s[12:13], s[0:1], s[12:13]
	s_andn2_b64 exec, exec, s[10:11]
	s_cbranch_execnz .LBB1443_46
; %bb.47:
	s_or_b64 exec, exec, s[10:11]
	s_xor_b64 s[0:1], s[12:13], -1
.LBB1443_48:
	s_waitcnt lgkmcnt(0)
	v_lshl_or_b32 v22, v16, 16, v28
	s_and_b64 vcc, exec, s[6:7]
	s_cbranch_vccz .LBB1443_94
.LBB1443_49:
	v_add_u32_e32 v16, 6, v1
	v_cmp_gt_u32_e32 vcc, s50, v16
	s_mov_b64 s[10:11], 0
	s_mov_b64 s[6:7], 0
	s_and_saveexec_b64 s[12:13], vcc
	s_cbranch_execz .LBB1443_55
; %bb.50:
	s_and_b64 vcc, exec, s[4:5]
	s_mov_b64 s[0:1], 0
	s_cbranch_vccnz .LBB1443_54
; %bb.51:
	v_mul_lo_u32 v19, v5, s26
	v_mul_lo_u32 v22, v4, s27
	v_mad_u64_u32 v[16:17], s[0:1], v4, s26, 0
	v_add3_u32 v17, v17, v22, v19
	v_mul_lo_u32 v19, v15, s26
	v_mul_lo_u32 v24, v14, s27
	v_mad_u64_u32 v[22:23], s[0:1], v14, s26, 0
	v_add3_u32 v23, v23, v24, v19
	s_add_u32 s38, s26, -1
	v_lshl_add_u64 v[16:17], v[16:17], 1, s[28:29]
	v_lshl_add_u64 v[22:23], v[22:23], 1, s[28:29]
	s_addc_u32 s39, s27, -1
                                        ; implicit-def: $sgpr14_sgpr15
.LBB1443_52:                            ; =>This Inner Loop Header: Depth=1
	global_load_ushort v19, v[16:17], off
	global_load_ushort v24, v[22:23], off
	s_add_u32 s0, s38, -1
	s_addc_u32 s1, s39, -1
	s_cmp_eq_u64 s[38:39], 0
	s_mov_b64 s[38:39], s[0:1]
	s_cselect_b64 s[40:41], -1, 0
	v_lshl_add_u64 v[16:17], v[16:17], 0, 2
	v_lshl_add_u64 v[22:23], v[22:23], 0, 2
	s_waitcnt vmcnt(0)
	v_cmp_ne_u16_e64 s[0:1], v19, v24
	s_or_b64 s[0:1], s[0:1], s[40:41]
	s_and_b64 s[0:1], exec, s[0:1]
	v_cmp_eq_u16_e32 vcc, v19, v24
	s_or_b64 s[6:7], s[0:1], s[6:7]
	s_andn2_b64 s[0:1], s[14:15], exec
	s_and_b64 s[14:15], vcc, exec
	s_or_b64 s[14:15], s[0:1], s[14:15]
	s_andn2_b64 exec, exec, s[6:7]
	s_cbranch_execnz .LBB1443_52
; %bb.53:
	s_or_b64 exec, exec, s[6:7]
	s_xor_b64 s[0:1], s[14:15], -1
.LBB1443_54:
	s_and_b64 s[6:7], s[0:1], exec
.LBB1443_55:
	s_or_b64 exec, exec, s[12:13]
	v_add_u32_e32 v16, 5, v1
	v_cmp_gt_u32_e32 vcc, s50, v16
	s_and_saveexec_b64 s[12:13], vcc
	s_cbranch_execz .LBB1443_61
; %bb.56:
	s_and_b64 vcc, exec, s[4:5]
	s_mov_b64 s[0:1], 0
	s_cbranch_vccnz .LBB1443_60
; %bb.57:
	v_mul_lo_u32 v19, v3, s26
	v_mul_lo_u32 v22, v2, s27
	v_mad_u64_u32 v[16:17], s[0:1], v2, s26, 0
	v_add3_u32 v17, v17, v22, v19
	v_mul_lo_u32 v19, v5, s26
	v_mul_lo_u32 v24, v4, s27
	v_mad_u64_u32 v[22:23], s[0:1], v4, s26, 0
	v_add3_u32 v23, v23, v24, v19
	s_add_u32 s38, s26, -1
	v_lshl_add_u64 v[16:17], v[16:17], 1, s[28:29]
	v_lshl_add_u64 v[22:23], v[22:23], 1, s[28:29]
	s_addc_u32 s39, s27, -1
	s_mov_b64 s[10:11], 0
                                        ; implicit-def: $sgpr14_sgpr15
.LBB1443_58:                            ; =>This Inner Loop Header: Depth=1
	global_load_ushort v19, v[16:17], off
	global_load_ushort v24, v[22:23], off
	s_add_u32 s0, s38, -1
	s_addc_u32 s1, s39, -1
	s_cmp_eq_u64 s[38:39], 0
	s_mov_b64 s[38:39], s[0:1]
	s_cselect_b64 s[40:41], -1, 0
	v_lshl_add_u64 v[16:17], v[16:17], 0, 2
	v_lshl_add_u64 v[22:23], v[22:23], 0, 2
	s_waitcnt vmcnt(0)
	v_cmp_ne_u16_e64 s[0:1], v19, v24
	s_or_b64 s[0:1], s[0:1], s[40:41]
	s_and_b64 s[0:1], exec, s[0:1]
	v_cmp_eq_u16_e32 vcc, v19, v24
	s_or_b64 s[10:11], s[0:1], s[10:11]
	s_andn2_b64 s[0:1], s[14:15], exec
	s_and_b64 s[14:15], vcc, exec
	s_or_b64 s[14:15], s[0:1], s[14:15]
	s_andn2_b64 exec, exec, s[10:11]
	s_cbranch_execnz .LBB1443_58
; %bb.59:
	s_or_b64 exec, exec, s[10:11]
	s_xor_b64 s[0:1], s[14:15], -1
.LBB1443_60:
	s_and_b64 s[10:11], s[0:1], exec
.LBB1443_61:
	s_or_b64 exec, exec, s[12:13]
	v_add_u32_e32 v16, 4, v1
	v_cmp_gt_u32_e32 vcc, s50, v16
	s_mov_b64 s[14:15], 0
	s_mov_b64 s[12:13], 0
	s_and_saveexec_b64 s[38:39], vcc
	s_cbranch_execz .LBB1443_67
; %bb.62:
	s_and_b64 vcc, exec, s[4:5]
	s_mov_b64 s[0:1], 0
	s_cbranch_vccnz .LBB1443_66
; %bb.63:
	v_mul_lo_u32 v19, v9, s26
	v_mul_lo_u32 v22, v8, s27
	v_mad_u64_u32 v[16:17], s[0:1], v8, s26, 0
	v_add3_u32 v17, v17, v22, v19
	v_mul_lo_u32 v19, v3, s26
	v_mul_lo_u32 v24, v2, s27
	v_mad_u64_u32 v[22:23], s[0:1], v2, s26, 0
	v_add3_u32 v23, v23, v24, v19
	s_add_u32 s42, s26, -1
	v_lshl_add_u64 v[16:17], v[16:17], 1, s[28:29]
	v_lshl_add_u64 v[22:23], v[22:23], 1, s[28:29]
	s_addc_u32 s43, s27, -1
                                        ; implicit-def: $sgpr40_sgpr41
.LBB1443_64:                            ; =>This Inner Loop Header: Depth=1
	global_load_ushort v19, v[16:17], off
	global_load_ushort v24, v[22:23], off
	s_add_u32 s0, s42, -1
	s_addc_u32 s1, s43, -1
	s_cmp_eq_u64 s[42:43], 0
	s_mov_b64 s[42:43], s[0:1]
	s_cselect_b64 s[44:45], -1, 0
	v_lshl_add_u64 v[16:17], v[16:17], 0, 2
	v_lshl_add_u64 v[22:23], v[22:23], 0, 2
	s_waitcnt vmcnt(0)
	v_cmp_ne_u16_e64 s[0:1], v19, v24
	s_or_b64 s[0:1], s[0:1], s[44:45]
	s_and_b64 s[0:1], exec, s[0:1]
	v_cmp_eq_u16_e32 vcc, v19, v24
	s_or_b64 s[12:13], s[0:1], s[12:13]
	s_andn2_b64 s[0:1], s[40:41], exec
	s_and_b64 s[40:41], vcc, exec
	s_or_b64 s[40:41], s[0:1], s[40:41]
	s_andn2_b64 exec, exec, s[12:13]
	s_cbranch_execnz .LBB1443_64
; %bb.65:
	s_or_b64 exec, exec, s[12:13]
	s_xor_b64 s[0:1], s[40:41], -1
.LBB1443_66:
	s_and_b64 s[12:13], s[0:1], exec
.LBB1443_67:
	s_or_b64 exec, exec, s[38:39]
	v_add_u32_e32 v16, 3, v1
	v_cmp_gt_u32_e32 vcc, s50, v16
	s_and_saveexec_b64 s[38:39], vcc
	s_cbranch_execz .LBB1443_73
; %bb.68:
	s_and_b64 vcc, exec, s[4:5]
	s_mov_b64 s[0:1], 0
	s_cbranch_vccnz .LBB1443_72
; %bb.69:
	v_mul_lo_u32 v19, v7, s26
	v_mul_lo_u32 v22, v6, s27
	v_mad_u64_u32 v[16:17], s[0:1], v6, s26, 0
	v_add3_u32 v17, v17, v22, v19
	v_mul_lo_u32 v19, v9, s26
	v_mul_lo_u32 v24, v8, s27
	v_mad_u64_u32 v[22:23], s[0:1], v8, s26, 0
	v_add3_u32 v23, v23, v24, v19
	s_add_u32 s42, s26, -1
	v_lshl_add_u64 v[16:17], v[16:17], 1, s[28:29]
	v_lshl_add_u64 v[22:23], v[22:23], 1, s[28:29]
	s_addc_u32 s43, s27, -1
	s_mov_b64 s[14:15], 0
                                        ; implicit-def: $sgpr40_sgpr41
.LBB1443_70:                            ; =>This Inner Loop Header: Depth=1
	global_load_ushort v19, v[16:17], off
	global_load_ushort v24, v[22:23], off
	s_add_u32 s0, s42, -1
	s_addc_u32 s1, s43, -1
	s_cmp_eq_u64 s[42:43], 0
	s_mov_b64 s[42:43], s[0:1]
	s_cselect_b64 s[44:45], -1, 0
	v_lshl_add_u64 v[16:17], v[16:17], 0, 2
	v_lshl_add_u64 v[22:23], v[22:23], 0, 2
	s_waitcnt vmcnt(0)
	v_cmp_ne_u16_e64 s[0:1], v19, v24
	s_or_b64 s[0:1], s[0:1], s[44:45]
	s_and_b64 s[0:1], exec, s[0:1]
	v_cmp_eq_u16_e32 vcc, v19, v24
	s_or_b64 s[14:15], s[0:1], s[14:15]
	s_andn2_b64 s[0:1], s[40:41], exec
	s_and_b64 s[40:41], vcc, exec
	s_or_b64 s[40:41], s[0:1], s[40:41]
	s_andn2_b64 exec, exec, s[14:15]
	s_cbranch_execnz .LBB1443_70
; %bb.71:
	s_or_b64 exec, exec, s[14:15]
	s_xor_b64 s[0:1], s[40:41], -1
.LBB1443_72:
	s_and_b64 s[14:15], s[0:1], exec
.LBB1443_73:
	s_or_b64 exec, exec, s[38:39]
	v_add_u32_e32 v16, 2, v1
	v_cmp_gt_u32_e32 vcc, s50, v16
	s_mov_b64 s[38:39], 0
	s_mov_b64 s[40:41], 0
	s_and_saveexec_b64 s[42:43], vcc
	s_cbranch_execz .LBB1443_79
; %bb.74:
	s_and_b64 vcc, exec, s[4:5]
	s_mov_b64 s[0:1], 0
	s_cbranch_vccnz .LBB1443_78
; %bb.75:
	v_mul_lo_u32 v19, v13, s26
	v_mul_lo_u32 v22, v12, s27
	v_mad_u64_u32 v[16:17], s[0:1], v12, s26, 0
	v_add3_u32 v17, v17, v22, v19
	v_mul_lo_u32 v19, v7, s26
	v_mul_lo_u32 v24, v6, s27
	v_mad_u64_u32 v[22:23], s[0:1], v6, s26, 0
	v_add3_u32 v23, v23, v24, v19
	s_add_u32 s46, s26, -1
	v_lshl_add_u64 v[16:17], v[16:17], 1, s[28:29]
	v_lshl_add_u64 v[22:23], v[22:23], 1, s[28:29]
	s_addc_u32 s47, s27, -1
                                        ; implicit-def: $sgpr44_sgpr45
.LBB1443_76:                            ; =>This Inner Loop Header: Depth=1
	global_load_ushort v19, v[16:17], off
	global_load_ushort v24, v[22:23], off
	s_add_u32 s0, s46, -1
	s_addc_u32 s1, s47, -1
	s_cmp_eq_u64 s[46:47], 0
	s_mov_b64 s[46:47], s[0:1]
	s_cselect_b64 s[48:49], -1, 0
	v_lshl_add_u64 v[16:17], v[16:17], 0, 2
	v_lshl_add_u64 v[22:23], v[22:23], 0, 2
	s_waitcnt vmcnt(0)
	v_cmp_ne_u16_e64 s[0:1], v19, v24
	s_or_b64 s[0:1], s[0:1], s[48:49]
	s_and_b64 s[0:1], exec, s[0:1]
	v_cmp_eq_u16_e32 vcc, v19, v24
	s_or_b64 s[40:41], s[0:1], s[40:41]
	s_andn2_b64 s[0:1], s[44:45], exec
	s_and_b64 s[44:45], vcc, exec
	s_or_b64 s[44:45], s[0:1], s[44:45]
	s_andn2_b64 exec, exec, s[40:41]
	s_cbranch_execnz .LBB1443_76
; %bb.77:
	s_or_b64 exec, exec, s[40:41]
	s_xor_b64 s[0:1], s[44:45], -1
.LBB1443_78:
	s_and_b64 s[40:41], s[0:1], exec
.LBB1443_79:
	s_or_b64 exec, exec, s[42:43]
	v_add_u32_e32 v16, 1, v1
	v_cmp_gt_u32_e32 vcc, s50, v16
	s_and_saveexec_b64 s[42:43], vcc
	s_cbranch_execz .LBB1443_85
; %bb.80:
	s_and_b64 vcc, exec, s[4:5]
	s_mov_b64 s[0:1], 0
	s_cbranch_vccnz .LBB1443_84
; %bb.81:
	v_mul_lo_u32 v19, v11, s26
	v_mul_lo_u32 v22, v10, s27
	v_mad_u64_u32 v[16:17], s[0:1], v10, s26, 0
	v_add3_u32 v17, v17, v22, v19
	v_mul_lo_u32 v19, v13, s26
	v_mul_lo_u32 v24, v12, s27
	v_mad_u64_u32 v[22:23], s[0:1], v12, s26, 0
	v_add3_u32 v23, v23, v24, v19
	s_add_u32 s46, s26, -1
	v_lshl_add_u64 v[16:17], v[16:17], 1, s[28:29]
	v_lshl_add_u64 v[22:23], v[22:23], 1, s[28:29]
	s_addc_u32 s47, s27, -1
	s_mov_b64 s[38:39], 0
                                        ; implicit-def: $sgpr44_sgpr45
.LBB1443_82:                            ; =>This Inner Loop Header: Depth=1
	global_load_ushort v19, v[16:17], off
	global_load_ushort v24, v[22:23], off
	s_add_u32 s0, s46, -1
	s_addc_u32 s1, s47, -1
	s_cmp_eq_u64 s[46:47], 0
	s_mov_b64 s[46:47], s[0:1]
	s_cselect_b64 s[48:49], -1, 0
	v_lshl_add_u64 v[16:17], v[16:17], 0, 2
	v_lshl_add_u64 v[22:23], v[22:23], 0, 2
	s_waitcnt vmcnt(0)
	v_cmp_ne_u16_e64 s[0:1], v19, v24
	s_or_b64 s[0:1], s[0:1], s[48:49]
	s_and_b64 s[0:1], exec, s[0:1]
	v_cmp_eq_u16_e32 vcc, v19, v24
	s_or_b64 s[38:39], s[0:1], s[38:39]
	s_andn2_b64 s[0:1], s[44:45], exec
	s_and_b64 s[44:45], vcc, exec
	s_or_b64 s[44:45], s[0:1], s[44:45]
	s_andn2_b64 exec, exec, s[38:39]
	s_cbranch_execnz .LBB1443_82
; %bb.83:
	s_or_b64 exec, exec, s[38:39]
	s_xor_b64 s[0:1], s[44:45], -1
.LBB1443_84:
	s_and_b64 s[38:39], s[0:1], exec
.LBB1443_85:
	s_or_b64 exec, exec, s[42:43]
	s_waitcnt lgkmcnt(0)
	s_barrier
	s_and_saveexec_b64 s[0:1], s[2:3]
	s_cbranch_execz .LBB1443_87
; %bb.86:
	v_add_u32_e32 v16, -8, v27
	s_waitcnt vmcnt(0)
	ds_read_b64 v[20:21], v16
.LBB1443_87:
	s_or_b64 exec, exec, s[0:1]
	v_cndmask_b32_e64 v17, 0, 1, s[14:15]
	v_cndmask_b32_e64 v16, 0, 1, s[40:41]
	;; [unrolled: 1-line block ×3, first 2 shown]
	v_lshlrev_b16_e32 v17, 8, v17
	v_cmp_gt_u32_e32 vcc, s50, v1
	v_lshlrev_b16_e32 v22, 8, v19
	v_or_b32_sdwa v23, v16, v17 dst_sel:WORD_1 dst_unused:UNUSED_PAD src0_sel:DWORD src1_sel:DWORD
	s_mov_b64 s[0:1], 0
	s_and_saveexec_b64 s[14:15], vcc
	s_cbranch_execz .LBB1443_93
; %bb.88:
	s_and_b64 vcc, exec, s[4:5]
	s_cbranch_vccnz .LBB1443_92
; %bb.89:
	s_waitcnt vmcnt(0) lgkmcnt(0)
	v_mul_lo_u32 v19, v21, s26
	v_mul_lo_u32 v21, v20, s27
	v_mad_u64_u32 v[16:17], s[0:1], v20, s26, 0
	v_add3_u32 v17, v17, v21, v19
	v_mul_lo_u32 v19, v11, s26
	v_mul_lo_u32 v24, v10, s27
	v_mad_u64_u32 v[20:21], s[0:1], v10, s26, 0
	v_add3_u32 v21, v21, v24, v19
	s_add_u32 s40, s26, -1
	v_lshl_add_u64 v[16:17], v[16:17], 1, s[28:29]
	v_lshl_add_u64 v[20:21], v[20:21], 1, s[28:29]
	s_addc_u32 s41, s27, -1
	s_mov_b64 s[4:5], 0
                                        ; implicit-def: $sgpr38_sgpr39
.LBB1443_90:                            ; =>This Inner Loop Header: Depth=1
	global_load_ushort v19, v[16:17], off
	global_load_ushort v24, v[20:21], off
	s_add_u32 s0, s40, -1
	s_addc_u32 s1, s41, -1
	s_cmp_eq_u64 s[40:41], 0
	s_mov_b64 s[40:41], s[0:1]
	s_cselect_b64 s[42:43], -1, 0
	v_lshl_add_u64 v[16:17], v[16:17], 0, 2
	v_lshl_add_u64 v[20:21], v[20:21], 0, 2
	s_waitcnt vmcnt(0)
	v_cmp_ne_u16_e64 s[0:1], v19, v24
	s_or_b64 s[0:1], s[0:1], s[42:43]
	s_and_b64 s[0:1], exec, s[0:1]
	v_cmp_eq_u16_e32 vcc, v19, v24
	s_or_b64 s[4:5], s[0:1], s[4:5]
	s_andn2_b64 s[0:1], s[38:39], exec
	s_and_b64 s[38:39], vcc, exec
	s_or_b64 s[38:39], s[0:1], s[38:39]
	s_andn2_b64 exec, exec, s[4:5]
	s_cbranch_execnz .LBB1443_90
; %bb.91:
	s_or_b64 exec, exec, s[4:5]
	s_xor_b64 s[0:1], s[38:39], -1
.LBB1443_92:
	s_and_b64 s[0:1], s[0:1], exec
.LBB1443_93:
	s_or_b64 exec, exec, s[14:15]
	v_cndmask_b32_e64 v17, 0, 1, s[12:13]
	v_cndmask_b32_e64 v40, 0, 1, s[10:11]
	;; [unrolled: 1-line block ×3, first 2 shown]
	v_or_b32_e32 v22, v22, v23
.LBB1443_94:
	s_mov_b64 s[10:11], -1
	s_cbranch_execnz .LBB1443_39
.LBB1443_95:
	s_movk_i32 s0, 0xffd0
	v_mad_i32_i24 v26, v0, s0, v26
	s_mov_b64 s[0:1], 0
	v_cmp_gt_i64_e64 s[6:7], s[26:27], 0
	s_and_b64 vcc, exec, s[36:37]
	ds_write_b64 v26, v[14:15]
	s_cbranch_vccz .LBB1443_110
; %bb.96:
	v_cndmask_b32_e64 v16, 0, 1, s[6:7]
	v_cmp_ne_u32_e64 s[4:5], 1, v16
	s_andn2_b64 vcc, exec, s[6:7]
	s_cbranch_vccnz .LBB1443_111
; %bb.97:
	v_mul_lo_u32 v19, v5, s26
	s_waitcnt vmcnt(0) lgkmcnt(1)
	v_mul_lo_u32 v20, v4, s27
	v_mad_u64_u32 v[16:17], s[0:1], v4, s26, 0
	v_add3_u32 v17, v17, v20, v19
	v_mul_lo_u32 v19, v15, s26
	v_mul_lo_u32 v22, v14, s27
	v_mad_u64_u32 v[20:21], s[0:1], v14, s26, 0
	s_add_u32 s14, s26, -1
	v_lshl_add_u64 v[16:17], v[16:17], 1, s[28:29]
	v_add3_u32 v21, v21, v22, v19
	s_addc_u32 s15, s27, -1
	v_lshl_add_u64 v[20:21], v[20:21], 1, s[28:29]
	s_mov_b64 s[38:39], 0
	s_mov_b64 s[40:41], s[14:15]
	v_mov_b64_e32 v[22:23], v[16:17]
                                        ; implicit-def: $sgpr12_sgpr13
.LBB1443_98:                            ; =>This Inner Loop Header: Depth=1
	global_load_ushort v19, v[22:23], off
	global_load_ushort v24, v[20:21], off
	s_add_u32 s0, s40, -1
	s_addc_u32 s1, s41, -1
	s_cmp_eq_u64 s[40:41], 0
	s_mov_b64 s[40:41], s[0:1]
	s_cselect_b64 s[42:43], -1, 0
	v_lshl_add_u64 v[22:23], v[22:23], 0, 2
	v_lshl_add_u64 v[20:21], v[20:21], 0, 2
	s_waitcnt vmcnt(0)
	v_cmp_ne_u16_e64 s[0:1], v19, v24
	s_or_b64 s[0:1], s[0:1], s[42:43]
	s_and_b64 s[0:1], exec, s[0:1]
	v_cmp_eq_u16_e32 vcc, v19, v24
	s_or_b64 s[38:39], s[0:1], s[38:39]
	s_andn2_b64 s[0:1], s[12:13], exec
	s_and_b64 s[12:13], vcc, exec
	s_or_b64 s[12:13], s[0:1], s[12:13]
	s_andn2_b64 exec, exec, s[38:39]
	s_cbranch_execnz .LBB1443_98
; %bb.99:
	s_or_b64 exec, exec, s[38:39]
	v_mul_lo_u32 v19, v3, s26
	v_mul_lo_u32 v22, v2, s27
	v_mad_u64_u32 v[20:21], s[0:1], v2, s26, 0
	v_add3_u32 v21, v21, v22, v19
	v_lshl_add_u64 v[20:21], v[20:21], 1, s[28:29]
	s_mov_b64 s[40:41], 0
	s_mov_b64 s[42:43], s[14:15]
	v_mov_b64_e32 v[22:23], v[20:21]
                                        ; implicit-def: $sgpr38_sgpr39
.LBB1443_100:                           ; =>This Inner Loop Header: Depth=1
	global_load_ushort v19, v[22:23], off
	global_load_ushort v24, v[16:17], off
	s_add_u32 s0, s42, -1
	s_addc_u32 s1, s43, -1
	s_cmp_eq_u64 s[42:43], 0
	s_mov_b64 s[42:43], s[0:1]
	s_cselect_b64 s[44:45], -1, 0
	v_lshl_add_u64 v[22:23], v[22:23], 0, 2
	v_lshl_add_u64 v[16:17], v[16:17], 0, 2
	s_waitcnt vmcnt(0)
	v_cmp_ne_u16_e64 s[0:1], v19, v24
	s_or_b64 s[0:1], s[0:1], s[44:45]
	s_and_b64 s[0:1], exec, s[0:1]
	v_cmp_eq_u16_e32 vcc, v19, v24
	s_or_b64 s[40:41], s[0:1], s[40:41]
	s_andn2_b64 s[0:1], s[38:39], exec
	s_and_b64 s[38:39], vcc, exec
	s_or_b64 s[38:39], s[0:1], s[38:39]
	s_andn2_b64 exec, exec, s[40:41]
	s_cbranch_execnz .LBB1443_100
; %bb.101:
	s_or_b64 exec, exec, s[40:41]
	v_mul_lo_u32 v19, v9, s26
	v_mul_lo_u32 v22, v8, s27
	v_mad_u64_u32 v[16:17], s[0:1], v8, s26, 0
	v_add3_u32 v17, v17, v22, v19
	v_lshl_add_u64 v[16:17], v[16:17], 1, s[28:29]
	s_mov_b64 s[42:43], 0
	s_mov_b64 s[44:45], s[14:15]
	v_mov_b64_e32 v[22:23], v[16:17]
                                        ; implicit-def: $sgpr40_sgpr41
.LBB1443_102:                           ; =>This Inner Loop Header: Depth=1
	global_load_ushort v19, v[22:23], off
	global_load_ushort v24, v[20:21], off
	s_add_u32 s0, s44, -1
	s_addc_u32 s1, s45, -1
	s_cmp_eq_u64 s[44:45], 0
	s_mov_b64 s[44:45], s[0:1]
	s_cselect_b64 s[46:47], -1, 0
	v_lshl_add_u64 v[22:23], v[22:23], 0, 2
	v_lshl_add_u64 v[20:21], v[20:21], 0, 2
	s_waitcnt vmcnt(0)
	v_cmp_ne_u16_e64 s[0:1], v19, v24
	s_or_b64 s[0:1], s[0:1], s[46:47]
	s_and_b64 s[0:1], exec, s[0:1]
	v_cmp_eq_u16_e32 vcc, v19, v24
	s_or_b64 s[42:43], s[0:1], s[42:43]
	s_andn2_b64 s[0:1], s[40:41], exec
	s_and_b64 s[40:41], vcc, exec
	s_or_b64 s[40:41], s[0:1], s[40:41]
	s_andn2_b64 exec, exec, s[42:43]
	s_cbranch_execnz .LBB1443_102
; %bb.103:
	s_or_b64 exec, exec, s[42:43]
	v_mul_lo_u32 v19, v7, s26
	v_mul_lo_u32 v22, v6, s27
	v_mad_u64_u32 v[20:21], s[0:1], v6, s26, 0
	v_add3_u32 v21, v21, v22, v19
	v_lshl_add_u64 v[20:21], v[20:21], 1, s[28:29]
	s_mov_b64 s[44:45], 0
	s_mov_b64 s[46:47], s[14:15]
	v_mov_b64_e32 v[22:23], v[20:21]
                                        ; implicit-def: $sgpr42_sgpr43
.LBB1443_104:                           ; =>This Inner Loop Header: Depth=1
	global_load_ushort v19, v[22:23], off
	global_load_ushort v24, v[16:17], off
	s_add_u32 s0, s46, -1
	s_addc_u32 s1, s47, -1
	s_cmp_eq_u64 s[46:47], 0
	s_mov_b64 s[46:47], s[0:1]
	s_cselect_b64 s[48:49], -1, 0
	v_lshl_add_u64 v[22:23], v[22:23], 0, 2
	v_lshl_add_u64 v[16:17], v[16:17], 0, 2
	s_waitcnt vmcnt(0)
	v_cmp_ne_u16_e64 s[0:1], v19, v24
	s_or_b64 s[0:1], s[0:1], s[48:49]
	s_and_b64 s[0:1], exec, s[0:1]
	v_cmp_eq_u16_e32 vcc, v19, v24
	s_or_b64 s[44:45], s[0:1], s[44:45]
	s_andn2_b64 s[0:1], s[42:43], exec
	s_and_b64 s[42:43], vcc, exec
	s_or_b64 s[42:43], s[0:1], s[42:43]
	s_andn2_b64 exec, exec, s[44:45]
	s_cbranch_execnz .LBB1443_104
; %bb.105:
	s_or_b64 exec, exec, s[44:45]
	v_mul_lo_u32 v19, v13, s26
	v_mul_lo_u32 v22, v12, s27
	v_mad_u64_u32 v[16:17], s[0:1], v12, s26, 0
	v_add3_u32 v17, v17, v22, v19
	v_lshl_add_u64 v[16:17], v[16:17], 1, s[28:29]
	s_mov_b64 s[46:47], 0
	s_mov_b64 s[48:49], s[14:15]
	v_mov_b64_e32 v[22:23], v[16:17]
                                        ; implicit-def: $sgpr44_sgpr45
.LBB1443_106:                           ; =>This Inner Loop Header: Depth=1
	global_load_ushort v19, v[22:23], off
	global_load_ushort v24, v[20:21], off
	s_add_u32 s0, s48, -1
	s_addc_u32 s1, s49, -1
	s_cmp_eq_u64 s[48:49], 0
	s_mov_b64 s[48:49], s[0:1]
	s_cselect_b64 s[52:53], -1, 0
	v_lshl_add_u64 v[22:23], v[22:23], 0, 2
	v_lshl_add_u64 v[20:21], v[20:21], 0, 2
	s_waitcnt vmcnt(0)
	v_cmp_ne_u16_e64 s[0:1], v19, v24
	s_or_b64 s[0:1], s[0:1], s[52:53]
	s_and_b64 s[0:1], exec, s[0:1]
	v_cmp_eq_u16_e32 vcc, v19, v24
	s_or_b64 s[46:47], s[0:1], s[46:47]
	s_andn2_b64 s[0:1], s[44:45], exec
	s_and_b64 s[44:45], vcc, exec
	s_or_b64 s[44:45], s[0:1], s[44:45]
	s_andn2_b64 exec, exec, s[46:47]
	s_cbranch_execnz .LBB1443_106
; %bb.107:
	s_or_b64 exec, exec, s[46:47]
	v_mul_lo_u32 v19, v11, s26
	v_mul_lo_u32 v22, v10, s27
	v_mad_u64_u32 v[20:21], s[0:1], v10, s26, 0
	v_add3_u32 v21, v21, v22, v19
	v_lshl_add_u64 v[20:21], v[20:21], 1, s[28:29]
	s_mov_b64 s[48:49], 0
                                        ; implicit-def: $sgpr46_sgpr47
.LBB1443_108:                           ; =>This Inner Loop Header: Depth=1
	global_load_ushort v19, v[20:21], off
	global_load_ushort v22, v[16:17], off
	s_add_u32 s0, s14, -1
	s_addc_u32 s1, s15, -1
	s_cmp_eq_u64 s[14:15], 0
	s_mov_b64 s[14:15], s[0:1]
	s_cselect_b64 s[52:53], -1, 0
	v_lshl_add_u64 v[20:21], v[20:21], 0, 2
	v_lshl_add_u64 v[16:17], v[16:17], 0, 2
	s_waitcnt vmcnt(0)
	v_cmp_ne_u16_e64 s[0:1], v19, v22
	s_or_b64 s[0:1], s[0:1], s[52:53]
	s_and_b64 s[0:1], exec, s[0:1]
	v_cmp_eq_u16_e32 vcc, v19, v22
	s_or_b64 s[48:49], s[0:1], s[48:49]
	s_andn2_b64 s[0:1], s[46:47], exec
	s_and_b64 s[46:47], vcc, exec
	s_or_b64 s[46:47], s[0:1], s[46:47]
	s_andn2_b64 exec, exec, s[48:49]
	s_cbranch_execnz .LBB1443_108
; %bb.109:
	s_or_b64 exec, exec, s[48:49]
	s_xor_b64 s[0:1], s[38:39], -1
	v_cndmask_b32_e64 v40, 0, 1, s[0:1]
	s_xor_b64 s[0:1], s[42:43], -1
	v_cndmask_b32_e64 v16, 0, 1, s[0:1]
	v_lshlrev_b16_e32 v16, 8, v16
	s_xor_b64 s[0:1], s[12:13], -1
	v_lshrrev_b32_e32 v16, 8, v16
	v_mov_b32_e32 v20, 1
	s_xor_b64 s[12:13], s[44:45], -1
	v_cndmask_b32_e64 v19, 0, 1, s[0:1]
	s_xor_b64 s[0:1], s[40:41], -1
	v_and_b32_sdwa v16, v16, v20 dst_sel:BYTE_1 dst_unused:UNUSED_PAD src0_sel:DWORD src1_sel:DWORD
	v_cndmask_b32_e64 v20, 0, 1, s[12:13]
	v_cndmask_b32_e64 v17, 0, 1, s[0:1]
	s_xor_b64 s[0:1], s[46:47], -1
	v_or_b32_sdwa v16, v20, v16 dst_sel:WORD_1 dst_unused:UNUSED_PAD src0_sel:DWORD src1_sel:DWORD
	s_branch .LBB1443_112
.LBB1443_110:
                                        ; implicit-def: $sgpr0_sgpr1
                                        ; implicit-def: $vgpr19
                                        ; implicit-def: $vgpr40
                                        ; implicit-def: $vgpr17
                                        ; implicit-def: $vgpr22
                                        ; implicit-def: $vgpr42
                                        ; implicit-def: $vgpr41
                                        ; implicit-def: $vgpr20
	s_cbranch_execnz .LBB1443_119
	s_branch .LBB1443_164
.LBB1443_111:
	v_mov_b32_e32 v16, 0
	v_mov_b32_e32 v19, 0
	;; [unrolled: 1-line block ×4, first 2 shown]
.LBB1443_112:
	v_lshrrev_b32_e32 v41, 16, v16
	s_waitcnt vmcnt(0) lgkmcnt(1)
	v_lshrrev_b32_e32 v20, 24, v16
	v_cndmask_b32_e64 v42, 0, 1, s[0:1]
	v_mov_b32_e32 v16, 1
	s_waitcnt lgkmcnt(0)
	s_barrier
                                        ; implicit-def: $sgpr0_sgpr1
                                        ; implicit-def: $vgpr22
	s_and_saveexec_b64 s[12:13], s[2:3]
	s_xor_b64 s[12:13], exec, s[12:13]
	s_cbranch_execz .LBB1443_118
; %bb.113:
	v_lshlrev_b16_e32 v21, 8, v20
	s_movk_i32 s0, 0xff
	v_bitop3_b16 v21, v41, v21, s0 bitop3:0xec
	v_lshlrev_b16_e32 v22, 8, v42
	v_lshlrev_b32_e32 v21, 16, v21
	v_or_b32_e32 v22, 1, v22
	v_or_b32_sdwa v21, v22, v21 dst_sel:DWORD dst_unused:UNUSED_PAD src0_sel:WORD_0 src1_sel:DWORD
	s_mov_b32 s40, 0x3020104
	s_and_b64 vcc, exec, s[4:5]
	s_mov_b64 s[0:1], 0
	s_cbranch_vccnz .LBB1443_117
; %bb.114:
	v_add_u32_e32 v22, -8, v26
	ds_read_b64 v[22:23], v22
	v_mul_lo_u32 v27, v11, s26
	v_mul_lo_u32 v28, v10, s27
	s_add_u32 s38, s26, -1
	s_addc_u32 s39, s27, -1
	s_waitcnt lgkmcnt(0)
	v_mul_lo_u32 v24, v23, s26
	v_mul_lo_u32 v25, v22, s27
	v_mad_u64_u32 v[22:23], s[0:1], v22, s26, 0
	v_add3_u32 v23, v23, v25, v24
	v_mad_u64_u32 v[24:25], s[0:1], v10, s26, 0
	v_add3_u32 v25, v25, v28, v27
	v_lshl_add_u64 v[22:23], v[22:23], 1, s[28:29]
	v_lshl_add_u64 v[24:25], v[24:25], 1, s[28:29]
	s_mov_b64 s[4:5], 0
                                        ; implicit-def: $sgpr14_sgpr15
.LBB1443_115:                           ; =>This Inner Loop Header: Depth=1
	global_load_ushort v27, v[22:23], off
	global_load_ushort v28, v[24:25], off
	s_add_u32 s0, s38, -1
	s_addc_u32 s1, s39, -1
	s_cmp_eq_u64 s[38:39], 0
	s_mov_b64 s[38:39], s[0:1]
	s_cselect_b64 s[42:43], -1, 0
	v_lshl_add_u64 v[22:23], v[22:23], 0, 2
	v_lshl_add_u64 v[24:25], v[24:25], 0, 2
	s_waitcnt vmcnt(0)
	v_cmp_ne_u16_e64 s[0:1], v27, v28
	s_or_b64 s[0:1], s[0:1], s[42:43]
	s_and_b64 s[0:1], exec, s[0:1]
	v_cmp_eq_u16_e32 vcc, v27, v28
	s_or_b64 s[4:5], s[0:1], s[4:5]
	s_andn2_b64 s[0:1], s[14:15], exec
	s_and_b64 s[14:15], vcc, exec
	s_or_b64 s[14:15], s[0:1], s[14:15]
	s_andn2_b64 exec, exec, s[4:5]
	s_cbranch_execnz .LBB1443_115
; %bb.116:
	s_or_b64 exec, exec, s[4:5]
	s_xor_b64 s[0:1], s[14:15], -1
.LBB1443_117:
	v_perm_b32 v22, v21, v21, s40
	s_or_b64 s[10:11], s[10:11], exec
.LBB1443_118:
	s_or_b64 exec, exec, s[12:13]
	s_branch .LBB1443_164
.LBB1443_119:
	v_add_u32_e32 v16, 6, v1
	v_cmp_gt_u32_e32 vcc, s50, v16
	s_mov_b64 s[12:13], 0
	s_mov_b64 s[4:5], 0
	s_and_saveexec_b64 s[14:15], vcc
	s_cbranch_execz .LBB1443_125
; %bb.120:
	s_andn2_b64 vcc, exec, s[6:7]
	s_mov_b64 s[0:1], 0
	s_cbranch_vccnz .LBB1443_124
; %bb.121:
	v_mul_lo_u32 v19, v5, s26
	s_waitcnt vmcnt(0) lgkmcnt(1)
	v_mul_lo_u32 v20, v4, s27
	v_mad_u64_u32 v[16:17], s[0:1], v4, s26, 0
	v_add3_u32 v17, v17, v20, v19
	v_mul_lo_u32 v19, v15, s26
	v_mul_lo_u32 v22, v14, s27
	v_mad_u64_u32 v[20:21], s[0:1], v14, s26, 0
	v_add3_u32 v21, v21, v22, v19
	s_add_u32 s40, s26, -1
	v_lshl_add_u64 v[16:17], v[16:17], 1, s[28:29]
	v_lshl_add_u64 v[20:21], v[20:21], 1, s[28:29]
	s_addc_u32 s41, s27, -1
                                        ; implicit-def: $sgpr38_sgpr39
.LBB1443_122:                           ; =>This Inner Loop Header: Depth=1
	global_load_ushort v19, v[16:17], off
	global_load_ushort v22, v[20:21], off
	s_add_u32 s0, s40, -1
	s_addc_u32 s1, s41, -1
	s_cmp_eq_u64 s[40:41], 0
	s_mov_b64 s[40:41], s[0:1]
	s_cselect_b64 s[42:43], -1, 0
	v_lshl_add_u64 v[16:17], v[16:17], 0, 2
	v_lshl_add_u64 v[20:21], v[20:21], 0, 2
	s_waitcnt vmcnt(0)
	v_cmp_ne_u16_e64 s[0:1], v19, v22
	s_or_b64 s[0:1], s[0:1], s[42:43]
	s_and_b64 s[0:1], exec, s[0:1]
	v_cmp_eq_u16_e32 vcc, v19, v22
	s_or_b64 s[4:5], s[0:1], s[4:5]
	s_andn2_b64 s[0:1], s[38:39], exec
	s_and_b64 s[38:39], vcc, exec
	s_or_b64 s[38:39], s[0:1], s[38:39]
	s_andn2_b64 exec, exec, s[4:5]
	s_cbranch_execnz .LBB1443_122
; %bb.123:
	s_or_b64 exec, exec, s[4:5]
	s_xor_b64 s[0:1], s[38:39], -1
.LBB1443_124:
	s_and_b64 s[4:5], s[0:1], exec
.LBB1443_125:
	s_or_b64 exec, exec, s[14:15]
	v_add_u32_e32 v16, 5, v1
	v_cmp_gt_u32_e32 vcc, s50, v16
	s_and_saveexec_b64 s[14:15], vcc
	s_cbranch_execz .LBB1443_131
; %bb.126:
	s_andn2_b64 vcc, exec, s[6:7]
	s_mov_b64 s[0:1], 0
	s_cbranch_vccnz .LBB1443_130
; %bb.127:
	v_mul_lo_u32 v19, v3, s26
	s_waitcnt vmcnt(0) lgkmcnt(1)
	v_mul_lo_u32 v20, v2, s27
	v_mad_u64_u32 v[16:17], s[0:1], v2, s26, 0
	v_add3_u32 v17, v17, v20, v19
	v_mul_lo_u32 v19, v5, s26
	v_mul_lo_u32 v22, v4, s27
	v_mad_u64_u32 v[20:21], s[0:1], v4, s26, 0
	v_add3_u32 v21, v21, v22, v19
	s_add_u32 s40, s26, -1
	v_lshl_add_u64 v[16:17], v[16:17], 1, s[28:29]
	v_lshl_add_u64 v[20:21], v[20:21], 1, s[28:29]
	s_addc_u32 s41, s27, -1
	s_mov_b64 s[12:13], 0
                                        ; implicit-def: $sgpr38_sgpr39
.LBB1443_128:                           ; =>This Inner Loop Header: Depth=1
	global_load_ushort v19, v[16:17], off
	global_load_ushort v22, v[20:21], off
	s_add_u32 s0, s40, -1
	s_addc_u32 s1, s41, -1
	s_cmp_eq_u64 s[40:41], 0
	s_mov_b64 s[40:41], s[0:1]
	s_cselect_b64 s[42:43], -1, 0
	v_lshl_add_u64 v[16:17], v[16:17], 0, 2
	v_lshl_add_u64 v[20:21], v[20:21], 0, 2
	s_waitcnt vmcnt(0)
	v_cmp_ne_u16_e64 s[0:1], v19, v22
	s_or_b64 s[0:1], s[0:1], s[42:43]
	s_and_b64 s[0:1], exec, s[0:1]
	v_cmp_eq_u16_e32 vcc, v19, v22
	s_or_b64 s[12:13], s[0:1], s[12:13]
	s_andn2_b64 s[0:1], s[38:39], exec
	s_and_b64 s[38:39], vcc, exec
	s_or_b64 s[38:39], s[0:1], s[38:39]
	s_andn2_b64 exec, exec, s[12:13]
	s_cbranch_execnz .LBB1443_128
; %bb.129:
	s_or_b64 exec, exec, s[12:13]
	s_xor_b64 s[0:1], s[38:39], -1
.LBB1443_130:
	s_and_b64 s[12:13], s[0:1], exec
.LBB1443_131:
	s_or_b64 exec, exec, s[14:15]
	v_add_u32_e32 v16, 4, v1
	v_cmp_gt_u32_e32 vcc, s50, v16
	s_mov_b64 s[14:15], 0
	s_mov_b64 s[38:39], 0
	s_and_saveexec_b64 s[40:41], vcc
	s_cbranch_execz .LBB1443_137
; %bb.132:
	s_andn2_b64 vcc, exec, s[6:7]
	s_mov_b64 s[0:1], 0
	s_cbranch_vccnz .LBB1443_136
; %bb.133:
	v_mul_lo_u32 v19, v9, s26
	s_waitcnt vmcnt(0) lgkmcnt(1)
	v_mul_lo_u32 v20, v8, s27
	v_mad_u64_u32 v[16:17], s[0:1], v8, s26, 0
	v_add3_u32 v17, v17, v20, v19
	v_mul_lo_u32 v19, v3, s26
	v_mul_lo_u32 v22, v2, s27
	v_mad_u64_u32 v[20:21], s[0:1], v2, s26, 0
	v_add3_u32 v21, v21, v22, v19
	s_add_u32 s44, s26, -1
	v_lshl_add_u64 v[16:17], v[16:17], 1, s[28:29]
	v_lshl_add_u64 v[20:21], v[20:21], 1, s[28:29]
	s_addc_u32 s45, s27, -1
                                        ; implicit-def: $sgpr42_sgpr43
.LBB1443_134:                           ; =>This Inner Loop Header: Depth=1
	global_load_ushort v19, v[16:17], off
	global_load_ushort v22, v[20:21], off
	s_add_u32 s0, s44, -1
	s_addc_u32 s1, s45, -1
	s_cmp_eq_u64 s[44:45], 0
	s_mov_b64 s[44:45], s[0:1]
	s_cselect_b64 s[46:47], -1, 0
	v_lshl_add_u64 v[16:17], v[16:17], 0, 2
	v_lshl_add_u64 v[20:21], v[20:21], 0, 2
	s_waitcnt vmcnt(0)
	v_cmp_ne_u16_e64 s[0:1], v19, v22
	s_or_b64 s[0:1], s[0:1], s[46:47]
	s_and_b64 s[0:1], exec, s[0:1]
	v_cmp_eq_u16_e32 vcc, v19, v22
	s_or_b64 s[38:39], s[0:1], s[38:39]
	s_andn2_b64 s[0:1], s[42:43], exec
	s_and_b64 s[42:43], vcc, exec
	s_or_b64 s[42:43], s[0:1], s[42:43]
	s_andn2_b64 exec, exec, s[38:39]
	s_cbranch_execnz .LBB1443_134
; %bb.135:
	s_or_b64 exec, exec, s[38:39]
	s_xor_b64 s[0:1], s[42:43], -1
.LBB1443_136:
	s_and_b64 s[38:39], s[0:1], exec
.LBB1443_137:
	s_or_b64 exec, exec, s[40:41]
	v_add_u32_e32 v16, 3, v1
	v_cmp_gt_u32_e32 vcc, s50, v16
	s_and_saveexec_b64 s[40:41], vcc
	s_cbranch_execz .LBB1443_143
; %bb.138:
	s_andn2_b64 vcc, exec, s[6:7]
	s_mov_b64 s[0:1], 0
	s_cbranch_vccnz .LBB1443_142
; %bb.139:
	v_mul_lo_u32 v19, v7, s26
	s_waitcnt vmcnt(0) lgkmcnt(1)
	v_mul_lo_u32 v20, v6, s27
	v_mad_u64_u32 v[16:17], s[0:1], v6, s26, 0
	v_add3_u32 v17, v17, v20, v19
	v_mul_lo_u32 v19, v9, s26
	v_mul_lo_u32 v22, v8, s27
	v_mad_u64_u32 v[20:21], s[0:1], v8, s26, 0
	v_add3_u32 v21, v21, v22, v19
	s_add_u32 s44, s26, -1
	v_lshl_add_u64 v[16:17], v[16:17], 1, s[28:29]
	v_lshl_add_u64 v[20:21], v[20:21], 1, s[28:29]
	s_addc_u32 s45, s27, -1
	s_mov_b64 s[14:15], 0
                                        ; implicit-def: $sgpr42_sgpr43
.LBB1443_140:                           ; =>This Inner Loop Header: Depth=1
	global_load_ushort v19, v[16:17], off
	global_load_ushort v22, v[20:21], off
	s_add_u32 s0, s44, -1
	s_addc_u32 s1, s45, -1
	s_cmp_eq_u64 s[44:45], 0
	s_mov_b64 s[44:45], s[0:1]
	s_cselect_b64 s[46:47], -1, 0
	v_lshl_add_u64 v[16:17], v[16:17], 0, 2
	v_lshl_add_u64 v[20:21], v[20:21], 0, 2
	s_waitcnt vmcnt(0)
	v_cmp_ne_u16_e64 s[0:1], v19, v22
	s_or_b64 s[0:1], s[0:1], s[46:47]
	s_and_b64 s[0:1], exec, s[0:1]
	v_cmp_eq_u16_e32 vcc, v19, v22
	s_or_b64 s[14:15], s[0:1], s[14:15]
	s_andn2_b64 s[0:1], s[42:43], exec
	s_and_b64 s[42:43], vcc, exec
	s_or_b64 s[42:43], s[0:1], s[42:43]
	s_andn2_b64 exec, exec, s[14:15]
	s_cbranch_execnz .LBB1443_140
; %bb.141:
	s_or_b64 exec, exec, s[14:15]
	s_xor_b64 s[0:1], s[42:43], -1
.LBB1443_142:
	s_and_b64 s[14:15], s[0:1], exec
.LBB1443_143:
	s_or_b64 exec, exec, s[40:41]
	v_add_u32_e32 v16, 2, v1
	v_cmp_gt_u32_e32 vcc, s50, v16
	s_mov_b64 s[40:41], 0
	s_mov_b64 s[42:43], 0
	s_and_saveexec_b64 s[44:45], vcc
	s_cbranch_execz .LBB1443_149
; %bb.144:
	s_andn2_b64 vcc, exec, s[6:7]
	s_mov_b64 s[0:1], 0
	s_cbranch_vccnz .LBB1443_148
; %bb.145:
	v_mul_lo_u32 v19, v13, s26
	s_waitcnt vmcnt(0) lgkmcnt(1)
	v_mul_lo_u32 v20, v12, s27
	v_mad_u64_u32 v[16:17], s[0:1], v12, s26, 0
	v_add3_u32 v17, v17, v20, v19
	v_mul_lo_u32 v19, v7, s26
	v_mul_lo_u32 v22, v6, s27
	v_mad_u64_u32 v[20:21], s[0:1], v6, s26, 0
	v_add3_u32 v21, v21, v22, v19
	s_add_u32 s48, s26, -1
	v_lshl_add_u64 v[16:17], v[16:17], 1, s[28:29]
	v_lshl_add_u64 v[20:21], v[20:21], 1, s[28:29]
	s_addc_u32 s49, s27, -1
                                        ; implicit-def: $sgpr46_sgpr47
.LBB1443_146:                           ; =>This Inner Loop Header: Depth=1
	global_load_ushort v19, v[16:17], off
	global_load_ushort v22, v[20:21], off
	s_add_u32 s0, s48, -1
	s_addc_u32 s1, s49, -1
	s_cmp_eq_u64 s[48:49], 0
	s_mov_b64 s[48:49], s[0:1]
	s_cselect_b64 s[52:53], -1, 0
	v_lshl_add_u64 v[16:17], v[16:17], 0, 2
	v_lshl_add_u64 v[20:21], v[20:21], 0, 2
	s_waitcnt vmcnt(0)
	v_cmp_ne_u16_e64 s[0:1], v19, v22
	s_or_b64 s[0:1], s[0:1], s[52:53]
	s_and_b64 s[0:1], exec, s[0:1]
	v_cmp_eq_u16_e32 vcc, v19, v22
	s_or_b64 s[42:43], s[0:1], s[42:43]
	s_andn2_b64 s[0:1], s[46:47], exec
	s_and_b64 s[46:47], vcc, exec
	s_or_b64 s[46:47], s[0:1], s[46:47]
	s_andn2_b64 exec, exec, s[42:43]
	s_cbranch_execnz .LBB1443_146
; %bb.147:
	s_or_b64 exec, exec, s[42:43]
	s_xor_b64 s[0:1], s[46:47], -1
.LBB1443_148:
	s_and_b64 s[42:43], s[0:1], exec
.LBB1443_149:
	s_or_b64 exec, exec, s[44:45]
	v_add_u32_e32 v16, 1, v1
	v_cmp_gt_u32_e32 vcc, s50, v16
	s_and_saveexec_b64 s[44:45], vcc
	s_cbranch_execz .LBB1443_155
; %bb.150:
	s_andn2_b64 vcc, exec, s[6:7]
	s_mov_b64 s[0:1], 0
	s_cbranch_vccnz .LBB1443_154
; %bb.151:
	v_mul_lo_u32 v19, v11, s26
	s_waitcnt vmcnt(0) lgkmcnt(1)
	v_mul_lo_u32 v20, v10, s27
	v_mad_u64_u32 v[16:17], s[0:1], v10, s26, 0
	v_add3_u32 v17, v17, v20, v19
	v_mul_lo_u32 v19, v13, s26
	v_mul_lo_u32 v22, v12, s27
	v_mad_u64_u32 v[20:21], s[0:1], v12, s26, 0
	v_add3_u32 v21, v21, v22, v19
	s_add_u32 s48, s26, -1
	v_lshl_add_u64 v[16:17], v[16:17], 1, s[28:29]
	v_lshl_add_u64 v[20:21], v[20:21], 1, s[28:29]
	s_addc_u32 s49, s27, -1
	s_mov_b64 s[40:41], 0
                                        ; implicit-def: $sgpr46_sgpr47
.LBB1443_152:                           ; =>This Inner Loop Header: Depth=1
	global_load_ushort v19, v[16:17], off
	global_load_ushort v22, v[20:21], off
	s_add_u32 s0, s48, -1
	s_addc_u32 s1, s49, -1
	s_cmp_eq_u64 s[48:49], 0
	s_mov_b64 s[48:49], s[0:1]
	s_cselect_b64 s[52:53], -1, 0
	v_lshl_add_u64 v[16:17], v[16:17], 0, 2
	v_lshl_add_u64 v[20:21], v[20:21], 0, 2
	s_waitcnt vmcnt(0)
	v_cmp_ne_u16_e64 s[0:1], v19, v22
	s_or_b64 s[0:1], s[0:1], s[52:53]
	s_and_b64 s[0:1], exec, s[0:1]
	v_cmp_eq_u16_e32 vcc, v19, v22
	s_or_b64 s[40:41], s[0:1], s[40:41]
	s_andn2_b64 s[0:1], s[46:47], exec
	s_and_b64 s[46:47], vcc, exec
	s_or_b64 s[46:47], s[0:1], s[46:47]
	s_andn2_b64 exec, exec, s[40:41]
	s_cbranch_execnz .LBB1443_152
; %bb.153:
	s_or_b64 exec, exec, s[40:41]
	s_xor_b64 s[0:1], s[46:47], -1
.LBB1443_154:
	s_and_b64 s[40:41], s[0:1], exec
.LBB1443_155:
	s_or_b64 exec, exec, s[44:45]
	v_cndmask_b32_e64 v17, 0, 1, s[38:39]
	v_cndmask_b32_e64 v40, 0, 1, s[12:13]
	;; [unrolled: 1-line block ×4, first 2 shown]
	s_waitcnt vmcnt(0) lgkmcnt(1)
	v_cndmask_b32_e64 v20, 0, 1, s[14:15]
	v_cndmask_b32_e64 v42, 0, 1, s[40:41]
	v_mov_b32_e32 v16, 1
	s_waitcnt lgkmcnt(0)
	s_barrier
                                        ; implicit-def: $sgpr0_sgpr1
                                        ; implicit-def: $vgpr22
	s_and_saveexec_b64 s[4:5], s[2:3]
	s_cbranch_execz .LBB1443_163
; %bb.156:
	v_lshlrev_b16_e32 v21, 8, v42
	v_lshlrev_b16_e32 v22, 8, v20
	v_or_b32_e32 v21, 1, v21
	v_or_b32_sdwa v22, v41, v22 dst_sel:WORD_1 dst_unused:UNUSED_PAD src0_sel:DWORD src1_sel:DWORD
	v_cmp_gt_u32_e32 vcc, s50, v1
	v_or_b32_sdwa v21, v21, v22 dst_sel:DWORD dst_unused:UNUSED_PAD src0_sel:WORD_0 src1_sel:DWORD
	s_mov_b32 s38, 0x3020104
	s_mov_b64 s[0:1], 0
	s_and_saveexec_b64 s[2:3], vcc
	s_cbranch_execz .LBB1443_162
; %bb.157:
	s_andn2_b64 vcc, exec, s[6:7]
	s_cbranch_vccnz .LBB1443_161
; %bb.158:
	v_add_u32_e32 v22, -8, v26
	ds_read_b64 v[22:23], v22
	v_mul_lo_u32 v26, v11, s26
	v_mul_lo_u32 v27, v10, s27
	s_add_u32 s14, s26, -1
	s_addc_u32 s15, s27, -1
	s_waitcnt lgkmcnt(0)
	v_mul_lo_u32 v24, v23, s26
	v_mul_lo_u32 v25, v22, s27
	v_mad_u64_u32 v[22:23], s[0:1], v22, s26, 0
	v_add3_u32 v23, v23, v25, v24
	v_mad_u64_u32 v[24:25], s[0:1], v10, s26, 0
	v_add3_u32 v25, v25, v27, v26
	v_lshl_add_u64 v[22:23], v[22:23], 1, s[28:29]
	v_lshl_add_u64 v[24:25], v[24:25], 1, s[28:29]
	s_mov_b64 s[6:7], 0
                                        ; implicit-def: $sgpr12_sgpr13
.LBB1443_159:                           ; =>This Inner Loop Header: Depth=1
	global_load_ushort v26, v[22:23], off
	global_load_ushort v27, v[24:25], off
	s_add_u32 s0, s14, -1
	s_addc_u32 s1, s15, -1
	s_cmp_eq_u64 s[14:15], 0
	s_mov_b64 s[14:15], s[0:1]
	s_cselect_b64 s[26:27], -1, 0
	v_lshl_add_u64 v[22:23], v[22:23], 0, 2
	v_lshl_add_u64 v[24:25], v[24:25], 0, 2
	s_waitcnt vmcnt(0)
	v_cmp_ne_u16_e64 s[0:1], v26, v27
	s_or_b64 s[0:1], s[0:1], s[26:27]
	s_and_b64 s[0:1], exec, s[0:1]
	v_cmp_eq_u16_e32 vcc, v26, v27
	s_or_b64 s[6:7], s[0:1], s[6:7]
	s_andn2_b64 s[0:1], s[12:13], exec
	s_and_b64 s[12:13], vcc, exec
	s_or_b64 s[12:13], s[0:1], s[12:13]
	s_andn2_b64 exec, exec, s[6:7]
	s_cbranch_execnz .LBB1443_159
; %bb.160:
	s_or_b64 exec, exec, s[6:7]
	s_xor_b64 s[0:1], s[12:13], -1
.LBB1443_161:
	s_and_b64 s[0:1], s[0:1], exec
.LBB1443_162:
	s_or_b64 exec, exec, s[2:3]
	v_perm_b32 v22, v21, v21, s38
	s_or_b64 s[10:11], s[10:11], exec
.LBB1443_163:
	s_or_b64 exec, exec, s[4:5]
.LBB1443_164:
	s_and_saveexec_b64 s[2:3], s[10:11]
	s_cbranch_execz .LBB1443_166
; %bb.165:
	s_waitcnt vmcnt(0) lgkmcnt(0)
	v_lshrrev_b32_e32 v20, 24, v22
	v_lshrrev_b32_e32 v41, 16, v22
	v_lshrrev_b32_e32 v42, 8, v22
	v_cndmask_b32_e64 v16, 0, 1, s[0:1]
.LBB1443_166:
	s_or_b64 exec, exec, s[2:3]
	s_andn2_b64 vcc, exec, s[8:9]
	s_cbranch_vccnz .LBB1443_170
; %bb.167:
	s_mov_b32 s0, 0xc0c0004
	s_waitcnt vmcnt(0) lgkmcnt(0)
	v_perm_b32 v20, v41, v20, s0
	v_perm_b32 v16, v16, v42, s0
	v_lshlrev_b32_e32 v20, 16, v20
	v_or_b32_e32 v16, v16, v20
	v_cmp_gt_u32_e32 vcc, s50, v1
	v_add_u32_e32 v22, 1, v1
	v_perm_b32 v17, v17, v40, s0
	v_cndmask_b32_e32 v20, v20, v16, vcc
	v_and_b32_e32 v20, 0xffff00ff, v20
	v_cmp_gt_u32_e32 vcc, s50, v22
	v_add_u32_e32 v22, 2, v1
	s_mov_b32 s0, 0x40c0100
	v_cndmask_b32_e32 v20, v20, v16, vcc
	v_lshrrev_b32_e32 v23, 24, v20
	v_and_b32_e32 v19, 0xff, v19
	v_perm_b32 v20, v23, v20, s0
	v_cmp_gt_u32_e32 vcc, s50, v22
	v_lshlrev_b32_e32 v19, 16, v19
	v_add_u32_e32 v22, 3, v1
	v_cndmask_b32_e32 v20, v20, v16, vcc
	s_mov_b32 s0, 0xffff00
	v_or_b32_e32 v21, v17, v19
	v_and_b32_e32 v20, 0xffffff, v20
	v_cmp_gt_u32_e32 vcc, s50, v22
	v_bitop3_b32 v17, v17, s0, v19 bitop3:0xc8
	v_add_u32_e32 v19, 4, v1
	v_cndmask_b32_e32 v20, v20, v16, vcc
	v_cmp_gt_u32_e32 vcc, s50, v19
	v_add_u32_e32 v19, 5, v1
	v_cmp_gt_u32_e64 s[0:1], s50, v19
	v_cndmask_b32_e32 v17, v17, v21, vcc
	v_and_b32_e32 v17, 0xffff00ff, v17
	s_or_b64 vcc, s[0:1], vcc
	v_cndmask_b32_e64 v17, v17, v21, s[0:1]
	v_cndmask_b32_e32 v16, v20, v16, vcc
	v_add_u32_e32 v1, 6, v1
	v_lshrrev_b32_e32 v41, 16, v16
	v_lshrrev_b32_e32 v42, 8, v16
	v_lshrrev_b64 v[20:21], 24, v[16:17]
	v_lshrrev_b32_e32 v19, 16, v17
	v_lshrrev_b32_e32 v40, 8, v17
	v_cmp_le_u32_e32 vcc, s50, v1
	s_and_saveexec_b64 s[0:1], vcc
; %bb.168:
	v_mov_b32_e32 v19, 0
; %bb.169:
	s_or_b64 exec, exec, s[0:1]
.LBB1443_170:
	v_and_b32_e32 v1, 0xff, v16
	s_waitcnt vmcnt(0) lgkmcnt(0)
	v_and_b32_e32 v21, 0xff, v42
	v_and_b32_e32 v33, 0xff, v41
	;; [unrolled: 1-line block ×4, first 2 shown]
	v_add3_u32 v23, v21, v1, v33
	v_and_b32_e32 v39, 0xff, v40
	v_and_b32_e32 v22, 0xff, v19
	v_add3_u32 v23, v23, v35, v37
	v_add3_u32 v45, v23, v39, v22
	v_mbcnt_lo_u32_b32 v22, -1, 0
	v_mbcnt_hi_u32_b32 v43, -1, v22
	v_and_b32_e32 v22, 15, v43
	v_cmp_eq_u32_e64 s[14:15], 0, v22
	v_cmp_lt_u32_e64 s[12:13], 1, v22
	v_cmp_lt_u32_e64 s[10:11], 3, v22
	;; [unrolled: 1-line block ×3, first 2 shown]
	v_and_b32_e32 v22, 16, v43
	v_cmp_eq_u32_e64 s[6:7], 0, v22
	v_or_b32_e32 v22, 63, v0
	v_cmp_lt_u32_e64 s[2:3], 31, v43
	v_lshrrev_b32_e32 v44, 6, v0
	v_cmp_eq_u32_e64 s[4:5], v0, v22
	s_and_b64 vcc, exec, s[16:17]
	s_barrier
	s_cbranch_vccz .LBB1443_192
; %bb.171:
	v_mov_b32_dpp v22, v45 row_shr:1 row_mask:0xf bank_mask:0xf
	v_cndmask_b32_e64 v22, v22, 0, s[14:15]
	v_add_u32_e32 v22, v22, v45
	s_nop 1
	v_mov_b32_dpp v23, v22 row_shr:2 row_mask:0xf bank_mask:0xf
	v_cndmask_b32_e64 v23, 0, v23, s[12:13]
	v_add_u32_e32 v22, v22, v23
	s_nop 1
	;; [unrolled: 4-line block ×4, first 2 shown]
	v_mov_b32_dpp v23, v22 row_bcast:15 row_mask:0xf bank_mask:0xf
	v_cndmask_b32_e64 v23, v23, 0, s[6:7]
	v_add_u32_e32 v22, v22, v23
	s_nop 1
	v_mov_b32_dpp v23, v22 row_bcast:31 row_mask:0xf bank_mask:0xf
	v_cndmask_b32_e64 v23, 0, v23, s[2:3]
	v_add_u32_e32 v22, v22, v23
	s_and_saveexec_b64 s[0:1], s[4:5]
; %bb.172:
	v_lshlrev_b32_e32 v23, 2, v44
	ds_write_b32 v23, v22
; %bb.173:
	s_or_b64 exec, exec, s[0:1]
	v_cmp_gt_u32_e32 vcc, 8, v0
	s_waitcnt lgkmcnt(0)
	s_barrier
	s_and_saveexec_b64 s[0:1], vcc
	s_cbranch_execz .LBB1443_175
; %bb.174:
	v_lshlrev_b32_e32 v23, 2, v0
	ds_read_b32 v24, v23
	v_and_b32_e32 v25, 7, v43
	v_cmp_ne_u32_e32 vcc, 0, v25
	s_waitcnt lgkmcnt(0)
	v_mov_b32_dpp v26, v24 row_shr:1 row_mask:0xf bank_mask:0xf
	v_cndmask_b32_e32 v26, 0, v26, vcc
	v_add_u32_e32 v24, v26, v24
	v_cmp_lt_u32_e32 vcc, 1, v25
	s_nop 0
	v_mov_b32_dpp v26, v24 row_shr:2 row_mask:0xf bank_mask:0xf
	v_cndmask_b32_e32 v26, 0, v26, vcc
	v_add_u32_e32 v24, v24, v26
	v_cmp_lt_u32_e32 vcc, 3, v25
	s_nop 0
	v_mov_b32_dpp v26, v24 row_shr:4 row_mask:0xf bank_mask:0xf
	v_cndmask_b32_e32 v25, 0, v26, vcc
	v_add_u32_e32 v24, v24, v25
	ds_write_b32 v23, v24
.LBB1443_175:
	s_or_b64 exec, exec, s[0:1]
	v_cmp_gt_u32_e32 vcc, 64, v0
	v_cmp_lt_u32_e64 s[0:1], 63, v0
	s_waitcnt lgkmcnt(0)
	s_barrier
                                        ; implicit-def: $vgpr32
	s_and_saveexec_b64 s[16:17], s[0:1]
	s_cbranch_execz .LBB1443_177
; %bb.176:
	v_lshl_add_u32 v23, v44, 2, -4
	ds_read_b32 v32, v23
	s_waitcnt lgkmcnt(0)
	v_add_u32_e32 v22, v32, v22
.LBB1443_177:
	s_or_b64 exec, exec, s[16:17]
	v_subrev_co_u32_e64 v23, s[16:17], 1, v43
	v_and_b32_e32 v24, 64, v43
	v_cmp_lt_i32_e64 s[0:1], v23, v24
	s_nop 1
	v_cndmask_b32_e64 v23, v23, v43, s[0:1]
	v_lshlrev_b32_e32 v23, 2, v23
	ds_bpermute_b32 v34, v23, v22
	s_and_saveexec_b64 s[0:1], vcc
	s_cbranch_execz .LBB1443_197
; %bb.178:
	v_mov_b32_e32 v29, 0
	ds_read_b32 v22, v29 offset:28
	s_and_saveexec_b64 s[26:27], s[16:17]
	s_cbranch_execz .LBB1443_180
; %bb.179:
	s_add_i32 s28, s33, 64
	s_mov_b32 s29, 0
	s_lshl_b64 s[28:29], s[28:29], 3
	s_add_u32 s28, s30, s28
	v_mov_b32_e32 v23, 1
	s_addc_u32 s29, s31, s29
	s_waitcnt lgkmcnt(0)
	global_store_dwordx2 v29, v[22:23], s[28:29] sc1
.LBB1443_180:
	s_or_b64 exec, exec, s[26:27]
	v_xad_u32 v24, v43, -1, s33
	v_add_u32_e32 v28, 64, v24
	v_lshl_add_u64 v[30:31], v[28:29], 3, s[30:31]
	global_load_dwordx2 v[26:27], v[30:31], off sc1
	s_waitcnt vmcnt(0)
	v_cmp_eq_u16_sdwa s[28:29], v27, v29 src0_sel:BYTE_0 src1_sel:DWORD
	s_and_saveexec_b64 s[26:27], s[28:29]
	s_cbranch_execz .LBB1443_184
; %bb.181:
	s_mov_b64 s[28:29], 0
	v_mov_b32_e32 v23, 0
.LBB1443_182:                           ; =>This Inner Loop Header: Depth=1
	global_load_dwordx2 v[26:27], v[30:31], off sc1
	s_waitcnt vmcnt(0)
	v_cmp_ne_u16_sdwa s[38:39], v27, v23 src0_sel:BYTE_0 src1_sel:DWORD
	s_or_b64 s[28:29], s[38:39], s[28:29]
	s_andn2_b64 exec, exec, s[28:29]
	s_cbranch_execnz .LBB1443_182
; %bb.183:
	s_or_b64 exec, exec, s[28:29]
.LBB1443_184:
	s_or_b64 exec, exec, s[26:27]
	v_and_b32_e32 v38, 63, v43
	v_mov_b32_e32 v36, 2
	v_cmp_ne_u32_e32 vcc, 63, v38
	v_cmp_eq_u16_sdwa s[26:27], v27, v36 src0_sel:BYTE_0 src1_sel:DWORD
	v_lshlrev_b64 v[28:29], v43, -1
	v_addc_co_u32_e32 v30, vcc, 0, v43, vcc
	v_and_b32_e32 v23, s27, v29
	v_lshlrev_b32_e32 v46, 2, v30
	v_or_b32_e32 v23, 0x80000000, v23
	ds_bpermute_b32 v30, v46, v26
	v_and_b32_e32 v25, s26, v28
	v_ffbl_b32_e32 v23, v23
	v_add_u32_e32 v23, 32, v23
	v_ffbl_b32_e32 v25, v25
	v_min_u32_e32 v23, v25, v23
	v_cmp_lt_u32_e32 vcc, v38, v23
	v_add_u32_e32 v48, 2, v38
	v_add_u32_e32 v50, 4, v38
	s_waitcnt lgkmcnt(0)
	v_cndmask_b32_e32 v25, 0, v30, vcc
	v_cmp_gt_u32_e32 vcc, 62, v38
	v_add_u32_e32 v25, v25, v26
	v_add_u32_e32 v52, 8, v38
	v_cndmask_b32_e64 v26, 0, 2, vcc
	v_add_lshl_u32 v47, v26, v43, 2
	ds_bpermute_b32 v26, v47, v25
	v_cmp_le_u32_e32 vcc, v48, v23
	v_add_u32_e32 v54, 16, v38
	v_add_u32_e32 v56, 32, v38
	s_waitcnt lgkmcnt(0)
	v_cndmask_b32_e32 v26, 0, v26, vcc
	v_cmp_gt_u32_e32 vcc, 60, v38
	v_add_u32_e32 v25, v25, v26
	s_nop 0
	v_cndmask_b32_e64 v26, 0, 4, vcc
	v_add_lshl_u32 v49, v26, v43, 2
	ds_bpermute_b32 v26, v49, v25
	v_cmp_le_u32_e32 vcc, v50, v23
	s_waitcnt lgkmcnt(0)
	s_nop 0
	v_cndmask_b32_e32 v26, 0, v26, vcc
	v_cmp_gt_u32_e32 vcc, 56, v38
	v_add_u32_e32 v25, v25, v26
	s_nop 0
	v_cndmask_b32_e64 v26, 0, 8, vcc
	v_add_lshl_u32 v51, v26, v43, 2
	ds_bpermute_b32 v26, v51, v25
	v_cmp_le_u32_e32 vcc, v52, v23
	s_waitcnt lgkmcnt(0)
	s_nop 0
	v_cndmask_b32_e32 v26, 0, v26, vcc
	v_cmp_gt_u32_e32 vcc, 48, v38
	v_add_u32_e32 v25, v25, v26
	s_nop 0
	v_cndmask_b32_e64 v26, 0, 16, vcc
	v_add_lshl_u32 v53, v26, v43, 2
	ds_bpermute_b32 v26, v53, v25
	v_cmp_le_u32_e32 vcc, v54, v23
	s_waitcnt lgkmcnt(0)
	s_nop 0
	v_cndmask_b32_e32 v26, 0, v26, vcc
	v_add_u32_e32 v25, v25, v26
	v_mov_b32_e32 v26, 0x80
	v_lshl_or_b32 v55, v43, 2, v26
	ds_bpermute_b32 v26, v55, v25
	v_cmp_le_u32_e32 vcc, v56, v23
	s_waitcnt lgkmcnt(0)
	s_nop 0
	v_cndmask_b32_e32 v23, 0, v26, vcc
	v_add_u32_e32 v26, v25, v23
	v_mov_b32_e32 v25, 0
	s_branch .LBB1443_187
.LBB1443_185:                           ;   in Loop: Header=BB1443_187 Depth=1
	s_or_b64 exec, exec, s[26:27]
	v_cmp_eq_u16_sdwa s[26:27], v27, v36 src0_sel:BYTE_0 src1_sel:DWORD
	ds_bpermute_b32 v57, v46, v26
	v_subrev_u32_e32 v24, 64, v24
	v_and_b32_e32 v30, s27, v29
	v_or_b32_e32 v30, 0x80000000, v30
	v_and_b32_e32 v31, s26, v28
	v_ffbl_b32_e32 v30, v30
	v_add_u32_e32 v30, 32, v30
	v_ffbl_b32_e32 v31, v31
	v_min_u32_e32 v30, v31, v30
	v_cmp_lt_u32_e32 vcc, v38, v30
	s_mov_b64 s[26:27], 0
	s_waitcnt lgkmcnt(0)
	v_cndmask_b32_e32 v31, 0, v57, vcc
	v_add_u32_e32 v26, v31, v26
	ds_bpermute_b32 v31, v47, v26
	v_cmp_le_u32_e32 vcc, v48, v30
	s_waitcnt lgkmcnt(0)
	s_nop 0
	v_cndmask_b32_e32 v31, 0, v31, vcc
	v_add_u32_e32 v26, v26, v31
	ds_bpermute_b32 v31, v49, v26
	v_cmp_le_u32_e32 vcc, v50, v30
	s_waitcnt lgkmcnt(0)
	s_nop 0
	;; [unrolled: 6-line block ×5, first 2 shown]
	v_cndmask_b32_e32 v30, 0, v31, vcc
	v_add3_u32 v26, v30, v23, v26
.LBB1443_186:                           ;   in Loop: Header=BB1443_187 Depth=1
	s_and_b64 vcc, exec, s[26:27]
	s_cbranch_vccnz .LBB1443_193
.LBB1443_187:                           ; =>This Loop Header: Depth=1
                                        ;     Child Loop BB1443_190 Depth 2
	v_cmp_ne_u16_sdwa s[26:27], v27, v36 src0_sel:BYTE_0 src1_sel:DWORD
	v_mov_b32_e32 v23, v26
	s_cmp_lg_u64 s[26:27], exec
	s_mov_b64 s[26:27], -1
                                        ; implicit-def: $vgpr26
                                        ; implicit-def: $vgpr27
	s_cbranch_scc1 .LBB1443_186
; %bb.188:                              ;   in Loop: Header=BB1443_187 Depth=1
	v_lshl_add_u64 v[30:31], v[24:25], 3, s[30:31]
	global_load_dwordx2 v[26:27], v[30:31], off sc1
	s_waitcnt vmcnt(0)
	v_cmp_eq_u16_sdwa s[28:29], v27, v25 src0_sel:BYTE_0 src1_sel:DWORD
	s_and_saveexec_b64 s[26:27], s[28:29]
	s_cbranch_execz .LBB1443_185
; %bb.189:                              ;   in Loop: Header=BB1443_187 Depth=1
	s_mov_b64 s[28:29], 0
.LBB1443_190:                           ;   Parent Loop BB1443_187 Depth=1
                                        ; =>  This Inner Loop Header: Depth=2
	global_load_dwordx2 v[26:27], v[30:31], off sc1
	s_waitcnt vmcnt(0)
	v_cmp_ne_u16_sdwa s[38:39], v27, v25 src0_sel:BYTE_0 src1_sel:DWORD
	s_or_b64 s[28:29], s[38:39], s[28:29]
	s_andn2_b64 exec, exec, s[28:29]
	s_cbranch_execnz .LBB1443_190
; %bb.191:                              ;   in Loop: Header=BB1443_187 Depth=1
	s_or_b64 exec, exec, s[28:29]
	s_branch .LBB1443_185
.LBB1443_192:
                                        ; implicit-def: $vgpr26
                                        ; implicit-def: $vgpr28
                                        ; implicit-def: $vgpr30
                                        ; implicit-def: $vgpr32
                                        ; implicit-def: $vgpr34
                                        ; implicit-def: $vgpr36
                                        ; implicit-def: $vgpr38
                                        ; implicit-def: $vgpr24
                                        ; implicit-def: $vgpr22
	s_cbranch_execnz .LBB1443_198
	s_branch .LBB1443_207
.LBB1443_193:
	s_and_saveexec_b64 s[26:27], s[16:17]
	s_cbranch_execz .LBB1443_195
; %bb.194:
	s_add_i32 s28, s33, 64
	s_mov_b32 s29, 0
	s_lshl_b64 s[28:29], s[28:29], 3
	s_add_u32 s28, s30, s28
	v_add_u32_e32 v24, v23, v22
	v_mov_b32_e32 v25, 2
	s_addc_u32 s29, s31, s29
	v_mov_b32_e32 v26, 0
	global_store_dwordx2 v26, v[24:25], s[28:29] sc1
	ds_write_b64 v26, v[22:23] offset:28672
.LBB1443_195:
	s_or_b64 exec, exec, s[26:27]
	s_and_b64 exec, exec, s[18:19]
; %bb.196:
	v_mov_b32_e32 v22, 0
	ds_write_b32 v22, v23 offset:28
.LBB1443_197:
	s_or_b64 exec, exec, s[0:1]
	v_mov_b32_e32 v22, 0
	s_waitcnt lgkmcnt(0)
	s_barrier
	ds_read_b32 v23, v22 offset:28
	v_cndmask_b32_e64 v24, v34, v32, s[16:17]
	v_cndmask_b32_e64 v24, v24, 0, s[18:19]
	s_waitcnt lgkmcnt(0)
	s_barrier
	v_add_u32_e32 v38, v23, v24
	v_add_u32_e32 v36, v38, v1
	ds_read_b64 v[22:23], v22 offset:28672
	v_add_u32_e32 v34, v36, v21
	v_add_u32_e32 v32, v34, v33
	;; [unrolled: 1-line block ×5, first 2 shown]
	s_waitcnt lgkmcnt(0)
	v_mov_b32_e32 v24, v23
	s_branch .LBB1443_207
.LBB1443_198:
	v_mov_b32_dpp v22, v45 row_shr:1 row_mask:0xf bank_mask:0xf
	v_cndmask_b32_e64 v22, v22, 0, s[14:15]
	v_add_u32_e32 v22, v22, v45
	s_nop 1
	v_mov_b32_dpp v23, v22 row_shr:2 row_mask:0xf bank_mask:0xf
	v_cndmask_b32_e64 v23, 0, v23, s[12:13]
	v_add_u32_e32 v22, v22, v23
	s_nop 1
	;; [unrolled: 4-line block ×4, first 2 shown]
	v_mov_b32_dpp v23, v22 row_bcast:15 row_mask:0xf bank_mask:0xf
	v_cndmask_b32_e64 v23, v23, 0, s[6:7]
	v_add_u32_e32 v22, v22, v23
	s_nop 1
	v_mov_b32_dpp v23, v22 row_bcast:31 row_mask:0xf bank_mask:0xf
	v_cndmask_b32_e64 v23, 0, v23, s[2:3]
	v_add_u32_e32 v22, v22, v23
	s_and_saveexec_b64 s[0:1], s[4:5]
; %bb.199:
	v_lshlrev_b32_e32 v23, 2, v44
	ds_write_b32 v23, v22
; %bb.200:
	s_or_b64 exec, exec, s[0:1]
	v_cmp_gt_u32_e32 vcc, 8, v0
	s_waitcnt lgkmcnt(0)
	s_barrier
	s_and_saveexec_b64 s[0:1], vcc
	s_cbranch_execz .LBB1443_202
; %bb.201:
	v_lshlrev_b32_e32 v23, 2, v0
	ds_read_b32 v24, v23
	v_and_b32_e32 v25, 7, v43
	v_cmp_ne_u32_e32 vcc, 0, v25
	s_waitcnt lgkmcnt(0)
	v_mov_b32_dpp v26, v24 row_shr:1 row_mask:0xf bank_mask:0xf
	v_cndmask_b32_e32 v26, 0, v26, vcc
	v_add_u32_e32 v24, v26, v24
	v_cmp_lt_u32_e32 vcc, 1, v25
	s_nop 0
	v_mov_b32_dpp v26, v24 row_shr:2 row_mask:0xf bank_mask:0xf
	v_cndmask_b32_e32 v26, 0, v26, vcc
	v_add_u32_e32 v24, v24, v26
	v_cmp_lt_u32_e32 vcc, 3, v25
	s_nop 0
	v_mov_b32_dpp v26, v24 row_shr:4 row_mask:0xf bank_mask:0xf
	v_cndmask_b32_e32 v25, 0, v26, vcc
	v_add_u32_e32 v24, v24, v25
	ds_write_b32 v23, v24
.LBB1443_202:
	s_or_b64 exec, exec, s[0:1]
	v_cmp_lt_u32_e32 vcc, 63, v0
	v_mov_b32_e32 v23, 0
	v_mov_b32_e32 v24, 0
	s_waitcnt lgkmcnt(0)
	s_barrier
	s_and_saveexec_b64 s[0:1], vcc
; %bb.203:
	v_lshl_add_u32 v24, v44, 2, -4
	ds_read_b32 v24, v24
; %bb.204:
	s_or_b64 exec, exec, s[0:1]
	v_subrev_co_u32_e32 v25, vcc, 1, v43
	v_and_b32_e32 v26, 64, v43
	v_cmp_lt_i32_e64 s[0:1], v25, v26
	s_waitcnt lgkmcnt(0)
	v_add_u32_e32 v22, v24, v22
	v_cndmask_b32_e64 v25, v25, v43, s[0:1]
	v_lshlrev_b32_e32 v25, 2, v25
	ds_bpermute_b32 v25, v25, v22
	ds_read_b32 v22, v23 offset:28
	s_and_saveexec_b64 s[0:1], s[18:19]
	s_cbranch_execz .LBB1443_206
; %bb.205:
	v_mov_b32_e32 v26, 0
	v_mov_b32_e32 v23, 2
	s_waitcnt lgkmcnt(0)
	global_store_dwordx2 v26, v[22:23], s[30:31] offset:512 sc1
.LBB1443_206:
	s_or_b64 exec, exec, s[0:1]
	s_waitcnt lgkmcnt(1)
	v_cndmask_b32_e32 v23, v25, v24, vcc
	v_cndmask_b32_e64 v38, v23, 0, s[18:19]
	v_add_u32_e32 v36, v38, v1
	v_add_u32_e32 v34, v36, v21
	;; [unrolled: 1-line block ×6, first 2 shown]
	s_waitcnt lgkmcnt(0)
	s_barrier
	v_mov_b32_e32 v24, 0
.LBB1443_207:
	s_movk_i32 s0, 0x201
	v_cmp_gt_u32_e32 vcc, s0, v22
	v_and_b32_e32 v1, 1, v16
	s_mov_b64 s[2:3], -1
	v_cmp_eq_u32_e64 s[0:1], 1, v1
	s_cbranch_vccnz .LBB1443_211
; %bb.208:
	s_and_b64 vcc, exec, s[2:3]
	s_cbranch_vccnz .LBB1443_226
.LBB1443_209:
	s_and_b64 s[0:1], s[18:19], s[24:25]
	s_and_saveexec_b64 s[2:3], s[0:1]
	s_cbranch_execnz .LBB1443_243
.LBB1443_210:
	s_endpgm
.LBB1443_211:
	v_add_u32_e32 v16, v24, v22
	v_cmp_lt_u32_e32 vcc, v38, v16
	s_or_b64 s[2:3], s[36:37], vcc
	s_and_b64 s[2:3], s[2:3], s[0:1]
	s_and_saveexec_b64 s[0:1], s[2:3]
	s_cbranch_execz .LBB1443_213
; %bb.212:
	s_lshl_b64 s[2:3], s[22:23], 3
	s_add_u32 s2, s34, s2
	s_addc_u32 s3, s35, s3
	v_mov_b32_e32 v39, 0
	v_lshl_add_u64 v[44:45], v[38:39], 3, s[2:3]
	global_store_dwordx2 v[44:45], v[10:11], off
.LBB1443_213:
	s_or_b64 exec, exec, s[0:1]
	v_cmp_lt_u32_e32 vcc, v36, v16
	v_and_b32_e32 v21, 1, v42
	s_or_b64 s[0:1], s[36:37], vcc
	v_cmp_eq_u32_e32 vcc, 1, v21
	s_and_b64 s[2:3], s[0:1], vcc
	s_and_saveexec_b64 s[0:1], s[2:3]
	s_cbranch_execz .LBB1443_215
; %bb.214:
	s_lshl_b64 s[2:3], s[22:23], 3
	s_add_u32 s2, s34, s2
	s_addc_u32 s3, s35, s3
	v_mov_b32_e32 v37, 0
	v_lshl_add_u64 v[44:45], v[36:37], 3, s[2:3]
	global_store_dwordx2 v[44:45], v[12:13], off
.LBB1443_215:
	s_or_b64 exec, exec, s[0:1]
	v_cmp_lt_u32_e32 vcc, v34, v16
	v_and_b32_e32 v21, 1, v41
	s_or_b64 s[0:1], s[36:37], vcc
	v_cmp_eq_u32_e32 vcc, 1, v21
	s_and_b64 s[2:3], s[0:1], vcc
	;; [unrolled: 16-line block ×6, first 2 shown]
	s_and_saveexec_b64 s[0:1], s[2:3]
	s_cbranch_execz .LBB1443_225
; %bb.224:
	s_lshl_b64 s[2:3], s[22:23], 3
	s_add_u32 s2, s34, s2
	s_addc_u32 s3, s35, s3
	v_mov_b32_e32 v27, 0
	v_lshl_add_u64 v[44:45], v[26:27], 3, s[2:3]
	global_store_dwordx2 v[44:45], v[14:15], off
.LBB1443_225:
	s_or_b64 exec, exec, s[0:1]
	s_branch .LBB1443_209
.LBB1443_226:
	v_cmp_eq_u32_e32 vcc, 1, v1
	s_and_saveexec_b64 s[0:1], vcc
; %bb.227:
	v_sub_u32_e32 v1, v38, v24
	v_lshlrev_b32_e32 v1, 3, v1
	ds_write_b64 v1, v[10:11]
; %bb.228:
	s_or_b64 exec, exec, s[0:1]
	v_and_b32_e32 v1, 1, v42
	v_cmp_eq_u32_e32 vcc, 1, v1
	s_and_saveexec_b64 s[0:1], vcc
; %bb.229:
	v_sub_u32_e32 v1, v36, v24
	v_lshlrev_b32_e32 v1, 3, v1
	ds_write_b64 v1, v[12:13]
; %bb.230:
	s_or_b64 exec, exec, s[0:1]
	v_and_b32_e32 v1, 1, v41
	;; [unrolled: 9-line block ×6, first 2 shown]
	v_cmp_eq_u32_e32 vcc, 1, v1
	s_and_saveexec_b64 s[0:1], vcc
; %bb.239:
	v_sub_u32_e32 v1, v26, v24
	v_lshlrev_b32_e32 v1, 3, v1
	ds_write_b64 v1, v[14:15]
; %bb.240:
	s_or_b64 exec, exec, s[0:1]
	v_mov_b32_e32 v25, 0
	s_lshl_b64 s[0:1], s[22:23], 3
	v_lshlrev_b64 v[2:3], 3, v[24:25]
	v_lshl_add_u64 v[2:3], s[0:1], 0, v[2:3]
	v_mov_b32_e32 v19, v25
	v_lshl_add_u64 v[2:3], s[34:35], 0, v[2:3]
	v_lshl_add_u64 v[2:3], v[2:3], 0, v[18:19]
	s_mov_b64 s[0:1], 0
	s_mov_b64 s[2:3], 0x1000
	s_waitcnt lgkmcnt(0)
	s_barrier
.LBB1443_241:                           ; =>This Inner Loop Header: Depth=1
	ds_read_b64 v[4:5], v18
	v_add_u32_e32 v0, 0x200, v0
	v_cmp_ge_u32_e32 vcc, v0, v22
	v_add_u32_e32 v18, 0x1000, v18
	s_or_b64 s[0:1], vcc, s[0:1]
	s_waitcnt lgkmcnt(0)
	global_store_dwordx2 v[2:3], v[4:5], off
	v_lshl_add_u64 v[2:3], v[2:3], 0, s[2:3]
	s_andn2_b64 exec, exec, s[0:1]
	s_cbranch_execnz .LBB1443_241
; %bb.242:
	s_or_b64 exec, exec, s[0:1]
	s_and_b64 s[0:1], s[18:19], s[24:25]
	s_and_saveexec_b64 s[2:3], s[0:1]
	s_cbranch_execz .LBB1443_210
.LBB1443_243:
	v_mov_b32_e32 v23, 0
	v_lshl_add_u64 v[0:1], s[22:23], 0, v[22:23]
	v_mov_b32_e32 v25, v23
	v_lshl_add_u64 v[0:1], v[0:1], 0, v[24:25]
	global_store_dwordx2 v23, v[0:1], s[20:21]
	s_endpgm
	.section	.rodata,"a",@progbits
	.p2align	6, 0x0
	.amdhsa_kernel _ZN7rocprim17ROCPRIM_400000_NS6detail17trampoline_kernelINS0_14default_configENS1_25partition_config_selectorILNS1_17partition_subalgoE8ElNS0_10empty_typeEbEEZZNS1_14partition_implILS5_8ELb0ES3_jPlPS6_PKS6_NS0_5tupleIJS9_S6_EEENSD_IJSA_SA_EEENS0_18inequality_wrapperIZN2at6native12_GLOBAL__N_124unique_dim_cuda_templateItEESt5tupleIJNSH_6TensorESM_SM_EERKSM_lbbbEUlllE0_EEPmJS6_EEE10hipError_tPvRmT3_T4_T5_T6_T7_T9_mT8_P12ihipStream_tbDpT10_ENKUlT_T0_E_clISt17integral_constantIbLb0EES1B_IbLb1EEEEDaS17_S18_EUlS17_E_NS1_11comp_targetILNS1_3genE0ELNS1_11target_archE4294967295ELNS1_3gpuE0ELNS1_3repE0EEENS1_30default_config_static_selectorELNS0_4arch9wavefront6targetE1EEEvT1_
		.amdhsa_group_segment_fixed_size 28680
		.amdhsa_private_segment_fixed_size 0
		.amdhsa_kernarg_size 136
		.amdhsa_user_sgpr_count 2
		.amdhsa_user_sgpr_dispatch_ptr 0
		.amdhsa_user_sgpr_queue_ptr 0
		.amdhsa_user_sgpr_kernarg_segment_ptr 1
		.amdhsa_user_sgpr_dispatch_id 0
		.amdhsa_user_sgpr_kernarg_preload_length 0
		.amdhsa_user_sgpr_kernarg_preload_offset 0
		.amdhsa_user_sgpr_private_segment_size 0
		.amdhsa_uses_dynamic_stack 0
		.amdhsa_enable_private_segment 0
		.amdhsa_system_sgpr_workgroup_id_x 1
		.amdhsa_system_sgpr_workgroup_id_y 0
		.amdhsa_system_sgpr_workgroup_id_z 0
		.amdhsa_system_sgpr_workgroup_info 0
		.amdhsa_system_vgpr_workitem_id 0
		.amdhsa_next_free_vgpr 58
		.amdhsa_next_free_sgpr 54
		.amdhsa_accum_offset 60
		.amdhsa_reserve_vcc 1
		.amdhsa_float_round_mode_32 0
		.amdhsa_float_round_mode_16_64 0
		.amdhsa_float_denorm_mode_32 3
		.amdhsa_float_denorm_mode_16_64 3
		.amdhsa_dx10_clamp 1
		.amdhsa_ieee_mode 1
		.amdhsa_fp16_overflow 0
		.amdhsa_tg_split 0
		.amdhsa_exception_fp_ieee_invalid_op 0
		.amdhsa_exception_fp_denorm_src 0
		.amdhsa_exception_fp_ieee_div_zero 0
		.amdhsa_exception_fp_ieee_overflow 0
		.amdhsa_exception_fp_ieee_underflow 0
		.amdhsa_exception_fp_ieee_inexact 0
		.amdhsa_exception_int_div_zero 0
	.end_amdhsa_kernel
	.section	.text._ZN7rocprim17ROCPRIM_400000_NS6detail17trampoline_kernelINS0_14default_configENS1_25partition_config_selectorILNS1_17partition_subalgoE8ElNS0_10empty_typeEbEEZZNS1_14partition_implILS5_8ELb0ES3_jPlPS6_PKS6_NS0_5tupleIJS9_S6_EEENSD_IJSA_SA_EEENS0_18inequality_wrapperIZN2at6native12_GLOBAL__N_124unique_dim_cuda_templateItEESt5tupleIJNSH_6TensorESM_SM_EERKSM_lbbbEUlllE0_EEPmJS6_EEE10hipError_tPvRmT3_T4_T5_T6_T7_T9_mT8_P12ihipStream_tbDpT10_ENKUlT_T0_E_clISt17integral_constantIbLb0EES1B_IbLb1EEEEDaS17_S18_EUlS17_E_NS1_11comp_targetILNS1_3genE0ELNS1_11target_archE4294967295ELNS1_3gpuE0ELNS1_3repE0EEENS1_30default_config_static_selectorELNS0_4arch9wavefront6targetE1EEEvT1_,"axG",@progbits,_ZN7rocprim17ROCPRIM_400000_NS6detail17trampoline_kernelINS0_14default_configENS1_25partition_config_selectorILNS1_17partition_subalgoE8ElNS0_10empty_typeEbEEZZNS1_14partition_implILS5_8ELb0ES3_jPlPS6_PKS6_NS0_5tupleIJS9_S6_EEENSD_IJSA_SA_EEENS0_18inequality_wrapperIZN2at6native12_GLOBAL__N_124unique_dim_cuda_templateItEESt5tupleIJNSH_6TensorESM_SM_EERKSM_lbbbEUlllE0_EEPmJS6_EEE10hipError_tPvRmT3_T4_T5_T6_T7_T9_mT8_P12ihipStream_tbDpT10_ENKUlT_T0_E_clISt17integral_constantIbLb0EES1B_IbLb1EEEEDaS17_S18_EUlS17_E_NS1_11comp_targetILNS1_3genE0ELNS1_11target_archE4294967295ELNS1_3gpuE0ELNS1_3repE0EEENS1_30default_config_static_selectorELNS0_4arch9wavefront6targetE1EEEvT1_,comdat
.Lfunc_end1443:
	.size	_ZN7rocprim17ROCPRIM_400000_NS6detail17trampoline_kernelINS0_14default_configENS1_25partition_config_selectorILNS1_17partition_subalgoE8ElNS0_10empty_typeEbEEZZNS1_14partition_implILS5_8ELb0ES3_jPlPS6_PKS6_NS0_5tupleIJS9_S6_EEENSD_IJSA_SA_EEENS0_18inequality_wrapperIZN2at6native12_GLOBAL__N_124unique_dim_cuda_templateItEESt5tupleIJNSH_6TensorESM_SM_EERKSM_lbbbEUlllE0_EEPmJS6_EEE10hipError_tPvRmT3_T4_T5_T6_T7_T9_mT8_P12ihipStream_tbDpT10_ENKUlT_T0_E_clISt17integral_constantIbLb0EES1B_IbLb1EEEEDaS17_S18_EUlS17_E_NS1_11comp_targetILNS1_3genE0ELNS1_11target_archE4294967295ELNS1_3gpuE0ELNS1_3repE0EEENS1_30default_config_static_selectorELNS0_4arch9wavefront6targetE1EEEvT1_, .Lfunc_end1443-_ZN7rocprim17ROCPRIM_400000_NS6detail17trampoline_kernelINS0_14default_configENS1_25partition_config_selectorILNS1_17partition_subalgoE8ElNS0_10empty_typeEbEEZZNS1_14partition_implILS5_8ELb0ES3_jPlPS6_PKS6_NS0_5tupleIJS9_S6_EEENSD_IJSA_SA_EEENS0_18inequality_wrapperIZN2at6native12_GLOBAL__N_124unique_dim_cuda_templateItEESt5tupleIJNSH_6TensorESM_SM_EERKSM_lbbbEUlllE0_EEPmJS6_EEE10hipError_tPvRmT3_T4_T5_T6_T7_T9_mT8_P12ihipStream_tbDpT10_ENKUlT_T0_E_clISt17integral_constantIbLb0EES1B_IbLb1EEEEDaS17_S18_EUlS17_E_NS1_11comp_targetILNS1_3genE0ELNS1_11target_archE4294967295ELNS1_3gpuE0ELNS1_3repE0EEENS1_30default_config_static_selectorELNS0_4arch9wavefront6targetE1EEEvT1_
                                        ; -- End function
	.set _ZN7rocprim17ROCPRIM_400000_NS6detail17trampoline_kernelINS0_14default_configENS1_25partition_config_selectorILNS1_17partition_subalgoE8ElNS0_10empty_typeEbEEZZNS1_14partition_implILS5_8ELb0ES3_jPlPS6_PKS6_NS0_5tupleIJS9_S6_EEENSD_IJSA_SA_EEENS0_18inequality_wrapperIZN2at6native12_GLOBAL__N_124unique_dim_cuda_templateItEESt5tupleIJNSH_6TensorESM_SM_EERKSM_lbbbEUlllE0_EEPmJS6_EEE10hipError_tPvRmT3_T4_T5_T6_T7_T9_mT8_P12ihipStream_tbDpT10_ENKUlT_T0_E_clISt17integral_constantIbLb0EES1B_IbLb1EEEEDaS17_S18_EUlS17_E_NS1_11comp_targetILNS1_3genE0ELNS1_11target_archE4294967295ELNS1_3gpuE0ELNS1_3repE0EEENS1_30default_config_static_selectorELNS0_4arch9wavefront6targetE1EEEvT1_.num_vgpr, 58
	.set _ZN7rocprim17ROCPRIM_400000_NS6detail17trampoline_kernelINS0_14default_configENS1_25partition_config_selectorILNS1_17partition_subalgoE8ElNS0_10empty_typeEbEEZZNS1_14partition_implILS5_8ELb0ES3_jPlPS6_PKS6_NS0_5tupleIJS9_S6_EEENSD_IJSA_SA_EEENS0_18inequality_wrapperIZN2at6native12_GLOBAL__N_124unique_dim_cuda_templateItEESt5tupleIJNSH_6TensorESM_SM_EERKSM_lbbbEUlllE0_EEPmJS6_EEE10hipError_tPvRmT3_T4_T5_T6_T7_T9_mT8_P12ihipStream_tbDpT10_ENKUlT_T0_E_clISt17integral_constantIbLb0EES1B_IbLb1EEEEDaS17_S18_EUlS17_E_NS1_11comp_targetILNS1_3genE0ELNS1_11target_archE4294967295ELNS1_3gpuE0ELNS1_3repE0EEENS1_30default_config_static_selectorELNS0_4arch9wavefront6targetE1EEEvT1_.num_agpr, 0
	.set _ZN7rocprim17ROCPRIM_400000_NS6detail17trampoline_kernelINS0_14default_configENS1_25partition_config_selectorILNS1_17partition_subalgoE8ElNS0_10empty_typeEbEEZZNS1_14partition_implILS5_8ELb0ES3_jPlPS6_PKS6_NS0_5tupleIJS9_S6_EEENSD_IJSA_SA_EEENS0_18inequality_wrapperIZN2at6native12_GLOBAL__N_124unique_dim_cuda_templateItEESt5tupleIJNSH_6TensorESM_SM_EERKSM_lbbbEUlllE0_EEPmJS6_EEE10hipError_tPvRmT3_T4_T5_T6_T7_T9_mT8_P12ihipStream_tbDpT10_ENKUlT_T0_E_clISt17integral_constantIbLb0EES1B_IbLb1EEEEDaS17_S18_EUlS17_E_NS1_11comp_targetILNS1_3genE0ELNS1_11target_archE4294967295ELNS1_3gpuE0ELNS1_3repE0EEENS1_30default_config_static_selectorELNS0_4arch9wavefront6targetE1EEEvT1_.numbered_sgpr, 54
	.set _ZN7rocprim17ROCPRIM_400000_NS6detail17trampoline_kernelINS0_14default_configENS1_25partition_config_selectorILNS1_17partition_subalgoE8ElNS0_10empty_typeEbEEZZNS1_14partition_implILS5_8ELb0ES3_jPlPS6_PKS6_NS0_5tupleIJS9_S6_EEENSD_IJSA_SA_EEENS0_18inequality_wrapperIZN2at6native12_GLOBAL__N_124unique_dim_cuda_templateItEESt5tupleIJNSH_6TensorESM_SM_EERKSM_lbbbEUlllE0_EEPmJS6_EEE10hipError_tPvRmT3_T4_T5_T6_T7_T9_mT8_P12ihipStream_tbDpT10_ENKUlT_T0_E_clISt17integral_constantIbLb0EES1B_IbLb1EEEEDaS17_S18_EUlS17_E_NS1_11comp_targetILNS1_3genE0ELNS1_11target_archE4294967295ELNS1_3gpuE0ELNS1_3repE0EEENS1_30default_config_static_selectorELNS0_4arch9wavefront6targetE1EEEvT1_.num_named_barrier, 0
	.set _ZN7rocprim17ROCPRIM_400000_NS6detail17trampoline_kernelINS0_14default_configENS1_25partition_config_selectorILNS1_17partition_subalgoE8ElNS0_10empty_typeEbEEZZNS1_14partition_implILS5_8ELb0ES3_jPlPS6_PKS6_NS0_5tupleIJS9_S6_EEENSD_IJSA_SA_EEENS0_18inequality_wrapperIZN2at6native12_GLOBAL__N_124unique_dim_cuda_templateItEESt5tupleIJNSH_6TensorESM_SM_EERKSM_lbbbEUlllE0_EEPmJS6_EEE10hipError_tPvRmT3_T4_T5_T6_T7_T9_mT8_P12ihipStream_tbDpT10_ENKUlT_T0_E_clISt17integral_constantIbLb0EES1B_IbLb1EEEEDaS17_S18_EUlS17_E_NS1_11comp_targetILNS1_3genE0ELNS1_11target_archE4294967295ELNS1_3gpuE0ELNS1_3repE0EEENS1_30default_config_static_selectorELNS0_4arch9wavefront6targetE1EEEvT1_.private_seg_size, 0
	.set _ZN7rocprim17ROCPRIM_400000_NS6detail17trampoline_kernelINS0_14default_configENS1_25partition_config_selectorILNS1_17partition_subalgoE8ElNS0_10empty_typeEbEEZZNS1_14partition_implILS5_8ELb0ES3_jPlPS6_PKS6_NS0_5tupleIJS9_S6_EEENSD_IJSA_SA_EEENS0_18inequality_wrapperIZN2at6native12_GLOBAL__N_124unique_dim_cuda_templateItEESt5tupleIJNSH_6TensorESM_SM_EERKSM_lbbbEUlllE0_EEPmJS6_EEE10hipError_tPvRmT3_T4_T5_T6_T7_T9_mT8_P12ihipStream_tbDpT10_ENKUlT_T0_E_clISt17integral_constantIbLb0EES1B_IbLb1EEEEDaS17_S18_EUlS17_E_NS1_11comp_targetILNS1_3genE0ELNS1_11target_archE4294967295ELNS1_3gpuE0ELNS1_3repE0EEENS1_30default_config_static_selectorELNS0_4arch9wavefront6targetE1EEEvT1_.uses_vcc, 1
	.set _ZN7rocprim17ROCPRIM_400000_NS6detail17trampoline_kernelINS0_14default_configENS1_25partition_config_selectorILNS1_17partition_subalgoE8ElNS0_10empty_typeEbEEZZNS1_14partition_implILS5_8ELb0ES3_jPlPS6_PKS6_NS0_5tupleIJS9_S6_EEENSD_IJSA_SA_EEENS0_18inequality_wrapperIZN2at6native12_GLOBAL__N_124unique_dim_cuda_templateItEESt5tupleIJNSH_6TensorESM_SM_EERKSM_lbbbEUlllE0_EEPmJS6_EEE10hipError_tPvRmT3_T4_T5_T6_T7_T9_mT8_P12ihipStream_tbDpT10_ENKUlT_T0_E_clISt17integral_constantIbLb0EES1B_IbLb1EEEEDaS17_S18_EUlS17_E_NS1_11comp_targetILNS1_3genE0ELNS1_11target_archE4294967295ELNS1_3gpuE0ELNS1_3repE0EEENS1_30default_config_static_selectorELNS0_4arch9wavefront6targetE1EEEvT1_.uses_flat_scratch, 0
	.set _ZN7rocprim17ROCPRIM_400000_NS6detail17trampoline_kernelINS0_14default_configENS1_25partition_config_selectorILNS1_17partition_subalgoE8ElNS0_10empty_typeEbEEZZNS1_14partition_implILS5_8ELb0ES3_jPlPS6_PKS6_NS0_5tupleIJS9_S6_EEENSD_IJSA_SA_EEENS0_18inequality_wrapperIZN2at6native12_GLOBAL__N_124unique_dim_cuda_templateItEESt5tupleIJNSH_6TensorESM_SM_EERKSM_lbbbEUlllE0_EEPmJS6_EEE10hipError_tPvRmT3_T4_T5_T6_T7_T9_mT8_P12ihipStream_tbDpT10_ENKUlT_T0_E_clISt17integral_constantIbLb0EES1B_IbLb1EEEEDaS17_S18_EUlS17_E_NS1_11comp_targetILNS1_3genE0ELNS1_11target_archE4294967295ELNS1_3gpuE0ELNS1_3repE0EEENS1_30default_config_static_selectorELNS0_4arch9wavefront6targetE1EEEvT1_.has_dyn_sized_stack, 0
	.set _ZN7rocprim17ROCPRIM_400000_NS6detail17trampoline_kernelINS0_14default_configENS1_25partition_config_selectorILNS1_17partition_subalgoE8ElNS0_10empty_typeEbEEZZNS1_14partition_implILS5_8ELb0ES3_jPlPS6_PKS6_NS0_5tupleIJS9_S6_EEENSD_IJSA_SA_EEENS0_18inequality_wrapperIZN2at6native12_GLOBAL__N_124unique_dim_cuda_templateItEESt5tupleIJNSH_6TensorESM_SM_EERKSM_lbbbEUlllE0_EEPmJS6_EEE10hipError_tPvRmT3_T4_T5_T6_T7_T9_mT8_P12ihipStream_tbDpT10_ENKUlT_T0_E_clISt17integral_constantIbLb0EES1B_IbLb1EEEEDaS17_S18_EUlS17_E_NS1_11comp_targetILNS1_3genE0ELNS1_11target_archE4294967295ELNS1_3gpuE0ELNS1_3repE0EEENS1_30default_config_static_selectorELNS0_4arch9wavefront6targetE1EEEvT1_.has_recursion, 0
	.set _ZN7rocprim17ROCPRIM_400000_NS6detail17trampoline_kernelINS0_14default_configENS1_25partition_config_selectorILNS1_17partition_subalgoE8ElNS0_10empty_typeEbEEZZNS1_14partition_implILS5_8ELb0ES3_jPlPS6_PKS6_NS0_5tupleIJS9_S6_EEENSD_IJSA_SA_EEENS0_18inequality_wrapperIZN2at6native12_GLOBAL__N_124unique_dim_cuda_templateItEESt5tupleIJNSH_6TensorESM_SM_EERKSM_lbbbEUlllE0_EEPmJS6_EEE10hipError_tPvRmT3_T4_T5_T6_T7_T9_mT8_P12ihipStream_tbDpT10_ENKUlT_T0_E_clISt17integral_constantIbLb0EES1B_IbLb1EEEEDaS17_S18_EUlS17_E_NS1_11comp_targetILNS1_3genE0ELNS1_11target_archE4294967295ELNS1_3gpuE0ELNS1_3repE0EEENS1_30default_config_static_selectorELNS0_4arch9wavefront6targetE1EEEvT1_.has_indirect_call, 0
	.section	.AMDGPU.csdata,"",@progbits
; Kernel info:
; codeLenInByte = 11008
; TotalNumSgprs: 60
; NumVgprs: 58
; NumAgprs: 0
; TotalNumVgprs: 58
; ScratchSize: 0
; MemoryBound: 0
; FloatMode: 240
; IeeeMode: 1
; LDSByteSize: 28680 bytes/workgroup (compile time only)
; SGPRBlocks: 7
; VGPRBlocks: 7
; NumSGPRsForWavesPerEU: 60
; NumVGPRsForWavesPerEU: 58
; AccumOffset: 60
; Occupancy: 8
; WaveLimiterHint : 1
; COMPUTE_PGM_RSRC2:SCRATCH_EN: 0
; COMPUTE_PGM_RSRC2:USER_SGPR: 2
; COMPUTE_PGM_RSRC2:TRAP_HANDLER: 0
; COMPUTE_PGM_RSRC2:TGID_X_EN: 1
; COMPUTE_PGM_RSRC2:TGID_Y_EN: 0
; COMPUTE_PGM_RSRC2:TGID_Z_EN: 0
; COMPUTE_PGM_RSRC2:TIDIG_COMP_CNT: 0
; COMPUTE_PGM_RSRC3_GFX90A:ACCUM_OFFSET: 14
; COMPUTE_PGM_RSRC3_GFX90A:TG_SPLIT: 0
	.section	.text._ZN7rocprim17ROCPRIM_400000_NS6detail17trampoline_kernelINS0_14default_configENS1_25partition_config_selectorILNS1_17partition_subalgoE8ElNS0_10empty_typeEbEEZZNS1_14partition_implILS5_8ELb0ES3_jPlPS6_PKS6_NS0_5tupleIJS9_S6_EEENSD_IJSA_SA_EEENS0_18inequality_wrapperIZN2at6native12_GLOBAL__N_124unique_dim_cuda_templateItEESt5tupleIJNSH_6TensorESM_SM_EERKSM_lbbbEUlllE0_EEPmJS6_EEE10hipError_tPvRmT3_T4_T5_T6_T7_T9_mT8_P12ihipStream_tbDpT10_ENKUlT_T0_E_clISt17integral_constantIbLb0EES1B_IbLb1EEEEDaS17_S18_EUlS17_E_NS1_11comp_targetILNS1_3genE5ELNS1_11target_archE942ELNS1_3gpuE9ELNS1_3repE0EEENS1_30default_config_static_selectorELNS0_4arch9wavefront6targetE1EEEvT1_,"axG",@progbits,_ZN7rocprim17ROCPRIM_400000_NS6detail17trampoline_kernelINS0_14default_configENS1_25partition_config_selectorILNS1_17partition_subalgoE8ElNS0_10empty_typeEbEEZZNS1_14partition_implILS5_8ELb0ES3_jPlPS6_PKS6_NS0_5tupleIJS9_S6_EEENSD_IJSA_SA_EEENS0_18inequality_wrapperIZN2at6native12_GLOBAL__N_124unique_dim_cuda_templateItEESt5tupleIJNSH_6TensorESM_SM_EERKSM_lbbbEUlllE0_EEPmJS6_EEE10hipError_tPvRmT3_T4_T5_T6_T7_T9_mT8_P12ihipStream_tbDpT10_ENKUlT_T0_E_clISt17integral_constantIbLb0EES1B_IbLb1EEEEDaS17_S18_EUlS17_E_NS1_11comp_targetILNS1_3genE5ELNS1_11target_archE942ELNS1_3gpuE9ELNS1_3repE0EEENS1_30default_config_static_selectorELNS0_4arch9wavefront6targetE1EEEvT1_,comdat
	.globl	_ZN7rocprim17ROCPRIM_400000_NS6detail17trampoline_kernelINS0_14default_configENS1_25partition_config_selectorILNS1_17partition_subalgoE8ElNS0_10empty_typeEbEEZZNS1_14partition_implILS5_8ELb0ES3_jPlPS6_PKS6_NS0_5tupleIJS9_S6_EEENSD_IJSA_SA_EEENS0_18inequality_wrapperIZN2at6native12_GLOBAL__N_124unique_dim_cuda_templateItEESt5tupleIJNSH_6TensorESM_SM_EERKSM_lbbbEUlllE0_EEPmJS6_EEE10hipError_tPvRmT3_T4_T5_T6_T7_T9_mT8_P12ihipStream_tbDpT10_ENKUlT_T0_E_clISt17integral_constantIbLb0EES1B_IbLb1EEEEDaS17_S18_EUlS17_E_NS1_11comp_targetILNS1_3genE5ELNS1_11target_archE942ELNS1_3gpuE9ELNS1_3repE0EEENS1_30default_config_static_selectorELNS0_4arch9wavefront6targetE1EEEvT1_ ; -- Begin function _ZN7rocprim17ROCPRIM_400000_NS6detail17trampoline_kernelINS0_14default_configENS1_25partition_config_selectorILNS1_17partition_subalgoE8ElNS0_10empty_typeEbEEZZNS1_14partition_implILS5_8ELb0ES3_jPlPS6_PKS6_NS0_5tupleIJS9_S6_EEENSD_IJSA_SA_EEENS0_18inequality_wrapperIZN2at6native12_GLOBAL__N_124unique_dim_cuda_templateItEESt5tupleIJNSH_6TensorESM_SM_EERKSM_lbbbEUlllE0_EEPmJS6_EEE10hipError_tPvRmT3_T4_T5_T6_T7_T9_mT8_P12ihipStream_tbDpT10_ENKUlT_T0_E_clISt17integral_constantIbLb0EES1B_IbLb1EEEEDaS17_S18_EUlS17_E_NS1_11comp_targetILNS1_3genE5ELNS1_11target_archE942ELNS1_3gpuE9ELNS1_3repE0EEENS1_30default_config_static_selectorELNS0_4arch9wavefront6targetE1EEEvT1_
	.p2align	8
	.type	_ZN7rocprim17ROCPRIM_400000_NS6detail17trampoline_kernelINS0_14default_configENS1_25partition_config_selectorILNS1_17partition_subalgoE8ElNS0_10empty_typeEbEEZZNS1_14partition_implILS5_8ELb0ES3_jPlPS6_PKS6_NS0_5tupleIJS9_S6_EEENSD_IJSA_SA_EEENS0_18inequality_wrapperIZN2at6native12_GLOBAL__N_124unique_dim_cuda_templateItEESt5tupleIJNSH_6TensorESM_SM_EERKSM_lbbbEUlllE0_EEPmJS6_EEE10hipError_tPvRmT3_T4_T5_T6_T7_T9_mT8_P12ihipStream_tbDpT10_ENKUlT_T0_E_clISt17integral_constantIbLb0EES1B_IbLb1EEEEDaS17_S18_EUlS17_E_NS1_11comp_targetILNS1_3genE5ELNS1_11target_archE942ELNS1_3gpuE9ELNS1_3repE0EEENS1_30default_config_static_selectorELNS0_4arch9wavefront6targetE1EEEvT1_,@function
_ZN7rocprim17ROCPRIM_400000_NS6detail17trampoline_kernelINS0_14default_configENS1_25partition_config_selectorILNS1_17partition_subalgoE8ElNS0_10empty_typeEbEEZZNS1_14partition_implILS5_8ELb0ES3_jPlPS6_PKS6_NS0_5tupleIJS9_S6_EEENSD_IJSA_SA_EEENS0_18inequality_wrapperIZN2at6native12_GLOBAL__N_124unique_dim_cuda_templateItEESt5tupleIJNSH_6TensorESM_SM_EERKSM_lbbbEUlllE0_EEPmJS6_EEE10hipError_tPvRmT3_T4_T5_T6_T7_T9_mT8_P12ihipStream_tbDpT10_ENKUlT_T0_E_clISt17integral_constantIbLb0EES1B_IbLb1EEEEDaS17_S18_EUlS17_E_NS1_11comp_targetILNS1_3genE5ELNS1_11target_archE942ELNS1_3gpuE9ELNS1_3repE0EEENS1_30default_config_static_selectorELNS0_4arch9wavefront6targetE1EEEvT1_: ; @_ZN7rocprim17ROCPRIM_400000_NS6detail17trampoline_kernelINS0_14default_configENS1_25partition_config_selectorILNS1_17partition_subalgoE8ElNS0_10empty_typeEbEEZZNS1_14partition_implILS5_8ELb0ES3_jPlPS6_PKS6_NS0_5tupleIJS9_S6_EEENSD_IJSA_SA_EEENS0_18inequality_wrapperIZN2at6native12_GLOBAL__N_124unique_dim_cuda_templateItEESt5tupleIJNSH_6TensorESM_SM_EERKSM_lbbbEUlllE0_EEPmJS6_EEE10hipError_tPvRmT3_T4_T5_T6_T7_T9_mT8_P12ihipStream_tbDpT10_ENKUlT_T0_E_clISt17integral_constantIbLb0EES1B_IbLb1EEEEDaS17_S18_EUlS17_E_NS1_11comp_targetILNS1_3genE5ELNS1_11target_archE942ELNS1_3gpuE9ELNS1_3repE0EEENS1_30default_config_static_selectorELNS0_4arch9wavefront6targetE1EEEvT1_
; %bb.0:
	.section	.rodata,"a",@progbits
	.p2align	6, 0x0
	.amdhsa_kernel _ZN7rocprim17ROCPRIM_400000_NS6detail17trampoline_kernelINS0_14default_configENS1_25partition_config_selectorILNS1_17partition_subalgoE8ElNS0_10empty_typeEbEEZZNS1_14partition_implILS5_8ELb0ES3_jPlPS6_PKS6_NS0_5tupleIJS9_S6_EEENSD_IJSA_SA_EEENS0_18inequality_wrapperIZN2at6native12_GLOBAL__N_124unique_dim_cuda_templateItEESt5tupleIJNSH_6TensorESM_SM_EERKSM_lbbbEUlllE0_EEPmJS6_EEE10hipError_tPvRmT3_T4_T5_T6_T7_T9_mT8_P12ihipStream_tbDpT10_ENKUlT_T0_E_clISt17integral_constantIbLb0EES1B_IbLb1EEEEDaS17_S18_EUlS17_E_NS1_11comp_targetILNS1_3genE5ELNS1_11target_archE942ELNS1_3gpuE9ELNS1_3repE0EEENS1_30default_config_static_selectorELNS0_4arch9wavefront6targetE1EEEvT1_
		.amdhsa_group_segment_fixed_size 0
		.amdhsa_private_segment_fixed_size 0
		.amdhsa_kernarg_size 136
		.amdhsa_user_sgpr_count 2
		.amdhsa_user_sgpr_dispatch_ptr 0
		.amdhsa_user_sgpr_queue_ptr 0
		.amdhsa_user_sgpr_kernarg_segment_ptr 1
		.amdhsa_user_sgpr_dispatch_id 0
		.amdhsa_user_sgpr_kernarg_preload_length 0
		.amdhsa_user_sgpr_kernarg_preload_offset 0
		.amdhsa_user_sgpr_private_segment_size 0
		.amdhsa_uses_dynamic_stack 0
		.amdhsa_enable_private_segment 0
		.amdhsa_system_sgpr_workgroup_id_x 1
		.amdhsa_system_sgpr_workgroup_id_y 0
		.amdhsa_system_sgpr_workgroup_id_z 0
		.amdhsa_system_sgpr_workgroup_info 0
		.amdhsa_system_vgpr_workitem_id 0
		.amdhsa_next_free_vgpr 1
		.amdhsa_next_free_sgpr 0
		.amdhsa_accum_offset 4
		.amdhsa_reserve_vcc 0
		.amdhsa_float_round_mode_32 0
		.amdhsa_float_round_mode_16_64 0
		.amdhsa_float_denorm_mode_32 3
		.amdhsa_float_denorm_mode_16_64 3
		.amdhsa_dx10_clamp 1
		.amdhsa_ieee_mode 1
		.amdhsa_fp16_overflow 0
		.amdhsa_tg_split 0
		.amdhsa_exception_fp_ieee_invalid_op 0
		.amdhsa_exception_fp_denorm_src 0
		.amdhsa_exception_fp_ieee_div_zero 0
		.amdhsa_exception_fp_ieee_overflow 0
		.amdhsa_exception_fp_ieee_underflow 0
		.amdhsa_exception_fp_ieee_inexact 0
		.amdhsa_exception_int_div_zero 0
	.end_amdhsa_kernel
	.section	.text._ZN7rocprim17ROCPRIM_400000_NS6detail17trampoline_kernelINS0_14default_configENS1_25partition_config_selectorILNS1_17partition_subalgoE8ElNS0_10empty_typeEbEEZZNS1_14partition_implILS5_8ELb0ES3_jPlPS6_PKS6_NS0_5tupleIJS9_S6_EEENSD_IJSA_SA_EEENS0_18inequality_wrapperIZN2at6native12_GLOBAL__N_124unique_dim_cuda_templateItEESt5tupleIJNSH_6TensorESM_SM_EERKSM_lbbbEUlllE0_EEPmJS6_EEE10hipError_tPvRmT3_T4_T5_T6_T7_T9_mT8_P12ihipStream_tbDpT10_ENKUlT_T0_E_clISt17integral_constantIbLb0EES1B_IbLb1EEEEDaS17_S18_EUlS17_E_NS1_11comp_targetILNS1_3genE5ELNS1_11target_archE942ELNS1_3gpuE9ELNS1_3repE0EEENS1_30default_config_static_selectorELNS0_4arch9wavefront6targetE1EEEvT1_,"axG",@progbits,_ZN7rocprim17ROCPRIM_400000_NS6detail17trampoline_kernelINS0_14default_configENS1_25partition_config_selectorILNS1_17partition_subalgoE8ElNS0_10empty_typeEbEEZZNS1_14partition_implILS5_8ELb0ES3_jPlPS6_PKS6_NS0_5tupleIJS9_S6_EEENSD_IJSA_SA_EEENS0_18inequality_wrapperIZN2at6native12_GLOBAL__N_124unique_dim_cuda_templateItEESt5tupleIJNSH_6TensorESM_SM_EERKSM_lbbbEUlllE0_EEPmJS6_EEE10hipError_tPvRmT3_T4_T5_T6_T7_T9_mT8_P12ihipStream_tbDpT10_ENKUlT_T0_E_clISt17integral_constantIbLb0EES1B_IbLb1EEEEDaS17_S18_EUlS17_E_NS1_11comp_targetILNS1_3genE5ELNS1_11target_archE942ELNS1_3gpuE9ELNS1_3repE0EEENS1_30default_config_static_selectorELNS0_4arch9wavefront6targetE1EEEvT1_,comdat
.Lfunc_end1444:
	.size	_ZN7rocprim17ROCPRIM_400000_NS6detail17trampoline_kernelINS0_14default_configENS1_25partition_config_selectorILNS1_17partition_subalgoE8ElNS0_10empty_typeEbEEZZNS1_14partition_implILS5_8ELb0ES3_jPlPS6_PKS6_NS0_5tupleIJS9_S6_EEENSD_IJSA_SA_EEENS0_18inequality_wrapperIZN2at6native12_GLOBAL__N_124unique_dim_cuda_templateItEESt5tupleIJNSH_6TensorESM_SM_EERKSM_lbbbEUlllE0_EEPmJS6_EEE10hipError_tPvRmT3_T4_T5_T6_T7_T9_mT8_P12ihipStream_tbDpT10_ENKUlT_T0_E_clISt17integral_constantIbLb0EES1B_IbLb1EEEEDaS17_S18_EUlS17_E_NS1_11comp_targetILNS1_3genE5ELNS1_11target_archE942ELNS1_3gpuE9ELNS1_3repE0EEENS1_30default_config_static_selectorELNS0_4arch9wavefront6targetE1EEEvT1_, .Lfunc_end1444-_ZN7rocprim17ROCPRIM_400000_NS6detail17trampoline_kernelINS0_14default_configENS1_25partition_config_selectorILNS1_17partition_subalgoE8ElNS0_10empty_typeEbEEZZNS1_14partition_implILS5_8ELb0ES3_jPlPS6_PKS6_NS0_5tupleIJS9_S6_EEENSD_IJSA_SA_EEENS0_18inequality_wrapperIZN2at6native12_GLOBAL__N_124unique_dim_cuda_templateItEESt5tupleIJNSH_6TensorESM_SM_EERKSM_lbbbEUlllE0_EEPmJS6_EEE10hipError_tPvRmT3_T4_T5_T6_T7_T9_mT8_P12ihipStream_tbDpT10_ENKUlT_T0_E_clISt17integral_constantIbLb0EES1B_IbLb1EEEEDaS17_S18_EUlS17_E_NS1_11comp_targetILNS1_3genE5ELNS1_11target_archE942ELNS1_3gpuE9ELNS1_3repE0EEENS1_30default_config_static_selectorELNS0_4arch9wavefront6targetE1EEEvT1_
                                        ; -- End function
	.set _ZN7rocprim17ROCPRIM_400000_NS6detail17trampoline_kernelINS0_14default_configENS1_25partition_config_selectorILNS1_17partition_subalgoE8ElNS0_10empty_typeEbEEZZNS1_14partition_implILS5_8ELb0ES3_jPlPS6_PKS6_NS0_5tupleIJS9_S6_EEENSD_IJSA_SA_EEENS0_18inequality_wrapperIZN2at6native12_GLOBAL__N_124unique_dim_cuda_templateItEESt5tupleIJNSH_6TensorESM_SM_EERKSM_lbbbEUlllE0_EEPmJS6_EEE10hipError_tPvRmT3_T4_T5_T6_T7_T9_mT8_P12ihipStream_tbDpT10_ENKUlT_T0_E_clISt17integral_constantIbLb0EES1B_IbLb1EEEEDaS17_S18_EUlS17_E_NS1_11comp_targetILNS1_3genE5ELNS1_11target_archE942ELNS1_3gpuE9ELNS1_3repE0EEENS1_30default_config_static_selectorELNS0_4arch9wavefront6targetE1EEEvT1_.num_vgpr, 0
	.set _ZN7rocprim17ROCPRIM_400000_NS6detail17trampoline_kernelINS0_14default_configENS1_25partition_config_selectorILNS1_17partition_subalgoE8ElNS0_10empty_typeEbEEZZNS1_14partition_implILS5_8ELb0ES3_jPlPS6_PKS6_NS0_5tupleIJS9_S6_EEENSD_IJSA_SA_EEENS0_18inequality_wrapperIZN2at6native12_GLOBAL__N_124unique_dim_cuda_templateItEESt5tupleIJNSH_6TensorESM_SM_EERKSM_lbbbEUlllE0_EEPmJS6_EEE10hipError_tPvRmT3_T4_T5_T6_T7_T9_mT8_P12ihipStream_tbDpT10_ENKUlT_T0_E_clISt17integral_constantIbLb0EES1B_IbLb1EEEEDaS17_S18_EUlS17_E_NS1_11comp_targetILNS1_3genE5ELNS1_11target_archE942ELNS1_3gpuE9ELNS1_3repE0EEENS1_30default_config_static_selectorELNS0_4arch9wavefront6targetE1EEEvT1_.num_agpr, 0
	.set _ZN7rocprim17ROCPRIM_400000_NS6detail17trampoline_kernelINS0_14default_configENS1_25partition_config_selectorILNS1_17partition_subalgoE8ElNS0_10empty_typeEbEEZZNS1_14partition_implILS5_8ELb0ES3_jPlPS6_PKS6_NS0_5tupleIJS9_S6_EEENSD_IJSA_SA_EEENS0_18inequality_wrapperIZN2at6native12_GLOBAL__N_124unique_dim_cuda_templateItEESt5tupleIJNSH_6TensorESM_SM_EERKSM_lbbbEUlllE0_EEPmJS6_EEE10hipError_tPvRmT3_T4_T5_T6_T7_T9_mT8_P12ihipStream_tbDpT10_ENKUlT_T0_E_clISt17integral_constantIbLb0EES1B_IbLb1EEEEDaS17_S18_EUlS17_E_NS1_11comp_targetILNS1_3genE5ELNS1_11target_archE942ELNS1_3gpuE9ELNS1_3repE0EEENS1_30default_config_static_selectorELNS0_4arch9wavefront6targetE1EEEvT1_.numbered_sgpr, 0
	.set _ZN7rocprim17ROCPRIM_400000_NS6detail17trampoline_kernelINS0_14default_configENS1_25partition_config_selectorILNS1_17partition_subalgoE8ElNS0_10empty_typeEbEEZZNS1_14partition_implILS5_8ELb0ES3_jPlPS6_PKS6_NS0_5tupleIJS9_S6_EEENSD_IJSA_SA_EEENS0_18inequality_wrapperIZN2at6native12_GLOBAL__N_124unique_dim_cuda_templateItEESt5tupleIJNSH_6TensorESM_SM_EERKSM_lbbbEUlllE0_EEPmJS6_EEE10hipError_tPvRmT3_T4_T5_T6_T7_T9_mT8_P12ihipStream_tbDpT10_ENKUlT_T0_E_clISt17integral_constantIbLb0EES1B_IbLb1EEEEDaS17_S18_EUlS17_E_NS1_11comp_targetILNS1_3genE5ELNS1_11target_archE942ELNS1_3gpuE9ELNS1_3repE0EEENS1_30default_config_static_selectorELNS0_4arch9wavefront6targetE1EEEvT1_.num_named_barrier, 0
	.set _ZN7rocprim17ROCPRIM_400000_NS6detail17trampoline_kernelINS0_14default_configENS1_25partition_config_selectorILNS1_17partition_subalgoE8ElNS0_10empty_typeEbEEZZNS1_14partition_implILS5_8ELb0ES3_jPlPS6_PKS6_NS0_5tupleIJS9_S6_EEENSD_IJSA_SA_EEENS0_18inequality_wrapperIZN2at6native12_GLOBAL__N_124unique_dim_cuda_templateItEESt5tupleIJNSH_6TensorESM_SM_EERKSM_lbbbEUlllE0_EEPmJS6_EEE10hipError_tPvRmT3_T4_T5_T6_T7_T9_mT8_P12ihipStream_tbDpT10_ENKUlT_T0_E_clISt17integral_constantIbLb0EES1B_IbLb1EEEEDaS17_S18_EUlS17_E_NS1_11comp_targetILNS1_3genE5ELNS1_11target_archE942ELNS1_3gpuE9ELNS1_3repE0EEENS1_30default_config_static_selectorELNS0_4arch9wavefront6targetE1EEEvT1_.private_seg_size, 0
	.set _ZN7rocprim17ROCPRIM_400000_NS6detail17trampoline_kernelINS0_14default_configENS1_25partition_config_selectorILNS1_17partition_subalgoE8ElNS0_10empty_typeEbEEZZNS1_14partition_implILS5_8ELb0ES3_jPlPS6_PKS6_NS0_5tupleIJS9_S6_EEENSD_IJSA_SA_EEENS0_18inequality_wrapperIZN2at6native12_GLOBAL__N_124unique_dim_cuda_templateItEESt5tupleIJNSH_6TensorESM_SM_EERKSM_lbbbEUlllE0_EEPmJS6_EEE10hipError_tPvRmT3_T4_T5_T6_T7_T9_mT8_P12ihipStream_tbDpT10_ENKUlT_T0_E_clISt17integral_constantIbLb0EES1B_IbLb1EEEEDaS17_S18_EUlS17_E_NS1_11comp_targetILNS1_3genE5ELNS1_11target_archE942ELNS1_3gpuE9ELNS1_3repE0EEENS1_30default_config_static_selectorELNS0_4arch9wavefront6targetE1EEEvT1_.uses_vcc, 0
	.set _ZN7rocprim17ROCPRIM_400000_NS6detail17trampoline_kernelINS0_14default_configENS1_25partition_config_selectorILNS1_17partition_subalgoE8ElNS0_10empty_typeEbEEZZNS1_14partition_implILS5_8ELb0ES3_jPlPS6_PKS6_NS0_5tupleIJS9_S6_EEENSD_IJSA_SA_EEENS0_18inequality_wrapperIZN2at6native12_GLOBAL__N_124unique_dim_cuda_templateItEESt5tupleIJNSH_6TensorESM_SM_EERKSM_lbbbEUlllE0_EEPmJS6_EEE10hipError_tPvRmT3_T4_T5_T6_T7_T9_mT8_P12ihipStream_tbDpT10_ENKUlT_T0_E_clISt17integral_constantIbLb0EES1B_IbLb1EEEEDaS17_S18_EUlS17_E_NS1_11comp_targetILNS1_3genE5ELNS1_11target_archE942ELNS1_3gpuE9ELNS1_3repE0EEENS1_30default_config_static_selectorELNS0_4arch9wavefront6targetE1EEEvT1_.uses_flat_scratch, 0
	.set _ZN7rocprim17ROCPRIM_400000_NS6detail17trampoline_kernelINS0_14default_configENS1_25partition_config_selectorILNS1_17partition_subalgoE8ElNS0_10empty_typeEbEEZZNS1_14partition_implILS5_8ELb0ES3_jPlPS6_PKS6_NS0_5tupleIJS9_S6_EEENSD_IJSA_SA_EEENS0_18inequality_wrapperIZN2at6native12_GLOBAL__N_124unique_dim_cuda_templateItEESt5tupleIJNSH_6TensorESM_SM_EERKSM_lbbbEUlllE0_EEPmJS6_EEE10hipError_tPvRmT3_T4_T5_T6_T7_T9_mT8_P12ihipStream_tbDpT10_ENKUlT_T0_E_clISt17integral_constantIbLb0EES1B_IbLb1EEEEDaS17_S18_EUlS17_E_NS1_11comp_targetILNS1_3genE5ELNS1_11target_archE942ELNS1_3gpuE9ELNS1_3repE0EEENS1_30default_config_static_selectorELNS0_4arch9wavefront6targetE1EEEvT1_.has_dyn_sized_stack, 0
	.set _ZN7rocprim17ROCPRIM_400000_NS6detail17trampoline_kernelINS0_14default_configENS1_25partition_config_selectorILNS1_17partition_subalgoE8ElNS0_10empty_typeEbEEZZNS1_14partition_implILS5_8ELb0ES3_jPlPS6_PKS6_NS0_5tupleIJS9_S6_EEENSD_IJSA_SA_EEENS0_18inequality_wrapperIZN2at6native12_GLOBAL__N_124unique_dim_cuda_templateItEESt5tupleIJNSH_6TensorESM_SM_EERKSM_lbbbEUlllE0_EEPmJS6_EEE10hipError_tPvRmT3_T4_T5_T6_T7_T9_mT8_P12ihipStream_tbDpT10_ENKUlT_T0_E_clISt17integral_constantIbLb0EES1B_IbLb1EEEEDaS17_S18_EUlS17_E_NS1_11comp_targetILNS1_3genE5ELNS1_11target_archE942ELNS1_3gpuE9ELNS1_3repE0EEENS1_30default_config_static_selectorELNS0_4arch9wavefront6targetE1EEEvT1_.has_recursion, 0
	.set _ZN7rocprim17ROCPRIM_400000_NS6detail17trampoline_kernelINS0_14default_configENS1_25partition_config_selectorILNS1_17partition_subalgoE8ElNS0_10empty_typeEbEEZZNS1_14partition_implILS5_8ELb0ES3_jPlPS6_PKS6_NS0_5tupleIJS9_S6_EEENSD_IJSA_SA_EEENS0_18inequality_wrapperIZN2at6native12_GLOBAL__N_124unique_dim_cuda_templateItEESt5tupleIJNSH_6TensorESM_SM_EERKSM_lbbbEUlllE0_EEPmJS6_EEE10hipError_tPvRmT3_T4_T5_T6_T7_T9_mT8_P12ihipStream_tbDpT10_ENKUlT_T0_E_clISt17integral_constantIbLb0EES1B_IbLb1EEEEDaS17_S18_EUlS17_E_NS1_11comp_targetILNS1_3genE5ELNS1_11target_archE942ELNS1_3gpuE9ELNS1_3repE0EEENS1_30default_config_static_selectorELNS0_4arch9wavefront6targetE1EEEvT1_.has_indirect_call, 0
	.section	.AMDGPU.csdata,"",@progbits
; Kernel info:
; codeLenInByte = 0
; TotalNumSgprs: 6
; NumVgprs: 0
; NumAgprs: 0
; TotalNumVgprs: 0
; ScratchSize: 0
; MemoryBound: 0
; FloatMode: 240
; IeeeMode: 1
; LDSByteSize: 0 bytes/workgroup (compile time only)
; SGPRBlocks: 0
; VGPRBlocks: 0
; NumSGPRsForWavesPerEU: 6
; NumVGPRsForWavesPerEU: 1
; AccumOffset: 4
; Occupancy: 8
; WaveLimiterHint : 0
; COMPUTE_PGM_RSRC2:SCRATCH_EN: 0
; COMPUTE_PGM_RSRC2:USER_SGPR: 2
; COMPUTE_PGM_RSRC2:TRAP_HANDLER: 0
; COMPUTE_PGM_RSRC2:TGID_X_EN: 1
; COMPUTE_PGM_RSRC2:TGID_Y_EN: 0
; COMPUTE_PGM_RSRC2:TGID_Z_EN: 0
; COMPUTE_PGM_RSRC2:TIDIG_COMP_CNT: 0
; COMPUTE_PGM_RSRC3_GFX90A:ACCUM_OFFSET: 0
; COMPUTE_PGM_RSRC3_GFX90A:TG_SPLIT: 0
	.section	.text._ZN7rocprim17ROCPRIM_400000_NS6detail17trampoline_kernelINS0_14default_configENS1_25partition_config_selectorILNS1_17partition_subalgoE8ElNS0_10empty_typeEbEEZZNS1_14partition_implILS5_8ELb0ES3_jPlPS6_PKS6_NS0_5tupleIJS9_S6_EEENSD_IJSA_SA_EEENS0_18inequality_wrapperIZN2at6native12_GLOBAL__N_124unique_dim_cuda_templateItEESt5tupleIJNSH_6TensorESM_SM_EERKSM_lbbbEUlllE0_EEPmJS6_EEE10hipError_tPvRmT3_T4_T5_T6_T7_T9_mT8_P12ihipStream_tbDpT10_ENKUlT_T0_E_clISt17integral_constantIbLb0EES1B_IbLb1EEEEDaS17_S18_EUlS17_E_NS1_11comp_targetILNS1_3genE4ELNS1_11target_archE910ELNS1_3gpuE8ELNS1_3repE0EEENS1_30default_config_static_selectorELNS0_4arch9wavefront6targetE1EEEvT1_,"axG",@progbits,_ZN7rocprim17ROCPRIM_400000_NS6detail17trampoline_kernelINS0_14default_configENS1_25partition_config_selectorILNS1_17partition_subalgoE8ElNS0_10empty_typeEbEEZZNS1_14partition_implILS5_8ELb0ES3_jPlPS6_PKS6_NS0_5tupleIJS9_S6_EEENSD_IJSA_SA_EEENS0_18inequality_wrapperIZN2at6native12_GLOBAL__N_124unique_dim_cuda_templateItEESt5tupleIJNSH_6TensorESM_SM_EERKSM_lbbbEUlllE0_EEPmJS6_EEE10hipError_tPvRmT3_T4_T5_T6_T7_T9_mT8_P12ihipStream_tbDpT10_ENKUlT_T0_E_clISt17integral_constantIbLb0EES1B_IbLb1EEEEDaS17_S18_EUlS17_E_NS1_11comp_targetILNS1_3genE4ELNS1_11target_archE910ELNS1_3gpuE8ELNS1_3repE0EEENS1_30default_config_static_selectorELNS0_4arch9wavefront6targetE1EEEvT1_,comdat
	.globl	_ZN7rocprim17ROCPRIM_400000_NS6detail17trampoline_kernelINS0_14default_configENS1_25partition_config_selectorILNS1_17partition_subalgoE8ElNS0_10empty_typeEbEEZZNS1_14partition_implILS5_8ELb0ES3_jPlPS6_PKS6_NS0_5tupleIJS9_S6_EEENSD_IJSA_SA_EEENS0_18inequality_wrapperIZN2at6native12_GLOBAL__N_124unique_dim_cuda_templateItEESt5tupleIJNSH_6TensorESM_SM_EERKSM_lbbbEUlllE0_EEPmJS6_EEE10hipError_tPvRmT3_T4_T5_T6_T7_T9_mT8_P12ihipStream_tbDpT10_ENKUlT_T0_E_clISt17integral_constantIbLb0EES1B_IbLb1EEEEDaS17_S18_EUlS17_E_NS1_11comp_targetILNS1_3genE4ELNS1_11target_archE910ELNS1_3gpuE8ELNS1_3repE0EEENS1_30default_config_static_selectorELNS0_4arch9wavefront6targetE1EEEvT1_ ; -- Begin function _ZN7rocprim17ROCPRIM_400000_NS6detail17trampoline_kernelINS0_14default_configENS1_25partition_config_selectorILNS1_17partition_subalgoE8ElNS0_10empty_typeEbEEZZNS1_14partition_implILS5_8ELb0ES3_jPlPS6_PKS6_NS0_5tupleIJS9_S6_EEENSD_IJSA_SA_EEENS0_18inequality_wrapperIZN2at6native12_GLOBAL__N_124unique_dim_cuda_templateItEESt5tupleIJNSH_6TensorESM_SM_EERKSM_lbbbEUlllE0_EEPmJS6_EEE10hipError_tPvRmT3_T4_T5_T6_T7_T9_mT8_P12ihipStream_tbDpT10_ENKUlT_T0_E_clISt17integral_constantIbLb0EES1B_IbLb1EEEEDaS17_S18_EUlS17_E_NS1_11comp_targetILNS1_3genE4ELNS1_11target_archE910ELNS1_3gpuE8ELNS1_3repE0EEENS1_30default_config_static_selectorELNS0_4arch9wavefront6targetE1EEEvT1_
	.p2align	8
	.type	_ZN7rocprim17ROCPRIM_400000_NS6detail17trampoline_kernelINS0_14default_configENS1_25partition_config_selectorILNS1_17partition_subalgoE8ElNS0_10empty_typeEbEEZZNS1_14partition_implILS5_8ELb0ES3_jPlPS6_PKS6_NS0_5tupleIJS9_S6_EEENSD_IJSA_SA_EEENS0_18inequality_wrapperIZN2at6native12_GLOBAL__N_124unique_dim_cuda_templateItEESt5tupleIJNSH_6TensorESM_SM_EERKSM_lbbbEUlllE0_EEPmJS6_EEE10hipError_tPvRmT3_T4_T5_T6_T7_T9_mT8_P12ihipStream_tbDpT10_ENKUlT_T0_E_clISt17integral_constantIbLb0EES1B_IbLb1EEEEDaS17_S18_EUlS17_E_NS1_11comp_targetILNS1_3genE4ELNS1_11target_archE910ELNS1_3gpuE8ELNS1_3repE0EEENS1_30default_config_static_selectorELNS0_4arch9wavefront6targetE1EEEvT1_,@function
_ZN7rocprim17ROCPRIM_400000_NS6detail17trampoline_kernelINS0_14default_configENS1_25partition_config_selectorILNS1_17partition_subalgoE8ElNS0_10empty_typeEbEEZZNS1_14partition_implILS5_8ELb0ES3_jPlPS6_PKS6_NS0_5tupleIJS9_S6_EEENSD_IJSA_SA_EEENS0_18inequality_wrapperIZN2at6native12_GLOBAL__N_124unique_dim_cuda_templateItEESt5tupleIJNSH_6TensorESM_SM_EERKSM_lbbbEUlllE0_EEPmJS6_EEE10hipError_tPvRmT3_T4_T5_T6_T7_T9_mT8_P12ihipStream_tbDpT10_ENKUlT_T0_E_clISt17integral_constantIbLb0EES1B_IbLb1EEEEDaS17_S18_EUlS17_E_NS1_11comp_targetILNS1_3genE4ELNS1_11target_archE910ELNS1_3gpuE8ELNS1_3repE0EEENS1_30default_config_static_selectorELNS0_4arch9wavefront6targetE1EEEvT1_: ; @_ZN7rocprim17ROCPRIM_400000_NS6detail17trampoline_kernelINS0_14default_configENS1_25partition_config_selectorILNS1_17partition_subalgoE8ElNS0_10empty_typeEbEEZZNS1_14partition_implILS5_8ELb0ES3_jPlPS6_PKS6_NS0_5tupleIJS9_S6_EEENSD_IJSA_SA_EEENS0_18inequality_wrapperIZN2at6native12_GLOBAL__N_124unique_dim_cuda_templateItEESt5tupleIJNSH_6TensorESM_SM_EERKSM_lbbbEUlllE0_EEPmJS6_EEE10hipError_tPvRmT3_T4_T5_T6_T7_T9_mT8_P12ihipStream_tbDpT10_ENKUlT_T0_E_clISt17integral_constantIbLb0EES1B_IbLb1EEEEDaS17_S18_EUlS17_E_NS1_11comp_targetILNS1_3genE4ELNS1_11target_archE910ELNS1_3gpuE8ELNS1_3repE0EEENS1_30default_config_static_selectorELNS0_4arch9wavefront6targetE1EEEvT1_
; %bb.0:
	.section	.rodata,"a",@progbits
	.p2align	6, 0x0
	.amdhsa_kernel _ZN7rocprim17ROCPRIM_400000_NS6detail17trampoline_kernelINS0_14default_configENS1_25partition_config_selectorILNS1_17partition_subalgoE8ElNS0_10empty_typeEbEEZZNS1_14partition_implILS5_8ELb0ES3_jPlPS6_PKS6_NS0_5tupleIJS9_S6_EEENSD_IJSA_SA_EEENS0_18inequality_wrapperIZN2at6native12_GLOBAL__N_124unique_dim_cuda_templateItEESt5tupleIJNSH_6TensorESM_SM_EERKSM_lbbbEUlllE0_EEPmJS6_EEE10hipError_tPvRmT3_T4_T5_T6_T7_T9_mT8_P12ihipStream_tbDpT10_ENKUlT_T0_E_clISt17integral_constantIbLb0EES1B_IbLb1EEEEDaS17_S18_EUlS17_E_NS1_11comp_targetILNS1_3genE4ELNS1_11target_archE910ELNS1_3gpuE8ELNS1_3repE0EEENS1_30default_config_static_selectorELNS0_4arch9wavefront6targetE1EEEvT1_
		.amdhsa_group_segment_fixed_size 0
		.amdhsa_private_segment_fixed_size 0
		.amdhsa_kernarg_size 136
		.amdhsa_user_sgpr_count 2
		.amdhsa_user_sgpr_dispatch_ptr 0
		.amdhsa_user_sgpr_queue_ptr 0
		.amdhsa_user_sgpr_kernarg_segment_ptr 1
		.amdhsa_user_sgpr_dispatch_id 0
		.amdhsa_user_sgpr_kernarg_preload_length 0
		.amdhsa_user_sgpr_kernarg_preload_offset 0
		.amdhsa_user_sgpr_private_segment_size 0
		.amdhsa_uses_dynamic_stack 0
		.amdhsa_enable_private_segment 0
		.amdhsa_system_sgpr_workgroup_id_x 1
		.amdhsa_system_sgpr_workgroup_id_y 0
		.amdhsa_system_sgpr_workgroup_id_z 0
		.amdhsa_system_sgpr_workgroup_info 0
		.amdhsa_system_vgpr_workitem_id 0
		.amdhsa_next_free_vgpr 1
		.amdhsa_next_free_sgpr 0
		.amdhsa_accum_offset 4
		.amdhsa_reserve_vcc 0
		.amdhsa_float_round_mode_32 0
		.amdhsa_float_round_mode_16_64 0
		.amdhsa_float_denorm_mode_32 3
		.amdhsa_float_denorm_mode_16_64 3
		.amdhsa_dx10_clamp 1
		.amdhsa_ieee_mode 1
		.amdhsa_fp16_overflow 0
		.amdhsa_tg_split 0
		.amdhsa_exception_fp_ieee_invalid_op 0
		.amdhsa_exception_fp_denorm_src 0
		.amdhsa_exception_fp_ieee_div_zero 0
		.amdhsa_exception_fp_ieee_overflow 0
		.amdhsa_exception_fp_ieee_underflow 0
		.amdhsa_exception_fp_ieee_inexact 0
		.amdhsa_exception_int_div_zero 0
	.end_amdhsa_kernel
	.section	.text._ZN7rocprim17ROCPRIM_400000_NS6detail17trampoline_kernelINS0_14default_configENS1_25partition_config_selectorILNS1_17partition_subalgoE8ElNS0_10empty_typeEbEEZZNS1_14partition_implILS5_8ELb0ES3_jPlPS6_PKS6_NS0_5tupleIJS9_S6_EEENSD_IJSA_SA_EEENS0_18inequality_wrapperIZN2at6native12_GLOBAL__N_124unique_dim_cuda_templateItEESt5tupleIJNSH_6TensorESM_SM_EERKSM_lbbbEUlllE0_EEPmJS6_EEE10hipError_tPvRmT3_T4_T5_T6_T7_T9_mT8_P12ihipStream_tbDpT10_ENKUlT_T0_E_clISt17integral_constantIbLb0EES1B_IbLb1EEEEDaS17_S18_EUlS17_E_NS1_11comp_targetILNS1_3genE4ELNS1_11target_archE910ELNS1_3gpuE8ELNS1_3repE0EEENS1_30default_config_static_selectorELNS0_4arch9wavefront6targetE1EEEvT1_,"axG",@progbits,_ZN7rocprim17ROCPRIM_400000_NS6detail17trampoline_kernelINS0_14default_configENS1_25partition_config_selectorILNS1_17partition_subalgoE8ElNS0_10empty_typeEbEEZZNS1_14partition_implILS5_8ELb0ES3_jPlPS6_PKS6_NS0_5tupleIJS9_S6_EEENSD_IJSA_SA_EEENS0_18inequality_wrapperIZN2at6native12_GLOBAL__N_124unique_dim_cuda_templateItEESt5tupleIJNSH_6TensorESM_SM_EERKSM_lbbbEUlllE0_EEPmJS6_EEE10hipError_tPvRmT3_T4_T5_T6_T7_T9_mT8_P12ihipStream_tbDpT10_ENKUlT_T0_E_clISt17integral_constantIbLb0EES1B_IbLb1EEEEDaS17_S18_EUlS17_E_NS1_11comp_targetILNS1_3genE4ELNS1_11target_archE910ELNS1_3gpuE8ELNS1_3repE0EEENS1_30default_config_static_selectorELNS0_4arch9wavefront6targetE1EEEvT1_,comdat
.Lfunc_end1445:
	.size	_ZN7rocprim17ROCPRIM_400000_NS6detail17trampoline_kernelINS0_14default_configENS1_25partition_config_selectorILNS1_17partition_subalgoE8ElNS0_10empty_typeEbEEZZNS1_14partition_implILS5_8ELb0ES3_jPlPS6_PKS6_NS0_5tupleIJS9_S6_EEENSD_IJSA_SA_EEENS0_18inequality_wrapperIZN2at6native12_GLOBAL__N_124unique_dim_cuda_templateItEESt5tupleIJNSH_6TensorESM_SM_EERKSM_lbbbEUlllE0_EEPmJS6_EEE10hipError_tPvRmT3_T4_T5_T6_T7_T9_mT8_P12ihipStream_tbDpT10_ENKUlT_T0_E_clISt17integral_constantIbLb0EES1B_IbLb1EEEEDaS17_S18_EUlS17_E_NS1_11comp_targetILNS1_3genE4ELNS1_11target_archE910ELNS1_3gpuE8ELNS1_3repE0EEENS1_30default_config_static_selectorELNS0_4arch9wavefront6targetE1EEEvT1_, .Lfunc_end1445-_ZN7rocprim17ROCPRIM_400000_NS6detail17trampoline_kernelINS0_14default_configENS1_25partition_config_selectorILNS1_17partition_subalgoE8ElNS0_10empty_typeEbEEZZNS1_14partition_implILS5_8ELb0ES3_jPlPS6_PKS6_NS0_5tupleIJS9_S6_EEENSD_IJSA_SA_EEENS0_18inequality_wrapperIZN2at6native12_GLOBAL__N_124unique_dim_cuda_templateItEESt5tupleIJNSH_6TensorESM_SM_EERKSM_lbbbEUlllE0_EEPmJS6_EEE10hipError_tPvRmT3_T4_T5_T6_T7_T9_mT8_P12ihipStream_tbDpT10_ENKUlT_T0_E_clISt17integral_constantIbLb0EES1B_IbLb1EEEEDaS17_S18_EUlS17_E_NS1_11comp_targetILNS1_3genE4ELNS1_11target_archE910ELNS1_3gpuE8ELNS1_3repE0EEENS1_30default_config_static_selectorELNS0_4arch9wavefront6targetE1EEEvT1_
                                        ; -- End function
	.set _ZN7rocprim17ROCPRIM_400000_NS6detail17trampoline_kernelINS0_14default_configENS1_25partition_config_selectorILNS1_17partition_subalgoE8ElNS0_10empty_typeEbEEZZNS1_14partition_implILS5_8ELb0ES3_jPlPS6_PKS6_NS0_5tupleIJS9_S6_EEENSD_IJSA_SA_EEENS0_18inequality_wrapperIZN2at6native12_GLOBAL__N_124unique_dim_cuda_templateItEESt5tupleIJNSH_6TensorESM_SM_EERKSM_lbbbEUlllE0_EEPmJS6_EEE10hipError_tPvRmT3_T4_T5_T6_T7_T9_mT8_P12ihipStream_tbDpT10_ENKUlT_T0_E_clISt17integral_constantIbLb0EES1B_IbLb1EEEEDaS17_S18_EUlS17_E_NS1_11comp_targetILNS1_3genE4ELNS1_11target_archE910ELNS1_3gpuE8ELNS1_3repE0EEENS1_30default_config_static_selectorELNS0_4arch9wavefront6targetE1EEEvT1_.num_vgpr, 0
	.set _ZN7rocprim17ROCPRIM_400000_NS6detail17trampoline_kernelINS0_14default_configENS1_25partition_config_selectorILNS1_17partition_subalgoE8ElNS0_10empty_typeEbEEZZNS1_14partition_implILS5_8ELb0ES3_jPlPS6_PKS6_NS0_5tupleIJS9_S6_EEENSD_IJSA_SA_EEENS0_18inequality_wrapperIZN2at6native12_GLOBAL__N_124unique_dim_cuda_templateItEESt5tupleIJNSH_6TensorESM_SM_EERKSM_lbbbEUlllE0_EEPmJS6_EEE10hipError_tPvRmT3_T4_T5_T6_T7_T9_mT8_P12ihipStream_tbDpT10_ENKUlT_T0_E_clISt17integral_constantIbLb0EES1B_IbLb1EEEEDaS17_S18_EUlS17_E_NS1_11comp_targetILNS1_3genE4ELNS1_11target_archE910ELNS1_3gpuE8ELNS1_3repE0EEENS1_30default_config_static_selectorELNS0_4arch9wavefront6targetE1EEEvT1_.num_agpr, 0
	.set _ZN7rocprim17ROCPRIM_400000_NS6detail17trampoline_kernelINS0_14default_configENS1_25partition_config_selectorILNS1_17partition_subalgoE8ElNS0_10empty_typeEbEEZZNS1_14partition_implILS5_8ELb0ES3_jPlPS6_PKS6_NS0_5tupleIJS9_S6_EEENSD_IJSA_SA_EEENS0_18inequality_wrapperIZN2at6native12_GLOBAL__N_124unique_dim_cuda_templateItEESt5tupleIJNSH_6TensorESM_SM_EERKSM_lbbbEUlllE0_EEPmJS6_EEE10hipError_tPvRmT3_T4_T5_T6_T7_T9_mT8_P12ihipStream_tbDpT10_ENKUlT_T0_E_clISt17integral_constantIbLb0EES1B_IbLb1EEEEDaS17_S18_EUlS17_E_NS1_11comp_targetILNS1_3genE4ELNS1_11target_archE910ELNS1_3gpuE8ELNS1_3repE0EEENS1_30default_config_static_selectorELNS0_4arch9wavefront6targetE1EEEvT1_.numbered_sgpr, 0
	.set _ZN7rocprim17ROCPRIM_400000_NS6detail17trampoline_kernelINS0_14default_configENS1_25partition_config_selectorILNS1_17partition_subalgoE8ElNS0_10empty_typeEbEEZZNS1_14partition_implILS5_8ELb0ES3_jPlPS6_PKS6_NS0_5tupleIJS9_S6_EEENSD_IJSA_SA_EEENS0_18inequality_wrapperIZN2at6native12_GLOBAL__N_124unique_dim_cuda_templateItEESt5tupleIJNSH_6TensorESM_SM_EERKSM_lbbbEUlllE0_EEPmJS6_EEE10hipError_tPvRmT3_T4_T5_T6_T7_T9_mT8_P12ihipStream_tbDpT10_ENKUlT_T0_E_clISt17integral_constantIbLb0EES1B_IbLb1EEEEDaS17_S18_EUlS17_E_NS1_11comp_targetILNS1_3genE4ELNS1_11target_archE910ELNS1_3gpuE8ELNS1_3repE0EEENS1_30default_config_static_selectorELNS0_4arch9wavefront6targetE1EEEvT1_.num_named_barrier, 0
	.set _ZN7rocprim17ROCPRIM_400000_NS6detail17trampoline_kernelINS0_14default_configENS1_25partition_config_selectorILNS1_17partition_subalgoE8ElNS0_10empty_typeEbEEZZNS1_14partition_implILS5_8ELb0ES3_jPlPS6_PKS6_NS0_5tupleIJS9_S6_EEENSD_IJSA_SA_EEENS0_18inequality_wrapperIZN2at6native12_GLOBAL__N_124unique_dim_cuda_templateItEESt5tupleIJNSH_6TensorESM_SM_EERKSM_lbbbEUlllE0_EEPmJS6_EEE10hipError_tPvRmT3_T4_T5_T6_T7_T9_mT8_P12ihipStream_tbDpT10_ENKUlT_T0_E_clISt17integral_constantIbLb0EES1B_IbLb1EEEEDaS17_S18_EUlS17_E_NS1_11comp_targetILNS1_3genE4ELNS1_11target_archE910ELNS1_3gpuE8ELNS1_3repE0EEENS1_30default_config_static_selectorELNS0_4arch9wavefront6targetE1EEEvT1_.private_seg_size, 0
	.set _ZN7rocprim17ROCPRIM_400000_NS6detail17trampoline_kernelINS0_14default_configENS1_25partition_config_selectorILNS1_17partition_subalgoE8ElNS0_10empty_typeEbEEZZNS1_14partition_implILS5_8ELb0ES3_jPlPS6_PKS6_NS0_5tupleIJS9_S6_EEENSD_IJSA_SA_EEENS0_18inequality_wrapperIZN2at6native12_GLOBAL__N_124unique_dim_cuda_templateItEESt5tupleIJNSH_6TensorESM_SM_EERKSM_lbbbEUlllE0_EEPmJS6_EEE10hipError_tPvRmT3_T4_T5_T6_T7_T9_mT8_P12ihipStream_tbDpT10_ENKUlT_T0_E_clISt17integral_constantIbLb0EES1B_IbLb1EEEEDaS17_S18_EUlS17_E_NS1_11comp_targetILNS1_3genE4ELNS1_11target_archE910ELNS1_3gpuE8ELNS1_3repE0EEENS1_30default_config_static_selectorELNS0_4arch9wavefront6targetE1EEEvT1_.uses_vcc, 0
	.set _ZN7rocprim17ROCPRIM_400000_NS6detail17trampoline_kernelINS0_14default_configENS1_25partition_config_selectorILNS1_17partition_subalgoE8ElNS0_10empty_typeEbEEZZNS1_14partition_implILS5_8ELb0ES3_jPlPS6_PKS6_NS0_5tupleIJS9_S6_EEENSD_IJSA_SA_EEENS0_18inequality_wrapperIZN2at6native12_GLOBAL__N_124unique_dim_cuda_templateItEESt5tupleIJNSH_6TensorESM_SM_EERKSM_lbbbEUlllE0_EEPmJS6_EEE10hipError_tPvRmT3_T4_T5_T6_T7_T9_mT8_P12ihipStream_tbDpT10_ENKUlT_T0_E_clISt17integral_constantIbLb0EES1B_IbLb1EEEEDaS17_S18_EUlS17_E_NS1_11comp_targetILNS1_3genE4ELNS1_11target_archE910ELNS1_3gpuE8ELNS1_3repE0EEENS1_30default_config_static_selectorELNS0_4arch9wavefront6targetE1EEEvT1_.uses_flat_scratch, 0
	.set _ZN7rocprim17ROCPRIM_400000_NS6detail17trampoline_kernelINS0_14default_configENS1_25partition_config_selectorILNS1_17partition_subalgoE8ElNS0_10empty_typeEbEEZZNS1_14partition_implILS5_8ELb0ES3_jPlPS6_PKS6_NS0_5tupleIJS9_S6_EEENSD_IJSA_SA_EEENS0_18inequality_wrapperIZN2at6native12_GLOBAL__N_124unique_dim_cuda_templateItEESt5tupleIJNSH_6TensorESM_SM_EERKSM_lbbbEUlllE0_EEPmJS6_EEE10hipError_tPvRmT3_T4_T5_T6_T7_T9_mT8_P12ihipStream_tbDpT10_ENKUlT_T0_E_clISt17integral_constantIbLb0EES1B_IbLb1EEEEDaS17_S18_EUlS17_E_NS1_11comp_targetILNS1_3genE4ELNS1_11target_archE910ELNS1_3gpuE8ELNS1_3repE0EEENS1_30default_config_static_selectorELNS0_4arch9wavefront6targetE1EEEvT1_.has_dyn_sized_stack, 0
	.set _ZN7rocprim17ROCPRIM_400000_NS6detail17trampoline_kernelINS0_14default_configENS1_25partition_config_selectorILNS1_17partition_subalgoE8ElNS0_10empty_typeEbEEZZNS1_14partition_implILS5_8ELb0ES3_jPlPS6_PKS6_NS0_5tupleIJS9_S6_EEENSD_IJSA_SA_EEENS0_18inequality_wrapperIZN2at6native12_GLOBAL__N_124unique_dim_cuda_templateItEESt5tupleIJNSH_6TensorESM_SM_EERKSM_lbbbEUlllE0_EEPmJS6_EEE10hipError_tPvRmT3_T4_T5_T6_T7_T9_mT8_P12ihipStream_tbDpT10_ENKUlT_T0_E_clISt17integral_constantIbLb0EES1B_IbLb1EEEEDaS17_S18_EUlS17_E_NS1_11comp_targetILNS1_3genE4ELNS1_11target_archE910ELNS1_3gpuE8ELNS1_3repE0EEENS1_30default_config_static_selectorELNS0_4arch9wavefront6targetE1EEEvT1_.has_recursion, 0
	.set _ZN7rocprim17ROCPRIM_400000_NS6detail17trampoline_kernelINS0_14default_configENS1_25partition_config_selectorILNS1_17partition_subalgoE8ElNS0_10empty_typeEbEEZZNS1_14partition_implILS5_8ELb0ES3_jPlPS6_PKS6_NS0_5tupleIJS9_S6_EEENSD_IJSA_SA_EEENS0_18inequality_wrapperIZN2at6native12_GLOBAL__N_124unique_dim_cuda_templateItEESt5tupleIJNSH_6TensorESM_SM_EERKSM_lbbbEUlllE0_EEPmJS6_EEE10hipError_tPvRmT3_T4_T5_T6_T7_T9_mT8_P12ihipStream_tbDpT10_ENKUlT_T0_E_clISt17integral_constantIbLb0EES1B_IbLb1EEEEDaS17_S18_EUlS17_E_NS1_11comp_targetILNS1_3genE4ELNS1_11target_archE910ELNS1_3gpuE8ELNS1_3repE0EEENS1_30default_config_static_selectorELNS0_4arch9wavefront6targetE1EEEvT1_.has_indirect_call, 0
	.section	.AMDGPU.csdata,"",@progbits
; Kernel info:
; codeLenInByte = 0
; TotalNumSgprs: 6
; NumVgprs: 0
; NumAgprs: 0
; TotalNumVgprs: 0
; ScratchSize: 0
; MemoryBound: 0
; FloatMode: 240
; IeeeMode: 1
; LDSByteSize: 0 bytes/workgroup (compile time only)
; SGPRBlocks: 0
; VGPRBlocks: 0
; NumSGPRsForWavesPerEU: 6
; NumVGPRsForWavesPerEU: 1
; AccumOffset: 4
; Occupancy: 8
; WaveLimiterHint : 0
; COMPUTE_PGM_RSRC2:SCRATCH_EN: 0
; COMPUTE_PGM_RSRC2:USER_SGPR: 2
; COMPUTE_PGM_RSRC2:TRAP_HANDLER: 0
; COMPUTE_PGM_RSRC2:TGID_X_EN: 1
; COMPUTE_PGM_RSRC2:TGID_Y_EN: 0
; COMPUTE_PGM_RSRC2:TGID_Z_EN: 0
; COMPUTE_PGM_RSRC2:TIDIG_COMP_CNT: 0
; COMPUTE_PGM_RSRC3_GFX90A:ACCUM_OFFSET: 0
; COMPUTE_PGM_RSRC3_GFX90A:TG_SPLIT: 0
	.section	.text._ZN7rocprim17ROCPRIM_400000_NS6detail17trampoline_kernelINS0_14default_configENS1_25partition_config_selectorILNS1_17partition_subalgoE8ElNS0_10empty_typeEbEEZZNS1_14partition_implILS5_8ELb0ES3_jPlPS6_PKS6_NS0_5tupleIJS9_S6_EEENSD_IJSA_SA_EEENS0_18inequality_wrapperIZN2at6native12_GLOBAL__N_124unique_dim_cuda_templateItEESt5tupleIJNSH_6TensorESM_SM_EERKSM_lbbbEUlllE0_EEPmJS6_EEE10hipError_tPvRmT3_T4_T5_T6_T7_T9_mT8_P12ihipStream_tbDpT10_ENKUlT_T0_E_clISt17integral_constantIbLb0EES1B_IbLb1EEEEDaS17_S18_EUlS17_E_NS1_11comp_targetILNS1_3genE3ELNS1_11target_archE908ELNS1_3gpuE7ELNS1_3repE0EEENS1_30default_config_static_selectorELNS0_4arch9wavefront6targetE1EEEvT1_,"axG",@progbits,_ZN7rocprim17ROCPRIM_400000_NS6detail17trampoline_kernelINS0_14default_configENS1_25partition_config_selectorILNS1_17partition_subalgoE8ElNS0_10empty_typeEbEEZZNS1_14partition_implILS5_8ELb0ES3_jPlPS6_PKS6_NS0_5tupleIJS9_S6_EEENSD_IJSA_SA_EEENS0_18inequality_wrapperIZN2at6native12_GLOBAL__N_124unique_dim_cuda_templateItEESt5tupleIJNSH_6TensorESM_SM_EERKSM_lbbbEUlllE0_EEPmJS6_EEE10hipError_tPvRmT3_T4_T5_T6_T7_T9_mT8_P12ihipStream_tbDpT10_ENKUlT_T0_E_clISt17integral_constantIbLb0EES1B_IbLb1EEEEDaS17_S18_EUlS17_E_NS1_11comp_targetILNS1_3genE3ELNS1_11target_archE908ELNS1_3gpuE7ELNS1_3repE0EEENS1_30default_config_static_selectorELNS0_4arch9wavefront6targetE1EEEvT1_,comdat
	.globl	_ZN7rocprim17ROCPRIM_400000_NS6detail17trampoline_kernelINS0_14default_configENS1_25partition_config_selectorILNS1_17partition_subalgoE8ElNS0_10empty_typeEbEEZZNS1_14partition_implILS5_8ELb0ES3_jPlPS6_PKS6_NS0_5tupleIJS9_S6_EEENSD_IJSA_SA_EEENS0_18inequality_wrapperIZN2at6native12_GLOBAL__N_124unique_dim_cuda_templateItEESt5tupleIJNSH_6TensorESM_SM_EERKSM_lbbbEUlllE0_EEPmJS6_EEE10hipError_tPvRmT3_T4_T5_T6_T7_T9_mT8_P12ihipStream_tbDpT10_ENKUlT_T0_E_clISt17integral_constantIbLb0EES1B_IbLb1EEEEDaS17_S18_EUlS17_E_NS1_11comp_targetILNS1_3genE3ELNS1_11target_archE908ELNS1_3gpuE7ELNS1_3repE0EEENS1_30default_config_static_selectorELNS0_4arch9wavefront6targetE1EEEvT1_ ; -- Begin function _ZN7rocprim17ROCPRIM_400000_NS6detail17trampoline_kernelINS0_14default_configENS1_25partition_config_selectorILNS1_17partition_subalgoE8ElNS0_10empty_typeEbEEZZNS1_14partition_implILS5_8ELb0ES3_jPlPS6_PKS6_NS0_5tupleIJS9_S6_EEENSD_IJSA_SA_EEENS0_18inequality_wrapperIZN2at6native12_GLOBAL__N_124unique_dim_cuda_templateItEESt5tupleIJNSH_6TensorESM_SM_EERKSM_lbbbEUlllE0_EEPmJS6_EEE10hipError_tPvRmT3_T4_T5_T6_T7_T9_mT8_P12ihipStream_tbDpT10_ENKUlT_T0_E_clISt17integral_constantIbLb0EES1B_IbLb1EEEEDaS17_S18_EUlS17_E_NS1_11comp_targetILNS1_3genE3ELNS1_11target_archE908ELNS1_3gpuE7ELNS1_3repE0EEENS1_30default_config_static_selectorELNS0_4arch9wavefront6targetE1EEEvT1_
	.p2align	8
	.type	_ZN7rocprim17ROCPRIM_400000_NS6detail17trampoline_kernelINS0_14default_configENS1_25partition_config_selectorILNS1_17partition_subalgoE8ElNS0_10empty_typeEbEEZZNS1_14partition_implILS5_8ELb0ES3_jPlPS6_PKS6_NS0_5tupleIJS9_S6_EEENSD_IJSA_SA_EEENS0_18inequality_wrapperIZN2at6native12_GLOBAL__N_124unique_dim_cuda_templateItEESt5tupleIJNSH_6TensorESM_SM_EERKSM_lbbbEUlllE0_EEPmJS6_EEE10hipError_tPvRmT3_T4_T5_T6_T7_T9_mT8_P12ihipStream_tbDpT10_ENKUlT_T0_E_clISt17integral_constantIbLb0EES1B_IbLb1EEEEDaS17_S18_EUlS17_E_NS1_11comp_targetILNS1_3genE3ELNS1_11target_archE908ELNS1_3gpuE7ELNS1_3repE0EEENS1_30default_config_static_selectorELNS0_4arch9wavefront6targetE1EEEvT1_,@function
_ZN7rocprim17ROCPRIM_400000_NS6detail17trampoline_kernelINS0_14default_configENS1_25partition_config_selectorILNS1_17partition_subalgoE8ElNS0_10empty_typeEbEEZZNS1_14partition_implILS5_8ELb0ES3_jPlPS6_PKS6_NS0_5tupleIJS9_S6_EEENSD_IJSA_SA_EEENS0_18inequality_wrapperIZN2at6native12_GLOBAL__N_124unique_dim_cuda_templateItEESt5tupleIJNSH_6TensorESM_SM_EERKSM_lbbbEUlllE0_EEPmJS6_EEE10hipError_tPvRmT3_T4_T5_T6_T7_T9_mT8_P12ihipStream_tbDpT10_ENKUlT_T0_E_clISt17integral_constantIbLb0EES1B_IbLb1EEEEDaS17_S18_EUlS17_E_NS1_11comp_targetILNS1_3genE3ELNS1_11target_archE908ELNS1_3gpuE7ELNS1_3repE0EEENS1_30default_config_static_selectorELNS0_4arch9wavefront6targetE1EEEvT1_: ; @_ZN7rocprim17ROCPRIM_400000_NS6detail17trampoline_kernelINS0_14default_configENS1_25partition_config_selectorILNS1_17partition_subalgoE8ElNS0_10empty_typeEbEEZZNS1_14partition_implILS5_8ELb0ES3_jPlPS6_PKS6_NS0_5tupleIJS9_S6_EEENSD_IJSA_SA_EEENS0_18inequality_wrapperIZN2at6native12_GLOBAL__N_124unique_dim_cuda_templateItEESt5tupleIJNSH_6TensorESM_SM_EERKSM_lbbbEUlllE0_EEPmJS6_EEE10hipError_tPvRmT3_T4_T5_T6_T7_T9_mT8_P12ihipStream_tbDpT10_ENKUlT_T0_E_clISt17integral_constantIbLb0EES1B_IbLb1EEEEDaS17_S18_EUlS17_E_NS1_11comp_targetILNS1_3genE3ELNS1_11target_archE908ELNS1_3gpuE7ELNS1_3repE0EEENS1_30default_config_static_selectorELNS0_4arch9wavefront6targetE1EEEvT1_
; %bb.0:
	.section	.rodata,"a",@progbits
	.p2align	6, 0x0
	.amdhsa_kernel _ZN7rocprim17ROCPRIM_400000_NS6detail17trampoline_kernelINS0_14default_configENS1_25partition_config_selectorILNS1_17partition_subalgoE8ElNS0_10empty_typeEbEEZZNS1_14partition_implILS5_8ELb0ES3_jPlPS6_PKS6_NS0_5tupleIJS9_S6_EEENSD_IJSA_SA_EEENS0_18inequality_wrapperIZN2at6native12_GLOBAL__N_124unique_dim_cuda_templateItEESt5tupleIJNSH_6TensorESM_SM_EERKSM_lbbbEUlllE0_EEPmJS6_EEE10hipError_tPvRmT3_T4_T5_T6_T7_T9_mT8_P12ihipStream_tbDpT10_ENKUlT_T0_E_clISt17integral_constantIbLb0EES1B_IbLb1EEEEDaS17_S18_EUlS17_E_NS1_11comp_targetILNS1_3genE3ELNS1_11target_archE908ELNS1_3gpuE7ELNS1_3repE0EEENS1_30default_config_static_selectorELNS0_4arch9wavefront6targetE1EEEvT1_
		.amdhsa_group_segment_fixed_size 0
		.amdhsa_private_segment_fixed_size 0
		.amdhsa_kernarg_size 136
		.amdhsa_user_sgpr_count 2
		.amdhsa_user_sgpr_dispatch_ptr 0
		.amdhsa_user_sgpr_queue_ptr 0
		.amdhsa_user_sgpr_kernarg_segment_ptr 1
		.amdhsa_user_sgpr_dispatch_id 0
		.amdhsa_user_sgpr_kernarg_preload_length 0
		.amdhsa_user_sgpr_kernarg_preload_offset 0
		.amdhsa_user_sgpr_private_segment_size 0
		.amdhsa_uses_dynamic_stack 0
		.amdhsa_enable_private_segment 0
		.amdhsa_system_sgpr_workgroup_id_x 1
		.amdhsa_system_sgpr_workgroup_id_y 0
		.amdhsa_system_sgpr_workgroup_id_z 0
		.amdhsa_system_sgpr_workgroup_info 0
		.amdhsa_system_vgpr_workitem_id 0
		.amdhsa_next_free_vgpr 1
		.amdhsa_next_free_sgpr 0
		.amdhsa_accum_offset 4
		.amdhsa_reserve_vcc 0
		.amdhsa_float_round_mode_32 0
		.amdhsa_float_round_mode_16_64 0
		.amdhsa_float_denorm_mode_32 3
		.amdhsa_float_denorm_mode_16_64 3
		.amdhsa_dx10_clamp 1
		.amdhsa_ieee_mode 1
		.amdhsa_fp16_overflow 0
		.amdhsa_tg_split 0
		.amdhsa_exception_fp_ieee_invalid_op 0
		.amdhsa_exception_fp_denorm_src 0
		.amdhsa_exception_fp_ieee_div_zero 0
		.amdhsa_exception_fp_ieee_overflow 0
		.amdhsa_exception_fp_ieee_underflow 0
		.amdhsa_exception_fp_ieee_inexact 0
		.amdhsa_exception_int_div_zero 0
	.end_amdhsa_kernel
	.section	.text._ZN7rocprim17ROCPRIM_400000_NS6detail17trampoline_kernelINS0_14default_configENS1_25partition_config_selectorILNS1_17partition_subalgoE8ElNS0_10empty_typeEbEEZZNS1_14partition_implILS5_8ELb0ES3_jPlPS6_PKS6_NS0_5tupleIJS9_S6_EEENSD_IJSA_SA_EEENS0_18inequality_wrapperIZN2at6native12_GLOBAL__N_124unique_dim_cuda_templateItEESt5tupleIJNSH_6TensorESM_SM_EERKSM_lbbbEUlllE0_EEPmJS6_EEE10hipError_tPvRmT3_T4_T5_T6_T7_T9_mT8_P12ihipStream_tbDpT10_ENKUlT_T0_E_clISt17integral_constantIbLb0EES1B_IbLb1EEEEDaS17_S18_EUlS17_E_NS1_11comp_targetILNS1_3genE3ELNS1_11target_archE908ELNS1_3gpuE7ELNS1_3repE0EEENS1_30default_config_static_selectorELNS0_4arch9wavefront6targetE1EEEvT1_,"axG",@progbits,_ZN7rocprim17ROCPRIM_400000_NS6detail17trampoline_kernelINS0_14default_configENS1_25partition_config_selectorILNS1_17partition_subalgoE8ElNS0_10empty_typeEbEEZZNS1_14partition_implILS5_8ELb0ES3_jPlPS6_PKS6_NS0_5tupleIJS9_S6_EEENSD_IJSA_SA_EEENS0_18inequality_wrapperIZN2at6native12_GLOBAL__N_124unique_dim_cuda_templateItEESt5tupleIJNSH_6TensorESM_SM_EERKSM_lbbbEUlllE0_EEPmJS6_EEE10hipError_tPvRmT3_T4_T5_T6_T7_T9_mT8_P12ihipStream_tbDpT10_ENKUlT_T0_E_clISt17integral_constantIbLb0EES1B_IbLb1EEEEDaS17_S18_EUlS17_E_NS1_11comp_targetILNS1_3genE3ELNS1_11target_archE908ELNS1_3gpuE7ELNS1_3repE0EEENS1_30default_config_static_selectorELNS0_4arch9wavefront6targetE1EEEvT1_,comdat
.Lfunc_end1446:
	.size	_ZN7rocprim17ROCPRIM_400000_NS6detail17trampoline_kernelINS0_14default_configENS1_25partition_config_selectorILNS1_17partition_subalgoE8ElNS0_10empty_typeEbEEZZNS1_14partition_implILS5_8ELb0ES3_jPlPS6_PKS6_NS0_5tupleIJS9_S6_EEENSD_IJSA_SA_EEENS0_18inequality_wrapperIZN2at6native12_GLOBAL__N_124unique_dim_cuda_templateItEESt5tupleIJNSH_6TensorESM_SM_EERKSM_lbbbEUlllE0_EEPmJS6_EEE10hipError_tPvRmT3_T4_T5_T6_T7_T9_mT8_P12ihipStream_tbDpT10_ENKUlT_T0_E_clISt17integral_constantIbLb0EES1B_IbLb1EEEEDaS17_S18_EUlS17_E_NS1_11comp_targetILNS1_3genE3ELNS1_11target_archE908ELNS1_3gpuE7ELNS1_3repE0EEENS1_30default_config_static_selectorELNS0_4arch9wavefront6targetE1EEEvT1_, .Lfunc_end1446-_ZN7rocprim17ROCPRIM_400000_NS6detail17trampoline_kernelINS0_14default_configENS1_25partition_config_selectorILNS1_17partition_subalgoE8ElNS0_10empty_typeEbEEZZNS1_14partition_implILS5_8ELb0ES3_jPlPS6_PKS6_NS0_5tupleIJS9_S6_EEENSD_IJSA_SA_EEENS0_18inequality_wrapperIZN2at6native12_GLOBAL__N_124unique_dim_cuda_templateItEESt5tupleIJNSH_6TensorESM_SM_EERKSM_lbbbEUlllE0_EEPmJS6_EEE10hipError_tPvRmT3_T4_T5_T6_T7_T9_mT8_P12ihipStream_tbDpT10_ENKUlT_T0_E_clISt17integral_constantIbLb0EES1B_IbLb1EEEEDaS17_S18_EUlS17_E_NS1_11comp_targetILNS1_3genE3ELNS1_11target_archE908ELNS1_3gpuE7ELNS1_3repE0EEENS1_30default_config_static_selectorELNS0_4arch9wavefront6targetE1EEEvT1_
                                        ; -- End function
	.set _ZN7rocprim17ROCPRIM_400000_NS6detail17trampoline_kernelINS0_14default_configENS1_25partition_config_selectorILNS1_17partition_subalgoE8ElNS0_10empty_typeEbEEZZNS1_14partition_implILS5_8ELb0ES3_jPlPS6_PKS6_NS0_5tupleIJS9_S6_EEENSD_IJSA_SA_EEENS0_18inequality_wrapperIZN2at6native12_GLOBAL__N_124unique_dim_cuda_templateItEESt5tupleIJNSH_6TensorESM_SM_EERKSM_lbbbEUlllE0_EEPmJS6_EEE10hipError_tPvRmT3_T4_T5_T6_T7_T9_mT8_P12ihipStream_tbDpT10_ENKUlT_T0_E_clISt17integral_constantIbLb0EES1B_IbLb1EEEEDaS17_S18_EUlS17_E_NS1_11comp_targetILNS1_3genE3ELNS1_11target_archE908ELNS1_3gpuE7ELNS1_3repE0EEENS1_30default_config_static_selectorELNS0_4arch9wavefront6targetE1EEEvT1_.num_vgpr, 0
	.set _ZN7rocprim17ROCPRIM_400000_NS6detail17trampoline_kernelINS0_14default_configENS1_25partition_config_selectorILNS1_17partition_subalgoE8ElNS0_10empty_typeEbEEZZNS1_14partition_implILS5_8ELb0ES3_jPlPS6_PKS6_NS0_5tupleIJS9_S6_EEENSD_IJSA_SA_EEENS0_18inequality_wrapperIZN2at6native12_GLOBAL__N_124unique_dim_cuda_templateItEESt5tupleIJNSH_6TensorESM_SM_EERKSM_lbbbEUlllE0_EEPmJS6_EEE10hipError_tPvRmT3_T4_T5_T6_T7_T9_mT8_P12ihipStream_tbDpT10_ENKUlT_T0_E_clISt17integral_constantIbLb0EES1B_IbLb1EEEEDaS17_S18_EUlS17_E_NS1_11comp_targetILNS1_3genE3ELNS1_11target_archE908ELNS1_3gpuE7ELNS1_3repE0EEENS1_30default_config_static_selectorELNS0_4arch9wavefront6targetE1EEEvT1_.num_agpr, 0
	.set _ZN7rocprim17ROCPRIM_400000_NS6detail17trampoline_kernelINS0_14default_configENS1_25partition_config_selectorILNS1_17partition_subalgoE8ElNS0_10empty_typeEbEEZZNS1_14partition_implILS5_8ELb0ES3_jPlPS6_PKS6_NS0_5tupleIJS9_S6_EEENSD_IJSA_SA_EEENS0_18inequality_wrapperIZN2at6native12_GLOBAL__N_124unique_dim_cuda_templateItEESt5tupleIJNSH_6TensorESM_SM_EERKSM_lbbbEUlllE0_EEPmJS6_EEE10hipError_tPvRmT3_T4_T5_T6_T7_T9_mT8_P12ihipStream_tbDpT10_ENKUlT_T0_E_clISt17integral_constantIbLb0EES1B_IbLb1EEEEDaS17_S18_EUlS17_E_NS1_11comp_targetILNS1_3genE3ELNS1_11target_archE908ELNS1_3gpuE7ELNS1_3repE0EEENS1_30default_config_static_selectorELNS0_4arch9wavefront6targetE1EEEvT1_.numbered_sgpr, 0
	.set _ZN7rocprim17ROCPRIM_400000_NS6detail17trampoline_kernelINS0_14default_configENS1_25partition_config_selectorILNS1_17partition_subalgoE8ElNS0_10empty_typeEbEEZZNS1_14partition_implILS5_8ELb0ES3_jPlPS6_PKS6_NS0_5tupleIJS9_S6_EEENSD_IJSA_SA_EEENS0_18inequality_wrapperIZN2at6native12_GLOBAL__N_124unique_dim_cuda_templateItEESt5tupleIJNSH_6TensorESM_SM_EERKSM_lbbbEUlllE0_EEPmJS6_EEE10hipError_tPvRmT3_T4_T5_T6_T7_T9_mT8_P12ihipStream_tbDpT10_ENKUlT_T0_E_clISt17integral_constantIbLb0EES1B_IbLb1EEEEDaS17_S18_EUlS17_E_NS1_11comp_targetILNS1_3genE3ELNS1_11target_archE908ELNS1_3gpuE7ELNS1_3repE0EEENS1_30default_config_static_selectorELNS0_4arch9wavefront6targetE1EEEvT1_.num_named_barrier, 0
	.set _ZN7rocprim17ROCPRIM_400000_NS6detail17trampoline_kernelINS0_14default_configENS1_25partition_config_selectorILNS1_17partition_subalgoE8ElNS0_10empty_typeEbEEZZNS1_14partition_implILS5_8ELb0ES3_jPlPS6_PKS6_NS0_5tupleIJS9_S6_EEENSD_IJSA_SA_EEENS0_18inequality_wrapperIZN2at6native12_GLOBAL__N_124unique_dim_cuda_templateItEESt5tupleIJNSH_6TensorESM_SM_EERKSM_lbbbEUlllE0_EEPmJS6_EEE10hipError_tPvRmT3_T4_T5_T6_T7_T9_mT8_P12ihipStream_tbDpT10_ENKUlT_T0_E_clISt17integral_constantIbLb0EES1B_IbLb1EEEEDaS17_S18_EUlS17_E_NS1_11comp_targetILNS1_3genE3ELNS1_11target_archE908ELNS1_3gpuE7ELNS1_3repE0EEENS1_30default_config_static_selectorELNS0_4arch9wavefront6targetE1EEEvT1_.private_seg_size, 0
	.set _ZN7rocprim17ROCPRIM_400000_NS6detail17trampoline_kernelINS0_14default_configENS1_25partition_config_selectorILNS1_17partition_subalgoE8ElNS0_10empty_typeEbEEZZNS1_14partition_implILS5_8ELb0ES3_jPlPS6_PKS6_NS0_5tupleIJS9_S6_EEENSD_IJSA_SA_EEENS0_18inequality_wrapperIZN2at6native12_GLOBAL__N_124unique_dim_cuda_templateItEESt5tupleIJNSH_6TensorESM_SM_EERKSM_lbbbEUlllE0_EEPmJS6_EEE10hipError_tPvRmT3_T4_T5_T6_T7_T9_mT8_P12ihipStream_tbDpT10_ENKUlT_T0_E_clISt17integral_constantIbLb0EES1B_IbLb1EEEEDaS17_S18_EUlS17_E_NS1_11comp_targetILNS1_3genE3ELNS1_11target_archE908ELNS1_3gpuE7ELNS1_3repE0EEENS1_30default_config_static_selectorELNS0_4arch9wavefront6targetE1EEEvT1_.uses_vcc, 0
	.set _ZN7rocprim17ROCPRIM_400000_NS6detail17trampoline_kernelINS0_14default_configENS1_25partition_config_selectorILNS1_17partition_subalgoE8ElNS0_10empty_typeEbEEZZNS1_14partition_implILS5_8ELb0ES3_jPlPS6_PKS6_NS0_5tupleIJS9_S6_EEENSD_IJSA_SA_EEENS0_18inequality_wrapperIZN2at6native12_GLOBAL__N_124unique_dim_cuda_templateItEESt5tupleIJNSH_6TensorESM_SM_EERKSM_lbbbEUlllE0_EEPmJS6_EEE10hipError_tPvRmT3_T4_T5_T6_T7_T9_mT8_P12ihipStream_tbDpT10_ENKUlT_T0_E_clISt17integral_constantIbLb0EES1B_IbLb1EEEEDaS17_S18_EUlS17_E_NS1_11comp_targetILNS1_3genE3ELNS1_11target_archE908ELNS1_3gpuE7ELNS1_3repE0EEENS1_30default_config_static_selectorELNS0_4arch9wavefront6targetE1EEEvT1_.uses_flat_scratch, 0
	.set _ZN7rocprim17ROCPRIM_400000_NS6detail17trampoline_kernelINS0_14default_configENS1_25partition_config_selectorILNS1_17partition_subalgoE8ElNS0_10empty_typeEbEEZZNS1_14partition_implILS5_8ELb0ES3_jPlPS6_PKS6_NS0_5tupleIJS9_S6_EEENSD_IJSA_SA_EEENS0_18inequality_wrapperIZN2at6native12_GLOBAL__N_124unique_dim_cuda_templateItEESt5tupleIJNSH_6TensorESM_SM_EERKSM_lbbbEUlllE0_EEPmJS6_EEE10hipError_tPvRmT3_T4_T5_T6_T7_T9_mT8_P12ihipStream_tbDpT10_ENKUlT_T0_E_clISt17integral_constantIbLb0EES1B_IbLb1EEEEDaS17_S18_EUlS17_E_NS1_11comp_targetILNS1_3genE3ELNS1_11target_archE908ELNS1_3gpuE7ELNS1_3repE0EEENS1_30default_config_static_selectorELNS0_4arch9wavefront6targetE1EEEvT1_.has_dyn_sized_stack, 0
	.set _ZN7rocprim17ROCPRIM_400000_NS6detail17trampoline_kernelINS0_14default_configENS1_25partition_config_selectorILNS1_17partition_subalgoE8ElNS0_10empty_typeEbEEZZNS1_14partition_implILS5_8ELb0ES3_jPlPS6_PKS6_NS0_5tupleIJS9_S6_EEENSD_IJSA_SA_EEENS0_18inequality_wrapperIZN2at6native12_GLOBAL__N_124unique_dim_cuda_templateItEESt5tupleIJNSH_6TensorESM_SM_EERKSM_lbbbEUlllE0_EEPmJS6_EEE10hipError_tPvRmT3_T4_T5_T6_T7_T9_mT8_P12ihipStream_tbDpT10_ENKUlT_T0_E_clISt17integral_constantIbLb0EES1B_IbLb1EEEEDaS17_S18_EUlS17_E_NS1_11comp_targetILNS1_3genE3ELNS1_11target_archE908ELNS1_3gpuE7ELNS1_3repE0EEENS1_30default_config_static_selectorELNS0_4arch9wavefront6targetE1EEEvT1_.has_recursion, 0
	.set _ZN7rocprim17ROCPRIM_400000_NS6detail17trampoline_kernelINS0_14default_configENS1_25partition_config_selectorILNS1_17partition_subalgoE8ElNS0_10empty_typeEbEEZZNS1_14partition_implILS5_8ELb0ES3_jPlPS6_PKS6_NS0_5tupleIJS9_S6_EEENSD_IJSA_SA_EEENS0_18inequality_wrapperIZN2at6native12_GLOBAL__N_124unique_dim_cuda_templateItEESt5tupleIJNSH_6TensorESM_SM_EERKSM_lbbbEUlllE0_EEPmJS6_EEE10hipError_tPvRmT3_T4_T5_T6_T7_T9_mT8_P12ihipStream_tbDpT10_ENKUlT_T0_E_clISt17integral_constantIbLb0EES1B_IbLb1EEEEDaS17_S18_EUlS17_E_NS1_11comp_targetILNS1_3genE3ELNS1_11target_archE908ELNS1_3gpuE7ELNS1_3repE0EEENS1_30default_config_static_selectorELNS0_4arch9wavefront6targetE1EEEvT1_.has_indirect_call, 0
	.section	.AMDGPU.csdata,"",@progbits
; Kernel info:
; codeLenInByte = 0
; TotalNumSgprs: 6
; NumVgprs: 0
; NumAgprs: 0
; TotalNumVgprs: 0
; ScratchSize: 0
; MemoryBound: 0
; FloatMode: 240
; IeeeMode: 1
; LDSByteSize: 0 bytes/workgroup (compile time only)
; SGPRBlocks: 0
; VGPRBlocks: 0
; NumSGPRsForWavesPerEU: 6
; NumVGPRsForWavesPerEU: 1
; AccumOffset: 4
; Occupancy: 8
; WaveLimiterHint : 0
; COMPUTE_PGM_RSRC2:SCRATCH_EN: 0
; COMPUTE_PGM_RSRC2:USER_SGPR: 2
; COMPUTE_PGM_RSRC2:TRAP_HANDLER: 0
; COMPUTE_PGM_RSRC2:TGID_X_EN: 1
; COMPUTE_PGM_RSRC2:TGID_Y_EN: 0
; COMPUTE_PGM_RSRC2:TGID_Z_EN: 0
; COMPUTE_PGM_RSRC2:TIDIG_COMP_CNT: 0
; COMPUTE_PGM_RSRC3_GFX90A:ACCUM_OFFSET: 0
; COMPUTE_PGM_RSRC3_GFX90A:TG_SPLIT: 0
	.section	.text._ZN7rocprim17ROCPRIM_400000_NS6detail17trampoline_kernelINS0_14default_configENS1_25partition_config_selectorILNS1_17partition_subalgoE8ElNS0_10empty_typeEbEEZZNS1_14partition_implILS5_8ELb0ES3_jPlPS6_PKS6_NS0_5tupleIJS9_S6_EEENSD_IJSA_SA_EEENS0_18inequality_wrapperIZN2at6native12_GLOBAL__N_124unique_dim_cuda_templateItEESt5tupleIJNSH_6TensorESM_SM_EERKSM_lbbbEUlllE0_EEPmJS6_EEE10hipError_tPvRmT3_T4_T5_T6_T7_T9_mT8_P12ihipStream_tbDpT10_ENKUlT_T0_E_clISt17integral_constantIbLb0EES1B_IbLb1EEEEDaS17_S18_EUlS17_E_NS1_11comp_targetILNS1_3genE2ELNS1_11target_archE906ELNS1_3gpuE6ELNS1_3repE0EEENS1_30default_config_static_selectorELNS0_4arch9wavefront6targetE1EEEvT1_,"axG",@progbits,_ZN7rocprim17ROCPRIM_400000_NS6detail17trampoline_kernelINS0_14default_configENS1_25partition_config_selectorILNS1_17partition_subalgoE8ElNS0_10empty_typeEbEEZZNS1_14partition_implILS5_8ELb0ES3_jPlPS6_PKS6_NS0_5tupleIJS9_S6_EEENSD_IJSA_SA_EEENS0_18inequality_wrapperIZN2at6native12_GLOBAL__N_124unique_dim_cuda_templateItEESt5tupleIJNSH_6TensorESM_SM_EERKSM_lbbbEUlllE0_EEPmJS6_EEE10hipError_tPvRmT3_T4_T5_T6_T7_T9_mT8_P12ihipStream_tbDpT10_ENKUlT_T0_E_clISt17integral_constantIbLb0EES1B_IbLb1EEEEDaS17_S18_EUlS17_E_NS1_11comp_targetILNS1_3genE2ELNS1_11target_archE906ELNS1_3gpuE6ELNS1_3repE0EEENS1_30default_config_static_selectorELNS0_4arch9wavefront6targetE1EEEvT1_,comdat
	.globl	_ZN7rocprim17ROCPRIM_400000_NS6detail17trampoline_kernelINS0_14default_configENS1_25partition_config_selectorILNS1_17partition_subalgoE8ElNS0_10empty_typeEbEEZZNS1_14partition_implILS5_8ELb0ES3_jPlPS6_PKS6_NS0_5tupleIJS9_S6_EEENSD_IJSA_SA_EEENS0_18inequality_wrapperIZN2at6native12_GLOBAL__N_124unique_dim_cuda_templateItEESt5tupleIJNSH_6TensorESM_SM_EERKSM_lbbbEUlllE0_EEPmJS6_EEE10hipError_tPvRmT3_T4_T5_T6_T7_T9_mT8_P12ihipStream_tbDpT10_ENKUlT_T0_E_clISt17integral_constantIbLb0EES1B_IbLb1EEEEDaS17_S18_EUlS17_E_NS1_11comp_targetILNS1_3genE2ELNS1_11target_archE906ELNS1_3gpuE6ELNS1_3repE0EEENS1_30default_config_static_selectorELNS0_4arch9wavefront6targetE1EEEvT1_ ; -- Begin function _ZN7rocprim17ROCPRIM_400000_NS6detail17trampoline_kernelINS0_14default_configENS1_25partition_config_selectorILNS1_17partition_subalgoE8ElNS0_10empty_typeEbEEZZNS1_14partition_implILS5_8ELb0ES3_jPlPS6_PKS6_NS0_5tupleIJS9_S6_EEENSD_IJSA_SA_EEENS0_18inequality_wrapperIZN2at6native12_GLOBAL__N_124unique_dim_cuda_templateItEESt5tupleIJNSH_6TensorESM_SM_EERKSM_lbbbEUlllE0_EEPmJS6_EEE10hipError_tPvRmT3_T4_T5_T6_T7_T9_mT8_P12ihipStream_tbDpT10_ENKUlT_T0_E_clISt17integral_constantIbLb0EES1B_IbLb1EEEEDaS17_S18_EUlS17_E_NS1_11comp_targetILNS1_3genE2ELNS1_11target_archE906ELNS1_3gpuE6ELNS1_3repE0EEENS1_30default_config_static_selectorELNS0_4arch9wavefront6targetE1EEEvT1_
	.p2align	8
	.type	_ZN7rocprim17ROCPRIM_400000_NS6detail17trampoline_kernelINS0_14default_configENS1_25partition_config_selectorILNS1_17partition_subalgoE8ElNS0_10empty_typeEbEEZZNS1_14partition_implILS5_8ELb0ES3_jPlPS6_PKS6_NS0_5tupleIJS9_S6_EEENSD_IJSA_SA_EEENS0_18inequality_wrapperIZN2at6native12_GLOBAL__N_124unique_dim_cuda_templateItEESt5tupleIJNSH_6TensorESM_SM_EERKSM_lbbbEUlllE0_EEPmJS6_EEE10hipError_tPvRmT3_T4_T5_T6_T7_T9_mT8_P12ihipStream_tbDpT10_ENKUlT_T0_E_clISt17integral_constantIbLb0EES1B_IbLb1EEEEDaS17_S18_EUlS17_E_NS1_11comp_targetILNS1_3genE2ELNS1_11target_archE906ELNS1_3gpuE6ELNS1_3repE0EEENS1_30default_config_static_selectorELNS0_4arch9wavefront6targetE1EEEvT1_,@function
_ZN7rocprim17ROCPRIM_400000_NS6detail17trampoline_kernelINS0_14default_configENS1_25partition_config_selectorILNS1_17partition_subalgoE8ElNS0_10empty_typeEbEEZZNS1_14partition_implILS5_8ELb0ES3_jPlPS6_PKS6_NS0_5tupleIJS9_S6_EEENSD_IJSA_SA_EEENS0_18inequality_wrapperIZN2at6native12_GLOBAL__N_124unique_dim_cuda_templateItEESt5tupleIJNSH_6TensorESM_SM_EERKSM_lbbbEUlllE0_EEPmJS6_EEE10hipError_tPvRmT3_T4_T5_T6_T7_T9_mT8_P12ihipStream_tbDpT10_ENKUlT_T0_E_clISt17integral_constantIbLb0EES1B_IbLb1EEEEDaS17_S18_EUlS17_E_NS1_11comp_targetILNS1_3genE2ELNS1_11target_archE906ELNS1_3gpuE6ELNS1_3repE0EEENS1_30default_config_static_selectorELNS0_4arch9wavefront6targetE1EEEvT1_: ; @_ZN7rocprim17ROCPRIM_400000_NS6detail17trampoline_kernelINS0_14default_configENS1_25partition_config_selectorILNS1_17partition_subalgoE8ElNS0_10empty_typeEbEEZZNS1_14partition_implILS5_8ELb0ES3_jPlPS6_PKS6_NS0_5tupleIJS9_S6_EEENSD_IJSA_SA_EEENS0_18inequality_wrapperIZN2at6native12_GLOBAL__N_124unique_dim_cuda_templateItEESt5tupleIJNSH_6TensorESM_SM_EERKSM_lbbbEUlllE0_EEPmJS6_EEE10hipError_tPvRmT3_T4_T5_T6_T7_T9_mT8_P12ihipStream_tbDpT10_ENKUlT_T0_E_clISt17integral_constantIbLb0EES1B_IbLb1EEEEDaS17_S18_EUlS17_E_NS1_11comp_targetILNS1_3genE2ELNS1_11target_archE906ELNS1_3gpuE6ELNS1_3repE0EEENS1_30default_config_static_selectorELNS0_4arch9wavefront6targetE1EEEvT1_
; %bb.0:
	.section	.rodata,"a",@progbits
	.p2align	6, 0x0
	.amdhsa_kernel _ZN7rocprim17ROCPRIM_400000_NS6detail17trampoline_kernelINS0_14default_configENS1_25partition_config_selectorILNS1_17partition_subalgoE8ElNS0_10empty_typeEbEEZZNS1_14partition_implILS5_8ELb0ES3_jPlPS6_PKS6_NS0_5tupleIJS9_S6_EEENSD_IJSA_SA_EEENS0_18inequality_wrapperIZN2at6native12_GLOBAL__N_124unique_dim_cuda_templateItEESt5tupleIJNSH_6TensorESM_SM_EERKSM_lbbbEUlllE0_EEPmJS6_EEE10hipError_tPvRmT3_T4_T5_T6_T7_T9_mT8_P12ihipStream_tbDpT10_ENKUlT_T0_E_clISt17integral_constantIbLb0EES1B_IbLb1EEEEDaS17_S18_EUlS17_E_NS1_11comp_targetILNS1_3genE2ELNS1_11target_archE906ELNS1_3gpuE6ELNS1_3repE0EEENS1_30default_config_static_selectorELNS0_4arch9wavefront6targetE1EEEvT1_
		.amdhsa_group_segment_fixed_size 0
		.amdhsa_private_segment_fixed_size 0
		.amdhsa_kernarg_size 136
		.amdhsa_user_sgpr_count 2
		.amdhsa_user_sgpr_dispatch_ptr 0
		.amdhsa_user_sgpr_queue_ptr 0
		.amdhsa_user_sgpr_kernarg_segment_ptr 1
		.amdhsa_user_sgpr_dispatch_id 0
		.amdhsa_user_sgpr_kernarg_preload_length 0
		.amdhsa_user_sgpr_kernarg_preload_offset 0
		.amdhsa_user_sgpr_private_segment_size 0
		.amdhsa_uses_dynamic_stack 0
		.amdhsa_enable_private_segment 0
		.amdhsa_system_sgpr_workgroup_id_x 1
		.amdhsa_system_sgpr_workgroup_id_y 0
		.amdhsa_system_sgpr_workgroup_id_z 0
		.amdhsa_system_sgpr_workgroup_info 0
		.amdhsa_system_vgpr_workitem_id 0
		.amdhsa_next_free_vgpr 1
		.amdhsa_next_free_sgpr 0
		.amdhsa_accum_offset 4
		.amdhsa_reserve_vcc 0
		.amdhsa_float_round_mode_32 0
		.amdhsa_float_round_mode_16_64 0
		.amdhsa_float_denorm_mode_32 3
		.amdhsa_float_denorm_mode_16_64 3
		.amdhsa_dx10_clamp 1
		.amdhsa_ieee_mode 1
		.amdhsa_fp16_overflow 0
		.amdhsa_tg_split 0
		.amdhsa_exception_fp_ieee_invalid_op 0
		.amdhsa_exception_fp_denorm_src 0
		.amdhsa_exception_fp_ieee_div_zero 0
		.amdhsa_exception_fp_ieee_overflow 0
		.amdhsa_exception_fp_ieee_underflow 0
		.amdhsa_exception_fp_ieee_inexact 0
		.amdhsa_exception_int_div_zero 0
	.end_amdhsa_kernel
	.section	.text._ZN7rocprim17ROCPRIM_400000_NS6detail17trampoline_kernelINS0_14default_configENS1_25partition_config_selectorILNS1_17partition_subalgoE8ElNS0_10empty_typeEbEEZZNS1_14partition_implILS5_8ELb0ES3_jPlPS6_PKS6_NS0_5tupleIJS9_S6_EEENSD_IJSA_SA_EEENS0_18inequality_wrapperIZN2at6native12_GLOBAL__N_124unique_dim_cuda_templateItEESt5tupleIJNSH_6TensorESM_SM_EERKSM_lbbbEUlllE0_EEPmJS6_EEE10hipError_tPvRmT3_T4_T5_T6_T7_T9_mT8_P12ihipStream_tbDpT10_ENKUlT_T0_E_clISt17integral_constantIbLb0EES1B_IbLb1EEEEDaS17_S18_EUlS17_E_NS1_11comp_targetILNS1_3genE2ELNS1_11target_archE906ELNS1_3gpuE6ELNS1_3repE0EEENS1_30default_config_static_selectorELNS0_4arch9wavefront6targetE1EEEvT1_,"axG",@progbits,_ZN7rocprim17ROCPRIM_400000_NS6detail17trampoline_kernelINS0_14default_configENS1_25partition_config_selectorILNS1_17partition_subalgoE8ElNS0_10empty_typeEbEEZZNS1_14partition_implILS5_8ELb0ES3_jPlPS6_PKS6_NS0_5tupleIJS9_S6_EEENSD_IJSA_SA_EEENS0_18inequality_wrapperIZN2at6native12_GLOBAL__N_124unique_dim_cuda_templateItEESt5tupleIJNSH_6TensorESM_SM_EERKSM_lbbbEUlllE0_EEPmJS6_EEE10hipError_tPvRmT3_T4_T5_T6_T7_T9_mT8_P12ihipStream_tbDpT10_ENKUlT_T0_E_clISt17integral_constantIbLb0EES1B_IbLb1EEEEDaS17_S18_EUlS17_E_NS1_11comp_targetILNS1_3genE2ELNS1_11target_archE906ELNS1_3gpuE6ELNS1_3repE0EEENS1_30default_config_static_selectorELNS0_4arch9wavefront6targetE1EEEvT1_,comdat
.Lfunc_end1447:
	.size	_ZN7rocprim17ROCPRIM_400000_NS6detail17trampoline_kernelINS0_14default_configENS1_25partition_config_selectorILNS1_17partition_subalgoE8ElNS0_10empty_typeEbEEZZNS1_14partition_implILS5_8ELb0ES3_jPlPS6_PKS6_NS0_5tupleIJS9_S6_EEENSD_IJSA_SA_EEENS0_18inequality_wrapperIZN2at6native12_GLOBAL__N_124unique_dim_cuda_templateItEESt5tupleIJNSH_6TensorESM_SM_EERKSM_lbbbEUlllE0_EEPmJS6_EEE10hipError_tPvRmT3_T4_T5_T6_T7_T9_mT8_P12ihipStream_tbDpT10_ENKUlT_T0_E_clISt17integral_constantIbLb0EES1B_IbLb1EEEEDaS17_S18_EUlS17_E_NS1_11comp_targetILNS1_3genE2ELNS1_11target_archE906ELNS1_3gpuE6ELNS1_3repE0EEENS1_30default_config_static_selectorELNS0_4arch9wavefront6targetE1EEEvT1_, .Lfunc_end1447-_ZN7rocprim17ROCPRIM_400000_NS6detail17trampoline_kernelINS0_14default_configENS1_25partition_config_selectorILNS1_17partition_subalgoE8ElNS0_10empty_typeEbEEZZNS1_14partition_implILS5_8ELb0ES3_jPlPS6_PKS6_NS0_5tupleIJS9_S6_EEENSD_IJSA_SA_EEENS0_18inequality_wrapperIZN2at6native12_GLOBAL__N_124unique_dim_cuda_templateItEESt5tupleIJNSH_6TensorESM_SM_EERKSM_lbbbEUlllE0_EEPmJS6_EEE10hipError_tPvRmT3_T4_T5_T6_T7_T9_mT8_P12ihipStream_tbDpT10_ENKUlT_T0_E_clISt17integral_constantIbLb0EES1B_IbLb1EEEEDaS17_S18_EUlS17_E_NS1_11comp_targetILNS1_3genE2ELNS1_11target_archE906ELNS1_3gpuE6ELNS1_3repE0EEENS1_30default_config_static_selectorELNS0_4arch9wavefront6targetE1EEEvT1_
                                        ; -- End function
	.set _ZN7rocprim17ROCPRIM_400000_NS6detail17trampoline_kernelINS0_14default_configENS1_25partition_config_selectorILNS1_17partition_subalgoE8ElNS0_10empty_typeEbEEZZNS1_14partition_implILS5_8ELb0ES3_jPlPS6_PKS6_NS0_5tupleIJS9_S6_EEENSD_IJSA_SA_EEENS0_18inequality_wrapperIZN2at6native12_GLOBAL__N_124unique_dim_cuda_templateItEESt5tupleIJNSH_6TensorESM_SM_EERKSM_lbbbEUlllE0_EEPmJS6_EEE10hipError_tPvRmT3_T4_T5_T6_T7_T9_mT8_P12ihipStream_tbDpT10_ENKUlT_T0_E_clISt17integral_constantIbLb0EES1B_IbLb1EEEEDaS17_S18_EUlS17_E_NS1_11comp_targetILNS1_3genE2ELNS1_11target_archE906ELNS1_3gpuE6ELNS1_3repE0EEENS1_30default_config_static_selectorELNS0_4arch9wavefront6targetE1EEEvT1_.num_vgpr, 0
	.set _ZN7rocprim17ROCPRIM_400000_NS6detail17trampoline_kernelINS0_14default_configENS1_25partition_config_selectorILNS1_17partition_subalgoE8ElNS0_10empty_typeEbEEZZNS1_14partition_implILS5_8ELb0ES3_jPlPS6_PKS6_NS0_5tupleIJS9_S6_EEENSD_IJSA_SA_EEENS0_18inequality_wrapperIZN2at6native12_GLOBAL__N_124unique_dim_cuda_templateItEESt5tupleIJNSH_6TensorESM_SM_EERKSM_lbbbEUlllE0_EEPmJS6_EEE10hipError_tPvRmT3_T4_T5_T6_T7_T9_mT8_P12ihipStream_tbDpT10_ENKUlT_T0_E_clISt17integral_constantIbLb0EES1B_IbLb1EEEEDaS17_S18_EUlS17_E_NS1_11comp_targetILNS1_3genE2ELNS1_11target_archE906ELNS1_3gpuE6ELNS1_3repE0EEENS1_30default_config_static_selectorELNS0_4arch9wavefront6targetE1EEEvT1_.num_agpr, 0
	.set _ZN7rocprim17ROCPRIM_400000_NS6detail17trampoline_kernelINS0_14default_configENS1_25partition_config_selectorILNS1_17partition_subalgoE8ElNS0_10empty_typeEbEEZZNS1_14partition_implILS5_8ELb0ES3_jPlPS6_PKS6_NS0_5tupleIJS9_S6_EEENSD_IJSA_SA_EEENS0_18inequality_wrapperIZN2at6native12_GLOBAL__N_124unique_dim_cuda_templateItEESt5tupleIJNSH_6TensorESM_SM_EERKSM_lbbbEUlllE0_EEPmJS6_EEE10hipError_tPvRmT3_T4_T5_T6_T7_T9_mT8_P12ihipStream_tbDpT10_ENKUlT_T0_E_clISt17integral_constantIbLb0EES1B_IbLb1EEEEDaS17_S18_EUlS17_E_NS1_11comp_targetILNS1_3genE2ELNS1_11target_archE906ELNS1_3gpuE6ELNS1_3repE0EEENS1_30default_config_static_selectorELNS0_4arch9wavefront6targetE1EEEvT1_.numbered_sgpr, 0
	.set _ZN7rocprim17ROCPRIM_400000_NS6detail17trampoline_kernelINS0_14default_configENS1_25partition_config_selectorILNS1_17partition_subalgoE8ElNS0_10empty_typeEbEEZZNS1_14partition_implILS5_8ELb0ES3_jPlPS6_PKS6_NS0_5tupleIJS9_S6_EEENSD_IJSA_SA_EEENS0_18inequality_wrapperIZN2at6native12_GLOBAL__N_124unique_dim_cuda_templateItEESt5tupleIJNSH_6TensorESM_SM_EERKSM_lbbbEUlllE0_EEPmJS6_EEE10hipError_tPvRmT3_T4_T5_T6_T7_T9_mT8_P12ihipStream_tbDpT10_ENKUlT_T0_E_clISt17integral_constantIbLb0EES1B_IbLb1EEEEDaS17_S18_EUlS17_E_NS1_11comp_targetILNS1_3genE2ELNS1_11target_archE906ELNS1_3gpuE6ELNS1_3repE0EEENS1_30default_config_static_selectorELNS0_4arch9wavefront6targetE1EEEvT1_.num_named_barrier, 0
	.set _ZN7rocprim17ROCPRIM_400000_NS6detail17trampoline_kernelINS0_14default_configENS1_25partition_config_selectorILNS1_17partition_subalgoE8ElNS0_10empty_typeEbEEZZNS1_14partition_implILS5_8ELb0ES3_jPlPS6_PKS6_NS0_5tupleIJS9_S6_EEENSD_IJSA_SA_EEENS0_18inequality_wrapperIZN2at6native12_GLOBAL__N_124unique_dim_cuda_templateItEESt5tupleIJNSH_6TensorESM_SM_EERKSM_lbbbEUlllE0_EEPmJS6_EEE10hipError_tPvRmT3_T4_T5_T6_T7_T9_mT8_P12ihipStream_tbDpT10_ENKUlT_T0_E_clISt17integral_constantIbLb0EES1B_IbLb1EEEEDaS17_S18_EUlS17_E_NS1_11comp_targetILNS1_3genE2ELNS1_11target_archE906ELNS1_3gpuE6ELNS1_3repE0EEENS1_30default_config_static_selectorELNS0_4arch9wavefront6targetE1EEEvT1_.private_seg_size, 0
	.set _ZN7rocprim17ROCPRIM_400000_NS6detail17trampoline_kernelINS0_14default_configENS1_25partition_config_selectorILNS1_17partition_subalgoE8ElNS0_10empty_typeEbEEZZNS1_14partition_implILS5_8ELb0ES3_jPlPS6_PKS6_NS0_5tupleIJS9_S6_EEENSD_IJSA_SA_EEENS0_18inequality_wrapperIZN2at6native12_GLOBAL__N_124unique_dim_cuda_templateItEESt5tupleIJNSH_6TensorESM_SM_EERKSM_lbbbEUlllE0_EEPmJS6_EEE10hipError_tPvRmT3_T4_T5_T6_T7_T9_mT8_P12ihipStream_tbDpT10_ENKUlT_T0_E_clISt17integral_constantIbLb0EES1B_IbLb1EEEEDaS17_S18_EUlS17_E_NS1_11comp_targetILNS1_3genE2ELNS1_11target_archE906ELNS1_3gpuE6ELNS1_3repE0EEENS1_30default_config_static_selectorELNS0_4arch9wavefront6targetE1EEEvT1_.uses_vcc, 0
	.set _ZN7rocprim17ROCPRIM_400000_NS6detail17trampoline_kernelINS0_14default_configENS1_25partition_config_selectorILNS1_17partition_subalgoE8ElNS0_10empty_typeEbEEZZNS1_14partition_implILS5_8ELb0ES3_jPlPS6_PKS6_NS0_5tupleIJS9_S6_EEENSD_IJSA_SA_EEENS0_18inequality_wrapperIZN2at6native12_GLOBAL__N_124unique_dim_cuda_templateItEESt5tupleIJNSH_6TensorESM_SM_EERKSM_lbbbEUlllE0_EEPmJS6_EEE10hipError_tPvRmT3_T4_T5_T6_T7_T9_mT8_P12ihipStream_tbDpT10_ENKUlT_T0_E_clISt17integral_constantIbLb0EES1B_IbLb1EEEEDaS17_S18_EUlS17_E_NS1_11comp_targetILNS1_3genE2ELNS1_11target_archE906ELNS1_3gpuE6ELNS1_3repE0EEENS1_30default_config_static_selectorELNS0_4arch9wavefront6targetE1EEEvT1_.uses_flat_scratch, 0
	.set _ZN7rocprim17ROCPRIM_400000_NS6detail17trampoline_kernelINS0_14default_configENS1_25partition_config_selectorILNS1_17partition_subalgoE8ElNS0_10empty_typeEbEEZZNS1_14partition_implILS5_8ELb0ES3_jPlPS6_PKS6_NS0_5tupleIJS9_S6_EEENSD_IJSA_SA_EEENS0_18inequality_wrapperIZN2at6native12_GLOBAL__N_124unique_dim_cuda_templateItEESt5tupleIJNSH_6TensorESM_SM_EERKSM_lbbbEUlllE0_EEPmJS6_EEE10hipError_tPvRmT3_T4_T5_T6_T7_T9_mT8_P12ihipStream_tbDpT10_ENKUlT_T0_E_clISt17integral_constantIbLb0EES1B_IbLb1EEEEDaS17_S18_EUlS17_E_NS1_11comp_targetILNS1_3genE2ELNS1_11target_archE906ELNS1_3gpuE6ELNS1_3repE0EEENS1_30default_config_static_selectorELNS0_4arch9wavefront6targetE1EEEvT1_.has_dyn_sized_stack, 0
	.set _ZN7rocprim17ROCPRIM_400000_NS6detail17trampoline_kernelINS0_14default_configENS1_25partition_config_selectorILNS1_17partition_subalgoE8ElNS0_10empty_typeEbEEZZNS1_14partition_implILS5_8ELb0ES3_jPlPS6_PKS6_NS0_5tupleIJS9_S6_EEENSD_IJSA_SA_EEENS0_18inequality_wrapperIZN2at6native12_GLOBAL__N_124unique_dim_cuda_templateItEESt5tupleIJNSH_6TensorESM_SM_EERKSM_lbbbEUlllE0_EEPmJS6_EEE10hipError_tPvRmT3_T4_T5_T6_T7_T9_mT8_P12ihipStream_tbDpT10_ENKUlT_T0_E_clISt17integral_constantIbLb0EES1B_IbLb1EEEEDaS17_S18_EUlS17_E_NS1_11comp_targetILNS1_3genE2ELNS1_11target_archE906ELNS1_3gpuE6ELNS1_3repE0EEENS1_30default_config_static_selectorELNS0_4arch9wavefront6targetE1EEEvT1_.has_recursion, 0
	.set _ZN7rocprim17ROCPRIM_400000_NS6detail17trampoline_kernelINS0_14default_configENS1_25partition_config_selectorILNS1_17partition_subalgoE8ElNS0_10empty_typeEbEEZZNS1_14partition_implILS5_8ELb0ES3_jPlPS6_PKS6_NS0_5tupleIJS9_S6_EEENSD_IJSA_SA_EEENS0_18inequality_wrapperIZN2at6native12_GLOBAL__N_124unique_dim_cuda_templateItEESt5tupleIJNSH_6TensorESM_SM_EERKSM_lbbbEUlllE0_EEPmJS6_EEE10hipError_tPvRmT3_T4_T5_T6_T7_T9_mT8_P12ihipStream_tbDpT10_ENKUlT_T0_E_clISt17integral_constantIbLb0EES1B_IbLb1EEEEDaS17_S18_EUlS17_E_NS1_11comp_targetILNS1_3genE2ELNS1_11target_archE906ELNS1_3gpuE6ELNS1_3repE0EEENS1_30default_config_static_selectorELNS0_4arch9wavefront6targetE1EEEvT1_.has_indirect_call, 0
	.section	.AMDGPU.csdata,"",@progbits
; Kernel info:
; codeLenInByte = 0
; TotalNumSgprs: 6
; NumVgprs: 0
; NumAgprs: 0
; TotalNumVgprs: 0
; ScratchSize: 0
; MemoryBound: 0
; FloatMode: 240
; IeeeMode: 1
; LDSByteSize: 0 bytes/workgroup (compile time only)
; SGPRBlocks: 0
; VGPRBlocks: 0
; NumSGPRsForWavesPerEU: 6
; NumVGPRsForWavesPerEU: 1
; AccumOffset: 4
; Occupancy: 8
; WaveLimiterHint : 0
; COMPUTE_PGM_RSRC2:SCRATCH_EN: 0
; COMPUTE_PGM_RSRC2:USER_SGPR: 2
; COMPUTE_PGM_RSRC2:TRAP_HANDLER: 0
; COMPUTE_PGM_RSRC2:TGID_X_EN: 1
; COMPUTE_PGM_RSRC2:TGID_Y_EN: 0
; COMPUTE_PGM_RSRC2:TGID_Z_EN: 0
; COMPUTE_PGM_RSRC2:TIDIG_COMP_CNT: 0
; COMPUTE_PGM_RSRC3_GFX90A:ACCUM_OFFSET: 0
; COMPUTE_PGM_RSRC3_GFX90A:TG_SPLIT: 0
	.section	.text._ZN7rocprim17ROCPRIM_400000_NS6detail17trampoline_kernelINS0_14default_configENS1_25partition_config_selectorILNS1_17partition_subalgoE8ElNS0_10empty_typeEbEEZZNS1_14partition_implILS5_8ELb0ES3_jPlPS6_PKS6_NS0_5tupleIJS9_S6_EEENSD_IJSA_SA_EEENS0_18inequality_wrapperIZN2at6native12_GLOBAL__N_124unique_dim_cuda_templateItEESt5tupleIJNSH_6TensorESM_SM_EERKSM_lbbbEUlllE0_EEPmJS6_EEE10hipError_tPvRmT3_T4_T5_T6_T7_T9_mT8_P12ihipStream_tbDpT10_ENKUlT_T0_E_clISt17integral_constantIbLb0EES1B_IbLb1EEEEDaS17_S18_EUlS17_E_NS1_11comp_targetILNS1_3genE10ELNS1_11target_archE1200ELNS1_3gpuE4ELNS1_3repE0EEENS1_30default_config_static_selectorELNS0_4arch9wavefront6targetE1EEEvT1_,"axG",@progbits,_ZN7rocprim17ROCPRIM_400000_NS6detail17trampoline_kernelINS0_14default_configENS1_25partition_config_selectorILNS1_17partition_subalgoE8ElNS0_10empty_typeEbEEZZNS1_14partition_implILS5_8ELb0ES3_jPlPS6_PKS6_NS0_5tupleIJS9_S6_EEENSD_IJSA_SA_EEENS0_18inequality_wrapperIZN2at6native12_GLOBAL__N_124unique_dim_cuda_templateItEESt5tupleIJNSH_6TensorESM_SM_EERKSM_lbbbEUlllE0_EEPmJS6_EEE10hipError_tPvRmT3_T4_T5_T6_T7_T9_mT8_P12ihipStream_tbDpT10_ENKUlT_T0_E_clISt17integral_constantIbLb0EES1B_IbLb1EEEEDaS17_S18_EUlS17_E_NS1_11comp_targetILNS1_3genE10ELNS1_11target_archE1200ELNS1_3gpuE4ELNS1_3repE0EEENS1_30default_config_static_selectorELNS0_4arch9wavefront6targetE1EEEvT1_,comdat
	.globl	_ZN7rocprim17ROCPRIM_400000_NS6detail17trampoline_kernelINS0_14default_configENS1_25partition_config_selectorILNS1_17partition_subalgoE8ElNS0_10empty_typeEbEEZZNS1_14partition_implILS5_8ELb0ES3_jPlPS6_PKS6_NS0_5tupleIJS9_S6_EEENSD_IJSA_SA_EEENS0_18inequality_wrapperIZN2at6native12_GLOBAL__N_124unique_dim_cuda_templateItEESt5tupleIJNSH_6TensorESM_SM_EERKSM_lbbbEUlllE0_EEPmJS6_EEE10hipError_tPvRmT3_T4_T5_T6_T7_T9_mT8_P12ihipStream_tbDpT10_ENKUlT_T0_E_clISt17integral_constantIbLb0EES1B_IbLb1EEEEDaS17_S18_EUlS17_E_NS1_11comp_targetILNS1_3genE10ELNS1_11target_archE1200ELNS1_3gpuE4ELNS1_3repE0EEENS1_30default_config_static_selectorELNS0_4arch9wavefront6targetE1EEEvT1_ ; -- Begin function _ZN7rocprim17ROCPRIM_400000_NS6detail17trampoline_kernelINS0_14default_configENS1_25partition_config_selectorILNS1_17partition_subalgoE8ElNS0_10empty_typeEbEEZZNS1_14partition_implILS5_8ELb0ES3_jPlPS6_PKS6_NS0_5tupleIJS9_S6_EEENSD_IJSA_SA_EEENS0_18inequality_wrapperIZN2at6native12_GLOBAL__N_124unique_dim_cuda_templateItEESt5tupleIJNSH_6TensorESM_SM_EERKSM_lbbbEUlllE0_EEPmJS6_EEE10hipError_tPvRmT3_T4_T5_T6_T7_T9_mT8_P12ihipStream_tbDpT10_ENKUlT_T0_E_clISt17integral_constantIbLb0EES1B_IbLb1EEEEDaS17_S18_EUlS17_E_NS1_11comp_targetILNS1_3genE10ELNS1_11target_archE1200ELNS1_3gpuE4ELNS1_3repE0EEENS1_30default_config_static_selectorELNS0_4arch9wavefront6targetE1EEEvT1_
	.p2align	8
	.type	_ZN7rocprim17ROCPRIM_400000_NS6detail17trampoline_kernelINS0_14default_configENS1_25partition_config_selectorILNS1_17partition_subalgoE8ElNS0_10empty_typeEbEEZZNS1_14partition_implILS5_8ELb0ES3_jPlPS6_PKS6_NS0_5tupleIJS9_S6_EEENSD_IJSA_SA_EEENS0_18inequality_wrapperIZN2at6native12_GLOBAL__N_124unique_dim_cuda_templateItEESt5tupleIJNSH_6TensorESM_SM_EERKSM_lbbbEUlllE0_EEPmJS6_EEE10hipError_tPvRmT3_T4_T5_T6_T7_T9_mT8_P12ihipStream_tbDpT10_ENKUlT_T0_E_clISt17integral_constantIbLb0EES1B_IbLb1EEEEDaS17_S18_EUlS17_E_NS1_11comp_targetILNS1_3genE10ELNS1_11target_archE1200ELNS1_3gpuE4ELNS1_3repE0EEENS1_30default_config_static_selectorELNS0_4arch9wavefront6targetE1EEEvT1_,@function
_ZN7rocprim17ROCPRIM_400000_NS6detail17trampoline_kernelINS0_14default_configENS1_25partition_config_selectorILNS1_17partition_subalgoE8ElNS0_10empty_typeEbEEZZNS1_14partition_implILS5_8ELb0ES3_jPlPS6_PKS6_NS0_5tupleIJS9_S6_EEENSD_IJSA_SA_EEENS0_18inequality_wrapperIZN2at6native12_GLOBAL__N_124unique_dim_cuda_templateItEESt5tupleIJNSH_6TensorESM_SM_EERKSM_lbbbEUlllE0_EEPmJS6_EEE10hipError_tPvRmT3_T4_T5_T6_T7_T9_mT8_P12ihipStream_tbDpT10_ENKUlT_T0_E_clISt17integral_constantIbLb0EES1B_IbLb1EEEEDaS17_S18_EUlS17_E_NS1_11comp_targetILNS1_3genE10ELNS1_11target_archE1200ELNS1_3gpuE4ELNS1_3repE0EEENS1_30default_config_static_selectorELNS0_4arch9wavefront6targetE1EEEvT1_: ; @_ZN7rocprim17ROCPRIM_400000_NS6detail17trampoline_kernelINS0_14default_configENS1_25partition_config_selectorILNS1_17partition_subalgoE8ElNS0_10empty_typeEbEEZZNS1_14partition_implILS5_8ELb0ES3_jPlPS6_PKS6_NS0_5tupleIJS9_S6_EEENSD_IJSA_SA_EEENS0_18inequality_wrapperIZN2at6native12_GLOBAL__N_124unique_dim_cuda_templateItEESt5tupleIJNSH_6TensorESM_SM_EERKSM_lbbbEUlllE0_EEPmJS6_EEE10hipError_tPvRmT3_T4_T5_T6_T7_T9_mT8_P12ihipStream_tbDpT10_ENKUlT_T0_E_clISt17integral_constantIbLb0EES1B_IbLb1EEEEDaS17_S18_EUlS17_E_NS1_11comp_targetILNS1_3genE10ELNS1_11target_archE1200ELNS1_3gpuE4ELNS1_3repE0EEENS1_30default_config_static_selectorELNS0_4arch9wavefront6targetE1EEEvT1_
; %bb.0:
	.section	.rodata,"a",@progbits
	.p2align	6, 0x0
	.amdhsa_kernel _ZN7rocprim17ROCPRIM_400000_NS6detail17trampoline_kernelINS0_14default_configENS1_25partition_config_selectorILNS1_17partition_subalgoE8ElNS0_10empty_typeEbEEZZNS1_14partition_implILS5_8ELb0ES3_jPlPS6_PKS6_NS0_5tupleIJS9_S6_EEENSD_IJSA_SA_EEENS0_18inequality_wrapperIZN2at6native12_GLOBAL__N_124unique_dim_cuda_templateItEESt5tupleIJNSH_6TensorESM_SM_EERKSM_lbbbEUlllE0_EEPmJS6_EEE10hipError_tPvRmT3_T4_T5_T6_T7_T9_mT8_P12ihipStream_tbDpT10_ENKUlT_T0_E_clISt17integral_constantIbLb0EES1B_IbLb1EEEEDaS17_S18_EUlS17_E_NS1_11comp_targetILNS1_3genE10ELNS1_11target_archE1200ELNS1_3gpuE4ELNS1_3repE0EEENS1_30default_config_static_selectorELNS0_4arch9wavefront6targetE1EEEvT1_
		.amdhsa_group_segment_fixed_size 0
		.amdhsa_private_segment_fixed_size 0
		.amdhsa_kernarg_size 136
		.amdhsa_user_sgpr_count 2
		.amdhsa_user_sgpr_dispatch_ptr 0
		.amdhsa_user_sgpr_queue_ptr 0
		.amdhsa_user_sgpr_kernarg_segment_ptr 1
		.amdhsa_user_sgpr_dispatch_id 0
		.amdhsa_user_sgpr_kernarg_preload_length 0
		.amdhsa_user_sgpr_kernarg_preload_offset 0
		.amdhsa_user_sgpr_private_segment_size 0
		.amdhsa_uses_dynamic_stack 0
		.amdhsa_enable_private_segment 0
		.amdhsa_system_sgpr_workgroup_id_x 1
		.amdhsa_system_sgpr_workgroup_id_y 0
		.amdhsa_system_sgpr_workgroup_id_z 0
		.amdhsa_system_sgpr_workgroup_info 0
		.amdhsa_system_vgpr_workitem_id 0
		.amdhsa_next_free_vgpr 1
		.amdhsa_next_free_sgpr 0
		.amdhsa_accum_offset 4
		.amdhsa_reserve_vcc 0
		.amdhsa_float_round_mode_32 0
		.amdhsa_float_round_mode_16_64 0
		.amdhsa_float_denorm_mode_32 3
		.amdhsa_float_denorm_mode_16_64 3
		.amdhsa_dx10_clamp 1
		.amdhsa_ieee_mode 1
		.amdhsa_fp16_overflow 0
		.amdhsa_tg_split 0
		.amdhsa_exception_fp_ieee_invalid_op 0
		.amdhsa_exception_fp_denorm_src 0
		.amdhsa_exception_fp_ieee_div_zero 0
		.amdhsa_exception_fp_ieee_overflow 0
		.amdhsa_exception_fp_ieee_underflow 0
		.amdhsa_exception_fp_ieee_inexact 0
		.amdhsa_exception_int_div_zero 0
	.end_amdhsa_kernel
	.section	.text._ZN7rocprim17ROCPRIM_400000_NS6detail17trampoline_kernelINS0_14default_configENS1_25partition_config_selectorILNS1_17partition_subalgoE8ElNS0_10empty_typeEbEEZZNS1_14partition_implILS5_8ELb0ES3_jPlPS6_PKS6_NS0_5tupleIJS9_S6_EEENSD_IJSA_SA_EEENS0_18inequality_wrapperIZN2at6native12_GLOBAL__N_124unique_dim_cuda_templateItEESt5tupleIJNSH_6TensorESM_SM_EERKSM_lbbbEUlllE0_EEPmJS6_EEE10hipError_tPvRmT3_T4_T5_T6_T7_T9_mT8_P12ihipStream_tbDpT10_ENKUlT_T0_E_clISt17integral_constantIbLb0EES1B_IbLb1EEEEDaS17_S18_EUlS17_E_NS1_11comp_targetILNS1_3genE10ELNS1_11target_archE1200ELNS1_3gpuE4ELNS1_3repE0EEENS1_30default_config_static_selectorELNS0_4arch9wavefront6targetE1EEEvT1_,"axG",@progbits,_ZN7rocprim17ROCPRIM_400000_NS6detail17trampoline_kernelINS0_14default_configENS1_25partition_config_selectorILNS1_17partition_subalgoE8ElNS0_10empty_typeEbEEZZNS1_14partition_implILS5_8ELb0ES3_jPlPS6_PKS6_NS0_5tupleIJS9_S6_EEENSD_IJSA_SA_EEENS0_18inequality_wrapperIZN2at6native12_GLOBAL__N_124unique_dim_cuda_templateItEESt5tupleIJNSH_6TensorESM_SM_EERKSM_lbbbEUlllE0_EEPmJS6_EEE10hipError_tPvRmT3_T4_T5_T6_T7_T9_mT8_P12ihipStream_tbDpT10_ENKUlT_T0_E_clISt17integral_constantIbLb0EES1B_IbLb1EEEEDaS17_S18_EUlS17_E_NS1_11comp_targetILNS1_3genE10ELNS1_11target_archE1200ELNS1_3gpuE4ELNS1_3repE0EEENS1_30default_config_static_selectorELNS0_4arch9wavefront6targetE1EEEvT1_,comdat
.Lfunc_end1448:
	.size	_ZN7rocprim17ROCPRIM_400000_NS6detail17trampoline_kernelINS0_14default_configENS1_25partition_config_selectorILNS1_17partition_subalgoE8ElNS0_10empty_typeEbEEZZNS1_14partition_implILS5_8ELb0ES3_jPlPS6_PKS6_NS0_5tupleIJS9_S6_EEENSD_IJSA_SA_EEENS0_18inequality_wrapperIZN2at6native12_GLOBAL__N_124unique_dim_cuda_templateItEESt5tupleIJNSH_6TensorESM_SM_EERKSM_lbbbEUlllE0_EEPmJS6_EEE10hipError_tPvRmT3_T4_T5_T6_T7_T9_mT8_P12ihipStream_tbDpT10_ENKUlT_T0_E_clISt17integral_constantIbLb0EES1B_IbLb1EEEEDaS17_S18_EUlS17_E_NS1_11comp_targetILNS1_3genE10ELNS1_11target_archE1200ELNS1_3gpuE4ELNS1_3repE0EEENS1_30default_config_static_selectorELNS0_4arch9wavefront6targetE1EEEvT1_, .Lfunc_end1448-_ZN7rocprim17ROCPRIM_400000_NS6detail17trampoline_kernelINS0_14default_configENS1_25partition_config_selectorILNS1_17partition_subalgoE8ElNS0_10empty_typeEbEEZZNS1_14partition_implILS5_8ELb0ES3_jPlPS6_PKS6_NS0_5tupleIJS9_S6_EEENSD_IJSA_SA_EEENS0_18inequality_wrapperIZN2at6native12_GLOBAL__N_124unique_dim_cuda_templateItEESt5tupleIJNSH_6TensorESM_SM_EERKSM_lbbbEUlllE0_EEPmJS6_EEE10hipError_tPvRmT3_T4_T5_T6_T7_T9_mT8_P12ihipStream_tbDpT10_ENKUlT_T0_E_clISt17integral_constantIbLb0EES1B_IbLb1EEEEDaS17_S18_EUlS17_E_NS1_11comp_targetILNS1_3genE10ELNS1_11target_archE1200ELNS1_3gpuE4ELNS1_3repE0EEENS1_30default_config_static_selectorELNS0_4arch9wavefront6targetE1EEEvT1_
                                        ; -- End function
	.set _ZN7rocprim17ROCPRIM_400000_NS6detail17trampoline_kernelINS0_14default_configENS1_25partition_config_selectorILNS1_17partition_subalgoE8ElNS0_10empty_typeEbEEZZNS1_14partition_implILS5_8ELb0ES3_jPlPS6_PKS6_NS0_5tupleIJS9_S6_EEENSD_IJSA_SA_EEENS0_18inequality_wrapperIZN2at6native12_GLOBAL__N_124unique_dim_cuda_templateItEESt5tupleIJNSH_6TensorESM_SM_EERKSM_lbbbEUlllE0_EEPmJS6_EEE10hipError_tPvRmT3_T4_T5_T6_T7_T9_mT8_P12ihipStream_tbDpT10_ENKUlT_T0_E_clISt17integral_constantIbLb0EES1B_IbLb1EEEEDaS17_S18_EUlS17_E_NS1_11comp_targetILNS1_3genE10ELNS1_11target_archE1200ELNS1_3gpuE4ELNS1_3repE0EEENS1_30default_config_static_selectorELNS0_4arch9wavefront6targetE1EEEvT1_.num_vgpr, 0
	.set _ZN7rocprim17ROCPRIM_400000_NS6detail17trampoline_kernelINS0_14default_configENS1_25partition_config_selectorILNS1_17partition_subalgoE8ElNS0_10empty_typeEbEEZZNS1_14partition_implILS5_8ELb0ES3_jPlPS6_PKS6_NS0_5tupleIJS9_S6_EEENSD_IJSA_SA_EEENS0_18inequality_wrapperIZN2at6native12_GLOBAL__N_124unique_dim_cuda_templateItEESt5tupleIJNSH_6TensorESM_SM_EERKSM_lbbbEUlllE0_EEPmJS6_EEE10hipError_tPvRmT3_T4_T5_T6_T7_T9_mT8_P12ihipStream_tbDpT10_ENKUlT_T0_E_clISt17integral_constantIbLb0EES1B_IbLb1EEEEDaS17_S18_EUlS17_E_NS1_11comp_targetILNS1_3genE10ELNS1_11target_archE1200ELNS1_3gpuE4ELNS1_3repE0EEENS1_30default_config_static_selectorELNS0_4arch9wavefront6targetE1EEEvT1_.num_agpr, 0
	.set _ZN7rocprim17ROCPRIM_400000_NS6detail17trampoline_kernelINS0_14default_configENS1_25partition_config_selectorILNS1_17partition_subalgoE8ElNS0_10empty_typeEbEEZZNS1_14partition_implILS5_8ELb0ES3_jPlPS6_PKS6_NS0_5tupleIJS9_S6_EEENSD_IJSA_SA_EEENS0_18inequality_wrapperIZN2at6native12_GLOBAL__N_124unique_dim_cuda_templateItEESt5tupleIJNSH_6TensorESM_SM_EERKSM_lbbbEUlllE0_EEPmJS6_EEE10hipError_tPvRmT3_T4_T5_T6_T7_T9_mT8_P12ihipStream_tbDpT10_ENKUlT_T0_E_clISt17integral_constantIbLb0EES1B_IbLb1EEEEDaS17_S18_EUlS17_E_NS1_11comp_targetILNS1_3genE10ELNS1_11target_archE1200ELNS1_3gpuE4ELNS1_3repE0EEENS1_30default_config_static_selectorELNS0_4arch9wavefront6targetE1EEEvT1_.numbered_sgpr, 0
	.set _ZN7rocprim17ROCPRIM_400000_NS6detail17trampoline_kernelINS0_14default_configENS1_25partition_config_selectorILNS1_17partition_subalgoE8ElNS0_10empty_typeEbEEZZNS1_14partition_implILS5_8ELb0ES3_jPlPS6_PKS6_NS0_5tupleIJS9_S6_EEENSD_IJSA_SA_EEENS0_18inequality_wrapperIZN2at6native12_GLOBAL__N_124unique_dim_cuda_templateItEESt5tupleIJNSH_6TensorESM_SM_EERKSM_lbbbEUlllE0_EEPmJS6_EEE10hipError_tPvRmT3_T4_T5_T6_T7_T9_mT8_P12ihipStream_tbDpT10_ENKUlT_T0_E_clISt17integral_constantIbLb0EES1B_IbLb1EEEEDaS17_S18_EUlS17_E_NS1_11comp_targetILNS1_3genE10ELNS1_11target_archE1200ELNS1_3gpuE4ELNS1_3repE0EEENS1_30default_config_static_selectorELNS0_4arch9wavefront6targetE1EEEvT1_.num_named_barrier, 0
	.set _ZN7rocprim17ROCPRIM_400000_NS6detail17trampoline_kernelINS0_14default_configENS1_25partition_config_selectorILNS1_17partition_subalgoE8ElNS0_10empty_typeEbEEZZNS1_14partition_implILS5_8ELb0ES3_jPlPS6_PKS6_NS0_5tupleIJS9_S6_EEENSD_IJSA_SA_EEENS0_18inequality_wrapperIZN2at6native12_GLOBAL__N_124unique_dim_cuda_templateItEESt5tupleIJNSH_6TensorESM_SM_EERKSM_lbbbEUlllE0_EEPmJS6_EEE10hipError_tPvRmT3_T4_T5_T6_T7_T9_mT8_P12ihipStream_tbDpT10_ENKUlT_T0_E_clISt17integral_constantIbLb0EES1B_IbLb1EEEEDaS17_S18_EUlS17_E_NS1_11comp_targetILNS1_3genE10ELNS1_11target_archE1200ELNS1_3gpuE4ELNS1_3repE0EEENS1_30default_config_static_selectorELNS0_4arch9wavefront6targetE1EEEvT1_.private_seg_size, 0
	.set _ZN7rocprim17ROCPRIM_400000_NS6detail17trampoline_kernelINS0_14default_configENS1_25partition_config_selectorILNS1_17partition_subalgoE8ElNS0_10empty_typeEbEEZZNS1_14partition_implILS5_8ELb0ES3_jPlPS6_PKS6_NS0_5tupleIJS9_S6_EEENSD_IJSA_SA_EEENS0_18inequality_wrapperIZN2at6native12_GLOBAL__N_124unique_dim_cuda_templateItEESt5tupleIJNSH_6TensorESM_SM_EERKSM_lbbbEUlllE0_EEPmJS6_EEE10hipError_tPvRmT3_T4_T5_T6_T7_T9_mT8_P12ihipStream_tbDpT10_ENKUlT_T0_E_clISt17integral_constantIbLb0EES1B_IbLb1EEEEDaS17_S18_EUlS17_E_NS1_11comp_targetILNS1_3genE10ELNS1_11target_archE1200ELNS1_3gpuE4ELNS1_3repE0EEENS1_30default_config_static_selectorELNS0_4arch9wavefront6targetE1EEEvT1_.uses_vcc, 0
	.set _ZN7rocprim17ROCPRIM_400000_NS6detail17trampoline_kernelINS0_14default_configENS1_25partition_config_selectorILNS1_17partition_subalgoE8ElNS0_10empty_typeEbEEZZNS1_14partition_implILS5_8ELb0ES3_jPlPS6_PKS6_NS0_5tupleIJS9_S6_EEENSD_IJSA_SA_EEENS0_18inequality_wrapperIZN2at6native12_GLOBAL__N_124unique_dim_cuda_templateItEESt5tupleIJNSH_6TensorESM_SM_EERKSM_lbbbEUlllE0_EEPmJS6_EEE10hipError_tPvRmT3_T4_T5_T6_T7_T9_mT8_P12ihipStream_tbDpT10_ENKUlT_T0_E_clISt17integral_constantIbLb0EES1B_IbLb1EEEEDaS17_S18_EUlS17_E_NS1_11comp_targetILNS1_3genE10ELNS1_11target_archE1200ELNS1_3gpuE4ELNS1_3repE0EEENS1_30default_config_static_selectorELNS0_4arch9wavefront6targetE1EEEvT1_.uses_flat_scratch, 0
	.set _ZN7rocprim17ROCPRIM_400000_NS6detail17trampoline_kernelINS0_14default_configENS1_25partition_config_selectorILNS1_17partition_subalgoE8ElNS0_10empty_typeEbEEZZNS1_14partition_implILS5_8ELb0ES3_jPlPS6_PKS6_NS0_5tupleIJS9_S6_EEENSD_IJSA_SA_EEENS0_18inequality_wrapperIZN2at6native12_GLOBAL__N_124unique_dim_cuda_templateItEESt5tupleIJNSH_6TensorESM_SM_EERKSM_lbbbEUlllE0_EEPmJS6_EEE10hipError_tPvRmT3_T4_T5_T6_T7_T9_mT8_P12ihipStream_tbDpT10_ENKUlT_T0_E_clISt17integral_constantIbLb0EES1B_IbLb1EEEEDaS17_S18_EUlS17_E_NS1_11comp_targetILNS1_3genE10ELNS1_11target_archE1200ELNS1_3gpuE4ELNS1_3repE0EEENS1_30default_config_static_selectorELNS0_4arch9wavefront6targetE1EEEvT1_.has_dyn_sized_stack, 0
	.set _ZN7rocprim17ROCPRIM_400000_NS6detail17trampoline_kernelINS0_14default_configENS1_25partition_config_selectorILNS1_17partition_subalgoE8ElNS0_10empty_typeEbEEZZNS1_14partition_implILS5_8ELb0ES3_jPlPS6_PKS6_NS0_5tupleIJS9_S6_EEENSD_IJSA_SA_EEENS0_18inequality_wrapperIZN2at6native12_GLOBAL__N_124unique_dim_cuda_templateItEESt5tupleIJNSH_6TensorESM_SM_EERKSM_lbbbEUlllE0_EEPmJS6_EEE10hipError_tPvRmT3_T4_T5_T6_T7_T9_mT8_P12ihipStream_tbDpT10_ENKUlT_T0_E_clISt17integral_constantIbLb0EES1B_IbLb1EEEEDaS17_S18_EUlS17_E_NS1_11comp_targetILNS1_3genE10ELNS1_11target_archE1200ELNS1_3gpuE4ELNS1_3repE0EEENS1_30default_config_static_selectorELNS0_4arch9wavefront6targetE1EEEvT1_.has_recursion, 0
	.set _ZN7rocprim17ROCPRIM_400000_NS6detail17trampoline_kernelINS0_14default_configENS1_25partition_config_selectorILNS1_17partition_subalgoE8ElNS0_10empty_typeEbEEZZNS1_14partition_implILS5_8ELb0ES3_jPlPS6_PKS6_NS0_5tupleIJS9_S6_EEENSD_IJSA_SA_EEENS0_18inequality_wrapperIZN2at6native12_GLOBAL__N_124unique_dim_cuda_templateItEESt5tupleIJNSH_6TensorESM_SM_EERKSM_lbbbEUlllE0_EEPmJS6_EEE10hipError_tPvRmT3_T4_T5_T6_T7_T9_mT8_P12ihipStream_tbDpT10_ENKUlT_T0_E_clISt17integral_constantIbLb0EES1B_IbLb1EEEEDaS17_S18_EUlS17_E_NS1_11comp_targetILNS1_3genE10ELNS1_11target_archE1200ELNS1_3gpuE4ELNS1_3repE0EEENS1_30default_config_static_selectorELNS0_4arch9wavefront6targetE1EEEvT1_.has_indirect_call, 0
	.section	.AMDGPU.csdata,"",@progbits
; Kernel info:
; codeLenInByte = 0
; TotalNumSgprs: 6
; NumVgprs: 0
; NumAgprs: 0
; TotalNumVgprs: 0
; ScratchSize: 0
; MemoryBound: 0
; FloatMode: 240
; IeeeMode: 1
; LDSByteSize: 0 bytes/workgroup (compile time only)
; SGPRBlocks: 0
; VGPRBlocks: 0
; NumSGPRsForWavesPerEU: 6
; NumVGPRsForWavesPerEU: 1
; AccumOffset: 4
; Occupancy: 8
; WaveLimiterHint : 0
; COMPUTE_PGM_RSRC2:SCRATCH_EN: 0
; COMPUTE_PGM_RSRC2:USER_SGPR: 2
; COMPUTE_PGM_RSRC2:TRAP_HANDLER: 0
; COMPUTE_PGM_RSRC2:TGID_X_EN: 1
; COMPUTE_PGM_RSRC2:TGID_Y_EN: 0
; COMPUTE_PGM_RSRC2:TGID_Z_EN: 0
; COMPUTE_PGM_RSRC2:TIDIG_COMP_CNT: 0
; COMPUTE_PGM_RSRC3_GFX90A:ACCUM_OFFSET: 0
; COMPUTE_PGM_RSRC3_GFX90A:TG_SPLIT: 0
	.section	.text._ZN7rocprim17ROCPRIM_400000_NS6detail17trampoline_kernelINS0_14default_configENS1_25partition_config_selectorILNS1_17partition_subalgoE8ElNS0_10empty_typeEbEEZZNS1_14partition_implILS5_8ELb0ES3_jPlPS6_PKS6_NS0_5tupleIJS9_S6_EEENSD_IJSA_SA_EEENS0_18inequality_wrapperIZN2at6native12_GLOBAL__N_124unique_dim_cuda_templateItEESt5tupleIJNSH_6TensorESM_SM_EERKSM_lbbbEUlllE0_EEPmJS6_EEE10hipError_tPvRmT3_T4_T5_T6_T7_T9_mT8_P12ihipStream_tbDpT10_ENKUlT_T0_E_clISt17integral_constantIbLb0EES1B_IbLb1EEEEDaS17_S18_EUlS17_E_NS1_11comp_targetILNS1_3genE9ELNS1_11target_archE1100ELNS1_3gpuE3ELNS1_3repE0EEENS1_30default_config_static_selectorELNS0_4arch9wavefront6targetE1EEEvT1_,"axG",@progbits,_ZN7rocprim17ROCPRIM_400000_NS6detail17trampoline_kernelINS0_14default_configENS1_25partition_config_selectorILNS1_17partition_subalgoE8ElNS0_10empty_typeEbEEZZNS1_14partition_implILS5_8ELb0ES3_jPlPS6_PKS6_NS0_5tupleIJS9_S6_EEENSD_IJSA_SA_EEENS0_18inequality_wrapperIZN2at6native12_GLOBAL__N_124unique_dim_cuda_templateItEESt5tupleIJNSH_6TensorESM_SM_EERKSM_lbbbEUlllE0_EEPmJS6_EEE10hipError_tPvRmT3_T4_T5_T6_T7_T9_mT8_P12ihipStream_tbDpT10_ENKUlT_T0_E_clISt17integral_constantIbLb0EES1B_IbLb1EEEEDaS17_S18_EUlS17_E_NS1_11comp_targetILNS1_3genE9ELNS1_11target_archE1100ELNS1_3gpuE3ELNS1_3repE0EEENS1_30default_config_static_selectorELNS0_4arch9wavefront6targetE1EEEvT1_,comdat
	.globl	_ZN7rocprim17ROCPRIM_400000_NS6detail17trampoline_kernelINS0_14default_configENS1_25partition_config_selectorILNS1_17partition_subalgoE8ElNS0_10empty_typeEbEEZZNS1_14partition_implILS5_8ELb0ES3_jPlPS6_PKS6_NS0_5tupleIJS9_S6_EEENSD_IJSA_SA_EEENS0_18inequality_wrapperIZN2at6native12_GLOBAL__N_124unique_dim_cuda_templateItEESt5tupleIJNSH_6TensorESM_SM_EERKSM_lbbbEUlllE0_EEPmJS6_EEE10hipError_tPvRmT3_T4_T5_T6_T7_T9_mT8_P12ihipStream_tbDpT10_ENKUlT_T0_E_clISt17integral_constantIbLb0EES1B_IbLb1EEEEDaS17_S18_EUlS17_E_NS1_11comp_targetILNS1_3genE9ELNS1_11target_archE1100ELNS1_3gpuE3ELNS1_3repE0EEENS1_30default_config_static_selectorELNS0_4arch9wavefront6targetE1EEEvT1_ ; -- Begin function _ZN7rocprim17ROCPRIM_400000_NS6detail17trampoline_kernelINS0_14default_configENS1_25partition_config_selectorILNS1_17partition_subalgoE8ElNS0_10empty_typeEbEEZZNS1_14partition_implILS5_8ELb0ES3_jPlPS6_PKS6_NS0_5tupleIJS9_S6_EEENSD_IJSA_SA_EEENS0_18inequality_wrapperIZN2at6native12_GLOBAL__N_124unique_dim_cuda_templateItEESt5tupleIJNSH_6TensorESM_SM_EERKSM_lbbbEUlllE0_EEPmJS6_EEE10hipError_tPvRmT3_T4_T5_T6_T7_T9_mT8_P12ihipStream_tbDpT10_ENKUlT_T0_E_clISt17integral_constantIbLb0EES1B_IbLb1EEEEDaS17_S18_EUlS17_E_NS1_11comp_targetILNS1_3genE9ELNS1_11target_archE1100ELNS1_3gpuE3ELNS1_3repE0EEENS1_30default_config_static_selectorELNS0_4arch9wavefront6targetE1EEEvT1_
	.p2align	8
	.type	_ZN7rocprim17ROCPRIM_400000_NS6detail17trampoline_kernelINS0_14default_configENS1_25partition_config_selectorILNS1_17partition_subalgoE8ElNS0_10empty_typeEbEEZZNS1_14partition_implILS5_8ELb0ES3_jPlPS6_PKS6_NS0_5tupleIJS9_S6_EEENSD_IJSA_SA_EEENS0_18inequality_wrapperIZN2at6native12_GLOBAL__N_124unique_dim_cuda_templateItEESt5tupleIJNSH_6TensorESM_SM_EERKSM_lbbbEUlllE0_EEPmJS6_EEE10hipError_tPvRmT3_T4_T5_T6_T7_T9_mT8_P12ihipStream_tbDpT10_ENKUlT_T0_E_clISt17integral_constantIbLb0EES1B_IbLb1EEEEDaS17_S18_EUlS17_E_NS1_11comp_targetILNS1_3genE9ELNS1_11target_archE1100ELNS1_3gpuE3ELNS1_3repE0EEENS1_30default_config_static_selectorELNS0_4arch9wavefront6targetE1EEEvT1_,@function
_ZN7rocprim17ROCPRIM_400000_NS6detail17trampoline_kernelINS0_14default_configENS1_25partition_config_selectorILNS1_17partition_subalgoE8ElNS0_10empty_typeEbEEZZNS1_14partition_implILS5_8ELb0ES3_jPlPS6_PKS6_NS0_5tupleIJS9_S6_EEENSD_IJSA_SA_EEENS0_18inequality_wrapperIZN2at6native12_GLOBAL__N_124unique_dim_cuda_templateItEESt5tupleIJNSH_6TensorESM_SM_EERKSM_lbbbEUlllE0_EEPmJS6_EEE10hipError_tPvRmT3_T4_T5_T6_T7_T9_mT8_P12ihipStream_tbDpT10_ENKUlT_T0_E_clISt17integral_constantIbLb0EES1B_IbLb1EEEEDaS17_S18_EUlS17_E_NS1_11comp_targetILNS1_3genE9ELNS1_11target_archE1100ELNS1_3gpuE3ELNS1_3repE0EEENS1_30default_config_static_selectorELNS0_4arch9wavefront6targetE1EEEvT1_: ; @_ZN7rocprim17ROCPRIM_400000_NS6detail17trampoline_kernelINS0_14default_configENS1_25partition_config_selectorILNS1_17partition_subalgoE8ElNS0_10empty_typeEbEEZZNS1_14partition_implILS5_8ELb0ES3_jPlPS6_PKS6_NS0_5tupleIJS9_S6_EEENSD_IJSA_SA_EEENS0_18inequality_wrapperIZN2at6native12_GLOBAL__N_124unique_dim_cuda_templateItEESt5tupleIJNSH_6TensorESM_SM_EERKSM_lbbbEUlllE0_EEPmJS6_EEE10hipError_tPvRmT3_T4_T5_T6_T7_T9_mT8_P12ihipStream_tbDpT10_ENKUlT_T0_E_clISt17integral_constantIbLb0EES1B_IbLb1EEEEDaS17_S18_EUlS17_E_NS1_11comp_targetILNS1_3genE9ELNS1_11target_archE1100ELNS1_3gpuE3ELNS1_3repE0EEENS1_30default_config_static_selectorELNS0_4arch9wavefront6targetE1EEEvT1_
; %bb.0:
	.section	.rodata,"a",@progbits
	.p2align	6, 0x0
	.amdhsa_kernel _ZN7rocprim17ROCPRIM_400000_NS6detail17trampoline_kernelINS0_14default_configENS1_25partition_config_selectorILNS1_17partition_subalgoE8ElNS0_10empty_typeEbEEZZNS1_14partition_implILS5_8ELb0ES3_jPlPS6_PKS6_NS0_5tupleIJS9_S6_EEENSD_IJSA_SA_EEENS0_18inequality_wrapperIZN2at6native12_GLOBAL__N_124unique_dim_cuda_templateItEESt5tupleIJNSH_6TensorESM_SM_EERKSM_lbbbEUlllE0_EEPmJS6_EEE10hipError_tPvRmT3_T4_T5_T6_T7_T9_mT8_P12ihipStream_tbDpT10_ENKUlT_T0_E_clISt17integral_constantIbLb0EES1B_IbLb1EEEEDaS17_S18_EUlS17_E_NS1_11comp_targetILNS1_3genE9ELNS1_11target_archE1100ELNS1_3gpuE3ELNS1_3repE0EEENS1_30default_config_static_selectorELNS0_4arch9wavefront6targetE1EEEvT1_
		.amdhsa_group_segment_fixed_size 0
		.amdhsa_private_segment_fixed_size 0
		.amdhsa_kernarg_size 136
		.amdhsa_user_sgpr_count 2
		.amdhsa_user_sgpr_dispatch_ptr 0
		.amdhsa_user_sgpr_queue_ptr 0
		.amdhsa_user_sgpr_kernarg_segment_ptr 1
		.amdhsa_user_sgpr_dispatch_id 0
		.amdhsa_user_sgpr_kernarg_preload_length 0
		.amdhsa_user_sgpr_kernarg_preload_offset 0
		.amdhsa_user_sgpr_private_segment_size 0
		.amdhsa_uses_dynamic_stack 0
		.amdhsa_enable_private_segment 0
		.amdhsa_system_sgpr_workgroup_id_x 1
		.amdhsa_system_sgpr_workgroup_id_y 0
		.amdhsa_system_sgpr_workgroup_id_z 0
		.amdhsa_system_sgpr_workgroup_info 0
		.amdhsa_system_vgpr_workitem_id 0
		.amdhsa_next_free_vgpr 1
		.amdhsa_next_free_sgpr 0
		.amdhsa_accum_offset 4
		.amdhsa_reserve_vcc 0
		.amdhsa_float_round_mode_32 0
		.amdhsa_float_round_mode_16_64 0
		.amdhsa_float_denorm_mode_32 3
		.amdhsa_float_denorm_mode_16_64 3
		.amdhsa_dx10_clamp 1
		.amdhsa_ieee_mode 1
		.amdhsa_fp16_overflow 0
		.amdhsa_tg_split 0
		.amdhsa_exception_fp_ieee_invalid_op 0
		.amdhsa_exception_fp_denorm_src 0
		.amdhsa_exception_fp_ieee_div_zero 0
		.amdhsa_exception_fp_ieee_overflow 0
		.amdhsa_exception_fp_ieee_underflow 0
		.amdhsa_exception_fp_ieee_inexact 0
		.amdhsa_exception_int_div_zero 0
	.end_amdhsa_kernel
	.section	.text._ZN7rocprim17ROCPRIM_400000_NS6detail17trampoline_kernelINS0_14default_configENS1_25partition_config_selectorILNS1_17partition_subalgoE8ElNS0_10empty_typeEbEEZZNS1_14partition_implILS5_8ELb0ES3_jPlPS6_PKS6_NS0_5tupleIJS9_S6_EEENSD_IJSA_SA_EEENS0_18inequality_wrapperIZN2at6native12_GLOBAL__N_124unique_dim_cuda_templateItEESt5tupleIJNSH_6TensorESM_SM_EERKSM_lbbbEUlllE0_EEPmJS6_EEE10hipError_tPvRmT3_T4_T5_T6_T7_T9_mT8_P12ihipStream_tbDpT10_ENKUlT_T0_E_clISt17integral_constantIbLb0EES1B_IbLb1EEEEDaS17_S18_EUlS17_E_NS1_11comp_targetILNS1_3genE9ELNS1_11target_archE1100ELNS1_3gpuE3ELNS1_3repE0EEENS1_30default_config_static_selectorELNS0_4arch9wavefront6targetE1EEEvT1_,"axG",@progbits,_ZN7rocprim17ROCPRIM_400000_NS6detail17trampoline_kernelINS0_14default_configENS1_25partition_config_selectorILNS1_17partition_subalgoE8ElNS0_10empty_typeEbEEZZNS1_14partition_implILS5_8ELb0ES3_jPlPS6_PKS6_NS0_5tupleIJS9_S6_EEENSD_IJSA_SA_EEENS0_18inequality_wrapperIZN2at6native12_GLOBAL__N_124unique_dim_cuda_templateItEESt5tupleIJNSH_6TensorESM_SM_EERKSM_lbbbEUlllE0_EEPmJS6_EEE10hipError_tPvRmT3_T4_T5_T6_T7_T9_mT8_P12ihipStream_tbDpT10_ENKUlT_T0_E_clISt17integral_constantIbLb0EES1B_IbLb1EEEEDaS17_S18_EUlS17_E_NS1_11comp_targetILNS1_3genE9ELNS1_11target_archE1100ELNS1_3gpuE3ELNS1_3repE0EEENS1_30default_config_static_selectorELNS0_4arch9wavefront6targetE1EEEvT1_,comdat
.Lfunc_end1449:
	.size	_ZN7rocprim17ROCPRIM_400000_NS6detail17trampoline_kernelINS0_14default_configENS1_25partition_config_selectorILNS1_17partition_subalgoE8ElNS0_10empty_typeEbEEZZNS1_14partition_implILS5_8ELb0ES3_jPlPS6_PKS6_NS0_5tupleIJS9_S6_EEENSD_IJSA_SA_EEENS0_18inequality_wrapperIZN2at6native12_GLOBAL__N_124unique_dim_cuda_templateItEESt5tupleIJNSH_6TensorESM_SM_EERKSM_lbbbEUlllE0_EEPmJS6_EEE10hipError_tPvRmT3_T4_T5_T6_T7_T9_mT8_P12ihipStream_tbDpT10_ENKUlT_T0_E_clISt17integral_constantIbLb0EES1B_IbLb1EEEEDaS17_S18_EUlS17_E_NS1_11comp_targetILNS1_3genE9ELNS1_11target_archE1100ELNS1_3gpuE3ELNS1_3repE0EEENS1_30default_config_static_selectorELNS0_4arch9wavefront6targetE1EEEvT1_, .Lfunc_end1449-_ZN7rocprim17ROCPRIM_400000_NS6detail17trampoline_kernelINS0_14default_configENS1_25partition_config_selectorILNS1_17partition_subalgoE8ElNS0_10empty_typeEbEEZZNS1_14partition_implILS5_8ELb0ES3_jPlPS6_PKS6_NS0_5tupleIJS9_S6_EEENSD_IJSA_SA_EEENS0_18inequality_wrapperIZN2at6native12_GLOBAL__N_124unique_dim_cuda_templateItEESt5tupleIJNSH_6TensorESM_SM_EERKSM_lbbbEUlllE0_EEPmJS6_EEE10hipError_tPvRmT3_T4_T5_T6_T7_T9_mT8_P12ihipStream_tbDpT10_ENKUlT_T0_E_clISt17integral_constantIbLb0EES1B_IbLb1EEEEDaS17_S18_EUlS17_E_NS1_11comp_targetILNS1_3genE9ELNS1_11target_archE1100ELNS1_3gpuE3ELNS1_3repE0EEENS1_30default_config_static_selectorELNS0_4arch9wavefront6targetE1EEEvT1_
                                        ; -- End function
	.set _ZN7rocprim17ROCPRIM_400000_NS6detail17trampoline_kernelINS0_14default_configENS1_25partition_config_selectorILNS1_17partition_subalgoE8ElNS0_10empty_typeEbEEZZNS1_14partition_implILS5_8ELb0ES3_jPlPS6_PKS6_NS0_5tupleIJS9_S6_EEENSD_IJSA_SA_EEENS0_18inequality_wrapperIZN2at6native12_GLOBAL__N_124unique_dim_cuda_templateItEESt5tupleIJNSH_6TensorESM_SM_EERKSM_lbbbEUlllE0_EEPmJS6_EEE10hipError_tPvRmT3_T4_T5_T6_T7_T9_mT8_P12ihipStream_tbDpT10_ENKUlT_T0_E_clISt17integral_constantIbLb0EES1B_IbLb1EEEEDaS17_S18_EUlS17_E_NS1_11comp_targetILNS1_3genE9ELNS1_11target_archE1100ELNS1_3gpuE3ELNS1_3repE0EEENS1_30default_config_static_selectorELNS0_4arch9wavefront6targetE1EEEvT1_.num_vgpr, 0
	.set _ZN7rocprim17ROCPRIM_400000_NS6detail17trampoline_kernelINS0_14default_configENS1_25partition_config_selectorILNS1_17partition_subalgoE8ElNS0_10empty_typeEbEEZZNS1_14partition_implILS5_8ELb0ES3_jPlPS6_PKS6_NS0_5tupleIJS9_S6_EEENSD_IJSA_SA_EEENS0_18inequality_wrapperIZN2at6native12_GLOBAL__N_124unique_dim_cuda_templateItEESt5tupleIJNSH_6TensorESM_SM_EERKSM_lbbbEUlllE0_EEPmJS6_EEE10hipError_tPvRmT3_T4_T5_T6_T7_T9_mT8_P12ihipStream_tbDpT10_ENKUlT_T0_E_clISt17integral_constantIbLb0EES1B_IbLb1EEEEDaS17_S18_EUlS17_E_NS1_11comp_targetILNS1_3genE9ELNS1_11target_archE1100ELNS1_3gpuE3ELNS1_3repE0EEENS1_30default_config_static_selectorELNS0_4arch9wavefront6targetE1EEEvT1_.num_agpr, 0
	.set _ZN7rocprim17ROCPRIM_400000_NS6detail17trampoline_kernelINS0_14default_configENS1_25partition_config_selectorILNS1_17partition_subalgoE8ElNS0_10empty_typeEbEEZZNS1_14partition_implILS5_8ELb0ES3_jPlPS6_PKS6_NS0_5tupleIJS9_S6_EEENSD_IJSA_SA_EEENS0_18inequality_wrapperIZN2at6native12_GLOBAL__N_124unique_dim_cuda_templateItEESt5tupleIJNSH_6TensorESM_SM_EERKSM_lbbbEUlllE0_EEPmJS6_EEE10hipError_tPvRmT3_T4_T5_T6_T7_T9_mT8_P12ihipStream_tbDpT10_ENKUlT_T0_E_clISt17integral_constantIbLb0EES1B_IbLb1EEEEDaS17_S18_EUlS17_E_NS1_11comp_targetILNS1_3genE9ELNS1_11target_archE1100ELNS1_3gpuE3ELNS1_3repE0EEENS1_30default_config_static_selectorELNS0_4arch9wavefront6targetE1EEEvT1_.numbered_sgpr, 0
	.set _ZN7rocprim17ROCPRIM_400000_NS6detail17trampoline_kernelINS0_14default_configENS1_25partition_config_selectorILNS1_17partition_subalgoE8ElNS0_10empty_typeEbEEZZNS1_14partition_implILS5_8ELb0ES3_jPlPS6_PKS6_NS0_5tupleIJS9_S6_EEENSD_IJSA_SA_EEENS0_18inequality_wrapperIZN2at6native12_GLOBAL__N_124unique_dim_cuda_templateItEESt5tupleIJNSH_6TensorESM_SM_EERKSM_lbbbEUlllE0_EEPmJS6_EEE10hipError_tPvRmT3_T4_T5_T6_T7_T9_mT8_P12ihipStream_tbDpT10_ENKUlT_T0_E_clISt17integral_constantIbLb0EES1B_IbLb1EEEEDaS17_S18_EUlS17_E_NS1_11comp_targetILNS1_3genE9ELNS1_11target_archE1100ELNS1_3gpuE3ELNS1_3repE0EEENS1_30default_config_static_selectorELNS0_4arch9wavefront6targetE1EEEvT1_.num_named_barrier, 0
	.set _ZN7rocprim17ROCPRIM_400000_NS6detail17trampoline_kernelINS0_14default_configENS1_25partition_config_selectorILNS1_17partition_subalgoE8ElNS0_10empty_typeEbEEZZNS1_14partition_implILS5_8ELb0ES3_jPlPS6_PKS6_NS0_5tupleIJS9_S6_EEENSD_IJSA_SA_EEENS0_18inequality_wrapperIZN2at6native12_GLOBAL__N_124unique_dim_cuda_templateItEESt5tupleIJNSH_6TensorESM_SM_EERKSM_lbbbEUlllE0_EEPmJS6_EEE10hipError_tPvRmT3_T4_T5_T6_T7_T9_mT8_P12ihipStream_tbDpT10_ENKUlT_T0_E_clISt17integral_constantIbLb0EES1B_IbLb1EEEEDaS17_S18_EUlS17_E_NS1_11comp_targetILNS1_3genE9ELNS1_11target_archE1100ELNS1_3gpuE3ELNS1_3repE0EEENS1_30default_config_static_selectorELNS0_4arch9wavefront6targetE1EEEvT1_.private_seg_size, 0
	.set _ZN7rocprim17ROCPRIM_400000_NS6detail17trampoline_kernelINS0_14default_configENS1_25partition_config_selectorILNS1_17partition_subalgoE8ElNS0_10empty_typeEbEEZZNS1_14partition_implILS5_8ELb0ES3_jPlPS6_PKS6_NS0_5tupleIJS9_S6_EEENSD_IJSA_SA_EEENS0_18inequality_wrapperIZN2at6native12_GLOBAL__N_124unique_dim_cuda_templateItEESt5tupleIJNSH_6TensorESM_SM_EERKSM_lbbbEUlllE0_EEPmJS6_EEE10hipError_tPvRmT3_T4_T5_T6_T7_T9_mT8_P12ihipStream_tbDpT10_ENKUlT_T0_E_clISt17integral_constantIbLb0EES1B_IbLb1EEEEDaS17_S18_EUlS17_E_NS1_11comp_targetILNS1_3genE9ELNS1_11target_archE1100ELNS1_3gpuE3ELNS1_3repE0EEENS1_30default_config_static_selectorELNS0_4arch9wavefront6targetE1EEEvT1_.uses_vcc, 0
	.set _ZN7rocprim17ROCPRIM_400000_NS6detail17trampoline_kernelINS0_14default_configENS1_25partition_config_selectorILNS1_17partition_subalgoE8ElNS0_10empty_typeEbEEZZNS1_14partition_implILS5_8ELb0ES3_jPlPS6_PKS6_NS0_5tupleIJS9_S6_EEENSD_IJSA_SA_EEENS0_18inequality_wrapperIZN2at6native12_GLOBAL__N_124unique_dim_cuda_templateItEESt5tupleIJNSH_6TensorESM_SM_EERKSM_lbbbEUlllE0_EEPmJS6_EEE10hipError_tPvRmT3_T4_T5_T6_T7_T9_mT8_P12ihipStream_tbDpT10_ENKUlT_T0_E_clISt17integral_constantIbLb0EES1B_IbLb1EEEEDaS17_S18_EUlS17_E_NS1_11comp_targetILNS1_3genE9ELNS1_11target_archE1100ELNS1_3gpuE3ELNS1_3repE0EEENS1_30default_config_static_selectorELNS0_4arch9wavefront6targetE1EEEvT1_.uses_flat_scratch, 0
	.set _ZN7rocprim17ROCPRIM_400000_NS6detail17trampoline_kernelINS0_14default_configENS1_25partition_config_selectorILNS1_17partition_subalgoE8ElNS0_10empty_typeEbEEZZNS1_14partition_implILS5_8ELb0ES3_jPlPS6_PKS6_NS0_5tupleIJS9_S6_EEENSD_IJSA_SA_EEENS0_18inequality_wrapperIZN2at6native12_GLOBAL__N_124unique_dim_cuda_templateItEESt5tupleIJNSH_6TensorESM_SM_EERKSM_lbbbEUlllE0_EEPmJS6_EEE10hipError_tPvRmT3_T4_T5_T6_T7_T9_mT8_P12ihipStream_tbDpT10_ENKUlT_T0_E_clISt17integral_constantIbLb0EES1B_IbLb1EEEEDaS17_S18_EUlS17_E_NS1_11comp_targetILNS1_3genE9ELNS1_11target_archE1100ELNS1_3gpuE3ELNS1_3repE0EEENS1_30default_config_static_selectorELNS0_4arch9wavefront6targetE1EEEvT1_.has_dyn_sized_stack, 0
	.set _ZN7rocprim17ROCPRIM_400000_NS6detail17trampoline_kernelINS0_14default_configENS1_25partition_config_selectorILNS1_17partition_subalgoE8ElNS0_10empty_typeEbEEZZNS1_14partition_implILS5_8ELb0ES3_jPlPS6_PKS6_NS0_5tupleIJS9_S6_EEENSD_IJSA_SA_EEENS0_18inequality_wrapperIZN2at6native12_GLOBAL__N_124unique_dim_cuda_templateItEESt5tupleIJNSH_6TensorESM_SM_EERKSM_lbbbEUlllE0_EEPmJS6_EEE10hipError_tPvRmT3_T4_T5_T6_T7_T9_mT8_P12ihipStream_tbDpT10_ENKUlT_T0_E_clISt17integral_constantIbLb0EES1B_IbLb1EEEEDaS17_S18_EUlS17_E_NS1_11comp_targetILNS1_3genE9ELNS1_11target_archE1100ELNS1_3gpuE3ELNS1_3repE0EEENS1_30default_config_static_selectorELNS0_4arch9wavefront6targetE1EEEvT1_.has_recursion, 0
	.set _ZN7rocprim17ROCPRIM_400000_NS6detail17trampoline_kernelINS0_14default_configENS1_25partition_config_selectorILNS1_17partition_subalgoE8ElNS0_10empty_typeEbEEZZNS1_14partition_implILS5_8ELb0ES3_jPlPS6_PKS6_NS0_5tupleIJS9_S6_EEENSD_IJSA_SA_EEENS0_18inequality_wrapperIZN2at6native12_GLOBAL__N_124unique_dim_cuda_templateItEESt5tupleIJNSH_6TensorESM_SM_EERKSM_lbbbEUlllE0_EEPmJS6_EEE10hipError_tPvRmT3_T4_T5_T6_T7_T9_mT8_P12ihipStream_tbDpT10_ENKUlT_T0_E_clISt17integral_constantIbLb0EES1B_IbLb1EEEEDaS17_S18_EUlS17_E_NS1_11comp_targetILNS1_3genE9ELNS1_11target_archE1100ELNS1_3gpuE3ELNS1_3repE0EEENS1_30default_config_static_selectorELNS0_4arch9wavefront6targetE1EEEvT1_.has_indirect_call, 0
	.section	.AMDGPU.csdata,"",@progbits
; Kernel info:
; codeLenInByte = 0
; TotalNumSgprs: 6
; NumVgprs: 0
; NumAgprs: 0
; TotalNumVgprs: 0
; ScratchSize: 0
; MemoryBound: 0
; FloatMode: 240
; IeeeMode: 1
; LDSByteSize: 0 bytes/workgroup (compile time only)
; SGPRBlocks: 0
; VGPRBlocks: 0
; NumSGPRsForWavesPerEU: 6
; NumVGPRsForWavesPerEU: 1
; AccumOffset: 4
; Occupancy: 8
; WaveLimiterHint : 0
; COMPUTE_PGM_RSRC2:SCRATCH_EN: 0
; COMPUTE_PGM_RSRC2:USER_SGPR: 2
; COMPUTE_PGM_RSRC2:TRAP_HANDLER: 0
; COMPUTE_PGM_RSRC2:TGID_X_EN: 1
; COMPUTE_PGM_RSRC2:TGID_Y_EN: 0
; COMPUTE_PGM_RSRC2:TGID_Z_EN: 0
; COMPUTE_PGM_RSRC2:TIDIG_COMP_CNT: 0
; COMPUTE_PGM_RSRC3_GFX90A:ACCUM_OFFSET: 0
; COMPUTE_PGM_RSRC3_GFX90A:TG_SPLIT: 0
	.section	.text._ZN7rocprim17ROCPRIM_400000_NS6detail17trampoline_kernelINS0_14default_configENS1_25partition_config_selectorILNS1_17partition_subalgoE8ElNS0_10empty_typeEbEEZZNS1_14partition_implILS5_8ELb0ES3_jPlPS6_PKS6_NS0_5tupleIJS9_S6_EEENSD_IJSA_SA_EEENS0_18inequality_wrapperIZN2at6native12_GLOBAL__N_124unique_dim_cuda_templateItEESt5tupleIJNSH_6TensorESM_SM_EERKSM_lbbbEUlllE0_EEPmJS6_EEE10hipError_tPvRmT3_T4_T5_T6_T7_T9_mT8_P12ihipStream_tbDpT10_ENKUlT_T0_E_clISt17integral_constantIbLb0EES1B_IbLb1EEEEDaS17_S18_EUlS17_E_NS1_11comp_targetILNS1_3genE8ELNS1_11target_archE1030ELNS1_3gpuE2ELNS1_3repE0EEENS1_30default_config_static_selectorELNS0_4arch9wavefront6targetE1EEEvT1_,"axG",@progbits,_ZN7rocprim17ROCPRIM_400000_NS6detail17trampoline_kernelINS0_14default_configENS1_25partition_config_selectorILNS1_17partition_subalgoE8ElNS0_10empty_typeEbEEZZNS1_14partition_implILS5_8ELb0ES3_jPlPS6_PKS6_NS0_5tupleIJS9_S6_EEENSD_IJSA_SA_EEENS0_18inequality_wrapperIZN2at6native12_GLOBAL__N_124unique_dim_cuda_templateItEESt5tupleIJNSH_6TensorESM_SM_EERKSM_lbbbEUlllE0_EEPmJS6_EEE10hipError_tPvRmT3_T4_T5_T6_T7_T9_mT8_P12ihipStream_tbDpT10_ENKUlT_T0_E_clISt17integral_constantIbLb0EES1B_IbLb1EEEEDaS17_S18_EUlS17_E_NS1_11comp_targetILNS1_3genE8ELNS1_11target_archE1030ELNS1_3gpuE2ELNS1_3repE0EEENS1_30default_config_static_selectorELNS0_4arch9wavefront6targetE1EEEvT1_,comdat
	.globl	_ZN7rocprim17ROCPRIM_400000_NS6detail17trampoline_kernelINS0_14default_configENS1_25partition_config_selectorILNS1_17partition_subalgoE8ElNS0_10empty_typeEbEEZZNS1_14partition_implILS5_8ELb0ES3_jPlPS6_PKS6_NS0_5tupleIJS9_S6_EEENSD_IJSA_SA_EEENS0_18inequality_wrapperIZN2at6native12_GLOBAL__N_124unique_dim_cuda_templateItEESt5tupleIJNSH_6TensorESM_SM_EERKSM_lbbbEUlllE0_EEPmJS6_EEE10hipError_tPvRmT3_T4_T5_T6_T7_T9_mT8_P12ihipStream_tbDpT10_ENKUlT_T0_E_clISt17integral_constantIbLb0EES1B_IbLb1EEEEDaS17_S18_EUlS17_E_NS1_11comp_targetILNS1_3genE8ELNS1_11target_archE1030ELNS1_3gpuE2ELNS1_3repE0EEENS1_30default_config_static_selectorELNS0_4arch9wavefront6targetE1EEEvT1_ ; -- Begin function _ZN7rocprim17ROCPRIM_400000_NS6detail17trampoline_kernelINS0_14default_configENS1_25partition_config_selectorILNS1_17partition_subalgoE8ElNS0_10empty_typeEbEEZZNS1_14partition_implILS5_8ELb0ES3_jPlPS6_PKS6_NS0_5tupleIJS9_S6_EEENSD_IJSA_SA_EEENS0_18inequality_wrapperIZN2at6native12_GLOBAL__N_124unique_dim_cuda_templateItEESt5tupleIJNSH_6TensorESM_SM_EERKSM_lbbbEUlllE0_EEPmJS6_EEE10hipError_tPvRmT3_T4_T5_T6_T7_T9_mT8_P12ihipStream_tbDpT10_ENKUlT_T0_E_clISt17integral_constantIbLb0EES1B_IbLb1EEEEDaS17_S18_EUlS17_E_NS1_11comp_targetILNS1_3genE8ELNS1_11target_archE1030ELNS1_3gpuE2ELNS1_3repE0EEENS1_30default_config_static_selectorELNS0_4arch9wavefront6targetE1EEEvT1_
	.p2align	8
	.type	_ZN7rocprim17ROCPRIM_400000_NS6detail17trampoline_kernelINS0_14default_configENS1_25partition_config_selectorILNS1_17partition_subalgoE8ElNS0_10empty_typeEbEEZZNS1_14partition_implILS5_8ELb0ES3_jPlPS6_PKS6_NS0_5tupleIJS9_S6_EEENSD_IJSA_SA_EEENS0_18inequality_wrapperIZN2at6native12_GLOBAL__N_124unique_dim_cuda_templateItEESt5tupleIJNSH_6TensorESM_SM_EERKSM_lbbbEUlllE0_EEPmJS6_EEE10hipError_tPvRmT3_T4_T5_T6_T7_T9_mT8_P12ihipStream_tbDpT10_ENKUlT_T0_E_clISt17integral_constantIbLb0EES1B_IbLb1EEEEDaS17_S18_EUlS17_E_NS1_11comp_targetILNS1_3genE8ELNS1_11target_archE1030ELNS1_3gpuE2ELNS1_3repE0EEENS1_30default_config_static_selectorELNS0_4arch9wavefront6targetE1EEEvT1_,@function
_ZN7rocprim17ROCPRIM_400000_NS6detail17trampoline_kernelINS0_14default_configENS1_25partition_config_selectorILNS1_17partition_subalgoE8ElNS0_10empty_typeEbEEZZNS1_14partition_implILS5_8ELb0ES3_jPlPS6_PKS6_NS0_5tupleIJS9_S6_EEENSD_IJSA_SA_EEENS0_18inequality_wrapperIZN2at6native12_GLOBAL__N_124unique_dim_cuda_templateItEESt5tupleIJNSH_6TensorESM_SM_EERKSM_lbbbEUlllE0_EEPmJS6_EEE10hipError_tPvRmT3_T4_T5_T6_T7_T9_mT8_P12ihipStream_tbDpT10_ENKUlT_T0_E_clISt17integral_constantIbLb0EES1B_IbLb1EEEEDaS17_S18_EUlS17_E_NS1_11comp_targetILNS1_3genE8ELNS1_11target_archE1030ELNS1_3gpuE2ELNS1_3repE0EEENS1_30default_config_static_selectorELNS0_4arch9wavefront6targetE1EEEvT1_: ; @_ZN7rocprim17ROCPRIM_400000_NS6detail17trampoline_kernelINS0_14default_configENS1_25partition_config_selectorILNS1_17partition_subalgoE8ElNS0_10empty_typeEbEEZZNS1_14partition_implILS5_8ELb0ES3_jPlPS6_PKS6_NS0_5tupleIJS9_S6_EEENSD_IJSA_SA_EEENS0_18inequality_wrapperIZN2at6native12_GLOBAL__N_124unique_dim_cuda_templateItEESt5tupleIJNSH_6TensorESM_SM_EERKSM_lbbbEUlllE0_EEPmJS6_EEE10hipError_tPvRmT3_T4_T5_T6_T7_T9_mT8_P12ihipStream_tbDpT10_ENKUlT_T0_E_clISt17integral_constantIbLb0EES1B_IbLb1EEEEDaS17_S18_EUlS17_E_NS1_11comp_targetILNS1_3genE8ELNS1_11target_archE1030ELNS1_3gpuE2ELNS1_3repE0EEENS1_30default_config_static_selectorELNS0_4arch9wavefront6targetE1EEEvT1_
; %bb.0:
	.section	.rodata,"a",@progbits
	.p2align	6, 0x0
	.amdhsa_kernel _ZN7rocprim17ROCPRIM_400000_NS6detail17trampoline_kernelINS0_14default_configENS1_25partition_config_selectorILNS1_17partition_subalgoE8ElNS0_10empty_typeEbEEZZNS1_14partition_implILS5_8ELb0ES3_jPlPS6_PKS6_NS0_5tupleIJS9_S6_EEENSD_IJSA_SA_EEENS0_18inequality_wrapperIZN2at6native12_GLOBAL__N_124unique_dim_cuda_templateItEESt5tupleIJNSH_6TensorESM_SM_EERKSM_lbbbEUlllE0_EEPmJS6_EEE10hipError_tPvRmT3_T4_T5_T6_T7_T9_mT8_P12ihipStream_tbDpT10_ENKUlT_T0_E_clISt17integral_constantIbLb0EES1B_IbLb1EEEEDaS17_S18_EUlS17_E_NS1_11comp_targetILNS1_3genE8ELNS1_11target_archE1030ELNS1_3gpuE2ELNS1_3repE0EEENS1_30default_config_static_selectorELNS0_4arch9wavefront6targetE1EEEvT1_
		.amdhsa_group_segment_fixed_size 0
		.amdhsa_private_segment_fixed_size 0
		.amdhsa_kernarg_size 136
		.amdhsa_user_sgpr_count 2
		.amdhsa_user_sgpr_dispatch_ptr 0
		.amdhsa_user_sgpr_queue_ptr 0
		.amdhsa_user_sgpr_kernarg_segment_ptr 1
		.amdhsa_user_sgpr_dispatch_id 0
		.amdhsa_user_sgpr_kernarg_preload_length 0
		.amdhsa_user_sgpr_kernarg_preload_offset 0
		.amdhsa_user_sgpr_private_segment_size 0
		.amdhsa_uses_dynamic_stack 0
		.amdhsa_enable_private_segment 0
		.amdhsa_system_sgpr_workgroup_id_x 1
		.amdhsa_system_sgpr_workgroup_id_y 0
		.amdhsa_system_sgpr_workgroup_id_z 0
		.amdhsa_system_sgpr_workgroup_info 0
		.amdhsa_system_vgpr_workitem_id 0
		.amdhsa_next_free_vgpr 1
		.amdhsa_next_free_sgpr 0
		.amdhsa_accum_offset 4
		.amdhsa_reserve_vcc 0
		.amdhsa_float_round_mode_32 0
		.amdhsa_float_round_mode_16_64 0
		.amdhsa_float_denorm_mode_32 3
		.amdhsa_float_denorm_mode_16_64 3
		.amdhsa_dx10_clamp 1
		.amdhsa_ieee_mode 1
		.amdhsa_fp16_overflow 0
		.amdhsa_tg_split 0
		.amdhsa_exception_fp_ieee_invalid_op 0
		.amdhsa_exception_fp_denorm_src 0
		.amdhsa_exception_fp_ieee_div_zero 0
		.amdhsa_exception_fp_ieee_overflow 0
		.amdhsa_exception_fp_ieee_underflow 0
		.amdhsa_exception_fp_ieee_inexact 0
		.amdhsa_exception_int_div_zero 0
	.end_amdhsa_kernel
	.section	.text._ZN7rocprim17ROCPRIM_400000_NS6detail17trampoline_kernelINS0_14default_configENS1_25partition_config_selectorILNS1_17partition_subalgoE8ElNS0_10empty_typeEbEEZZNS1_14partition_implILS5_8ELb0ES3_jPlPS6_PKS6_NS0_5tupleIJS9_S6_EEENSD_IJSA_SA_EEENS0_18inequality_wrapperIZN2at6native12_GLOBAL__N_124unique_dim_cuda_templateItEESt5tupleIJNSH_6TensorESM_SM_EERKSM_lbbbEUlllE0_EEPmJS6_EEE10hipError_tPvRmT3_T4_T5_T6_T7_T9_mT8_P12ihipStream_tbDpT10_ENKUlT_T0_E_clISt17integral_constantIbLb0EES1B_IbLb1EEEEDaS17_S18_EUlS17_E_NS1_11comp_targetILNS1_3genE8ELNS1_11target_archE1030ELNS1_3gpuE2ELNS1_3repE0EEENS1_30default_config_static_selectorELNS0_4arch9wavefront6targetE1EEEvT1_,"axG",@progbits,_ZN7rocprim17ROCPRIM_400000_NS6detail17trampoline_kernelINS0_14default_configENS1_25partition_config_selectorILNS1_17partition_subalgoE8ElNS0_10empty_typeEbEEZZNS1_14partition_implILS5_8ELb0ES3_jPlPS6_PKS6_NS0_5tupleIJS9_S6_EEENSD_IJSA_SA_EEENS0_18inequality_wrapperIZN2at6native12_GLOBAL__N_124unique_dim_cuda_templateItEESt5tupleIJNSH_6TensorESM_SM_EERKSM_lbbbEUlllE0_EEPmJS6_EEE10hipError_tPvRmT3_T4_T5_T6_T7_T9_mT8_P12ihipStream_tbDpT10_ENKUlT_T0_E_clISt17integral_constantIbLb0EES1B_IbLb1EEEEDaS17_S18_EUlS17_E_NS1_11comp_targetILNS1_3genE8ELNS1_11target_archE1030ELNS1_3gpuE2ELNS1_3repE0EEENS1_30default_config_static_selectorELNS0_4arch9wavefront6targetE1EEEvT1_,comdat
.Lfunc_end1450:
	.size	_ZN7rocprim17ROCPRIM_400000_NS6detail17trampoline_kernelINS0_14default_configENS1_25partition_config_selectorILNS1_17partition_subalgoE8ElNS0_10empty_typeEbEEZZNS1_14partition_implILS5_8ELb0ES3_jPlPS6_PKS6_NS0_5tupleIJS9_S6_EEENSD_IJSA_SA_EEENS0_18inequality_wrapperIZN2at6native12_GLOBAL__N_124unique_dim_cuda_templateItEESt5tupleIJNSH_6TensorESM_SM_EERKSM_lbbbEUlllE0_EEPmJS6_EEE10hipError_tPvRmT3_T4_T5_T6_T7_T9_mT8_P12ihipStream_tbDpT10_ENKUlT_T0_E_clISt17integral_constantIbLb0EES1B_IbLb1EEEEDaS17_S18_EUlS17_E_NS1_11comp_targetILNS1_3genE8ELNS1_11target_archE1030ELNS1_3gpuE2ELNS1_3repE0EEENS1_30default_config_static_selectorELNS0_4arch9wavefront6targetE1EEEvT1_, .Lfunc_end1450-_ZN7rocprim17ROCPRIM_400000_NS6detail17trampoline_kernelINS0_14default_configENS1_25partition_config_selectorILNS1_17partition_subalgoE8ElNS0_10empty_typeEbEEZZNS1_14partition_implILS5_8ELb0ES3_jPlPS6_PKS6_NS0_5tupleIJS9_S6_EEENSD_IJSA_SA_EEENS0_18inequality_wrapperIZN2at6native12_GLOBAL__N_124unique_dim_cuda_templateItEESt5tupleIJNSH_6TensorESM_SM_EERKSM_lbbbEUlllE0_EEPmJS6_EEE10hipError_tPvRmT3_T4_T5_T6_T7_T9_mT8_P12ihipStream_tbDpT10_ENKUlT_T0_E_clISt17integral_constantIbLb0EES1B_IbLb1EEEEDaS17_S18_EUlS17_E_NS1_11comp_targetILNS1_3genE8ELNS1_11target_archE1030ELNS1_3gpuE2ELNS1_3repE0EEENS1_30default_config_static_selectorELNS0_4arch9wavefront6targetE1EEEvT1_
                                        ; -- End function
	.set _ZN7rocprim17ROCPRIM_400000_NS6detail17trampoline_kernelINS0_14default_configENS1_25partition_config_selectorILNS1_17partition_subalgoE8ElNS0_10empty_typeEbEEZZNS1_14partition_implILS5_8ELb0ES3_jPlPS6_PKS6_NS0_5tupleIJS9_S6_EEENSD_IJSA_SA_EEENS0_18inequality_wrapperIZN2at6native12_GLOBAL__N_124unique_dim_cuda_templateItEESt5tupleIJNSH_6TensorESM_SM_EERKSM_lbbbEUlllE0_EEPmJS6_EEE10hipError_tPvRmT3_T4_T5_T6_T7_T9_mT8_P12ihipStream_tbDpT10_ENKUlT_T0_E_clISt17integral_constantIbLb0EES1B_IbLb1EEEEDaS17_S18_EUlS17_E_NS1_11comp_targetILNS1_3genE8ELNS1_11target_archE1030ELNS1_3gpuE2ELNS1_3repE0EEENS1_30default_config_static_selectorELNS0_4arch9wavefront6targetE1EEEvT1_.num_vgpr, 0
	.set _ZN7rocprim17ROCPRIM_400000_NS6detail17trampoline_kernelINS0_14default_configENS1_25partition_config_selectorILNS1_17partition_subalgoE8ElNS0_10empty_typeEbEEZZNS1_14partition_implILS5_8ELb0ES3_jPlPS6_PKS6_NS0_5tupleIJS9_S6_EEENSD_IJSA_SA_EEENS0_18inequality_wrapperIZN2at6native12_GLOBAL__N_124unique_dim_cuda_templateItEESt5tupleIJNSH_6TensorESM_SM_EERKSM_lbbbEUlllE0_EEPmJS6_EEE10hipError_tPvRmT3_T4_T5_T6_T7_T9_mT8_P12ihipStream_tbDpT10_ENKUlT_T0_E_clISt17integral_constantIbLb0EES1B_IbLb1EEEEDaS17_S18_EUlS17_E_NS1_11comp_targetILNS1_3genE8ELNS1_11target_archE1030ELNS1_3gpuE2ELNS1_3repE0EEENS1_30default_config_static_selectorELNS0_4arch9wavefront6targetE1EEEvT1_.num_agpr, 0
	.set _ZN7rocprim17ROCPRIM_400000_NS6detail17trampoline_kernelINS0_14default_configENS1_25partition_config_selectorILNS1_17partition_subalgoE8ElNS0_10empty_typeEbEEZZNS1_14partition_implILS5_8ELb0ES3_jPlPS6_PKS6_NS0_5tupleIJS9_S6_EEENSD_IJSA_SA_EEENS0_18inequality_wrapperIZN2at6native12_GLOBAL__N_124unique_dim_cuda_templateItEESt5tupleIJNSH_6TensorESM_SM_EERKSM_lbbbEUlllE0_EEPmJS6_EEE10hipError_tPvRmT3_T4_T5_T6_T7_T9_mT8_P12ihipStream_tbDpT10_ENKUlT_T0_E_clISt17integral_constantIbLb0EES1B_IbLb1EEEEDaS17_S18_EUlS17_E_NS1_11comp_targetILNS1_3genE8ELNS1_11target_archE1030ELNS1_3gpuE2ELNS1_3repE0EEENS1_30default_config_static_selectorELNS0_4arch9wavefront6targetE1EEEvT1_.numbered_sgpr, 0
	.set _ZN7rocprim17ROCPRIM_400000_NS6detail17trampoline_kernelINS0_14default_configENS1_25partition_config_selectorILNS1_17partition_subalgoE8ElNS0_10empty_typeEbEEZZNS1_14partition_implILS5_8ELb0ES3_jPlPS6_PKS6_NS0_5tupleIJS9_S6_EEENSD_IJSA_SA_EEENS0_18inequality_wrapperIZN2at6native12_GLOBAL__N_124unique_dim_cuda_templateItEESt5tupleIJNSH_6TensorESM_SM_EERKSM_lbbbEUlllE0_EEPmJS6_EEE10hipError_tPvRmT3_T4_T5_T6_T7_T9_mT8_P12ihipStream_tbDpT10_ENKUlT_T0_E_clISt17integral_constantIbLb0EES1B_IbLb1EEEEDaS17_S18_EUlS17_E_NS1_11comp_targetILNS1_3genE8ELNS1_11target_archE1030ELNS1_3gpuE2ELNS1_3repE0EEENS1_30default_config_static_selectorELNS0_4arch9wavefront6targetE1EEEvT1_.num_named_barrier, 0
	.set _ZN7rocprim17ROCPRIM_400000_NS6detail17trampoline_kernelINS0_14default_configENS1_25partition_config_selectorILNS1_17partition_subalgoE8ElNS0_10empty_typeEbEEZZNS1_14partition_implILS5_8ELb0ES3_jPlPS6_PKS6_NS0_5tupleIJS9_S6_EEENSD_IJSA_SA_EEENS0_18inequality_wrapperIZN2at6native12_GLOBAL__N_124unique_dim_cuda_templateItEESt5tupleIJNSH_6TensorESM_SM_EERKSM_lbbbEUlllE0_EEPmJS6_EEE10hipError_tPvRmT3_T4_T5_T6_T7_T9_mT8_P12ihipStream_tbDpT10_ENKUlT_T0_E_clISt17integral_constantIbLb0EES1B_IbLb1EEEEDaS17_S18_EUlS17_E_NS1_11comp_targetILNS1_3genE8ELNS1_11target_archE1030ELNS1_3gpuE2ELNS1_3repE0EEENS1_30default_config_static_selectorELNS0_4arch9wavefront6targetE1EEEvT1_.private_seg_size, 0
	.set _ZN7rocprim17ROCPRIM_400000_NS6detail17trampoline_kernelINS0_14default_configENS1_25partition_config_selectorILNS1_17partition_subalgoE8ElNS0_10empty_typeEbEEZZNS1_14partition_implILS5_8ELb0ES3_jPlPS6_PKS6_NS0_5tupleIJS9_S6_EEENSD_IJSA_SA_EEENS0_18inequality_wrapperIZN2at6native12_GLOBAL__N_124unique_dim_cuda_templateItEESt5tupleIJNSH_6TensorESM_SM_EERKSM_lbbbEUlllE0_EEPmJS6_EEE10hipError_tPvRmT3_T4_T5_T6_T7_T9_mT8_P12ihipStream_tbDpT10_ENKUlT_T0_E_clISt17integral_constantIbLb0EES1B_IbLb1EEEEDaS17_S18_EUlS17_E_NS1_11comp_targetILNS1_3genE8ELNS1_11target_archE1030ELNS1_3gpuE2ELNS1_3repE0EEENS1_30default_config_static_selectorELNS0_4arch9wavefront6targetE1EEEvT1_.uses_vcc, 0
	.set _ZN7rocprim17ROCPRIM_400000_NS6detail17trampoline_kernelINS0_14default_configENS1_25partition_config_selectorILNS1_17partition_subalgoE8ElNS0_10empty_typeEbEEZZNS1_14partition_implILS5_8ELb0ES3_jPlPS6_PKS6_NS0_5tupleIJS9_S6_EEENSD_IJSA_SA_EEENS0_18inequality_wrapperIZN2at6native12_GLOBAL__N_124unique_dim_cuda_templateItEESt5tupleIJNSH_6TensorESM_SM_EERKSM_lbbbEUlllE0_EEPmJS6_EEE10hipError_tPvRmT3_T4_T5_T6_T7_T9_mT8_P12ihipStream_tbDpT10_ENKUlT_T0_E_clISt17integral_constantIbLb0EES1B_IbLb1EEEEDaS17_S18_EUlS17_E_NS1_11comp_targetILNS1_3genE8ELNS1_11target_archE1030ELNS1_3gpuE2ELNS1_3repE0EEENS1_30default_config_static_selectorELNS0_4arch9wavefront6targetE1EEEvT1_.uses_flat_scratch, 0
	.set _ZN7rocprim17ROCPRIM_400000_NS6detail17trampoline_kernelINS0_14default_configENS1_25partition_config_selectorILNS1_17partition_subalgoE8ElNS0_10empty_typeEbEEZZNS1_14partition_implILS5_8ELb0ES3_jPlPS6_PKS6_NS0_5tupleIJS9_S6_EEENSD_IJSA_SA_EEENS0_18inequality_wrapperIZN2at6native12_GLOBAL__N_124unique_dim_cuda_templateItEESt5tupleIJNSH_6TensorESM_SM_EERKSM_lbbbEUlllE0_EEPmJS6_EEE10hipError_tPvRmT3_T4_T5_T6_T7_T9_mT8_P12ihipStream_tbDpT10_ENKUlT_T0_E_clISt17integral_constantIbLb0EES1B_IbLb1EEEEDaS17_S18_EUlS17_E_NS1_11comp_targetILNS1_3genE8ELNS1_11target_archE1030ELNS1_3gpuE2ELNS1_3repE0EEENS1_30default_config_static_selectorELNS0_4arch9wavefront6targetE1EEEvT1_.has_dyn_sized_stack, 0
	.set _ZN7rocprim17ROCPRIM_400000_NS6detail17trampoline_kernelINS0_14default_configENS1_25partition_config_selectorILNS1_17partition_subalgoE8ElNS0_10empty_typeEbEEZZNS1_14partition_implILS5_8ELb0ES3_jPlPS6_PKS6_NS0_5tupleIJS9_S6_EEENSD_IJSA_SA_EEENS0_18inequality_wrapperIZN2at6native12_GLOBAL__N_124unique_dim_cuda_templateItEESt5tupleIJNSH_6TensorESM_SM_EERKSM_lbbbEUlllE0_EEPmJS6_EEE10hipError_tPvRmT3_T4_T5_T6_T7_T9_mT8_P12ihipStream_tbDpT10_ENKUlT_T0_E_clISt17integral_constantIbLb0EES1B_IbLb1EEEEDaS17_S18_EUlS17_E_NS1_11comp_targetILNS1_3genE8ELNS1_11target_archE1030ELNS1_3gpuE2ELNS1_3repE0EEENS1_30default_config_static_selectorELNS0_4arch9wavefront6targetE1EEEvT1_.has_recursion, 0
	.set _ZN7rocprim17ROCPRIM_400000_NS6detail17trampoline_kernelINS0_14default_configENS1_25partition_config_selectorILNS1_17partition_subalgoE8ElNS0_10empty_typeEbEEZZNS1_14partition_implILS5_8ELb0ES3_jPlPS6_PKS6_NS0_5tupleIJS9_S6_EEENSD_IJSA_SA_EEENS0_18inequality_wrapperIZN2at6native12_GLOBAL__N_124unique_dim_cuda_templateItEESt5tupleIJNSH_6TensorESM_SM_EERKSM_lbbbEUlllE0_EEPmJS6_EEE10hipError_tPvRmT3_T4_T5_T6_T7_T9_mT8_P12ihipStream_tbDpT10_ENKUlT_T0_E_clISt17integral_constantIbLb0EES1B_IbLb1EEEEDaS17_S18_EUlS17_E_NS1_11comp_targetILNS1_3genE8ELNS1_11target_archE1030ELNS1_3gpuE2ELNS1_3repE0EEENS1_30default_config_static_selectorELNS0_4arch9wavefront6targetE1EEEvT1_.has_indirect_call, 0
	.section	.AMDGPU.csdata,"",@progbits
; Kernel info:
; codeLenInByte = 0
; TotalNumSgprs: 6
; NumVgprs: 0
; NumAgprs: 0
; TotalNumVgprs: 0
; ScratchSize: 0
; MemoryBound: 0
; FloatMode: 240
; IeeeMode: 1
; LDSByteSize: 0 bytes/workgroup (compile time only)
; SGPRBlocks: 0
; VGPRBlocks: 0
; NumSGPRsForWavesPerEU: 6
; NumVGPRsForWavesPerEU: 1
; AccumOffset: 4
; Occupancy: 8
; WaveLimiterHint : 0
; COMPUTE_PGM_RSRC2:SCRATCH_EN: 0
; COMPUTE_PGM_RSRC2:USER_SGPR: 2
; COMPUTE_PGM_RSRC2:TRAP_HANDLER: 0
; COMPUTE_PGM_RSRC2:TGID_X_EN: 1
; COMPUTE_PGM_RSRC2:TGID_Y_EN: 0
; COMPUTE_PGM_RSRC2:TGID_Z_EN: 0
; COMPUTE_PGM_RSRC2:TIDIG_COMP_CNT: 0
; COMPUTE_PGM_RSRC3_GFX90A:ACCUM_OFFSET: 0
; COMPUTE_PGM_RSRC3_GFX90A:TG_SPLIT: 0
	.section	.text._ZN7rocprim17ROCPRIM_400000_NS6detail17trampoline_kernelINS0_14default_configENS1_25partition_config_selectorILNS1_17partition_subalgoE9EllbEEZZNS1_14partition_implILS5_9ELb0ES3_jPlS8_PNS0_10empty_typeENS0_5tupleIJS8_S9_EEENSB_IJS8_SA_EEENS0_18inequality_wrapperIZN2at6native12_GLOBAL__N_124unique_dim_cuda_templateItEESt5tupleIJNSF_6TensorESK_SK_EERKSK_lbbbEUlllE0_EEPmJS9_EEE10hipError_tPvRmT3_T4_T5_T6_T7_T9_mT8_P12ihipStream_tbDpT10_ENKUlT_T0_E_clISt17integral_constantIbLb0EES1A_EEDaS15_S16_EUlS15_E_NS1_11comp_targetILNS1_3genE0ELNS1_11target_archE4294967295ELNS1_3gpuE0ELNS1_3repE0EEENS1_30default_config_static_selectorELNS0_4arch9wavefront6targetE1EEEvT1_,"axG",@progbits,_ZN7rocprim17ROCPRIM_400000_NS6detail17trampoline_kernelINS0_14default_configENS1_25partition_config_selectorILNS1_17partition_subalgoE9EllbEEZZNS1_14partition_implILS5_9ELb0ES3_jPlS8_PNS0_10empty_typeENS0_5tupleIJS8_S9_EEENSB_IJS8_SA_EEENS0_18inequality_wrapperIZN2at6native12_GLOBAL__N_124unique_dim_cuda_templateItEESt5tupleIJNSF_6TensorESK_SK_EERKSK_lbbbEUlllE0_EEPmJS9_EEE10hipError_tPvRmT3_T4_T5_T6_T7_T9_mT8_P12ihipStream_tbDpT10_ENKUlT_T0_E_clISt17integral_constantIbLb0EES1A_EEDaS15_S16_EUlS15_E_NS1_11comp_targetILNS1_3genE0ELNS1_11target_archE4294967295ELNS1_3gpuE0ELNS1_3repE0EEENS1_30default_config_static_selectorELNS0_4arch9wavefront6targetE1EEEvT1_,comdat
	.globl	_ZN7rocprim17ROCPRIM_400000_NS6detail17trampoline_kernelINS0_14default_configENS1_25partition_config_selectorILNS1_17partition_subalgoE9EllbEEZZNS1_14partition_implILS5_9ELb0ES3_jPlS8_PNS0_10empty_typeENS0_5tupleIJS8_S9_EEENSB_IJS8_SA_EEENS0_18inequality_wrapperIZN2at6native12_GLOBAL__N_124unique_dim_cuda_templateItEESt5tupleIJNSF_6TensorESK_SK_EERKSK_lbbbEUlllE0_EEPmJS9_EEE10hipError_tPvRmT3_T4_T5_T6_T7_T9_mT8_P12ihipStream_tbDpT10_ENKUlT_T0_E_clISt17integral_constantIbLb0EES1A_EEDaS15_S16_EUlS15_E_NS1_11comp_targetILNS1_3genE0ELNS1_11target_archE4294967295ELNS1_3gpuE0ELNS1_3repE0EEENS1_30default_config_static_selectorELNS0_4arch9wavefront6targetE1EEEvT1_ ; -- Begin function _ZN7rocprim17ROCPRIM_400000_NS6detail17trampoline_kernelINS0_14default_configENS1_25partition_config_selectorILNS1_17partition_subalgoE9EllbEEZZNS1_14partition_implILS5_9ELb0ES3_jPlS8_PNS0_10empty_typeENS0_5tupleIJS8_S9_EEENSB_IJS8_SA_EEENS0_18inequality_wrapperIZN2at6native12_GLOBAL__N_124unique_dim_cuda_templateItEESt5tupleIJNSF_6TensorESK_SK_EERKSK_lbbbEUlllE0_EEPmJS9_EEE10hipError_tPvRmT3_T4_T5_T6_T7_T9_mT8_P12ihipStream_tbDpT10_ENKUlT_T0_E_clISt17integral_constantIbLb0EES1A_EEDaS15_S16_EUlS15_E_NS1_11comp_targetILNS1_3genE0ELNS1_11target_archE4294967295ELNS1_3gpuE0ELNS1_3repE0EEENS1_30default_config_static_selectorELNS0_4arch9wavefront6targetE1EEEvT1_
	.p2align	8
	.type	_ZN7rocprim17ROCPRIM_400000_NS6detail17trampoline_kernelINS0_14default_configENS1_25partition_config_selectorILNS1_17partition_subalgoE9EllbEEZZNS1_14partition_implILS5_9ELb0ES3_jPlS8_PNS0_10empty_typeENS0_5tupleIJS8_S9_EEENSB_IJS8_SA_EEENS0_18inequality_wrapperIZN2at6native12_GLOBAL__N_124unique_dim_cuda_templateItEESt5tupleIJNSF_6TensorESK_SK_EERKSK_lbbbEUlllE0_EEPmJS9_EEE10hipError_tPvRmT3_T4_T5_T6_T7_T9_mT8_P12ihipStream_tbDpT10_ENKUlT_T0_E_clISt17integral_constantIbLb0EES1A_EEDaS15_S16_EUlS15_E_NS1_11comp_targetILNS1_3genE0ELNS1_11target_archE4294967295ELNS1_3gpuE0ELNS1_3repE0EEENS1_30default_config_static_selectorELNS0_4arch9wavefront6targetE1EEEvT1_,@function
_ZN7rocprim17ROCPRIM_400000_NS6detail17trampoline_kernelINS0_14default_configENS1_25partition_config_selectorILNS1_17partition_subalgoE9EllbEEZZNS1_14partition_implILS5_9ELb0ES3_jPlS8_PNS0_10empty_typeENS0_5tupleIJS8_S9_EEENSB_IJS8_SA_EEENS0_18inequality_wrapperIZN2at6native12_GLOBAL__N_124unique_dim_cuda_templateItEESt5tupleIJNSF_6TensorESK_SK_EERKSK_lbbbEUlllE0_EEPmJS9_EEE10hipError_tPvRmT3_T4_T5_T6_T7_T9_mT8_P12ihipStream_tbDpT10_ENKUlT_T0_E_clISt17integral_constantIbLb0EES1A_EEDaS15_S16_EUlS15_E_NS1_11comp_targetILNS1_3genE0ELNS1_11target_archE4294967295ELNS1_3gpuE0ELNS1_3repE0EEENS1_30default_config_static_selectorELNS0_4arch9wavefront6targetE1EEEvT1_: ; @_ZN7rocprim17ROCPRIM_400000_NS6detail17trampoline_kernelINS0_14default_configENS1_25partition_config_selectorILNS1_17partition_subalgoE9EllbEEZZNS1_14partition_implILS5_9ELb0ES3_jPlS8_PNS0_10empty_typeENS0_5tupleIJS8_S9_EEENSB_IJS8_SA_EEENS0_18inequality_wrapperIZN2at6native12_GLOBAL__N_124unique_dim_cuda_templateItEESt5tupleIJNSF_6TensorESK_SK_EERKSK_lbbbEUlllE0_EEPmJS9_EEE10hipError_tPvRmT3_T4_T5_T6_T7_T9_mT8_P12ihipStream_tbDpT10_ENKUlT_T0_E_clISt17integral_constantIbLb0EES1A_EEDaS15_S16_EUlS15_E_NS1_11comp_targetILNS1_3genE0ELNS1_11target_archE4294967295ELNS1_3gpuE0ELNS1_3repE0EEENS1_30default_config_static_selectorELNS0_4arch9wavefront6targetE1EEEvT1_
; %bb.0:
	s_load_dwordx4 s[4:7], s[0:1], 0x8
	s_load_dwordx2 s[10:11], s[0:1], 0x18
	s_load_dwordx8 s[24:31], s[0:1], 0x40
	s_load_dword s3, s[0:1], 0x70
	s_mul_i32 s12, s2, 0x280
	s_waitcnt lgkmcnt(0)
	s_lshl_b64 s[14:15], s[6:7], 3
	s_add_u32 s18, s4, s14
	s_addc_u32 s19, s5, s15
	s_mul_i32 s4, s3, 0x280
	s_add_i32 s8, s3, -1
	s_add_i32 s3, s4, s6
	s_sub_i32 s3, s28, s3
	s_addk_i32 s3, 0x280
	s_add_u32 s4, s6, s4
	s_addc_u32 s5, s7, 0
	v_mov_b64_e32 v[2:3], s[4:5]
	s_cmp_eq_u32 s2, s8
	s_load_dwordx2 s[26:27], s[26:27], 0x0
	v_cmp_le_u64_e32 vcc, s[28:29], v[2:3]
	s_cselect_b64 s[28:29], -1, 0
	s_mov_b32 s13, 0
	s_and_b64 s[8:9], s[28:29], vcc
	s_xor_b64 s[34:35], s[8:9], -1
	s_lshl_b64 s[16:17], s[12:13], 3
	s_add_u32 s12, s18, s16
	s_mov_b64 s[4:5], -1
	s_addc_u32 s13, s19, s17
	s_and_b64 vcc, exec, s[34:35]
	v_lshlrev_b32_e32 v1, 3, v0
	s_cbranch_vccz .LBB1451_2
; %bb.1:
	v_lshlrev_b32_e32 v2, 3, v0
	v_mov_b32_e32 v3, 0
	v_lshl_add_u64 v[4:5], s[12:13], 0, v[2:3]
	v_add_co_u32_e32 v4, vcc, 0x1000, v4
	global_load_dwordx2 v[6:7], v2, s[12:13] offset:3072
	s_nop 0
	v_addc_co_u32_e32 v5, vcc, 0, v5, vcc
	global_load_dwordx2 v[8:9], v2, s[12:13]
	global_load_dwordx2 v[10:11], v2, s[12:13] offset:1024
	global_load_dwordx2 v[12:13], v2, s[12:13] offset:2048
	global_load_dwordx2 v[14:15], v[4:5], off
	s_mov_b64 s[4:5], 0
	s_waitcnt vmcnt(2)
	ds_write2st64_b64 v2, v[8:9], v[10:11] offset1:2
	s_waitcnt vmcnt(1)
	ds_write2st64_b64 v2, v[12:13], v[6:7] offset0:4 offset1:6
	s_waitcnt vmcnt(0)
	ds_write_b64 v2, v[14:15] offset:4096
	s_waitcnt lgkmcnt(0)
	s_barrier
.LBB1451_2:
	s_load_dwordx4 s[20:23], s[0:1], 0x60
	s_andn2_b64 vcc, exec, s[4:5]
	v_cmp_gt_u32_e64 s[4:5], s3, v0
	s_cbranch_vccnz .LBB1451_14
; %bb.3:
	v_mov_b32_e32 v2, 0
	v_mov_b32_e32 v3, v2
	;; [unrolled: 1-line block ×10, first 2 shown]
	s_and_saveexec_b64 s[18:19], s[4:5]
	s_cbranch_execz .LBB1451_5
; %bb.4:
	v_lshlrev_b32_e32 v3, 3, v0
	global_load_dwordx2 v[4:5], v3, s[12:13]
	v_mov_b32_e32 v6, v2
	v_mov_b32_e32 v7, v2
	;; [unrolled: 1-line block ×8, first 2 shown]
	s_waitcnt vmcnt(0)
	v_mov_b64_e32 v[2:3], v[4:5]
	v_mov_b64_e32 v[4:5], v[6:7]
	;; [unrolled: 1-line block ×8, first 2 shown]
.LBB1451_5:
	s_or_b64 exec, exec, s[18:19]
	v_or_b32_e32 v12, 0x80, v0
	v_cmp_gt_u32_e32 vcc, s3, v12
	s_and_saveexec_b64 s[4:5], vcc
	s_cbranch_execz .LBB1451_7
; %bb.6:
	v_lshlrev_b32_e32 v4, 3, v0
	global_load_dwordx2 v[4:5], v4, s[12:13] offset:1024
.LBB1451_7:
	s_or_b64 exec, exec, s[4:5]
	v_or_b32_e32 v12, 0x100, v0
	v_cmp_gt_u32_e32 vcc, s3, v12
	s_and_saveexec_b64 s[4:5], vcc
	s_cbranch_execz .LBB1451_9
; %bb.8:
	v_lshlrev_b32_e32 v6, 3, v0
	global_load_dwordx2 v[6:7], v6, s[12:13] offset:2048
.LBB1451_9:
	;; [unrolled: 9-line block ×3, first 2 shown]
	s_or_b64 exec, exec, s[4:5]
	v_or_b32_e32 v12, 0x200, v0
	v_cmp_gt_u32_e32 vcc, s3, v12
	s_and_saveexec_b64 s[4:5], vcc
	s_cbranch_execz .LBB1451_13
; %bb.12:
	v_lshlrev_b32_e32 v10, 3, v12
	global_load_dwordx2 v[10:11], v10, s[12:13]
.LBB1451_13:
	s_or_b64 exec, exec, s[4:5]
	v_lshlrev_b32_e32 v12, 3, v0
	s_waitcnt vmcnt(0)
	ds_write2st64_b64 v12, v[2:3], v[4:5] offset1:2
	ds_write2st64_b64 v12, v[6:7], v[8:9] offset0:4 offset1:6
	ds_write_b64 v12, v[10:11] offset:4096
	s_waitcnt lgkmcnt(0)
	s_barrier
.LBB1451_14:
	v_mul_u32_u24_e32 v22, 5, v0
	v_lshlrev_b32_e32 v20, 3, v22
	s_waitcnt lgkmcnt(0)
	ds_read2_b64 v[6:9], v20 offset1:1
	ds_read2_b64 v[2:5], v20 offset0:2 offset1:3
	ds_read_b64 v[12:13], v20 offset:32
	s_add_u32 s4, s10, s14
	s_addc_u32 s5, s11, s15
	s_add_u32 s4, s4, s16
	s_addc_u32 s5, s5, s17
	s_mov_b64 s[10:11], -1
	s_and_b64 vcc, exec, s[34:35]
	s_waitcnt lgkmcnt(0)
	s_barrier
	s_cbranch_vccz .LBB1451_16
; %bb.15:
	v_lshlrev_b32_e32 v10, 3, v0
	v_mov_b32_e32 v11, 0
	v_lshl_add_u64 v[14:15], s[4:5], 0, v[10:11]
	v_add_co_u32_e32 v14, vcc, 0x1000, v14
	global_load_dwordx2 v[16:17], v10, s[4:5] offset:3072
	s_nop 0
	v_addc_co_u32_e32 v15, vcc, 0, v15, vcc
	global_load_dwordx2 v[18:19], v10, s[4:5]
	global_load_dwordx2 v[24:25], v10, s[4:5] offset:1024
	global_load_dwordx2 v[26:27], v10, s[4:5] offset:2048
	global_load_dwordx2 v[28:29], v[14:15], off
	s_mov_b64 s[10:11], 0
	s_waitcnt vmcnt(2)
	ds_write2st64_b64 v10, v[18:19], v[24:25] offset1:2
	s_waitcnt vmcnt(1)
	ds_write2st64_b64 v10, v[26:27], v[16:17] offset0:4 offset1:6
	s_waitcnt vmcnt(0)
	ds_write_b64 v10, v[28:29] offset:4096
	s_waitcnt lgkmcnt(0)
	s_barrier
.LBB1451_16:
	s_andn2_b64 vcc, exec, s[10:11]
	s_cbranch_vccnz .LBB1451_28
; %bb.17:
	v_cmp_gt_u32_e32 vcc, s3, v0
                                        ; implicit-def: $vgpr10_vgpr11
	s_and_saveexec_b64 s[10:11], vcc
	s_cbranch_execz .LBB1451_19
; %bb.18:
	v_lshlrev_b32_e32 v10, 3, v0
	global_load_dwordx2 v[10:11], v10, s[4:5]
.LBB1451_19:
	s_or_b64 exec, exec, s[10:11]
	v_or_b32_e32 v14, 0x80, v0
	v_cmp_gt_u32_e32 vcc, s3, v14
                                        ; implicit-def: $vgpr14_vgpr15
	s_and_saveexec_b64 s[10:11], vcc
	s_cbranch_execz .LBB1451_21
; %bb.20:
	v_lshlrev_b32_e32 v14, 3, v0
	global_load_dwordx2 v[14:15], v14, s[4:5] offset:1024
.LBB1451_21:
	s_or_b64 exec, exec, s[10:11]
	v_or_b32_e32 v16, 0x100, v0
	v_cmp_gt_u32_e32 vcc, s3, v16
                                        ; implicit-def: $vgpr16_vgpr17
	s_and_saveexec_b64 s[10:11], vcc
	s_cbranch_execz .LBB1451_23
; %bb.22:
	v_lshlrev_b32_e32 v16, 3, v0
	global_load_dwordx2 v[16:17], v16, s[4:5] offset:2048
.LBB1451_23:
	s_or_b64 exec, exec, s[10:11]
	v_or_b32_e32 v18, 0x180, v0
	v_cmp_gt_u32_e32 vcc, s3, v18
                                        ; implicit-def: $vgpr18_vgpr19
	s_and_saveexec_b64 s[10:11], vcc
	s_cbranch_execz .LBB1451_25
; %bb.24:
	v_lshlrev_b32_e32 v18, 3, v0
	global_load_dwordx2 v[18:19], v18, s[4:5] offset:3072
.LBB1451_25:
	s_or_b64 exec, exec, s[10:11]
	v_or_b32_e32 v21, 0x200, v0
	v_cmp_gt_u32_e32 vcc, s3, v21
                                        ; implicit-def: $vgpr24_vgpr25
	s_and_saveexec_b64 s[10:11], vcc
	s_cbranch_execz .LBB1451_27
; %bb.26:
	v_lshlrev_b32_e32 v21, 3, v21
	global_load_dwordx2 v[24:25], v21, s[4:5]
.LBB1451_27:
	s_or_b64 exec, exec, s[10:11]
	v_lshlrev_b32_e32 v21, 5, v0
	v_sub_u32_e32 v21, v20, v21
	s_waitcnt vmcnt(0)
	ds_write2st64_b64 v21, v[10:11], v[14:15] offset1:2
	ds_write2st64_b64 v21, v[16:17], v[18:19] offset0:4 offset1:6
	ds_write_b64 v21, v[24:25] offset:4096
	s_waitcnt lgkmcnt(0)
	s_barrier
.LBB1451_28:
	ds_read_b64 v[10:11], v20 offset:32
	ds_read2_b64 v[52:55], v20 offset0:2 offset1:3
	ds_read2_b64 v[56:59], v20 offset1:1
	s_cmp_lg_u32 s2, 0
	s_cselect_b64 s[16:17], -1, 0
	s_cmp_lg_u64 s[6:7], 0
	s_cselect_b64 s[4:5], -1, 0
	s_or_b64 s[4:5], s[16:17], s[4:5]
	s_mov_b64 s[10:11], 0
	s_and_b64 vcc, exec, s[4:5]
	v_cmp_gt_i64_e64 s[4:5], s[30:31], 0
	s_waitcnt lgkmcnt(0)
	s_barrier
	s_cbranch_vccz .LBB1451_40
; %bb.29:
	s_add_u32 s6, s12, -8
	s_addc_u32 s7, s13, -1
	s_load_dwordx2 s[10:11], s[6:7], 0x0
	v_cndmask_b32_e64 v14, 0, 1, s[4:5]
	v_lshlrev_b32_e32 v21, 3, v0
	s_mov_b64 s[6:7], 0
	s_and_b64 vcc, exec, s[34:35]
	v_cmp_ne_u32_e64 s[4:5], 1, v14
	ds_write_b64 v21, v[12:13]
	s_cbranch_vccz .LBB1451_42
; %bb.30:
	s_and_b64 vcc, exec, s[4:5]
	s_cbranch_vccnz .LBB1451_43
; %bb.31:
	v_mul_lo_u32 v16, v5, s30
	v_mul_lo_u32 v17, v4, s31
	v_mad_u64_u32 v[14:15], s[6:7], v4, s30, 0
	v_add3_u32 v15, v15, v17, v16
	v_mul_lo_u32 v18, v13, s30
	v_mul_lo_u32 v19, v12, s31
	v_mad_u64_u32 v[16:17], s[6:7], v12, s30, 0
	s_add_u32 s14, s30, -1
	v_lshl_add_u64 v[14:15], v[14:15], 1, s[20:21]
	v_add3_u32 v17, v17, v19, v18
	s_addc_u32 s15, s31, -1
	v_lshl_add_u64 v[16:17], v[16:17], 1, s[20:21]
	s_mov_b64 s[18:19], 0
	s_mov_b64 s[36:37], s[14:15]
	v_mov_b64_e32 v[18:19], v[14:15]
                                        ; implicit-def: $sgpr12_sgpr13
.LBB1451_32:                            ; =>This Inner Loop Header: Depth=1
	global_load_ushort v23, v[18:19], off
	global_load_ushort v24, v[16:17], off
	s_add_u32 s6, s36, -1
	s_addc_u32 s7, s37, -1
	s_cmp_eq_u64 s[36:37], 0
	s_mov_b64 s[36:37], s[6:7]
	s_cselect_b64 s[38:39], -1, 0
	v_lshl_add_u64 v[18:19], v[18:19], 0, 2
	v_lshl_add_u64 v[16:17], v[16:17], 0, 2
	s_waitcnt vmcnt(0)
	v_cmp_ne_u16_e64 s[6:7], v23, v24
	s_or_b64 s[6:7], s[6:7], s[38:39]
	s_and_b64 s[6:7], exec, s[6:7]
	v_cmp_eq_u16_e32 vcc, v23, v24
	s_or_b64 s[18:19], s[6:7], s[18:19]
	s_andn2_b64 s[6:7], s[12:13], exec
	s_and_b64 s[12:13], vcc, exec
	s_or_b64 s[12:13], s[6:7], s[12:13]
	s_andn2_b64 exec, exec, s[18:19]
	s_cbranch_execnz .LBB1451_32
; %bb.33:
	s_or_b64 exec, exec, s[18:19]
	v_mul_lo_u32 v18, v3, s30
	v_mul_lo_u32 v19, v2, s31
	v_mad_u64_u32 v[16:17], s[6:7], v2, s30, 0
	v_add3_u32 v17, v17, v19, v18
	v_lshl_add_u64 v[16:17], v[16:17], 1, s[20:21]
	s_mov_b64 s[36:37], 0
	s_mov_b64 s[38:39], s[14:15]
	v_mov_b64_e32 v[18:19], v[16:17]
                                        ; implicit-def: $sgpr18_sgpr19
.LBB1451_34:                            ; =>This Inner Loop Header: Depth=1
	global_load_ushort v23, v[18:19], off
	global_load_ushort v24, v[14:15], off
	s_add_u32 s6, s38, -1
	s_addc_u32 s7, s39, -1
	s_cmp_eq_u64 s[38:39], 0
	s_mov_b64 s[38:39], s[6:7]
	s_cselect_b64 s[40:41], -1, 0
	v_lshl_add_u64 v[18:19], v[18:19], 0, 2
	v_lshl_add_u64 v[14:15], v[14:15], 0, 2
	s_waitcnt vmcnt(0)
	v_cmp_ne_u16_e64 s[6:7], v23, v24
	s_or_b64 s[6:7], s[6:7], s[40:41]
	s_and_b64 s[6:7], exec, s[6:7]
	v_cmp_eq_u16_e32 vcc, v23, v24
	s_or_b64 s[36:37], s[6:7], s[36:37]
	s_andn2_b64 s[6:7], s[18:19], exec
	s_and_b64 s[18:19], vcc, exec
	s_or_b64 s[18:19], s[6:7], s[18:19]
	s_andn2_b64 exec, exec, s[36:37]
	s_cbranch_execnz .LBB1451_34
; %bb.35:
	s_or_b64 exec, exec, s[36:37]
	v_mul_lo_u32 v18, v9, s30
	v_mul_lo_u32 v19, v8, s31
	v_mad_u64_u32 v[14:15], s[6:7], v8, s30, 0
	v_add3_u32 v15, v15, v19, v18
	v_lshl_add_u64 v[14:15], v[14:15], 1, s[20:21]
	s_mov_b64 s[38:39], 0
	s_mov_b64 s[40:41], s[14:15]
	v_mov_b64_e32 v[18:19], v[14:15]
                                        ; implicit-def: $sgpr36_sgpr37
.LBB1451_36:                            ; =>This Inner Loop Header: Depth=1
	global_load_ushort v23, v[18:19], off
	global_load_ushort v24, v[16:17], off
	s_add_u32 s6, s40, -1
	s_addc_u32 s7, s41, -1
	s_cmp_eq_u64 s[40:41], 0
	s_mov_b64 s[40:41], s[6:7]
	s_cselect_b64 s[42:43], -1, 0
	v_lshl_add_u64 v[18:19], v[18:19], 0, 2
	v_lshl_add_u64 v[16:17], v[16:17], 0, 2
	s_waitcnt vmcnt(0)
	v_cmp_ne_u16_e64 s[6:7], v23, v24
	s_or_b64 s[6:7], s[6:7], s[42:43]
	s_and_b64 s[6:7], exec, s[6:7]
	v_cmp_eq_u16_e32 vcc, v23, v24
	s_or_b64 s[38:39], s[6:7], s[38:39]
	s_andn2_b64 s[6:7], s[36:37], exec
	s_and_b64 s[36:37], vcc, exec
	s_or_b64 s[36:37], s[6:7], s[36:37]
	s_andn2_b64 exec, exec, s[38:39]
	s_cbranch_execnz .LBB1451_36
; %bb.37:
	s_or_b64 exec, exec, s[38:39]
	v_mul_lo_u32 v18, v7, s30
	v_mul_lo_u32 v19, v6, s31
	v_mad_u64_u32 v[16:17], s[6:7], v6, s30, 0
	v_add3_u32 v17, v17, v19, v18
	v_lshl_add_u64 v[16:17], v[16:17], 1, s[20:21]
	s_mov_b64 s[40:41], 0
                                        ; implicit-def: $sgpr38_sgpr39
.LBB1451_38:                            ; =>This Inner Loop Header: Depth=1
	global_load_ushort v18, v[16:17], off
	global_load_ushort v19, v[14:15], off
	s_add_u32 s6, s14, -1
	s_addc_u32 s7, s15, -1
	s_cmp_eq_u64 s[14:15], 0
	s_mov_b64 s[14:15], s[6:7]
	s_cselect_b64 s[42:43], -1, 0
	v_lshl_add_u64 v[16:17], v[16:17], 0, 2
	v_lshl_add_u64 v[14:15], v[14:15], 0, 2
	s_waitcnt vmcnt(0)
	v_cmp_ne_u16_e64 s[6:7], v18, v19
	s_or_b64 s[6:7], s[6:7], s[42:43]
	s_and_b64 s[6:7], exec, s[6:7]
	v_cmp_eq_u16_e32 vcc, v18, v19
	s_or_b64 s[40:41], s[6:7], s[40:41]
	s_andn2_b64 s[6:7], s[38:39], exec
	s_and_b64 s[38:39], vcc, exec
	s_or_b64 s[38:39], s[6:7], s[38:39]
	s_andn2_b64 exec, exec, s[40:41]
	s_cbranch_execnz .LBB1451_38
; %bb.39:
	s_or_b64 exec, exec, s[40:41]
	s_xor_b64 s[6:7], s[12:13], -1
	v_cndmask_b32_e64 v32, 0, 1, s[6:7]
	s_xor_b64 s[6:7], s[18:19], -1
	v_cndmask_b32_e64 v14, 0, 1, s[6:7]
	v_lshlrev_b16_e32 v14, 8, v14
	v_mov_b32_e32 v15, 8
	s_xor_b64 s[12:13], s[36:37], -1
	v_lshrrev_b32_sdwa v14, v15, v14 dst_sel:BYTE_1 dst_unused:UNUSED_PAD src0_sel:DWORD src1_sel:DWORD
	v_cndmask_b32_e64 v15, 0, 1, s[12:13]
	s_xor_b64 s[6:7], s[38:39], -1
	v_or_b32_sdwa v16, v15, v14 dst_sel:WORD_1 dst_unused:UNUSED_PAD src0_sel:DWORD src1_sel:DWORD
	s_branch .LBB1451_44
.LBB1451_40:
                                        ; implicit-def: $sgpr6_sgpr7
                                        ; implicit-def: $vgpr32
                                        ; implicit-def: $vgpr15
	s_branch .LBB1451_85
.LBB1451_41:
                                        ; implicit-def: $vgpr16
                                        ; implicit-def: $vgpr34
                                        ; implicit-def: $vgpr33
                                        ; implicit-def: $vgpr14
	s_branch .LBB1451_138
.LBB1451_42:
                                        ; implicit-def: $sgpr6_sgpr7
                                        ; implicit-def: $vgpr32
                                        ; implicit-def: $vgpr15
	s_cbranch_execnz .LBB1451_51
	s_branch .LBB1451_84
.LBB1451_43:
	v_mov_b32_e32 v16, 0
	v_mov_b32_e32 v32, 0
.LBB1451_44:
	v_cmp_ne_u32_e32 vcc, 0, v0
	s_waitcnt lgkmcnt(0)
	v_mov_b64_e32 v[14:15], s[10:11]
	s_barrier
	s_and_saveexec_b64 s[12:13], vcc
; %bb.45:
	v_add_u32_e32 v14, -8, v21
	ds_read_b64 v[14:15], v14
; %bb.46:
	s_or_b64 exec, exec, s[12:13]
	v_cndmask_b32_e64 v17, 0, 1, s[6:7]
	v_lshrrev_b32_e32 v18, 16, v16
	s_mov_b32 s6, 0xc0c0304
	v_perm_b32 v18, v18, v16, s6
	v_lshlrev_b16_e32 v17, 8, v17
	s_movk_i32 s6, 0xff
	v_bitop3_b16 v16, v16, v17, s6 bitop3:0xec
	v_and_b32_e32 v19, 0xffff, v16
	s_mov_b64 s[12:13], 0
	s_and_b64 vcc, exec, s[4:5]
	s_mov_b64 s[6:7], 0
	s_cbranch_vccnz .LBB1451_50
; %bb.47:
	s_waitcnt lgkmcnt(0)
	v_mul_lo_u32 v16, v15, s30
	v_mul_lo_u32 v17, v14, s31
	v_mad_u64_u32 v[14:15], s[6:7], v14, s30, 0
	v_add3_u32 v15, v15, v17, v16
	v_mul_lo_u32 v23, v7, s30
	v_mul_lo_u32 v24, v6, s31
	v_mad_u64_u32 v[16:17], s[6:7], v6, s30, 0
	v_add3_u32 v17, v17, v24, v23
	s_add_u32 s36, s30, -1
	v_lshl_add_u64 v[14:15], v[14:15], 1, s[20:21]
	v_lshl_add_u64 v[16:17], v[16:17], 1, s[20:21]
	s_addc_u32 s37, s31, -1
	s_mov_b64 s[14:15], 0
                                        ; implicit-def: $sgpr18_sgpr19
.LBB1451_48:                            ; =>This Inner Loop Header: Depth=1
	global_load_ushort v23, v[14:15], off
	global_load_ushort v24, v[16:17], off
	s_add_u32 s6, s36, -1
	s_addc_u32 s7, s37, -1
	s_cmp_eq_u64 s[36:37], 0
	s_mov_b64 s[36:37], s[6:7]
	s_cselect_b64 s[38:39], -1, 0
	v_lshl_add_u64 v[14:15], v[14:15], 0, 2
	v_lshl_add_u64 v[16:17], v[16:17], 0, 2
	s_waitcnt vmcnt(0)
	v_cmp_ne_u16_e64 s[6:7], v23, v24
	s_or_b64 s[6:7], s[6:7], s[38:39]
	s_and_b64 s[6:7], exec, s[6:7]
	v_cmp_eq_u16_e32 vcc, v23, v24
	s_or_b64 s[14:15], s[6:7], s[14:15]
	s_andn2_b64 s[6:7], s[18:19], exec
	s_and_b64 s[18:19], vcc, exec
	s_or_b64 s[18:19], s[6:7], s[18:19]
	s_andn2_b64 exec, exec, s[14:15]
	s_cbranch_execnz .LBB1451_48
; %bb.49:
	s_or_b64 exec, exec, s[14:15]
	s_xor_b64 s[6:7], s[18:19], -1
.LBB1451_50:
	s_waitcnt lgkmcnt(0)
	v_lshl_or_b32 v15, v18, 16, v19
	s_and_b64 vcc, exec, s[12:13]
	s_cbranch_vccz .LBB1451_84
.LBB1451_51:
	v_add_u32_e32 v14, 4, v22
	v_cmp_gt_u32_e32 vcc, s3, v14
	s_mov_b64 s[14:15], 0
	s_mov_b64 s[12:13], 0
	s_and_saveexec_b64 s[18:19], vcc
	s_cbranch_execz .LBB1451_57
; %bb.52:
	s_and_b64 vcc, exec, s[4:5]
	s_mov_b64 s[6:7], 0
	s_cbranch_vccnz .LBB1451_56
; %bb.53:
	v_mul_lo_u32 v16, v5, s30
	v_mul_lo_u32 v17, v4, s31
	v_mad_u64_u32 v[14:15], s[6:7], v4, s30, 0
	v_add3_u32 v15, v15, v17, v16
	v_mul_lo_u32 v18, v13, s30
	v_mul_lo_u32 v19, v12, s31
	v_mad_u64_u32 v[16:17], s[6:7], v12, s30, 0
	v_add3_u32 v17, v17, v19, v18
	s_add_u32 s38, s30, -1
	v_lshl_add_u64 v[14:15], v[14:15], 1, s[20:21]
	v_lshl_add_u64 v[16:17], v[16:17], 1, s[20:21]
	s_addc_u32 s39, s31, -1
                                        ; implicit-def: $sgpr36_sgpr37
.LBB1451_54:                            ; =>This Inner Loop Header: Depth=1
	global_load_ushort v18, v[14:15], off
	global_load_ushort v19, v[16:17], off
	s_add_u32 s6, s38, -1
	s_addc_u32 s7, s39, -1
	s_cmp_eq_u64 s[38:39], 0
	s_mov_b64 s[38:39], s[6:7]
	s_cselect_b64 s[40:41], -1, 0
	v_lshl_add_u64 v[14:15], v[14:15], 0, 2
	v_lshl_add_u64 v[16:17], v[16:17], 0, 2
	s_waitcnt vmcnt(0)
	v_cmp_ne_u16_e64 s[6:7], v18, v19
	s_or_b64 s[6:7], s[6:7], s[40:41]
	s_and_b64 s[6:7], exec, s[6:7]
	v_cmp_eq_u16_e32 vcc, v18, v19
	s_or_b64 s[12:13], s[6:7], s[12:13]
	s_andn2_b64 s[6:7], s[36:37], exec
	s_and_b64 s[36:37], vcc, exec
	s_or_b64 s[36:37], s[6:7], s[36:37]
	s_andn2_b64 exec, exec, s[12:13]
	s_cbranch_execnz .LBB1451_54
; %bb.55:
	s_or_b64 exec, exec, s[12:13]
	s_xor_b64 s[6:7], s[36:37], -1
.LBB1451_56:
	s_and_b64 s[12:13], s[6:7], exec
.LBB1451_57:
	s_or_b64 exec, exec, s[18:19]
	v_add_u32_e32 v14, 3, v22
	v_cmp_gt_u32_e32 vcc, s3, v14
	s_and_saveexec_b64 s[18:19], vcc
	s_cbranch_execz .LBB1451_63
; %bb.58:
	s_and_b64 vcc, exec, s[4:5]
	s_mov_b64 s[6:7], 0
	s_cbranch_vccnz .LBB1451_62
; %bb.59:
	v_mul_lo_u32 v16, v3, s30
	v_mul_lo_u32 v17, v2, s31
	v_mad_u64_u32 v[14:15], s[6:7], v2, s30, 0
	v_add3_u32 v15, v15, v17, v16
	v_mul_lo_u32 v18, v5, s30
	v_mul_lo_u32 v19, v4, s31
	v_mad_u64_u32 v[16:17], s[6:7], v4, s30, 0
	v_add3_u32 v17, v17, v19, v18
	s_add_u32 s38, s30, -1
	v_lshl_add_u64 v[14:15], v[14:15], 1, s[20:21]
	v_lshl_add_u64 v[16:17], v[16:17], 1, s[20:21]
	s_addc_u32 s39, s31, -1
	s_mov_b64 s[14:15], 0
                                        ; implicit-def: $sgpr36_sgpr37
.LBB1451_60:                            ; =>This Inner Loop Header: Depth=1
	global_load_ushort v18, v[14:15], off
	global_load_ushort v19, v[16:17], off
	s_add_u32 s6, s38, -1
	s_addc_u32 s7, s39, -1
	s_cmp_eq_u64 s[38:39], 0
	s_mov_b64 s[38:39], s[6:7]
	s_cselect_b64 s[40:41], -1, 0
	v_lshl_add_u64 v[14:15], v[14:15], 0, 2
	v_lshl_add_u64 v[16:17], v[16:17], 0, 2
	s_waitcnt vmcnt(0)
	v_cmp_ne_u16_e64 s[6:7], v18, v19
	s_or_b64 s[6:7], s[6:7], s[40:41]
	s_and_b64 s[6:7], exec, s[6:7]
	v_cmp_eq_u16_e32 vcc, v18, v19
	s_or_b64 s[14:15], s[6:7], s[14:15]
	s_andn2_b64 s[6:7], s[36:37], exec
	s_and_b64 s[36:37], vcc, exec
	s_or_b64 s[36:37], s[6:7], s[36:37]
	s_andn2_b64 exec, exec, s[14:15]
	s_cbranch_execnz .LBB1451_60
; %bb.61:
	s_or_b64 exec, exec, s[14:15]
	s_xor_b64 s[6:7], s[36:37], -1
.LBB1451_62:
	s_and_b64 s[14:15], s[6:7], exec
.LBB1451_63:
	s_or_b64 exec, exec, s[18:19]
	v_add_u32_e32 v14, 2, v22
	v_cmp_gt_u32_e32 vcc, s3, v14
	s_mov_b64 s[18:19], 0
	s_mov_b64 s[36:37], 0
	s_and_saveexec_b64 s[38:39], vcc
	s_cbranch_execz .LBB1451_69
; %bb.64:
	s_and_b64 vcc, exec, s[4:5]
	s_mov_b64 s[6:7], 0
	s_cbranch_vccnz .LBB1451_68
; %bb.65:
	v_mul_lo_u32 v16, v9, s30
	v_mul_lo_u32 v17, v8, s31
	v_mad_u64_u32 v[14:15], s[6:7], v8, s30, 0
	v_add3_u32 v15, v15, v17, v16
	v_mul_lo_u32 v18, v3, s30
	v_mul_lo_u32 v19, v2, s31
	v_mad_u64_u32 v[16:17], s[6:7], v2, s30, 0
	v_add3_u32 v17, v17, v19, v18
	s_add_u32 s42, s30, -1
	v_lshl_add_u64 v[14:15], v[14:15], 1, s[20:21]
	v_lshl_add_u64 v[16:17], v[16:17], 1, s[20:21]
	s_addc_u32 s43, s31, -1
                                        ; implicit-def: $sgpr40_sgpr41
.LBB1451_66:                            ; =>This Inner Loop Header: Depth=1
	global_load_ushort v18, v[14:15], off
	global_load_ushort v19, v[16:17], off
	s_add_u32 s6, s42, -1
	s_addc_u32 s7, s43, -1
	s_cmp_eq_u64 s[42:43], 0
	s_mov_b64 s[42:43], s[6:7]
	s_cselect_b64 s[44:45], -1, 0
	v_lshl_add_u64 v[14:15], v[14:15], 0, 2
	v_lshl_add_u64 v[16:17], v[16:17], 0, 2
	s_waitcnt vmcnt(0)
	v_cmp_ne_u16_e64 s[6:7], v18, v19
	s_or_b64 s[6:7], s[6:7], s[44:45]
	s_and_b64 s[6:7], exec, s[6:7]
	v_cmp_eq_u16_e32 vcc, v18, v19
	s_or_b64 s[36:37], s[6:7], s[36:37]
	s_andn2_b64 s[6:7], s[40:41], exec
	s_and_b64 s[40:41], vcc, exec
	s_or_b64 s[40:41], s[6:7], s[40:41]
	s_andn2_b64 exec, exec, s[36:37]
	s_cbranch_execnz .LBB1451_66
; %bb.67:
	s_or_b64 exec, exec, s[36:37]
	s_xor_b64 s[6:7], s[40:41], -1
.LBB1451_68:
	s_and_b64 s[36:37], s[6:7], exec
.LBB1451_69:
	s_or_b64 exec, exec, s[38:39]
	v_add_u32_e32 v14, 1, v22
	v_cmp_gt_u32_e32 vcc, s3, v14
	s_and_saveexec_b64 s[38:39], vcc
	s_cbranch_execz .LBB1451_75
; %bb.70:
	s_and_b64 vcc, exec, s[4:5]
	s_mov_b64 s[6:7], 0
	s_cbranch_vccnz .LBB1451_74
; %bb.71:
	v_mul_lo_u32 v16, v7, s30
	v_mul_lo_u32 v17, v6, s31
	v_mad_u64_u32 v[14:15], s[6:7], v6, s30, 0
	v_add3_u32 v15, v15, v17, v16
	v_mul_lo_u32 v18, v9, s30
	v_mul_lo_u32 v19, v8, s31
	v_mad_u64_u32 v[16:17], s[6:7], v8, s30, 0
	v_add3_u32 v17, v17, v19, v18
	s_add_u32 s42, s30, -1
	v_lshl_add_u64 v[14:15], v[14:15], 1, s[20:21]
	v_lshl_add_u64 v[16:17], v[16:17], 1, s[20:21]
	s_addc_u32 s43, s31, -1
	s_mov_b64 s[18:19], 0
                                        ; implicit-def: $sgpr40_sgpr41
.LBB1451_72:                            ; =>This Inner Loop Header: Depth=1
	global_load_ushort v18, v[14:15], off
	global_load_ushort v19, v[16:17], off
	s_add_u32 s6, s42, -1
	s_addc_u32 s7, s43, -1
	s_cmp_eq_u64 s[42:43], 0
	s_mov_b64 s[42:43], s[6:7]
	s_cselect_b64 s[44:45], -1, 0
	v_lshl_add_u64 v[14:15], v[14:15], 0, 2
	v_lshl_add_u64 v[16:17], v[16:17], 0, 2
	s_waitcnt vmcnt(0)
	v_cmp_ne_u16_e64 s[6:7], v18, v19
	s_or_b64 s[6:7], s[6:7], s[44:45]
	s_and_b64 s[6:7], exec, s[6:7]
	v_cmp_eq_u16_e32 vcc, v18, v19
	s_or_b64 s[18:19], s[6:7], s[18:19]
	s_andn2_b64 s[6:7], s[40:41], exec
	s_and_b64 s[40:41], vcc, exec
	s_or_b64 s[40:41], s[6:7], s[40:41]
	s_andn2_b64 exec, exec, s[18:19]
	s_cbranch_execnz .LBB1451_72
; %bb.73:
	s_or_b64 exec, exec, s[18:19]
	s_xor_b64 s[6:7], s[40:41], -1
.LBB1451_74:
	s_and_b64 s[18:19], s[6:7], exec
.LBB1451_75:
	s_or_b64 exec, exec, s[38:39]
	v_cmp_ne_u32_e32 vcc, 0, v0
	s_waitcnt lgkmcnt(0)
	v_mov_b64_e32 v[14:15], s[10:11]
	s_barrier
	s_and_saveexec_b64 s[6:7], vcc
; %bb.76:
	v_add_u32_e32 v14, -8, v21
	ds_read_b64 v[14:15], v14
; %bb.77:
	s_or_b64 exec, exec, s[6:7]
	v_cndmask_b32_e64 v17, 0, 1, s[14:15]
	v_cndmask_b32_e64 v16, 0, 1, s[36:37]
	;; [unrolled: 1-line block ×3, first 2 shown]
	v_lshlrev_b16_e32 v17, 8, v17
	v_cmp_gt_u32_e32 vcc, s3, v22
	v_lshlrev_b16_e32 v18, 8, v18
	v_or_b32_sdwa v19, v16, v17 dst_sel:WORD_1 dst_unused:UNUSED_PAD src0_sel:DWORD src1_sel:DWORD
	s_mov_b64 s[6:7], 0
	s_and_saveexec_b64 s[10:11], vcc
	s_cbranch_execz .LBB1451_83
; %bb.78:
	s_and_b64 vcc, exec, s[4:5]
	s_mov_b64 s[4:5], 0
	s_cbranch_vccnz .LBB1451_82
; %bb.79:
	s_waitcnt lgkmcnt(0)
	v_mul_lo_u32 v16, v15, s30
	v_mul_lo_u32 v17, v14, s31
	v_mad_u64_u32 v[14:15], s[4:5], v14, s30, 0
	v_add3_u32 v15, v15, v17, v16
	v_mul_lo_u32 v21, v7, s30
	v_mul_lo_u32 v23, v6, s31
	v_mad_u64_u32 v[16:17], s[4:5], v6, s30, 0
	v_add3_u32 v17, v17, v23, v21
	s_add_u32 s18, s30, -1
	v_lshl_add_u64 v[14:15], v[14:15], 1, s[20:21]
	v_lshl_add_u64 v[16:17], v[16:17], 1, s[20:21]
	s_addc_u32 s19, s31, -1
                                        ; implicit-def: $sgpr14_sgpr15
.LBB1451_80:                            ; =>This Inner Loop Header: Depth=1
	global_load_ushort v21, v[14:15], off
	global_load_ushort v23, v[16:17], off
	s_add_u32 s4, s18, -1
	s_addc_u32 s5, s19, -1
	s_cmp_eq_u64 s[18:19], 0
	s_mov_b64 s[18:19], s[4:5]
	s_cselect_b64 s[36:37], -1, 0
	v_lshl_add_u64 v[14:15], v[14:15], 0, 2
	v_lshl_add_u64 v[16:17], v[16:17], 0, 2
	s_waitcnt vmcnt(0)
	v_cmp_ne_u16_e64 s[4:5], v21, v23
	s_or_b64 s[4:5], s[4:5], s[36:37]
	s_and_b64 s[4:5], exec, s[4:5]
	v_cmp_eq_u16_e32 vcc, v21, v23
	s_or_b64 s[6:7], s[4:5], s[6:7]
	s_andn2_b64 s[4:5], s[14:15], exec
	s_and_b64 s[14:15], vcc, exec
	s_or_b64 s[14:15], s[4:5], s[14:15]
	s_andn2_b64 exec, exec, s[6:7]
	s_cbranch_execnz .LBB1451_80
; %bb.81:
	s_or_b64 exec, exec, s[6:7]
	s_xor_b64 s[4:5], s[14:15], -1
.LBB1451_82:
	s_and_b64 s[6:7], s[4:5], exec
.LBB1451_83:
	s_or_b64 exec, exec, s[10:11]
	v_cndmask_b32_e64 v32, 0, 1, s[12:13]
	s_waitcnt lgkmcnt(0)
	v_or_b32_e32 v15, v18, v19
.LBB1451_84:
	s_waitcnt lgkmcnt(0)
	s_mov_b64 s[10:11], -1
	s_cbranch_execnz .LBB1451_41
.LBB1451_85:
	v_lshlrev_b32_e32 v14, 5, v0
	v_sub_u32_e32 v23, v20, v14
	s_mov_b64 s[6:7], 0
	v_cmp_gt_i64_e64 s[12:13], s[30:31], 0
	s_and_b64 vcc, exec, s[34:35]
	ds_write_b64 v23, v[12:13]
	s_cbranch_vccz .LBB1451_96
; %bb.86:
	v_cndmask_b32_e64 v14, 0, 1, s[12:13]
	v_cmp_ne_u32_e64 s[4:5], 1, v14
	s_andn2_b64 vcc, exec, s[12:13]
	s_cbranch_vccnz .LBB1451_97
; %bb.87:
	v_mul_lo_u32 v16, v5, s30
	v_mul_lo_u32 v17, v4, s31
	v_mad_u64_u32 v[14:15], s[6:7], v4, s30, 0
	v_add3_u32 v15, v15, v17, v16
	v_mul_lo_u32 v18, v13, s30
	v_mul_lo_u32 v19, v12, s31
	v_mad_u64_u32 v[16:17], s[6:7], v12, s30, 0
	s_add_u32 s18, s30, -1
	v_lshl_add_u64 v[14:15], v[14:15], 1, s[20:21]
	v_add3_u32 v17, v17, v19, v18
	s_addc_u32 s19, s31, -1
	v_lshl_add_u64 v[16:17], v[16:17], 1, s[20:21]
	s_mov_b64 s[36:37], 0
	s_mov_b64 s[38:39], s[18:19]
	v_mov_b64_e32 v[18:19], v[14:15]
                                        ; implicit-def: $sgpr14_sgpr15
.LBB1451_88:                            ; =>This Inner Loop Header: Depth=1
	global_load_ushort v20, v[18:19], off
	global_load_ushort v21, v[16:17], off
	s_add_u32 s6, s38, -1
	s_addc_u32 s7, s39, -1
	s_cmp_eq_u64 s[38:39], 0
	s_mov_b64 s[38:39], s[6:7]
	s_cselect_b64 s[40:41], -1, 0
	v_lshl_add_u64 v[18:19], v[18:19], 0, 2
	v_lshl_add_u64 v[16:17], v[16:17], 0, 2
	s_waitcnt vmcnt(0)
	v_cmp_ne_u16_e64 s[6:7], v20, v21
	s_or_b64 s[6:7], s[6:7], s[40:41]
	s_and_b64 s[6:7], exec, s[6:7]
	v_cmp_eq_u16_e32 vcc, v20, v21
	s_or_b64 s[36:37], s[6:7], s[36:37]
	s_andn2_b64 s[6:7], s[14:15], exec
	s_and_b64 s[14:15], vcc, exec
	s_or_b64 s[14:15], s[6:7], s[14:15]
	s_andn2_b64 exec, exec, s[36:37]
	s_cbranch_execnz .LBB1451_88
; %bb.89:
	s_or_b64 exec, exec, s[36:37]
	v_mul_lo_u32 v18, v3, s30
	v_mul_lo_u32 v19, v2, s31
	v_mad_u64_u32 v[16:17], s[6:7], v2, s30, 0
	v_add3_u32 v17, v17, v19, v18
	v_lshl_add_u64 v[16:17], v[16:17], 1, s[20:21]
	s_mov_b64 s[38:39], 0
	s_mov_b64 s[40:41], s[18:19]
	v_mov_b64_e32 v[18:19], v[16:17]
                                        ; implicit-def: $sgpr36_sgpr37
.LBB1451_90:                            ; =>This Inner Loop Header: Depth=1
	global_load_ushort v20, v[18:19], off
	global_load_ushort v21, v[14:15], off
	s_add_u32 s6, s40, -1
	s_addc_u32 s7, s41, -1
	s_cmp_eq_u64 s[40:41], 0
	s_mov_b64 s[40:41], s[6:7]
	s_cselect_b64 s[42:43], -1, 0
	v_lshl_add_u64 v[18:19], v[18:19], 0, 2
	v_lshl_add_u64 v[14:15], v[14:15], 0, 2
	s_waitcnt vmcnt(0)
	v_cmp_ne_u16_e64 s[6:7], v20, v21
	s_or_b64 s[6:7], s[6:7], s[42:43]
	s_and_b64 s[6:7], exec, s[6:7]
	v_cmp_eq_u16_e32 vcc, v20, v21
	s_or_b64 s[38:39], s[6:7], s[38:39]
	s_andn2_b64 s[6:7], s[36:37], exec
	s_and_b64 s[36:37], vcc, exec
	s_or_b64 s[36:37], s[6:7], s[36:37]
	s_andn2_b64 exec, exec, s[38:39]
	s_cbranch_execnz .LBB1451_90
; %bb.91:
	s_or_b64 exec, exec, s[38:39]
	v_mul_lo_u32 v18, v9, s30
	v_mul_lo_u32 v19, v8, s31
	v_mad_u64_u32 v[14:15], s[6:7], v8, s30, 0
	v_add3_u32 v15, v15, v19, v18
	v_lshl_add_u64 v[14:15], v[14:15], 1, s[20:21]
	s_mov_b64 s[40:41], 0
	s_mov_b64 s[42:43], s[18:19]
	v_mov_b64_e32 v[18:19], v[14:15]
                                        ; implicit-def: $sgpr38_sgpr39
.LBB1451_92:                            ; =>This Inner Loop Header: Depth=1
	global_load_ushort v20, v[18:19], off
	global_load_ushort v21, v[16:17], off
	s_add_u32 s6, s42, -1
	s_addc_u32 s7, s43, -1
	s_cmp_eq_u64 s[42:43], 0
	s_mov_b64 s[42:43], s[6:7]
	s_cselect_b64 s[44:45], -1, 0
	v_lshl_add_u64 v[18:19], v[18:19], 0, 2
	v_lshl_add_u64 v[16:17], v[16:17], 0, 2
	s_waitcnt vmcnt(0)
	v_cmp_ne_u16_e64 s[6:7], v20, v21
	s_or_b64 s[6:7], s[6:7], s[44:45]
	s_and_b64 s[6:7], exec, s[6:7]
	v_cmp_eq_u16_e32 vcc, v20, v21
	s_or_b64 s[40:41], s[6:7], s[40:41]
	s_andn2_b64 s[6:7], s[38:39], exec
	s_and_b64 s[38:39], vcc, exec
	s_or_b64 s[38:39], s[6:7], s[38:39]
	s_andn2_b64 exec, exec, s[40:41]
	s_cbranch_execnz .LBB1451_92
; %bb.93:
	s_or_b64 exec, exec, s[40:41]
	v_mul_lo_u32 v18, v7, s30
	v_mul_lo_u32 v19, v6, s31
	v_mad_u64_u32 v[16:17], s[6:7], v6, s30, 0
	v_add3_u32 v17, v17, v19, v18
	v_lshl_add_u64 v[16:17], v[16:17], 1, s[20:21]
	s_mov_b64 s[42:43], 0
                                        ; implicit-def: $sgpr40_sgpr41
.LBB1451_94:                            ; =>This Inner Loop Header: Depth=1
	global_load_ushort v18, v[16:17], off
	global_load_ushort v19, v[14:15], off
	s_add_u32 s6, s18, -1
	s_addc_u32 s7, s19, -1
	s_cmp_eq_u64 s[18:19], 0
	s_mov_b64 s[18:19], s[6:7]
	s_cselect_b64 s[44:45], -1, 0
	v_lshl_add_u64 v[16:17], v[16:17], 0, 2
	v_lshl_add_u64 v[14:15], v[14:15], 0, 2
	s_waitcnt vmcnt(0)
	v_cmp_ne_u16_e64 s[6:7], v18, v19
	s_or_b64 s[6:7], s[6:7], s[44:45]
	s_and_b64 s[6:7], exec, s[6:7]
	v_cmp_eq_u16_e32 vcc, v18, v19
	s_or_b64 s[42:43], s[6:7], s[42:43]
	s_andn2_b64 s[6:7], s[40:41], exec
	s_and_b64 s[40:41], vcc, exec
	s_or_b64 s[40:41], s[6:7], s[40:41]
	s_andn2_b64 exec, exec, s[42:43]
	s_cbranch_execnz .LBB1451_94
; %bb.95:
	s_or_b64 exec, exec, s[42:43]
	s_xor_b64 s[6:7], s[14:15], -1
	v_cndmask_b32_e64 v32, 0, 1, s[6:7]
	s_xor_b64 s[6:7], s[36:37], -1
	v_cndmask_b32_e64 v14, 0, 1, s[6:7]
	v_lshlrev_b16_e32 v14, 8, v14
	v_mov_b32_e32 v15, 8
	s_xor_b64 s[14:15], s[38:39], -1
	v_lshrrev_b32_sdwa v14, v15, v14 dst_sel:BYTE_1 dst_unused:UNUSED_PAD src0_sel:DWORD src1_sel:DWORD
	v_cndmask_b32_e64 v15, 0, 1, s[14:15]
	s_xor_b64 s[6:7], s[40:41], -1
	v_or_b32_sdwa v14, v15, v14 dst_sel:WORD_1 dst_unused:UNUSED_PAD src0_sel:DWORD src1_sel:DWORD
	s_branch .LBB1451_98
.LBB1451_96:
                                        ; implicit-def: $sgpr6_sgpr7
                                        ; implicit-def: $vgpr32
                                        ; implicit-def: $vgpr15
                                        ; implicit-def: $vgpr16
                                        ; implicit-def: $vgpr34
                                        ; implicit-def: $vgpr33
                                        ; implicit-def: $vgpr14
	s_cbranch_execnz .LBB1451_105
	s_branch .LBB1451_138
.LBB1451_97:
	v_mov_b32_e32 v14, 0
	v_mov_b32_e32 v32, 0
.LBB1451_98:
	v_lshrrev_b32_e32 v33, 16, v14
	v_lshrrev_b32_e32 v14, 24, v14
	v_cndmask_b32_e64 v34, 0, 1, s[6:7]
	v_mov_b32_e32 v16, 1
	v_cmp_ne_u32_e32 vcc, 0, v0
	s_waitcnt lgkmcnt(0)
	s_barrier
                                        ; implicit-def: $sgpr6_sgpr7
                                        ; implicit-def: $vgpr15
	s_and_saveexec_b64 s[14:15], vcc
	s_xor_b64 s[14:15], exec, s[14:15]
	s_cbranch_execz .LBB1451_104
; %bb.99:
	v_lshlrev_b16_e32 v15, 8, v14
	s_movk_i32 s6, 0xff
	v_bitop3_b16 v15, v33, v15, s6 bitop3:0xec
	v_lshlrev_b16_e32 v17, 8, v34
	v_lshlrev_b32_e32 v15, 16, v15
	v_or_b32_e32 v17, 1, v17
	v_or_b32_sdwa v15, v17, v15 dst_sel:DWORD dst_unused:UNUSED_PAD src0_sel:WORD_0 src1_sel:DWORD
	s_mov_b32 s33, 0x3020104
	s_and_b64 vcc, exec, s[4:5]
	s_mov_b64 s[6:7], 0
	s_cbranch_vccnz .LBB1451_103
; %bb.100:
	v_add_u32_e32 v17, -8, v23
	ds_read_b64 v[18:19], v17
	v_mul_lo_u32 v17, v7, s30
	v_mul_lo_u32 v24, v6, s31
	s_add_u32 s36, s30, -1
	s_addc_u32 s37, s31, -1
	s_waitcnt lgkmcnt(0)
	v_mul_lo_u32 v20, v19, s30
	v_mul_lo_u32 v21, v18, s31
	v_mad_u64_u32 v[18:19], s[4:5], v18, s30, 0
	v_add3_u32 v19, v19, v21, v20
	v_mad_u64_u32 v[20:21], s[4:5], v6, s30, 0
	v_add3_u32 v21, v21, v24, v17
	v_lshl_add_u64 v[18:19], v[18:19], 1, s[20:21]
	v_lshl_add_u64 v[20:21], v[20:21], 1, s[20:21]
                                        ; implicit-def: $sgpr18_sgpr19
.LBB1451_101:                           ; =>This Inner Loop Header: Depth=1
	global_load_ushort v17, v[18:19], off
	global_load_ushort v24, v[20:21], off
	s_add_u32 s4, s36, -1
	s_addc_u32 s5, s37, -1
	s_cmp_eq_u64 s[36:37], 0
	s_mov_b64 s[36:37], s[4:5]
	s_cselect_b64 s[38:39], -1, 0
	v_lshl_add_u64 v[18:19], v[18:19], 0, 2
	v_lshl_add_u64 v[20:21], v[20:21], 0, 2
	s_waitcnt vmcnt(0)
	v_cmp_ne_u16_e64 s[4:5], v17, v24
	s_or_b64 s[4:5], s[4:5], s[38:39]
	s_and_b64 s[4:5], exec, s[4:5]
	v_cmp_eq_u16_e32 vcc, v17, v24
	s_or_b64 s[6:7], s[4:5], s[6:7]
	s_andn2_b64 s[4:5], s[18:19], exec
	s_and_b64 s[18:19], vcc, exec
	s_or_b64 s[18:19], s[4:5], s[18:19]
	s_andn2_b64 exec, exec, s[6:7]
	s_cbranch_execnz .LBB1451_101
; %bb.102:
	s_or_b64 exec, exec, s[6:7]
	s_xor_b64 s[6:7], s[18:19], -1
.LBB1451_103:
	v_perm_b32 v15, v15, v15, s33
	s_or_b64 s[10:11], s[10:11], exec
.LBB1451_104:
	s_or_b64 exec, exec, s[14:15]
	s_branch .LBB1451_138
.LBB1451_105:
	v_add_u32_e32 v14, 4, v22
	v_cmp_gt_u32_e32 vcc, s3, v14
	s_mov_b64 s[6:7], 0
	s_mov_b64 s[14:15], 0
	s_and_saveexec_b64 s[18:19], vcc
	s_cbranch_execz .LBB1451_111
; %bb.106:
	s_andn2_b64 vcc, exec, s[12:13]
	s_mov_b64 s[4:5], 0
	s_cbranch_vccnz .LBB1451_110
; %bb.107:
	v_mul_lo_u32 v16, v5, s30
	v_mul_lo_u32 v17, v4, s31
	v_mad_u64_u32 v[14:15], s[4:5], v4, s30, 0
	v_add3_u32 v15, v15, v17, v16
	v_mul_lo_u32 v18, v13, s30
	v_mul_lo_u32 v19, v12, s31
	v_mad_u64_u32 v[16:17], s[4:5], v12, s30, 0
	v_add3_u32 v17, v17, v19, v18
	s_add_u32 s38, s30, -1
	v_lshl_add_u64 v[14:15], v[14:15], 1, s[20:21]
	v_lshl_add_u64 v[16:17], v[16:17], 1, s[20:21]
	s_addc_u32 s39, s31, -1
                                        ; implicit-def: $sgpr36_sgpr37
.LBB1451_108:                           ; =>This Inner Loop Header: Depth=1
	global_load_ushort v18, v[14:15], off
	global_load_ushort v19, v[16:17], off
	s_add_u32 s4, s38, -1
	s_addc_u32 s5, s39, -1
	s_cmp_eq_u64 s[38:39], 0
	s_mov_b64 s[38:39], s[4:5]
	s_cselect_b64 s[40:41], -1, 0
	v_lshl_add_u64 v[14:15], v[14:15], 0, 2
	v_lshl_add_u64 v[16:17], v[16:17], 0, 2
	s_waitcnt vmcnt(0)
	v_cmp_ne_u16_e64 s[4:5], v18, v19
	s_or_b64 s[4:5], s[4:5], s[40:41]
	s_and_b64 s[4:5], exec, s[4:5]
	v_cmp_eq_u16_e32 vcc, v18, v19
	s_or_b64 s[14:15], s[4:5], s[14:15]
	s_andn2_b64 s[4:5], s[36:37], exec
	s_and_b64 s[36:37], vcc, exec
	s_or_b64 s[36:37], s[4:5], s[36:37]
	s_andn2_b64 exec, exec, s[14:15]
	s_cbranch_execnz .LBB1451_108
; %bb.109:
	s_or_b64 exec, exec, s[14:15]
	s_xor_b64 s[4:5], s[36:37], -1
.LBB1451_110:
	s_and_b64 s[14:15], s[4:5], exec
.LBB1451_111:
	s_or_b64 exec, exec, s[18:19]
	v_add_u32_e32 v14, 3, v22
	v_cmp_gt_u32_e32 vcc, s3, v14
	s_and_saveexec_b64 s[18:19], vcc
	s_cbranch_execz .LBB1451_117
; %bb.112:
	s_andn2_b64 vcc, exec, s[12:13]
	s_mov_b64 s[4:5], 0
	s_cbranch_vccnz .LBB1451_116
; %bb.113:
	v_mul_lo_u32 v16, v3, s30
	v_mul_lo_u32 v17, v2, s31
	v_mad_u64_u32 v[14:15], s[4:5], v2, s30, 0
	v_add3_u32 v15, v15, v17, v16
	v_mul_lo_u32 v18, v5, s30
	v_mul_lo_u32 v19, v4, s31
	v_mad_u64_u32 v[16:17], s[4:5], v4, s30, 0
	v_add3_u32 v17, v17, v19, v18
	s_add_u32 s38, s30, -1
	v_lshl_add_u64 v[14:15], v[14:15], 1, s[20:21]
	v_lshl_add_u64 v[16:17], v[16:17], 1, s[20:21]
	s_addc_u32 s39, s31, -1
	s_mov_b64 s[6:7], 0
                                        ; implicit-def: $sgpr36_sgpr37
.LBB1451_114:                           ; =>This Inner Loop Header: Depth=1
	global_load_ushort v18, v[14:15], off
	global_load_ushort v19, v[16:17], off
	s_add_u32 s4, s38, -1
	s_addc_u32 s5, s39, -1
	s_cmp_eq_u64 s[38:39], 0
	s_mov_b64 s[38:39], s[4:5]
	s_cselect_b64 s[40:41], -1, 0
	v_lshl_add_u64 v[14:15], v[14:15], 0, 2
	v_lshl_add_u64 v[16:17], v[16:17], 0, 2
	s_waitcnt vmcnt(0)
	v_cmp_ne_u16_e64 s[4:5], v18, v19
	s_or_b64 s[4:5], s[4:5], s[40:41]
	s_and_b64 s[4:5], exec, s[4:5]
	v_cmp_eq_u16_e32 vcc, v18, v19
	s_or_b64 s[6:7], s[4:5], s[6:7]
	s_andn2_b64 s[4:5], s[36:37], exec
	s_and_b64 s[36:37], vcc, exec
	s_or_b64 s[36:37], s[4:5], s[36:37]
	s_andn2_b64 exec, exec, s[6:7]
	s_cbranch_execnz .LBB1451_114
; %bb.115:
	s_or_b64 exec, exec, s[6:7]
	s_xor_b64 s[4:5], s[36:37], -1
.LBB1451_116:
	s_and_b64 s[6:7], s[4:5], exec
.LBB1451_117:
	s_or_b64 exec, exec, s[18:19]
	v_add_u32_e32 v14, 2, v22
	v_cmp_gt_u32_e32 vcc, s3, v14
	s_mov_b64 s[18:19], 0
	s_mov_b64 s[36:37], 0
	s_and_saveexec_b64 s[38:39], vcc
	s_cbranch_execz .LBB1451_123
; %bb.118:
	s_andn2_b64 vcc, exec, s[12:13]
	s_mov_b64 s[4:5], 0
	s_cbranch_vccnz .LBB1451_122
; %bb.119:
	v_mul_lo_u32 v16, v9, s30
	v_mul_lo_u32 v17, v8, s31
	v_mad_u64_u32 v[14:15], s[4:5], v8, s30, 0
	v_add3_u32 v15, v15, v17, v16
	v_mul_lo_u32 v18, v3, s30
	v_mul_lo_u32 v19, v2, s31
	v_mad_u64_u32 v[16:17], s[4:5], v2, s30, 0
	v_add3_u32 v17, v17, v19, v18
	s_add_u32 s42, s30, -1
	v_lshl_add_u64 v[14:15], v[14:15], 1, s[20:21]
	v_lshl_add_u64 v[16:17], v[16:17], 1, s[20:21]
	s_addc_u32 s43, s31, -1
                                        ; implicit-def: $sgpr40_sgpr41
.LBB1451_120:                           ; =>This Inner Loop Header: Depth=1
	global_load_ushort v18, v[14:15], off
	global_load_ushort v19, v[16:17], off
	s_add_u32 s4, s42, -1
	s_addc_u32 s5, s43, -1
	s_cmp_eq_u64 s[42:43], 0
	s_mov_b64 s[42:43], s[4:5]
	s_cselect_b64 s[44:45], -1, 0
	v_lshl_add_u64 v[14:15], v[14:15], 0, 2
	v_lshl_add_u64 v[16:17], v[16:17], 0, 2
	s_waitcnt vmcnt(0)
	v_cmp_ne_u16_e64 s[4:5], v18, v19
	s_or_b64 s[4:5], s[4:5], s[44:45]
	s_and_b64 s[4:5], exec, s[4:5]
	v_cmp_eq_u16_e32 vcc, v18, v19
	s_or_b64 s[36:37], s[4:5], s[36:37]
	s_andn2_b64 s[4:5], s[40:41], exec
	s_and_b64 s[40:41], vcc, exec
	s_or_b64 s[40:41], s[4:5], s[40:41]
	s_andn2_b64 exec, exec, s[36:37]
	s_cbranch_execnz .LBB1451_120
; %bb.121:
	s_or_b64 exec, exec, s[36:37]
	s_xor_b64 s[4:5], s[40:41], -1
.LBB1451_122:
	s_and_b64 s[36:37], s[4:5], exec
.LBB1451_123:
	s_or_b64 exec, exec, s[38:39]
	v_add_u32_e32 v14, 1, v22
	v_cmp_gt_u32_e32 vcc, s3, v14
	s_and_saveexec_b64 s[38:39], vcc
	s_cbranch_execz .LBB1451_129
; %bb.124:
	s_andn2_b64 vcc, exec, s[12:13]
	s_mov_b64 s[4:5], 0
	s_cbranch_vccnz .LBB1451_128
; %bb.125:
	v_mul_lo_u32 v16, v7, s30
	v_mul_lo_u32 v17, v6, s31
	v_mad_u64_u32 v[14:15], s[4:5], v6, s30, 0
	v_add3_u32 v15, v15, v17, v16
	v_mul_lo_u32 v18, v9, s30
	v_mul_lo_u32 v19, v8, s31
	v_mad_u64_u32 v[16:17], s[4:5], v8, s30, 0
	v_add3_u32 v17, v17, v19, v18
	s_add_u32 s42, s30, -1
	v_lshl_add_u64 v[14:15], v[14:15], 1, s[20:21]
	v_lshl_add_u64 v[16:17], v[16:17], 1, s[20:21]
	s_addc_u32 s43, s31, -1
	s_mov_b64 s[18:19], 0
                                        ; implicit-def: $sgpr40_sgpr41
.LBB1451_126:                           ; =>This Inner Loop Header: Depth=1
	global_load_ushort v18, v[14:15], off
	global_load_ushort v19, v[16:17], off
	s_add_u32 s4, s42, -1
	s_addc_u32 s5, s43, -1
	s_cmp_eq_u64 s[42:43], 0
	s_mov_b64 s[42:43], s[4:5]
	s_cselect_b64 s[44:45], -1, 0
	v_lshl_add_u64 v[14:15], v[14:15], 0, 2
	v_lshl_add_u64 v[16:17], v[16:17], 0, 2
	s_waitcnt vmcnt(0)
	v_cmp_ne_u16_e64 s[4:5], v18, v19
	s_or_b64 s[4:5], s[4:5], s[44:45]
	s_and_b64 s[4:5], exec, s[4:5]
	v_cmp_eq_u16_e32 vcc, v18, v19
	s_or_b64 s[18:19], s[4:5], s[18:19]
	s_andn2_b64 s[4:5], s[40:41], exec
	s_and_b64 s[40:41], vcc, exec
	s_or_b64 s[40:41], s[4:5], s[40:41]
	s_andn2_b64 exec, exec, s[18:19]
	s_cbranch_execnz .LBB1451_126
; %bb.127:
	s_or_b64 exec, exec, s[18:19]
	s_xor_b64 s[4:5], s[40:41], -1
.LBB1451_128:
	s_and_b64 s[18:19], s[4:5], exec
.LBB1451_129:
	s_or_b64 exec, exec, s[38:39]
	v_cndmask_b32_e64 v32, 0, 1, s[14:15]
	v_cndmask_b32_e64 v33, 0, 1, s[36:37]
	;; [unrolled: 1-line block ×4, first 2 shown]
	v_mov_b32_e32 v16, 1
	v_cmp_ne_u32_e32 vcc, 0, v0
	s_waitcnt lgkmcnt(0)
	s_barrier
                                        ; implicit-def: $sgpr6_sgpr7
                                        ; implicit-def: $vgpr15
	s_and_saveexec_b64 s[14:15], vcc
	s_cbranch_execz .LBB1451_137
; %bb.130:
	v_lshlrev_b16_e32 v15, 8, v34
	v_lshlrev_b16_e32 v17, 8, v14
	v_or_b32_e32 v15, 1, v15
	v_or_b32_sdwa v17, v33, v17 dst_sel:WORD_1 dst_unused:UNUSED_PAD src0_sel:DWORD src1_sel:DWORD
	v_cmp_gt_u32_e32 vcc, s3, v22
	v_or_b32_sdwa v15, v15, v17 dst_sel:DWORD dst_unused:UNUSED_PAD src0_sel:WORD_0 src1_sel:DWORD
	s_mov_b32 s33, 0x3020104
	s_mov_b64 s[6:7], 0
	s_and_saveexec_b64 s[18:19], vcc
	s_cbranch_execz .LBB1451_136
; %bb.131:
	s_andn2_b64 vcc, exec, s[12:13]
	s_mov_b64 s[4:5], 0
	s_cbranch_vccnz .LBB1451_135
; %bb.132:
	v_add_u32_e32 v17, -8, v23
	ds_read_b64 v[18:19], v17
	v_mul_lo_u32 v17, v7, s30
	v_mul_lo_u32 v23, v6, s31
                                        ; implicit-def: $sgpr12_sgpr13
	s_waitcnt lgkmcnt(0)
	v_mul_lo_u32 v20, v19, s30
	v_mul_lo_u32 v21, v18, s31
	v_mad_u64_u32 v[18:19], s[4:5], v18, s30, 0
	v_add3_u32 v19, v19, v21, v20
	v_mad_u64_u32 v[20:21], s[4:5], v6, s30, 0
	v_add3_u32 v21, v21, v23, v17
	v_lshl_add_u64 v[18:19], v[18:19], 1, s[20:21]
	v_lshl_add_u64 v[20:21], v[20:21], 1, s[20:21]
	s_add_u32 s20, s30, -1
	s_addc_u32 s21, s31, -1
.LBB1451_133:                           ; =>This Inner Loop Header: Depth=1
	global_load_ushort v17, v[18:19], off
	global_load_ushort v23, v[20:21], off
	s_add_u32 s4, s20, -1
	s_addc_u32 s5, s21, -1
	s_cmp_eq_u64 s[20:21], 0
	s_mov_b64 s[20:21], s[4:5]
	s_cselect_b64 s[30:31], -1, 0
	v_lshl_add_u64 v[18:19], v[18:19], 0, 2
	v_lshl_add_u64 v[20:21], v[20:21], 0, 2
	s_waitcnt vmcnt(0)
	v_cmp_ne_u16_e64 s[4:5], v17, v23
	s_or_b64 s[4:5], s[4:5], s[30:31]
	s_and_b64 s[4:5], exec, s[4:5]
	v_cmp_eq_u16_e32 vcc, v17, v23
	s_or_b64 s[6:7], s[4:5], s[6:7]
	s_andn2_b64 s[4:5], s[12:13], exec
	s_and_b64 s[12:13], vcc, exec
	s_or_b64 s[12:13], s[4:5], s[12:13]
	s_andn2_b64 exec, exec, s[6:7]
	s_cbranch_execnz .LBB1451_133
; %bb.134:
	s_or_b64 exec, exec, s[6:7]
	s_xor_b64 s[4:5], s[12:13], -1
.LBB1451_135:
	s_and_b64 s[6:7], s[4:5], exec
.LBB1451_136:
	s_or_b64 exec, exec, s[18:19]
	v_perm_b32 v15, v15, v15, s33
	s_or_b64 s[10:11], s[10:11], exec
.LBB1451_137:
	s_or_b64 exec, exec, s[14:15]
.LBB1451_138:
	s_and_saveexec_b64 s[4:5], s[10:11]
; %bb.139:
	v_lshrrev_b32_e32 v14, 24, v15
	v_lshrrev_b32_e32 v33, 16, v15
	;; [unrolled: 1-line block ×3, first 2 shown]
	v_cndmask_b32_e64 v16, 0, 1, s[6:7]
; %bb.140:
	s_or_b64 exec, exec, s[4:5]
	s_andn2_b64 vcc, exec, s[8:9]
	s_cbranch_vccnz .LBB1451_144
; %bb.141:
	s_mov_b32 s4, 0xc0c0004
	v_perm_b32 v14, v33, v14, s4
	v_perm_b32 v15, v16, v34, s4
	v_lshlrev_b32_e32 v14, 16, v14
	v_or_b32_e32 v15, v15, v14
	v_cmp_gt_u32_e32 vcc, s3, v22
	v_add_u32_e32 v16, 1, v22
	s_mov_b32 s4, 0x40c0100
	v_cndmask_b32_e32 v14, v14, v15, vcc
	v_and_b32_e32 v14, 0xffff00ff, v14
	v_cmp_gt_u32_e32 vcc, s3, v16
	v_add_u32_e32 v16, 2, v22
	v_and_b32_e32 v32, 0xff, v32
	v_cndmask_b32_e32 v14, v14, v15, vcc
	v_lshrrev_b32_e32 v18, 24, v14
	v_perm_b32 v14, v18, v14, s4
	v_cmp_gt_u32_e32 vcc, s3, v16
	v_add_u32_e32 v16, 3, v22
	v_and_b32_e32 v17, 0xffff, v32
	v_cndmask_b32_e32 v14, v14, v15, vcc
	v_and_b32_e32 v14, 0xffffff, v14
	v_cmp_gt_u32_e32 vcc, s3, v16
	s_nop 1
	v_cndmask_b32_e32 v16, v14, v15, vcc
	v_lshrrev_b64 v[14:15], 24, v[16:17]
	v_add_u32_e32 v15, 4, v22
	v_lshrrev_b32_e32 v33, 16, v16
	v_lshrrev_b32_e32 v34, 8, v16
	v_cmp_le_u32_e32 vcc, s3, v15
	s_and_saveexec_b64 s[4:5], vcc
; %bb.142:
	v_mov_b32_e32 v32, 0
; %bb.143:
	s_or_b64 exec, exec, s[4:5]
.LBB1451_144:
	v_and_b32_e32 v15, 0xff, v16
	v_and_b32_e32 v17, 0xff, v34
	;; [unrolled: 1-line block ×5, first 2 shown]
	v_add3_u32 v19, v17, v15, v29
	v_add3_u32 v37, v19, v31, v18
	v_mbcnt_lo_u32_b32 v18, -1, 0
	v_mbcnt_hi_u32_b32 v35, -1, v18
	v_and_b32_e32 v18, 15, v35
	v_cmp_eq_u32_e64 s[14:15], 0, v18
	v_cmp_lt_u32_e64 s[12:13], 1, v18
	v_cmp_lt_u32_e64 s[10:11], 3, v18
	;; [unrolled: 1-line block ×3, first 2 shown]
	v_and_b32_e32 v18, 16, v35
	v_cmp_eq_u32_e64 s[6:7], 0, v18
	v_or_b32_e32 v18, 63, v0
	v_cmp_lt_u32_e64 s[18:19], 31, v35
	v_lshrrev_b32_e32 v36, 6, v0
	v_cmp_eq_u32_e64 s[4:5], v0, v18
	s_and_b64 vcc, exec, s[16:17]
	s_waitcnt lgkmcnt(0)
	s_barrier
	s_cbranch_vccz .LBB1451_166
; %bb.145:
	v_mov_b32_dpp v18, v37 row_shr:1 row_mask:0xf bank_mask:0xf
	v_cndmask_b32_e64 v18, v18, 0, s[14:15]
	v_add_u32_e32 v18, v18, v37
	s_nop 1
	v_mov_b32_dpp v19, v18 row_shr:2 row_mask:0xf bank_mask:0xf
	v_cndmask_b32_e64 v19, 0, v19, s[12:13]
	v_add_u32_e32 v18, v18, v19
	s_nop 1
	;; [unrolled: 4-line block ×4, first 2 shown]
	v_mov_b32_dpp v19, v18 row_bcast:15 row_mask:0xf bank_mask:0xf
	v_cndmask_b32_e64 v19, v19, 0, s[6:7]
	v_add_u32_e32 v18, v18, v19
	s_nop 1
	v_mov_b32_dpp v19, v18 row_bcast:31 row_mask:0xf bank_mask:0xf
	v_cndmask_b32_e64 v19, 0, v19, s[18:19]
	v_add_u32_e32 v18, v18, v19
	s_and_saveexec_b64 s[16:17], s[4:5]
; %bb.146:
	v_lshlrev_b32_e32 v19, 2, v36
	ds_write_b32 v19, v18
; %bb.147:
	s_or_b64 exec, exec, s[16:17]
	v_cmp_gt_u32_e32 vcc, 2, v0
	s_waitcnt lgkmcnt(0)
	s_barrier
	s_and_saveexec_b64 s[16:17], vcc
	s_cbranch_execz .LBB1451_149
; %bb.148:
	v_lshlrev_b32_e32 v19, 2, v0
	ds_read_b32 v20, v19
	v_bfe_i32 v21, v35, 0, 1
	s_waitcnt lgkmcnt(0)
	v_mov_b32_dpp v22, v20 row_shr:1 row_mask:0xf bank_mask:0xf
	v_and_b32_e32 v21, v21, v22
	v_add_u32_e32 v20, v21, v20
	ds_write_b32 v19, v20
.LBB1451_149:
	s_or_b64 exec, exec, s[16:17]
	v_cmp_gt_u32_e32 vcc, 64, v0
	v_cmp_lt_u32_e64 s[16:17], 63, v0
	s_waitcnt lgkmcnt(0)
	s_barrier
                                        ; implicit-def: $vgpr28
	s_and_saveexec_b64 s[20:21], s[16:17]
	s_cbranch_execz .LBB1451_151
; %bb.150:
	v_lshl_add_u32 v19, v36, 2, -4
	ds_read_b32 v28, v19
	s_waitcnt lgkmcnt(0)
	v_add_u32_e32 v18, v28, v18
.LBB1451_151:
	s_or_b64 exec, exec, s[20:21]
	v_subrev_co_u32_e64 v19, s[16:17], 1, v35
	v_and_b32_e32 v20, 64, v35
	v_cmp_lt_i32_e64 s[20:21], v19, v20
	s_nop 1
	v_cndmask_b32_e64 v19, v19, v35, s[20:21]
	v_lshlrev_b32_e32 v19, 2, v19
	ds_bpermute_b32 v30, v19, v18
	s_and_saveexec_b64 s[20:21], vcc
	s_cbranch_execz .LBB1451_171
; %bb.152:
	v_mov_b32_e32 v25, 0
	ds_read_b32 v18, v25 offset:4
	s_and_saveexec_b64 s[30:31], s[16:17]
	s_cbranch_execz .LBB1451_154
; %bb.153:
	s_add_i32 s36, s2, 64
	s_mov_b32 s37, 0
	s_lshl_b64 s[36:37], s[36:37], 3
	s_add_u32 s36, s22, s36
	v_mov_b32_e32 v19, 1
	s_addc_u32 s37, s23, s37
	s_waitcnt lgkmcnt(0)
	global_store_dwordx2 v25, v[18:19], s[36:37] sc1
.LBB1451_154:
	s_or_b64 exec, exec, s[30:31]
	v_xad_u32 v20, v35, -1, s2
	v_add_u32_e32 v24, 64, v20
	v_lshl_add_u64 v[26:27], v[24:25], 3, s[22:23]
	global_load_dwordx2 v[22:23], v[26:27], off sc1
	s_waitcnt vmcnt(0)
	v_cmp_eq_u16_sdwa s[36:37], v23, v25 src0_sel:BYTE_0 src1_sel:DWORD
	s_and_saveexec_b64 s[30:31], s[36:37]
	s_cbranch_execz .LBB1451_158
; %bb.155:
	s_mov_b64 s[36:37], 0
	v_mov_b32_e32 v19, 0
.LBB1451_156:                           ; =>This Inner Loop Header: Depth=1
	global_load_dwordx2 v[22:23], v[26:27], off sc1
	s_waitcnt vmcnt(0)
	v_cmp_ne_u16_sdwa s[38:39], v23, v19 src0_sel:BYTE_0 src1_sel:DWORD
	s_or_b64 s[36:37], s[38:39], s[36:37]
	s_andn2_b64 exec, exec, s[36:37]
	s_cbranch_execnz .LBB1451_156
; %bb.157:
	s_or_b64 exec, exec, s[36:37]
.LBB1451_158:
	s_or_b64 exec, exec, s[30:31]
	v_and_b32_e32 v39, 63, v35
	v_mov_b32_e32 v38, 2
	v_cmp_ne_u32_e32 vcc, 63, v39
	v_cmp_eq_u16_sdwa s[30:31], v23, v38 src0_sel:BYTE_0 src1_sel:DWORD
	v_lshlrev_b64 v[24:25], v35, -1
	v_addc_co_u32_e32 v26, vcc, 0, v35, vcc
	v_and_b32_e32 v19, s31, v25
	v_lshlrev_b32_e32 v40, 2, v26
	v_or_b32_e32 v19, 0x80000000, v19
	ds_bpermute_b32 v26, v40, v22
	v_and_b32_e32 v21, s30, v24
	v_ffbl_b32_e32 v19, v19
	v_add_u32_e32 v19, 32, v19
	v_ffbl_b32_e32 v21, v21
	v_min_u32_e32 v19, v21, v19
	v_cmp_lt_u32_e32 vcc, v39, v19
	v_add_u32_e32 v42, 2, v39
	v_add_u32_e32 v44, 4, v39
	s_waitcnt lgkmcnt(0)
	v_cndmask_b32_e32 v21, 0, v26, vcc
	v_cmp_gt_u32_e32 vcc, 62, v39
	v_add_u32_e32 v21, v21, v22
	v_add_u32_e32 v46, 8, v39
	v_cndmask_b32_e64 v22, 0, 2, vcc
	v_add_lshl_u32 v41, v22, v35, 2
	ds_bpermute_b32 v22, v41, v21
	v_cmp_le_u32_e32 vcc, v42, v19
	v_add_u32_e32 v48, 16, v39
	v_add_u32_e32 v50, 32, v39
	s_waitcnt lgkmcnt(0)
	v_cndmask_b32_e32 v22, 0, v22, vcc
	v_cmp_gt_u32_e32 vcc, 60, v39
	v_add_u32_e32 v21, v21, v22
	s_nop 0
	v_cndmask_b32_e64 v22, 0, 4, vcc
	v_add_lshl_u32 v43, v22, v35, 2
	ds_bpermute_b32 v22, v43, v21
	v_cmp_le_u32_e32 vcc, v44, v19
	s_waitcnt lgkmcnt(0)
	s_nop 0
	v_cndmask_b32_e32 v22, 0, v22, vcc
	v_cmp_gt_u32_e32 vcc, 56, v39
	v_add_u32_e32 v21, v21, v22
	s_nop 0
	v_cndmask_b32_e64 v22, 0, 8, vcc
	v_add_lshl_u32 v45, v22, v35, 2
	ds_bpermute_b32 v22, v45, v21
	v_cmp_le_u32_e32 vcc, v46, v19
	s_waitcnt lgkmcnt(0)
	s_nop 0
	;; [unrolled: 10-line block ×3, first 2 shown]
	v_cndmask_b32_e32 v22, 0, v22, vcc
	v_add_u32_e32 v21, v21, v22
	v_mov_b32_e32 v22, 0x80
	v_lshl_or_b32 v49, v35, 2, v22
	ds_bpermute_b32 v22, v49, v21
	v_cmp_le_u32_e32 vcc, v50, v19
	s_waitcnt lgkmcnt(0)
	s_nop 0
	v_cndmask_b32_e32 v19, 0, v22, vcc
	v_add_u32_e32 v22, v21, v19
	v_mov_b32_e32 v21, 0
	s_branch .LBB1451_161
.LBB1451_159:                           ;   in Loop: Header=BB1451_161 Depth=1
	s_or_b64 exec, exec, s[30:31]
	v_cmp_eq_u16_sdwa s[30:31], v23, v38 src0_sel:BYTE_0 src1_sel:DWORD
	ds_bpermute_b32 v51, v40, v22
	v_subrev_u32_e32 v20, 64, v20
	v_and_b32_e32 v26, s31, v25
	v_or_b32_e32 v26, 0x80000000, v26
	v_and_b32_e32 v27, s30, v24
	v_ffbl_b32_e32 v26, v26
	v_add_u32_e32 v26, 32, v26
	v_ffbl_b32_e32 v27, v27
	v_min_u32_e32 v26, v27, v26
	v_cmp_lt_u32_e32 vcc, v39, v26
	s_mov_b64 s[30:31], 0
	s_waitcnt lgkmcnt(0)
	v_cndmask_b32_e32 v27, 0, v51, vcc
	v_add_u32_e32 v22, v27, v22
	ds_bpermute_b32 v27, v41, v22
	v_cmp_le_u32_e32 vcc, v42, v26
	s_waitcnt lgkmcnt(0)
	s_nop 0
	v_cndmask_b32_e32 v27, 0, v27, vcc
	v_add_u32_e32 v22, v22, v27
	ds_bpermute_b32 v27, v43, v22
	v_cmp_le_u32_e32 vcc, v44, v26
	s_waitcnt lgkmcnt(0)
	s_nop 0
	;; [unrolled: 6-line block ×5, first 2 shown]
	v_cndmask_b32_e32 v26, 0, v27, vcc
	v_add3_u32 v22, v26, v19, v22
.LBB1451_160:                           ;   in Loop: Header=BB1451_161 Depth=1
	s_and_b64 vcc, exec, s[30:31]
	s_cbranch_vccnz .LBB1451_167
.LBB1451_161:                           ; =>This Loop Header: Depth=1
                                        ;     Child Loop BB1451_164 Depth 2
	v_cmp_ne_u16_sdwa s[30:31], v23, v38 src0_sel:BYTE_0 src1_sel:DWORD
	v_mov_b32_e32 v19, v22
	s_cmp_lg_u64 s[30:31], exec
	s_mov_b64 s[30:31], -1
                                        ; implicit-def: $vgpr22
                                        ; implicit-def: $vgpr23
	s_cbranch_scc1 .LBB1451_160
; %bb.162:                              ;   in Loop: Header=BB1451_161 Depth=1
	v_lshl_add_u64 v[26:27], v[20:21], 3, s[22:23]
	global_load_dwordx2 v[22:23], v[26:27], off sc1
	s_waitcnt vmcnt(0)
	v_cmp_eq_u16_sdwa s[36:37], v23, v21 src0_sel:BYTE_0 src1_sel:DWORD
	s_and_saveexec_b64 s[30:31], s[36:37]
	s_cbranch_execz .LBB1451_159
; %bb.163:                              ;   in Loop: Header=BB1451_161 Depth=1
	s_mov_b64 s[36:37], 0
.LBB1451_164:                           ;   Parent Loop BB1451_161 Depth=1
                                        ; =>  This Inner Loop Header: Depth=2
	global_load_dwordx2 v[22:23], v[26:27], off sc1
	s_waitcnt vmcnt(0)
	v_cmp_ne_u16_sdwa s[38:39], v23, v21 src0_sel:BYTE_0 src1_sel:DWORD
	s_or_b64 s[36:37], s[38:39], s[36:37]
	s_andn2_b64 exec, exec, s[36:37]
	s_cbranch_execnz .LBB1451_164
; %bb.165:                              ;   in Loop: Header=BB1451_161 Depth=1
	s_or_b64 exec, exec, s[36:37]
	s_branch .LBB1451_159
.LBB1451_166:
                                        ; implicit-def: $vgpr22
                                        ; implicit-def: $vgpr24
                                        ; implicit-def: $vgpr26
                                        ; implicit-def: $vgpr28
                                        ; implicit-def: $vgpr30
                                        ; implicit-def: $vgpr20
                                        ; implicit-def: $vgpr18
	s_cbranch_execnz .LBB1451_172
	s_branch .LBB1451_181
.LBB1451_167:
	s_and_saveexec_b64 s[30:31], s[16:17]
	s_cbranch_execz .LBB1451_169
; %bb.168:
	s_add_i32 s2, s2, 64
	s_mov_b32 s3, 0
	s_lshl_b64 s[2:3], s[2:3], 3
	s_add_u32 s2, s22, s2
	v_add_u32_e32 v20, v19, v18
	v_mov_b32_e32 v21, 2
	s_addc_u32 s3, s23, s3
	v_mov_b32_e32 v22, 0
	global_store_dwordx2 v22, v[20:21], s[2:3] sc1
	ds_write_b64 v22, v[18:19] offset:5120
.LBB1451_169:
	s_or_b64 exec, exec, s[30:31]
	v_cmp_eq_u32_e32 vcc, 0, v0
	s_and_b64 exec, exec, vcc
; %bb.170:
	v_mov_b32_e32 v18, 0
	ds_write_b32 v18, v19 offset:4
.LBB1451_171:
	s_or_b64 exec, exec, s[20:21]
	v_mov_b32_e32 v18, 0
	s_waitcnt lgkmcnt(0)
	s_barrier
	ds_read_b32 v19, v18 offset:4
	v_cndmask_b32_e64 v20, v30, v28, s[16:17]
	v_cmp_ne_u32_e32 vcc, 0, v0
	s_waitcnt lgkmcnt(0)
	s_barrier
	v_cndmask_b32_e32 v20, 0, v20, vcc
	v_add_u32_e32 v30, v19, v20
	ds_read_b64 v[18:19], v18 offset:5120
	v_add_u32_e32 v28, v30, v15
	v_add_u32_e32 v26, v28, v17
	;; [unrolled: 1-line block ×4, first 2 shown]
	s_waitcnt lgkmcnt(0)
	v_mov_b32_e32 v20, v19
	s_branch .LBB1451_181
.LBB1451_172:
	v_mov_b32_dpp v18, v37 row_shr:1 row_mask:0xf bank_mask:0xf
	v_cndmask_b32_e64 v18, v18, 0, s[14:15]
	v_add_u32_e32 v18, v18, v37
	s_nop 1
	v_mov_b32_dpp v19, v18 row_shr:2 row_mask:0xf bank_mask:0xf
	v_cndmask_b32_e64 v19, 0, v19, s[12:13]
	v_add_u32_e32 v18, v18, v19
	s_nop 1
	;; [unrolled: 4-line block ×4, first 2 shown]
	v_mov_b32_dpp v19, v18 row_bcast:15 row_mask:0xf bank_mask:0xf
	v_cndmask_b32_e64 v19, v19, 0, s[6:7]
	v_add_u32_e32 v18, v18, v19
	s_nop 1
	v_mov_b32_dpp v19, v18 row_bcast:31 row_mask:0xf bank_mask:0xf
	v_cndmask_b32_e64 v19, 0, v19, s[18:19]
	v_add_u32_e32 v18, v18, v19
	s_and_saveexec_b64 s[2:3], s[4:5]
; %bb.173:
	v_lshlrev_b32_e32 v19, 2, v36
	ds_write_b32 v19, v18
; %bb.174:
	s_or_b64 exec, exec, s[2:3]
	v_cmp_gt_u32_e32 vcc, 2, v0
	s_waitcnt lgkmcnt(0)
	s_barrier
	s_and_saveexec_b64 s[2:3], vcc
	s_cbranch_execz .LBB1451_176
; %bb.175:
	v_lshlrev_b32_e32 v19, 2, v0
	ds_read_b32 v20, v19
	v_bfe_i32 v21, v35, 0, 1
	s_waitcnt lgkmcnt(0)
	v_mov_b32_dpp v22, v20 row_shr:1 row_mask:0xf bank_mask:0xf
	v_and_b32_e32 v21, v21, v22
	v_add_u32_e32 v20, v21, v20
	ds_write_b32 v19, v20
.LBB1451_176:
	s_or_b64 exec, exec, s[2:3]
	v_cmp_lt_u32_e32 vcc, 63, v0
	v_mov_b32_e32 v19, 0
	v_mov_b32_e32 v20, 0
	s_waitcnt lgkmcnt(0)
	s_barrier
	s_and_saveexec_b64 s[2:3], vcc
; %bb.177:
	v_lshl_add_u32 v20, v36, 2, -4
	ds_read_b32 v20, v20
; %bb.178:
	s_or_b64 exec, exec, s[2:3]
	v_subrev_co_u32_e32 v21, vcc, 1, v35
	v_and_b32_e32 v22, 64, v35
	v_cmp_lt_i32_e64 s[2:3], v21, v22
	s_waitcnt lgkmcnt(0)
	v_add_u32_e32 v18, v20, v18
	v_cndmask_b32_e64 v21, v21, v35, s[2:3]
	v_lshlrev_b32_e32 v21, 2, v21
	ds_bpermute_b32 v21, v21, v18
	ds_read_b32 v18, v19 offset:4
	v_cmp_eq_u32_e64 s[2:3], 0, v0
	s_and_saveexec_b64 s[4:5], s[2:3]
	s_cbranch_execz .LBB1451_180
; %bb.179:
	v_mov_b32_e32 v22, 0
	v_mov_b32_e32 v19, 2
	s_waitcnt lgkmcnt(0)
	global_store_dwordx2 v22, v[18:19], s[22:23] offset:512 sc1
.LBB1451_180:
	s_or_b64 exec, exec, s[4:5]
	s_waitcnt lgkmcnt(1)
	v_cndmask_b32_e32 v19, v21, v20, vcc
	v_cndmask_b32_e64 v30, v19, 0, s[2:3]
	v_add_u32_e32 v28, v30, v15
	v_add_u32_e32 v26, v28, v17
	;; [unrolled: 1-line block ×4, first 2 shown]
	s_waitcnt lgkmcnt(0)
	s_barrier
	v_mov_b32_e32 v20, 0
.LBB1451_181:
	s_load_dwordx4 s[8:11], s[0:1], 0x28
	s_movk_i32 s0, 0x81
	v_cmp_gt_u32_e64 s[0:1], s0, v18
	v_add_u32_e32 v17, v20, v18
	v_and_b32_e32 v15, 1, v16
	s_mov_b64 s[6:7], -1
	s_and_b64 vcc, exec, s[0:1]
	v_cmp_lt_u32_e64 s[2:3], v30, v17
	v_cmp_eq_u32_e64 s[4:5], 1, v15
	s_cbranch_vccz .LBB1451_193
; %bb.182:
	s_or_b64 s[2:3], s[34:35], s[2:3]
	s_and_b64 s[4:5], s[2:3], s[4:5]
	s_and_saveexec_b64 s[2:3], s[4:5]
	s_cbranch_execz .LBB1451_184
; %bb.183:
	s_lshl_b64 s[4:5], s[26:27], 3
	s_waitcnt lgkmcnt(0)
	s_add_u32 s4, s8, s4
	s_addc_u32 s5, s9, s5
	v_mov_b32_e32 v31, 0
	v_lshl_add_u64 v[36:37], v[30:31], 3, s[4:5]
	global_store_dwordx2 v[36:37], v[6:7], off
.LBB1451_184:
	s_or_b64 exec, exec, s[2:3]
	v_cmp_lt_u32_e32 vcc, v28, v17
	v_and_b32_e32 v16, 1, v34
	s_or_b64 s[2:3], s[34:35], vcc
	v_cmp_eq_u32_e32 vcc, 1, v16
	s_and_b64 s[4:5], s[2:3], vcc
	s_and_saveexec_b64 s[2:3], s[4:5]
	s_cbranch_execz .LBB1451_186
; %bb.185:
	s_lshl_b64 s[4:5], s[26:27], 3
	s_waitcnt lgkmcnt(0)
	s_add_u32 s4, s8, s4
	s_addc_u32 s5, s9, s5
	v_mov_b32_e32 v29, 0
	v_lshl_add_u64 v[36:37], v[28:29], 3, s[4:5]
	global_store_dwordx2 v[36:37], v[8:9], off
.LBB1451_186:
	s_or_b64 exec, exec, s[2:3]
	v_cmp_lt_u32_e32 vcc, v26, v17
	v_and_b32_e32 v16, 1, v33
	s_or_b64 s[2:3], s[34:35], vcc
	v_cmp_eq_u32_e32 vcc, 1, v16
	s_and_b64 s[4:5], s[2:3], vcc
	;; [unrolled: 17-line block ×4, first 2 shown]
	s_and_saveexec_b64 s[2:3], s[4:5]
	s_cbranch_execz .LBB1451_192
; %bb.191:
	s_lshl_b64 s[4:5], s[26:27], 3
	s_waitcnt lgkmcnt(0)
	s_add_u32 s4, s8, s4
	s_addc_u32 s5, s9, s5
	v_mov_b32_e32 v23, 0
	v_lshl_add_u64 v[36:37], v[22:23], 3, s[4:5]
	global_store_dwordx2 v[36:37], v[12:13], off
.LBB1451_192:
	s_or_b64 exec, exec, s[2:3]
	s_mov_b64 s[6:7], 0
.LBB1451_193:
	s_and_b64 vcc, exec, s[6:7]
	s_cbranch_vccz .LBB1451_207
; %bb.194:
	v_cmp_eq_u32_e32 vcc, 1, v15
	s_and_saveexec_b64 s[2:3], vcc
; %bb.195:
	v_sub_u32_e32 v16, v30, v20
	v_lshlrev_b32_e32 v16, 3, v16
	ds_write_b64 v16, v[6:7]
; %bb.196:
	s_or_b64 exec, exec, s[2:3]
	v_and_b32_e32 v6, 1, v34
	v_cmp_eq_u32_e32 vcc, 1, v6
	s_and_saveexec_b64 s[2:3], vcc
; %bb.197:
	v_sub_u32_e32 v6, v28, v20
	v_lshlrev_b32_e32 v6, 3, v6
	ds_write_b64 v6, v[8:9]
; %bb.198:
	s_or_b64 exec, exec, s[2:3]
	v_and_b32_e32 v6, 1, v33
	;; [unrolled: 9-line block ×4, first 2 shown]
	v_cmp_eq_u32_e32 vcc, 1, v2
	s_and_saveexec_b64 s[2:3], vcc
; %bb.203:
	v_sub_u32_e32 v2, v22, v20
	v_lshlrev_b32_e32 v2, 3, v2
	ds_write_b64 v2, v[12:13]
; %bb.204:
	s_or_b64 exec, exec, s[2:3]
	v_mov_b32_e32 v3, 0
	v_mov_b32_e32 v21, v3
	v_lshlrev_b64 v[4:5], 3, v[20:21]
	s_waitcnt lgkmcnt(0)
	v_lshl_add_u64 v[4:5], s[8:9], 0, v[4:5]
	s_lshl_b64 s[2:3], s[26:27], 3
	v_lshl_add_u64 v[4:5], v[4:5], 0, s[2:3]
	v_lshlrev_b32_e32 v6, 3, v0
	s_mov_b64 s[2:3], 0
	v_mov_b32_e32 v2, v0
	s_barrier
.LBB1451_205:                           ; =>This Inner Loop Header: Depth=1
	ds_read_b64 v[8:9], v6
	v_lshl_add_u64 v[12:13], v[2:3], 3, v[4:5]
	v_add_u32_e32 v2, 0x80, v2
	v_cmp_ge_u32_e32 vcc, v2, v18
	v_add_u32_e32 v6, 0x400, v6
	s_or_b64 s[2:3], vcc, s[2:3]
	s_waitcnt lgkmcnt(0)
	global_store_dwordx2 v[12:13], v[8:9], off
	s_andn2_b64 exec, exec, s[2:3]
	s_cbranch_execnz .LBB1451_205
; %bb.206:
	s_or_b64 exec, exec, s[2:3]
.LBB1451_207:
	s_mov_b64 s[2:3], -1
	s_and_b64 vcc, exec, s[0:1]
	s_waitcnt lgkmcnt(0)
	s_barrier
	s_cbranch_vccnz .LBB1451_211
; %bb.208:
	s_and_b64 vcc, exec, s[2:3]
	s_cbranch_vccnz .LBB1451_222
.LBB1451_209:
	v_cmp_eq_u32_e32 vcc, 0, v0
	s_and_b64 s[0:1], vcc, s[28:29]
	s_and_saveexec_b64 s[2:3], s[0:1]
	s_cbranch_execnz .LBB1451_235
.LBB1451_210:
	s_endpgm
.LBB1451_211:
	v_cmp_lt_u32_e32 vcc, v30, v17
	s_or_b64 s[0:1], s[34:35], vcc
	v_cmp_eq_u32_e32 vcc, 1, v15
	s_and_b64 s[2:3], s[0:1], vcc
	s_and_saveexec_b64 s[0:1], s[2:3]
	s_cbranch_execz .LBB1451_213
; %bb.212:
	s_lshl_b64 s[2:3], s[26:27], 3
	s_add_u32 s2, s10, s2
	s_addc_u32 s3, s11, s3
	v_mov_b32_e32 v31, 0
	v_lshl_add_u64 v[2:3], v[30:31], 3, s[2:3]
	global_store_dwordx2 v[2:3], v[56:57], off
.LBB1451_213:
	s_or_b64 exec, exec, s[0:1]
	v_cmp_lt_u32_e32 vcc, v28, v17
	v_and_b32_e32 v2, 1, v34
	s_or_b64 s[0:1], s[34:35], vcc
	v_cmp_eq_u32_e32 vcc, 1, v2
	s_and_b64 s[2:3], s[0:1], vcc
	s_and_saveexec_b64 s[0:1], s[2:3]
	s_cbranch_execz .LBB1451_215
; %bb.214:
	s_lshl_b64 s[2:3], s[26:27], 3
	s_add_u32 s2, s10, s2
	s_addc_u32 s3, s11, s3
	v_mov_b32_e32 v29, 0
	v_lshl_add_u64 v[2:3], v[28:29], 3, s[2:3]
	global_store_dwordx2 v[2:3], v[58:59], off
.LBB1451_215:
	s_or_b64 exec, exec, s[0:1]
	v_cmp_lt_u32_e32 vcc, v26, v17
	v_and_b32_e32 v2, 1, v33
	;; [unrolled: 16-line block ×4, first 2 shown]
	s_or_b64 s[0:1], s[34:35], vcc
	v_cmp_eq_u32_e32 vcc, 1, v2
	s_and_b64 s[2:3], s[0:1], vcc
	s_and_saveexec_b64 s[0:1], s[2:3]
	s_cbranch_execz .LBB1451_221
; %bb.220:
	s_lshl_b64 s[2:3], s[26:27], 3
	s_add_u32 s2, s10, s2
	s_addc_u32 s3, s11, s3
	v_mov_b32_e32 v23, 0
	v_lshl_add_u64 v[2:3], v[22:23], 3, s[2:3]
	global_store_dwordx2 v[2:3], v[10:11], off
.LBB1451_221:
	s_or_b64 exec, exec, s[0:1]
	s_branch .LBB1451_209
.LBB1451_222:
	v_cmp_eq_u32_e32 vcc, 1, v15
	s_and_saveexec_b64 s[0:1], vcc
; %bb.223:
	v_sub_u32_e32 v2, v30, v20
	v_lshlrev_b32_e32 v2, 3, v2
	ds_write_b64 v2, v[56:57]
; %bb.224:
	s_or_b64 exec, exec, s[0:1]
	v_and_b32_e32 v2, 1, v34
	v_cmp_eq_u32_e32 vcc, 1, v2
	s_and_saveexec_b64 s[0:1], vcc
; %bb.225:
	v_sub_u32_e32 v2, v28, v20
	v_lshlrev_b32_e32 v2, 3, v2
	ds_write_b64 v2, v[58:59]
; %bb.226:
	s_or_b64 exec, exec, s[0:1]
	v_and_b32_e32 v2, 1, v33
	;; [unrolled: 9-line block ×4, first 2 shown]
	v_cmp_eq_u32_e32 vcc, 1, v2
	s_and_saveexec_b64 s[0:1], vcc
; %bb.231:
	v_sub_u32_e32 v2, v22, v20
	v_lshlrev_b32_e32 v2, 3, v2
	ds_write_b64 v2, v[10:11]
; %bb.232:
	s_or_b64 exec, exec, s[0:1]
	v_mov_b32_e32 v3, 0
	v_mov_b32_e32 v21, v3
	v_lshlrev_b64 v[4:5], 3, v[20:21]
	v_lshl_add_u64 v[4:5], s[10:11], 0, v[4:5]
	s_lshl_b64 s[0:1], s[26:27], 3
	v_lshl_add_u64 v[4:5], v[4:5], 0, s[0:1]
	s_mov_b64 s[0:1], 0
	v_mov_b32_e32 v2, v0
	s_waitcnt lgkmcnt(0)
	s_barrier
.LBB1451_233:                           ; =>This Inner Loop Header: Depth=1
	ds_read_b64 v[6:7], v1
	v_lshl_add_u64 v[8:9], v[2:3], 3, v[4:5]
	v_add_u32_e32 v2, 0x80, v2
	v_cmp_ge_u32_e32 vcc, v2, v18
	v_add_u32_e32 v1, 0x400, v1
	s_or_b64 s[0:1], vcc, s[0:1]
	s_waitcnt lgkmcnt(0)
	global_store_dwordx2 v[8:9], v[6:7], off
	s_andn2_b64 exec, exec, s[0:1]
	s_cbranch_execnz .LBB1451_233
; %bb.234:
	s_or_b64 exec, exec, s[0:1]
	v_cmp_eq_u32_e32 vcc, 0, v0
	s_and_b64 s[0:1], vcc, s[28:29]
	s_and_saveexec_b64 s[2:3], s[0:1]
	s_cbranch_execz .LBB1451_210
.LBB1451_235:
	v_mov_b32_e32 v19, 0
	v_lshl_add_u64 v[0:1], s[26:27], 0, v[18:19]
	v_mov_b32_e32 v21, v19
	v_lshl_add_u64 v[0:1], v[0:1], 0, v[20:21]
	global_store_dwordx2 v19, v[0:1], s[24:25]
	s_endpgm
	.section	.rodata,"a",@progbits
	.p2align	6, 0x0
	.amdhsa_kernel _ZN7rocprim17ROCPRIM_400000_NS6detail17trampoline_kernelINS0_14default_configENS1_25partition_config_selectorILNS1_17partition_subalgoE9EllbEEZZNS1_14partition_implILS5_9ELb0ES3_jPlS8_PNS0_10empty_typeENS0_5tupleIJS8_S9_EEENSB_IJS8_SA_EEENS0_18inequality_wrapperIZN2at6native12_GLOBAL__N_124unique_dim_cuda_templateItEESt5tupleIJNSF_6TensorESK_SK_EERKSK_lbbbEUlllE0_EEPmJS9_EEE10hipError_tPvRmT3_T4_T5_T6_T7_T9_mT8_P12ihipStream_tbDpT10_ENKUlT_T0_E_clISt17integral_constantIbLb0EES1A_EEDaS15_S16_EUlS15_E_NS1_11comp_targetILNS1_3genE0ELNS1_11target_archE4294967295ELNS1_3gpuE0ELNS1_3repE0EEENS1_30default_config_static_selectorELNS0_4arch9wavefront6targetE1EEEvT1_
		.amdhsa_group_segment_fixed_size 5128
		.amdhsa_private_segment_fixed_size 0
		.amdhsa_kernarg_size 120
		.amdhsa_user_sgpr_count 2
		.amdhsa_user_sgpr_dispatch_ptr 0
		.amdhsa_user_sgpr_queue_ptr 0
		.amdhsa_user_sgpr_kernarg_segment_ptr 1
		.amdhsa_user_sgpr_dispatch_id 0
		.amdhsa_user_sgpr_kernarg_preload_length 0
		.amdhsa_user_sgpr_kernarg_preload_offset 0
		.amdhsa_user_sgpr_private_segment_size 0
		.amdhsa_uses_dynamic_stack 0
		.amdhsa_enable_private_segment 0
		.amdhsa_system_sgpr_workgroup_id_x 1
		.amdhsa_system_sgpr_workgroup_id_y 0
		.amdhsa_system_sgpr_workgroup_id_z 0
		.amdhsa_system_sgpr_workgroup_info 0
		.amdhsa_system_vgpr_workitem_id 0
		.amdhsa_next_free_vgpr 60
		.amdhsa_next_free_sgpr 46
		.amdhsa_accum_offset 60
		.amdhsa_reserve_vcc 1
		.amdhsa_float_round_mode_32 0
		.amdhsa_float_round_mode_16_64 0
		.amdhsa_float_denorm_mode_32 3
		.amdhsa_float_denorm_mode_16_64 3
		.amdhsa_dx10_clamp 1
		.amdhsa_ieee_mode 1
		.amdhsa_fp16_overflow 0
		.amdhsa_tg_split 0
		.amdhsa_exception_fp_ieee_invalid_op 0
		.amdhsa_exception_fp_denorm_src 0
		.amdhsa_exception_fp_ieee_div_zero 0
		.amdhsa_exception_fp_ieee_overflow 0
		.amdhsa_exception_fp_ieee_underflow 0
		.amdhsa_exception_fp_ieee_inexact 0
		.amdhsa_exception_int_div_zero 0
	.end_amdhsa_kernel
	.section	.text._ZN7rocprim17ROCPRIM_400000_NS6detail17trampoline_kernelINS0_14default_configENS1_25partition_config_selectorILNS1_17partition_subalgoE9EllbEEZZNS1_14partition_implILS5_9ELb0ES3_jPlS8_PNS0_10empty_typeENS0_5tupleIJS8_S9_EEENSB_IJS8_SA_EEENS0_18inequality_wrapperIZN2at6native12_GLOBAL__N_124unique_dim_cuda_templateItEESt5tupleIJNSF_6TensorESK_SK_EERKSK_lbbbEUlllE0_EEPmJS9_EEE10hipError_tPvRmT3_T4_T5_T6_T7_T9_mT8_P12ihipStream_tbDpT10_ENKUlT_T0_E_clISt17integral_constantIbLb0EES1A_EEDaS15_S16_EUlS15_E_NS1_11comp_targetILNS1_3genE0ELNS1_11target_archE4294967295ELNS1_3gpuE0ELNS1_3repE0EEENS1_30default_config_static_selectorELNS0_4arch9wavefront6targetE1EEEvT1_,"axG",@progbits,_ZN7rocprim17ROCPRIM_400000_NS6detail17trampoline_kernelINS0_14default_configENS1_25partition_config_selectorILNS1_17partition_subalgoE9EllbEEZZNS1_14partition_implILS5_9ELb0ES3_jPlS8_PNS0_10empty_typeENS0_5tupleIJS8_S9_EEENSB_IJS8_SA_EEENS0_18inequality_wrapperIZN2at6native12_GLOBAL__N_124unique_dim_cuda_templateItEESt5tupleIJNSF_6TensorESK_SK_EERKSK_lbbbEUlllE0_EEPmJS9_EEE10hipError_tPvRmT3_T4_T5_T6_T7_T9_mT8_P12ihipStream_tbDpT10_ENKUlT_T0_E_clISt17integral_constantIbLb0EES1A_EEDaS15_S16_EUlS15_E_NS1_11comp_targetILNS1_3genE0ELNS1_11target_archE4294967295ELNS1_3gpuE0ELNS1_3repE0EEENS1_30default_config_static_selectorELNS0_4arch9wavefront6targetE1EEEvT1_,comdat
.Lfunc_end1451:
	.size	_ZN7rocprim17ROCPRIM_400000_NS6detail17trampoline_kernelINS0_14default_configENS1_25partition_config_selectorILNS1_17partition_subalgoE9EllbEEZZNS1_14partition_implILS5_9ELb0ES3_jPlS8_PNS0_10empty_typeENS0_5tupleIJS8_S9_EEENSB_IJS8_SA_EEENS0_18inequality_wrapperIZN2at6native12_GLOBAL__N_124unique_dim_cuda_templateItEESt5tupleIJNSF_6TensorESK_SK_EERKSK_lbbbEUlllE0_EEPmJS9_EEE10hipError_tPvRmT3_T4_T5_T6_T7_T9_mT8_P12ihipStream_tbDpT10_ENKUlT_T0_E_clISt17integral_constantIbLb0EES1A_EEDaS15_S16_EUlS15_E_NS1_11comp_targetILNS1_3genE0ELNS1_11target_archE4294967295ELNS1_3gpuE0ELNS1_3repE0EEENS1_30default_config_static_selectorELNS0_4arch9wavefront6targetE1EEEvT1_, .Lfunc_end1451-_ZN7rocprim17ROCPRIM_400000_NS6detail17trampoline_kernelINS0_14default_configENS1_25partition_config_selectorILNS1_17partition_subalgoE9EllbEEZZNS1_14partition_implILS5_9ELb0ES3_jPlS8_PNS0_10empty_typeENS0_5tupleIJS8_S9_EEENSB_IJS8_SA_EEENS0_18inequality_wrapperIZN2at6native12_GLOBAL__N_124unique_dim_cuda_templateItEESt5tupleIJNSF_6TensorESK_SK_EERKSK_lbbbEUlllE0_EEPmJS9_EEE10hipError_tPvRmT3_T4_T5_T6_T7_T9_mT8_P12ihipStream_tbDpT10_ENKUlT_T0_E_clISt17integral_constantIbLb0EES1A_EEDaS15_S16_EUlS15_E_NS1_11comp_targetILNS1_3genE0ELNS1_11target_archE4294967295ELNS1_3gpuE0ELNS1_3repE0EEENS1_30default_config_static_selectorELNS0_4arch9wavefront6targetE1EEEvT1_
                                        ; -- End function
	.set _ZN7rocprim17ROCPRIM_400000_NS6detail17trampoline_kernelINS0_14default_configENS1_25partition_config_selectorILNS1_17partition_subalgoE9EllbEEZZNS1_14partition_implILS5_9ELb0ES3_jPlS8_PNS0_10empty_typeENS0_5tupleIJS8_S9_EEENSB_IJS8_SA_EEENS0_18inequality_wrapperIZN2at6native12_GLOBAL__N_124unique_dim_cuda_templateItEESt5tupleIJNSF_6TensorESK_SK_EERKSK_lbbbEUlllE0_EEPmJS9_EEE10hipError_tPvRmT3_T4_T5_T6_T7_T9_mT8_P12ihipStream_tbDpT10_ENKUlT_T0_E_clISt17integral_constantIbLb0EES1A_EEDaS15_S16_EUlS15_E_NS1_11comp_targetILNS1_3genE0ELNS1_11target_archE4294967295ELNS1_3gpuE0ELNS1_3repE0EEENS1_30default_config_static_selectorELNS0_4arch9wavefront6targetE1EEEvT1_.num_vgpr, 60
	.set _ZN7rocprim17ROCPRIM_400000_NS6detail17trampoline_kernelINS0_14default_configENS1_25partition_config_selectorILNS1_17partition_subalgoE9EllbEEZZNS1_14partition_implILS5_9ELb0ES3_jPlS8_PNS0_10empty_typeENS0_5tupleIJS8_S9_EEENSB_IJS8_SA_EEENS0_18inequality_wrapperIZN2at6native12_GLOBAL__N_124unique_dim_cuda_templateItEESt5tupleIJNSF_6TensorESK_SK_EERKSK_lbbbEUlllE0_EEPmJS9_EEE10hipError_tPvRmT3_T4_T5_T6_T7_T9_mT8_P12ihipStream_tbDpT10_ENKUlT_T0_E_clISt17integral_constantIbLb0EES1A_EEDaS15_S16_EUlS15_E_NS1_11comp_targetILNS1_3genE0ELNS1_11target_archE4294967295ELNS1_3gpuE0ELNS1_3repE0EEENS1_30default_config_static_selectorELNS0_4arch9wavefront6targetE1EEEvT1_.num_agpr, 0
	.set _ZN7rocprim17ROCPRIM_400000_NS6detail17trampoline_kernelINS0_14default_configENS1_25partition_config_selectorILNS1_17partition_subalgoE9EllbEEZZNS1_14partition_implILS5_9ELb0ES3_jPlS8_PNS0_10empty_typeENS0_5tupleIJS8_S9_EEENSB_IJS8_SA_EEENS0_18inequality_wrapperIZN2at6native12_GLOBAL__N_124unique_dim_cuda_templateItEESt5tupleIJNSF_6TensorESK_SK_EERKSK_lbbbEUlllE0_EEPmJS9_EEE10hipError_tPvRmT3_T4_T5_T6_T7_T9_mT8_P12ihipStream_tbDpT10_ENKUlT_T0_E_clISt17integral_constantIbLb0EES1A_EEDaS15_S16_EUlS15_E_NS1_11comp_targetILNS1_3genE0ELNS1_11target_archE4294967295ELNS1_3gpuE0ELNS1_3repE0EEENS1_30default_config_static_selectorELNS0_4arch9wavefront6targetE1EEEvT1_.numbered_sgpr, 46
	.set _ZN7rocprim17ROCPRIM_400000_NS6detail17trampoline_kernelINS0_14default_configENS1_25partition_config_selectorILNS1_17partition_subalgoE9EllbEEZZNS1_14partition_implILS5_9ELb0ES3_jPlS8_PNS0_10empty_typeENS0_5tupleIJS8_S9_EEENSB_IJS8_SA_EEENS0_18inequality_wrapperIZN2at6native12_GLOBAL__N_124unique_dim_cuda_templateItEESt5tupleIJNSF_6TensorESK_SK_EERKSK_lbbbEUlllE0_EEPmJS9_EEE10hipError_tPvRmT3_T4_T5_T6_T7_T9_mT8_P12ihipStream_tbDpT10_ENKUlT_T0_E_clISt17integral_constantIbLb0EES1A_EEDaS15_S16_EUlS15_E_NS1_11comp_targetILNS1_3genE0ELNS1_11target_archE4294967295ELNS1_3gpuE0ELNS1_3repE0EEENS1_30default_config_static_selectorELNS0_4arch9wavefront6targetE1EEEvT1_.num_named_barrier, 0
	.set _ZN7rocprim17ROCPRIM_400000_NS6detail17trampoline_kernelINS0_14default_configENS1_25partition_config_selectorILNS1_17partition_subalgoE9EllbEEZZNS1_14partition_implILS5_9ELb0ES3_jPlS8_PNS0_10empty_typeENS0_5tupleIJS8_S9_EEENSB_IJS8_SA_EEENS0_18inequality_wrapperIZN2at6native12_GLOBAL__N_124unique_dim_cuda_templateItEESt5tupleIJNSF_6TensorESK_SK_EERKSK_lbbbEUlllE0_EEPmJS9_EEE10hipError_tPvRmT3_T4_T5_T6_T7_T9_mT8_P12ihipStream_tbDpT10_ENKUlT_T0_E_clISt17integral_constantIbLb0EES1A_EEDaS15_S16_EUlS15_E_NS1_11comp_targetILNS1_3genE0ELNS1_11target_archE4294967295ELNS1_3gpuE0ELNS1_3repE0EEENS1_30default_config_static_selectorELNS0_4arch9wavefront6targetE1EEEvT1_.private_seg_size, 0
	.set _ZN7rocprim17ROCPRIM_400000_NS6detail17trampoline_kernelINS0_14default_configENS1_25partition_config_selectorILNS1_17partition_subalgoE9EllbEEZZNS1_14partition_implILS5_9ELb0ES3_jPlS8_PNS0_10empty_typeENS0_5tupleIJS8_S9_EEENSB_IJS8_SA_EEENS0_18inequality_wrapperIZN2at6native12_GLOBAL__N_124unique_dim_cuda_templateItEESt5tupleIJNSF_6TensorESK_SK_EERKSK_lbbbEUlllE0_EEPmJS9_EEE10hipError_tPvRmT3_T4_T5_T6_T7_T9_mT8_P12ihipStream_tbDpT10_ENKUlT_T0_E_clISt17integral_constantIbLb0EES1A_EEDaS15_S16_EUlS15_E_NS1_11comp_targetILNS1_3genE0ELNS1_11target_archE4294967295ELNS1_3gpuE0ELNS1_3repE0EEENS1_30default_config_static_selectorELNS0_4arch9wavefront6targetE1EEEvT1_.uses_vcc, 1
	.set _ZN7rocprim17ROCPRIM_400000_NS6detail17trampoline_kernelINS0_14default_configENS1_25partition_config_selectorILNS1_17partition_subalgoE9EllbEEZZNS1_14partition_implILS5_9ELb0ES3_jPlS8_PNS0_10empty_typeENS0_5tupleIJS8_S9_EEENSB_IJS8_SA_EEENS0_18inequality_wrapperIZN2at6native12_GLOBAL__N_124unique_dim_cuda_templateItEESt5tupleIJNSF_6TensorESK_SK_EERKSK_lbbbEUlllE0_EEPmJS9_EEE10hipError_tPvRmT3_T4_T5_T6_T7_T9_mT8_P12ihipStream_tbDpT10_ENKUlT_T0_E_clISt17integral_constantIbLb0EES1A_EEDaS15_S16_EUlS15_E_NS1_11comp_targetILNS1_3genE0ELNS1_11target_archE4294967295ELNS1_3gpuE0ELNS1_3repE0EEENS1_30default_config_static_selectorELNS0_4arch9wavefront6targetE1EEEvT1_.uses_flat_scratch, 0
	.set _ZN7rocprim17ROCPRIM_400000_NS6detail17trampoline_kernelINS0_14default_configENS1_25partition_config_selectorILNS1_17partition_subalgoE9EllbEEZZNS1_14partition_implILS5_9ELb0ES3_jPlS8_PNS0_10empty_typeENS0_5tupleIJS8_S9_EEENSB_IJS8_SA_EEENS0_18inequality_wrapperIZN2at6native12_GLOBAL__N_124unique_dim_cuda_templateItEESt5tupleIJNSF_6TensorESK_SK_EERKSK_lbbbEUlllE0_EEPmJS9_EEE10hipError_tPvRmT3_T4_T5_T6_T7_T9_mT8_P12ihipStream_tbDpT10_ENKUlT_T0_E_clISt17integral_constantIbLb0EES1A_EEDaS15_S16_EUlS15_E_NS1_11comp_targetILNS1_3genE0ELNS1_11target_archE4294967295ELNS1_3gpuE0ELNS1_3repE0EEENS1_30default_config_static_selectorELNS0_4arch9wavefront6targetE1EEEvT1_.has_dyn_sized_stack, 0
	.set _ZN7rocprim17ROCPRIM_400000_NS6detail17trampoline_kernelINS0_14default_configENS1_25partition_config_selectorILNS1_17partition_subalgoE9EllbEEZZNS1_14partition_implILS5_9ELb0ES3_jPlS8_PNS0_10empty_typeENS0_5tupleIJS8_S9_EEENSB_IJS8_SA_EEENS0_18inequality_wrapperIZN2at6native12_GLOBAL__N_124unique_dim_cuda_templateItEESt5tupleIJNSF_6TensorESK_SK_EERKSK_lbbbEUlllE0_EEPmJS9_EEE10hipError_tPvRmT3_T4_T5_T6_T7_T9_mT8_P12ihipStream_tbDpT10_ENKUlT_T0_E_clISt17integral_constantIbLb0EES1A_EEDaS15_S16_EUlS15_E_NS1_11comp_targetILNS1_3genE0ELNS1_11target_archE4294967295ELNS1_3gpuE0ELNS1_3repE0EEENS1_30default_config_static_selectorELNS0_4arch9wavefront6targetE1EEEvT1_.has_recursion, 0
	.set _ZN7rocprim17ROCPRIM_400000_NS6detail17trampoline_kernelINS0_14default_configENS1_25partition_config_selectorILNS1_17partition_subalgoE9EllbEEZZNS1_14partition_implILS5_9ELb0ES3_jPlS8_PNS0_10empty_typeENS0_5tupleIJS8_S9_EEENSB_IJS8_SA_EEENS0_18inequality_wrapperIZN2at6native12_GLOBAL__N_124unique_dim_cuda_templateItEESt5tupleIJNSF_6TensorESK_SK_EERKSK_lbbbEUlllE0_EEPmJS9_EEE10hipError_tPvRmT3_T4_T5_T6_T7_T9_mT8_P12ihipStream_tbDpT10_ENKUlT_T0_E_clISt17integral_constantIbLb0EES1A_EEDaS15_S16_EUlS15_E_NS1_11comp_targetILNS1_3genE0ELNS1_11target_archE4294967295ELNS1_3gpuE0ELNS1_3repE0EEENS1_30default_config_static_selectorELNS0_4arch9wavefront6targetE1EEEvT1_.has_indirect_call, 0
	.section	.AMDGPU.csdata,"",@progbits
; Kernel info:
; codeLenInByte = 9496
; TotalNumSgprs: 52
; NumVgprs: 60
; NumAgprs: 0
; TotalNumVgprs: 60
; ScratchSize: 0
; MemoryBound: 0
; FloatMode: 240
; IeeeMode: 1
; LDSByteSize: 5128 bytes/workgroup (compile time only)
; SGPRBlocks: 6
; VGPRBlocks: 7
; NumSGPRsForWavesPerEU: 52
; NumVGPRsForWavesPerEU: 60
; AccumOffset: 60
; Occupancy: 8
; WaveLimiterHint : 1
; COMPUTE_PGM_RSRC2:SCRATCH_EN: 0
; COMPUTE_PGM_RSRC2:USER_SGPR: 2
; COMPUTE_PGM_RSRC2:TRAP_HANDLER: 0
; COMPUTE_PGM_RSRC2:TGID_X_EN: 1
; COMPUTE_PGM_RSRC2:TGID_Y_EN: 0
; COMPUTE_PGM_RSRC2:TGID_Z_EN: 0
; COMPUTE_PGM_RSRC2:TIDIG_COMP_CNT: 0
; COMPUTE_PGM_RSRC3_GFX90A:ACCUM_OFFSET: 14
; COMPUTE_PGM_RSRC3_GFX90A:TG_SPLIT: 0
	.section	.text._ZN7rocprim17ROCPRIM_400000_NS6detail17trampoline_kernelINS0_14default_configENS1_25partition_config_selectorILNS1_17partition_subalgoE9EllbEEZZNS1_14partition_implILS5_9ELb0ES3_jPlS8_PNS0_10empty_typeENS0_5tupleIJS8_S9_EEENSB_IJS8_SA_EEENS0_18inequality_wrapperIZN2at6native12_GLOBAL__N_124unique_dim_cuda_templateItEESt5tupleIJNSF_6TensorESK_SK_EERKSK_lbbbEUlllE0_EEPmJS9_EEE10hipError_tPvRmT3_T4_T5_T6_T7_T9_mT8_P12ihipStream_tbDpT10_ENKUlT_T0_E_clISt17integral_constantIbLb0EES1A_EEDaS15_S16_EUlS15_E_NS1_11comp_targetILNS1_3genE5ELNS1_11target_archE942ELNS1_3gpuE9ELNS1_3repE0EEENS1_30default_config_static_selectorELNS0_4arch9wavefront6targetE1EEEvT1_,"axG",@progbits,_ZN7rocprim17ROCPRIM_400000_NS6detail17trampoline_kernelINS0_14default_configENS1_25partition_config_selectorILNS1_17partition_subalgoE9EllbEEZZNS1_14partition_implILS5_9ELb0ES3_jPlS8_PNS0_10empty_typeENS0_5tupleIJS8_S9_EEENSB_IJS8_SA_EEENS0_18inequality_wrapperIZN2at6native12_GLOBAL__N_124unique_dim_cuda_templateItEESt5tupleIJNSF_6TensorESK_SK_EERKSK_lbbbEUlllE0_EEPmJS9_EEE10hipError_tPvRmT3_T4_T5_T6_T7_T9_mT8_P12ihipStream_tbDpT10_ENKUlT_T0_E_clISt17integral_constantIbLb0EES1A_EEDaS15_S16_EUlS15_E_NS1_11comp_targetILNS1_3genE5ELNS1_11target_archE942ELNS1_3gpuE9ELNS1_3repE0EEENS1_30default_config_static_selectorELNS0_4arch9wavefront6targetE1EEEvT1_,comdat
	.globl	_ZN7rocprim17ROCPRIM_400000_NS6detail17trampoline_kernelINS0_14default_configENS1_25partition_config_selectorILNS1_17partition_subalgoE9EllbEEZZNS1_14partition_implILS5_9ELb0ES3_jPlS8_PNS0_10empty_typeENS0_5tupleIJS8_S9_EEENSB_IJS8_SA_EEENS0_18inequality_wrapperIZN2at6native12_GLOBAL__N_124unique_dim_cuda_templateItEESt5tupleIJNSF_6TensorESK_SK_EERKSK_lbbbEUlllE0_EEPmJS9_EEE10hipError_tPvRmT3_T4_T5_T6_T7_T9_mT8_P12ihipStream_tbDpT10_ENKUlT_T0_E_clISt17integral_constantIbLb0EES1A_EEDaS15_S16_EUlS15_E_NS1_11comp_targetILNS1_3genE5ELNS1_11target_archE942ELNS1_3gpuE9ELNS1_3repE0EEENS1_30default_config_static_selectorELNS0_4arch9wavefront6targetE1EEEvT1_ ; -- Begin function _ZN7rocprim17ROCPRIM_400000_NS6detail17trampoline_kernelINS0_14default_configENS1_25partition_config_selectorILNS1_17partition_subalgoE9EllbEEZZNS1_14partition_implILS5_9ELb0ES3_jPlS8_PNS0_10empty_typeENS0_5tupleIJS8_S9_EEENSB_IJS8_SA_EEENS0_18inequality_wrapperIZN2at6native12_GLOBAL__N_124unique_dim_cuda_templateItEESt5tupleIJNSF_6TensorESK_SK_EERKSK_lbbbEUlllE0_EEPmJS9_EEE10hipError_tPvRmT3_T4_T5_T6_T7_T9_mT8_P12ihipStream_tbDpT10_ENKUlT_T0_E_clISt17integral_constantIbLb0EES1A_EEDaS15_S16_EUlS15_E_NS1_11comp_targetILNS1_3genE5ELNS1_11target_archE942ELNS1_3gpuE9ELNS1_3repE0EEENS1_30default_config_static_selectorELNS0_4arch9wavefront6targetE1EEEvT1_
	.p2align	8
	.type	_ZN7rocprim17ROCPRIM_400000_NS6detail17trampoline_kernelINS0_14default_configENS1_25partition_config_selectorILNS1_17partition_subalgoE9EllbEEZZNS1_14partition_implILS5_9ELb0ES3_jPlS8_PNS0_10empty_typeENS0_5tupleIJS8_S9_EEENSB_IJS8_SA_EEENS0_18inequality_wrapperIZN2at6native12_GLOBAL__N_124unique_dim_cuda_templateItEESt5tupleIJNSF_6TensorESK_SK_EERKSK_lbbbEUlllE0_EEPmJS9_EEE10hipError_tPvRmT3_T4_T5_T6_T7_T9_mT8_P12ihipStream_tbDpT10_ENKUlT_T0_E_clISt17integral_constantIbLb0EES1A_EEDaS15_S16_EUlS15_E_NS1_11comp_targetILNS1_3genE5ELNS1_11target_archE942ELNS1_3gpuE9ELNS1_3repE0EEENS1_30default_config_static_selectorELNS0_4arch9wavefront6targetE1EEEvT1_,@function
_ZN7rocprim17ROCPRIM_400000_NS6detail17trampoline_kernelINS0_14default_configENS1_25partition_config_selectorILNS1_17partition_subalgoE9EllbEEZZNS1_14partition_implILS5_9ELb0ES3_jPlS8_PNS0_10empty_typeENS0_5tupleIJS8_S9_EEENSB_IJS8_SA_EEENS0_18inequality_wrapperIZN2at6native12_GLOBAL__N_124unique_dim_cuda_templateItEESt5tupleIJNSF_6TensorESK_SK_EERKSK_lbbbEUlllE0_EEPmJS9_EEE10hipError_tPvRmT3_T4_T5_T6_T7_T9_mT8_P12ihipStream_tbDpT10_ENKUlT_T0_E_clISt17integral_constantIbLb0EES1A_EEDaS15_S16_EUlS15_E_NS1_11comp_targetILNS1_3genE5ELNS1_11target_archE942ELNS1_3gpuE9ELNS1_3repE0EEENS1_30default_config_static_selectorELNS0_4arch9wavefront6targetE1EEEvT1_: ; @_ZN7rocprim17ROCPRIM_400000_NS6detail17trampoline_kernelINS0_14default_configENS1_25partition_config_selectorILNS1_17partition_subalgoE9EllbEEZZNS1_14partition_implILS5_9ELb0ES3_jPlS8_PNS0_10empty_typeENS0_5tupleIJS8_S9_EEENSB_IJS8_SA_EEENS0_18inequality_wrapperIZN2at6native12_GLOBAL__N_124unique_dim_cuda_templateItEESt5tupleIJNSF_6TensorESK_SK_EERKSK_lbbbEUlllE0_EEPmJS9_EEE10hipError_tPvRmT3_T4_T5_T6_T7_T9_mT8_P12ihipStream_tbDpT10_ENKUlT_T0_E_clISt17integral_constantIbLb0EES1A_EEDaS15_S16_EUlS15_E_NS1_11comp_targetILNS1_3genE5ELNS1_11target_archE942ELNS1_3gpuE9ELNS1_3repE0EEENS1_30default_config_static_selectorELNS0_4arch9wavefront6targetE1EEEvT1_
; %bb.0:
	.section	.rodata,"a",@progbits
	.p2align	6, 0x0
	.amdhsa_kernel _ZN7rocprim17ROCPRIM_400000_NS6detail17trampoline_kernelINS0_14default_configENS1_25partition_config_selectorILNS1_17partition_subalgoE9EllbEEZZNS1_14partition_implILS5_9ELb0ES3_jPlS8_PNS0_10empty_typeENS0_5tupleIJS8_S9_EEENSB_IJS8_SA_EEENS0_18inequality_wrapperIZN2at6native12_GLOBAL__N_124unique_dim_cuda_templateItEESt5tupleIJNSF_6TensorESK_SK_EERKSK_lbbbEUlllE0_EEPmJS9_EEE10hipError_tPvRmT3_T4_T5_T6_T7_T9_mT8_P12ihipStream_tbDpT10_ENKUlT_T0_E_clISt17integral_constantIbLb0EES1A_EEDaS15_S16_EUlS15_E_NS1_11comp_targetILNS1_3genE5ELNS1_11target_archE942ELNS1_3gpuE9ELNS1_3repE0EEENS1_30default_config_static_selectorELNS0_4arch9wavefront6targetE1EEEvT1_
		.amdhsa_group_segment_fixed_size 0
		.amdhsa_private_segment_fixed_size 0
		.amdhsa_kernarg_size 120
		.amdhsa_user_sgpr_count 2
		.amdhsa_user_sgpr_dispatch_ptr 0
		.amdhsa_user_sgpr_queue_ptr 0
		.amdhsa_user_sgpr_kernarg_segment_ptr 1
		.amdhsa_user_sgpr_dispatch_id 0
		.amdhsa_user_sgpr_kernarg_preload_length 0
		.amdhsa_user_sgpr_kernarg_preload_offset 0
		.amdhsa_user_sgpr_private_segment_size 0
		.amdhsa_uses_dynamic_stack 0
		.amdhsa_enable_private_segment 0
		.amdhsa_system_sgpr_workgroup_id_x 1
		.amdhsa_system_sgpr_workgroup_id_y 0
		.amdhsa_system_sgpr_workgroup_id_z 0
		.amdhsa_system_sgpr_workgroup_info 0
		.amdhsa_system_vgpr_workitem_id 0
		.amdhsa_next_free_vgpr 1
		.amdhsa_next_free_sgpr 0
		.amdhsa_accum_offset 4
		.amdhsa_reserve_vcc 0
		.amdhsa_float_round_mode_32 0
		.amdhsa_float_round_mode_16_64 0
		.amdhsa_float_denorm_mode_32 3
		.amdhsa_float_denorm_mode_16_64 3
		.amdhsa_dx10_clamp 1
		.amdhsa_ieee_mode 1
		.amdhsa_fp16_overflow 0
		.amdhsa_tg_split 0
		.amdhsa_exception_fp_ieee_invalid_op 0
		.amdhsa_exception_fp_denorm_src 0
		.amdhsa_exception_fp_ieee_div_zero 0
		.amdhsa_exception_fp_ieee_overflow 0
		.amdhsa_exception_fp_ieee_underflow 0
		.amdhsa_exception_fp_ieee_inexact 0
		.amdhsa_exception_int_div_zero 0
	.end_amdhsa_kernel
	.section	.text._ZN7rocprim17ROCPRIM_400000_NS6detail17trampoline_kernelINS0_14default_configENS1_25partition_config_selectorILNS1_17partition_subalgoE9EllbEEZZNS1_14partition_implILS5_9ELb0ES3_jPlS8_PNS0_10empty_typeENS0_5tupleIJS8_S9_EEENSB_IJS8_SA_EEENS0_18inequality_wrapperIZN2at6native12_GLOBAL__N_124unique_dim_cuda_templateItEESt5tupleIJNSF_6TensorESK_SK_EERKSK_lbbbEUlllE0_EEPmJS9_EEE10hipError_tPvRmT3_T4_T5_T6_T7_T9_mT8_P12ihipStream_tbDpT10_ENKUlT_T0_E_clISt17integral_constantIbLb0EES1A_EEDaS15_S16_EUlS15_E_NS1_11comp_targetILNS1_3genE5ELNS1_11target_archE942ELNS1_3gpuE9ELNS1_3repE0EEENS1_30default_config_static_selectorELNS0_4arch9wavefront6targetE1EEEvT1_,"axG",@progbits,_ZN7rocprim17ROCPRIM_400000_NS6detail17trampoline_kernelINS0_14default_configENS1_25partition_config_selectorILNS1_17partition_subalgoE9EllbEEZZNS1_14partition_implILS5_9ELb0ES3_jPlS8_PNS0_10empty_typeENS0_5tupleIJS8_S9_EEENSB_IJS8_SA_EEENS0_18inequality_wrapperIZN2at6native12_GLOBAL__N_124unique_dim_cuda_templateItEESt5tupleIJNSF_6TensorESK_SK_EERKSK_lbbbEUlllE0_EEPmJS9_EEE10hipError_tPvRmT3_T4_T5_T6_T7_T9_mT8_P12ihipStream_tbDpT10_ENKUlT_T0_E_clISt17integral_constantIbLb0EES1A_EEDaS15_S16_EUlS15_E_NS1_11comp_targetILNS1_3genE5ELNS1_11target_archE942ELNS1_3gpuE9ELNS1_3repE0EEENS1_30default_config_static_selectorELNS0_4arch9wavefront6targetE1EEEvT1_,comdat
.Lfunc_end1452:
	.size	_ZN7rocprim17ROCPRIM_400000_NS6detail17trampoline_kernelINS0_14default_configENS1_25partition_config_selectorILNS1_17partition_subalgoE9EllbEEZZNS1_14partition_implILS5_9ELb0ES3_jPlS8_PNS0_10empty_typeENS0_5tupleIJS8_S9_EEENSB_IJS8_SA_EEENS0_18inequality_wrapperIZN2at6native12_GLOBAL__N_124unique_dim_cuda_templateItEESt5tupleIJNSF_6TensorESK_SK_EERKSK_lbbbEUlllE0_EEPmJS9_EEE10hipError_tPvRmT3_T4_T5_T6_T7_T9_mT8_P12ihipStream_tbDpT10_ENKUlT_T0_E_clISt17integral_constantIbLb0EES1A_EEDaS15_S16_EUlS15_E_NS1_11comp_targetILNS1_3genE5ELNS1_11target_archE942ELNS1_3gpuE9ELNS1_3repE0EEENS1_30default_config_static_selectorELNS0_4arch9wavefront6targetE1EEEvT1_, .Lfunc_end1452-_ZN7rocprim17ROCPRIM_400000_NS6detail17trampoline_kernelINS0_14default_configENS1_25partition_config_selectorILNS1_17partition_subalgoE9EllbEEZZNS1_14partition_implILS5_9ELb0ES3_jPlS8_PNS0_10empty_typeENS0_5tupleIJS8_S9_EEENSB_IJS8_SA_EEENS0_18inequality_wrapperIZN2at6native12_GLOBAL__N_124unique_dim_cuda_templateItEESt5tupleIJNSF_6TensorESK_SK_EERKSK_lbbbEUlllE0_EEPmJS9_EEE10hipError_tPvRmT3_T4_T5_T6_T7_T9_mT8_P12ihipStream_tbDpT10_ENKUlT_T0_E_clISt17integral_constantIbLb0EES1A_EEDaS15_S16_EUlS15_E_NS1_11comp_targetILNS1_3genE5ELNS1_11target_archE942ELNS1_3gpuE9ELNS1_3repE0EEENS1_30default_config_static_selectorELNS0_4arch9wavefront6targetE1EEEvT1_
                                        ; -- End function
	.set _ZN7rocprim17ROCPRIM_400000_NS6detail17trampoline_kernelINS0_14default_configENS1_25partition_config_selectorILNS1_17partition_subalgoE9EllbEEZZNS1_14partition_implILS5_9ELb0ES3_jPlS8_PNS0_10empty_typeENS0_5tupleIJS8_S9_EEENSB_IJS8_SA_EEENS0_18inequality_wrapperIZN2at6native12_GLOBAL__N_124unique_dim_cuda_templateItEESt5tupleIJNSF_6TensorESK_SK_EERKSK_lbbbEUlllE0_EEPmJS9_EEE10hipError_tPvRmT3_T4_T5_T6_T7_T9_mT8_P12ihipStream_tbDpT10_ENKUlT_T0_E_clISt17integral_constantIbLb0EES1A_EEDaS15_S16_EUlS15_E_NS1_11comp_targetILNS1_3genE5ELNS1_11target_archE942ELNS1_3gpuE9ELNS1_3repE0EEENS1_30default_config_static_selectorELNS0_4arch9wavefront6targetE1EEEvT1_.num_vgpr, 0
	.set _ZN7rocprim17ROCPRIM_400000_NS6detail17trampoline_kernelINS0_14default_configENS1_25partition_config_selectorILNS1_17partition_subalgoE9EllbEEZZNS1_14partition_implILS5_9ELb0ES3_jPlS8_PNS0_10empty_typeENS0_5tupleIJS8_S9_EEENSB_IJS8_SA_EEENS0_18inequality_wrapperIZN2at6native12_GLOBAL__N_124unique_dim_cuda_templateItEESt5tupleIJNSF_6TensorESK_SK_EERKSK_lbbbEUlllE0_EEPmJS9_EEE10hipError_tPvRmT3_T4_T5_T6_T7_T9_mT8_P12ihipStream_tbDpT10_ENKUlT_T0_E_clISt17integral_constantIbLb0EES1A_EEDaS15_S16_EUlS15_E_NS1_11comp_targetILNS1_3genE5ELNS1_11target_archE942ELNS1_3gpuE9ELNS1_3repE0EEENS1_30default_config_static_selectorELNS0_4arch9wavefront6targetE1EEEvT1_.num_agpr, 0
	.set _ZN7rocprim17ROCPRIM_400000_NS6detail17trampoline_kernelINS0_14default_configENS1_25partition_config_selectorILNS1_17partition_subalgoE9EllbEEZZNS1_14partition_implILS5_9ELb0ES3_jPlS8_PNS0_10empty_typeENS0_5tupleIJS8_S9_EEENSB_IJS8_SA_EEENS0_18inequality_wrapperIZN2at6native12_GLOBAL__N_124unique_dim_cuda_templateItEESt5tupleIJNSF_6TensorESK_SK_EERKSK_lbbbEUlllE0_EEPmJS9_EEE10hipError_tPvRmT3_T4_T5_T6_T7_T9_mT8_P12ihipStream_tbDpT10_ENKUlT_T0_E_clISt17integral_constantIbLb0EES1A_EEDaS15_S16_EUlS15_E_NS1_11comp_targetILNS1_3genE5ELNS1_11target_archE942ELNS1_3gpuE9ELNS1_3repE0EEENS1_30default_config_static_selectorELNS0_4arch9wavefront6targetE1EEEvT1_.numbered_sgpr, 0
	.set _ZN7rocprim17ROCPRIM_400000_NS6detail17trampoline_kernelINS0_14default_configENS1_25partition_config_selectorILNS1_17partition_subalgoE9EllbEEZZNS1_14partition_implILS5_9ELb0ES3_jPlS8_PNS0_10empty_typeENS0_5tupleIJS8_S9_EEENSB_IJS8_SA_EEENS0_18inequality_wrapperIZN2at6native12_GLOBAL__N_124unique_dim_cuda_templateItEESt5tupleIJNSF_6TensorESK_SK_EERKSK_lbbbEUlllE0_EEPmJS9_EEE10hipError_tPvRmT3_T4_T5_T6_T7_T9_mT8_P12ihipStream_tbDpT10_ENKUlT_T0_E_clISt17integral_constantIbLb0EES1A_EEDaS15_S16_EUlS15_E_NS1_11comp_targetILNS1_3genE5ELNS1_11target_archE942ELNS1_3gpuE9ELNS1_3repE0EEENS1_30default_config_static_selectorELNS0_4arch9wavefront6targetE1EEEvT1_.num_named_barrier, 0
	.set _ZN7rocprim17ROCPRIM_400000_NS6detail17trampoline_kernelINS0_14default_configENS1_25partition_config_selectorILNS1_17partition_subalgoE9EllbEEZZNS1_14partition_implILS5_9ELb0ES3_jPlS8_PNS0_10empty_typeENS0_5tupleIJS8_S9_EEENSB_IJS8_SA_EEENS0_18inequality_wrapperIZN2at6native12_GLOBAL__N_124unique_dim_cuda_templateItEESt5tupleIJNSF_6TensorESK_SK_EERKSK_lbbbEUlllE0_EEPmJS9_EEE10hipError_tPvRmT3_T4_T5_T6_T7_T9_mT8_P12ihipStream_tbDpT10_ENKUlT_T0_E_clISt17integral_constantIbLb0EES1A_EEDaS15_S16_EUlS15_E_NS1_11comp_targetILNS1_3genE5ELNS1_11target_archE942ELNS1_3gpuE9ELNS1_3repE0EEENS1_30default_config_static_selectorELNS0_4arch9wavefront6targetE1EEEvT1_.private_seg_size, 0
	.set _ZN7rocprim17ROCPRIM_400000_NS6detail17trampoline_kernelINS0_14default_configENS1_25partition_config_selectorILNS1_17partition_subalgoE9EllbEEZZNS1_14partition_implILS5_9ELb0ES3_jPlS8_PNS0_10empty_typeENS0_5tupleIJS8_S9_EEENSB_IJS8_SA_EEENS0_18inequality_wrapperIZN2at6native12_GLOBAL__N_124unique_dim_cuda_templateItEESt5tupleIJNSF_6TensorESK_SK_EERKSK_lbbbEUlllE0_EEPmJS9_EEE10hipError_tPvRmT3_T4_T5_T6_T7_T9_mT8_P12ihipStream_tbDpT10_ENKUlT_T0_E_clISt17integral_constantIbLb0EES1A_EEDaS15_S16_EUlS15_E_NS1_11comp_targetILNS1_3genE5ELNS1_11target_archE942ELNS1_3gpuE9ELNS1_3repE0EEENS1_30default_config_static_selectorELNS0_4arch9wavefront6targetE1EEEvT1_.uses_vcc, 0
	.set _ZN7rocprim17ROCPRIM_400000_NS6detail17trampoline_kernelINS0_14default_configENS1_25partition_config_selectorILNS1_17partition_subalgoE9EllbEEZZNS1_14partition_implILS5_9ELb0ES3_jPlS8_PNS0_10empty_typeENS0_5tupleIJS8_S9_EEENSB_IJS8_SA_EEENS0_18inequality_wrapperIZN2at6native12_GLOBAL__N_124unique_dim_cuda_templateItEESt5tupleIJNSF_6TensorESK_SK_EERKSK_lbbbEUlllE0_EEPmJS9_EEE10hipError_tPvRmT3_T4_T5_T6_T7_T9_mT8_P12ihipStream_tbDpT10_ENKUlT_T0_E_clISt17integral_constantIbLb0EES1A_EEDaS15_S16_EUlS15_E_NS1_11comp_targetILNS1_3genE5ELNS1_11target_archE942ELNS1_3gpuE9ELNS1_3repE0EEENS1_30default_config_static_selectorELNS0_4arch9wavefront6targetE1EEEvT1_.uses_flat_scratch, 0
	.set _ZN7rocprim17ROCPRIM_400000_NS6detail17trampoline_kernelINS0_14default_configENS1_25partition_config_selectorILNS1_17partition_subalgoE9EllbEEZZNS1_14partition_implILS5_9ELb0ES3_jPlS8_PNS0_10empty_typeENS0_5tupleIJS8_S9_EEENSB_IJS8_SA_EEENS0_18inequality_wrapperIZN2at6native12_GLOBAL__N_124unique_dim_cuda_templateItEESt5tupleIJNSF_6TensorESK_SK_EERKSK_lbbbEUlllE0_EEPmJS9_EEE10hipError_tPvRmT3_T4_T5_T6_T7_T9_mT8_P12ihipStream_tbDpT10_ENKUlT_T0_E_clISt17integral_constantIbLb0EES1A_EEDaS15_S16_EUlS15_E_NS1_11comp_targetILNS1_3genE5ELNS1_11target_archE942ELNS1_3gpuE9ELNS1_3repE0EEENS1_30default_config_static_selectorELNS0_4arch9wavefront6targetE1EEEvT1_.has_dyn_sized_stack, 0
	.set _ZN7rocprim17ROCPRIM_400000_NS6detail17trampoline_kernelINS0_14default_configENS1_25partition_config_selectorILNS1_17partition_subalgoE9EllbEEZZNS1_14partition_implILS5_9ELb0ES3_jPlS8_PNS0_10empty_typeENS0_5tupleIJS8_S9_EEENSB_IJS8_SA_EEENS0_18inequality_wrapperIZN2at6native12_GLOBAL__N_124unique_dim_cuda_templateItEESt5tupleIJNSF_6TensorESK_SK_EERKSK_lbbbEUlllE0_EEPmJS9_EEE10hipError_tPvRmT3_T4_T5_T6_T7_T9_mT8_P12ihipStream_tbDpT10_ENKUlT_T0_E_clISt17integral_constantIbLb0EES1A_EEDaS15_S16_EUlS15_E_NS1_11comp_targetILNS1_3genE5ELNS1_11target_archE942ELNS1_3gpuE9ELNS1_3repE0EEENS1_30default_config_static_selectorELNS0_4arch9wavefront6targetE1EEEvT1_.has_recursion, 0
	.set _ZN7rocprim17ROCPRIM_400000_NS6detail17trampoline_kernelINS0_14default_configENS1_25partition_config_selectorILNS1_17partition_subalgoE9EllbEEZZNS1_14partition_implILS5_9ELb0ES3_jPlS8_PNS0_10empty_typeENS0_5tupleIJS8_S9_EEENSB_IJS8_SA_EEENS0_18inequality_wrapperIZN2at6native12_GLOBAL__N_124unique_dim_cuda_templateItEESt5tupleIJNSF_6TensorESK_SK_EERKSK_lbbbEUlllE0_EEPmJS9_EEE10hipError_tPvRmT3_T4_T5_T6_T7_T9_mT8_P12ihipStream_tbDpT10_ENKUlT_T0_E_clISt17integral_constantIbLb0EES1A_EEDaS15_S16_EUlS15_E_NS1_11comp_targetILNS1_3genE5ELNS1_11target_archE942ELNS1_3gpuE9ELNS1_3repE0EEENS1_30default_config_static_selectorELNS0_4arch9wavefront6targetE1EEEvT1_.has_indirect_call, 0
	.section	.AMDGPU.csdata,"",@progbits
; Kernel info:
; codeLenInByte = 0
; TotalNumSgprs: 6
; NumVgprs: 0
; NumAgprs: 0
; TotalNumVgprs: 0
; ScratchSize: 0
; MemoryBound: 0
; FloatMode: 240
; IeeeMode: 1
; LDSByteSize: 0 bytes/workgroup (compile time only)
; SGPRBlocks: 0
; VGPRBlocks: 0
; NumSGPRsForWavesPerEU: 6
; NumVGPRsForWavesPerEU: 1
; AccumOffset: 4
; Occupancy: 8
; WaveLimiterHint : 0
; COMPUTE_PGM_RSRC2:SCRATCH_EN: 0
; COMPUTE_PGM_RSRC2:USER_SGPR: 2
; COMPUTE_PGM_RSRC2:TRAP_HANDLER: 0
; COMPUTE_PGM_RSRC2:TGID_X_EN: 1
; COMPUTE_PGM_RSRC2:TGID_Y_EN: 0
; COMPUTE_PGM_RSRC2:TGID_Z_EN: 0
; COMPUTE_PGM_RSRC2:TIDIG_COMP_CNT: 0
; COMPUTE_PGM_RSRC3_GFX90A:ACCUM_OFFSET: 0
; COMPUTE_PGM_RSRC3_GFX90A:TG_SPLIT: 0
	.section	.text._ZN7rocprim17ROCPRIM_400000_NS6detail17trampoline_kernelINS0_14default_configENS1_25partition_config_selectorILNS1_17partition_subalgoE9EllbEEZZNS1_14partition_implILS5_9ELb0ES3_jPlS8_PNS0_10empty_typeENS0_5tupleIJS8_S9_EEENSB_IJS8_SA_EEENS0_18inequality_wrapperIZN2at6native12_GLOBAL__N_124unique_dim_cuda_templateItEESt5tupleIJNSF_6TensorESK_SK_EERKSK_lbbbEUlllE0_EEPmJS9_EEE10hipError_tPvRmT3_T4_T5_T6_T7_T9_mT8_P12ihipStream_tbDpT10_ENKUlT_T0_E_clISt17integral_constantIbLb0EES1A_EEDaS15_S16_EUlS15_E_NS1_11comp_targetILNS1_3genE4ELNS1_11target_archE910ELNS1_3gpuE8ELNS1_3repE0EEENS1_30default_config_static_selectorELNS0_4arch9wavefront6targetE1EEEvT1_,"axG",@progbits,_ZN7rocprim17ROCPRIM_400000_NS6detail17trampoline_kernelINS0_14default_configENS1_25partition_config_selectorILNS1_17partition_subalgoE9EllbEEZZNS1_14partition_implILS5_9ELb0ES3_jPlS8_PNS0_10empty_typeENS0_5tupleIJS8_S9_EEENSB_IJS8_SA_EEENS0_18inequality_wrapperIZN2at6native12_GLOBAL__N_124unique_dim_cuda_templateItEESt5tupleIJNSF_6TensorESK_SK_EERKSK_lbbbEUlllE0_EEPmJS9_EEE10hipError_tPvRmT3_T4_T5_T6_T7_T9_mT8_P12ihipStream_tbDpT10_ENKUlT_T0_E_clISt17integral_constantIbLb0EES1A_EEDaS15_S16_EUlS15_E_NS1_11comp_targetILNS1_3genE4ELNS1_11target_archE910ELNS1_3gpuE8ELNS1_3repE0EEENS1_30default_config_static_selectorELNS0_4arch9wavefront6targetE1EEEvT1_,comdat
	.globl	_ZN7rocprim17ROCPRIM_400000_NS6detail17trampoline_kernelINS0_14default_configENS1_25partition_config_selectorILNS1_17partition_subalgoE9EllbEEZZNS1_14partition_implILS5_9ELb0ES3_jPlS8_PNS0_10empty_typeENS0_5tupleIJS8_S9_EEENSB_IJS8_SA_EEENS0_18inequality_wrapperIZN2at6native12_GLOBAL__N_124unique_dim_cuda_templateItEESt5tupleIJNSF_6TensorESK_SK_EERKSK_lbbbEUlllE0_EEPmJS9_EEE10hipError_tPvRmT3_T4_T5_T6_T7_T9_mT8_P12ihipStream_tbDpT10_ENKUlT_T0_E_clISt17integral_constantIbLb0EES1A_EEDaS15_S16_EUlS15_E_NS1_11comp_targetILNS1_3genE4ELNS1_11target_archE910ELNS1_3gpuE8ELNS1_3repE0EEENS1_30default_config_static_selectorELNS0_4arch9wavefront6targetE1EEEvT1_ ; -- Begin function _ZN7rocprim17ROCPRIM_400000_NS6detail17trampoline_kernelINS0_14default_configENS1_25partition_config_selectorILNS1_17partition_subalgoE9EllbEEZZNS1_14partition_implILS5_9ELb0ES3_jPlS8_PNS0_10empty_typeENS0_5tupleIJS8_S9_EEENSB_IJS8_SA_EEENS0_18inequality_wrapperIZN2at6native12_GLOBAL__N_124unique_dim_cuda_templateItEESt5tupleIJNSF_6TensorESK_SK_EERKSK_lbbbEUlllE0_EEPmJS9_EEE10hipError_tPvRmT3_T4_T5_T6_T7_T9_mT8_P12ihipStream_tbDpT10_ENKUlT_T0_E_clISt17integral_constantIbLb0EES1A_EEDaS15_S16_EUlS15_E_NS1_11comp_targetILNS1_3genE4ELNS1_11target_archE910ELNS1_3gpuE8ELNS1_3repE0EEENS1_30default_config_static_selectorELNS0_4arch9wavefront6targetE1EEEvT1_
	.p2align	8
	.type	_ZN7rocprim17ROCPRIM_400000_NS6detail17trampoline_kernelINS0_14default_configENS1_25partition_config_selectorILNS1_17partition_subalgoE9EllbEEZZNS1_14partition_implILS5_9ELb0ES3_jPlS8_PNS0_10empty_typeENS0_5tupleIJS8_S9_EEENSB_IJS8_SA_EEENS0_18inequality_wrapperIZN2at6native12_GLOBAL__N_124unique_dim_cuda_templateItEESt5tupleIJNSF_6TensorESK_SK_EERKSK_lbbbEUlllE0_EEPmJS9_EEE10hipError_tPvRmT3_T4_T5_T6_T7_T9_mT8_P12ihipStream_tbDpT10_ENKUlT_T0_E_clISt17integral_constantIbLb0EES1A_EEDaS15_S16_EUlS15_E_NS1_11comp_targetILNS1_3genE4ELNS1_11target_archE910ELNS1_3gpuE8ELNS1_3repE0EEENS1_30default_config_static_selectorELNS0_4arch9wavefront6targetE1EEEvT1_,@function
_ZN7rocprim17ROCPRIM_400000_NS6detail17trampoline_kernelINS0_14default_configENS1_25partition_config_selectorILNS1_17partition_subalgoE9EllbEEZZNS1_14partition_implILS5_9ELb0ES3_jPlS8_PNS0_10empty_typeENS0_5tupleIJS8_S9_EEENSB_IJS8_SA_EEENS0_18inequality_wrapperIZN2at6native12_GLOBAL__N_124unique_dim_cuda_templateItEESt5tupleIJNSF_6TensorESK_SK_EERKSK_lbbbEUlllE0_EEPmJS9_EEE10hipError_tPvRmT3_T4_T5_T6_T7_T9_mT8_P12ihipStream_tbDpT10_ENKUlT_T0_E_clISt17integral_constantIbLb0EES1A_EEDaS15_S16_EUlS15_E_NS1_11comp_targetILNS1_3genE4ELNS1_11target_archE910ELNS1_3gpuE8ELNS1_3repE0EEENS1_30default_config_static_selectorELNS0_4arch9wavefront6targetE1EEEvT1_: ; @_ZN7rocprim17ROCPRIM_400000_NS6detail17trampoline_kernelINS0_14default_configENS1_25partition_config_selectorILNS1_17partition_subalgoE9EllbEEZZNS1_14partition_implILS5_9ELb0ES3_jPlS8_PNS0_10empty_typeENS0_5tupleIJS8_S9_EEENSB_IJS8_SA_EEENS0_18inequality_wrapperIZN2at6native12_GLOBAL__N_124unique_dim_cuda_templateItEESt5tupleIJNSF_6TensorESK_SK_EERKSK_lbbbEUlllE0_EEPmJS9_EEE10hipError_tPvRmT3_T4_T5_T6_T7_T9_mT8_P12ihipStream_tbDpT10_ENKUlT_T0_E_clISt17integral_constantIbLb0EES1A_EEDaS15_S16_EUlS15_E_NS1_11comp_targetILNS1_3genE4ELNS1_11target_archE910ELNS1_3gpuE8ELNS1_3repE0EEENS1_30default_config_static_selectorELNS0_4arch9wavefront6targetE1EEEvT1_
; %bb.0:
	.section	.rodata,"a",@progbits
	.p2align	6, 0x0
	.amdhsa_kernel _ZN7rocprim17ROCPRIM_400000_NS6detail17trampoline_kernelINS0_14default_configENS1_25partition_config_selectorILNS1_17partition_subalgoE9EllbEEZZNS1_14partition_implILS5_9ELb0ES3_jPlS8_PNS0_10empty_typeENS0_5tupleIJS8_S9_EEENSB_IJS8_SA_EEENS0_18inequality_wrapperIZN2at6native12_GLOBAL__N_124unique_dim_cuda_templateItEESt5tupleIJNSF_6TensorESK_SK_EERKSK_lbbbEUlllE0_EEPmJS9_EEE10hipError_tPvRmT3_T4_T5_T6_T7_T9_mT8_P12ihipStream_tbDpT10_ENKUlT_T0_E_clISt17integral_constantIbLb0EES1A_EEDaS15_S16_EUlS15_E_NS1_11comp_targetILNS1_3genE4ELNS1_11target_archE910ELNS1_3gpuE8ELNS1_3repE0EEENS1_30default_config_static_selectorELNS0_4arch9wavefront6targetE1EEEvT1_
		.amdhsa_group_segment_fixed_size 0
		.amdhsa_private_segment_fixed_size 0
		.amdhsa_kernarg_size 120
		.amdhsa_user_sgpr_count 2
		.amdhsa_user_sgpr_dispatch_ptr 0
		.amdhsa_user_sgpr_queue_ptr 0
		.amdhsa_user_sgpr_kernarg_segment_ptr 1
		.amdhsa_user_sgpr_dispatch_id 0
		.amdhsa_user_sgpr_kernarg_preload_length 0
		.amdhsa_user_sgpr_kernarg_preload_offset 0
		.amdhsa_user_sgpr_private_segment_size 0
		.amdhsa_uses_dynamic_stack 0
		.amdhsa_enable_private_segment 0
		.amdhsa_system_sgpr_workgroup_id_x 1
		.amdhsa_system_sgpr_workgroup_id_y 0
		.amdhsa_system_sgpr_workgroup_id_z 0
		.amdhsa_system_sgpr_workgroup_info 0
		.amdhsa_system_vgpr_workitem_id 0
		.amdhsa_next_free_vgpr 1
		.amdhsa_next_free_sgpr 0
		.amdhsa_accum_offset 4
		.amdhsa_reserve_vcc 0
		.amdhsa_float_round_mode_32 0
		.amdhsa_float_round_mode_16_64 0
		.amdhsa_float_denorm_mode_32 3
		.amdhsa_float_denorm_mode_16_64 3
		.amdhsa_dx10_clamp 1
		.amdhsa_ieee_mode 1
		.amdhsa_fp16_overflow 0
		.amdhsa_tg_split 0
		.amdhsa_exception_fp_ieee_invalid_op 0
		.amdhsa_exception_fp_denorm_src 0
		.amdhsa_exception_fp_ieee_div_zero 0
		.amdhsa_exception_fp_ieee_overflow 0
		.amdhsa_exception_fp_ieee_underflow 0
		.amdhsa_exception_fp_ieee_inexact 0
		.amdhsa_exception_int_div_zero 0
	.end_amdhsa_kernel
	.section	.text._ZN7rocprim17ROCPRIM_400000_NS6detail17trampoline_kernelINS0_14default_configENS1_25partition_config_selectorILNS1_17partition_subalgoE9EllbEEZZNS1_14partition_implILS5_9ELb0ES3_jPlS8_PNS0_10empty_typeENS0_5tupleIJS8_S9_EEENSB_IJS8_SA_EEENS0_18inequality_wrapperIZN2at6native12_GLOBAL__N_124unique_dim_cuda_templateItEESt5tupleIJNSF_6TensorESK_SK_EERKSK_lbbbEUlllE0_EEPmJS9_EEE10hipError_tPvRmT3_T4_T5_T6_T7_T9_mT8_P12ihipStream_tbDpT10_ENKUlT_T0_E_clISt17integral_constantIbLb0EES1A_EEDaS15_S16_EUlS15_E_NS1_11comp_targetILNS1_3genE4ELNS1_11target_archE910ELNS1_3gpuE8ELNS1_3repE0EEENS1_30default_config_static_selectorELNS0_4arch9wavefront6targetE1EEEvT1_,"axG",@progbits,_ZN7rocprim17ROCPRIM_400000_NS6detail17trampoline_kernelINS0_14default_configENS1_25partition_config_selectorILNS1_17partition_subalgoE9EllbEEZZNS1_14partition_implILS5_9ELb0ES3_jPlS8_PNS0_10empty_typeENS0_5tupleIJS8_S9_EEENSB_IJS8_SA_EEENS0_18inequality_wrapperIZN2at6native12_GLOBAL__N_124unique_dim_cuda_templateItEESt5tupleIJNSF_6TensorESK_SK_EERKSK_lbbbEUlllE0_EEPmJS9_EEE10hipError_tPvRmT3_T4_T5_T6_T7_T9_mT8_P12ihipStream_tbDpT10_ENKUlT_T0_E_clISt17integral_constantIbLb0EES1A_EEDaS15_S16_EUlS15_E_NS1_11comp_targetILNS1_3genE4ELNS1_11target_archE910ELNS1_3gpuE8ELNS1_3repE0EEENS1_30default_config_static_selectorELNS0_4arch9wavefront6targetE1EEEvT1_,comdat
.Lfunc_end1453:
	.size	_ZN7rocprim17ROCPRIM_400000_NS6detail17trampoline_kernelINS0_14default_configENS1_25partition_config_selectorILNS1_17partition_subalgoE9EllbEEZZNS1_14partition_implILS5_9ELb0ES3_jPlS8_PNS0_10empty_typeENS0_5tupleIJS8_S9_EEENSB_IJS8_SA_EEENS0_18inequality_wrapperIZN2at6native12_GLOBAL__N_124unique_dim_cuda_templateItEESt5tupleIJNSF_6TensorESK_SK_EERKSK_lbbbEUlllE0_EEPmJS9_EEE10hipError_tPvRmT3_T4_T5_T6_T7_T9_mT8_P12ihipStream_tbDpT10_ENKUlT_T0_E_clISt17integral_constantIbLb0EES1A_EEDaS15_S16_EUlS15_E_NS1_11comp_targetILNS1_3genE4ELNS1_11target_archE910ELNS1_3gpuE8ELNS1_3repE0EEENS1_30default_config_static_selectorELNS0_4arch9wavefront6targetE1EEEvT1_, .Lfunc_end1453-_ZN7rocprim17ROCPRIM_400000_NS6detail17trampoline_kernelINS0_14default_configENS1_25partition_config_selectorILNS1_17partition_subalgoE9EllbEEZZNS1_14partition_implILS5_9ELb0ES3_jPlS8_PNS0_10empty_typeENS0_5tupleIJS8_S9_EEENSB_IJS8_SA_EEENS0_18inequality_wrapperIZN2at6native12_GLOBAL__N_124unique_dim_cuda_templateItEESt5tupleIJNSF_6TensorESK_SK_EERKSK_lbbbEUlllE0_EEPmJS9_EEE10hipError_tPvRmT3_T4_T5_T6_T7_T9_mT8_P12ihipStream_tbDpT10_ENKUlT_T0_E_clISt17integral_constantIbLb0EES1A_EEDaS15_S16_EUlS15_E_NS1_11comp_targetILNS1_3genE4ELNS1_11target_archE910ELNS1_3gpuE8ELNS1_3repE0EEENS1_30default_config_static_selectorELNS0_4arch9wavefront6targetE1EEEvT1_
                                        ; -- End function
	.set _ZN7rocprim17ROCPRIM_400000_NS6detail17trampoline_kernelINS0_14default_configENS1_25partition_config_selectorILNS1_17partition_subalgoE9EllbEEZZNS1_14partition_implILS5_9ELb0ES3_jPlS8_PNS0_10empty_typeENS0_5tupleIJS8_S9_EEENSB_IJS8_SA_EEENS0_18inequality_wrapperIZN2at6native12_GLOBAL__N_124unique_dim_cuda_templateItEESt5tupleIJNSF_6TensorESK_SK_EERKSK_lbbbEUlllE0_EEPmJS9_EEE10hipError_tPvRmT3_T4_T5_T6_T7_T9_mT8_P12ihipStream_tbDpT10_ENKUlT_T0_E_clISt17integral_constantIbLb0EES1A_EEDaS15_S16_EUlS15_E_NS1_11comp_targetILNS1_3genE4ELNS1_11target_archE910ELNS1_3gpuE8ELNS1_3repE0EEENS1_30default_config_static_selectorELNS0_4arch9wavefront6targetE1EEEvT1_.num_vgpr, 0
	.set _ZN7rocprim17ROCPRIM_400000_NS6detail17trampoline_kernelINS0_14default_configENS1_25partition_config_selectorILNS1_17partition_subalgoE9EllbEEZZNS1_14partition_implILS5_9ELb0ES3_jPlS8_PNS0_10empty_typeENS0_5tupleIJS8_S9_EEENSB_IJS8_SA_EEENS0_18inequality_wrapperIZN2at6native12_GLOBAL__N_124unique_dim_cuda_templateItEESt5tupleIJNSF_6TensorESK_SK_EERKSK_lbbbEUlllE0_EEPmJS9_EEE10hipError_tPvRmT3_T4_T5_T6_T7_T9_mT8_P12ihipStream_tbDpT10_ENKUlT_T0_E_clISt17integral_constantIbLb0EES1A_EEDaS15_S16_EUlS15_E_NS1_11comp_targetILNS1_3genE4ELNS1_11target_archE910ELNS1_3gpuE8ELNS1_3repE0EEENS1_30default_config_static_selectorELNS0_4arch9wavefront6targetE1EEEvT1_.num_agpr, 0
	.set _ZN7rocprim17ROCPRIM_400000_NS6detail17trampoline_kernelINS0_14default_configENS1_25partition_config_selectorILNS1_17partition_subalgoE9EllbEEZZNS1_14partition_implILS5_9ELb0ES3_jPlS8_PNS0_10empty_typeENS0_5tupleIJS8_S9_EEENSB_IJS8_SA_EEENS0_18inequality_wrapperIZN2at6native12_GLOBAL__N_124unique_dim_cuda_templateItEESt5tupleIJNSF_6TensorESK_SK_EERKSK_lbbbEUlllE0_EEPmJS9_EEE10hipError_tPvRmT3_T4_T5_T6_T7_T9_mT8_P12ihipStream_tbDpT10_ENKUlT_T0_E_clISt17integral_constantIbLb0EES1A_EEDaS15_S16_EUlS15_E_NS1_11comp_targetILNS1_3genE4ELNS1_11target_archE910ELNS1_3gpuE8ELNS1_3repE0EEENS1_30default_config_static_selectorELNS0_4arch9wavefront6targetE1EEEvT1_.numbered_sgpr, 0
	.set _ZN7rocprim17ROCPRIM_400000_NS6detail17trampoline_kernelINS0_14default_configENS1_25partition_config_selectorILNS1_17partition_subalgoE9EllbEEZZNS1_14partition_implILS5_9ELb0ES3_jPlS8_PNS0_10empty_typeENS0_5tupleIJS8_S9_EEENSB_IJS8_SA_EEENS0_18inequality_wrapperIZN2at6native12_GLOBAL__N_124unique_dim_cuda_templateItEESt5tupleIJNSF_6TensorESK_SK_EERKSK_lbbbEUlllE0_EEPmJS9_EEE10hipError_tPvRmT3_T4_T5_T6_T7_T9_mT8_P12ihipStream_tbDpT10_ENKUlT_T0_E_clISt17integral_constantIbLb0EES1A_EEDaS15_S16_EUlS15_E_NS1_11comp_targetILNS1_3genE4ELNS1_11target_archE910ELNS1_3gpuE8ELNS1_3repE0EEENS1_30default_config_static_selectorELNS0_4arch9wavefront6targetE1EEEvT1_.num_named_barrier, 0
	.set _ZN7rocprim17ROCPRIM_400000_NS6detail17trampoline_kernelINS0_14default_configENS1_25partition_config_selectorILNS1_17partition_subalgoE9EllbEEZZNS1_14partition_implILS5_9ELb0ES3_jPlS8_PNS0_10empty_typeENS0_5tupleIJS8_S9_EEENSB_IJS8_SA_EEENS0_18inequality_wrapperIZN2at6native12_GLOBAL__N_124unique_dim_cuda_templateItEESt5tupleIJNSF_6TensorESK_SK_EERKSK_lbbbEUlllE0_EEPmJS9_EEE10hipError_tPvRmT3_T4_T5_T6_T7_T9_mT8_P12ihipStream_tbDpT10_ENKUlT_T0_E_clISt17integral_constantIbLb0EES1A_EEDaS15_S16_EUlS15_E_NS1_11comp_targetILNS1_3genE4ELNS1_11target_archE910ELNS1_3gpuE8ELNS1_3repE0EEENS1_30default_config_static_selectorELNS0_4arch9wavefront6targetE1EEEvT1_.private_seg_size, 0
	.set _ZN7rocprim17ROCPRIM_400000_NS6detail17trampoline_kernelINS0_14default_configENS1_25partition_config_selectorILNS1_17partition_subalgoE9EllbEEZZNS1_14partition_implILS5_9ELb0ES3_jPlS8_PNS0_10empty_typeENS0_5tupleIJS8_S9_EEENSB_IJS8_SA_EEENS0_18inequality_wrapperIZN2at6native12_GLOBAL__N_124unique_dim_cuda_templateItEESt5tupleIJNSF_6TensorESK_SK_EERKSK_lbbbEUlllE0_EEPmJS9_EEE10hipError_tPvRmT3_T4_T5_T6_T7_T9_mT8_P12ihipStream_tbDpT10_ENKUlT_T0_E_clISt17integral_constantIbLb0EES1A_EEDaS15_S16_EUlS15_E_NS1_11comp_targetILNS1_3genE4ELNS1_11target_archE910ELNS1_3gpuE8ELNS1_3repE0EEENS1_30default_config_static_selectorELNS0_4arch9wavefront6targetE1EEEvT1_.uses_vcc, 0
	.set _ZN7rocprim17ROCPRIM_400000_NS6detail17trampoline_kernelINS0_14default_configENS1_25partition_config_selectorILNS1_17partition_subalgoE9EllbEEZZNS1_14partition_implILS5_9ELb0ES3_jPlS8_PNS0_10empty_typeENS0_5tupleIJS8_S9_EEENSB_IJS8_SA_EEENS0_18inequality_wrapperIZN2at6native12_GLOBAL__N_124unique_dim_cuda_templateItEESt5tupleIJNSF_6TensorESK_SK_EERKSK_lbbbEUlllE0_EEPmJS9_EEE10hipError_tPvRmT3_T4_T5_T6_T7_T9_mT8_P12ihipStream_tbDpT10_ENKUlT_T0_E_clISt17integral_constantIbLb0EES1A_EEDaS15_S16_EUlS15_E_NS1_11comp_targetILNS1_3genE4ELNS1_11target_archE910ELNS1_3gpuE8ELNS1_3repE0EEENS1_30default_config_static_selectorELNS0_4arch9wavefront6targetE1EEEvT1_.uses_flat_scratch, 0
	.set _ZN7rocprim17ROCPRIM_400000_NS6detail17trampoline_kernelINS0_14default_configENS1_25partition_config_selectorILNS1_17partition_subalgoE9EllbEEZZNS1_14partition_implILS5_9ELb0ES3_jPlS8_PNS0_10empty_typeENS0_5tupleIJS8_S9_EEENSB_IJS8_SA_EEENS0_18inequality_wrapperIZN2at6native12_GLOBAL__N_124unique_dim_cuda_templateItEESt5tupleIJNSF_6TensorESK_SK_EERKSK_lbbbEUlllE0_EEPmJS9_EEE10hipError_tPvRmT3_T4_T5_T6_T7_T9_mT8_P12ihipStream_tbDpT10_ENKUlT_T0_E_clISt17integral_constantIbLb0EES1A_EEDaS15_S16_EUlS15_E_NS1_11comp_targetILNS1_3genE4ELNS1_11target_archE910ELNS1_3gpuE8ELNS1_3repE0EEENS1_30default_config_static_selectorELNS0_4arch9wavefront6targetE1EEEvT1_.has_dyn_sized_stack, 0
	.set _ZN7rocprim17ROCPRIM_400000_NS6detail17trampoline_kernelINS0_14default_configENS1_25partition_config_selectorILNS1_17partition_subalgoE9EllbEEZZNS1_14partition_implILS5_9ELb0ES3_jPlS8_PNS0_10empty_typeENS0_5tupleIJS8_S9_EEENSB_IJS8_SA_EEENS0_18inequality_wrapperIZN2at6native12_GLOBAL__N_124unique_dim_cuda_templateItEESt5tupleIJNSF_6TensorESK_SK_EERKSK_lbbbEUlllE0_EEPmJS9_EEE10hipError_tPvRmT3_T4_T5_T6_T7_T9_mT8_P12ihipStream_tbDpT10_ENKUlT_T0_E_clISt17integral_constantIbLb0EES1A_EEDaS15_S16_EUlS15_E_NS1_11comp_targetILNS1_3genE4ELNS1_11target_archE910ELNS1_3gpuE8ELNS1_3repE0EEENS1_30default_config_static_selectorELNS0_4arch9wavefront6targetE1EEEvT1_.has_recursion, 0
	.set _ZN7rocprim17ROCPRIM_400000_NS6detail17trampoline_kernelINS0_14default_configENS1_25partition_config_selectorILNS1_17partition_subalgoE9EllbEEZZNS1_14partition_implILS5_9ELb0ES3_jPlS8_PNS0_10empty_typeENS0_5tupleIJS8_S9_EEENSB_IJS8_SA_EEENS0_18inequality_wrapperIZN2at6native12_GLOBAL__N_124unique_dim_cuda_templateItEESt5tupleIJNSF_6TensorESK_SK_EERKSK_lbbbEUlllE0_EEPmJS9_EEE10hipError_tPvRmT3_T4_T5_T6_T7_T9_mT8_P12ihipStream_tbDpT10_ENKUlT_T0_E_clISt17integral_constantIbLb0EES1A_EEDaS15_S16_EUlS15_E_NS1_11comp_targetILNS1_3genE4ELNS1_11target_archE910ELNS1_3gpuE8ELNS1_3repE0EEENS1_30default_config_static_selectorELNS0_4arch9wavefront6targetE1EEEvT1_.has_indirect_call, 0
	.section	.AMDGPU.csdata,"",@progbits
; Kernel info:
; codeLenInByte = 0
; TotalNumSgprs: 6
; NumVgprs: 0
; NumAgprs: 0
; TotalNumVgprs: 0
; ScratchSize: 0
; MemoryBound: 0
; FloatMode: 240
; IeeeMode: 1
; LDSByteSize: 0 bytes/workgroup (compile time only)
; SGPRBlocks: 0
; VGPRBlocks: 0
; NumSGPRsForWavesPerEU: 6
; NumVGPRsForWavesPerEU: 1
; AccumOffset: 4
; Occupancy: 8
; WaveLimiterHint : 0
; COMPUTE_PGM_RSRC2:SCRATCH_EN: 0
; COMPUTE_PGM_RSRC2:USER_SGPR: 2
; COMPUTE_PGM_RSRC2:TRAP_HANDLER: 0
; COMPUTE_PGM_RSRC2:TGID_X_EN: 1
; COMPUTE_PGM_RSRC2:TGID_Y_EN: 0
; COMPUTE_PGM_RSRC2:TGID_Z_EN: 0
; COMPUTE_PGM_RSRC2:TIDIG_COMP_CNT: 0
; COMPUTE_PGM_RSRC3_GFX90A:ACCUM_OFFSET: 0
; COMPUTE_PGM_RSRC3_GFX90A:TG_SPLIT: 0
	.section	.text._ZN7rocprim17ROCPRIM_400000_NS6detail17trampoline_kernelINS0_14default_configENS1_25partition_config_selectorILNS1_17partition_subalgoE9EllbEEZZNS1_14partition_implILS5_9ELb0ES3_jPlS8_PNS0_10empty_typeENS0_5tupleIJS8_S9_EEENSB_IJS8_SA_EEENS0_18inequality_wrapperIZN2at6native12_GLOBAL__N_124unique_dim_cuda_templateItEESt5tupleIJNSF_6TensorESK_SK_EERKSK_lbbbEUlllE0_EEPmJS9_EEE10hipError_tPvRmT3_T4_T5_T6_T7_T9_mT8_P12ihipStream_tbDpT10_ENKUlT_T0_E_clISt17integral_constantIbLb0EES1A_EEDaS15_S16_EUlS15_E_NS1_11comp_targetILNS1_3genE3ELNS1_11target_archE908ELNS1_3gpuE7ELNS1_3repE0EEENS1_30default_config_static_selectorELNS0_4arch9wavefront6targetE1EEEvT1_,"axG",@progbits,_ZN7rocprim17ROCPRIM_400000_NS6detail17trampoline_kernelINS0_14default_configENS1_25partition_config_selectorILNS1_17partition_subalgoE9EllbEEZZNS1_14partition_implILS5_9ELb0ES3_jPlS8_PNS0_10empty_typeENS0_5tupleIJS8_S9_EEENSB_IJS8_SA_EEENS0_18inequality_wrapperIZN2at6native12_GLOBAL__N_124unique_dim_cuda_templateItEESt5tupleIJNSF_6TensorESK_SK_EERKSK_lbbbEUlllE0_EEPmJS9_EEE10hipError_tPvRmT3_T4_T5_T6_T7_T9_mT8_P12ihipStream_tbDpT10_ENKUlT_T0_E_clISt17integral_constantIbLb0EES1A_EEDaS15_S16_EUlS15_E_NS1_11comp_targetILNS1_3genE3ELNS1_11target_archE908ELNS1_3gpuE7ELNS1_3repE0EEENS1_30default_config_static_selectorELNS0_4arch9wavefront6targetE1EEEvT1_,comdat
	.globl	_ZN7rocprim17ROCPRIM_400000_NS6detail17trampoline_kernelINS0_14default_configENS1_25partition_config_selectorILNS1_17partition_subalgoE9EllbEEZZNS1_14partition_implILS5_9ELb0ES3_jPlS8_PNS0_10empty_typeENS0_5tupleIJS8_S9_EEENSB_IJS8_SA_EEENS0_18inequality_wrapperIZN2at6native12_GLOBAL__N_124unique_dim_cuda_templateItEESt5tupleIJNSF_6TensorESK_SK_EERKSK_lbbbEUlllE0_EEPmJS9_EEE10hipError_tPvRmT3_T4_T5_T6_T7_T9_mT8_P12ihipStream_tbDpT10_ENKUlT_T0_E_clISt17integral_constantIbLb0EES1A_EEDaS15_S16_EUlS15_E_NS1_11comp_targetILNS1_3genE3ELNS1_11target_archE908ELNS1_3gpuE7ELNS1_3repE0EEENS1_30default_config_static_selectorELNS0_4arch9wavefront6targetE1EEEvT1_ ; -- Begin function _ZN7rocprim17ROCPRIM_400000_NS6detail17trampoline_kernelINS0_14default_configENS1_25partition_config_selectorILNS1_17partition_subalgoE9EllbEEZZNS1_14partition_implILS5_9ELb0ES3_jPlS8_PNS0_10empty_typeENS0_5tupleIJS8_S9_EEENSB_IJS8_SA_EEENS0_18inequality_wrapperIZN2at6native12_GLOBAL__N_124unique_dim_cuda_templateItEESt5tupleIJNSF_6TensorESK_SK_EERKSK_lbbbEUlllE0_EEPmJS9_EEE10hipError_tPvRmT3_T4_T5_T6_T7_T9_mT8_P12ihipStream_tbDpT10_ENKUlT_T0_E_clISt17integral_constantIbLb0EES1A_EEDaS15_S16_EUlS15_E_NS1_11comp_targetILNS1_3genE3ELNS1_11target_archE908ELNS1_3gpuE7ELNS1_3repE0EEENS1_30default_config_static_selectorELNS0_4arch9wavefront6targetE1EEEvT1_
	.p2align	8
	.type	_ZN7rocprim17ROCPRIM_400000_NS6detail17trampoline_kernelINS0_14default_configENS1_25partition_config_selectorILNS1_17partition_subalgoE9EllbEEZZNS1_14partition_implILS5_9ELb0ES3_jPlS8_PNS0_10empty_typeENS0_5tupleIJS8_S9_EEENSB_IJS8_SA_EEENS0_18inequality_wrapperIZN2at6native12_GLOBAL__N_124unique_dim_cuda_templateItEESt5tupleIJNSF_6TensorESK_SK_EERKSK_lbbbEUlllE0_EEPmJS9_EEE10hipError_tPvRmT3_T4_T5_T6_T7_T9_mT8_P12ihipStream_tbDpT10_ENKUlT_T0_E_clISt17integral_constantIbLb0EES1A_EEDaS15_S16_EUlS15_E_NS1_11comp_targetILNS1_3genE3ELNS1_11target_archE908ELNS1_3gpuE7ELNS1_3repE0EEENS1_30default_config_static_selectorELNS0_4arch9wavefront6targetE1EEEvT1_,@function
_ZN7rocprim17ROCPRIM_400000_NS6detail17trampoline_kernelINS0_14default_configENS1_25partition_config_selectorILNS1_17partition_subalgoE9EllbEEZZNS1_14partition_implILS5_9ELb0ES3_jPlS8_PNS0_10empty_typeENS0_5tupleIJS8_S9_EEENSB_IJS8_SA_EEENS0_18inequality_wrapperIZN2at6native12_GLOBAL__N_124unique_dim_cuda_templateItEESt5tupleIJNSF_6TensorESK_SK_EERKSK_lbbbEUlllE0_EEPmJS9_EEE10hipError_tPvRmT3_T4_T5_T6_T7_T9_mT8_P12ihipStream_tbDpT10_ENKUlT_T0_E_clISt17integral_constantIbLb0EES1A_EEDaS15_S16_EUlS15_E_NS1_11comp_targetILNS1_3genE3ELNS1_11target_archE908ELNS1_3gpuE7ELNS1_3repE0EEENS1_30default_config_static_selectorELNS0_4arch9wavefront6targetE1EEEvT1_: ; @_ZN7rocprim17ROCPRIM_400000_NS6detail17trampoline_kernelINS0_14default_configENS1_25partition_config_selectorILNS1_17partition_subalgoE9EllbEEZZNS1_14partition_implILS5_9ELb0ES3_jPlS8_PNS0_10empty_typeENS0_5tupleIJS8_S9_EEENSB_IJS8_SA_EEENS0_18inequality_wrapperIZN2at6native12_GLOBAL__N_124unique_dim_cuda_templateItEESt5tupleIJNSF_6TensorESK_SK_EERKSK_lbbbEUlllE0_EEPmJS9_EEE10hipError_tPvRmT3_T4_T5_T6_T7_T9_mT8_P12ihipStream_tbDpT10_ENKUlT_T0_E_clISt17integral_constantIbLb0EES1A_EEDaS15_S16_EUlS15_E_NS1_11comp_targetILNS1_3genE3ELNS1_11target_archE908ELNS1_3gpuE7ELNS1_3repE0EEENS1_30default_config_static_selectorELNS0_4arch9wavefront6targetE1EEEvT1_
; %bb.0:
	.section	.rodata,"a",@progbits
	.p2align	6, 0x0
	.amdhsa_kernel _ZN7rocprim17ROCPRIM_400000_NS6detail17trampoline_kernelINS0_14default_configENS1_25partition_config_selectorILNS1_17partition_subalgoE9EllbEEZZNS1_14partition_implILS5_9ELb0ES3_jPlS8_PNS0_10empty_typeENS0_5tupleIJS8_S9_EEENSB_IJS8_SA_EEENS0_18inequality_wrapperIZN2at6native12_GLOBAL__N_124unique_dim_cuda_templateItEESt5tupleIJNSF_6TensorESK_SK_EERKSK_lbbbEUlllE0_EEPmJS9_EEE10hipError_tPvRmT3_T4_T5_T6_T7_T9_mT8_P12ihipStream_tbDpT10_ENKUlT_T0_E_clISt17integral_constantIbLb0EES1A_EEDaS15_S16_EUlS15_E_NS1_11comp_targetILNS1_3genE3ELNS1_11target_archE908ELNS1_3gpuE7ELNS1_3repE0EEENS1_30default_config_static_selectorELNS0_4arch9wavefront6targetE1EEEvT1_
		.amdhsa_group_segment_fixed_size 0
		.amdhsa_private_segment_fixed_size 0
		.amdhsa_kernarg_size 120
		.amdhsa_user_sgpr_count 2
		.amdhsa_user_sgpr_dispatch_ptr 0
		.amdhsa_user_sgpr_queue_ptr 0
		.amdhsa_user_sgpr_kernarg_segment_ptr 1
		.amdhsa_user_sgpr_dispatch_id 0
		.amdhsa_user_sgpr_kernarg_preload_length 0
		.amdhsa_user_sgpr_kernarg_preload_offset 0
		.amdhsa_user_sgpr_private_segment_size 0
		.amdhsa_uses_dynamic_stack 0
		.amdhsa_enable_private_segment 0
		.amdhsa_system_sgpr_workgroup_id_x 1
		.amdhsa_system_sgpr_workgroup_id_y 0
		.amdhsa_system_sgpr_workgroup_id_z 0
		.amdhsa_system_sgpr_workgroup_info 0
		.amdhsa_system_vgpr_workitem_id 0
		.amdhsa_next_free_vgpr 1
		.amdhsa_next_free_sgpr 0
		.amdhsa_accum_offset 4
		.amdhsa_reserve_vcc 0
		.amdhsa_float_round_mode_32 0
		.amdhsa_float_round_mode_16_64 0
		.amdhsa_float_denorm_mode_32 3
		.amdhsa_float_denorm_mode_16_64 3
		.amdhsa_dx10_clamp 1
		.amdhsa_ieee_mode 1
		.amdhsa_fp16_overflow 0
		.amdhsa_tg_split 0
		.amdhsa_exception_fp_ieee_invalid_op 0
		.amdhsa_exception_fp_denorm_src 0
		.amdhsa_exception_fp_ieee_div_zero 0
		.amdhsa_exception_fp_ieee_overflow 0
		.amdhsa_exception_fp_ieee_underflow 0
		.amdhsa_exception_fp_ieee_inexact 0
		.amdhsa_exception_int_div_zero 0
	.end_amdhsa_kernel
	.section	.text._ZN7rocprim17ROCPRIM_400000_NS6detail17trampoline_kernelINS0_14default_configENS1_25partition_config_selectorILNS1_17partition_subalgoE9EllbEEZZNS1_14partition_implILS5_9ELb0ES3_jPlS8_PNS0_10empty_typeENS0_5tupleIJS8_S9_EEENSB_IJS8_SA_EEENS0_18inequality_wrapperIZN2at6native12_GLOBAL__N_124unique_dim_cuda_templateItEESt5tupleIJNSF_6TensorESK_SK_EERKSK_lbbbEUlllE0_EEPmJS9_EEE10hipError_tPvRmT3_T4_T5_T6_T7_T9_mT8_P12ihipStream_tbDpT10_ENKUlT_T0_E_clISt17integral_constantIbLb0EES1A_EEDaS15_S16_EUlS15_E_NS1_11comp_targetILNS1_3genE3ELNS1_11target_archE908ELNS1_3gpuE7ELNS1_3repE0EEENS1_30default_config_static_selectorELNS0_4arch9wavefront6targetE1EEEvT1_,"axG",@progbits,_ZN7rocprim17ROCPRIM_400000_NS6detail17trampoline_kernelINS0_14default_configENS1_25partition_config_selectorILNS1_17partition_subalgoE9EllbEEZZNS1_14partition_implILS5_9ELb0ES3_jPlS8_PNS0_10empty_typeENS0_5tupleIJS8_S9_EEENSB_IJS8_SA_EEENS0_18inequality_wrapperIZN2at6native12_GLOBAL__N_124unique_dim_cuda_templateItEESt5tupleIJNSF_6TensorESK_SK_EERKSK_lbbbEUlllE0_EEPmJS9_EEE10hipError_tPvRmT3_T4_T5_T6_T7_T9_mT8_P12ihipStream_tbDpT10_ENKUlT_T0_E_clISt17integral_constantIbLb0EES1A_EEDaS15_S16_EUlS15_E_NS1_11comp_targetILNS1_3genE3ELNS1_11target_archE908ELNS1_3gpuE7ELNS1_3repE0EEENS1_30default_config_static_selectorELNS0_4arch9wavefront6targetE1EEEvT1_,comdat
.Lfunc_end1454:
	.size	_ZN7rocprim17ROCPRIM_400000_NS6detail17trampoline_kernelINS0_14default_configENS1_25partition_config_selectorILNS1_17partition_subalgoE9EllbEEZZNS1_14partition_implILS5_9ELb0ES3_jPlS8_PNS0_10empty_typeENS0_5tupleIJS8_S9_EEENSB_IJS8_SA_EEENS0_18inequality_wrapperIZN2at6native12_GLOBAL__N_124unique_dim_cuda_templateItEESt5tupleIJNSF_6TensorESK_SK_EERKSK_lbbbEUlllE0_EEPmJS9_EEE10hipError_tPvRmT3_T4_T5_T6_T7_T9_mT8_P12ihipStream_tbDpT10_ENKUlT_T0_E_clISt17integral_constantIbLb0EES1A_EEDaS15_S16_EUlS15_E_NS1_11comp_targetILNS1_3genE3ELNS1_11target_archE908ELNS1_3gpuE7ELNS1_3repE0EEENS1_30default_config_static_selectorELNS0_4arch9wavefront6targetE1EEEvT1_, .Lfunc_end1454-_ZN7rocprim17ROCPRIM_400000_NS6detail17trampoline_kernelINS0_14default_configENS1_25partition_config_selectorILNS1_17partition_subalgoE9EllbEEZZNS1_14partition_implILS5_9ELb0ES3_jPlS8_PNS0_10empty_typeENS0_5tupleIJS8_S9_EEENSB_IJS8_SA_EEENS0_18inequality_wrapperIZN2at6native12_GLOBAL__N_124unique_dim_cuda_templateItEESt5tupleIJNSF_6TensorESK_SK_EERKSK_lbbbEUlllE0_EEPmJS9_EEE10hipError_tPvRmT3_T4_T5_T6_T7_T9_mT8_P12ihipStream_tbDpT10_ENKUlT_T0_E_clISt17integral_constantIbLb0EES1A_EEDaS15_S16_EUlS15_E_NS1_11comp_targetILNS1_3genE3ELNS1_11target_archE908ELNS1_3gpuE7ELNS1_3repE0EEENS1_30default_config_static_selectorELNS0_4arch9wavefront6targetE1EEEvT1_
                                        ; -- End function
	.set _ZN7rocprim17ROCPRIM_400000_NS6detail17trampoline_kernelINS0_14default_configENS1_25partition_config_selectorILNS1_17partition_subalgoE9EllbEEZZNS1_14partition_implILS5_9ELb0ES3_jPlS8_PNS0_10empty_typeENS0_5tupleIJS8_S9_EEENSB_IJS8_SA_EEENS0_18inequality_wrapperIZN2at6native12_GLOBAL__N_124unique_dim_cuda_templateItEESt5tupleIJNSF_6TensorESK_SK_EERKSK_lbbbEUlllE0_EEPmJS9_EEE10hipError_tPvRmT3_T4_T5_T6_T7_T9_mT8_P12ihipStream_tbDpT10_ENKUlT_T0_E_clISt17integral_constantIbLb0EES1A_EEDaS15_S16_EUlS15_E_NS1_11comp_targetILNS1_3genE3ELNS1_11target_archE908ELNS1_3gpuE7ELNS1_3repE0EEENS1_30default_config_static_selectorELNS0_4arch9wavefront6targetE1EEEvT1_.num_vgpr, 0
	.set _ZN7rocprim17ROCPRIM_400000_NS6detail17trampoline_kernelINS0_14default_configENS1_25partition_config_selectorILNS1_17partition_subalgoE9EllbEEZZNS1_14partition_implILS5_9ELb0ES3_jPlS8_PNS0_10empty_typeENS0_5tupleIJS8_S9_EEENSB_IJS8_SA_EEENS0_18inequality_wrapperIZN2at6native12_GLOBAL__N_124unique_dim_cuda_templateItEESt5tupleIJNSF_6TensorESK_SK_EERKSK_lbbbEUlllE0_EEPmJS9_EEE10hipError_tPvRmT3_T4_T5_T6_T7_T9_mT8_P12ihipStream_tbDpT10_ENKUlT_T0_E_clISt17integral_constantIbLb0EES1A_EEDaS15_S16_EUlS15_E_NS1_11comp_targetILNS1_3genE3ELNS1_11target_archE908ELNS1_3gpuE7ELNS1_3repE0EEENS1_30default_config_static_selectorELNS0_4arch9wavefront6targetE1EEEvT1_.num_agpr, 0
	.set _ZN7rocprim17ROCPRIM_400000_NS6detail17trampoline_kernelINS0_14default_configENS1_25partition_config_selectorILNS1_17partition_subalgoE9EllbEEZZNS1_14partition_implILS5_9ELb0ES3_jPlS8_PNS0_10empty_typeENS0_5tupleIJS8_S9_EEENSB_IJS8_SA_EEENS0_18inequality_wrapperIZN2at6native12_GLOBAL__N_124unique_dim_cuda_templateItEESt5tupleIJNSF_6TensorESK_SK_EERKSK_lbbbEUlllE0_EEPmJS9_EEE10hipError_tPvRmT3_T4_T5_T6_T7_T9_mT8_P12ihipStream_tbDpT10_ENKUlT_T0_E_clISt17integral_constantIbLb0EES1A_EEDaS15_S16_EUlS15_E_NS1_11comp_targetILNS1_3genE3ELNS1_11target_archE908ELNS1_3gpuE7ELNS1_3repE0EEENS1_30default_config_static_selectorELNS0_4arch9wavefront6targetE1EEEvT1_.numbered_sgpr, 0
	.set _ZN7rocprim17ROCPRIM_400000_NS6detail17trampoline_kernelINS0_14default_configENS1_25partition_config_selectorILNS1_17partition_subalgoE9EllbEEZZNS1_14partition_implILS5_9ELb0ES3_jPlS8_PNS0_10empty_typeENS0_5tupleIJS8_S9_EEENSB_IJS8_SA_EEENS0_18inequality_wrapperIZN2at6native12_GLOBAL__N_124unique_dim_cuda_templateItEESt5tupleIJNSF_6TensorESK_SK_EERKSK_lbbbEUlllE0_EEPmJS9_EEE10hipError_tPvRmT3_T4_T5_T6_T7_T9_mT8_P12ihipStream_tbDpT10_ENKUlT_T0_E_clISt17integral_constantIbLb0EES1A_EEDaS15_S16_EUlS15_E_NS1_11comp_targetILNS1_3genE3ELNS1_11target_archE908ELNS1_3gpuE7ELNS1_3repE0EEENS1_30default_config_static_selectorELNS0_4arch9wavefront6targetE1EEEvT1_.num_named_barrier, 0
	.set _ZN7rocprim17ROCPRIM_400000_NS6detail17trampoline_kernelINS0_14default_configENS1_25partition_config_selectorILNS1_17partition_subalgoE9EllbEEZZNS1_14partition_implILS5_9ELb0ES3_jPlS8_PNS0_10empty_typeENS0_5tupleIJS8_S9_EEENSB_IJS8_SA_EEENS0_18inequality_wrapperIZN2at6native12_GLOBAL__N_124unique_dim_cuda_templateItEESt5tupleIJNSF_6TensorESK_SK_EERKSK_lbbbEUlllE0_EEPmJS9_EEE10hipError_tPvRmT3_T4_T5_T6_T7_T9_mT8_P12ihipStream_tbDpT10_ENKUlT_T0_E_clISt17integral_constantIbLb0EES1A_EEDaS15_S16_EUlS15_E_NS1_11comp_targetILNS1_3genE3ELNS1_11target_archE908ELNS1_3gpuE7ELNS1_3repE0EEENS1_30default_config_static_selectorELNS0_4arch9wavefront6targetE1EEEvT1_.private_seg_size, 0
	.set _ZN7rocprim17ROCPRIM_400000_NS6detail17trampoline_kernelINS0_14default_configENS1_25partition_config_selectorILNS1_17partition_subalgoE9EllbEEZZNS1_14partition_implILS5_9ELb0ES3_jPlS8_PNS0_10empty_typeENS0_5tupleIJS8_S9_EEENSB_IJS8_SA_EEENS0_18inequality_wrapperIZN2at6native12_GLOBAL__N_124unique_dim_cuda_templateItEESt5tupleIJNSF_6TensorESK_SK_EERKSK_lbbbEUlllE0_EEPmJS9_EEE10hipError_tPvRmT3_T4_T5_T6_T7_T9_mT8_P12ihipStream_tbDpT10_ENKUlT_T0_E_clISt17integral_constantIbLb0EES1A_EEDaS15_S16_EUlS15_E_NS1_11comp_targetILNS1_3genE3ELNS1_11target_archE908ELNS1_3gpuE7ELNS1_3repE0EEENS1_30default_config_static_selectorELNS0_4arch9wavefront6targetE1EEEvT1_.uses_vcc, 0
	.set _ZN7rocprim17ROCPRIM_400000_NS6detail17trampoline_kernelINS0_14default_configENS1_25partition_config_selectorILNS1_17partition_subalgoE9EllbEEZZNS1_14partition_implILS5_9ELb0ES3_jPlS8_PNS0_10empty_typeENS0_5tupleIJS8_S9_EEENSB_IJS8_SA_EEENS0_18inequality_wrapperIZN2at6native12_GLOBAL__N_124unique_dim_cuda_templateItEESt5tupleIJNSF_6TensorESK_SK_EERKSK_lbbbEUlllE0_EEPmJS9_EEE10hipError_tPvRmT3_T4_T5_T6_T7_T9_mT8_P12ihipStream_tbDpT10_ENKUlT_T0_E_clISt17integral_constantIbLb0EES1A_EEDaS15_S16_EUlS15_E_NS1_11comp_targetILNS1_3genE3ELNS1_11target_archE908ELNS1_3gpuE7ELNS1_3repE0EEENS1_30default_config_static_selectorELNS0_4arch9wavefront6targetE1EEEvT1_.uses_flat_scratch, 0
	.set _ZN7rocprim17ROCPRIM_400000_NS6detail17trampoline_kernelINS0_14default_configENS1_25partition_config_selectorILNS1_17partition_subalgoE9EllbEEZZNS1_14partition_implILS5_9ELb0ES3_jPlS8_PNS0_10empty_typeENS0_5tupleIJS8_S9_EEENSB_IJS8_SA_EEENS0_18inequality_wrapperIZN2at6native12_GLOBAL__N_124unique_dim_cuda_templateItEESt5tupleIJNSF_6TensorESK_SK_EERKSK_lbbbEUlllE0_EEPmJS9_EEE10hipError_tPvRmT3_T4_T5_T6_T7_T9_mT8_P12ihipStream_tbDpT10_ENKUlT_T0_E_clISt17integral_constantIbLb0EES1A_EEDaS15_S16_EUlS15_E_NS1_11comp_targetILNS1_3genE3ELNS1_11target_archE908ELNS1_3gpuE7ELNS1_3repE0EEENS1_30default_config_static_selectorELNS0_4arch9wavefront6targetE1EEEvT1_.has_dyn_sized_stack, 0
	.set _ZN7rocprim17ROCPRIM_400000_NS6detail17trampoline_kernelINS0_14default_configENS1_25partition_config_selectorILNS1_17partition_subalgoE9EllbEEZZNS1_14partition_implILS5_9ELb0ES3_jPlS8_PNS0_10empty_typeENS0_5tupleIJS8_S9_EEENSB_IJS8_SA_EEENS0_18inequality_wrapperIZN2at6native12_GLOBAL__N_124unique_dim_cuda_templateItEESt5tupleIJNSF_6TensorESK_SK_EERKSK_lbbbEUlllE0_EEPmJS9_EEE10hipError_tPvRmT3_T4_T5_T6_T7_T9_mT8_P12ihipStream_tbDpT10_ENKUlT_T0_E_clISt17integral_constantIbLb0EES1A_EEDaS15_S16_EUlS15_E_NS1_11comp_targetILNS1_3genE3ELNS1_11target_archE908ELNS1_3gpuE7ELNS1_3repE0EEENS1_30default_config_static_selectorELNS0_4arch9wavefront6targetE1EEEvT1_.has_recursion, 0
	.set _ZN7rocprim17ROCPRIM_400000_NS6detail17trampoline_kernelINS0_14default_configENS1_25partition_config_selectorILNS1_17partition_subalgoE9EllbEEZZNS1_14partition_implILS5_9ELb0ES3_jPlS8_PNS0_10empty_typeENS0_5tupleIJS8_S9_EEENSB_IJS8_SA_EEENS0_18inequality_wrapperIZN2at6native12_GLOBAL__N_124unique_dim_cuda_templateItEESt5tupleIJNSF_6TensorESK_SK_EERKSK_lbbbEUlllE0_EEPmJS9_EEE10hipError_tPvRmT3_T4_T5_T6_T7_T9_mT8_P12ihipStream_tbDpT10_ENKUlT_T0_E_clISt17integral_constantIbLb0EES1A_EEDaS15_S16_EUlS15_E_NS1_11comp_targetILNS1_3genE3ELNS1_11target_archE908ELNS1_3gpuE7ELNS1_3repE0EEENS1_30default_config_static_selectorELNS0_4arch9wavefront6targetE1EEEvT1_.has_indirect_call, 0
	.section	.AMDGPU.csdata,"",@progbits
; Kernel info:
; codeLenInByte = 0
; TotalNumSgprs: 6
; NumVgprs: 0
; NumAgprs: 0
; TotalNumVgprs: 0
; ScratchSize: 0
; MemoryBound: 0
; FloatMode: 240
; IeeeMode: 1
; LDSByteSize: 0 bytes/workgroup (compile time only)
; SGPRBlocks: 0
; VGPRBlocks: 0
; NumSGPRsForWavesPerEU: 6
; NumVGPRsForWavesPerEU: 1
; AccumOffset: 4
; Occupancy: 8
; WaveLimiterHint : 0
; COMPUTE_PGM_RSRC2:SCRATCH_EN: 0
; COMPUTE_PGM_RSRC2:USER_SGPR: 2
; COMPUTE_PGM_RSRC2:TRAP_HANDLER: 0
; COMPUTE_PGM_RSRC2:TGID_X_EN: 1
; COMPUTE_PGM_RSRC2:TGID_Y_EN: 0
; COMPUTE_PGM_RSRC2:TGID_Z_EN: 0
; COMPUTE_PGM_RSRC2:TIDIG_COMP_CNT: 0
; COMPUTE_PGM_RSRC3_GFX90A:ACCUM_OFFSET: 0
; COMPUTE_PGM_RSRC3_GFX90A:TG_SPLIT: 0
	.section	.text._ZN7rocprim17ROCPRIM_400000_NS6detail17trampoline_kernelINS0_14default_configENS1_25partition_config_selectorILNS1_17partition_subalgoE9EllbEEZZNS1_14partition_implILS5_9ELb0ES3_jPlS8_PNS0_10empty_typeENS0_5tupleIJS8_S9_EEENSB_IJS8_SA_EEENS0_18inequality_wrapperIZN2at6native12_GLOBAL__N_124unique_dim_cuda_templateItEESt5tupleIJNSF_6TensorESK_SK_EERKSK_lbbbEUlllE0_EEPmJS9_EEE10hipError_tPvRmT3_T4_T5_T6_T7_T9_mT8_P12ihipStream_tbDpT10_ENKUlT_T0_E_clISt17integral_constantIbLb0EES1A_EEDaS15_S16_EUlS15_E_NS1_11comp_targetILNS1_3genE2ELNS1_11target_archE906ELNS1_3gpuE6ELNS1_3repE0EEENS1_30default_config_static_selectorELNS0_4arch9wavefront6targetE1EEEvT1_,"axG",@progbits,_ZN7rocprim17ROCPRIM_400000_NS6detail17trampoline_kernelINS0_14default_configENS1_25partition_config_selectorILNS1_17partition_subalgoE9EllbEEZZNS1_14partition_implILS5_9ELb0ES3_jPlS8_PNS0_10empty_typeENS0_5tupleIJS8_S9_EEENSB_IJS8_SA_EEENS0_18inequality_wrapperIZN2at6native12_GLOBAL__N_124unique_dim_cuda_templateItEESt5tupleIJNSF_6TensorESK_SK_EERKSK_lbbbEUlllE0_EEPmJS9_EEE10hipError_tPvRmT3_T4_T5_T6_T7_T9_mT8_P12ihipStream_tbDpT10_ENKUlT_T0_E_clISt17integral_constantIbLb0EES1A_EEDaS15_S16_EUlS15_E_NS1_11comp_targetILNS1_3genE2ELNS1_11target_archE906ELNS1_3gpuE6ELNS1_3repE0EEENS1_30default_config_static_selectorELNS0_4arch9wavefront6targetE1EEEvT1_,comdat
	.globl	_ZN7rocprim17ROCPRIM_400000_NS6detail17trampoline_kernelINS0_14default_configENS1_25partition_config_selectorILNS1_17partition_subalgoE9EllbEEZZNS1_14partition_implILS5_9ELb0ES3_jPlS8_PNS0_10empty_typeENS0_5tupleIJS8_S9_EEENSB_IJS8_SA_EEENS0_18inequality_wrapperIZN2at6native12_GLOBAL__N_124unique_dim_cuda_templateItEESt5tupleIJNSF_6TensorESK_SK_EERKSK_lbbbEUlllE0_EEPmJS9_EEE10hipError_tPvRmT3_T4_T5_T6_T7_T9_mT8_P12ihipStream_tbDpT10_ENKUlT_T0_E_clISt17integral_constantIbLb0EES1A_EEDaS15_S16_EUlS15_E_NS1_11comp_targetILNS1_3genE2ELNS1_11target_archE906ELNS1_3gpuE6ELNS1_3repE0EEENS1_30default_config_static_selectorELNS0_4arch9wavefront6targetE1EEEvT1_ ; -- Begin function _ZN7rocprim17ROCPRIM_400000_NS6detail17trampoline_kernelINS0_14default_configENS1_25partition_config_selectorILNS1_17partition_subalgoE9EllbEEZZNS1_14partition_implILS5_9ELb0ES3_jPlS8_PNS0_10empty_typeENS0_5tupleIJS8_S9_EEENSB_IJS8_SA_EEENS0_18inequality_wrapperIZN2at6native12_GLOBAL__N_124unique_dim_cuda_templateItEESt5tupleIJNSF_6TensorESK_SK_EERKSK_lbbbEUlllE0_EEPmJS9_EEE10hipError_tPvRmT3_T4_T5_T6_T7_T9_mT8_P12ihipStream_tbDpT10_ENKUlT_T0_E_clISt17integral_constantIbLb0EES1A_EEDaS15_S16_EUlS15_E_NS1_11comp_targetILNS1_3genE2ELNS1_11target_archE906ELNS1_3gpuE6ELNS1_3repE0EEENS1_30default_config_static_selectorELNS0_4arch9wavefront6targetE1EEEvT1_
	.p2align	8
	.type	_ZN7rocprim17ROCPRIM_400000_NS6detail17trampoline_kernelINS0_14default_configENS1_25partition_config_selectorILNS1_17partition_subalgoE9EllbEEZZNS1_14partition_implILS5_9ELb0ES3_jPlS8_PNS0_10empty_typeENS0_5tupleIJS8_S9_EEENSB_IJS8_SA_EEENS0_18inequality_wrapperIZN2at6native12_GLOBAL__N_124unique_dim_cuda_templateItEESt5tupleIJNSF_6TensorESK_SK_EERKSK_lbbbEUlllE0_EEPmJS9_EEE10hipError_tPvRmT3_T4_T5_T6_T7_T9_mT8_P12ihipStream_tbDpT10_ENKUlT_T0_E_clISt17integral_constantIbLb0EES1A_EEDaS15_S16_EUlS15_E_NS1_11comp_targetILNS1_3genE2ELNS1_11target_archE906ELNS1_3gpuE6ELNS1_3repE0EEENS1_30default_config_static_selectorELNS0_4arch9wavefront6targetE1EEEvT1_,@function
_ZN7rocprim17ROCPRIM_400000_NS6detail17trampoline_kernelINS0_14default_configENS1_25partition_config_selectorILNS1_17partition_subalgoE9EllbEEZZNS1_14partition_implILS5_9ELb0ES3_jPlS8_PNS0_10empty_typeENS0_5tupleIJS8_S9_EEENSB_IJS8_SA_EEENS0_18inequality_wrapperIZN2at6native12_GLOBAL__N_124unique_dim_cuda_templateItEESt5tupleIJNSF_6TensorESK_SK_EERKSK_lbbbEUlllE0_EEPmJS9_EEE10hipError_tPvRmT3_T4_T5_T6_T7_T9_mT8_P12ihipStream_tbDpT10_ENKUlT_T0_E_clISt17integral_constantIbLb0EES1A_EEDaS15_S16_EUlS15_E_NS1_11comp_targetILNS1_3genE2ELNS1_11target_archE906ELNS1_3gpuE6ELNS1_3repE0EEENS1_30default_config_static_selectorELNS0_4arch9wavefront6targetE1EEEvT1_: ; @_ZN7rocprim17ROCPRIM_400000_NS6detail17trampoline_kernelINS0_14default_configENS1_25partition_config_selectorILNS1_17partition_subalgoE9EllbEEZZNS1_14partition_implILS5_9ELb0ES3_jPlS8_PNS0_10empty_typeENS0_5tupleIJS8_S9_EEENSB_IJS8_SA_EEENS0_18inequality_wrapperIZN2at6native12_GLOBAL__N_124unique_dim_cuda_templateItEESt5tupleIJNSF_6TensorESK_SK_EERKSK_lbbbEUlllE0_EEPmJS9_EEE10hipError_tPvRmT3_T4_T5_T6_T7_T9_mT8_P12ihipStream_tbDpT10_ENKUlT_T0_E_clISt17integral_constantIbLb0EES1A_EEDaS15_S16_EUlS15_E_NS1_11comp_targetILNS1_3genE2ELNS1_11target_archE906ELNS1_3gpuE6ELNS1_3repE0EEENS1_30default_config_static_selectorELNS0_4arch9wavefront6targetE1EEEvT1_
; %bb.0:
	.section	.rodata,"a",@progbits
	.p2align	6, 0x0
	.amdhsa_kernel _ZN7rocprim17ROCPRIM_400000_NS6detail17trampoline_kernelINS0_14default_configENS1_25partition_config_selectorILNS1_17partition_subalgoE9EllbEEZZNS1_14partition_implILS5_9ELb0ES3_jPlS8_PNS0_10empty_typeENS0_5tupleIJS8_S9_EEENSB_IJS8_SA_EEENS0_18inequality_wrapperIZN2at6native12_GLOBAL__N_124unique_dim_cuda_templateItEESt5tupleIJNSF_6TensorESK_SK_EERKSK_lbbbEUlllE0_EEPmJS9_EEE10hipError_tPvRmT3_T4_T5_T6_T7_T9_mT8_P12ihipStream_tbDpT10_ENKUlT_T0_E_clISt17integral_constantIbLb0EES1A_EEDaS15_S16_EUlS15_E_NS1_11comp_targetILNS1_3genE2ELNS1_11target_archE906ELNS1_3gpuE6ELNS1_3repE0EEENS1_30default_config_static_selectorELNS0_4arch9wavefront6targetE1EEEvT1_
		.amdhsa_group_segment_fixed_size 0
		.amdhsa_private_segment_fixed_size 0
		.amdhsa_kernarg_size 120
		.amdhsa_user_sgpr_count 2
		.amdhsa_user_sgpr_dispatch_ptr 0
		.amdhsa_user_sgpr_queue_ptr 0
		.amdhsa_user_sgpr_kernarg_segment_ptr 1
		.amdhsa_user_sgpr_dispatch_id 0
		.amdhsa_user_sgpr_kernarg_preload_length 0
		.amdhsa_user_sgpr_kernarg_preload_offset 0
		.amdhsa_user_sgpr_private_segment_size 0
		.amdhsa_uses_dynamic_stack 0
		.amdhsa_enable_private_segment 0
		.amdhsa_system_sgpr_workgroup_id_x 1
		.amdhsa_system_sgpr_workgroup_id_y 0
		.amdhsa_system_sgpr_workgroup_id_z 0
		.amdhsa_system_sgpr_workgroup_info 0
		.amdhsa_system_vgpr_workitem_id 0
		.amdhsa_next_free_vgpr 1
		.amdhsa_next_free_sgpr 0
		.amdhsa_accum_offset 4
		.amdhsa_reserve_vcc 0
		.amdhsa_float_round_mode_32 0
		.amdhsa_float_round_mode_16_64 0
		.amdhsa_float_denorm_mode_32 3
		.amdhsa_float_denorm_mode_16_64 3
		.amdhsa_dx10_clamp 1
		.amdhsa_ieee_mode 1
		.amdhsa_fp16_overflow 0
		.amdhsa_tg_split 0
		.amdhsa_exception_fp_ieee_invalid_op 0
		.amdhsa_exception_fp_denorm_src 0
		.amdhsa_exception_fp_ieee_div_zero 0
		.amdhsa_exception_fp_ieee_overflow 0
		.amdhsa_exception_fp_ieee_underflow 0
		.amdhsa_exception_fp_ieee_inexact 0
		.amdhsa_exception_int_div_zero 0
	.end_amdhsa_kernel
	.section	.text._ZN7rocprim17ROCPRIM_400000_NS6detail17trampoline_kernelINS0_14default_configENS1_25partition_config_selectorILNS1_17partition_subalgoE9EllbEEZZNS1_14partition_implILS5_9ELb0ES3_jPlS8_PNS0_10empty_typeENS0_5tupleIJS8_S9_EEENSB_IJS8_SA_EEENS0_18inequality_wrapperIZN2at6native12_GLOBAL__N_124unique_dim_cuda_templateItEESt5tupleIJNSF_6TensorESK_SK_EERKSK_lbbbEUlllE0_EEPmJS9_EEE10hipError_tPvRmT3_T4_T5_T6_T7_T9_mT8_P12ihipStream_tbDpT10_ENKUlT_T0_E_clISt17integral_constantIbLb0EES1A_EEDaS15_S16_EUlS15_E_NS1_11comp_targetILNS1_3genE2ELNS1_11target_archE906ELNS1_3gpuE6ELNS1_3repE0EEENS1_30default_config_static_selectorELNS0_4arch9wavefront6targetE1EEEvT1_,"axG",@progbits,_ZN7rocprim17ROCPRIM_400000_NS6detail17trampoline_kernelINS0_14default_configENS1_25partition_config_selectorILNS1_17partition_subalgoE9EllbEEZZNS1_14partition_implILS5_9ELb0ES3_jPlS8_PNS0_10empty_typeENS0_5tupleIJS8_S9_EEENSB_IJS8_SA_EEENS0_18inequality_wrapperIZN2at6native12_GLOBAL__N_124unique_dim_cuda_templateItEESt5tupleIJNSF_6TensorESK_SK_EERKSK_lbbbEUlllE0_EEPmJS9_EEE10hipError_tPvRmT3_T4_T5_T6_T7_T9_mT8_P12ihipStream_tbDpT10_ENKUlT_T0_E_clISt17integral_constantIbLb0EES1A_EEDaS15_S16_EUlS15_E_NS1_11comp_targetILNS1_3genE2ELNS1_11target_archE906ELNS1_3gpuE6ELNS1_3repE0EEENS1_30default_config_static_selectorELNS0_4arch9wavefront6targetE1EEEvT1_,comdat
.Lfunc_end1455:
	.size	_ZN7rocprim17ROCPRIM_400000_NS6detail17trampoline_kernelINS0_14default_configENS1_25partition_config_selectorILNS1_17partition_subalgoE9EllbEEZZNS1_14partition_implILS5_9ELb0ES3_jPlS8_PNS0_10empty_typeENS0_5tupleIJS8_S9_EEENSB_IJS8_SA_EEENS0_18inequality_wrapperIZN2at6native12_GLOBAL__N_124unique_dim_cuda_templateItEESt5tupleIJNSF_6TensorESK_SK_EERKSK_lbbbEUlllE0_EEPmJS9_EEE10hipError_tPvRmT3_T4_T5_T6_T7_T9_mT8_P12ihipStream_tbDpT10_ENKUlT_T0_E_clISt17integral_constantIbLb0EES1A_EEDaS15_S16_EUlS15_E_NS1_11comp_targetILNS1_3genE2ELNS1_11target_archE906ELNS1_3gpuE6ELNS1_3repE0EEENS1_30default_config_static_selectorELNS0_4arch9wavefront6targetE1EEEvT1_, .Lfunc_end1455-_ZN7rocprim17ROCPRIM_400000_NS6detail17trampoline_kernelINS0_14default_configENS1_25partition_config_selectorILNS1_17partition_subalgoE9EllbEEZZNS1_14partition_implILS5_9ELb0ES3_jPlS8_PNS0_10empty_typeENS0_5tupleIJS8_S9_EEENSB_IJS8_SA_EEENS0_18inequality_wrapperIZN2at6native12_GLOBAL__N_124unique_dim_cuda_templateItEESt5tupleIJNSF_6TensorESK_SK_EERKSK_lbbbEUlllE0_EEPmJS9_EEE10hipError_tPvRmT3_T4_T5_T6_T7_T9_mT8_P12ihipStream_tbDpT10_ENKUlT_T0_E_clISt17integral_constantIbLb0EES1A_EEDaS15_S16_EUlS15_E_NS1_11comp_targetILNS1_3genE2ELNS1_11target_archE906ELNS1_3gpuE6ELNS1_3repE0EEENS1_30default_config_static_selectorELNS0_4arch9wavefront6targetE1EEEvT1_
                                        ; -- End function
	.set _ZN7rocprim17ROCPRIM_400000_NS6detail17trampoline_kernelINS0_14default_configENS1_25partition_config_selectorILNS1_17partition_subalgoE9EllbEEZZNS1_14partition_implILS5_9ELb0ES3_jPlS8_PNS0_10empty_typeENS0_5tupleIJS8_S9_EEENSB_IJS8_SA_EEENS0_18inequality_wrapperIZN2at6native12_GLOBAL__N_124unique_dim_cuda_templateItEESt5tupleIJNSF_6TensorESK_SK_EERKSK_lbbbEUlllE0_EEPmJS9_EEE10hipError_tPvRmT3_T4_T5_T6_T7_T9_mT8_P12ihipStream_tbDpT10_ENKUlT_T0_E_clISt17integral_constantIbLb0EES1A_EEDaS15_S16_EUlS15_E_NS1_11comp_targetILNS1_3genE2ELNS1_11target_archE906ELNS1_3gpuE6ELNS1_3repE0EEENS1_30default_config_static_selectorELNS0_4arch9wavefront6targetE1EEEvT1_.num_vgpr, 0
	.set _ZN7rocprim17ROCPRIM_400000_NS6detail17trampoline_kernelINS0_14default_configENS1_25partition_config_selectorILNS1_17partition_subalgoE9EllbEEZZNS1_14partition_implILS5_9ELb0ES3_jPlS8_PNS0_10empty_typeENS0_5tupleIJS8_S9_EEENSB_IJS8_SA_EEENS0_18inequality_wrapperIZN2at6native12_GLOBAL__N_124unique_dim_cuda_templateItEESt5tupleIJNSF_6TensorESK_SK_EERKSK_lbbbEUlllE0_EEPmJS9_EEE10hipError_tPvRmT3_T4_T5_T6_T7_T9_mT8_P12ihipStream_tbDpT10_ENKUlT_T0_E_clISt17integral_constantIbLb0EES1A_EEDaS15_S16_EUlS15_E_NS1_11comp_targetILNS1_3genE2ELNS1_11target_archE906ELNS1_3gpuE6ELNS1_3repE0EEENS1_30default_config_static_selectorELNS0_4arch9wavefront6targetE1EEEvT1_.num_agpr, 0
	.set _ZN7rocprim17ROCPRIM_400000_NS6detail17trampoline_kernelINS0_14default_configENS1_25partition_config_selectorILNS1_17partition_subalgoE9EllbEEZZNS1_14partition_implILS5_9ELb0ES3_jPlS8_PNS0_10empty_typeENS0_5tupleIJS8_S9_EEENSB_IJS8_SA_EEENS0_18inequality_wrapperIZN2at6native12_GLOBAL__N_124unique_dim_cuda_templateItEESt5tupleIJNSF_6TensorESK_SK_EERKSK_lbbbEUlllE0_EEPmJS9_EEE10hipError_tPvRmT3_T4_T5_T6_T7_T9_mT8_P12ihipStream_tbDpT10_ENKUlT_T0_E_clISt17integral_constantIbLb0EES1A_EEDaS15_S16_EUlS15_E_NS1_11comp_targetILNS1_3genE2ELNS1_11target_archE906ELNS1_3gpuE6ELNS1_3repE0EEENS1_30default_config_static_selectorELNS0_4arch9wavefront6targetE1EEEvT1_.numbered_sgpr, 0
	.set _ZN7rocprim17ROCPRIM_400000_NS6detail17trampoline_kernelINS0_14default_configENS1_25partition_config_selectorILNS1_17partition_subalgoE9EllbEEZZNS1_14partition_implILS5_9ELb0ES3_jPlS8_PNS0_10empty_typeENS0_5tupleIJS8_S9_EEENSB_IJS8_SA_EEENS0_18inequality_wrapperIZN2at6native12_GLOBAL__N_124unique_dim_cuda_templateItEESt5tupleIJNSF_6TensorESK_SK_EERKSK_lbbbEUlllE0_EEPmJS9_EEE10hipError_tPvRmT3_T4_T5_T6_T7_T9_mT8_P12ihipStream_tbDpT10_ENKUlT_T0_E_clISt17integral_constantIbLb0EES1A_EEDaS15_S16_EUlS15_E_NS1_11comp_targetILNS1_3genE2ELNS1_11target_archE906ELNS1_3gpuE6ELNS1_3repE0EEENS1_30default_config_static_selectorELNS0_4arch9wavefront6targetE1EEEvT1_.num_named_barrier, 0
	.set _ZN7rocprim17ROCPRIM_400000_NS6detail17trampoline_kernelINS0_14default_configENS1_25partition_config_selectorILNS1_17partition_subalgoE9EllbEEZZNS1_14partition_implILS5_9ELb0ES3_jPlS8_PNS0_10empty_typeENS0_5tupleIJS8_S9_EEENSB_IJS8_SA_EEENS0_18inequality_wrapperIZN2at6native12_GLOBAL__N_124unique_dim_cuda_templateItEESt5tupleIJNSF_6TensorESK_SK_EERKSK_lbbbEUlllE0_EEPmJS9_EEE10hipError_tPvRmT3_T4_T5_T6_T7_T9_mT8_P12ihipStream_tbDpT10_ENKUlT_T0_E_clISt17integral_constantIbLb0EES1A_EEDaS15_S16_EUlS15_E_NS1_11comp_targetILNS1_3genE2ELNS1_11target_archE906ELNS1_3gpuE6ELNS1_3repE0EEENS1_30default_config_static_selectorELNS0_4arch9wavefront6targetE1EEEvT1_.private_seg_size, 0
	.set _ZN7rocprim17ROCPRIM_400000_NS6detail17trampoline_kernelINS0_14default_configENS1_25partition_config_selectorILNS1_17partition_subalgoE9EllbEEZZNS1_14partition_implILS5_9ELb0ES3_jPlS8_PNS0_10empty_typeENS0_5tupleIJS8_S9_EEENSB_IJS8_SA_EEENS0_18inequality_wrapperIZN2at6native12_GLOBAL__N_124unique_dim_cuda_templateItEESt5tupleIJNSF_6TensorESK_SK_EERKSK_lbbbEUlllE0_EEPmJS9_EEE10hipError_tPvRmT3_T4_T5_T6_T7_T9_mT8_P12ihipStream_tbDpT10_ENKUlT_T0_E_clISt17integral_constantIbLb0EES1A_EEDaS15_S16_EUlS15_E_NS1_11comp_targetILNS1_3genE2ELNS1_11target_archE906ELNS1_3gpuE6ELNS1_3repE0EEENS1_30default_config_static_selectorELNS0_4arch9wavefront6targetE1EEEvT1_.uses_vcc, 0
	.set _ZN7rocprim17ROCPRIM_400000_NS6detail17trampoline_kernelINS0_14default_configENS1_25partition_config_selectorILNS1_17partition_subalgoE9EllbEEZZNS1_14partition_implILS5_9ELb0ES3_jPlS8_PNS0_10empty_typeENS0_5tupleIJS8_S9_EEENSB_IJS8_SA_EEENS0_18inequality_wrapperIZN2at6native12_GLOBAL__N_124unique_dim_cuda_templateItEESt5tupleIJNSF_6TensorESK_SK_EERKSK_lbbbEUlllE0_EEPmJS9_EEE10hipError_tPvRmT3_T4_T5_T6_T7_T9_mT8_P12ihipStream_tbDpT10_ENKUlT_T0_E_clISt17integral_constantIbLb0EES1A_EEDaS15_S16_EUlS15_E_NS1_11comp_targetILNS1_3genE2ELNS1_11target_archE906ELNS1_3gpuE6ELNS1_3repE0EEENS1_30default_config_static_selectorELNS0_4arch9wavefront6targetE1EEEvT1_.uses_flat_scratch, 0
	.set _ZN7rocprim17ROCPRIM_400000_NS6detail17trampoline_kernelINS0_14default_configENS1_25partition_config_selectorILNS1_17partition_subalgoE9EllbEEZZNS1_14partition_implILS5_9ELb0ES3_jPlS8_PNS0_10empty_typeENS0_5tupleIJS8_S9_EEENSB_IJS8_SA_EEENS0_18inequality_wrapperIZN2at6native12_GLOBAL__N_124unique_dim_cuda_templateItEESt5tupleIJNSF_6TensorESK_SK_EERKSK_lbbbEUlllE0_EEPmJS9_EEE10hipError_tPvRmT3_T4_T5_T6_T7_T9_mT8_P12ihipStream_tbDpT10_ENKUlT_T0_E_clISt17integral_constantIbLb0EES1A_EEDaS15_S16_EUlS15_E_NS1_11comp_targetILNS1_3genE2ELNS1_11target_archE906ELNS1_3gpuE6ELNS1_3repE0EEENS1_30default_config_static_selectorELNS0_4arch9wavefront6targetE1EEEvT1_.has_dyn_sized_stack, 0
	.set _ZN7rocprim17ROCPRIM_400000_NS6detail17trampoline_kernelINS0_14default_configENS1_25partition_config_selectorILNS1_17partition_subalgoE9EllbEEZZNS1_14partition_implILS5_9ELb0ES3_jPlS8_PNS0_10empty_typeENS0_5tupleIJS8_S9_EEENSB_IJS8_SA_EEENS0_18inequality_wrapperIZN2at6native12_GLOBAL__N_124unique_dim_cuda_templateItEESt5tupleIJNSF_6TensorESK_SK_EERKSK_lbbbEUlllE0_EEPmJS9_EEE10hipError_tPvRmT3_T4_T5_T6_T7_T9_mT8_P12ihipStream_tbDpT10_ENKUlT_T0_E_clISt17integral_constantIbLb0EES1A_EEDaS15_S16_EUlS15_E_NS1_11comp_targetILNS1_3genE2ELNS1_11target_archE906ELNS1_3gpuE6ELNS1_3repE0EEENS1_30default_config_static_selectorELNS0_4arch9wavefront6targetE1EEEvT1_.has_recursion, 0
	.set _ZN7rocprim17ROCPRIM_400000_NS6detail17trampoline_kernelINS0_14default_configENS1_25partition_config_selectorILNS1_17partition_subalgoE9EllbEEZZNS1_14partition_implILS5_9ELb0ES3_jPlS8_PNS0_10empty_typeENS0_5tupleIJS8_S9_EEENSB_IJS8_SA_EEENS0_18inequality_wrapperIZN2at6native12_GLOBAL__N_124unique_dim_cuda_templateItEESt5tupleIJNSF_6TensorESK_SK_EERKSK_lbbbEUlllE0_EEPmJS9_EEE10hipError_tPvRmT3_T4_T5_T6_T7_T9_mT8_P12ihipStream_tbDpT10_ENKUlT_T0_E_clISt17integral_constantIbLb0EES1A_EEDaS15_S16_EUlS15_E_NS1_11comp_targetILNS1_3genE2ELNS1_11target_archE906ELNS1_3gpuE6ELNS1_3repE0EEENS1_30default_config_static_selectorELNS0_4arch9wavefront6targetE1EEEvT1_.has_indirect_call, 0
	.section	.AMDGPU.csdata,"",@progbits
; Kernel info:
; codeLenInByte = 0
; TotalNumSgprs: 6
; NumVgprs: 0
; NumAgprs: 0
; TotalNumVgprs: 0
; ScratchSize: 0
; MemoryBound: 0
; FloatMode: 240
; IeeeMode: 1
; LDSByteSize: 0 bytes/workgroup (compile time only)
; SGPRBlocks: 0
; VGPRBlocks: 0
; NumSGPRsForWavesPerEU: 6
; NumVGPRsForWavesPerEU: 1
; AccumOffset: 4
; Occupancy: 8
; WaveLimiterHint : 0
; COMPUTE_PGM_RSRC2:SCRATCH_EN: 0
; COMPUTE_PGM_RSRC2:USER_SGPR: 2
; COMPUTE_PGM_RSRC2:TRAP_HANDLER: 0
; COMPUTE_PGM_RSRC2:TGID_X_EN: 1
; COMPUTE_PGM_RSRC2:TGID_Y_EN: 0
; COMPUTE_PGM_RSRC2:TGID_Z_EN: 0
; COMPUTE_PGM_RSRC2:TIDIG_COMP_CNT: 0
; COMPUTE_PGM_RSRC3_GFX90A:ACCUM_OFFSET: 0
; COMPUTE_PGM_RSRC3_GFX90A:TG_SPLIT: 0
	.section	.text._ZN7rocprim17ROCPRIM_400000_NS6detail17trampoline_kernelINS0_14default_configENS1_25partition_config_selectorILNS1_17partition_subalgoE9EllbEEZZNS1_14partition_implILS5_9ELb0ES3_jPlS8_PNS0_10empty_typeENS0_5tupleIJS8_S9_EEENSB_IJS8_SA_EEENS0_18inequality_wrapperIZN2at6native12_GLOBAL__N_124unique_dim_cuda_templateItEESt5tupleIJNSF_6TensorESK_SK_EERKSK_lbbbEUlllE0_EEPmJS9_EEE10hipError_tPvRmT3_T4_T5_T6_T7_T9_mT8_P12ihipStream_tbDpT10_ENKUlT_T0_E_clISt17integral_constantIbLb0EES1A_EEDaS15_S16_EUlS15_E_NS1_11comp_targetILNS1_3genE10ELNS1_11target_archE1200ELNS1_3gpuE4ELNS1_3repE0EEENS1_30default_config_static_selectorELNS0_4arch9wavefront6targetE1EEEvT1_,"axG",@progbits,_ZN7rocprim17ROCPRIM_400000_NS6detail17trampoline_kernelINS0_14default_configENS1_25partition_config_selectorILNS1_17partition_subalgoE9EllbEEZZNS1_14partition_implILS5_9ELb0ES3_jPlS8_PNS0_10empty_typeENS0_5tupleIJS8_S9_EEENSB_IJS8_SA_EEENS0_18inequality_wrapperIZN2at6native12_GLOBAL__N_124unique_dim_cuda_templateItEESt5tupleIJNSF_6TensorESK_SK_EERKSK_lbbbEUlllE0_EEPmJS9_EEE10hipError_tPvRmT3_T4_T5_T6_T7_T9_mT8_P12ihipStream_tbDpT10_ENKUlT_T0_E_clISt17integral_constantIbLb0EES1A_EEDaS15_S16_EUlS15_E_NS1_11comp_targetILNS1_3genE10ELNS1_11target_archE1200ELNS1_3gpuE4ELNS1_3repE0EEENS1_30default_config_static_selectorELNS0_4arch9wavefront6targetE1EEEvT1_,comdat
	.globl	_ZN7rocprim17ROCPRIM_400000_NS6detail17trampoline_kernelINS0_14default_configENS1_25partition_config_selectorILNS1_17partition_subalgoE9EllbEEZZNS1_14partition_implILS5_9ELb0ES3_jPlS8_PNS0_10empty_typeENS0_5tupleIJS8_S9_EEENSB_IJS8_SA_EEENS0_18inequality_wrapperIZN2at6native12_GLOBAL__N_124unique_dim_cuda_templateItEESt5tupleIJNSF_6TensorESK_SK_EERKSK_lbbbEUlllE0_EEPmJS9_EEE10hipError_tPvRmT3_T4_T5_T6_T7_T9_mT8_P12ihipStream_tbDpT10_ENKUlT_T0_E_clISt17integral_constantIbLb0EES1A_EEDaS15_S16_EUlS15_E_NS1_11comp_targetILNS1_3genE10ELNS1_11target_archE1200ELNS1_3gpuE4ELNS1_3repE0EEENS1_30default_config_static_selectorELNS0_4arch9wavefront6targetE1EEEvT1_ ; -- Begin function _ZN7rocprim17ROCPRIM_400000_NS6detail17trampoline_kernelINS0_14default_configENS1_25partition_config_selectorILNS1_17partition_subalgoE9EllbEEZZNS1_14partition_implILS5_9ELb0ES3_jPlS8_PNS0_10empty_typeENS0_5tupleIJS8_S9_EEENSB_IJS8_SA_EEENS0_18inequality_wrapperIZN2at6native12_GLOBAL__N_124unique_dim_cuda_templateItEESt5tupleIJNSF_6TensorESK_SK_EERKSK_lbbbEUlllE0_EEPmJS9_EEE10hipError_tPvRmT3_T4_T5_T6_T7_T9_mT8_P12ihipStream_tbDpT10_ENKUlT_T0_E_clISt17integral_constantIbLb0EES1A_EEDaS15_S16_EUlS15_E_NS1_11comp_targetILNS1_3genE10ELNS1_11target_archE1200ELNS1_3gpuE4ELNS1_3repE0EEENS1_30default_config_static_selectorELNS0_4arch9wavefront6targetE1EEEvT1_
	.p2align	8
	.type	_ZN7rocprim17ROCPRIM_400000_NS6detail17trampoline_kernelINS0_14default_configENS1_25partition_config_selectorILNS1_17partition_subalgoE9EllbEEZZNS1_14partition_implILS5_9ELb0ES3_jPlS8_PNS0_10empty_typeENS0_5tupleIJS8_S9_EEENSB_IJS8_SA_EEENS0_18inequality_wrapperIZN2at6native12_GLOBAL__N_124unique_dim_cuda_templateItEESt5tupleIJNSF_6TensorESK_SK_EERKSK_lbbbEUlllE0_EEPmJS9_EEE10hipError_tPvRmT3_T4_T5_T6_T7_T9_mT8_P12ihipStream_tbDpT10_ENKUlT_T0_E_clISt17integral_constantIbLb0EES1A_EEDaS15_S16_EUlS15_E_NS1_11comp_targetILNS1_3genE10ELNS1_11target_archE1200ELNS1_3gpuE4ELNS1_3repE0EEENS1_30default_config_static_selectorELNS0_4arch9wavefront6targetE1EEEvT1_,@function
_ZN7rocprim17ROCPRIM_400000_NS6detail17trampoline_kernelINS0_14default_configENS1_25partition_config_selectorILNS1_17partition_subalgoE9EllbEEZZNS1_14partition_implILS5_9ELb0ES3_jPlS8_PNS0_10empty_typeENS0_5tupleIJS8_S9_EEENSB_IJS8_SA_EEENS0_18inequality_wrapperIZN2at6native12_GLOBAL__N_124unique_dim_cuda_templateItEESt5tupleIJNSF_6TensorESK_SK_EERKSK_lbbbEUlllE0_EEPmJS9_EEE10hipError_tPvRmT3_T4_T5_T6_T7_T9_mT8_P12ihipStream_tbDpT10_ENKUlT_T0_E_clISt17integral_constantIbLb0EES1A_EEDaS15_S16_EUlS15_E_NS1_11comp_targetILNS1_3genE10ELNS1_11target_archE1200ELNS1_3gpuE4ELNS1_3repE0EEENS1_30default_config_static_selectorELNS0_4arch9wavefront6targetE1EEEvT1_: ; @_ZN7rocprim17ROCPRIM_400000_NS6detail17trampoline_kernelINS0_14default_configENS1_25partition_config_selectorILNS1_17partition_subalgoE9EllbEEZZNS1_14partition_implILS5_9ELb0ES3_jPlS8_PNS0_10empty_typeENS0_5tupleIJS8_S9_EEENSB_IJS8_SA_EEENS0_18inequality_wrapperIZN2at6native12_GLOBAL__N_124unique_dim_cuda_templateItEESt5tupleIJNSF_6TensorESK_SK_EERKSK_lbbbEUlllE0_EEPmJS9_EEE10hipError_tPvRmT3_T4_T5_T6_T7_T9_mT8_P12ihipStream_tbDpT10_ENKUlT_T0_E_clISt17integral_constantIbLb0EES1A_EEDaS15_S16_EUlS15_E_NS1_11comp_targetILNS1_3genE10ELNS1_11target_archE1200ELNS1_3gpuE4ELNS1_3repE0EEENS1_30default_config_static_selectorELNS0_4arch9wavefront6targetE1EEEvT1_
; %bb.0:
	.section	.rodata,"a",@progbits
	.p2align	6, 0x0
	.amdhsa_kernel _ZN7rocprim17ROCPRIM_400000_NS6detail17trampoline_kernelINS0_14default_configENS1_25partition_config_selectorILNS1_17partition_subalgoE9EllbEEZZNS1_14partition_implILS5_9ELb0ES3_jPlS8_PNS0_10empty_typeENS0_5tupleIJS8_S9_EEENSB_IJS8_SA_EEENS0_18inequality_wrapperIZN2at6native12_GLOBAL__N_124unique_dim_cuda_templateItEESt5tupleIJNSF_6TensorESK_SK_EERKSK_lbbbEUlllE0_EEPmJS9_EEE10hipError_tPvRmT3_T4_T5_T6_T7_T9_mT8_P12ihipStream_tbDpT10_ENKUlT_T0_E_clISt17integral_constantIbLb0EES1A_EEDaS15_S16_EUlS15_E_NS1_11comp_targetILNS1_3genE10ELNS1_11target_archE1200ELNS1_3gpuE4ELNS1_3repE0EEENS1_30default_config_static_selectorELNS0_4arch9wavefront6targetE1EEEvT1_
		.amdhsa_group_segment_fixed_size 0
		.amdhsa_private_segment_fixed_size 0
		.amdhsa_kernarg_size 120
		.amdhsa_user_sgpr_count 2
		.amdhsa_user_sgpr_dispatch_ptr 0
		.amdhsa_user_sgpr_queue_ptr 0
		.amdhsa_user_sgpr_kernarg_segment_ptr 1
		.amdhsa_user_sgpr_dispatch_id 0
		.amdhsa_user_sgpr_kernarg_preload_length 0
		.amdhsa_user_sgpr_kernarg_preload_offset 0
		.amdhsa_user_sgpr_private_segment_size 0
		.amdhsa_uses_dynamic_stack 0
		.amdhsa_enable_private_segment 0
		.amdhsa_system_sgpr_workgroup_id_x 1
		.amdhsa_system_sgpr_workgroup_id_y 0
		.amdhsa_system_sgpr_workgroup_id_z 0
		.amdhsa_system_sgpr_workgroup_info 0
		.amdhsa_system_vgpr_workitem_id 0
		.amdhsa_next_free_vgpr 1
		.amdhsa_next_free_sgpr 0
		.amdhsa_accum_offset 4
		.amdhsa_reserve_vcc 0
		.amdhsa_float_round_mode_32 0
		.amdhsa_float_round_mode_16_64 0
		.amdhsa_float_denorm_mode_32 3
		.amdhsa_float_denorm_mode_16_64 3
		.amdhsa_dx10_clamp 1
		.amdhsa_ieee_mode 1
		.amdhsa_fp16_overflow 0
		.amdhsa_tg_split 0
		.amdhsa_exception_fp_ieee_invalid_op 0
		.amdhsa_exception_fp_denorm_src 0
		.amdhsa_exception_fp_ieee_div_zero 0
		.amdhsa_exception_fp_ieee_overflow 0
		.amdhsa_exception_fp_ieee_underflow 0
		.amdhsa_exception_fp_ieee_inexact 0
		.amdhsa_exception_int_div_zero 0
	.end_amdhsa_kernel
	.section	.text._ZN7rocprim17ROCPRIM_400000_NS6detail17trampoline_kernelINS0_14default_configENS1_25partition_config_selectorILNS1_17partition_subalgoE9EllbEEZZNS1_14partition_implILS5_9ELb0ES3_jPlS8_PNS0_10empty_typeENS0_5tupleIJS8_S9_EEENSB_IJS8_SA_EEENS0_18inequality_wrapperIZN2at6native12_GLOBAL__N_124unique_dim_cuda_templateItEESt5tupleIJNSF_6TensorESK_SK_EERKSK_lbbbEUlllE0_EEPmJS9_EEE10hipError_tPvRmT3_T4_T5_T6_T7_T9_mT8_P12ihipStream_tbDpT10_ENKUlT_T0_E_clISt17integral_constantIbLb0EES1A_EEDaS15_S16_EUlS15_E_NS1_11comp_targetILNS1_3genE10ELNS1_11target_archE1200ELNS1_3gpuE4ELNS1_3repE0EEENS1_30default_config_static_selectorELNS0_4arch9wavefront6targetE1EEEvT1_,"axG",@progbits,_ZN7rocprim17ROCPRIM_400000_NS6detail17trampoline_kernelINS0_14default_configENS1_25partition_config_selectorILNS1_17partition_subalgoE9EllbEEZZNS1_14partition_implILS5_9ELb0ES3_jPlS8_PNS0_10empty_typeENS0_5tupleIJS8_S9_EEENSB_IJS8_SA_EEENS0_18inequality_wrapperIZN2at6native12_GLOBAL__N_124unique_dim_cuda_templateItEESt5tupleIJNSF_6TensorESK_SK_EERKSK_lbbbEUlllE0_EEPmJS9_EEE10hipError_tPvRmT3_T4_T5_T6_T7_T9_mT8_P12ihipStream_tbDpT10_ENKUlT_T0_E_clISt17integral_constantIbLb0EES1A_EEDaS15_S16_EUlS15_E_NS1_11comp_targetILNS1_3genE10ELNS1_11target_archE1200ELNS1_3gpuE4ELNS1_3repE0EEENS1_30default_config_static_selectorELNS0_4arch9wavefront6targetE1EEEvT1_,comdat
.Lfunc_end1456:
	.size	_ZN7rocprim17ROCPRIM_400000_NS6detail17trampoline_kernelINS0_14default_configENS1_25partition_config_selectorILNS1_17partition_subalgoE9EllbEEZZNS1_14partition_implILS5_9ELb0ES3_jPlS8_PNS0_10empty_typeENS0_5tupleIJS8_S9_EEENSB_IJS8_SA_EEENS0_18inequality_wrapperIZN2at6native12_GLOBAL__N_124unique_dim_cuda_templateItEESt5tupleIJNSF_6TensorESK_SK_EERKSK_lbbbEUlllE0_EEPmJS9_EEE10hipError_tPvRmT3_T4_T5_T6_T7_T9_mT8_P12ihipStream_tbDpT10_ENKUlT_T0_E_clISt17integral_constantIbLb0EES1A_EEDaS15_S16_EUlS15_E_NS1_11comp_targetILNS1_3genE10ELNS1_11target_archE1200ELNS1_3gpuE4ELNS1_3repE0EEENS1_30default_config_static_selectorELNS0_4arch9wavefront6targetE1EEEvT1_, .Lfunc_end1456-_ZN7rocprim17ROCPRIM_400000_NS6detail17trampoline_kernelINS0_14default_configENS1_25partition_config_selectorILNS1_17partition_subalgoE9EllbEEZZNS1_14partition_implILS5_9ELb0ES3_jPlS8_PNS0_10empty_typeENS0_5tupleIJS8_S9_EEENSB_IJS8_SA_EEENS0_18inequality_wrapperIZN2at6native12_GLOBAL__N_124unique_dim_cuda_templateItEESt5tupleIJNSF_6TensorESK_SK_EERKSK_lbbbEUlllE0_EEPmJS9_EEE10hipError_tPvRmT3_T4_T5_T6_T7_T9_mT8_P12ihipStream_tbDpT10_ENKUlT_T0_E_clISt17integral_constantIbLb0EES1A_EEDaS15_S16_EUlS15_E_NS1_11comp_targetILNS1_3genE10ELNS1_11target_archE1200ELNS1_3gpuE4ELNS1_3repE0EEENS1_30default_config_static_selectorELNS0_4arch9wavefront6targetE1EEEvT1_
                                        ; -- End function
	.set _ZN7rocprim17ROCPRIM_400000_NS6detail17trampoline_kernelINS0_14default_configENS1_25partition_config_selectorILNS1_17partition_subalgoE9EllbEEZZNS1_14partition_implILS5_9ELb0ES3_jPlS8_PNS0_10empty_typeENS0_5tupleIJS8_S9_EEENSB_IJS8_SA_EEENS0_18inequality_wrapperIZN2at6native12_GLOBAL__N_124unique_dim_cuda_templateItEESt5tupleIJNSF_6TensorESK_SK_EERKSK_lbbbEUlllE0_EEPmJS9_EEE10hipError_tPvRmT3_T4_T5_T6_T7_T9_mT8_P12ihipStream_tbDpT10_ENKUlT_T0_E_clISt17integral_constantIbLb0EES1A_EEDaS15_S16_EUlS15_E_NS1_11comp_targetILNS1_3genE10ELNS1_11target_archE1200ELNS1_3gpuE4ELNS1_3repE0EEENS1_30default_config_static_selectorELNS0_4arch9wavefront6targetE1EEEvT1_.num_vgpr, 0
	.set _ZN7rocprim17ROCPRIM_400000_NS6detail17trampoline_kernelINS0_14default_configENS1_25partition_config_selectorILNS1_17partition_subalgoE9EllbEEZZNS1_14partition_implILS5_9ELb0ES3_jPlS8_PNS0_10empty_typeENS0_5tupleIJS8_S9_EEENSB_IJS8_SA_EEENS0_18inequality_wrapperIZN2at6native12_GLOBAL__N_124unique_dim_cuda_templateItEESt5tupleIJNSF_6TensorESK_SK_EERKSK_lbbbEUlllE0_EEPmJS9_EEE10hipError_tPvRmT3_T4_T5_T6_T7_T9_mT8_P12ihipStream_tbDpT10_ENKUlT_T0_E_clISt17integral_constantIbLb0EES1A_EEDaS15_S16_EUlS15_E_NS1_11comp_targetILNS1_3genE10ELNS1_11target_archE1200ELNS1_3gpuE4ELNS1_3repE0EEENS1_30default_config_static_selectorELNS0_4arch9wavefront6targetE1EEEvT1_.num_agpr, 0
	.set _ZN7rocprim17ROCPRIM_400000_NS6detail17trampoline_kernelINS0_14default_configENS1_25partition_config_selectorILNS1_17partition_subalgoE9EllbEEZZNS1_14partition_implILS5_9ELb0ES3_jPlS8_PNS0_10empty_typeENS0_5tupleIJS8_S9_EEENSB_IJS8_SA_EEENS0_18inequality_wrapperIZN2at6native12_GLOBAL__N_124unique_dim_cuda_templateItEESt5tupleIJNSF_6TensorESK_SK_EERKSK_lbbbEUlllE0_EEPmJS9_EEE10hipError_tPvRmT3_T4_T5_T6_T7_T9_mT8_P12ihipStream_tbDpT10_ENKUlT_T0_E_clISt17integral_constantIbLb0EES1A_EEDaS15_S16_EUlS15_E_NS1_11comp_targetILNS1_3genE10ELNS1_11target_archE1200ELNS1_3gpuE4ELNS1_3repE0EEENS1_30default_config_static_selectorELNS0_4arch9wavefront6targetE1EEEvT1_.numbered_sgpr, 0
	.set _ZN7rocprim17ROCPRIM_400000_NS6detail17trampoline_kernelINS0_14default_configENS1_25partition_config_selectorILNS1_17partition_subalgoE9EllbEEZZNS1_14partition_implILS5_9ELb0ES3_jPlS8_PNS0_10empty_typeENS0_5tupleIJS8_S9_EEENSB_IJS8_SA_EEENS0_18inequality_wrapperIZN2at6native12_GLOBAL__N_124unique_dim_cuda_templateItEESt5tupleIJNSF_6TensorESK_SK_EERKSK_lbbbEUlllE0_EEPmJS9_EEE10hipError_tPvRmT3_T4_T5_T6_T7_T9_mT8_P12ihipStream_tbDpT10_ENKUlT_T0_E_clISt17integral_constantIbLb0EES1A_EEDaS15_S16_EUlS15_E_NS1_11comp_targetILNS1_3genE10ELNS1_11target_archE1200ELNS1_3gpuE4ELNS1_3repE0EEENS1_30default_config_static_selectorELNS0_4arch9wavefront6targetE1EEEvT1_.num_named_barrier, 0
	.set _ZN7rocprim17ROCPRIM_400000_NS6detail17trampoline_kernelINS0_14default_configENS1_25partition_config_selectorILNS1_17partition_subalgoE9EllbEEZZNS1_14partition_implILS5_9ELb0ES3_jPlS8_PNS0_10empty_typeENS0_5tupleIJS8_S9_EEENSB_IJS8_SA_EEENS0_18inequality_wrapperIZN2at6native12_GLOBAL__N_124unique_dim_cuda_templateItEESt5tupleIJNSF_6TensorESK_SK_EERKSK_lbbbEUlllE0_EEPmJS9_EEE10hipError_tPvRmT3_T4_T5_T6_T7_T9_mT8_P12ihipStream_tbDpT10_ENKUlT_T0_E_clISt17integral_constantIbLb0EES1A_EEDaS15_S16_EUlS15_E_NS1_11comp_targetILNS1_3genE10ELNS1_11target_archE1200ELNS1_3gpuE4ELNS1_3repE0EEENS1_30default_config_static_selectorELNS0_4arch9wavefront6targetE1EEEvT1_.private_seg_size, 0
	.set _ZN7rocprim17ROCPRIM_400000_NS6detail17trampoline_kernelINS0_14default_configENS1_25partition_config_selectorILNS1_17partition_subalgoE9EllbEEZZNS1_14partition_implILS5_9ELb0ES3_jPlS8_PNS0_10empty_typeENS0_5tupleIJS8_S9_EEENSB_IJS8_SA_EEENS0_18inequality_wrapperIZN2at6native12_GLOBAL__N_124unique_dim_cuda_templateItEESt5tupleIJNSF_6TensorESK_SK_EERKSK_lbbbEUlllE0_EEPmJS9_EEE10hipError_tPvRmT3_T4_T5_T6_T7_T9_mT8_P12ihipStream_tbDpT10_ENKUlT_T0_E_clISt17integral_constantIbLb0EES1A_EEDaS15_S16_EUlS15_E_NS1_11comp_targetILNS1_3genE10ELNS1_11target_archE1200ELNS1_3gpuE4ELNS1_3repE0EEENS1_30default_config_static_selectorELNS0_4arch9wavefront6targetE1EEEvT1_.uses_vcc, 0
	.set _ZN7rocprim17ROCPRIM_400000_NS6detail17trampoline_kernelINS0_14default_configENS1_25partition_config_selectorILNS1_17partition_subalgoE9EllbEEZZNS1_14partition_implILS5_9ELb0ES3_jPlS8_PNS0_10empty_typeENS0_5tupleIJS8_S9_EEENSB_IJS8_SA_EEENS0_18inequality_wrapperIZN2at6native12_GLOBAL__N_124unique_dim_cuda_templateItEESt5tupleIJNSF_6TensorESK_SK_EERKSK_lbbbEUlllE0_EEPmJS9_EEE10hipError_tPvRmT3_T4_T5_T6_T7_T9_mT8_P12ihipStream_tbDpT10_ENKUlT_T0_E_clISt17integral_constantIbLb0EES1A_EEDaS15_S16_EUlS15_E_NS1_11comp_targetILNS1_3genE10ELNS1_11target_archE1200ELNS1_3gpuE4ELNS1_3repE0EEENS1_30default_config_static_selectorELNS0_4arch9wavefront6targetE1EEEvT1_.uses_flat_scratch, 0
	.set _ZN7rocprim17ROCPRIM_400000_NS6detail17trampoline_kernelINS0_14default_configENS1_25partition_config_selectorILNS1_17partition_subalgoE9EllbEEZZNS1_14partition_implILS5_9ELb0ES3_jPlS8_PNS0_10empty_typeENS0_5tupleIJS8_S9_EEENSB_IJS8_SA_EEENS0_18inequality_wrapperIZN2at6native12_GLOBAL__N_124unique_dim_cuda_templateItEESt5tupleIJNSF_6TensorESK_SK_EERKSK_lbbbEUlllE0_EEPmJS9_EEE10hipError_tPvRmT3_T4_T5_T6_T7_T9_mT8_P12ihipStream_tbDpT10_ENKUlT_T0_E_clISt17integral_constantIbLb0EES1A_EEDaS15_S16_EUlS15_E_NS1_11comp_targetILNS1_3genE10ELNS1_11target_archE1200ELNS1_3gpuE4ELNS1_3repE0EEENS1_30default_config_static_selectorELNS0_4arch9wavefront6targetE1EEEvT1_.has_dyn_sized_stack, 0
	.set _ZN7rocprim17ROCPRIM_400000_NS6detail17trampoline_kernelINS0_14default_configENS1_25partition_config_selectorILNS1_17partition_subalgoE9EllbEEZZNS1_14partition_implILS5_9ELb0ES3_jPlS8_PNS0_10empty_typeENS0_5tupleIJS8_S9_EEENSB_IJS8_SA_EEENS0_18inequality_wrapperIZN2at6native12_GLOBAL__N_124unique_dim_cuda_templateItEESt5tupleIJNSF_6TensorESK_SK_EERKSK_lbbbEUlllE0_EEPmJS9_EEE10hipError_tPvRmT3_T4_T5_T6_T7_T9_mT8_P12ihipStream_tbDpT10_ENKUlT_T0_E_clISt17integral_constantIbLb0EES1A_EEDaS15_S16_EUlS15_E_NS1_11comp_targetILNS1_3genE10ELNS1_11target_archE1200ELNS1_3gpuE4ELNS1_3repE0EEENS1_30default_config_static_selectorELNS0_4arch9wavefront6targetE1EEEvT1_.has_recursion, 0
	.set _ZN7rocprim17ROCPRIM_400000_NS6detail17trampoline_kernelINS0_14default_configENS1_25partition_config_selectorILNS1_17partition_subalgoE9EllbEEZZNS1_14partition_implILS5_9ELb0ES3_jPlS8_PNS0_10empty_typeENS0_5tupleIJS8_S9_EEENSB_IJS8_SA_EEENS0_18inequality_wrapperIZN2at6native12_GLOBAL__N_124unique_dim_cuda_templateItEESt5tupleIJNSF_6TensorESK_SK_EERKSK_lbbbEUlllE0_EEPmJS9_EEE10hipError_tPvRmT3_T4_T5_T6_T7_T9_mT8_P12ihipStream_tbDpT10_ENKUlT_T0_E_clISt17integral_constantIbLb0EES1A_EEDaS15_S16_EUlS15_E_NS1_11comp_targetILNS1_3genE10ELNS1_11target_archE1200ELNS1_3gpuE4ELNS1_3repE0EEENS1_30default_config_static_selectorELNS0_4arch9wavefront6targetE1EEEvT1_.has_indirect_call, 0
	.section	.AMDGPU.csdata,"",@progbits
; Kernel info:
; codeLenInByte = 0
; TotalNumSgprs: 6
; NumVgprs: 0
; NumAgprs: 0
; TotalNumVgprs: 0
; ScratchSize: 0
; MemoryBound: 0
; FloatMode: 240
; IeeeMode: 1
; LDSByteSize: 0 bytes/workgroup (compile time only)
; SGPRBlocks: 0
; VGPRBlocks: 0
; NumSGPRsForWavesPerEU: 6
; NumVGPRsForWavesPerEU: 1
; AccumOffset: 4
; Occupancy: 8
; WaveLimiterHint : 0
; COMPUTE_PGM_RSRC2:SCRATCH_EN: 0
; COMPUTE_PGM_RSRC2:USER_SGPR: 2
; COMPUTE_PGM_RSRC2:TRAP_HANDLER: 0
; COMPUTE_PGM_RSRC2:TGID_X_EN: 1
; COMPUTE_PGM_RSRC2:TGID_Y_EN: 0
; COMPUTE_PGM_RSRC2:TGID_Z_EN: 0
; COMPUTE_PGM_RSRC2:TIDIG_COMP_CNT: 0
; COMPUTE_PGM_RSRC3_GFX90A:ACCUM_OFFSET: 0
; COMPUTE_PGM_RSRC3_GFX90A:TG_SPLIT: 0
	.section	.text._ZN7rocprim17ROCPRIM_400000_NS6detail17trampoline_kernelINS0_14default_configENS1_25partition_config_selectorILNS1_17partition_subalgoE9EllbEEZZNS1_14partition_implILS5_9ELb0ES3_jPlS8_PNS0_10empty_typeENS0_5tupleIJS8_S9_EEENSB_IJS8_SA_EEENS0_18inequality_wrapperIZN2at6native12_GLOBAL__N_124unique_dim_cuda_templateItEESt5tupleIJNSF_6TensorESK_SK_EERKSK_lbbbEUlllE0_EEPmJS9_EEE10hipError_tPvRmT3_T4_T5_T6_T7_T9_mT8_P12ihipStream_tbDpT10_ENKUlT_T0_E_clISt17integral_constantIbLb0EES1A_EEDaS15_S16_EUlS15_E_NS1_11comp_targetILNS1_3genE9ELNS1_11target_archE1100ELNS1_3gpuE3ELNS1_3repE0EEENS1_30default_config_static_selectorELNS0_4arch9wavefront6targetE1EEEvT1_,"axG",@progbits,_ZN7rocprim17ROCPRIM_400000_NS6detail17trampoline_kernelINS0_14default_configENS1_25partition_config_selectorILNS1_17partition_subalgoE9EllbEEZZNS1_14partition_implILS5_9ELb0ES3_jPlS8_PNS0_10empty_typeENS0_5tupleIJS8_S9_EEENSB_IJS8_SA_EEENS0_18inequality_wrapperIZN2at6native12_GLOBAL__N_124unique_dim_cuda_templateItEESt5tupleIJNSF_6TensorESK_SK_EERKSK_lbbbEUlllE0_EEPmJS9_EEE10hipError_tPvRmT3_T4_T5_T6_T7_T9_mT8_P12ihipStream_tbDpT10_ENKUlT_T0_E_clISt17integral_constantIbLb0EES1A_EEDaS15_S16_EUlS15_E_NS1_11comp_targetILNS1_3genE9ELNS1_11target_archE1100ELNS1_3gpuE3ELNS1_3repE0EEENS1_30default_config_static_selectorELNS0_4arch9wavefront6targetE1EEEvT1_,comdat
	.globl	_ZN7rocprim17ROCPRIM_400000_NS6detail17trampoline_kernelINS0_14default_configENS1_25partition_config_selectorILNS1_17partition_subalgoE9EllbEEZZNS1_14partition_implILS5_9ELb0ES3_jPlS8_PNS0_10empty_typeENS0_5tupleIJS8_S9_EEENSB_IJS8_SA_EEENS0_18inequality_wrapperIZN2at6native12_GLOBAL__N_124unique_dim_cuda_templateItEESt5tupleIJNSF_6TensorESK_SK_EERKSK_lbbbEUlllE0_EEPmJS9_EEE10hipError_tPvRmT3_T4_T5_T6_T7_T9_mT8_P12ihipStream_tbDpT10_ENKUlT_T0_E_clISt17integral_constantIbLb0EES1A_EEDaS15_S16_EUlS15_E_NS1_11comp_targetILNS1_3genE9ELNS1_11target_archE1100ELNS1_3gpuE3ELNS1_3repE0EEENS1_30default_config_static_selectorELNS0_4arch9wavefront6targetE1EEEvT1_ ; -- Begin function _ZN7rocprim17ROCPRIM_400000_NS6detail17trampoline_kernelINS0_14default_configENS1_25partition_config_selectorILNS1_17partition_subalgoE9EllbEEZZNS1_14partition_implILS5_9ELb0ES3_jPlS8_PNS0_10empty_typeENS0_5tupleIJS8_S9_EEENSB_IJS8_SA_EEENS0_18inequality_wrapperIZN2at6native12_GLOBAL__N_124unique_dim_cuda_templateItEESt5tupleIJNSF_6TensorESK_SK_EERKSK_lbbbEUlllE0_EEPmJS9_EEE10hipError_tPvRmT3_T4_T5_T6_T7_T9_mT8_P12ihipStream_tbDpT10_ENKUlT_T0_E_clISt17integral_constantIbLb0EES1A_EEDaS15_S16_EUlS15_E_NS1_11comp_targetILNS1_3genE9ELNS1_11target_archE1100ELNS1_3gpuE3ELNS1_3repE0EEENS1_30default_config_static_selectorELNS0_4arch9wavefront6targetE1EEEvT1_
	.p2align	8
	.type	_ZN7rocprim17ROCPRIM_400000_NS6detail17trampoline_kernelINS0_14default_configENS1_25partition_config_selectorILNS1_17partition_subalgoE9EllbEEZZNS1_14partition_implILS5_9ELb0ES3_jPlS8_PNS0_10empty_typeENS0_5tupleIJS8_S9_EEENSB_IJS8_SA_EEENS0_18inequality_wrapperIZN2at6native12_GLOBAL__N_124unique_dim_cuda_templateItEESt5tupleIJNSF_6TensorESK_SK_EERKSK_lbbbEUlllE0_EEPmJS9_EEE10hipError_tPvRmT3_T4_T5_T6_T7_T9_mT8_P12ihipStream_tbDpT10_ENKUlT_T0_E_clISt17integral_constantIbLb0EES1A_EEDaS15_S16_EUlS15_E_NS1_11comp_targetILNS1_3genE9ELNS1_11target_archE1100ELNS1_3gpuE3ELNS1_3repE0EEENS1_30default_config_static_selectorELNS0_4arch9wavefront6targetE1EEEvT1_,@function
_ZN7rocprim17ROCPRIM_400000_NS6detail17trampoline_kernelINS0_14default_configENS1_25partition_config_selectorILNS1_17partition_subalgoE9EllbEEZZNS1_14partition_implILS5_9ELb0ES3_jPlS8_PNS0_10empty_typeENS0_5tupleIJS8_S9_EEENSB_IJS8_SA_EEENS0_18inequality_wrapperIZN2at6native12_GLOBAL__N_124unique_dim_cuda_templateItEESt5tupleIJNSF_6TensorESK_SK_EERKSK_lbbbEUlllE0_EEPmJS9_EEE10hipError_tPvRmT3_T4_T5_T6_T7_T9_mT8_P12ihipStream_tbDpT10_ENKUlT_T0_E_clISt17integral_constantIbLb0EES1A_EEDaS15_S16_EUlS15_E_NS1_11comp_targetILNS1_3genE9ELNS1_11target_archE1100ELNS1_3gpuE3ELNS1_3repE0EEENS1_30default_config_static_selectorELNS0_4arch9wavefront6targetE1EEEvT1_: ; @_ZN7rocprim17ROCPRIM_400000_NS6detail17trampoline_kernelINS0_14default_configENS1_25partition_config_selectorILNS1_17partition_subalgoE9EllbEEZZNS1_14partition_implILS5_9ELb0ES3_jPlS8_PNS0_10empty_typeENS0_5tupleIJS8_S9_EEENSB_IJS8_SA_EEENS0_18inequality_wrapperIZN2at6native12_GLOBAL__N_124unique_dim_cuda_templateItEESt5tupleIJNSF_6TensorESK_SK_EERKSK_lbbbEUlllE0_EEPmJS9_EEE10hipError_tPvRmT3_T4_T5_T6_T7_T9_mT8_P12ihipStream_tbDpT10_ENKUlT_T0_E_clISt17integral_constantIbLb0EES1A_EEDaS15_S16_EUlS15_E_NS1_11comp_targetILNS1_3genE9ELNS1_11target_archE1100ELNS1_3gpuE3ELNS1_3repE0EEENS1_30default_config_static_selectorELNS0_4arch9wavefront6targetE1EEEvT1_
; %bb.0:
	.section	.rodata,"a",@progbits
	.p2align	6, 0x0
	.amdhsa_kernel _ZN7rocprim17ROCPRIM_400000_NS6detail17trampoline_kernelINS0_14default_configENS1_25partition_config_selectorILNS1_17partition_subalgoE9EllbEEZZNS1_14partition_implILS5_9ELb0ES3_jPlS8_PNS0_10empty_typeENS0_5tupleIJS8_S9_EEENSB_IJS8_SA_EEENS0_18inequality_wrapperIZN2at6native12_GLOBAL__N_124unique_dim_cuda_templateItEESt5tupleIJNSF_6TensorESK_SK_EERKSK_lbbbEUlllE0_EEPmJS9_EEE10hipError_tPvRmT3_T4_T5_T6_T7_T9_mT8_P12ihipStream_tbDpT10_ENKUlT_T0_E_clISt17integral_constantIbLb0EES1A_EEDaS15_S16_EUlS15_E_NS1_11comp_targetILNS1_3genE9ELNS1_11target_archE1100ELNS1_3gpuE3ELNS1_3repE0EEENS1_30default_config_static_selectorELNS0_4arch9wavefront6targetE1EEEvT1_
		.amdhsa_group_segment_fixed_size 0
		.amdhsa_private_segment_fixed_size 0
		.amdhsa_kernarg_size 120
		.amdhsa_user_sgpr_count 2
		.amdhsa_user_sgpr_dispatch_ptr 0
		.amdhsa_user_sgpr_queue_ptr 0
		.amdhsa_user_sgpr_kernarg_segment_ptr 1
		.amdhsa_user_sgpr_dispatch_id 0
		.amdhsa_user_sgpr_kernarg_preload_length 0
		.amdhsa_user_sgpr_kernarg_preload_offset 0
		.amdhsa_user_sgpr_private_segment_size 0
		.amdhsa_uses_dynamic_stack 0
		.amdhsa_enable_private_segment 0
		.amdhsa_system_sgpr_workgroup_id_x 1
		.amdhsa_system_sgpr_workgroup_id_y 0
		.amdhsa_system_sgpr_workgroup_id_z 0
		.amdhsa_system_sgpr_workgroup_info 0
		.amdhsa_system_vgpr_workitem_id 0
		.amdhsa_next_free_vgpr 1
		.amdhsa_next_free_sgpr 0
		.amdhsa_accum_offset 4
		.amdhsa_reserve_vcc 0
		.amdhsa_float_round_mode_32 0
		.amdhsa_float_round_mode_16_64 0
		.amdhsa_float_denorm_mode_32 3
		.amdhsa_float_denorm_mode_16_64 3
		.amdhsa_dx10_clamp 1
		.amdhsa_ieee_mode 1
		.amdhsa_fp16_overflow 0
		.amdhsa_tg_split 0
		.amdhsa_exception_fp_ieee_invalid_op 0
		.amdhsa_exception_fp_denorm_src 0
		.amdhsa_exception_fp_ieee_div_zero 0
		.amdhsa_exception_fp_ieee_overflow 0
		.amdhsa_exception_fp_ieee_underflow 0
		.amdhsa_exception_fp_ieee_inexact 0
		.amdhsa_exception_int_div_zero 0
	.end_amdhsa_kernel
	.section	.text._ZN7rocprim17ROCPRIM_400000_NS6detail17trampoline_kernelINS0_14default_configENS1_25partition_config_selectorILNS1_17partition_subalgoE9EllbEEZZNS1_14partition_implILS5_9ELb0ES3_jPlS8_PNS0_10empty_typeENS0_5tupleIJS8_S9_EEENSB_IJS8_SA_EEENS0_18inequality_wrapperIZN2at6native12_GLOBAL__N_124unique_dim_cuda_templateItEESt5tupleIJNSF_6TensorESK_SK_EERKSK_lbbbEUlllE0_EEPmJS9_EEE10hipError_tPvRmT3_T4_T5_T6_T7_T9_mT8_P12ihipStream_tbDpT10_ENKUlT_T0_E_clISt17integral_constantIbLb0EES1A_EEDaS15_S16_EUlS15_E_NS1_11comp_targetILNS1_3genE9ELNS1_11target_archE1100ELNS1_3gpuE3ELNS1_3repE0EEENS1_30default_config_static_selectorELNS0_4arch9wavefront6targetE1EEEvT1_,"axG",@progbits,_ZN7rocprim17ROCPRIM_400000_NS6detail17trampoline_kernelINS0_14default_configENS1_25partition_config_selectorILNS1_17partition_subalgoE9EllbEEZZNS1_14partition_implILS5_9ELb0ES3_jPlS8_PNS0_10empty_typeENS0_5tupleIJS8_S9_EEENSB_IJS8_SA_EEENS0_18inequality_wrapperIZN2at6native12_GLOBAL__N_124unique_dim_cuda_templateItEESt5tupleIJNSF_6TensorESK_SK_EERKSK_lbbbEUlllE0_EEPmJS9_EEE10hipError_tPvRmT3_T4_T5_T6_T7_T9_mT8_P12ihipStream_tbDpT10_ENKUlT_T0_E_clISt17integral_constantIbLb0EES1A_EEDaS15_S16_EUlS15_E_NS1_11comp_targetILNS1_3genE9ELNS1_11target_archE1100ELNS1_3gpuE3ELNS1_3repE0EEENS1_30default_config_static_selectorELNS0_4arch9wavefront6targetE1EEEvT1_,comdat
.Lfunc_end1457:
	.size	_ZN7rocprim17ROCPRIM_400000_NS6detail17trampoline_kernelINS0_14default_configENS1_25partition_config_selectorILNS1_17partition_subalgoE9EllbEEZZNS1_14partition_implILS5_9ELb0ES3_jPlS8_PNS0_10empty_typeENS0_5tupleIJS8_S9_EEENSB_IJS8_SA_EEENS0_18inequality_wrapperIZN2at6native12_GLOBAL__N_124unique_dim_cuda_templateItEESt5tupleIJNSF_6TensorESK_SK_EERKSK_lbbbEUlllE0_EEPmJS9_EEE10hipError_tPvRmT3_T4_T5_T6_T7_T9_mT8_P12ihipStream_tbDpT10_ENKUlT_T0_E_clISt17integral_constantIbLb0EES1A_EEDaS15_S16_EUlS15_E_NS1_11comp_targetILNS1_3genE9ELNS1_11target_archE1100ELNS1_3gpuE3ELNS1_3repE0EEENS1_30default_config_static_selectorELNS0_4arch9wavefront6targetE1EEEvT1_, .Lfunc_end1457-_ZN7rocprim17ROCPRIM_400000_NS6detail17trampoline_kernelINS0_14default_configENS1_25partition_config_selectorILNS1_17partition_subalgoE9EllbEEZZNS1_14partition_implILS5_9ELb0ES3_jPlS8_PNS0_10empty_typeENS0_5tupleIJS8_S9_EEENSB_IJS8_SA_EEENS0_18inequality_wrapperIZN2at6native12_GLOBAL__N_124unique_dim_cuda_templateItEESt5tupleIJNSF_6TensorESK_SK_EERKSK_lbbbEUlllE0_EEPmJS9_EEE10hipError_tPvRmT3_T4_T5_T6_T7_T9_mT8_P12ihipStream_tbDpT10_ENKUlT_T0_E_clISt17integral_constantIbLb0EES1A_EEDaS15_S16_EUlS15_E_NS1_11comp_targetILNS1_3genE9ELNS1_11target_archE1100ELNS1_3gpuE3ELNS1_3repE0EEENS1_30default_config_static_selectorELNS0_4arch9wavefront6targetE1EEEvT1_
                                        ; -- End function
	.set _ZN7rocprim17ROCPRIM_400000_NS6detail17trampoline_kernelINS0_14default_configENS1_25partition_config_selectorILNS1_17partition_subalgoE9EllbEEZZNS1_14partition_implILS5_9ELb0ES3_jPlS8_PNS0_10empty_typeENS0_5tupleIJS8_S9_EEENSB_IJS8_SA_EEENS0_18inequality_wrapperIZN2at6native12_GLOBAL__N_124unique_dim_cuda_templateItEESt5tupleIJNSF_6TensorESK_SK_EERKSK_lbbbEUlllE0_EEPmJS9_EEE10hipError_tPvRmT3_T4_T5_T6_T7_T9_mT8_P12ihipStream_tbDpT10_ENKUlT_T0_E_clISt17integral_constantIbLb0EES1A_EEDaS15_S16_EUlS15_E_NS1_11comp_targetILNS1_3genE9ELNS1_11target_archE1100ELNS1_3gpuE3ELNS1_3repE0EEENS1_30default_config_static_selectorELNS0_4arch9wavefront6targetE1EEEvT1_.num_vgpr, 0
	.set _ZN7rocprim17ROCPRIM_400000_NS6detail17trampoline_kernelINS0_14default_configENS1_25partition_config_selectorILNS1_17partition_subalgoE9EllbEEZZNS1_14partition_implILS5_9ELb0ES3_jPlS8_PNS0_10empty_typeENS0_5tupleIJS8_S9_EEENSB_IJS8_SA_EEENS0_18inequality_wrapperIZN2at6native12_GLOBAL__N_124unique_dim_cuda_templateItEESt5tupleIJNSF_6TensorESK_SK_EERKSK_lbbbEUlllE0_EEPmJS9_EEE10hipError_tPvRmT3_T4_T5_T6_T7_T9_mT8_P12ihipStream_tbDpT10_ENKUlT_T0_E_clISt17integral_constantIbLb0EES1A_EEDaS15_S16_EUlS15_E_NS1_11comp_targetILNS1_3genE9ELNS1_11target_archE1100ELNS1_3gpuE3ELNS1_3repE0EEENS1_30default_config_static_selectorELNS0_4arch9wavefront6targetE1EEEvT1_.num_agpr, 0
	.set _ZN7rocprim17ROCPRIM_400000_NS6detail17trampoline_kernelINS0_14default_configENS1_25partition_config_selectorILNS1_17partition_subalgoE9EllbEEZZNS1_14partition_implILS5_9ELb0ES3_jPlS8_PNS0_10empty_typeENS0_5tupleIJS8_S9_EEENSB_IJS8_SA_EEENS0_18inequality_wrapperIZN2at6native12_GLOBAL__N_124unique_dim_cuda_templateItEESt5tupleIJNSF_6TensorESK_SK_EERKSK_lbbbEUlllE0_EEPmJS9_EEE10hipError_tPvRmT3_T4_T5_T6_T7_T9_mT8_P12ihipStream_tbDpT10_ENKUlT_T0_E_clISt17integral_constantIbLb0EES1A_EEDaS15_S16_EUlS15_E_NS1_11comp_targetILNS1_3genE9ELNS1_11target_archE1100ELNS1_3gpuE3ELNS1_3repE0EEENS1_30default_config_static_selectorELNS0_4arch9wavefront6targetE1EEEvT1_.numbered_sgpr, 0
	.set _ZN7rocprim17ROCPRIM_400000_NS6detail17trampoline_kernelINS0_14default_configENS1_25partition_config_selectorILNS1_17partition_subalgoE9EllbEEZZNS1_14partition_implILS5_9ELb0ES3_jPlS8_PNS0_10empty_typeENS0_5tupleIJS8_S9_EEENSB_IJS8_SA_EEENS0_18inequality_wrapperIZN2at6native12_GLOBAL__N_124unique_dim_cuda_templateItEESt5tupleIJNSF_6TensorESK_SK_EERKSK_lbbbEUlllE0_EEPmJS9_EEE10hipError_tPvRmT3_T4_T5_T6_T7_T9_mT8_P12ihipStream_tbDpT10_ENKUlT_T0_E_clISt17integral_constantIbLb0EES1A_EEDaS15_S16_EUlS15_E_NS1_11comp_targetILNS1_3genE9ELNS1_11target_archE1100ELNS1_3gpuE3ELNS1_3repE0EEENS1_30default_config_static_selectorELNS0_4arch9wavefront6targetE1EEEvT1_.num_named_barrier, 0
	.set _ZN7rocprim17ROCPRIM_400000_NS6detail17trampoline_kernelINS0_14default_configENS1_25partition_config_selectorILNS1_17partition_subalgoE9EllbEEZZNS1_14partition_implILS5_9ELb0ES3_jPlS8_PNS0_10empty_typeENS0_5tupleIJS8_S9_EEENSB_IJS8_SA_EEENS0_18inequality_wrapperIZN2at6native12_GLOBAL__N_124unique_dim_cuda_templateItEESt5tupleIJNSF_6TensorESK_SK_EERKSK_lbbbEUlllE0_EEPmJS9_EEE10hipError_tPvRmT3_T4_T5_T6_T7_T9_mT8_P12ihipStream_tbDpT10_ENKUlT_T0_E_clISt17integral_constantIbLb0EES1A_EEDaS15_S16_EUlS15_E_NS1_11comp_targetILNS1_3genE9ELNS1_11target_archE1100ELNS1_3gpuE3ELNS1_3repE0EEENS1_30default_config_static_selectorELNS0_4arch9wavefront6targetE1EEEvT1_.private_seg_size, 0
	.set _ZN7rocprim17ROCPRIM_400000_NS6detail17trampoline_kernelINS0_14default_configENS1_25partition_config_selectorILNS1_17partition_subalgoE9EllbEEZZNS1_14partition_implILS5_9ELb0ES3_jPlS8_PNS0_10empty_typeENS0_5tupleIJS8_S9_EEENSB_IJS8_SA_EEENS0_18inequality_wrapperIZN2at6native12_GLOBAL__N_124unique_dim_cuda_templateItEESt5tupleIJNSF_6TensorESK_SK_EERKSK_lbbbEUlllE0_EEPmJS9_EEE10hipError_tPvRmT3_T4_T5_T6_T7_T9_mT8_P12ihipStream_tbDpT10_ENKUlT_T0_E_clISt17integral_constantIbLb0EES1A_EEDaS15_S16_EUlS15_E_NS1_11comp_targetILNS1_3genE9ELNS1_11target_archE1100ELNS1_3gpuE3ELNS1_3repE0EEENS1_30default_config_static_selectorELNS0_4arch9wavefront6targetE1EEEvT1_.uses_vcc, 0
	.set _ZN7rocprim17ROCPRIM_400000_NS6detail17trampoline_kernelINS0_14default_configENS1_25partition_config_selectorILNS1_17partition_subalgoE9EllbEEZZNS1_14partition_implILS5_9ELb0ES3_jPlS8_PNS0_10empty_typeENS0_5tupleIJS8_S9_EEENSB_IJS8_SA_EEENS0_18inequality_wrapperIZN2at6native12_GLOBAL__N_124unique_dim_cuda_templateItEESt5tupleIJNSF_6TensorESK_SK_EERKSK_lbbbEUlllE0_EEPmJS9_EEE10hipError_tPvRmT3_T4_T5_T6_T7_T9_mT8_P12ihipStream_tbDpT10_ENKUlT_T0_E_clISt17integral_constantIbLb0EES1A_EEDaS15_S16_EUlS15_E_NS1_11comp_targetILNS1_3genE9ELNS1_11target_archE1100ELNS1_3gpuE3ELNS1_3repE0EEENS1_30default_config_static_selectorELNS0_4arch9wavefront6targetE1EEEvT1_.uses_flat_scratch, 0
	.set _ZN7rocprim17ROCPRIM_400000_NS6detail17trampoline_kernelINS0_14default_configENS1_25partition_config_selectorILNS1_17partition_subalgoE9EllbEEZZNS1_14partition_implILS5_9ELb0ES3_jPlS8_PNS0_10empty_typeENS0_5tupleIJS8_S9_EEENSB_IJS8_SA_EEENS0_18inequality_wrapperIZN2at6native12_GLOBAL__N_124unique_dim_cuda_templateItEESt5tupleIJNSF_6TensorESK_SK_EERKSK_lbbbEUlllE0_EEPmJS9_EEE10hipError_tPvRmT3_T4_T5_T6_T7_T9_mT8_P12ihipStream_tbDpT10_ENKUlT_T0_E_clISt17integral_constantIbLb0EES1A_EEDaS15_S16_EUlS15_E_NS1_11comp_targetILNS1_3genE9ELNS1_11target_archE1100ELNS1_3gpuE3ELNS1_3repE0EEENS1_30default_config_static_selectorELNS0_4arch9wavefront6targetE1EEEvT1_.has_dyn_sized_stack, 0
	.set _ZN7rocprim17ROCPRIM_400000_NS6detail17trampoline_kernelINS0_14default_configENS1_25partition_config_selectorILNS1_17partition_subalgoE9EllbEEZZNS1_14partition_implILS5_9ELb0ES3_jPlS8_PNS0_10empty_typeENS0_5tupleIJS8_S9_EEENSB_IJS8_SA_EEENS0_18inequality_wrapperIZN2at6native12_GLOBAL__N_124unique_dim_cuda_templateItEESt5tupleIJNSF_6TensorESK_SK_EERKSK_lbbbEUlllE0_EEPmJS9_EEE10hipError_tPvRmT3_T4_T5_T6_T7_T9_mT8_P12ihipStream_tbDpT10_ENKUlT_T0_E_clISt17integral_constantIbLb0EES1A_EEDaS15_S16_EUlS15_E_NS1_11comp_targetILNS1_3genE9ELNS1_11target_archE1100ELNS1_3gpuE3ELNS1_3repE0EEENS1_30default_config_static_selectorELNS0_4arch9wavefront6targetE1EEEvT1_.has_recursion, 0
	.set _ZN7rocprim17ROCPRIM_400000_NS6detail17trampoline_kernelINS0_14default_configENS1_25partition_config_selectorILNS1_17partition_subalgoE9EllbEEZZNS1_14partition_implILS5_9ELb0ES3_jPlS8_PNS0_10empty_typeENS0_5tupleIJS8_S9_EEENSB_IJS8_SA_EEENS0_18inequality_wrapperIZN2at6native12_GLOBAL__N_124unique_dim_cuda_templateItEESt5tupleIJNSF_6TensorESK_SK_EERKSK_lbbbEUlllE0_EEPmJS9_EEE10hipError_tPvRmT3_T4_T5_T6_T7_T9_mT8_P12ihipStream_tbDpT10_ENKUlT_T0_E_clISt17integral_constantIbLb0EES1A_EEDaS15_S16_EUlS15_E_NS1_11comp_targetILNS1_3genE9ELNS1_11target_archE1100ELNS1_3gpuE3ELNS1_3repE0EEENS1_30default_config_static_selectorELNS0_4arch9wavefront6targetE1EEEvT1_.has_indirect_call, 0
	.section	.AMDGPU.csdata,"",@progbits
; Kernel info:
; codeLenInByte = 0
; TotalNumSgprs: 6
; NumVgprs: 0
; NumAgprs: 0
; TotalNumVgprs: 0
; ScratchSize: 0
; MemoryBound: 0
; FloatMode: 240
; IeeeMode: 1
; LDSByteSize: 0 bytes/workgroup (compile time only)
; SGPRBlocks: 0
; VGPRBlocks: 0
; NumSGPRsForWavesPerEU: 6
; NumVGPRsForWavesPerEU: 1
; AccumOffset: 4
; Occupancy: 8
; WaveLimiterHint : 0
; COMPUTE_PGM_RSRC2:SCRATCH_EN: 0
; COMPUTE_PGM_RSRC2:USER_SGPR: 2
; COMPUTE_PGM_RSRC2:TRAP_HANDLER: 0
; COMPUTE_PGM_RSRC2:TGID_X_EN: 1
; COMPUTE_PGM_RSRC2:TGID_Y_EN: 0
; COMPUTE_PGM_RSRC2:TGID_Z_EN: 0
; COMPUTE_PGM_RSRC2:TIDIG_COMP_CNT: 0
; COMPUTE_PGM_RSRC3_GFX90A:ACCUM_OFFSET: 0
; COMPUTE_PGM_RSRC3_GFX90A:TG_SPLIT: 0
	.section	.text._ZN7rocprim17ROCPRIM_400000_NS6detail17trampoline_kernelINS0_14default_configENS1_25partition_config_selectorILNS1_17partition_subalgoE9EllbEEZZNS1_14partition_implILS5_9ELb0ES3_jPlS8_PNS0_10empty_typeENS0_5tupleIJS8_S9_EEENSB_IJS8_SA_EEENS0_18inequality_wrapperIZN2at6native12_GLOBAL__N_124unique_dim_cuda_templateItEESt5tupleIJNSF_6TensorESK_SK_EERKSK_lbbbEUlllE0_EEPmJS9_EEE10hipError_tPvRmT3_T4_T5_T6_T7_T9_mT8_P12ihipStream_tbDpT10_ENKUlT_T0_E_clISt17integral_constantIbLb0EES1A_EEDaS15_S16_EUlS15_E_NS1_11comp_targetILNS1_3genE8ELNS1_11target_archE1030ELNS1_3gpuE2ELNS1_3repE0EEENS1_30default_config_static_selectorELNS0_4arch9wavefront6targetE1EEEvT1_,"axG",@progbits,_ZN7rocprim17ROCPRIM_400000_NS6detail17trampoline_kernelINS0_14default_configENS1_25partition_config_selectorILNS1_17partition_subalgoE9EllbEEZZNS1_14partition_implILS5_9ELb0ES3_jPlS8_PNS0_10empty_typeENS0_5tupleIJS8_S9_EEENSB_IJS8_SA_EEENS0_18inequality_wrapperIZN2at6native12_GLOBAL__N_124unique_dim_cuda_templateItEESt5tupleIJNSF_6TensorESK_SK_EERKSK_lbbbEUlllE0_EEPmJS9_EEE10hipError_tPvRmT3_T4_T5_T6_T7_T9_mT8_P12ihipStream_tbDpT10_ENKUlT_T0_E_clISt17integral_constantIbLb0EES1A_EEDaS15_S16_EUlS15_E_NS1_11comp_targetILNS1_3genE8ELNS1_11target_archE1030ELNS1_3gpuE2ELNS1_3repE0EEENS1_30default_config_static_selectorELNS0_4arch9wavefront6targetE1EEEvT1_,comdat
	.globl	_ZN7rocprim17ROCPRIM_400000_NS6detail17trampoline_kernelINS0_14default_configENS1_25partition_config_selectorILNS1_17partition_subalgoE9EllbEEZZNS1_14partition_implILS5_9ELb0ES3_jPlS8_PNS0_10empty_typeENS0_5tupleIJS8_S9_EEENSB_IJS8_SA_EEENS0_18inequality_wrapperIZN2at6native12_GLOBAL__N_124unique_dim_cuda_templateItEESt5tupleIJNSF_6TensorESK_SK_EERKSK_lbbbEUlllE0_EEPmJS9_EEE10hipError_tPvRmT3_T4_T5_T6_T7_T9_mT8_P12ihipStream_tbDpT10_ENKUlT_T0_E_clISt17integral_constantIbLb0EES1A_EEDaS15_S16_EUlS15_E_NS1_11comp_targetILNS1_3genE8ELNS1_11target_archE1030ELNS1_3gpuE2ELNS1_3repE0EEENS1_30default_config_static_selectorELNS0_4arch9wavefront6targetE1EEEvT1_ ; -- Begin function _ZN7rocprim17ROCPRIM_400000_NS6detail17trampoline_kernelINS0_14default_configENS1_25partition_config_selectorILNS1_17partition_subalgoE9EllbEEZZNS1_14partition_implILS5_9ELb0ES3_jPlS8_PNS0_10empty_typeENS0_5tupleIJS8_S9_EEENSB_IJS8_SA_EEENS0_18inequality_wrapperIZN2at6native12_GLOBAL__N_124unique_dim_cuda_templateItEESt5tupleIJNSF_6TensorESK_SK_EERKSK_lbbbEUlllE0_EEPmJS9_EEE10hipError_tPvRmT3_T4_T5_T6_T7_T9_mT8_P12ihipStream_tbDpT10_ENKUlT_T0_E_clISt17integral_constantIbLb0EES1A_EEDaS15_S16_EUlS15_E_NS1_11comp_targetILNS1_3genE8ELNS1_11target_archE1030ELNS1_3gpuE2ELNS1_3repE0EEENS1_30default_config_static_selectorELNS0_4arch9wavefront6targetE1EEEvT1_
	.p2align	8
	.type	_ZN7rocprim17ROCPRIM_400000_NS6detail17trampoline_kernelINS0_14default_configENS1_25partition_config_selectorILNS1_17partition_subalgoE9EllbEEZZNS1_14partition_implILS5_9ELb0ES3_jPlS8_PNS0_10empty_typeENS0_5tupleIJS8_S9_EEENSB_IJS8_SA_EEENS0_18inequality_wrapperIZN2at6native12_GLOBAL__N_124unique_dim_cuda_templateItEESt5tupleIJNSF_6TensorESK_SK_EERKSK_lbbbEUlllE0_EEPmJS9_EEE10hipError_tPvRmT3_T4_T5_T6_T7_T9_mT8_P12ihipStream_tbDpT10_ENKUlT_T0_E_clISt17integral_constantIbLb0EES1A_EEDaS15_S16_EUlS15_E_NS1_11comp_targetILNS1_3genE8ELNS1_11target_archE1030ELNS1_3gpuE2ELNS1_3repE0EEENS1_30default_config_static_selectorELNS0_4arch9wavefront6targetE1EEEvT1_,@function
_ZN7rocprim17ROCPRIM_400000_NS6detail17trampoline_kernelINS0_14default_configENS1_25partition_config_selectorILNS1_17partition_subalgoE9EllbEEZZNS1_14partition_implILS5_9ELb0ES3_jPlS8_PNS0_10empty_typeENS0_5tupleIJS8_S9_EEENSB_IJS8_SA_EEENS0_18inequality_wrapperIZN2at6native12_GLOBAL__N_124unique_dim_cuda_templateItEESt5tupleIJNSF_6TensorESK_SK_EERKSK_lbbbEUlllE0_EEPmJS9_EEE10hipError_tPvRmT3_T4_T5_T6_T7_T9_mT8_P12ihipStream_tbDpT10_ENKUlT_T0_E_clISt17integral_constantIbLb0EES1A_EEDaS15_S16_EUlS15_E_NS1_11comp_targetILNS1_3genE8ELNS1_11target_archE1030ELNS1_3gpuE2ELNS1_3repE0EEENS1_30default_config_static_selectorELNS0_4arch9wavefront6targetE1EEEvT1_: ; @_ZN7rocprim17ROCPRIM_400000_NS6detail17trampoline_kernelINS0_14default_configENS1_25partition_config_selectorILNS1_17partition_subalgoE9EllbEEZZNS1_14partition_implILS5_9ELb0ES3_jPlS8_PNS0_10empty_typeENS0_5tupleIJS8_S9_EEENSB_IJS8_SA_EEENS0_18inequality_wrapperIZN2at6native12_GLOBAL__N_124unique_dim_cuda_templateItEESt5tupleIJNSF_6TensorESK_SK_EERKSK_lbbbEUlllE0_EEPmJS9_EEE10hipError_tPvRmT3_T4_T5_T6_T7_T9_mT8_P12ihipStream_tbDpT10_ENKUlT_T0_E_clISt17integral_constantIbLb0EES1A_EEDaS15_S16_EUlS15_E_NS1_11comp_targetILNS1_3genE8ELNS1_11target_archE1030ELNS1_3gpuE2ELNS1_3repE0EEENS1_30default_config_static_selectorELNS0_4arch9wavefront6targetE1EEEvT1_
; %bb.0:
	.section	.rodata,"a",@progbits
	.p2align	6, 0x0
	.amdhsa_kernel _ZN7rocprim17ROCPRIM_400000_NS6detail17trampoline_kernelINS0_14default_configENS1_25partition_config_selectorILNS1_17partition_subalgoE9EllbEEZZNS1_14partition_implILS5_9ELb0ES3_jPlS8_PNS0_10empty_typeENS0_5tupleIJS8_S9_EEENSB_IJS8_SA_EEENS0_18inequality_wrapperIZN2at6native12_GLOBAL__N_124unique_dim_cuda_templateItEESt5tupleIJNSF_6TensorESK_SK_EERKSK_lbbbEUlllE0_EEPmJS9_EEE10hipError_tPvRmT3_T4_T5_T6_T7_T9_mT8_P12ihipStream_tbDpT10_ENKUlT_T0_E_clISt17integral_constantIbLb0EES1A_EEDaS15_S16_EUlS15_E_NS1_11comp_targetILNS1_3genE8ELNS1_11target_archE1030ELNS1_3gpuE2ELNS1_3repE0EEENS1_30default_config_static_selectorELNS0_4arch9wavefront6targetE1EEEvT1_
		.amdhsa_group_segment_fixed_size 0
		.amdhsa_private_segment_fixed_size 0
		.amdhsa_kernarg_size 120
		.amdhsa_user_sgpr_count 2
		.amdhsa_user_sgpr_dispatch_ptr 0
		.amdhsa_user_sgpr_queue_ptr 0
		.amdhsa_user_sgpr_kernarg_segment_ptr 1
		.amdhsa_user_sgpr_dispatch_id 0
		.amdhsa_user_sgpr_kernarg_preload_length 0
		.amdhsa_user_sgpr_kernarg_preload_offset 0
		.amdhsa_user_sgpr_private_segment_size 0
		.amdhsa_uses_dynamic_stack 0
		.amdhsa_enable_private_segment 0
		.amdhsa_system_sgpr_workgroup_id_x 1
		.amdhsa_system_sgpr_workgroup_id_y 0
		.amdhsa_system_sgpr_workgroup_id_z 0
		.amdhsa_system_sgpr_workgroup_info 0
		.amdhsa_system_vgpr_workitem_id 0
		.amdhsa_next_free_vgpr 1
		.amdhsa_next_free_sgpr 0
		.amdhsa_accum_offset 4
		.amdhsa_reserve_vcc 0
		.amdhsa_float_round_mode_32 0
		.amdhsa_float_round_mode_16_64 0
		.amdhsa_float_denorm_mode_32 3
		.amdhsa_float_denorm_mode_16_64 3
		.amdhsa_dx10_clamp 1
		.amdhsa_ieee_mode 1
		.amdhsa_fp16_overflow 0
		.amdhsa_tg_split 0
		.amdhsa_exception_fp_ieee_invalid_op 0
		.amdhsa_exception_fp_denorm_src 0
		.amdhsa_exception_fp_ieee_div_zero 0
		.amdhsa_exception_fp_ieee_overflow 0
		.amdhsa_exception_fp_ieee_underflow 0
		.amdhsa_exception_fp_ieee_inexact 0
		.amdhsa_exception_int_div_zero 0
	.end_amdhsa_kernel
	.section	.text._ZN7rocprim17ROCPRIM_400000_NS6detail17trampoline_kernelINS0_14default_configENS1_25partition_config_selectorILNS1_17partition_subalgoE9EllbEEZZNS1_14partition_implILS5_9ELb0ES3_jPlS8_PNS0_10empty_typeENS0_5tupleIJS8_S9_EEENSB_IJS8_SA_EEENS0_18inequality_wrapperIZN2at6native12_GLOBAL__N_124unique_dim_cuda_templateItEESt5tupleIJNSF_6TensorESK_SK_EERKSK_lbbbEUlllE0_EEPmJS9_EEE10hipError_tPvRmT3_T4_T5_T6_T7_T9_mT8_P12ihipStream_tbDpT10_ENKUlT_T0_E_clISt17integral_constantIbLb0EES1A_EEDaS15_S16_EUlS15_E_NS1_11comp_targetILNS1_3genE8ELNS1_11target_archE1030ELNS1_3gpuE2ELNS1_3repE0EEENS1_30default_config_static_selectorELNS0_4arch9wavefront6targetE1EEEvT1_,"axG",@progbits,_ZN7rocprim17ROCPRIM_400000_NS6detail17trampoline_kernelINS0_14default_configENS1_25partition_config_selectorILNS1_17partition_subalgoE9EllbEEZZNS1_14partition_implILS5_9ELb0ES3_jPlS8_PNS0_10empty_typeENS0_5tupleIJS8_S9_EEENSB_IJS8_SA_EEENS0_18inequality_wrapperIZN2at6native12_GLOBAL__N_124unique_dim_cuda_templateItEESt5tupleIJNSF_6TensorESK_SK_EERKSK_lbbbEUlllE0_EEPmJS9_EEE10hipError_tPvRmT3_T4_T5_T6_T7_T9_mT8_P12ihipStream_tbDpT10_ENKUlT_T0_E_clISt17integral_constantIbLb0EES1A_EEDaS15_S16_EUlS15_E_NS1_11comp_targetILNS1_3genE8ELNS1_11target_archE1030ELNS1_3gpuE2ELNS1_3repE0EEENS1_30default_config_static_selectorELNS0_4arch9wavefront6targetE1EEEvT1_,comdat
.Lfunc_end1458:
	.size	_ZN7rocprim17ROCPRIM_400000_NS6detail17trampoline_kernelINS0_14default_configENS1_25partition_config_selectorILNS1_17partition_subalgoE9EllbEEZZNS1_14partition_implILS5_9ELb0ES3_jPlS8_PNS0_10empty_typeENS0_5tupleIJS8_S9_EEENSB_IJS8_SA_EEENS0_18inequality_wrapperIZN2at6native12_GLOBAL__N_124unique_dim_cuda_templateItEESt5tupleIJNSF_6TensorESK_SK_EERKSK_lbbbEUlllE0_EEPmJS9_EEE10hipError_tPvRmT3_T4_T5_T6_T7_T9_mT8_P12ihipStream_tbDpT10_ENKUlT_T0_E_clISt17integral_constantIbLb0EES1A_EEDaS15_S16_EUlS15_E_NS1_11comp_targetILNS1_3genE8ELNS1_11target_archE1030ELNS1_3gpuE2ELNS1_3repE0EEENS1_30default_config_static_selectorELNS0_4arch9wavefront6targetE1EEEvT1_, .Lfunc_end1458-_ZN7rocprim17ROCPRIM_400000_NS6detail17trampoline_kernelINS0_14default_configENS1_25partition_config_selectorILNS1_17partition_subalgoE9EllbEEZZNS1_14partition_implILS5_9ELb0ES3_jPlS8_PNS0_10empty_typeENS0_5tupleIJS8_S9_EEENSB_IJS8_SA_EEENS0_18inequality_wrapperIZN2at6native12_GLOBAL__N_124unique_dim_cuda_templateItEESt5tupleIJNSF_6TensorESK_SK_EERKSK_lbbbEUlllE0_EEPmJS9_EEE10hipError_tPvRmT3_T4_T5_T6_T7_T9_mT8_P12ihipStream_tbDpT10_ENKUlT_T0_E_clISt17integral_constantIbLb0EES1A_EEDaS15_S16_EUlS15_E_NS1_11comp_targetILNS1_3genE8ELNS1_11target_archE1030ELNS1_3gpuE2ELNS1_3repE0EEENS1_30default_config_static_selectorELNS0_4arch9wavefront6targetE1EEEvT1_
                                        ; -- End function
	.set _ZN7rocprim17ROCPRIM_400000_NS6detail17trampoline_kernelINS0_14default_configENS1_25partition_config_selectorILNS1_17partition_subalgoE9EllbEEZZNS1_14partition_implILS5_9ELb0ES3_jPlS8_PNS0_10empty_typeENS0_5tupleIJS8_S9_EEENSB_IJS8_SA_EEENS0_18inequality_wrapperIZN2at6native12_GLOBAL__N_124unique_dim_cuda_templateItEESt5tupleIJNSF_6TensorESK_SK_EERKSK_lbbbEUlllE0_EEPmJS9_EEE10hipError_tPvRmT3_T4_T5_T6_T7_T9_mT8_P12ihipStream_tbDpT10_ENKUlT_T0_E_clISt17integral_constantIbLb0EES1A_EEDaS15_S16_EUlS15_E_NS1_11comp_targetILNS1_3genE8ELNS1_11target_archE1030ELNS1_3gpuE2ELNS1_3repE0EEENS1_30default_config_static_selectorELNS0_4arch9wavefront6targetE1EEEvT1_.num_vgpr, 0
	.set _ZN7rocprim17ROCPRIM_400000_NS6detail17trampoline_kernelINS0_14default_configENS1_25partition_config_selectorILNS1_17partition_subalgoE9EllbEEZZNS1_14partition_implILS5_9ELb0ES3_jPlS8_PNS0_10empty_typeENS0_5tupleIJS8_S9_EEENSB_IJS8_SA_EEENS0_18inequality_wrapperIZN2at6native12_GLOBAL__N_124unique_dim_cuda_templateItEESt5tupleIJNSF_6TensorESK_SK_EERKSK_lbbbEUlllE0_EEPmJS9_EEE10hipError_tPvRmT3_T4_T5_T6_T7_T9_mT8_P12ihipStream_tbDpT10_ENKUlT_T0_E_clISt17integral_constantIbLb0EES1A_EEDaS15_S16_EUlS15_E_NS1_11comp_targetILNS1_3genE8ELNS1_11target_archE1030ELNS1_3gpuE2ELNS1_3repE0EEENS1_30default_config_static_selectorELNS0_4arch9wavefront6targetE1EEEvT1_.num_agpr, 0
	.set _ZN7rocprim17ROCPRIM_400000_NS6detail17trampoline_kernelINS0_14default_configENS1_25partition_config_selectorILNS1_17partition_subalgoE9EllbEEZZNS1_14partition_implILS5_9ELb0ES3_jPlS8_PNS0_10empty_typeENS0_5tupleIJS8_S9_EEENSB_IJS8_SA_EEENS0_18inequality_wrapperIZN2at6native12_GLOBAL__N_124unique_dim_cuda_templateItEESt5tupleIJNSF_6TensorESK_SK_EERKSK_lbbbEUlllE0_EEPmJS9_EEE10hipError_tPvRmT3_T4_T5_T6_T7_T9_mT8_P12ihipStream_tbDpT10_ENKUlT_T0_E_clISt17integral_constantIbLb0EES1A_EEDaS15_S16_EUlS15_E_NS1_11comp_targetILNS1_3genE8ELNS1_11target_archE1030ELNS1_3gpuE2ELNS1_3repE0EEENS1_30default_config_static_selectorELNS0_4arch9wavefront6targetE1EEEvT1_.numbered_sgpr, 0
	.set _ZN7rocprim17ROCPRIM_400000_NS6detail17trampoline_kernelINS0_14default_configENS1_25partition_config_selectorILNS1_17partition_subalgoE9EllbEEZZNS1_14partition_implILS5_9ELb0ES3_jPlS8_PNS0_10empty_typeENS0_5tupleIJS8_S9_EEENSB_IJS8_SA_EEENS0_18inequality_wrapperIZN2at6native12_GLOBAL__N_124unique_dim_cuda_templateItEESt5tupleIJNSF_6TensorESK_SK_EERKSK_lbbbEUlllE0_EEPmJS9_EEE10hipError_tPvRmT3_T4_T5_T6_T7_T9_mT8_P12ihipStream_tbDpT10_ENKUlT_T0_E_clISt17integral_constantIbLb0EES1A_EEDaS15_S16_EUlS15_E_NS1_11comp_targetILNS1_3genE8ELNS1_11target_archE1030ELNS1_3gpuE2ELNS1_3repE0EEENS1_30default_config_static_selectorELNS0_4arch9wavefront6targetE1EEEvT1_.num_named_barrier, 0
	.set _ZN7rocprim17ROCPRIM_400000_NS6detail17trampoline_kernelINS0_14default_configENS1_25partition_config_selectorILNS1_17partition_subalgoE9EllbEEZZNS1_14partition_implILS5_9ELb0ES3_jPlS8_PNS0_10empty_typeENS0_5tupleIJS8_S9_EEENSB_IJS8_SA_EEENS0_18inequality_wrapperIZN2at6native12_GLOBAL__N_124unique_dim_cuda_templateItEESt5tupleIJNSF_6TensorESK_SK_EERKSK_lbbbEUlllE0_EEPmJS9_EEE10hipError_tPvRmT3_T4_T5_T6_T7_T9_mT8_P12ihipStream_tbDpT10_ENKUlT_T0_E_clISt17integral_constantIbLb0EES1A_EEDaS15_S16_EUlS15_E_NS1_11comp_targetILNS1_3genE8ELNS1_11target_archE1030ELNS1_3gpuE2ELNS1_3repE0EEENS1_30default_config_static_selectorELNS0_4arch9wavefront6targetE1EEEvT1_.private_seg_size, 0
	.set _ZN7rocprim17ROCPRIM_400000_NS6detail17trampoline_kernelINS0_14default_configENS1_25partition_config_selectorILNS1_17partition_subalgoE9EllbEEZZNS1_14partition_implILS5_9ELb0ES3_jPlS8_PNS0_10empty_typeENS0_5tupleIJS8_S9_EEENSB_IJS8_SA_EEENS0_18inequality_wrapperIZN2at6native12_GLOBAL__N_124unique_dim_cuda_templateItEESt5tupleIJNSF_6TensorESK_SK_EERKSK_lbbbEUlllE0_EEPmJS9_EEE10hipError_tPvRmT3_T4_T5_T6_T7_T9_mT8_P12ihipStream_tbDpT10_ENKUlT_T0_E_clISt17integral_constantIbLb0EES1A_EEDaS15_S16_EUlS15_E_NS1_11comp_targetILNS1_3genE8ELNS1_11target_archE1030ELNS1_3gpuE2ELNS1_3repE0EEENS1_30default_config_static_selectorELNS0_4arch9wavefront6targetE1EEEvT1_.uses_vcc, 0
	.set _ZN7rocprim17ROCPRIM_400000_NS6detail17trampoline_kernelINS0_14default_configENS1_25partition_config_selectorILNS1_17partition_subalgoE9EllbEEZZNS1_14partition_implILS5_9ELb0ES3_jPlS8_PNS0_10empty_typeENS0_5tupleIJS8_S9_EEENSB_IJS8_SA_EEENS0_18inequality_wrapperIZN2at6native12_GLOBAL__N_124unique_dim_cuda_templateItEESt5tupleIJNSF_6TensorESK_SK_EERKSK_lbbbEUlllE0_EEPmJS9_EEE10hipError_tPvRmT3_T4_T5_T6_T7_T9_mT8_P12ihipStream_tbDpT10_ENKUlT_T0_E_clISt17integral_constantIbLb0EES1A_EEDaS15_S16_EUlS15_E_NS1_11comp_targetILNS1_3genE8ELNS1_11target_archE1030ELNS1_3gpuE2ELNS1_3repE0EEENS1_30default_config_static_selectorELNS0_4arch9wavefront6targetE1EEEvT1_.uses_flat_scratch, 0
	.set _ZN7rocprim17ROCPRIM_400000_NS6detail17trampoline_kernelINS0_14default_configENS1_25partition_config_selectorILNS1_17partition_subalgoE9EllbEEZZNS1_14partition_implILS5_9ELb0ES3_jPlS8_PNS0_10empty_typeENS0_5tupleIJS8_S9_EEENSB_IJS8_SA_EEENS0_18inequality_wrapperIZN2at6native12_GLOBAL__N_124unique_dim_cuda_templateItEESt5tupleIJNSF_6TensorESK_SK_EERKSK_lbbbEUlllE0_EEPmJS9_EEE10hipError_tPvRmT3_T4_T5_T6_T7_T9_mT8_P12ihipStream_tbDpT10_ENKUlT_T0_E_clISt17integral_constantIbLb0EES1A_EEDaS15_S16_EUlS15_E_NS1_11comp_targetILNS1_3genE8ELNS1_11target_archE1030ELNS1_3gpuE2ELNS1_3repE0EEENS1_30default_config_static_selectorELNS0_4arch9wavefront6targetE1EEEvT1_.has_dyn_sized_stack, 0
	.set _ZN7rocprim17ROCPRIM_400000_NS6detail17trampoline_kernelINS0_14default_configENS1_25partition_config_selectorILNS1_17partition_subalgoE9EllbEEZZNS1_14partition_implILS5_9ELb0ES3_jPlS8_PNS0_10empty_typeENS0_5tupleIJS8_S9_EEENSB_IJS8_SA_EEENS0_18inequality_wrapperIZN2at6native12_GLOBAL__N_124unique_dim_cuda_templateItEESt5tupleIJNSF_6TensorESK_SK_EERKSK_lbbbEUlllE0_EEPmJS9_EEE10hipError_tPvRmT3_T4_T5_T6_T7_T9_mT8_P12ihipStream_tbDpT10_ENKUlT_T0_E_clISt17integral_constantIbLb0EES1A_EEDaS15_S16_EUlS15_E_NS1_11comp_targetILNS1_3genE8ELNS1_11target_archE1030ELNS1_3gpuE2ELNS1_3repE0EEENS1_30default_config_static_selectorELNS0_4arch9wavefront6targetE1EEEvT1_.has_recursion, 0
	.set _ZN7rocprim17ROCPRIM_400000_NS6detail17trampoline_kernelINS0_14default_configENS1_25partition_config_selectorILNS1_17partition_subalgoE9EllbEEZZNS1_14partition_implILS5_9ELb0ES3_jPlS8_PNS0_10empty_typeENS0_5tupleIJS8_S9_EEENSB_IJS8_SA_EEENS0_18inequality_wrapperIZN2at6native12_GLOBAL__N_124unique_dim_cuda_templateItEESt5tupleIJNSF_6TensorESK_SK_EERKSK_lbbbEUlllE0_EEPmJS9_EEE10hipError_tPvRmT3_T4_T5_T6_T7_T9_mT8_P12ihipStream_tbDpT10_ENKUlT_T0_E_clISt17integral_constantIbLb0EES1A_EEDaS15_S16_EUlS15_E_NS1_11comp_targetILNS1_3genE8ELNS1_11target_archE1030ELNS1_3gpuE2ELNS1_3repE0EEENS1_30default_config_static_selectorELNS0_4arch9wavefront6targetE1EEEvT1_.has_indirect_call, 0
	.section	.AMDGPU.csdata,"",@progbits
; Kernel info:
; codeLenInByte = 0
; TotalNumSgprs: 6
; NumVgprs: 0
; NumAgprs: 0
; TotalNumVgprs: 0
; ScratchSize: 0
; MemoryBound: 0
; FloatMode: 240
; IeeeMode: 1
; LDSByteSize: 0 bytes/workgroup (compile time only)
; SGPRBlocks: 0
; VGPRBlocks: 0
; NumSGPRsForWavesPerEU: 6
; NumVGPRsForWavesPerEU: 1
; AccumOffset: 4
; Occupancy: 8
; WaveLimiterHint : 0
; COMPUTE_PGM_RSRC2:SCRATCH_EN: 0
; COMPUTE_PGM_RSRC2:USER_SGPR: 2
; COMPUTE_PGM_RSRC2:TRAP_HANDLER: 0
; COMPUTE_PGM_RSRC2:TGID_X_EN: 1
; COMPUTE_PGM_RSRC2:TGID_Y_EN: 0
; COMPUTE_PGM_RSRC2:TGID_Z_EN: 0
; COMPUTE_PGM_RSRC2:TIDIG_COMP_CNT: 0
; COMPUTE_PGM_RSRC3_GFX90A:ACCUM_OFFSET: 0
; COMPUTE_PGM_RSRC3_GFX90A:TG_SPLIT: 0
	.section	.text._ZN7rocprim17ROCPRIM_400000_NS6detail17trampoline_kernelINS0_14default_configENS1_25partition_config_selectorILNS1_17partition_subalgoE9EllbEEZZNS1_14partition_implILS5_9ELb0ES3_jPlS8_PNS0_10empty_typeENS0_5tupleIJS8_S9_EEENSB_IJS8_SA_EEENS0_18inequality_wrapperIZN2at6native12_GLOBAL__N_124unique_dim_cuda_templateItEESt5tupleIJNSF_6TensorESK_SK_EERKSK_lbbbEUlllE0_EEPmJS9_EEE10hipError_tPvRmT3_T4_T5_T6_T7_T9_mT8_P12ihipStream_tbDpT10_ENKUlT_T0_E_clISt17integral_constantIbLb1EES1A_EEDaS15_S16_EUlS15_E_NS1_11comp_targetILNS1_3genE0ELNS1_11target_archE4294967295ELNS1_3gpuE0ELNS1_3repE0EEENS1_30default_config_static_selectorELNS0_4arch9wavefront6targetE1EEEvT1_,"axG",@progbits,_ZN7rocprim17ROCPRIM_400000_NS6detail17trampoline_kernelINS0_14default_configENS1_25partition_config_selectorILNS1_17partition_subalgoE9EllbEEZZNS1_14partition_implILS5_9ELb0ES3_jPlS8_PNS0_10empty_typeENS0_5tupleIJS8_S9_EEENSB_IJS8_SA_EEENS0_18inequality_wrapperIZN2at6native12_GLOBAL__N_124unique_dim_cuda_templateItEESt5tupleIJNSF_6TensorESK_SK_EERKSK_lbbbEUlllE0_EEPmJS9_EEE10hipError_tPvRmT3_T4_T5_T6_T7_T9_mT8_P12ihipStream_tbDpT10_ENKUlT_T0_E_clISt17integral_constantIbLb1EES1A_EEDaS15_S16_EUlS15_E_NS1_11comp_targetILNS1_3genE0ELNS1_11target_archE4294967295ELNS1_3gpuE0ELNS1_3repE0EEENS1_30default_config_static_selectorELNS0_4arch9wavefront6targetE1EEEvT1_,comdat
	.globl	_ZN7rocprim17ROCPRIM_400000_NS6detail17trampoline_kernelINS0_14default_configENS1_25partition_config_selectorILNS1_17partition_subalgoE9EllbEEZZNS1_14partition_implILS5_9ELb0ES3_jPlS8_PNS0_10empty_typeENS0_5tupleIJS8_S9_EEENSB_IJS8_SA_EEENS0_18inequality_wrapperIZN2at6native12_GLOBAL__N_124unique_dim_cuda_templateItEESt5tupleIJNSF_6TensorESK_SK_EERKSK_lbbbEUlllE0_EEPmJS9_EEE10hipError_tPvRmT3_T4_T5_T6_T7_T9_mT8_P12ihipStream_tbDpT10_ENKUlT_T0_E_clISt17integral_constantIbLb1EES1A_EEDaS15_S16_EUlS15_E_NS1_11comp_targetILNS1_3genE0ELNS1_11target_archE4294967295ELNS1_3gpuE0ELNS1_3repE0EEENS1_30default_config_static_selectorELNS0_4arch9wavefront6targetE1EEEvT1_ ; -- Begin function _ZN7rocprim17ROCPRIM_400000_NS6detail17trampoline_kernelINS0_14default_configENS1_25partition_config_selectorILNS1_17partition_subalgoE9EllbEEZZNS1_14partition_implILS5_9ELb0ES3_jPlS8_PNS0_10empty_typeENS0_5tupleIJS8_S9_EEENSB_IJS8_SA_EEENS0_18inequality_wrapperIZN2at6native12_GLOBAL__N_124unique_dim_cuda_templateItEESt5tupleIJNSF_6TensorESK_SK_EERKSK_lbbbEUlllE0_EEPmJS9_EEE10hipError_tPvRmT3_T4_T5_T6_T7_T9_mT8_P12ihipStream_tbDpT10_ENKUlT_T0_E_clISt17integral_constantIbLb1EES1A_EEDaS15_S16_EUlS15_E_NS1_11comp_targetILNS1_3genE0ELNS1_11target_archE4294967295ELNS1_3gpuE0ELNS1_3repE0EEENS1_30default_config_static_selectorELNS0_4arch9wavefront6targetE1EEEvT1_
	.p2align	8
	.type	_ZN7rocprim17ROCPRIM_400000_NS6detail17trampoline_kernelINS0_14default_configENS1_25partition_config_selectorILNS1_17partition_subalgoE9EllbEEZZNS1_14partition_implILS5_9ELb0ES3_jPlS8_PNS0_10empty_typeENS0_5tupleIJS8_S9_EEENSB_IJS8_SA_EEENS0_18inequality_wrapperIZN2at6native12_GLOBAL__N_124unique_dim_cuda_templateItEESt5tupleIJNSF_6TensorESK_SK_EERKSK_lbbbEUlllE0_EEPmJS9_EEE10hipError_tPvRmT3_T4_T5_T6_T7_T9_mT8_P12ihipStream_tbDpT10_ENKUlT_T0_E_clISt17integral_constantIbLb1EES1A_EEDaS15_S16_EUlS15_E_NS1_11comp_targetILNS1_3genE0ELNS1_11target_archE4294967295ELNS1_3gpuE0ELNS1_3repE0EEENS1_30default_config_static_selectorELNS0_4arch9wavefront6targetE1EEEvT1_,@function
_ZN7rocprim17ROCPRIM_400000_NS6detail17trampoline_kernelINS0_14default_configENS1_25partition_config_selectorILNS1_17partition_subalgoE9EllbEEZZNS1_14partition_implILS5_9ELb0ES3_jPlS8_PNS0_10empty_typeENS0_5tupleIJS8_S9_EEENSB_IJS8_SA_EEENS0_18inequality_wrapperIZN2at6native12_GLOBAL__N_124unique_dim_cuda_templateItEESt5tupleIJNSF_6TensorESK_SK_EERKSK_lbbbEUlllE0_EEPmJS9_EEE10hipError_tPvRmT3_T4_T5_T6_T7_T9_mT8_P12ihipStream_tbDpT10_ENKUlT_T0_E_clISt17integral_constantIbLb1EES1A_EEDaS15_S16_EUlS15_E_NS1_11comp_targetILNS1_3genE0ELNS1_11target_archE4294967295ELNS1_3gpuE0ELNS1_3repE0EEENS1_30default_config_static_selectorELNS0_4arch9wavefront6targetE1EEEvT1_: ; @_ZN7rocprim17ROCPRIM_400000_NS6detail17trampoline_kernelINS0_14default_configENS1_25partition_config_selectorILNS1_17partition_subalgoE9EllbEEZZNS1_14partition_implILS5_9ELb0ES3_jPlS8_PNS0_10empty_typeENS0_5tupleIJS8_S9_EEENSB_IJS8_SA_EEENS0_18inequality_wrapperIZN2at6native12_GLOBAL__N_124unique_dim_cuda_templateItEESt5tupleIJNSF_6TensorESK_SK_EERKSK_lbbbEUlllE0_EEPmJS9_EEE10hipError_tPvRmT3_T4_T5_T6_T7_T9_mT8_P12ihipStream_tbDpT10_ENKUlT_T0_E_clISt17integral_constantIbLb1EES1A_EEDaS15_S16_EUlS15_E_NS1_11comp_targetILNS1_3genE0ELNS1_11target_archE4294967295ELNS1_3gpuE0ELNS1_3repE0EEENS1_30default_config_static_selectorELNS0_4arch9wavefront6targetE1EEEvT1_
; %bb.0:
	s_endpgm
	.section	.rodata,"a",@progbits
	.p2align	6, 0x0
	.amdhsa_kernel _ZN7rocprim17ROCPRIM_400000_NS6detail17trampoline_kernelINS0_14default_configENS1_25partition_config_selectorILNS1_17partition_subalgoE9EllbEEZZNS1_14partition_implILS5_9ELb0ES3_jPlS8_PNS0_10empty_typeENS0_5tupleIJS8_S9_EEENSB_IJS8_SA_EEENS0_18inequality_wrapperIZN2at6native12_GLOBAL__N_124unique_dim_cuda_templateItEESt5tupleIJNSF_6TensorESK_SK_EERKSK_lbbbEUlllE0_EEPmJS9_EEE10hipError_tPvRmT3_T4_T5_T6_T7_T9_mT8_P12ihipStream_tbDpT10_ENKUlT_T0_E_clISt17integral_constantIbLb1EES1A_EEDaS15_S16_EUlS15_E_NS1_11comp_targetILNS1_3genE0ELNS1_11target_archE4294967295ELNS1_3gpuE0ELNS1_3repE0EEENS1_30default_config_static_selectorELNS0_4arch9wavefront6targetE1EEEvT1_
		.amdhsa_group_segment_fixed_size 0
		.amdhsa_private_segment_fixed_size 0
		.amdhsa_kernarg_size 136
		.amdhsa_user_sgpr_count 2
		.amdhsa_user_sgpr_dispatch_ptr 0
		.amdhsa_user_sgpr_queue_ptr 0
		.amdhsa_user_sgpr_kernarg_segment_ptr 1
		.amdhsa_user_sgpr_dispatch_id 0
		.amdhsa_user_sgpr_kernarg_preload_length 0
		.amdhsa_user_sgpr_kernarg_preload_offset 0
		.amdhsa_user_sgpr_private_segment_size 0
		.amdhsa_uses_dynamic_stack 0
		.amdhsa_enable_private_segment 0
		.amdhsa_system_sgpr_workgroup_id_x 1
		.amdhsa_system_sgpr_workgroup_id_y 0
		.amdhsa_system_sgpr_workgroup_id_z 0
		.amdhsa_system_sgpr_workgroup_info 0
		.amdhsa_system_vgpr_workitem_id 0
		.amdhsa_next_free_vgpr 1
		.amdhsa_next_free_sgpr 0
		.amdhsa_accum_offset 4
		.amdhsa_reserve_vcc 0
		.amdhsa_float_round_mode_32 0
		.amdhsa_float_round_mode_16_64 0
		.amdhsa_float_denorm_mode_32 3
		.amdhsa_float_denorm_mode_16_64 3
		.amdhsa_dx10_clamp 1
		.amdhsa_ieee_mode 1
		.amdhsa_fp16_overflow 0
		.amdhsa_tg_split 0
		.amdhsa_exception_fp_ieee_invalid_op 0
		.amdhsa_exception_fp_denorm_src 0
		.amdhsa_exception_fp_ieee_div_zero 0
		.amdhsa_exception_fp_ieee_overflow 0
		.amdhsa_exception_fp_ieee_underflow 0
		.amdhsa_exception_fp_ieee_inexact 0
		.amdhsa_exception_int_div_zero 0
	.end_amdhsa_kernel
	.section	.text._ZN7rocprim17ROCPRIM_400000_NS6detail17trampoline_kernelINS0_14default_configENS1_25partition_config_selectorILNS1_17partition_subalgoE9EllbEEZZNS1_14partition_implILS5_9ELb0ES3_jPlS8_PNS0_10empty_typeENS0_5tupleIJS8_S9_EEENSB_IJS8_SA_EEENS0_18inequality_wrapperIZN2at6native12_GLOBAL__N_124unique_dim_cuda_templateItEESt5tupleIJNSF_6TensorESK_SK_EERKSK_lbbbEUlllE0_EEPmJS9_EEE10hipError_tPvRmT3_T4_T5_T6_T7_T9_mT8_P12ihipStream_tbDpT10_ENKUlT_T0_E_clISt17integral_constantIbLb1EES1A_EEDaS15_S16_EUlS15_E_NS1_11comp_targetILNS1_3genE0ELNS1_11target_archE4294967295ELNS1_3gpuE0ELNS1_3repE0EEENS1_30default_config_static_selectorELNS0_4arch9wavefront6targetE1EEEvT1_,"axG",@progbits,_ZN7rocprim17ROCPRIM_400000_NS6detail17trampoline_kernelINS0_14default_configENS1_25partition_config_selectorILNS1_17partition_subalgoE9EllbEEZZNS1_14partition_implILS5_9ELb0ES3_jPlS8_PNS0_10empty_typeENS0_5tupleIJS8_S9_EEENSB_IJS8_SA_EEENS0_18inequality_wrapperIZN2at6native12_GLOBAL__N_124unique_dim_cuda_templateItEESt5tupleIJNSF_6TensorESK_SK_EERKSK_lbbbEUlllE0_EEPmJS9_EEE10hipError_tPvRmT3_T4_T5_T6_T7_T9_mT8_P12ihipStream_tbDpT10_ENKUlT_T0_E_clISt17integral_constantIbLb1EES1A_EEDaS15_S16_EUlS15_E_NS1_11comp_targetILNS1_3genE0ELNS1_11target_archE4294967295ELNS1_3gpuE0ELNS1_3repE0EEENS1_30default_config_static_selectorELNS0_4arch9wavefront6targetE1EEEvT1_,comdat
.Lfunc_end1459:
	.size	_ZN7rocprim17ROCPRIM_400000_NS6detail17trampoline_kernelINS0_14default_configENS1_25partition_config_selectorILNS1_17partition_subalgoE9EllbEEZZNS1_14partition_implILS5_9ELb0ES3_jPlS8_PNS0_10empty_typeENS0_5tupleIJS8_S9_EEENSB_IJS8_SA_EEENS0_18inequality_wrapperIZN2at6native12_GLOBAL__N_124unique_dim_cuda_templateItEESt5tupleIJNSF_6TensorESK_SK_EERKSK_lbbbEUlllE0_EEPmJS9_EEE10hipError_tPvRmT3_T4_T5_T6_T7_T9_mT8_P12ihipStream_tbDpT10_ENKUlT_T0_E_clISt17integral_constantIbLb1EES1A_EEDaS15_S16_EUlS15_E_NS1_11comp_targetILNS1_3genE0ELNS1_11target_archE4294967295ELNS1_3gpuE0ELNS1_3repE0EEENS1_30default_config_static_selectorELNS0_4arch9wavefront6targetE1EEEvT1_, .Lfunc_end1459-_ZN7rocprim17ROCPRIM_400000_NS6detail17trampoline_kernelINS0_14default_configENS1_25partition_config_selectorILNS1_17partition_subalgoE9EllbEEZZNS1_14partition_implILS5_9ELb0ES3_jPlS8_PNS0_10empty_typeENS0_5tupleIJS8_S9_EEENSB_IJS8_SA_EEENS0_18inequality_wrapperIZN2at6native12_GLOBAL__N_124unique_dim_cuda_templateItEESt5tupleIJNSF_6TensorESK_SK_EERKSK_lbbbEUlllE0_EEPmJS9_EEE10hipError_tPvRmT3_T4_T5_T6_T7_T9_mT8_P12ihipStream_tbDpT10_ENKUlT_T0_E_clISt17integral_constantIbLb1EES1A_EEDaS15_S16_EUlS15_E_NS1_11comp_targetILNS1_3genE0ELNS1_11target_archE4294967295ELNS1_3gpuE0ELNS1_3repE0EEENS1_30default_config_static_selectorELNS0_4arch9wavefront6targetE1EEEvT1_
                                        ; -- End function
	.set _ZN7rocprim17ROCPRIM_400000_NS6detail17trampoline_kernelINS0_14default_configENS1_25partition_config_selectorILNS1_17partition_subalgoE9EllbEEZZNS1_14partition_implILS5_9ELb0ES3_jPlS8_PNS0_10empty_typeENS0_5tupleIJS8_S9_EEENSB_IJS8_SA_EEENS0_18inequality_wrapperIZN2at6native12_GLOBAL__N_124unique_dim_cuda_templateItEESt5tupleIJNSF_6TensorESK_SK_EERKSK_lbbbEUlllE0_EEPmJS9_EEE10hipError_tPvRmT3_T4_T5_T6_T7_T9_mT8_P12ihipStream_tbDpT10_ENKUlT_T0_E_clISt17integral_constantIbLb1EES1A_EEDaS15_S16_EUlS15_E_NS1_11comp_targetILNS1_3genE0ELNS1_11target_archE4294967295ELNS1_3gpuE0ELNS1_3repE0EEENS1_30default_config_static_selectorELNS0_4arch9wavefront6targetE1EEEvT1_.num_vgpr, 0
	.set _ZN7rocprim17ROCPRIM_400000_NS6detail17trampoline_kernelINS0_14default_configENS1_25partition_config_selectorILNS1_17partition_subalgoE9EllbEEZZNS1_14partition_implILS5_9ELb0ES3_jPlS8_PNS0_10empty_typeENS0_5tupleIJS8_S9_EEENSB_IJS8_SA_EEENS0_18inequality_wrapperIZN2at6native12_GLOBAL__N_124unique_dim_cuda_templateItEESt5tupleIJNSF_6TensorESK_SK_EERKSK_lbbbEUlllE0_EEPmJS9_EEE10hipError_tPvRmT3_T4_T5_T6_T7_T9_mT8_P12ihipStream_tbDpT10_ENKUlT_T0_E_clISt17integral_constantIbLb1EES1A_EEDaS15_S16_EUlS15_E_NS1_11comp_targetILNS1_3genE0ELNS1_11target_archE4294967295ELNS1_3gpuE0ELNS1_3repE0EEENS1_30default_config_static_selectorELNS0_4arch9wavefront6targetE1EEEvT1_.num_agpr, 0
	.set _ZN7rocprim17ROCPRIM_400000_NS6detail17trampoline_kernelINS0_14default_configENS1_25partition_config_selectorILNS1_17partition_subalgoE9EllbEEZZNS1_14partition_implILS5_9ELb0ES3_jPlS8_PNS0_10empty_typeENS0_5tupleIJS8_S9_EEENSB_IJS8_SA_EEENS0_18inequality_wrapperIZN2at6native12_GLOBAL__N_124unique_dim_cuda_templateItEESt5tupleIJNSF_6TensorESK_SK_EERKSK_lbbbEUlllE0_EEPmJS9_EEE10hipError_tPvRmT3_T4_T5_T6_T7_T9_mT8_P12ihipStream_tbDpT10_ENKUlT_T0_E_clISt17integral_constantIbLb1EES1A_EEDaS15_S16_EUlS15_E_NS1_11comp_targetILNS1_3genE0ELNS1_11target_archE4294967295ELNS1_3gpuE0ELNS1_3repE0EEENS1_30default_config_static_selectorELNS0_4arch9wavefront6targetE1EEEvT1_.numbered_sgpr, 0
	.set _ZN7rocprim17ROCPRIM_400000_NS6detail17trampoline_kernelINS0_14default_configENS1_25partition_config_selectorILNS1_17partition_subalgoE9EllbEEZZNS1_14partition_implILS5_9ELb0ES3_jPlS8_PNS0_10empty_typeENS0_5tupleIJS8_S9_EEENSB_IJS8_SA_EEENS0_18inequality_wrapperIZN2at6native12_GLOBAL__N_124unique_dim_cuda_templateItEESt5tupleIJNSF_6TensorESK_SK_EERKSK_lbbbEUlllE0_EEPmJS9_EEE10hipError_tPvRmT3_T4_T5_T6_T7_T9_mT8_P12ihipStream_tbDpT10_ENKUlT_T0_E_clISt17integral_constantIbLb1EES1A_EEDaS15_S16_EUlS15_E_NS1_11comp_targetILNS1_3genE0ELNS1_11target_archE4294967295ELNS1_3gpuE0ELNS1_3repE0EEENS1_30default_config_static_selectorELNS0_4arch9wavefront6targetE1EEEvT1_.num_named_barrier, 0
	.set _ZN7rocprim17ROCPRIM_400000_NS6detail17trampoline_kernelINS0_14default_configENS1_25partition_config_selectorILNS1_17partition_subalgoE9EllbEEZZNS1_14partition_implILS5_9ELb0ES3_jPlS8_PNS0_10empty_typeENS0_5tupleIJS8_S9_EEENSB_IJS8_SA_EEENS0_18inequality_wrapperIZN2at6native12_GLOBAL__N_124unique_dim_cuda_templateItEESt5tupleIJNSF_6TensorESK_SK_EERKSK_lbbbEUlllE0_EEPmJS9_EEE10hipError_tPvRmT3_T4_T5_T6_T7_T9_mT8_P12ihipStream_tbDpT10_ENKUlT_T0_E_clISt17integral_constantIbLb1EES1A_EEDaS15_S16_EUlS15_E_NS1_11comp_targetILNS1_3genE0ELNS1_11target_archE4294967295ELNS1_3gpuE0ELNS1_3repE0EEENS1_30default_config_static_selectorELNS0_4arch9wavefront6targetE1EEEvT1_.private_seg_size, 0
	.set _ZN7rocprim17ROCPRIM_400000_NS6detail17trampoline_kernelINS0_14default_configENS1_25partition_config_selectorILNS1_17partition_subalgoE9EllbEEZZNS1_14partition_implILS5_9ELb0ES3_jPlS8_PNS0_10empty_typeENS0_5tupleIJS8_S9_EEENSB_IJS8_SA_EEENS0_18inequality_wrapperIZN2at6native12_GLOBAL__N_124unique_dim_cuda_templateItEESt5tupleIJNSF_6TensorESK_SK_EERKSK_lbbbEUlllE0_EEPmJS9_EEE10hipError_tPvRmT3_T4_T5_T6_T7_T9_mT8_P12ihipStream_tbDpT10_ENKUlT_T0_E_clISt17integral_constantIbLb1EES1A_EEDaS15_S16_EUlS15_E_NS1_11comp_targetILNS1_3genE0ELNS1_11target_archE4294967295ELNS1_3gpuE0ELNS1_3repE0EEENS1_30default_config_static_selectorELNS0_4arch9wavefront6targetE1EEEvT1_.uses_vcc, 0
	.set _ZN7rocprim17ROCPRIM_400000_NS6detail17trampoline_kernelINS0_14default_configENS1_25partition_config_selectorILNS1_17partition_subalgoE9EllbEEZZNS1_14partition_implILS5_9ELb0ES3_jPlS8_PNS0_10empty_typeENS0_5tupleIJS8_S9_EEENSB_IJS8_SA_EEENS0_18inequality_wrapperIZN2at6native12_GLOBAL__N_124unique_dim_cuda_templateItEESt5tupleIJNSF_6TensorESK_SK_EERKSK_lbbbEUlllE0_EEPmJS9_EEE10hipError_tPvRmT3_T4_T5_T6_T7_T9_mT8_P12ihipStream_tbDpT10_ENKUlT_T0_E_clISt17integral_constantIbLb1EES1A_EEDaS15_S16_EUlS15_E_NS1_11comp_targetILNS1_3genE0ELNS1_11target_archE4294967295ELNS1_3gpuE0ELNS1_3repE0EEENS1_30default_config_static_selectorELNS0_4arch9wavefront6targetE1EEEvT1_.uses_flat_scratch, 0
	.set _ZN7rocprim17ROCPRIM_400000_NS6detail17trampoline_kernelINS0_14default_configENS1_25partition_config_selectorILNS1_17partition_subalgoE9EllbEEZZNS1_14partition_implILS5_9ELb0ES3_jPlS8_PNS0_10empty_typeENS0_5tupleIJS8_S9_EEENSB_IJS8_SA_EEENS0_18inequality_wrapperIZN2at6native12_GLOBAL__N_124unique_dim_cuda_templateItEESt5tupleIJNSF_6TensorESK_SK_EERKSK_lbbbEUlllE0_EEPmJS9_EEE10hipError_tPvRmT3_T4_T5_T6_T7_T9_mT8_P12ihipStream_tbDpT10_ENKUlT_T0_E_clISt17integral_constantIbLb1EES1A_EEDaS15_S16_EUlS15_E_NS1_11comp_targetILNS1_3genE0ELNS1_11target_archE4294967295ELNS1_3gpuE0ELNS1_3repE0EEENS1_30default_config_static_selectorELNS0_4arch9wavefront6targetE1EEEvT1_.has_dyn_sized_stack, 0
	.set _ZN7rocprim17ROCPRIM_400000_NS6detail17trampoline_kernelINS0_14default_configENS1_25partition_config_selectorILNS1_17partition_subalgoE9EllbEEZZNS1_14partition_implILS5_9ELb0ES3_jPlS8_PNS0_10empty_typeENS0_5tupleIJS8_S9_EEENSB_IJS8_SA_EEENS0_18inequality_wrapperIZN2at6native12_GLOBAL__N_124unique_dim_cuda_templateItEESt5tupleIJNSF_6TensorESK_SK_EERKSK_lbbbEUlllE0_EEPmJS9_EEE10hipError_tPvRmT3_T4_T5_T6_T7_T9_mT8_P12ihipStream_tbDpT10_ENKUlT_T0_E_clISt17integral_constantIbLb1EES1A_EEDaS15_S16_EUlS15_E_NS1_11comp_targetILNS1_3genE0ELNS1_11target_archE4294967295ELNS1_3gpuE0ELNS1_3repE0EEENS1_30default_config_static_selectorELNS0_4arch9wavefront6targetE1EEEvT1_.has_recursion, 0
	.set _ZN7rocprim17ROCPRIM_400000_NS6detail17trampoline_kernelINS0_14default_configENS1_25partition_config_selectorILNS1_17partition_subalgoE9EllbEEZZNS1_14partition_implILS5_9ELb0ES3_jPlS8_PNS0_10empty_typeENS0_5tupleIJS8_S9_EEENSB_IJS8_SA_EEENS0_18inequality_wrapperIZN2at6native12_GLOBAL__N_124unique_dim_cuda_templateItEESt5tupleIJNSF_6TensorESK_SK_EERKSK_lbbbEUlllE0_EEPmJS9_EEE10hipError_tPvRmT3_T4_T5_T6_T7_T9_mT8_P12ihipStream_tbDpT10_ENKUlT_T0_E_clISt17integral_constantIbLb1EES1A_EEDaS15_S16_EUlS15_E_NS1_11comp_targetILNS1_3genE0ELNS1_11target_archE4294967295ELNS1_3gpuE0ELNS1_3repE0EEENS1_30default_config_static_selectorELNS0_4arch9wavefront6targetE1EEEvT1_.has_indirect_call, 0
	.section	.AMDGPU.csdata,"",@progbits
; Kernel info:
; codeLenInByte = 4
; TotalNumSgprs: 6
; NumVgprs: 0
; NumAgprs: 0
; TotalNumVgprs: 0
; ScratchSize: 0
; MemoryBound: 0
; FloatMode: 240
; IeeeMode: 1
; LDSByteSize: 0 bytes/workgroup (compile time only)
; SGPRBlocks: 0
; VGPRBlocks: 0
; NumSGPRsForWavesPerEU: 6
; NumVGPRsForWavesPerEU: 1
; AccumOffset: 4
; Occupancy: 8
; WaveLimiterHint : 0
; COMPUTE_PGM_RSRC2:SCRATCH_EN: 0
; COMPUTE_PGM_RSRC2:USER_SGPR: 2
; COMPUTE_PGM_RSRC2:TRAP_HANDLER: 0
; COMPUTE_PGM_RSRC2:TGID_X_EN: 1
; COMPUTE_PGM_RSRC2:TGID_Y_EN: 0
; COMPUTE_PGM_RSRC2:TGID_Z_EN: 0
; COMPUTE_PGM_RSRC2:TIDIG_COMP_CNT: 0
; COMPUTE_PGM_RSRC3_GFX90A:ACCUM_OFFSET: 0
; COMPUTE_PGM_RSRC3_GFX90A:TG_SPLIT: 0
	.section	.text._ZN7rocprim17ROCPRIM_400000_NS6detail17trampoline_kernelINS0_14default_configENS1_25partition_config_selectorILNS1_17partition_subalgoE9EllbEEZZNS1_14partition_implILS5_9ELb0ES3_jPlS8_PNS0_10empty_typeENS0_5tupleIJS8_S9_EEENSB_IJS8_SA_EEENS0_18inequality_wrapperIZN2at6native12_GLOBAL__N_124unique_dim_cuda_templateItEESt5tupleIJNSF_6TensorESK_SK_EERKSK_lbbbEUlllE0_EEPmJS9_EEE10hipError_tPvRmT3_T4_T5_T6_T7_T9_mT8_P12ihipStream_tbDpT10_ENKUlT_T0_E_clISt17integral_constantIbLb1EES1A_EEDaS15_S16_EUlS15_E_NS1_11comp_targetILNS1_3genE5ELNS1_11target_archE942ELNS1_3gpuE9ELNS1_3repE0EEENS1_30default_config_static_selectorELNS0_4arch9wavefront6targetE1EEEvT1_,"axG",@progbits,_ZN7rocprim17ROCPRIM_400000_NS6detail17trampoline_kernelINS0_14default_configENS1_25partition_config_selectorILNS1_17partition_subalgoE9EllbEEZZNS1_14partition_implILS5_9ELb0ES3_jPlS8_PNS0_10empty_typeENS0_5tupleIJS8_S9_EEENSB_IJS8_SA_EEENS0_18inequality_wrapperIZN2at6native12_GLOBAL__N_124unique_dim_cuda_templateItEESt5tupleIJNSF_6TensorESK_SK_EERKSK_lbbbEUlllE0_EEPmJS9_EEE10hipError_tPvRmT3_T4_T5_T6_T7_T9_mT8_P12ihipStream_tbDpT10_ENKUlT_T0_E_clISt17integral_constantIbLb1EES1A_EEDaS15_S16_EUlS15_E_NS1_11comp_targetILNS1_3genE5ELNS1_11target_archE942ELNS1_3gpuE9ELNS1_3repE0EEENS1_30default_config_static_selectorELNS0_4arch9wavefront6targetE1EEEvT1_,comdat
	.globl	_ZN7rocprim17ROCPRIM_400000_NS6detail17trampoline_kernelINS0_14default_configENS1_25partition_config_selectorILNS1_17partition_subalgoE9EllbEEZZNS1_14partition_implILS5_9ELb0ES3_jPlS8_PNS0_10empty_typeENS0_5tupleIJS8_S9_EEENSB_IJS8_SA_EEENS0_18inequality_wrapperIZN2at6native12_GLOBAL__N_124unique_dim_cuda_templateItEESt5tupleIJNSF_6TensorESK_SK_EERKSK_lbbbEUlllE0_EEPmJS9_EEE10hipError_tPvRmT3_T4_T5_T6_T7_T9_mT8_P12ihipStream_tbDpT10_ENKUlT_T0_E_clISt17integral_constantIbLb1EES1A_EEDaS15_S16_EUlS15_E_NS1_11comp_targetILNS1_3genE5ELNS1_11target_archE942ELNS1_3gpuE9ELNS1_3repE0EEENS1_30default_config_static_selectorELNS0_4arch9wavefront6targetE1EEEvT1_ ; -- Begin function _ZN7rocprim17ROCPRIM_400000_NS6detail17trampoline_kernelINS0_14default_configENS1_25partition_config_selectorILNS1_17partition_subalgoE9EllbEEZZNS1_14partition_implILS5_9ELb0ES3_jPlS8_PNS0_10empty_typeENS0_5tupleIJS8_S9_EEENSB_IJS8_SA_EEENS0_18inequality_wrapperIZN2at6native12_GLOBAL__N_124unique_dim_cuda_templateItEESt5tupleIJNSF_6TensorESK_SK_EERKSK_lbbbEUlllE0_EEPmJS9_EEE10hipError_tPvRmT3_T4_T5_T6_T7_T9_mT8_P12ihipStream_tbDpT10_ENKUlT_T0_E_clISt17integral_constantIbLb1EES1A_EEDaS15_S16_EUlS15_E_NS1_11comp_targetILNS1_3genE5ELNS1_11target_archE942ELNS1_3gpuE9ELNS1_3repE0EEENS1_30default_config_static_selectorELNS0_4arch9wavefront6targetE1EEEvT1_
	.p2align	8
	.type	_ZN7rocprim17ROCPRIM_400000_NS6detail17trampoline_kernelINS0_14default_configENS1_25partition_config_selectorILNS1_17partition_subalgoE9EllbEEZZNS1_14partition_implILS5_9ELb0ES3_jPlS8_PNS0_10empty_typeENS0_5tupleIJS8_S9_EEENSB_IJS8_SA_EEENS0_18inequality_wrapperIZN2at6native12_GLOBAL__N_124unique_dim_cuda_templateItEESt5tupleIJNSF_6TensorESK_SK_EERKSK_lbbbEUlllE0_EEPmJS9_EEE10hipError_tPvRmT3_T4_T5_T6_T7_T9_mT8_P12ihipStream_tbDpT10_ENKUlT_T0_E_clISt17integral_constantIbLb1EES1A_EEDaS15_S16_EUlS15_E_NS1_11comp_targetILNS1_3genE5ELNS1_11target_archE942ELNS1_3gpuE9ELNS1_3repE0EEENS1_30default_config_static_selectorELNS0_4arch9wavefront6targetE1EEEvT1_,@function
_ZN7rocprim17ROCPRIM_400000_NS6detail17trampoline_kernelINS0_14default_configENS1_25partition_config_selectorILNS1_17partition_subalgoE9EllbEEZZNS1_14partition_implILS5_9ELb0ES3_jPlS8_PNS0_10empty_typeENS0_5tupleIJS8_S9_EEENSB_IJS8_SA_EEENS0_18inequality_wrapperIZN2at6native12_GLOBAL__N_124unique_dim_cuda_templateItEESt5tupleIJNSF_6TensorESK_SK_EERKSK_lbbbEUlllE0_EEPmJS9_EEE10hipError_tPvRmT3_T4_T5_T6_T7_T9_mT8_P12ihipStream_tbDpT10_ENKUlT_T0_E_clISt17integral_constantIbLb1EES1A_EEDaS15_S16_EUlS15_E_NS1_11comp_targetILNS1_3genE5ELNS1_11target_archE942ELNS1_3gpuE9ELNS1_3repE0EEENS1_30default_config_static_selectorELNS0_4arch9wavefront6targetE1EEEvT1_: ; @_ZN7rocprim17ROCPRIM_400000_NS6detail17trampoline_kernelINS0_14default_configENS1_25partition_config_selectorILNS1_17partition_subalgoE9EllbEEZZNS1_14partition_implILS5_9ELb0ES3_jPlS8_PNS0_10empty_typeENS0_5tupleIJS8_S9_EEENSB_IJS8_SA_EEENS0_18inequality_wrapperIZN2at6native12_GLOBAL__N_124unique_dim_cuda_templateItEESt5tupleIJNSF_6TensorESK_SK_EERKSK_lbbbEUlllE0_EEPmJS9_EEE10hipError_tPvRmT3_T4_T5_T6_T7_T9_mT8_P12ihipStream_tbDpT10_ENKUlT_T0_E_clISt17integral_constantIbLb1EES1A_EEDaS15_S16_EUlS15_E_NS1_11comp_targetILNS1_3genE5ELNS1_11target_archE942ELNS1_3gpuE9ELNS1_3repE0EEENS1_30default_config_static_selectorELNS0_4arch9wavefront6targetE1EEEvT1_
; %bb.0:
	.section	.rodata,"a",@progbits
	.p2align	6, 0x0
	.amdhsa_kernel _ZN7rocprim17ROCPRIM_400000_NS6detail17trampoline_kernelINS0_14default_configENS1_25partition_config_selectorILNS1_17partition_subalgoE9EllbEEZZNS1_14partition_implILS5_9ELb0ES3_jPlS8_PNS0_10empty_typeENS0_5tupleIJS8_S9_EEENSB_IJS8_SA_EEENS0_18inequality_wrapperIZN2at6native12_GLOBAL__N_124unique_dim_cuda_templateItEESt5tupleIJNSF_6TensorESK_SK_EERKSK_lbbbEUlllE0_EEPmJS9_EEE10hipError_tPvRmT3_T4_T5_T6_T7_T9_mT8_P12ihipStream_tbDpT10_ENKUlT_T0_E_clISt17integral_constantIbLb1EES1A_EEDaS15_S16_EUlS15_E_NS1_11comp_targetILNS1_3genE5ELNS1_11target_archE942ELNS1_3gpuE9ELNS1_3repE0EEENS1_30default_config_static_selectorELNS0_4arch9wavefront6targetE1EEEvT1_
		.amdhsa_group_segment_fixed_size 0
		.amdhsa_private_segment_fixed_size 0
		.amdhsa_kernarg_size 136
		.amdhsa_user_sgpr_count 2
		.amdhsa_user_sgpr_dispatch_ptr 0
		.amdhsa_user_sgpr_queue_ptr 0
		.amdhsa_user_sgpr_kernarg_segment_ptr 1
		.amdhsa_user_sgpr_dispatch_id 0
		.amdhsa_user_sgpr_kernarg_preload_length 0
		.amdhsa_user_sgpr_kernarg_preload_offset 0
		.amdhsa_user_sgpr_private_segment_size 0
		.amdhsa_uses_dynamic_stack 0
		.amdhsa_enable_private_segment 0
		.amdhsa_system_sgpr_workgroup_id_x 1
		.amdhsa_system_sgpr_workgroup_id_y 0
		.amdhsa_system_sgpr_workgroup_id_z 0
		.amdhsa_system_sgpr_workgroup_info 0
		.amdhsa_system_vgpr_workitem_id 0
		.amdhsa_next_free_vgpr 1
		.amdhsa_next_free_sgpr 0
		.amdhsa_accum_offset 4
		.amdhsa_reserve_vcc 0
		.amdhsa_float_round_mode_32 0
		.amdhsa_float_round_mode_16_64 0
		.amdhsa_float_denorm_mode_32 3
		.amdhsa_float_denorm_mode_16_64 3
		.amdhsa_dx10_clamp 1
		.amdhsa_ieee_mode 1
		.amdhsa_fp16_overflow 0
		.amdhsa_tg_split 0
		.amdhsa_exception_fp_ieee_invalid_op 0
		.amdhsa_exception_fp_denorm_src 0
		.amdhsa_exception_fp_ieee_div_zero 0
		.amdhsa_exception_fp_ieee_overflow 0
		.amdhsa_exception_fp_ieee_underflow 0
		.amdhsa_exception_fp_ieee_inexact 0
		.amdhsa_exception_int_div_zero 0
	.end_amdhsa_kernel
	.section	.text._ZN7rocprim17ROCPRIM_400000_NS6detail17trampoline_kernelINS0_14default_configENS1_25partition_config_selectorILNS1_17partition_subalgoE9EllbEEZZNS1_14partition_implILS5_9ELb0ES3_jPlS8_PNS0_10empty_typeENS0_5tupleIJS8_S9_EEENSB_IJS8_SA_EEENS0_18inequality_wrapperIZN2at6native12_GLOBAL__N_124unique_dim_cuda_templateItEESt5tupleIJNSF_6TensorESK_SK_EERKSK_lbbbEUlllE0_EEPmJS9_EEE10hipError_tPvRmT3_T4_T5_T6_T7_T9_mT8_P12ihipStream_tbDpT10_ENKUlT_T0_E_clISt17integral_constantIbLb1EES1A_EEDaS15_S16_EUlS15_E_NS1_11comp_targetILNS1_3genE5ELNS1_11target_archE942ELNS1_3gpuE9ELNS1_3repE0EEENS1_30default_config_static_selectorELNS0_4arch9wavefront6targetE1EEEvT1_,"axG",@progbits,_ZN7rocprim17ROCPRIM_400000_NS6detail17trampoline_kernelINS0_14default_configENS1_25partition_config_selectorILNS1_17partition_subalgoE9EllbEEZZNS1_14partition_implILS5_9ELb0ES3_jPlS8_PNS0_10empty_typeENS0_5tupleIJS8_S9_EEENSB_IJS8_SA_EEENS0_18inequality_wrapperIZN2at6native12_GLOBAL__N_124unique_dim_cuda_templateItEESt5tupleIJNSF_6TensorESK_SK_EERKSK_lbbbEUlllE0_EEPmJS9_EEE10hipError_tPvRmT3_T4_T5_T6_T7_T9_mT8_P12ihipStream_tbDpT10_ENKUlT_T0_E_clISt17integral_constantIbLb1EES1A_EEDaS15_S16_EUlS15_E_NS1_11comp_targetILNS1_3genE5ELNS1_11target_archE942ELNS1_3gpuE9ELNS1_3repE0EEENS1_30default_config_static_selectorELNS0_4arch9wavefront6targetE1EEEvT1_,comdat
.Lfunc_end1460:
	.size	_ZN7rocprim17ROCPRIM_400000_NS6detail17trampoline_kernelINS0_14default_configENS1_25partition_config_selectorILNS1_17partition_subalgoE9EllbEEZZNS1_14partition_implILS5_9ELb0ES3_jPlS8_PNS0_10empty_typeENS0_5tupleIJS8_S9_EEENSB_IJS8_SA_EEENS0_18inequality_wrapperIZN2at6native12_GLOBAL__N_124unique_dim_cuda_templateItEESt5tupleIJNSF_6TensorESK_SK_EERKSK_lbbbEUlllE0_EEPmJS9_EEE10hipError_tPvRmT3_T4_T5_T6_T7_T9_mT8_P12ihipStream_tbDpT10_ENKUlT_T0_E_clISt17integral_constantIbLb1EES1A_EEDaS15_S16_EUlS15_E_NS1_11comp_targetILNS1_3genE5ELNS1_11target_archE942ELNS1_3gpuE9ELNS1_3repE0EEENS1_30default_config_static_selectorELNS0_4arch9wavefront6targetE1EEEvT1_, .Lfunc_end1460-_ZN7rocprim17ROCPRIM_400000_NS6detail17trampoline_kernelINS0_14default_configENS1_25partition_config_selectorILNS1_17partition_subalgoE9EllbEEZZNS1_14partition_implILS5_9ELb0ES3_jPlS8_PNS0_10empty_typeENS0_5tupleIJS8_S9_EEENSB_IJS8_SA_EEENS0_18inequality_wrapperIZN2at6native12_GLOBAL__N_124unique_dim_cuda_templateItEESt5tupleIJNSF_6TensorESK_SK_EERKSK_lbbbEUlllE0_EEPmJS9_EEE10hipError_tPvRmT3_T4_T5_T6_T7_T9_mT8_P12ihipStream_tbDpT10_ENKUlT_T0_E_clISt17integral_constantIbLb1EES1A_EEDaS15_S16_EUlS15_E_NS1_11comp_targetILNS1_3genE5ELNS1_11target_archE942ELNS1_3gpuE9ELNS1_3repE0EEENS1_30default_config_static_selectorELNS0_4arch9wavefront6targetE1EEEvT1_
                                        ; -- End function
	.set _ZN7rocprim17ROCPRIM_400000_NS6detail17trampoline_kernelINS0_14default_configENS1_25partition_config_selectorILNS1_17partition_subalgoE9EllbEEZZNS1_14partition_implILS5_9ELb0ES3_jPlS8_PNS0_10empty_typeENS0_5tupleIJS8_S9_EEENSB_IJS8_SA_EEENS0_18inequality_wrapperIZN2at6native12_GLOBAL__N_124unique_dim_cuda_templateItEESt5tupleIJNSF_6TensorESK_SK_EERKSK_lbbbEUlllE0_EEPmJS9_EEE10hipError_tPvRmT3_T4_T5_T6_T7_T9_mT8_P12ihipStream_tbDpT10_ENKUlT_T0_E_clISt17integral_constantIbLb1EES1A_EEDaS15_S16_EUlS15_E_NS1_11comp_targetILNS1_3genE5ELNS1_11target_archE942ELNS1_3gpuE9ELNS1_3repE0EEENS1_30default_config_static_selectorELNS0_4arch9wavefront6targetE1EEEvT1_.num_vgpr, 0
	.set _ZN7rocprim17ROCPRIM_400000_NS6detail17trampoline_kernelINS0_14default_configENS1_25partition_config_selectorILNS1_17partition_subalgoE9EllbEEZZNS1_14partition_implILS5_9ELb0ES3_jPlS8_PNS0_10empty_typeENS0_5tupleIJS8_S9_EEENSB_IJS8_SA_EEENS0_18inequality_wrapperIZN2at6native12_GLOBAL__N_124unique_dim_cuda_templateItEESt5tupleIJNSF_6TensorESK_SK_EERKSK_lbbbEUlllE0_EEPmJS9_EEE10hipError_tPvRmT3_T4_T5_T6_T7_T9_mT8_P12ihipStream_tbDpT10_ENKUlT_T0_E_clISt17integral_constantIbLb1EES1A_EEDaS15_S16_EUlS15_E_NS1_11comp_targetILNS1_3genE5ELNS1_11target_archE942ELNS1_3gpuE9ELNS1_3repE0EEENS1_30default_config_static_selectorELNS0_4arch9wavefront6targetE1EEEvT1_.num_agpr, 0
	.set _ZN7rocprim17ROCPRIM_400000_NS6detail17trampoline_kernelINS0_14default_configENS1_25partition_config_selectorILNS1_17partition_subalgoE9EllbEEZZNS1_14partition_implILS5_9ELb0ES3_jPlS8_PNS0_10empty_typeENS0_5tupleIJS8_S9_EEENSB_IJS8_SA_EEENS0_18inequality_wrapperIZN2at6native12_GLOBAL__N_124unique_dim_cuda_templateItEESt5tupleIJNSF_6TensorESK_SK_EERKSK_lbbbEUlllE0_EEPmJS9_EEE10hipError_tPvRmT3_T4_T5_T6_T7_T9_mT8_P12ihipStream_tbDpT10_ENKUlT_T0_E_clISt17integral_constantIbLb1EES1A_EEDaS15_S16_EUlS15_E_NS1_11comp_targetILNS1_3genE5ELNS1_11target_archE942ELNS1_3gpuE9ELNS1_3repE0EEENS1_30default_config_static_selectorELNS0_4arch9wavefront6targetE1EEEvT1_.numbered_sgpr, 0
	.set _ZN7rocprim17ROCPRIM_400000_NS6detail17trampoline_kernelINS0_14default_configENS1_25partition_config_selectorILNS1_17partition_subalgoE9EllbEEZZNS1_14partition_implILS5_9ELb0ES3_jPlS8_PNS0_10empty_typeENS0_5tupleIJS8_S9_EEENSB_IJS8_SA_EEENS0_18inequality_wrapperIZN2at6native12_GLOBAL__N_124unique_dim_cuda_templateItEESt5tupleIJNSF_6TensorESK_SK_EERKSK_lbbbEUlllE0_EEPmJS9_EEE10hipError_tPvRmT3_T4_T5_T6_T7_T9_mT8_P12ihipStream_tbDpT10_ENKUlT_T0_E_clISt17integral_constantIbLb1EES1A_EEDaS15_S16_EUlS15_E_NS1_11comp_targetILNS1_3genE5ELNS1_11target_archE942ELNS1_3gpuE9ELNS1_3repE0EEENS1_30default_config_static_selectorELNS0_4arch9wavefront6targetE1EEEvT1_.num_named_barrier, 0
	.set _ZN7rocprim17ROCPRIM_400000_NS6detail17trampoline_kernelINS0_14default_configENS1_25partition_config_selectorILNS1_17partition_subalgoE9EllbEEZZNS1_14partition_implILS5_9ELb0ES3_jPlS8_PNS0_10empty_typeENS0_5tupleIJS8_S9_EEENSB_IJS8_SA_EEENS0_18inequality_wrapperIZN2at6native12_GLOBAL__N_124unique_dim_cuda_templateItEESt5tupleIJNSF_6TensorESK_SK_EERKSK_lbbbEUlllE0_EEPmJS9_EEE10hipError_tPvRmT3_T4_T5_T6_T7_T9_mT8_P12ihipStream_tbDpT10_ENKUlT_T0_E_clISt17integral_constantIbLb1EES1A_EEDaS15_S16_EUlS15_E_NS1_11comp_targetILNS1_3genE5ELNS1_11target_archE942ELNS1_3gpuE9ELNS1_3repE0EEENS1_30default_config_static_selectorELNS0_4arch9wavefront6targetE1EEEvT1_.private_seg_size, 0
	.set _ZN7rocprim17ROCPRIM_400000_NS6detail17trampoline_kernelINS0_14default_configENS1_25partition_config_selectorILNS1_17partition_subalgoE9EllbEEZZNS1_14partition_implILS5_9ELb0ES3_jPlS8_PNS0_10empty_typeENS0_5tupleIJS8_S9_EEENSB_IJS8_SA_EEENS0_18inequality_wrapperIZN2at6native12_GLOBAL__N_124unique_dim_cuda_templateItEESt5tupleIJNSF_6TensorESK_SK_EERKSK_lbbbEUlllE0_EEPmJS9_EEE10hipError_tPvRmT3_T4_T5_T6_T7_T9_mT8_P12ihipStream_tbDpT10_ENKUlT_T0_E_clISt17integral_constantIbLb1EES1A_EEDaS15_S16_EUlS15_E_NS1_11comp_targetILNS1_3genE5ELNS1_11target_archE942ELNS1_3gpuE9ELNS1_3repE0EEENS1_30default_config_static_selectorELNS0_4arch9wavefront6targetE1EEEvT1_.uses_vcc, 0
	.set _ZN7rocprim17ROCPRIM_400000_NS6detail17trampoline_kernelINS0_14default_configENS1_25partition_config_selectorILNS1_17partition_subalgoE9EllbEEZZNS1_14partition_implILS5_9ELb0ES3_jPlS8_PNS0_10empty_typeENS0_5tupleIJS8_S9_EEENSB_IJS8_SA_EEENS0_18inequality_wrapperIZN2at6native12_GLOBAL__N_124unique_dim_cuda_templateItEESt5tupleIJNSF_6TensorESK_SK_EERKSK_lbbbEUlllE0_EEPmJS9_EEE10hipError_tPvRmT3_T4_T5_T6_T7_T9_mT8_P12ihipStream_tbDpT10_ENKUlT_T0_E_clISt17integral_constantIbLb1EES1A_EEDaS15_S16_EUlS15_E_NS1_11comp_targetILNS1_3genE5ELNS1_11target_archE942ELNS1_3gpuE9ELNS1_3repE0EEENS1_30default_config_static_selectorELNS0_4arch9wavefront6targetE1EEEvT1_.uses_flat_scratch, 0
	.set _ZN7rocprim17ROCPRIM_400000_NS6detail17trampoline_kernelINS0_14default_configENS1_25partition_config_selectorILNS1_17partition_subalgoE9EllbEEZZNS1_14partition_implILS5_9ELb0ES3_jPlS8_PNS0_10empty_typeENS0_5tupleIJS8_S9_EEENSB_IJS8_SA_EEENS0_18inequality_wrapperIZN2at6native12_GLOBAL__N_124unique_dim_cuda_templateItEESt5tupleIJNSF_6TensorESK_SK_EERKSK_lbbbEUlllE0_EEPmJS9_EEE10hipError_tPvRmT3_T4_T5_T6_T7_T9_mT8_P12ihipStream_tbDpT10_ENKUlT_T0_E_clISt17integral_constantIbLb1EES1A_EEDaS15_S16_EUlS15_E_NS1_11comp_targetILNS1_3genE5ELNS1_11target_archE942ELNS1_3gpuE9ELNS1_3repE0EEENS1_30default_config_static_selectorELNS0_4arch9wavefront6targetE1EEEvT1_.has_dyn_sized_stack, 0
	.set _ZN7rocprim17ROCPRIM_400000_NS6detail17trampoline_kernelINS0_14default_configENS1_25partition_config_selectorILNS1_17partition_subalgoE9EllbEEZZNS1_14partition_implILS5_9ELb0ES3_jPlS8_PNS0_10empty_typeENS0_5tupleIJS8_S9_EEENSB_IJS8_SA_EEENS0_18inequality_wrapperIZN2at6native12_GLOBAL__N_124unique_dim_cuda_templateItEESt5tupleIJNSF_6TensorESK_SK_EERKSK_lbbbEUlllE0_EEPmJS9_EEE10hipError_tPvRmT3_T4_T5_T6_T7_T9_mT8_P12ihipStream_tbDpT10_ENKUlT_T0_E_clISt17integral_constantIbLb1EES1A_EEDaS15_S16_EUlS15_E_NS1_11comp_targetILNS1_3genE5ELNS1_11target_archE942ELNS1_3gpuE9ELNS1_3repE0EEENS1_30default_config_static_selectorELNS0_4arch9wavefront6targetE1EEEvT1_.has_recursion, 0
	.set _ZN7rocprim17ROCPRIM_400000_NS6detail17trampoline_kernelINS0_14default_configENS1_25partition_config_selectorILNS1_17partition_subalgoE9EllbEEZZNS1_14partition_implILS5_9ELb0ES3_jPlS8_PNS0_10empty_typeENS0_5tupleIJS8_S9_EEENSB_IJS8_SA_EEENS0_18inequality_wrapperIZN2at6native12_GLOBAL__N_124unique_dim_cuda_templateItEESt5tupleIJNSF_6TensorESK_SK_EERKSK_lbbbEUlllE0_EEPmJS9_EEE10hipError_tPvRmT3_T4_T5_T6_T7_T9_mT8_P12ihipStream_tbDpT10_ENKUlT_T0_E_clISt17integral_constantIbLb1EES1A_EEDaS15_S16_EUlS15_E_NS1_11comp_targetILNS1_3genE5ELNS1_11target_archE942ELNS1_3gpuE9ELNS1_3repE0EEENS1_30default_config_static_selectorELNS0_4arch9wavefront6targetE1EEEvT1_.has_indirect_call, 0
	.section	.AMDGPU.csdata,"",@progbits
; Kernel info:
; codeLenInByte = 0
; TotalNumSgprs: 6
; NumVgprs: 0
; NumAgprs: 0
; TotalNumVgprs: 0
; ScratchSize: 0
; MemoryBound: 0
; FloatMode: 240
; IeeeMode: 1
; LDSByteSize: 0 bytes/workgroup (compile time only)
; SGPRBlocks: 0
; VGPRBlocks: 0
; NumSGPRsForWavesPerEU: 6
; NumVGPRsForWavesPerEU: 1
; AccumOffset: 4
; Occupancy: 8
; WaveLimiterHint : 0
; COMPUTE_PGM_RSRC2:SCRATCH_EN: 0
; COMPUTE_PGM_RSRC2:USER_SGPR: 2
; COMPUTE_PGM_RSRC2:TRAP_HANDLER: 0
; COMPUTE_PGM_RSRC2:TGID_X_EN: 1
; COMPUTE_PGM_RSRC2:TGID_Y_EN: 0
; COMPUTE_PGM_RSRC2:TGID_Z_EN: 0
; COMPUTE_PGM_RSRC2:TIDIG_COMP_CNT: 0
; COMPUTE_PGM_RSRC3_GFX90A:ACCUM_OFFSET: 0
; COMPUTE_PGM_RSRC3_GFX90A:TG_SPLIT: 0
	.section	.text._ZN7rocprim17ROCPRIM_400000_NS6detail17trampoline_kernelINS0_14default_configENS1_25partition_config_selectorILNS1_17partition_subalgoE9EllbEEZZNS1_14partition_implILS5_9ELb0ES3_jPlS8_PNS0_10empty_typeENS0_5tupleIJS8_S9_EEENSB_IJS8_SA_EEENS0_18inequality_wrapperIZN2at6native12_GLOBAL__N_124unique_dim_cuda_templateItEESt5tupleIJNSF_6TensorESK_SK_EERKSK_lbbbEUlllE0_EEPmJS9_EEE10hipError_tPvRmT3_T4_T5_T6_T7_T9_mT8_P12ihipStream_tbDpT10_ENKUlT_T0_E_clISt17integral_constantIbLb1EES1A_EEDaS15_S16_EUlS15_E_NS1_11comp_targetILNS1_3genE4ELNS1_11target_archE910ELNS1_3gpuE8ELNS1_3repE0EEENS1_30default_config_static_selectorELNS0_4arch9wavefront6targetE1EEEvT1_,"axG",@progbits,_ZN7rocprim17ROCPRIM_400000_NS6detail17trampoline_kernelINS0_14default_configENS1_25partition_config_selectorILNS1_17partition_subalgoE9EllbEEZZNS1_14partition_implILS5_9ELb0ES3_jPlS8_PNS0_10empty_typeENS0_5tupleIJS8_S9_EEENSB_IJS8_SA_EEENS0_18inequality_wrapperIZN2at6native12_GLOBAL__N_124unique_dim_cuda_templateItEESt5tupleIJNSF_6TensorESK_SK_EERKSK_lbbbEUlllE0_EEPmJS9_EEE10hipError_tPvRmT3_T4_T5_T6_T7_T9_mT8_P12ihipStream_tbDpT10_ENKUlT_T0_E_clISt17integral_constantIbLb1EES1A_EEDaS15_S16_EUlS15_E_NS1_11comp_targetILNS1_3genE4ELNS1_11target_archE910ELNS1_3gpuE8ELNS1_3repE0EEENS1_30default_config_static_selectorELNS0_4arch9wavefront6targetE1EEEvT1_,comdat
	.globl	_ZN7rocprim17ROCPRIM_400000_NS6detail17trampoline_kernelINS0_14default_configENS1_25partition_config_selectorILNS1_17partition_subalgoE9EllbEEZZNS1_14partition_implILS5_9ELb0ES3_jPlS8_PNS0_10empty_typeENS0_5tupleIJS8_S9_EEENSB_IJS8_SA_EEENS0_18inequality_wrapperIZN2at6native12_GLOBAL__N_124unique_dim_cuda_templateItEESt5tupleIJNSF_6TensorESK_SK_EERKSK_lbbbEUlllE0_EEPmJS9_EEE10hipError_tPvRmT3_T4_T5_T6_T7_T9_mT8_P12ihipStream_tbDpT10_ENKUlT_T0_E_clISt17integral_constantIbLb1EES1A_EEDaS15_S16_EUlS15_E_NS1_11comp_targetILNS1_3genE4ELNS1_11target_archE910ELNS1_3gpuE8ELNS1_3repE0EEENS1_30default_config_static_selectorELNS0_4arch9wavefront6targetE1EEEvT1_ ; -- Begin function _ZN7rocprim17ROCPRIM_400000_NS6detail17trampoline_kernelINS0_14default_configENS1_25partition_config_selectorILNS1_17partition_subalgoE9EllbEEZZNS1_14partition_implILS5_9ELb0ES3_jPlS8_PNS0_10empty_typeENS0_5tupleIJS8_S9_EEENSB_IJS8_SA_EEENS0_18inequality_wrapperIZN2at6native12_GLOBAL__N_124unique_dim_cuda_templateItEESt5tupleIJNSF_6TensorESK_SK_EERKSK_lbbbEUlllE0_EEPmJS9_EEE10hipError_tPvRmT3_T4_T5_T6_T7_T9_mT8_P12ihipStream_tbDpT10_ENKUlT_T0_E_clISt17integral_constantIbLb1EES1A_EEDaS15_S16_EUlS15_E_NS1_11comp_targetILNS1_3genE4ELNS1_11target_archE910ELNS1_3gpuE8ELNS1_3repE0EEENS1_30default_config_static_selectorELNS0_4arch9wavefront6targetE1EEEvT1_
	.p2align	8
	.type	_ZN7rocprim17ROCPRIM_400000_NS6detail17trampoline_kernelINS0_14default_configENS1_25partition_config_selectorILNS1_17partition_subalgoE9EllbEEZZNS1_14partition_implILS5_9ELb0ES3_jPlS8_PNS0_10empty_typeENS0_5tupleIJS8_S9_EEENSB_IJS8_SA_EEENS0_18inequality_wrapperIZN2at6native12_GLOBAL__N_124unique_dim_cuda_templateItEESt5tupleIJNSF_6TensorESK_SK_EERKSK_lbbbEUlllE0_EEPmJS9_EEE10hipError_tPvRmT3_T4_T5_T6_T7_T9_mT8_P12ihipStream_tbDpT10_ENKUlT_T0_E_clISt17integral_constantIbLb1EES1A_EEDaS15_S16_EUlS15_E_NS1_11comp_targetILNS1_3genE4ELNS1_11target_archE910ELNS1_3gpuE8ELNS1_3repE0EEENS1_30default_config_static_selectorELNS0_4arch9wavefront6targetE1EEEvT1_,@function
_ZN7rocprim17ROCPRIM_400000_NS6detail17trampoline_kernelINS0_14default_configENS1_25partition_config_selectorILNS1_17partition_subalgoE9EllbEEZZNS1_14partition_implILS5_9ELb0ES3_jPlS8_PNS0_10empty_typeENS0_5tupleIJS8_S9_EEENSB_IJS8_SA_EEENS0_18inequality_wrapperIZN2at6native12_GLOBAL__N_124unique_dim_cuda_templateItEESt5tupleIJNSF_6TensorESK_SK_EERKSK_lbbbEUlllE0_EEPmJS9_EEE10hipError_tPvRmT3_T4_T5_T6_T7_T9_mT8_P12ihipStream_tbDpT10_ENKUlT_T0_E_clISt17integral_constantIbLb1EES1A_EEDaS15_S16_EUlS15_E_NS1_11comp_targetILNS1_3genE4ELNS1_11target_archE910ELNS1_3gpuE8ELNS1_3repE0EEENS1_30default_config_static_selectorELNS0_4arch9wavefront6targetE1EEEvT1_: ; @_ZN7rocprim17ROCPRIM_400000_NS6detail17trampoline_kernelINS0_14default_configENS1_25partition_config_selectorILNS1_17partition_subalgoE9EllbEEZZNS1_14partition_implILS5_9ELb0ES3_jPlS8_PNS0_10empty_typeENS0_5tupleIJS8_S9_EEENSB_IJS8_SA_EEENS0_18inequality_wrapperIZN2at6native12_GLOBAL__N_124unique_dim_cuda_templateItEESt5tupleIJNSF_6TensorESK_SK_EERKSK_lbbbEUlllE0_EEPmJS9_EEE10hipError_tPvRmT3_T4_T5_T6_T7_T9_mT8_P12ihipStream_tbDpT10_ENKUlT_T0_E_clISt17integral_constantIbLb1EES1A_EEDaS15_S16_EUlS15_E_NS1_11comp_targetILNS1_3genE4ELNS1_11target_archE910ELNS1_3gpuE8ELNS1_3repE0EEENS1_30default_config_static_selectorELNS0_4arch9wavefront6targetE1EEEvT1_
; %bb.0:
	.section	.rodata,"a",@progbits
	.p2align	6, 0x0
	.amdhsa_kernel _ZN7rocprim17ROCPRIM_400000_NS6detail17trampoline_kernelINS0_14default_configENS1_25partition_config_selectorILNS1_17partition_subalgoE9EllbEEZZNS1_14partition_implILS5_9ELb0ES3_jPlS8_PNS0_10empty_typeENS0_5tupleIJS8_S9_EEENSB_IJS8_SA_EEENS0_18inequality_wrapperIZN2at6native12_GLOBAL__N_124unique_dim_cuda_templateItEESt5tupleIJNSF_6TensorESK_SK_EERKSK_lbbbEUlllE0_EEPmJS9_EEE10hipError_tPvRmT3_T4_T5_T6_T7_T9_mT8_P12ihipStream_tbDpT10_ENKUlT_T0_E_clISt17integral_constantIbLb1EES1A_EEDaS15_S16_EUlS15_E_NS1_11comp_targetILNS1_3genE4ELNS1_11target_archE910ELNS1_3gpuE8ELNS1_3repE0EEENS1_30default_config_static_selectorELNS0_4arch9wavefront6targetE1EEEvT1_
		.amdhsa_group_segment_fixed_size 0
		.amdhsa_private_segment_fixed_size 0
		.amdhsa_kernarg_size 136
		.amdhsa_user_sgpr_count 2
		.amdhsa_user_sgpr_dispatch_ptr 0
		.amdhsa_user_sgpr_queue_ptr 0
		.amdhsa_user_sgpr_kernarg_segment_ptr 1
		.amdhsa_user_sgpr_dispatch_id 0
		.amdhsa_user_sgpr_kernarg_preload_length 0
		.amdhsa_user_sgpr_kernarg_preload_offset 0
		.amdhsa_user_sgpr_private_segment_size 0
		.amdhsa_uses_dynamic_stack 0
		.amdhsa_enable_private_segment 0
		.amdhsa_system_sgpr_workgroup_id_x 1
		.amdhsa_system_sgpr_workgroup_id_y 0
		.amdhsa_system_sgpr_workgroup_id_z 0
		.amdhsa_system_sgpr_workgroup_info 0
		.amdhsa_system_vgpr_workitem_id 0
		.amdhsa_next_free_vgpr 1
		.amdhsa_next_free_sgpr 0
		.amdhsa_accum_offset 4
		.amdhsa_reserve_vcc 0
		.amdhsa_float_round_mode_32 0
		.amdhsa_float_round_mode_16_64 0
		.amdhsa_float_denorm_mode_32 3
		.amdhsa_float_denorm_mode_16_64 3
		.amdhsa_dx10_clamp 1
		.amdhsa_ieee_mode 1
		.amdhsa_fp16_overflow 0
		.amdhsa_tg_split 0
		.amdhsa_exception_fp_ieee_invalid_op 0
		.amdhsa_exception_fp_denorm_src 0
		.amdhsa_exception_fp_ieee_div_zero 0
		.amdhsa_exception_fp_ieee_overflow 0
		.amdhsa_exception_fp_ieee_underflow 0
		.amdhsa_exception_fp_ieee_inexact 0
		.amdhsa_exception_int_div_zero 0
	.end_amdhsa_kernel
	.section	.text._ZN7rocprim17ROCPRIM_400000_NS6detail17trampoline_kernelINS0_14default_configENS1_25partition_config_selectorILNS1_17partition_subalgoE9EllbEEZZNS1_14partition_implILS5_9ELb0ES3_jPlS8_PNS0_10empty_typeENS0_5tupleIJS8_S9_EEENSB_IJS8_SA_EEENS0_18inequality_wrapperIZN2at6native12_GLOBAL__N_124unique_dim_cuda_templateItEESt5tupleIJNSF_6TensorESK_SK_EERKSK_lbbbEUlllE0_EEPmJS9_EEE10hipError_tPvRmT3_T4_T5_T6_T7_T9_mT8_P12ihipStream_tbDpT10_ENKUlT_T0_E_clISt17integral_constantIbLb1EES1A_EEDaS15_S16_EUlS15_E_NS1_11comp_targetILNS1_3genE4ELNS1_11target_archE910ELNS1_3gpuE8ELNS1_3repE0EEENS1_30default_config_static_selectorELNS0_4arch9wavefront6targetE1EEEvT1_,"axG",@progbits,_ZN7rocprim17ROCPRIM_400000_NS6detail17trampoline_kernelINS0_14default_configENS1_25partition_config_selectorILNS1_17partition_subalgoE9EllbEEZZNS1_14partition_implILS5_9ELb0ES3_jPlS8_PNS0_10empty_typeENS0_5tupleIJS8_S9_EEENSB_IJS8_SA_EEENS0_18inequality_wrapperIZN2at6native12_GLOBAL__N_124unique_dim_cuda_templateItEESt5tupleIJNSF_6TensorESK_SK_EERKSK_lbbbEUlllE0_EEPmJS9_EEE10hipError_tPvRmT3_T4_T5_T6_T7_T9_mT8_P12ihipStream_tbDpT10_ENKUlT_T0_E_clISt17integral_constantIbLb1EES1A_EEDaS15_S16_EUlS15_E_NS1_11comp_targetILNS1_3genE4ELNS1_11target_archE910ELNS1_3gpuE8ELNS1_3repE0EEENS1_30default_config_static_selectorELNS0_4arch9wavefront6targetE1EEEvT1_,comdat
.Lfunc_end1461:
	.size	_ZN7rocprim17ROCPRIM_400000_NS6detail17trampoline_kernelINS0_14default_configENS1_25partition_config_selectorILNS1_17partition_subalgoE9EllbEEZZNS1_14partition_implILS5_9ELb0ES3_jPlS8_PNS0_10empty_typeENS0_5tupleIJS8_S9_EEENSB_IJS8_SA_EEENS0_18inequality_wrapperIZN2at6native12_GLOBAL__N_124unique_dim_cuda_templateItEESt5tupleIJNSF_6TensorESK_SK_EERKSK_lbbbEUlllE0_EEPmJS9_EEE10hipError_tPvRmT3_T4_T5_T6_T7_T9_mT8_P12ihipStream_tbDpT10_ENKUlT_T0_E_clISt17integral_constantIbLb1EES1A_EEDaS15_S16_EUlS15_E_NS1_11comp_targetILNS1_3genE4ELNS1_11target_archE910ELNS1_3gpuE8ELNS1_3repE0EEENS1_30default_config_static_selectorELNS0_4arch9wavefront6targetE1EEEvT1_, .Lfunc_end1461-_ZN7rocprim17ROCPRIM_400000_NS6detail17trampoline_kernelINS0_14default_configENS1_25partition_config_selectorILNS1_17partition_subalgoE9EllbEEZZNS1_14partition_implILS5_9ELb0ES3_jPlS8_PNS0_10empty_typeENS0_5tupleIJS8_S9_EEENSB_IJS8_SA_EEENS0_18inequality_wrapperIZN2at6native12_GLOBAL__N_124unique_dim_cuda_templateItEESt5tupleIJNSF_6TensorESK_SK_EERKSK_lbbbEUlllE0_EEPmJS9_EEE10hipError_tPvRmT3_T4_T5_T6_T7_T9_mT8_P12ihipStream_tbDpT10_ENKUlT_T0_E_clISt17integral_constantIbLb1EES1A_EEDaS15_S16_EUlS15_E_NS1_11comp_targetILNS1_3genE4ELNS1_11target_archE910ELNS1_3gpuE8ELNS1_3repE0EEENS1_30default_config_static_selectorELNS0_4arch9wavefront6targetE1EEEvT1_
                                        ; -- End function
	.set _ZN7rocprim17ROCPRIM_400000_NS6detail17trampoline_kernelINS0_14default_configENS1_25partition_config_selectorILNS1_17partition_subalgoE9EllbEEZZNS1_14partition_implILS5_9ELb0ES3_jPlS8_PNS0_10empty_typeENS0_5tupleIJS8_S9_EEENSB_IJS8_SA_EEENS0_18inequality_wrapperIZN2at6native12_GLOBAL__N_124unique_dim_cuda_templateItEESt5tupleIJNSF_6TensorESK_SK_EERKSK_lbbbEUlllE0_EEPmJS9_EEE10hipError_tPvRmT3_T4_T5_T6_T7_T9_mT8_P12ihipStream_tbDpT10_ENKUlT_T0_E_clISt17integral_constantIbLb1EES1A_EEDaS15_S16_EUlS15_E_NS1_11comp_targetILNS1_3genE4ELNS1_11target_archE910ELNS1_3gpuE8ELNS1_3repE0EEENS1_30default_config_static_selectorELNS0_4arch9wavefront6targetE1EEEvT1_.num_vgpr, 0
	.set _ZN7rocprim17ROCPRIM_400000_NS6detail17trampoline_kernelINS0_14default_configENS1_25partition_config_selectorILNS1_17partition_subalgoE9EllbEEZZNS1_14partition_implILS5_9ELb0ES3_jPlS8_PNS0_10empty_typeENS0_5tupleIJS8_S9_EEENSB_IJS8_SA_EEENS0_18inequality_wrapperIZN2at6native12_GLOBAL__N_124unique_dim_cuda_templateItEESt5tupleIJNSF_6TensorESK_SK_EERKSK_lbbbEUlllE0_EEPmJS9_EEE10hipError_tPvRmT3_T4_T5_T6_T7_T9_mT8_P12ihipStream_tbDpT10_ENKUlT_T0_E_clISt17integral_constantIbLb1EES1A_EEDaS15_S16_EUlS15_E_NS1_11comp_targetILNS1_3genE4ELNS1_11target_archE910ELNS1_3gpuE8ELNS1_3repE0EEENS1_30default_config_static_selectorELNS0_4arch9wavefront6targetE1EEEvT1_.num_agpr, 0
	.set _ZN7rocprim17ROCPRIM_400000_NS6detail17trampoline_kernelINS0_14default_configENS1_25partition_config_selectorILNS1_17partition_subalgoE9EllbEEZZNS1_14partition_implILS5_9ELb0ES3_jPlS8_PNS0_10empty_typeENS0_5tupleIJS8_S9_EEENSB_IJS8_SA_EEENS0_18inequality_wrapperIZN2at6native12_GLOBAL__N_124unique_dim_cuda_templateItEESt5tupleIJNSF_6TensorESK_SK_EERKSK_lbbbEUlllE0_EEPmJS9_EEE10hipError_tPvRmT3_T4_T5_T6_T7_T9_mT8_P12ihipStream_tbDpT10_ENKUlT_T0_E_clISt17integral_constantIbLb1EES1A_EEDaS15_S16_EUlS15_E_NS1_11comp_targetILNS1_3genE4ELNS1_11target_archE910ELNS1_3gpuE8ELNS1_3repE0EEENS1_30default_config_static_selectorELNS0_4arch9wavefront6targetE1EEEvT1_.numbered_sgpr, 0
	.set _ZN7rocprim17ROCPRIM_400000_NS6detail17trampoline_kernelINS0_14default_configENS1_25partition_config_selectorILNS1_17partition_subalgoE9EllbEEZZNS1_14partition_implILS5_9ELb0ES3_jPlS8_PNS0_10empty_typeENS0_5tupleIJS8_S9_EEENSB_IJS8_SA_EEENS0_18inequality_wrapperIZN2at6native12_GLOBAL__N_124unique_dim_cuda_templateItEESt5tupleIJNSF_6TensorESK_SK_EERKSK_lbbbEUlllE0_EEPmJS9_EEE10hipError_tPvRmT3_T4_T5_T6_T7_T9_mT8_P12ihipStream_tbDpT10_ENKUlT_T0_E_clISt17integral_constantIbLb1EES1A_EEDaS15_S16_EUlS15_E_NS1_11comp_targetILNS1_3genE4ELNS1_11target_archE910ELNS1_3gpuE8ELNS1_3repE0EEENS1_30default_config_static_selectorELNS0_4arch9wavefront6targetE1EEEvT1_.num_named_barrier, 0
	.set _ZN7rocprim17ROCPRIM_400000_NS6detail17trampoline_kernelINS0_14default_configENS1_25partition_config_selectorILNS1_17partition_subalgoE9EllbEEZZNS1_14partition_implILS5_9ELb0ES3_jPlS8_PNS0_10empty_typeENS0_5tupleIJS8_S9_EEENSB_IJS8_SA_EEENS0_18inequality_wrapperIZN2at6native12_GLOBAL__N_124unique_dim_cuda_templateItEESt5tupleIJNSF_6TensorESK_SK_EERKSK_lbbbEUlllE0_EEPmJS9_EEE10hipError_tPvRmT3_T4_T5_T6_T7_T9_mT8_P12ihipStream_tbDpT10_ENKUlT_T0_E_clISt17integral_constantIbLb1EES1A_EEDaS15_S16_EUlS15_E_NS1_11comp_targetILNS1_3genE4ELNS1_11target_archE910ELNS1_3gpuE8ELNS1_3repE0EEENS1_30default_config_static_selectorELNS0_4arch9wavefront6targetE1EEEvT1_.private_seg_size, 0
	.set _ZN7rocprim17ROCPRIM_400000_NS6detail17trampoline_kernelINS0_14default_configENS1_25partition_config_selectorILNS1_17partition_subalgoE9EllbEEZZNS1_14partition_implILS5_9ELb0ES3_jPlS8_PNS0_10empty_typeENS0_5tupleIJS8_S9_EEENSB_IJS8_SA_EEENS0_18inequality_wrapperIZN2at6native12_GLOBAL__N_124unique_dim_cuda_templateItEESt5tupleIJNSF_6TensorESK_SK_EERKSK_lbbbEUlllE0_EEPmJS9_EEE10hipError_tPvRmT3_T4_T5_T6_T7_T9_mT8_P12ihipStream_tbDpT10_ENKUlT_T0_E_clISt17integral_constantIbLb1EES1A_EEDaS15_S16_EUlS15_E_NS1_11comp_targetILNS1_3genE4ELNS1_11target_archE910ELNS1_3gpuE8ELNS1_3repE0EEENS1_30default_config_static_selectorELNS0_4arch9wavefront6targetE1EEEvT1_.uses_vcc, 0
	.set _ZN7rocprim17ROCPRIM_400000_NS6detail17trampoline_kernelINS0_14default_configENS1_25partition_config_selectorILNS1_17partition_subalgoE9EllbEEZZNS1_14partition_implILS5_9ELb0ES3_jPlS8_PNS0_10empty_typeENS0_5tupleIJS8_S9_EEENSB_IJS8_SA_EEENS0_18inequality_wrapperIZN2at6native12_GLOBAL__N_124unique_dim_cuda_templateItEESt5tupleIJNSF_6TensorESK_SK_EERKSK_lbbbEUlllE0_EEPmJS9_EEE10hipError_tPvRmT3_T4_T5_T6_T7_T9_mT8_P12ihipStream_tbDpT10_ENKUlT_T0_E_clISt17integral_constantIbLb1EES1A_EEDaS15_S16_EUlS15_E_NS1_11comp_targetILNS1_3genE4ELNS1_11target_archE910ELNS1_3gpuE8ELNS1_3repE0EEENS1_30default_config_static_selectorELNS0_4arch9wavefront6targetE1EEEvT1_.uses_flat_scratch, 0
	.set _ZN7rocprim17ROCPRIM_400000_NS6detail17trampoline_kernelINS0_14default_configENS1_25partition_config_selectorILNS1_17partition_subalgoE9EllbEEZZNS1_14partition_implILS5_9ELb0ES3_jPlS8_PNS0_10empty_typeENS0_5tupleIJS8_S9_EEENSB_IJS8_SA_EEENS0_18inequality_wrapperIZN2at6native12_GLOBAL__N_124unique_dim_cuda_templateItEESt5tupleIJNSF_6TensorESK_SK_EERKSK_lbbbEUlllE0_EEPmJS9_EEE10hipError_tPvRmT3_T4_T5_T6_T7_T9_mT8_P12ihipStream_tbDpT10_ENKUlT_T0_E_clISt17integral_constantIbLb1EES1A_EEDaS15_S16_EUlS15_E_NS1_11comp_targetILNS1_3genE4ELNS1_11target_archE910ELNS1_3gpuE8ELNS1_3repE0EEENS1_30default_config_static_selectorELNS0_4arch9wavefront6targetE1EEEvT1_.has_dyn_sized_stack, 0
	.set _ZN7rocprim17ROCPRIM_400000_NS6detail17trampoline_kernelINS0_14default_configENS1_25partition_config_selectorILNS1_17partition_subalgoE9EllbEEZZNS1_14partition_implILS5_9ELb0ES3_jPlS8_PNS0_10empty_typeENS0_5tupleIJS8_S9_EEENSB_IJS8_SA_EEENS0_18inequality_wrapperIZN2at6native12_GLOBAL__N_124unique_dim_cuda_templateItEESt5tupleIJNSF_6TensorESK_SK_EERKSK_lbbbEUlllE0_EEPmJS9_EEE10hipError_tPvRmT3_T4_T5_T6_T7_T9_mT8_P12ihipStream_tbDpT10_ENKUlT_T0_E_clISt17integral_constantIbLb1EES1A_EEDaS15_S16_EUlS15_E_NS1_11comp_targetILNS1_3genE4ELNS1_11target_archE910ELNS1_3gpuE8ELNS1_3repE0EEENS1_30default_config_static_selectorELNS0_4arch9wavefront6targetE1EEEvT1_.has_recursion, 0
	.set _ZN7rocprim17ROCPRIM_400000_NS6detail17trampoline_kernelINS0_14default_configENS1_25partition_config_selectorILNS1_17partition_subalgoE9EllbEEZZNS1_14partition_implILS5_9ELb0ES3_jPlS8_PNS0_10empty_typeENS0_5tupleIJS8_S9_EEENSB_IJS8_SA_EEENS0_18inequality_wrapperIZN2at6native12_GLOBAL__N_124unique_dim_cuda_templateItEESt5tupleIJNSF_6TensorESK_SK_EERKSK_lbbbEUlllE0_EEPmJS9_EEE10hipError_tPvRmT3_T4_T5_T6_T7_T9_mT8_P12ihipStream_tbDpT10_ENKUlT_T0_E_clISt17integral_constantIbLb1EES1A_EEDaS15_S16_EUlS15_E_NS1_11comp_targetILNS1_3genE4ELNS1_11target_archE910ELNS1_3gpuE8ELNS1_3repE0EEENS1_30default_config_static_selectorELNS0_4arch9wavefront6targetE1EEEvT1_.has_indirect_call, 0
	.section	.AMDGPU.csdata,"",@progbits
; Kernel info:
; codeLenInByte = 0
; TotalNumSgprs: 6
; NumVgprs: 0
; NumAgprs: 0
; TotalNumVgprs: 0
; ScratchSize: 0
; MemoryBound: 0
; FloatMode: 240
; IeeeMode: 1
; LDSByteSize: 0 bytes/workgroup (compile time only)
; SGPRBlocks: 0
; VGPRBlocks: 0
; NumSGPRsForWavesPerEU: 6
; NumVGPRsForWavesPerEU: 1
; AccumOffset: 4
; Occupancy: 8
; WaveLimiterHint : 0
; COMPUTE_PGM_RSRC2:SCRATCH_EN: 0
; COMPUTE_PGM_RSRC2:USER_SGPR: 2
; COMPUTE_PGM_RSRC2:TRAP_HANDLER: 0
; COMPUTE_PGM_RSRC2:TGID_X_EN: 1
; COMPUTE_PGM_RSRC2:TGID_Y_EN: 0
; COMPUTE_PGM_RSRC2:TGID_Z_EN: 0
; COMPUTE_PGM_RSRC2:TIDIG_COMP_CNT: 0
; COMPUTE_PGM_RSRC3_GFX90A:ACCUM_OFFSET: 0
; COMPUTE_PGM_RSRC3_GFX90A:TG_SPLIT: 0
	.section	.text._ZN7rocprim17ROCPRIM_400000_NS6detail17trampoline_kernelINS0_14default_configENS1_25partition_config_selectorILNS1_17partition_subalgoE9EllbEEZZNS1_14partition_implILS5_9ELb0ES3_jPlS8_PNS0_10empty_typeENS0_5tupleIJS8_S9_EEENSB_IJS8_SA_EEENS0_18inequality_wrapperIZN2at6native12_GLOBAL__N_124unique_dim_cuda_templateItEESt5tupleIJNSF_6TensorESK_SK_EERKSK_lbbbEUlllE0_EEPmJS9_EEE10hipError_tPvRmT3_T4_T5_T6_T7_T9_mT8_P12ihipStream_tbDpT10_ENKUlT_T0_E_clISt17integral_constantIbLb1EES1A_EEDaS15_S16_EUlS15_E_NS1_11comp_targetILNS1_3genE3ELNS1_11target_archE908ELNS1_3gpuE7ELNS1_3repE0EEENS1_30default_config_static_selectorELNS0_4arch9wavefront6targetE1EEEvT1_,"axG",@progbits,_ZN7rocprim17ROCPRIM_400000_NS6detail17trampoline_kernelINS0_14default_configENS1_25partition_config_selectorILNS1_17partition_subalgoE9EllbEEZZNS1_14partition_implILS5_9ELb0ES3_jPlS8_PNS0_10empty_typeENS0_5tupleIJS8_S9_EEENSB_IJS8_SA_EEENS0_18inequality_wrapperIZN2at6native12_GLOBAL__N_124unique_dim_cuda_templateItEESt5tupleIJNSF_6TensorESK_SK_EERKSK_lbbbEUlllE0_EEPmJS9_EEE10hipError_tPvRmT3_T4_T5_T6_T7_T9_mT8_P12ihipStream_tbDpT10_ENKUlT_T0_E_clISt17integral_constantIbLb1EES1A_EEDaS15_S16_EUlS15_E_NS1_11comp_targetILNS1_3genE3ELNS1_11target_archE908ELNS1_3gpuE7ELNS1_3repE0EEENS1_30default_config_static_selectorELNS0_4arch9wavefront6targetE1EEEvT1_,comdat
	.globl	_ZN7rocprim17ROCPRIM_400000_NS6detail17trampoline_kernelINS0_14default_configENS1_25partition_config_selectorILNS1_17partition_subalgoE9EllbEEZZNS1_14partition_implILS5_9ELb0ES3_jPlS8_PNS0_10empty_typeENS0_5tupleIJS8_S9_EEENSB_IJS8_SA_EEENS0_18inequality_wrapperIZN2at6native12_GLOBAL__N_124unique_dim_cuda_templateItEESt5tupleIJNSF_6TensorESK_SK_EERKSK_lbbbEUlllE0_EEPmJS9_EEE10hipError_tPvRmT3_T4_T5_T6_T7_T9_mT8_P12ihipStream_tbDpT10_ENKUlT_T0_E_clISt17integral_constantIbLb1EES1A_EEDaS15_S16_EUlS15_E_NS1_11comp_targetILNS1_3genE3ELNS1_11target_archE908ELNS1_3gpuE7ELNS1_3repE0EEENS1_30default_config_static_selectorELNS0_4arch9wavefront6targetE1EEEvT1_ ; -- Begin function _ZN7rocprim17ROCPRIM_400000_NS6detail17trampoline_kernelINS0_14default_configENS1_25partition_config_selectorILNS1_17partition_subalgoE9EllbEEZZNS1_14partition_implILS5_9ELb0ES3_jPlS8_PNS0_10empty_typeENS0_5tupleIJS8_S9_EEENSB_IJS8_SA_EEENS0_18inequality_wrapperIZN2at6native12_GLOBAL__N_124unique_dim_cuda_templateItEESt5tupleIJNSF_6TensorESK_SK_EERKSK_lbbbEUlllE0_EEPmJS9_EEE10hipError_tPvRmT3_T4_T5_T6_T7_T9_mT8_P12ihipStream_tbDpT10_ENKUlT_T0_E_clISt17integral_constantIbLb1EES1A_EEDaS15_S16_EUlS15_E_NS1_11comp_targetILNS1_3genE3ELNS1_11target_archE908ELNS1_3gpuE7ELNS1_3repE0EEENS1_30default_config_static_selectorELNS0_4arch9wavefront6targetE1EEEvT1_
	.p2align	8
	.type	_ZN7rocprim17ROCPRIM_400000_NS6detail17trampoline_kernelINS0_14default_configENS1_25partition_config_selectorILNS1_17partition_subalgoE9EllbEEZZNS1_14partition_implILS5_9ELb0ES3_jPlS8_PNS0_10empty_typeENS0_5tupleIJS8_S9_EEENSB_IJS8_SA_EEENS0_18inequality_wrapperIZN2at6native12_GLOBAL__N_124unique_dim_cuda_templateItEESt5tupleIJNSF_6TensorESK_SK_EERKSK_lbbbEUlllE0_EEPmJS9_EEE10hipError_tPvRmT3_T4_T5_T6_T7_T9_mT8_P12ihipStream_tbDpT10_ENKUlT_T0_E_clISt17integral_constantIbLb1EES1A_EEDaS15_S16_EUlS15_E_NS1_11comp_targetILNS1_3genE3ELNS1_11target_archE908ELNS1_3gpuE7ELNS1_3repE0EEENS1_30default_config_static_selectorELNS0_4arch9wavefront6targetE1EEEvT1_,@function
_ZN7rocprim17ROCPRIM_400000_NS6detail17trampoline_kernelINS0_14default_configENS1_25partition_config_selectorILNS1_17partition_subalgoE9EllbEEZZNS1_14partition_implILS5_9ELb0ES3_jPlS8_PNS0_10empty_typeENS0_5tupleIJS8_S9_EEENSB_IJS8_SA_EEENS0_18inequality_wrapperIZN2at6native12_GLOBAL__N_124unique_dim_cuda_templateItEESt5tupleIJNSF_6TensorESK_SK_EERKSK_lbbbEUlllE0_EEPmJS9_EEE10hipError_tPvRmT3_T4_T5_T6_T7_T9_mT8_P12ihipStream_tbDpT10_ENKUlT_T0_E_clISt17integral_constantIbLb1EES1A_EEDaS15_S16_EUlS15_E_NS1_11comp_targetILNS1_3genE3ELNS1_11target_archE908ELNS1_3gpuE7ELNS1_3repE0EEENS1_30default_config_static_selectorELNS0_4arch9wavefront6targetE1EEEvT1_: ; @_ZN7rocprim17ROCPRIM_400000_NS6detail17trampoline_kernelINS0_14default_configENS1_25partition_config_selectorILNS1_17partition_subalgoE9EllbEEZZNS1_14partition_implILS5_9ELb0ES3_jPlS8_PNS0_10empty_typeENS0_5tupleIJS8_S9_EEENSB_IJS8_SA_EEENS0_18inequality_wrapperIZN2at6native12_GLOBAL__N_124unique_dim_cuda_templateItEESt5tupleIJNSF_6TensorESK_SK_EERKSK_lbbbEUlllE0_EEPmJS9_EEE10hipError_tPvRmT3_T4_T5_T6_T7_T9_mT8_P12ihipStream_tbDpT10_ENKUlT_T0_E_clISt17integral_constantIbLb1EES1A_EEDaS15_S16_EUlS15_E_NS1_11comp_targetILNS1_3genE3ELNS1_11target_archE908ELNS1_3gpuE7ELNS1_3repE0EEENS1_30default_config_static_selectorELNS0_4arch9wavefront6targetE1EEEvT1_
; %bb.0:
	.section	.rodata,"a",@progbits
	.p2align	6, 0x0
	.amdhsa_kernel _ZN7rocprim17ROCPRIM_400000_NS6detail17trampoline_kernelINS0_14default_configENS1_25partition_config_selectorILNS1_17partition_subalgoE9EllbEEZZNS1_14partition_implILS5_9ELb0ES3_jPlS8_PNS0_10empty_typeENS0_5tupleIJS8_S9_EEENSB_IJS8_SA_EEENS0_18inequality_wrapperIZN2at6native12_GLOBAL__N_124unique_dim_cuda_templateItEESt5tupleIJNSF_6TensorESK_SK_EERKSK_lbbbEUlllE0_EEPmJS9_EEE10hipError_tPvRmT3_T4_T5_T6_T7_T9_mT8_P12ihipStream_tbDpT10_ENKUlT_T0_E_clISt17integral_constantIbLb1EES1A_EEDaS15_S16_EUlS15_E_NS1_11comp_targetILNS1_3genE3ELNS1_11target_archE908ELNS1_3gpuE7ELNS1_3repE0EEENS1_30default_config_static_selectorELNS0_4arch9wavefront6targetE1EEEvT1_
		.amdhsa_group_segment_fixed_size 0
		.amdhsa_private_segment_fixed_size 0
		.amdhsa_kernarg_size 136
		.amdhsa_user_sgpr_count 2
		.amdhsa_user_sgpr_dispatch_ptr 0
		.amdhsa_user_sgpr_queue_ptr 0
		.amdhsa_user_sgpr_kernarg_segment_ptr 1
		.amdhsa_user_sgpr_dispatch_id 0
		.amdhsa_user_sgpr_kernarg_preload_length 0
		.amdhsa_user_sgpr_kernarg_preload_offset 0
		.amdhsa_user_sgpr_private_segment_size 0
		.amdhsa_uses_dynamic_stack 0
		.amdhsa_enable_private_segment 0
		.amdhsa_system_sgpr_workgroup_id_x 1
		.amdhsa_system_sgpr_workgroup_id_y 0
		.amdhsa_system_sgpr_workgroup_id_z 0
		.amdhsa_system_sgpr_workgroup_info 0
		.amdhsa_system_vgpr_workitem_id 0
		.amdhsa_next_free_vgpr 1
		.amdhsa_next_free_sgpr 0
		.amdhsa_accum_offset 4
		.amdhsa_reserve_vcc 0
		.amdhsa_float_round_mode_32 0
		.amdhsa_float_round_mode_16_64 0
		.amdhsa_float_denorm_mode_32 3
		.amdhsa_float_denorm_mode_16_64 3
		.amdhsa_dx10_clamp 1
		.amdhsa_ieee_mode 1
		.amdhsa_fp16_overflow 0
		.amdhsa_tg_split 0
		.amdhsa_exception_fp_ieee_invalid_op 0
		.amdhsa_exception_fp_denorm_src 0
		.amdhsa_exception_fp_ieee_div_zero 0
		.amdhsa_exception_fp_ieee_overflow 0
		.amdhsa_exception_fp_ieee_underflow 0
		.amdhsa_exception_fp_ieee_inexact 0
		.amdhsa_exception_int_div_zero 0
	.end_amdhsa_kernel
	.section	.text._ZN7rocprim17ROCPRIM_400000_NS6detail17trampoline_kernelINS0_14default_configENS1_25partition_config_selectorILNS1_17partition_subalgoE9EllbEEZZNS1_14partition_implILS5_9ELb0ES3_jPlS8_PNS0_10empty_typeENS0_5tupleIJS8_S9_EEENSB_IJS8_SA_EEENS0_18inequality_wrapperIZN2at6native12_GLOBAL__N_124unique_dim_cuda_templateItEESt5tupleIJNSF_6TensorESK_SK_EERKSK_lbbbEUlllE0_EEPmJS9_EEE10hipError_tPvRmT3_T4_T5_T6_T7_T9_mT8_P12ihipStream_tbDpT10_ENKUlT_T0_E_clISt17integral_constantIbLb1EES1A_EEDaS15_S16_EUlS15_E_NS1_11comp_targetILNS1_3genE3ELNS1_11target_archE908ELNS1_3gpuE7ELNS1_3repE0EEENS1_30default_config_static_selectorELNS0_4arch9wavefront6targetE1EEEvT1_,"axG",@progbits,_ZN7rocprim17ROCPRIM_400000_NS6detail17trampoline_kernelINS0_14default_configENS1_25partition_config_selectorILNS1_17partition_subalgoE9EllbEEZZNS1_14partition_implILS5_9ELb0ES3_jPlS8_PNS0_10empty_typeENS0_5tupleIJS8_S9_EEENSB_IJS8_SA_EEENS0_18inequality_wrapperIZN2at6native12_GLOBAL__N_124unique_dim_cuda_templateItEESt5tupleIJNSF_6TensorESK_SK_EERKSK_lbbbEUlllE0_EEPmJS9_EEE10hipError_tPvRmT3_T4_T5_T6_T7_T9_mT8_P12ihipStream_tbDpT10_ENKUlT_T0_E_clISt17integral_constantIbLb1EES1A_EEDaS15_S16_EUlS15_E_NS1_11comp_targetILNS1_3genE3ELNS1_11target_archE908ELNS1_3gpuE7ELNS1_3repE0EEENS1_30default_config_static_selectorELNS0_4arch9wavefront6targetE1EEEvT1_,comdat
.Lfunc_end1462:
	.size	_ZN7rocprim17ROCPRIM_400000_NS6detail17trampoline_kernelINS0_14default_configENS1_25partition_config_selectorILNS1_17partition_subalgoE9EllbEEZZNS1_14partition_implILS5_9ELb0ES3_jPlS8_PNS0_10empty_typeENS0_5tupleIJS8_S9_EEENSB_IJS8_SA_EEENS0_18inequality_wrapperIZN2at6native12_GLOBAL__N_124unique_dim_cuda_templateItEESt5tupleIJNSF_6TensorESK_SK_EERKSK_lbbbEUlllE0_EEPmJS9_EEE10hipError_tPvRmT3_T4_T5_T6_T7_T9_mT8_P12ihipStream_tbDpT10_ENKUlT_T0_E_clISt17integral_constantIbLb1EES1A_EEDaS15_S16_EUlS15_E_NS1_11comp_targetILNS1_3genE3ELNS1_11target_archE908ELNS1_3gpuE7ELNS1_3repE0EEENS1_30default_config_static_selectorELNS0_4arch9wavefront6targetE1EEEvT1_, .Lfunc_end1462-_ZN7rocprim17ROCPRIM_400000_NS6detail17trampoline_kernelINS0_14default_configENS1_25partition_config_selectorILNS1_17partition_subalgoE9EllbEEZZNS1_14partition_implILS5_9ELb0ES3_jPlS8_PNS0_10empty_typeENS0_5tupleIJS8_S9_EEENSB_IJS8_SA_EEENS0_18inequality_wrapperIZN2at6native12_GLOBAL__N_124unique_dim_cuda_templateItEESt5tupleIJNSF_6TensorESK_SK_EERKSK_lbbbEUlllE0_EEPmJS9_EEE10hipError_tPvRmT3_T4_T5_T6_T7_T9_mT8_P12ihipStream_tbDpT10_ENKUlT_T0_E_clISt17integral_constantIbLb1EES1A_EEDaS15_S16_EUlS15_E_NS1_11comp_targetILNS1_3genE3ELNS1_11target_archE908ELNS1_3gpuE7ELNS1_3repE0EEENS1_30default_config_static_selectorELNS0_4arch9wavefront6targetE1EEEvT1_
                                        ; -- End function
	.set _ZN7rocprim17ROCPRIM_400000_NS6detail17trampoline_kernelINS0_14default_configENS1_25partition_config_selectorILNS1_17partition_subalgoE9EllbEEZZNS1_14partition_implILS5_9ELb0ES3_jPlS8_PNS0_10empty_typeENS0_5tupleIJS8_S9_EEENSB_IJS8_SA_EEENS0_18inequality_wrapperIZN2at6native12_GLOBAL__N_124unique_dim_cuda_templateItEESt5tupleIJNSF_6TensorESK_SK_EERKSK_lbbbEUlllE0_EEPmJS9_EEE10hipError_tPvRmT3_T4_T5_T6_T7_T9_mT8_P12ihipStream_tbDpT10_ENKUlT_T0_E_clISt17integral_constantIbLb1EES1A_EEDaS15_S16_EUlS15_E_NS1_11comp_targetILNS1_3genE3ELNS1_11target_archE908ELNS1_3gpuE7ELNS1_3repE0EEENS1_30default_config_static_selectorELNS0_4arch9wavefront6targetE1EEEvT1_.num_vgpr, 0
	.set _ZN7rocprim17ROCPRIM_400000_NS6detail17trampoline_kernelINS0_14default_configENS1_25partition_config_selectorILNS1_17partition_subalgoE9EllbEEZZNS1_14partition_implILS5_9ELb0ES3_jPlS8_PNS0_10empty_typeENS0_5tupleIJS8_S9_EEENSB_IJS8_SA_EEENS0_18inequality_wrapperIZN2at6native12_GLOBAL__N_124unique_dim_cuda_templateItEESt5tupleIJNSF_6TensorESK_SK_EERKSK_lbbbEUlllE0_EEPmJS9_EEE10hipError_tPvRmT3_T4_T5_T6_T7_T9_mT8_P12ihipStream_tbDpT10_ENKUlT_T0_E_clISt17integral_constantIbLb1EES1A_EEDaS15_S16_EUlS15_E_NS1_11comp_targetILNS1_3genE3ELNS1_11target_archE908ELNS1_3gpuE7ELNS1_3repE0EEENS1_30default_config_static_selectorELNS0_4arch9wavefront6targetE1EEEvT1_.num_agpr, 0
	.set _ZN7rocprim17ROCPRIM_400000_NS6detail17trampoline_kernelINS0_14default_configENS1_25partition_config_selectorILNS1_17partition_subalgoE9EllbEEZZNS1_14partition_implILS5_9ELb0ES3_jPlS8_PNS0_10empty_typeENS0_5tupleIJS8_S9_EEENSB_IJS8_SA_EEENS0_18inequality_wrapperIZN2at6native12_GLOBAL__N_124unique_dim_cuda_templateItEESt5tupleIJNSF_6TensorESK_SK_EERKSK_lbbbEUlllE0_EEPmJS9_EEE10hipError_tPvRmT3_T4_T5_T6_T7_T9_mT8_P12ihipStream_tbDpT10_ENKUlT_T0_E_clISt17integral_constantIbLb1EES1A_EEDaS15_S16_EUlS15_E_NS1_11comp_targetILNS1_3genE3ELNS1_11target_archE908ELNS1_3gpuE7ELNS1_3repE0EEENS1_30default_config_static_selectorELNS0_4arch9wavefront6targetE1EEEvT1_.numbered_sgpr, 0
	.set _ZN7rocprim17ROCPRIM_400000_NS6detail17trampoline_kernelINS0_14default_configENS1_25partition_config_selectorILNS1_17partition_subalgoE9EllbEEZZNS1_14partition_implILS5_9ELb0ES3_jPlS8_PNS0_10empty_typeENS0_5tupleIJS8_S9_EEENSB_IJS8_SA_EEENS0_18inequality_wrapperIZN2at6native12_GLOBAL__N_124unique_dim_cuda_templateItEESt5tupleIJNSF_6TensorESK_SK_EERKSK_lbbbEUlllE0_EEPmJS9_EEE10hipError_tPvRmT3_T4_T5_T6_T7_T9_mT8_P12ihipStream_tbDpT10_ENKUlT_T0_E_clISt17integral_constantIbLb1EES1A_EEDaS15_S16_EUlS15_E_NS1_11comp_targetILNS1_3genE3ELNS1_11target_archE908ELNS1_3gpuE7ELNS1_3repE0EEENS1_30default_config_static_selectorELNS0_4arch9wavefront6targetE1EEEvT1_.num_named_barrier, 0
	.set _ZN7rocprim17ROCPRIM_400000_NS6detail17trampoline_kernelINS0_14default_configENS1_25partition_config_selectorILNS1_17partition_subalgoE9EllbEEZZNS1_14partition_implILS5_9ELb0ES3_jPlS8_PNS0_10empty_typeENS0_5tupleIJS8_S9_EEENSB_IJS8_SA_EEENS0_18inequality_wrapperIZN2at6native12_GLOBAL__N_124unique_dim_cuda_templateItEESt5tupleIJNSF_6TensorESK_SK_EERKSK_lbbbEUlllE0_EEPmJS9_EEE10hipError_tPvRmT3_T4_T5_T6_T7_T9_mT8_P12ihipStream_tbDpT10_ENKUlT_T0_E_clISt17integral_constantIbLb1EES1A_EEDaS15_S16_EUlS15_E_NS1_11comp_targetILNS1_3genE3ELNS1_11target_archE908ELNS1_3gpuE7ELNS1_3repE0EEENS1_30default_config_static_selectorELNS0_4arch9wavefront6targetE1EEEvT1_.private_seg_size, 0
	.set _ZN7rocprim17ROCPRIM_400000_NS6detail17trampoline_kernelINS0_14default_configENS1_25partition_config_selectorILNS1_17partition_subalgoE9EllbEEZZNS1_14partition_implILS5_9ELb0ES3_jPlS8_PNS0_10empty_typeENS0_5tupleIJS8_S9_EEENSB_IJS8_SA_EEENS0_18inequality_wrapperIZN2at6native12_GLOBAL__N_124unique_dim_cuda_templateItEESt5tupleIJNSF_6TensorESK_SK_EERKSK_lbbbEUlllE0_EEPmJS9_EEE10hipError_tPvRmT3_T4_T5_T6_T7_T9_mT8_P12ihipStream_tbDpT10_ENKUlT_T0_E_clISt17integral_constantIbLb1EES1A_EEDaS15_S16_EUlS15_E_NS1_11comp_targetILNS1_3genE3ELNS1_11target_archE908ELNS1_3gpuE7ELNS1_3repE0EEENS1_30default_config_static_selectorELNS0_4arch9wavefront6targetE1EEEvT1_.uses_vcc, 0
	.set _ZN7rocprim17ROCPRIM_400000_NS6detail17trampoline_kernelINS0_14default_configENS1_25partition_config_selectorILNS1_17partition_subalgoE9EllbEEZZNS1_14partition_implILS5_9ELb0ES3_jPlS8_PNS0_10empty_typeENS0_5tupleIJS8_S9_EEENSB_IJS8_SA_EEENS0_18inequality_wrapperIZN2at6native12_GLOBAL__N_124unique_dim_cuda_templateItEESt5tupleIJNSF_6TensorESK_SK_EERKSK_lbbbEUlllE0_EEPmJS9_EEE10hipError_tPvRmT3_T4_T5_T6_T7_T9_mT8_P12ihipStream_tbDpT10_ENKUlT_T0_E_clISt17integral_constantIbLb1EES1A_EEDaS15_S16_EUlS15_E_NS1_11comp_targetILNS1_3genE3ELNS1_11target_archE908ELNS1_3gpuE7ELNS1_3repE0EEENS1_30default_config_static_selectorELNS0_4arch9wavefront6targetE1EEEvT1_.uses_flat_scratch, 0
	.set _ZN7rocprim17ROCPRIM_400000_NS6detail17trampoline_kernelINS0_14default_configENS1_25partition_config_selectorILNS1_17partition_subalgoE9EllbEEZZNS1_14partition_implILS5_9ELb0ES3_jPlS8_PNS0_10empty_typeENS0_5tupleIJS8_S9_EEENSB_IJS8_SA_EEENS0_18inequality_wrapperIZN2at6native12_GLOBAL__N_124unique_dim_cuda_templateItEESt5tupleIJNSF_6TensorESK_SK_EERKSK_lbbbEUlllE0_EEPmJS9_EEE10hipError_tPvRmT3_T4_T5_T6_T7_T9_mT8_P12ihipStream_tbDpT10_ENKUlT_T0_E_clISt17integral_constantIbLb1EES1A_EEDaS15_S16_EUlS15_E_NS1_11comp_targetILNS1_3genE3ELNS1_11target_archE908ELNS1_3gpuE7ELNS1_3repE0EEENS1_30default_config_static_selectorELNS0_4arch9wavefront6targetE1EEEvT1_.has_dyn_sized_stack, 0
	.set _ZN7rocprim17ROCPRIM_400000_NS6detail17trampoline_kernelINS0_14default_configENS1_25partition_config_selectorILNS1_17partition_subalgoE9EllbEEZZNS1_14partition_implILS5_9ELb0ES3_jPlS8_PNS0_10empty_typeENS0_5tupleIJS8_S9_EEENSB_IJS8_SA_EEENS0_18inequality_wrapperIZN2at6native12_GLOBAL__N_124unique_dim_cuda_templateItEESt5tupleIJNSF_6TensorESK_SK_EERKSK_lbbbEUlllE0_EEPmJS9_EEE10hipError_tPvRmT3_T4_T5_T6_T7_T9_mT8_P12ihipStream_tbDpT10_ENKUlT_T0_E_clISt17integral_constantIbLb1EES1A_EEDaS15_S16_EUlS15_E_NS1_11comp_targetILNS1_3genE3ELNS1_11target_archE908ELNS1_3gpuE7ELNS1_3repE0EEENS1_30default_config_static_selectorELNS0_4arch9wavefront6targetE1EEEvT1_.has_recursion, 0
	.set _ZN7rocprim17ROCPRIM_400000_NS6detail17trampoline_kernelINS0_14default_configENS1_25partition_config_selectorILNS1_17partition_subalgoE9EllbEEZZNS1_14partition_implILS5_9ELb0ES3_jPlS8_PNS0_10empty_typeENS0_5tupleIJS8_S9_EEENSB_IJS8_SA_EEENS0_18inequality_wrapperIZN2at6native12_GLOBAL__N_124unique_dim_cuda_templateItEESt5tupleIJNSF_6TensorESK_SK_EERKSK_lbbbEUlllE0_EEPmJS9_EEE10hipError_tPvRmT3_T4_T5_T6_T7_T9_mT8_P12ihipStream_tbDpT10_ENKUlT_T0_E_clISt17integral_constantIbLb1EES1A_EEDaS15_S16_EUlS15_E_NS1_11comp_targetILNS1_3genE3ELNS1_11target_archE908ELNS1_3gpuE7ELNS1_3repE0EEENS1_30default_config_static_selectorELNS0_4arch9wavefront6targetE1EEEvT1_.has_indirect_call, 0
	.section	.AMDGPU.csdata,"",@progbits
; Kernel info:
; codeLenInByte = 0
; TotalNumSgprs: 6
; NumVgprs: 0
; NumAgprs: 0
; TotalNumVgprs: 0
; ScratchSize: 0
; MemoryBound: 0
; FloatMode: 240
; IeeeMode: 1
; LDSByteSize: 0 bytes/workgroup (compile time only)
; SGPRBlocks: 0
; VGPRBlocks: 0
; NumSGPRsForWavesPerEU: 6
; NumVGPRsForWavesPerEU: 1
; AccumOffset: 4
; Occupancy: 8
; WaveLimiterHint : 0
; COMPUTE_PGM_RSRC2:SCRATCH_EN: 0
; COMPUTE_PGM_RSRC2:USER_SGPR: 2
; COMPUTE_PGM_RSRC2:TRAP_HANDLER: 0
; COMPUTE_PGM_RSRC2:TGID_X_EN: 1
; COMPUTE_PGM_RSRC2:TGID_Y_EN: 0
; COMPUTE_PGM_RSRC2:TGID_Z_EN: 0
; COMPUTE_PGM_RSRC2:TIDIG_COMP_CNT: 0
; COMPUTE_PGM_RSRC3_GFX90A:ACCUM_OFFSET: 0
; COMPUTE_PGM_RSRC3_GFX90A:TG_SPLIT: 0
	.section	.text._ZN7rocprim17ROCPRIM_400000_NS6detail17trampoline_kernelINS0_14default_configENS1_25partition_config_selectorILNS1_17partition_subalgoE9EllbEEZZNS1_14partition_implILS5_9ELb0ES3_jPlS8_PNS0_10empty_typeENS0_5tupleIJS8_S9_EEENSB_IJS8_SA_EEENS0_18inequality_wrapperIZN2at6native12_GLOBAL__N_124unique_dim_cuda_templateItEESt5tupleIJNSF_6TensorESK_SK_EERKSK_lbbbEUlllE0_EEPmJS9_EEE10hipError_tPvRmT3_T4_T5_T6_T7_T9_mT8_P12ihipStream_tbDpT10_ENKUlT_T0_E_clISt17integral_constantIbLb1EES1A_EEDaS15_S16_EUlS15_E_NS1_11comp_targetILNS1_3genE2ELNS1_11target_archE906ELNS1_3gpuE6ELNS1_3repE0EEENS1_30default_config_static_selectorELNS0_4arch9wavefront6targetE1EEEvT1_,"axG",@progbits,_ZN7rocprim17ROCPRIM_400000_NS6detail17trampoline_kernelINS0_14default_configENS1_25partition_config_selectorILNS1_17partition_subalgoE9EllbEEZZNS1_14partition_implILS5_9ELb0ES3_jPlS8_PNS0_10empty_typeENS0_5tupleIJS8_S9_EEENSB_IJS8_SA_EEENS0_18inequality_wrapperIZN2at6native12_GLOBAL__N_124unique_dim_cuda_templateItEESt5tupleIJNSF_6TensorESK_SK_EERKSK_lbbbEUlllE0_EEPmJS9_EEE10hipError_tPvRmT3_T4_T5_T6_T7_T9_mT8_P12ihipStream_tbDpT10_ENKUlT_T0_E_clISt17integral_constantIbLb1EES1A_EEDaS15_S16_EUlS15_E_NS1_11comp_targetILNS1_3genE2ELNS1_11target_archE906ELNS1_3gpuE6ELNS1_3repE0EEENS1_30default_config_static_selectorELNS0_4arch9wavefront6targetE1EEEvT1_,comdat
	.globl	_ZN7rocprim17ROCPRIM_400000_NS6detail17trampoline_kernelINS0_14default_configENS1_25partition_config_selectorILNS1_17partition_subalgoE9EllbEEZZNS1_14partition_implILS5_9ELb0ES3_jPlS8_PNS0_10empty_typeENS0_5tupleIJS8_S9_EEENSB_IJS8_SA_EEENS0_18inequality_wrapperIZN2at6native12_GLOBAL__N_124unique_dim_cuda_templateItEESt5tupleIJNSF_6TensorESK_SK_EERKSK_lbbbEUlllE0_EEPmJS9_EEE10hipError_tPvRmT3_T4_T5_T6_T7_T9_mT8_P12ihipStream_tbDpT10_ENKUlT_T0_E_clISt17integral_constantIbLb1EES1A_EEDaS15_S16_EUlS15_E_NS1_11comp_targetILNS1_3genE2ELNS1_11target_archE906ELNS1_3gpuE6ELNS1_3repE0EEENS1_30default_config_static_selectorELNS0_4arch9wavefront6targetE1EEEvT1_ ; -- Begin function _ZN7rocprim17ROCPRIM_400000_NS6detail17trampoline_kernelINS0_14default_configENS1_25partition_config_selectorILNS1_17partition_subalgoE9EllbEEZZNS1_14partition_implILS5_9ELb0ES3_jPlS8_PNS0_10empty_typeENS0_5tupleIJS8_S9_EEENSB_IJS8_SA_EEENS0_18inequality_wrapperIZN2at6native12_GLOBAL__N_124unique_dim_cuda_templateItEESt5tupleIJNSF_6TensorESK_SK_EERKSK_lbbbEUlllE0_EEPmJS9_EEE10hipError_tPvRmT3_T4_T5_T6_T7_T9_mT8_P12ihipStream_tbDpT10_ENKUlT_T0_E_clISt17integral_constantIbLb1EES1A_EEDaS15_S16_EUlS15_E_NS1_11comp_targetILNS1_3genE2ELNS1_11target_archE906ELNS1_3gpuE6ELNS1_3repE0EEENS1_30default_config_static_selectorELNS0_4arch9wavefront6targetE1EEEvT1_
	.p2align	8
	.type	_ZN7rocprim17ROCPRIM_400000_NS6detail17trampoline_kernelINS0_14default_configENS1_25partition_config_selectorILNS1_17partition_subalgoE9EllbEEZZNS1_14partition_implILS5_9ELb0ES3_jPlS8_PNS0_10empty_typeENS0_5tupleIJS8_S9_EEENSB_IJS8_SA_EEENS0_18inequality_wrapperIZN2at6native12_GLOBAL__N_124unique_dim_cuda_templateItEESt5tupleIJNSF_6TensorESK_SK_EERKSK_lbbbEUlllE0_EEPmJS9_EEE10hipError_tPvRmT3_T4_T5_T6_T7_T9_mT8_P12ihipStream_tbDpT10_ENKUlT_T0_E_clISt17integral_constantIbLb1EES1A_EEDaS15_S16_EUlS15_E_NS1_11comp_targetILNS1_3genE2ELNS1_11target_archE906ELNS1_3gpuE6ELNS1_3repE0EEENS1_30default_config_static_selectorELNS0_4arch9wavefront6targetE1EEEvT1_,@function
_ZN7rocprim17ROCPRIM_400000_NS6detail17trampoline_kernelINS0_14default_configENS1_25partition_config_selectorILNS1_17partition_subalgoE9EllbEEZZNS1_14partition_implILS5_9ELb0ES3_jPlS8_PNS0_10empty_typeENS0_5tupleIJS8_S9_EEENSB_IJS8_SA_EEENS0_18inequality_wrapperIZN2at6native12_GLOBAL__N_124unique_dim_cuda_templateItEESt5tupleIJNSF_6TensorESK_SK_EERKSK_lbbbEUlllE0_EEPmJS9_EEE10hipError_tPvRmT3_T4_T5_T6_T7_T9_mT8_P12ihipStream_tbDpT10_ENKUlT_T0_E_clISt17integral_constantIbLb1EES1A_EEDaS15_S16_EUlS15_E_NS1_11comp_targetILNS1_3genE2ELNS1_11target_archE906ELNS1_3gpuE6ELNS1_3repE0EEENS1_30default_config_static_selectorELNS0_4arch9wavefront6targetE1EEEvT1_: ; @_ZN7rocprim17ROCPRIM_400000_NS6detail17trampoline_kernelINS0_14default_configENS1_25partition_config_selectorILNS1_17partition_subalgoE9EllbEEZZNS1_14partition_implILS5_9ELb0ES3_jPlS8_PNS0_10empty_typeENS0_5tupleIJS8_S9_EEENSB_IJS8_SA_EEENS0_18inequality_wrapperIZN2at6native12_GLOBAL__N_124unique_dim_cuda_templateItEESt5tupleIJNSF_6TensorESK_SK_EERKSK_lbbbEUlllE0_EEPmJS9_EEE10hipError_tPvRmT3_T4_T5_T6_T7_T9_mT8_P12ihipStream_tbDpT10_ENKUlT_T0_E_clISt17integral_constantIbLb1EES1A_EEDaS15_S16_EUlS15_E_NS1_11comp_targetILNS1_3genE2ELNS1_11target_archE906ELNS1_3gpuE6ELNS1_3repE0EEENS1_30default_config_static_selectorELNS0_4arch9wavefront6targetE1EEEvT1_
; %bb.0:
	.section	.rodata,"a",@progbits
	.p2align	6, 0x0
	.amdhsa_kernel _ZN7rocprim17ROCPRIM_400000_NS6detail17trampoline_kernelINS0_14default_configENS1_25partition_config_selectorILNS1_17partition_subalgoE9EllbEEZZNS1_14partition_implILS5_9ELb0ES3_jPlS8_PNS0_10empty_typeENS0_5tupleIJS8_S9_EEENSB_IJS8_SA_EEENS0_18inequality_wrapperIZN2at6native12_GLOBAL__N_124unique_dim_cuda_templateItEESt5tupleIJNSF_6TensorESK_SK_EERKSK_lbbbEUlllE0_EEPmJS9_EEE10hipError_tPvRmT3_T4_T5_T6_T7_T9_mT8_P12ihipStream_tbDpT10_ENKUlT_T0_E_clISt17integral_constantIbLb1EES1A_EEDaS15_S16_EUlS15_E_NS1_11comp_targetILNS1_3genE2ELNS1_11target_archE906ELNS1_3gpuE6ELNS1_3repE0EEENS1_30default_config_static_selectorELNS0_4arch9wavefront6targetE1EEEvT1_
		.amdhsa_group_segment_fixed_size 0
		.amdhsa_private_segment_fixed_size 0
		.amdhsa_kernarg_size 136
		.amdhsa_user_sgpr_count 2
		.amdhsa_user_sgpr_dispatch_ptr 0
		.amdhsa_user_sgpr_queue_ptr 0
		.amdhsa_user_sgpr_kernarg_segment_ptr 1
		.amdhsa_user_sgpr_dispatch_id 0
		.amdhsa_user_sgpr_kernarg_preload_length 0
		.amdhsa_user_sgpr_kernarg_preload_offset 0
		.amdhsa_user_sgpr_private_segment_size 0
		.amdhsa_uses_dynamic_stack 0
		.amdhsa_enable_private_segment 0
		.amdhsa_system_sgpr_workgroup_id_x 1
		.amdhsa_system_sgpr_workgroup_id_y 0
		.amdhsa_system_sgpr_workgroup_id_z 0
		.amdhsa_system_sgpr_workgroup_info 0
		.amdhsa_system_vgpr_workitem_id 0
		.amdhsa_next_free_vgpr 1
		.amdhsa_next_free_sgpr 0
		.amdhsa_accum_offset 4
		.amdhsa_reserve_vcc 0
		.amdhsa_float_round_mode_32 0
		.amdhsa_float_round_mode_16_64 0
		.amdhsa_float_denorm_mode_32 3
		.amdhsa_float_denorm_mode_16_64 3
		.amdhsa_dx10_clamp 1
		.amdhsa_ieee_mode 1
		.amdhsa_fp16_overflow 0
		.amdhsa_tg_split 0
		.amdhsa_exception_fp_ieee_invalid_op 0
		.amdhsa_exception_fp_denorm_src 0
		.amdhsa_exception_fp_ieee_div_zero 0
		.amdhsa_exception_fp_ieee_overflow 0
		.amdhsa_exception_fp_ieee_underflow 0
		.amdhsa_exception_fp_ieee_inexact 0
		.amdhsa_exception_int_div_zero 0
	.end_amdhsa_kernel
	.section	.text._ZN7rocprim17ROCPRIM_400000_NS6detail17trampoline_kernelINS0_14default_configENS1_25partition_config_selectorILNS1_17partition_subalgoE9EllbEEZZNS1_14partition_implILS5_9ELb0ES3_jPlS8_PNS0_10empty_typeENS0_5tupleIJS8_S9_EEENSB_IJS8_SA_EEENS0_18inequality_wrapperIZN2at6native12_GLOBAL__N_124unique_dim_cuda_templateItEESt5tupleIJNSF_6TensorESK_SK_EERKSK_lbbbEUlllE0_EEPmJS9_EEE10hipError_tPvRmT3_T4_T5_T6_T7_T9_mT8_P12ihipStream_tbDpT10_ENKUlT_T0_E_clISt17integral_constantIbLb1EES1A_EEDaS15_S16_EUlS15_E_NS1_11comp_targetILNS1_3genE2ELNS1_11target_archE906ELNS1_3gpuE6ELNS1_3repE0EEENS1_30default_config_static_selectorELNS0_4arch9wavefront6targetE1EEEvT1_,"axG",@progbits,_ZN7rocprim17ROCPRIM_400000_NS6detail17trampoline_kernelINS0_14default_configENS1_25partition_config_selectorILNS1_17partition_subalgoE9EllbEEZZNS1_14partition_implILS5_9ELb0ES3_jPlS8_PNS0_10empty_typeENS0_5tupleIJS8_S9_EEENSB_IJS8_SA_EEENS0_18inequality_wrapperIZN2at6native12_GLOBAL__N_124unique_dim_cuda_templateItEESt5tupleIJNSF_6TensorESK_SK_EERKSK_lbbbEUlllE0_EEPmJS9_EEE10hipError_tPvRmT3_T4_T5_T6_T7_T9_mT8_P12ihipStream_tbDpT10_ENKUlT_T0_E_clISt17integral_constantIbLb1EES1A_EEDaS15_S16_EUlS15_E_NS1_11comp_targetILNS1_3genE2ELNS1_11target_archE906ELNS1_3gpuE6ELNS1_3repE0EEENS1_30default_config_static_selectorELNS0_4arch9wavefront6targetE1EEEvT1_,comdat
.Lfunc_end1463:
	.size	_ZN7rocprim17ROCPRIM_400000_NS6detail17trampoline_kernelINS0_14default_configENS1_25partition_config_selectorILNS1_17partition_subalgoE9EllbEEZZNS1_14partition_implILS5_9ELb0ES3_jPlS8_PNS0_10empty_typeENS0_5tupleIJS8_S9_EEENSB_IJS8_SA_EEENS0_18inequality_wrapperIZN2at6native12_GLOBAL__N_124unique_dim_cuda_templateItEESt5tupleIJNSF_6TensorESK_SK_EERKSK_lbbbEUlllE0_EEPmJS9_EEE10hipError_tPvRmT3_T4_T5_T6_T7_T9_mT8_P12ihipStream_tbDpT10_ENKUlT_T0_E_clISt17integral_constantIbLb1EES1A_EEDaS15_S16_EUlS15_E_NS1_11comp_targetILNS1_3genE2ELNS1_11target_archE906ELNS1_3gpuE6ELNS1_3repE0EEENS1_30default_config_static_selectorELNS0_4arch9wavefront6targetE1EEEvT1_, .Lfunc_end1463-_ZN7rocprim17ROCPRIM_400000_NS6detail17trampoline_kernelINS0_14default_configENS1_25partition_config_selectorILNS1_17partition_subalgoE9EllbEEZZNS1_14partition_implILS5_9ELb0ES3_jPlS8_PNS0_10empty_typeENS0_5tupleIJS8_S9_EEENSB_IJS8_SA_EEENS0_18inequality_wrapperIZN2at6native12_GLOBAL__N_124unique_dim_cuda_templateItEESt5tupleIJNSF_6TensorESK_SK_EERKSK_lbbbEUlllE0_EEPmJS9_EEE10hipError_tPvRmT3_T4_T5_T6_T7_T9_mT8_P12ihipStream_tbDpT10_ENKUlT_T0_E_clISt17integral_constantIbLb1EES1A_EEDaS15_S16_EUlS15_E_NS1_11comp_targetILNS1_3genE2ELNS1_11target_archE906ELNS1_3gpuE6ELNS1_3repE0EEENS1_30default_config_static_selectorELNS0_4arch9wavefront6targetE1EEEvT1_
                                        ; -- End function
	.set _ZN7rocprim17ROCPRIM_400000_NS6detail17trampoline_kernelINS0_14default_configENS1_25partition_config_selectorILNS1_17partition_subalgoE9EllbEEZZNS1_14partition_implILS5_9ELb0ES3_jPlS8_PNS0_10empty_typeENS0_5tupleIJS8_S9_EEENSB_IJS8_SA_EEENS0_18inequality_wrapperIZN2at6native12_GLOBAL__N_124unique_dim_cuda_templateItEESt5tupleIJNSF_6TensorESK_SK_EERKSK_lbbbEUlllE0_EEPmJS9_EEE10hipError_tPvRmT3_T4_T5_T6_T7_T9_mT8_P12ihipStream_tbDpT10_ENKUlT_T0_E_clISt17integral_constantIbLb1EES1A_EEDaS15_S16_EUlS15_E_NS1_11comp_targetILNS1_3genE2ELNS1_11target_archE906ELNS1_3gpuE6ELNS1_3repE0EEENS1_30default_config_static_selectorELNS0_4arch9wavefront6targetE1EEEvT1_.num_vgpr, 0
	.set _ZN7rocprim17ROCPRIM_400000_NS6detail17trampoline_kernelINS0_14default_configENS1_25partition_config_selectorILNS1_17partition_subalgoE9EllbEEZZNS1_14partition_implILS5_9ELb0ES3_jPlS8_PNS0_10empty_typeENS0_5tupleIJS8_S9_EEENSB_IJS8_SA_EEENS0_18inequality_wrapperIZN2at6native12_GLOBAL__N_124unique_dim_cuda_templateItEESt5tupleIJNSF_6TensorESK_SK_EERKSK_lbbbEUlllE0_EEPmJS9_EEE10hipError_tPvRmT3_T4_T5_T6_T7_T9_mT8_P12ihipStream_tbDpT10_ENKUlT_T0_E_clISt17integral_constantIbLb1EES1A_EEDaS15_S16_EUlS15_E_NS1_11comp_targetILNS1_3genE2ELNS1_11target_archE906ELNS1_3gpuE6ELNS1_3repE0EEENS1_30default_config_static_selectorELNS0_4arch9wavefront6targetE1EEEvT1_.num_agpr, 0
	.set _ZN7rocprim17ROCPRIM_400000_NS6detail17trampoline_kernelINS0_14default_configENS1_25partition_config_selectorILNS1_17partition_subalgoE9EllbEEZZNS1_14partition_implILS5_9ELb0ES3_jPlS8_PNS0_10empty_typeENS0_5tupleIJS8_S9_EEENSB_IJS8_SA_EEENS0_18inequality_wrapperIZN2at6native12_GLOBAL__N_124unique_dim_cuda_templateItEESt5tupleIJNSF_6TensorESK_SK_EERKSK_lbbbEUlllE0_EEPmJS9_EEE10hipError_tPvRmT3_T4_T5_T6_T7_T9_mT8_P12ihipStream_tbDpT10_ENKUlT_T0_E_clISt17integral_constantIbLb1EES1A_EEDaS15_S16_EUlS15_E_NS1_11comp_targetILNS1_3genE2ELNS1_11target_archE906ELNS1_3gpuE6ELNS1_3repE0EEENS1_30default_config_static_selectorELNS0_4arch9wavefront6targetE1EEEvT1_.numbered_sgpr, 0
	.set _ZN7rocprim17ROCPRIM_400000_NS6detail17trampoline_kernelINS0_14default_configENS1_25partition_config_selectorILNS1_17partition_subalgoE9EllbEEZZNS1_14partition_implILS5_9ELb0ES3_jPlS8_PNS0_10empty_typeENS0_5tupleIJS8_S9_EEENSB_IJS8_SA_EEENS0_18inequality_wrapperIZN2at6native12_GLOBAL__N_124unique_dim_cuda_templateItEESt5tupleIJNSF_6TensorESK_SK_EERKSK_lbbbEUlllE0_EEPmJS9_EEE10hipError_tPvRmT3_T4_T5_T6_T7_T9_mT8_P12ihipStream_tbDpT10_ENKUlT_T0_E_clISt17integral_constantIbLb1EES1A_EEDaS15_S16_EUlS15_E_NS1_11comp_targetILNS1_3genE2ELNS1_11target_archE906ELNS1_3gpuE6ELNS1_3repE0EEENS1_30default_config_static_selectorELNS0_4arch9wavefront6targetE1EEEvT1_.num_named_barrier, 0
	.set _ZN7rocprim17ROCPRIM_400000_NS6detail17trampoline_kernelINS0_14default_configENS1_25partition_config_selectorILNS1_17partition_subalgoE9EllbEEZZNS1_14partition_implILS5_9ELb0ES3_jPlS8_PNS0_10empty_typeENS0_5tupleIJS8_S9_EEENSB_IJS8_SA_EEENS0_18inequality_wrapperIZN2at6native12_GLOBAL__N_124unique_dim_cuda_templateItEESt5tupleIJNSF_6TensorESK_SK_EERKSK_lbbbEUlllE0_EEPmJS9_EEE10hipError_tPvRmT3_T4_T5_T6_T7_T9_mT8_P12ihipStream_tbDpT10_ENKUlT_T0_E_clISt17integral_constantIbLb1EES1A_EEDaS15_S16_EUlS15_E_NS1_11comp_targetILNS1_3genE2ELNS1_11target_archE906ELNS1_3gpuE6ELNS1_3repE0EEENS1_30default_config_static_selectorELNS0_4arch9wavefront6targetE1EEEvT1_.private_seg_size, 0
	.set _ZN7rocprim17ROCPRIM_400000_NS6detail17trampoline_kernelINS0_14default_configENS1_25partition_config_selectorILNS1_17partition_subalgoE9EllbEEZZNS1_14partition_implILS5_9ELb0ES3_jPlS8_PNS0_10empty_typeENS0_5tupleIJS8_S9_EEENSB_IJS8_SA_EEENS0_18inequality_wrapperIZN2at6native12_GLOBAL__N_124unique_dim_cuda_templateItEESt5tupleIJNSF_6TensorESK_SK_EERKSK_lbbbEUlllE0_EEPmJS9_EEE10hipError_tPvRmT3_T4_T5_T6_T7_T9_mT8_P12ihipStream_tbDpT10_ENKUlT_T0_E_clISt17integral_constantIbLb1EES1A_EEDaS15_S16_EUlS15_E_NS1_11comp_targetILNS1_3genE2ELNS1_11target_archE906ELNS1_3gpuE6ELNS1_3repE0EEENS1_30default_config_static_selectorELNS0_4arch9wavefront6targetE1EEEvT1_.uses_vcc, 0
	.set _ZN7rocprim17ROCPRIM_400000_NS6detail17trampoline_kernelINS0_14default_configENS1_25partition_config_selectorILNS1_17partition_subalgoE9EllbEEZZNS1_14partition_implILS5_9ELb0ES3_jPlS8_PNS0_10empty_typeENS0_5tupleIJS8_S9_EEENSB_IJS8_SA_EEENS0_18inequality_wrapperIZN2at6native12_GLOBAL__N_124unique_dim_cuda_templateItEESt5tupleIJNSF_6TensorESK_SK_EERKSK_lbbbEUlllE0_EEPmJS9_EEE10hipError_tPvRmT3_T4_T5_T6_T7_T9_mT8_P12ihipStream_tbDpT10_ENKUlT_T0_E_clISt17integral_constantIbLb1EES1A_EEDaS15_S16_EUlS15_E_NS1_11comp_targetILNS1_3genE2ELNS1_11target_archE906ELNS1_3gpuE6ELNS1_3repE0EEENS1_30default_config_static_selectorELNS0_4arch9wavefront6targetE1EEEvT1_.uses_flat_scratch, 0
	.set _ZN7rocprim17ROCPRIM_400000_NS6detail17trampoline_kernelINS0_14default_configENS1_25partition_config_selectorILNS1_17partition_subalgoE9EllbEEZZNS1_14partition_implILS5_9ELb0ES3_jPlS8_PNS0_10empty_typeENS0_5tupleIJS8_S9_EEENSB_IJS8_SA_EEENS0_18inequality_wrapperIZN2at6native12_GLOBAL__N_124unique_dim_cuda_templateItEESt5tupleIJNSF_6TensorESK_SK_EERKSK_lbbbEUlllE0_EEPmJS9_EEE10hipError_tPvRmT3_T4_T5_T6_T7_T9_mT8_P12ihipStream_tbDpT10_ENKUlT_T0_E_clISt17integral_constantIbLb1EES1A_EEDaS15_S16_EUlS15_E_NS1_11comp_targetILNS1_3genE2ELNS1_11target_archE906ELNS1_3gpuE6ELNS1_3repE0EEENS1_30default_config_static_selectorELNS0_4arch9wavefront6targetE1EEEvT1_.has_dyn_sized_stack, 0
	.set _ZN7rocprim17ROCPRIM_400000_NS6detail17trampoline_kernelINS0_14default_configENS1_25partition_config_selectorILNS1_17partition_subalgoE9EllbEEZZNS1_14partition_implILS5_9ELb0ES3_jPlS8_PNS0_10empty_typeENS0_5tupleIJS8_S9_EEENSB_IJS8_SA_EEENS0_18inequality_wrapperIZN2at6native12_GLOBAL__N_124unique_dim_cuda_templateItEESt5tupleIJNSF_6TensorESK_SK_EERKSK_lbbbEUlllE0_EEPmJS9_EEE10hipError_tPvRmT3_T4_T5_T6_T7_T9_mT8_P12ihipStream_tbDpT10_ENKUlT_T0_E_clISt17integral_constantIbLb1EES1A_EEDaS15_S16_EUlS15_E_NS1_11comp_targetILNS1_3genE2ELNS1_11target_archE906ELNS1_3gpuE6ELNS1_3repE0EEENS1_30default_config_static_selectorELNS0_4arch9wavefront6targetE1EEEvT1_.has_recursion, 0
	.set _ZN7rocprim17ROCPRIM_400000_NS6detail17trampoline_kernelINS0_14default_configENS1_25partition_config_selectorILNS1_17partition_subalgoE9EllbEEZZNS1_14partition_implILS5_9ELb0ES3_jPlS8_PNS0_10empty_typeENS0_5tupleIJS8_S9_EEENSB_IJS8_SA_EEENS0_18inequality_wrapperIZN2at6native12_GLOBAL__N_124unique_dim_cuda_templateItEESt5tupleIJNSF_6TensorESK_SK_EERKSK_lbbbEUlllE0_EEPmJS9_EEE10hipError_tPvRmT3_T4_T5_T6_T7_T9_mT8_P12ihipStream_tbDpT10_ENKUlT_T0_E_clISt17integral_constantIbLb1EES1A_EEDaS15_S16_EUlS15_E_NS1_11comp_targetILNS1_3genE2ELNS1_11target_archE906ELNS1_3gpuE6ELNS1_3repE0EEENS1_30default_config_static_selectorELNS0_4arch9wavefront6targetE1EEEvT1_.has_indirect_call, 0
	.section	.AMDGPU.csdata,"",@progbits
; Kernel info:
; codeLenInByte = 0
; TotalNumSgprs: 6
; NumVgprs: 0
; NumAgprs: 0
; TotalNumVgprs: 0
; ScratchSize: 0
; MemoryBound: 0
; FloatMode: 240
; IeeeMode: 1
; LDSByteSize: 0 bytes/workgroup (compile time only)
; SGPRBlocks: 0
; VGPRBlocks: 0
; NumSGPRsForWavesPerEU: 6
; NumVGPRsForWavesPerEU: 1
; AccumOffset: 4
; Occupancy: 8
; WaveLimiterHint : 0
; COMPUTE_PGM_RSRC2:SCRATCH_EN: 0
; COMPUTE_PGM_RSRC2:USER_SGPR: 2
; COMPUTE_PGM_RSRC2:TRAP_HANDLER: 0
; COMPUTE_PGM_RSRC2:TGID_X_EN: 1
; COMPUTE_PGM_RSRC2:TGID_Y_EN: 0
; COMPUTE_PGM_RSRC2:TGID_Z_EN: 0
; COMPUTE_PGM_RSRC2:TIDIG_COMP_CNT: 0
; COMPUTE_PGM_RSRC3_GFX90A:ACCUM_OFFSET: 0
; COMPUTE_PGM_RSRC3_GFX90A:TG_SPLIT: 0
	.section	.text._ZN7rocprim17ROCPRIM_400000_NS6detail17trampoline_kernelINS0_14default_configENS1_25partition_config_selectorILNS1_17partition_subalgoE9EllbEEZZNS1_14partition_implILS5_9ELb0ES3_jPlS8_PNS0_10empty_typeENS0_5tupleIJS8_S9_EEENSB_IJS8_SA_EEENS0_18inequality_wrapperIZN2at6native12_GLOBAL__N_124unique_dim_cuda_templateItEESt5tupleIJNSF_6TensorESK_SK_EERKSK_lbbbEUlllE0_EEPmJS9_EEE10hipError_tPvRmT3_T4_T5_T6_T7_T9_mT8_P12ihipStream_tbDpT10_ENKUlT_T0_E_clISt17integral_constantIbLb1EES1A_EEDaS15_S16_EUlS15_E_NS1_11comp_targetILNS1_3genE10ELNS1_11target_archE1200ELNS1_3gpuE4ELNS1_3repE0EEENS1_30default_config_static_selectorELNS0_4arch9wavefront6targetE1EEEvT1_,"axG",@progbits,_ZN7rocprim17ROCPRIM_400000_NS6detail17trampoline_kernelINS0_14default_configENS1_25partition_config_selectorILNS1_17partition_subalgoE9EllbEEZZNS1_14partition_implILS5_9ELb0ES3_jPlS8_PNS0_10empty_typeENS0_5tupleIJS8_S9_EEENSB_IJS8_SA_EEENS0_18inequality_wrapperIZN2at6native12_GLOBAL__N_124unique_dim_cuda_templateItEESt5tupleIJNSF_6TensorESK_SK_EERKSK_lbbbEUlllE0_EEPmJS9_EEE10hipError_tPvRmT3_T4_T5_T6_T7_T9_mT8_P12ihipStream_tbDpT10_ENKUlT_T0_E_clISt17integral_constantIbLb1EES1A_EEDaS15_S16_EUlS15_E_NS1_11comp_targetILNS1_3genE10ELNS1_11target_archE1200ELNS1_3gpuE4ELNS1_3repE0EEENS1_30default_config_static_selectorELNS0_4arch9wavefront6targetE1EEEvT1_,comdat
	.globl	_ZN7rocprim17ROCPRIM_400000_NS6detail17trampoline_kernelINS0_14default_configENS1_25partition_config_selectorILNS1_17partition_subalgoE9EllbEEZZNS1_14partition_implILS5_9ELb0ES3_jPlS8_PNS0_10empty_typeENS0_5tupleIJS8_S9_EEENSB_IJS8_SA_EEENS0_18inequality_wrapperIZN2at6native12_GLOBAL__N_124unique_dim_cuda_templateItEESt5tupleIJNSF_6TensorESK_SK_EERKSK_lbbbEUlllE0_EEPmJS9_EEE10hipError_tPvRmT3_T4_T5_T6_T7_T9_mT8_P12ihipStream_tbDpT10_ENKUlT_T0_E_clISt17integral_constantIbLb1EES1A_EEDaS15_S16_EUlS15_E_NS1_11comp_targetILNS1_3genE10ELNS1_11target_archE1200ELNS1_3gpuE4ELNS1_3repE0EEENS1_30default_config_static_selectorELNS0_4arch9wavefront6targetE1EEEvT1_ ; -- Begin function _ZN7rocprim17ROCPRIM_400000_NS6detail17trampoline_kernelINS0_14default_configENS1_25partition_config_selectorILNS1_17partition_subalgoE9EllbEEZZNS1_14partition_implILS5_9ELb0ES3_jPlS8_PNS0_10empty_typeENS0_5tupleIJS8_S9_EEENSB_IJS8_SA_EEENS0_18inequality_wrapperIZN2at6native12_GLOBAL__N_124unique_dim_cuda_templateItEESt5tupleIJNSF_6TensorESK_SK_EERKSK_lbbbEUlllE0_EEPmJS9_EEE10hipError_tPvRmT3_T4_T5_T6_T7_T9_mT8_P12ihipStream_tbDpT10_ENKUlT_T0_E_clISt17integral_constantIbLb1EES1A_EEDaS15_S16_EUlS15_E_NS1_11comp_targetILNS1_3genE10ELNS1_11target_archE1200ELNS1_3gpuE4ELNS1_3repE0EEENS1_30default_config_static_selectorELNS0_4arch9wavefront6targetE1EEEvT1_
	.p2align	8
	.type	_ZN7rocprim17ROCPRIM_400000_NS6detail17trampoline_kernelINS0_14default_configENS1_25partition_config_selectorILNS1_17partition_subalgoE9EllbEEZZNS1_14partition_implILS5_9ELb0ES3_jPlS8_PNS0_10empty_typeENS0_5tupleIJS8_S9_EEENSB_IJS8_SA_EEENS0_18inequality_wrapperIZN2at6native12_GLOBAL__N_124unique_dim_cuda_templateItEESt5tupleIJNSF_6TensorESK_SK_EERKSK_lbbbEUlllE0_EEPmJS9_EEE10hipError_tPvRmT3_T4_T5_T6_T7_T9_mT8_P12ihipStream_tbDpT10_ENKUlT_T0_E_clISt17integral_constantIbLb1EES1A_EEDaS15_S16_EUlS15_E_NS1_11comp_targetILNS1_3genE10ELNS1_11target_archE1200ELNS1_3gpuE4ELNS1_3repE0EEENS1_30default_config_static_selectorELNS0_4arch9wavefront6targetE1EEEvT1_,@function
_ZN7rocprim17ROCPRIM_400000_NS6detail17trampoline_kernelINS0_14default_configENS1_25partition_config_selectorILNS1_17partition_subalgoE9EllbEEZZNS1_14partition_implILS5_9ELb0ES3_jPlS8_PNS0_10empty_typeENS0_5tupleIJS8_S9_EEENSB_IJS8_SA_EEENS0_18inequality_wrapperIZN2at6native12_GLOBAL__N_124unique_dim_cuda_templateItEESt5tupleIJNSF_6TensorESK_SK_EERKSK_lbbbEUlllE0_EEPmJS9_EEE10hipError_tPvRmT3_T4_T5_T6_T7_T9_mT8_P12ihipStream_tbDpT10_ENKUlT_T0_E_clISt17integral_constantIbLb1EES1A_EEDaS15_S16_EUlS15_E_NS1_11comp_targetILNS1_3genE10ELNS1_11target_archE1200ELNS1_3gpuE4ELNS1_3repE0EEENS1_30default_config_static_selectorELNS0_4arch9wavefront6targetE1EEEvT1_: ; @_ZN7rocprim17ROCPRIM_400000_NS6detail17trampoline_kernelINS0_14default_configENS1_25partition_config_selectorILNS1_17partition_subalgoE9EllbEEZZNS1_14partition_implILS5_9ELb0ES3_jPlS8_PNS0_10empty_typeENS0_5tupleIJS8_S9_EEENSB_IJS8_SA_EEENS0_18inequality_wrapperIZN2at6native12_GLOBAL__N_124unique_dim_cuda_templateItEESt5tupleIJNSF_6TensorESK_SK_EERKSK_lbbbEUlllE0_EEPmJS9_EEE10hipError_tPvRmT3_T4_T5_T6_T7_T9_mT8_P12ihipStream_tbDpT10_ENKUlT_T0_E_clISt17integral_constantIbLb1EES1A_EEDaS15_S16_EUlS15_E_NS1_11comp_targetILNS1_3genE10ELNS1_11target_archE1200ELNS1_3gpuE4ELNS1_3repE0EEENS1_30default_config_static_selectorELNS0_4arch9wavefront6targetE1EEEvT1_
; %bb.0:
	.section	.rodata,"a",@progbits
	.p2align	6, 0x0
	.amdhsa_kernel _ZN7rocprim17ROCPRIM_400000_NS6detail17trampoline_kernelINS0_14default_configENS1_25partition_config_selectorILNS1_17partition_subalgoE9EllbEEZZNS1_14partition_implILS5_9ELb0ES3_jPlS8_PNS0_10empty_typeENS0_5tupleIJS8_S9_EEENSB_IJS8_SA_EEENS0_18inequality_wrapperIZN2at6native12_GLOBAL__N_124unique_dim_cuda_templateItEESt5tupleIJNSF_6TensorESK_SK_EERKSK_lbbbEUlllE0_EEPmJS9_EEE10hipError_tPvRmT3_T4_T5_T6_T7_T9_mT8_P12ihipStream_tbDpT10_ENKUlT_T0_E_clISt17integral_constantIbLb1EES1A_EEDaS15_S16_EUlS15_E_NS1_11comp_targetILNS1_3genE10ELNS1_11target_archE1200ELNS1_3gpuE4ELNS1_3repE0EEENS1_30default_config_static_selectorELNS0_4arch9wavefront6targetE1EEEvT1_
		.amdhsa_group_segment_fixed_size 0
		.amdhsa_private_segment_fixed_size 0
		.amdhsa_kernarg_size 136
		.amdhsa_user_sgpr_count 2
		.amdhsa_user_sgpr_dispatch_ptr 0
		.amdhsa_user_sgpr_queue_ptr 0
		.amdhsa_user_sgpr_kernarg_segment_ptr 1
		.amdhsa_user_sgpr_dispatch_id 0
		.amdhsa_user_sgpr_kernarg_preload_length 0
		.amdhsa_user_sgpr_kernarg_preload_offset 0
		.amdhsa_user_sgpr_private_segment_size 0
		.amdhsa_uses_dynamic_stack 0
		.amdhsa_enable_private_segment 0
		.amdhsa_system_sgpr_workgroup_id_x 1
		.amdhsa_system_sgpr_workgroup_id_y 0
		.amdhsa_system_sgpr_workgroup_id_z 0
		.amdhsa_system_sgpr_workgroup_info 0
		.amdhsa_system_vgpr_workitem_id 0
		.amdhsa_next_free_vgpr 1
		.amdhsa_next_free_sgpr 0
		.amdhsa_accum_offset 4
		.amdhsa_reserve_vcc 0
		.amdhsa_float_round_mode_32 0
		.amdhsa_float_round_mode_16_64 0
		.amdhsa_float_denorm_mode_32 3
		.amdhsa_float_denorm_mode_16_64 3
		.amdhsa_dx10_clamp 1
		.amdhsa_ieee_mode 1
		.amdhsa_fp16_overflow 0
		.amdhsa_tg_split 0
		.amdhsa_exception_fp_ieee_invalid_op 0
		.amdhsa_exception_fp_denorm_src 0
		.amdhsa_exception_fp_ieee_div_zero 0
		.amdhsa_exception_fp_ieee_overflow 0
		.amdhsa_exception_fp_ieee_underflow 0
		.amdhsa_exception_fp_ieee_inexact 0
		.amdhsa_exception_int_div_zero 0
	.end_amdhsa_kernel
	.section	.text._ZN7rocprim17ROCPRIM_400000_NS6detail17trampoline_kernelINS0_14default_configENS1_25partition_config_selectorILNS1_17partition_subalgoE9EllbEEZZNS1_14partition_implILS5_9ELb0ES3_jPlS8_PNS0_10empty_typeENS0_5tupleIJS8_S9_EEENSB_IJS8_SA_EEENS0_18inequality_wrapperIZN2at6native12_GLOBAL__N_124unique_dim_cuda_templateItEESt5tupleIJNSF_6TensorESK_SK_EERKSK_lbbbEUlllE0_EEPmJS9_EEE10hipError_tPvRmT3_T4_T5_T6_T7_T9_mT8_P12ihipStream_tbDpT10_ENKUlT_T0_E_clISt17integral_constantIbLb1EES1A_EEDaS15_S16_EUlS15_E_NS1_11comp_targetILNS1_3genE10ELNS1_11target_archE1200ELNS1_3gpuE4ELNS1_3repE0EEENS1_30default_config_static_selectorELNS0_4arch9wavefront6targetE1EEEvT1_,"axG",@progbits,_ZN7rocprim17ROCPRIM_400000_NS6detail17trampoline_kernelINS0_14default_configENS1_25partition_config_selectorILNS1_17partition_subalgoE9EllbEEZZNS1_14partition_implILS5_9ELb0ES3_jPlS8_PNS0_10empty_typeENS0_5tupleIJS8_S9_EEENSB_IJS8_SA_EEENS0_18inequality_wrapperIZN2at6native12_GLOBAL__N_124unique_dim_cuda_templateItEESt5tupleIJNSF_6TensorESK_SK_EERKSK_lbbbEUlllE0_EEPmJS9_EEE10hipError_tPvRmT3_T4_T5_T6_T7_T9_mT8_P12ihipStream_tbDpT10_ENKUlT_T0_E_clISt17integral_constantIbLb1EES1A_EEDaS15_S16_EUlS15_E_NS1_11comp_targetILNS1_3genE10ELNS1_11target_archE1200ELNS1_3gpuE4ELNS1_3repE0EEENS1_30default_config_static_selectorELNS0_4arch9wavefront6targetE1EEEvT1_,comdat
.Lfunc_end1464:
	.size	_ZN7rocprim17ROCPRIM_400000_NS6detail17trampoline_kernelINS0_14default_configENS1_25partition_config_selectorILNS1_17partition_subalgoE9EllbEEZZNS1_14partition_implILS5_9ELb0ES3_jPlS8_PNS0_10empty_typeENS0_5tupleIJS8_S9_EEENSB_IJS8_SA_EEENS0_18inequality_wrapperIZN2at6native12_GLOBAL__N_124unique_dim_cuda_templateItEESt5tupleIJNSF_6TensorESK_SK_EERKSK_lbbbEUlllE0_EEPmJS9_EEE10hipError_tPvRmT3_T4_T5_T6_T7_T9_mT8_P12ihipStream_tbDpT10_ENKUlT_T0_E_clISt17integral_constantIbLb1EES1A_EEDaS15_S16_EUlS15_E_NS1_11comp_targetILNS1_3genE10ELNS1_11target_archE1200ELNS1_3gpuE4ELNS1_3repE0EEENS1_30default_config_static_selectorELNS0_4arch9wavefront6targetE1EEEvT1_, .Lfunc_end1464-_ZN7rocprim17ROCPRIM_400000_NS6detail17trampoline_kernelINS0_14default_configENS1_25partition_config_selectorILNS1_17partition_subalgoE9EllbEEZZNS1_14partition_implILS5_9ELb0ES3_jPlS8_PNS0_10empty_typeENS0_5tupleIJS8_S9_EEENSB_IJS8_SA_EEENS0_18inequality_wrapperIZN2at6native12_GLOBAL__N_124unique_dim_cuda_templateItEESt5tupleIJNSF_6TensorESK_SK_EERKSK_lbbbEUlllE0_EEPmJS9_EEE10hipError_tPvRmT3_T4_T5_T6_T7_T9_mT8_P12ihipStream_tbDpT10_ENKUlT_T0_E_clISt17integral_constantIbLb1EES1A_EEDaS15_S16_EUlS15_E_NS1_11comp_targetILNS1_3genE10ELNS1_11target_archE1200ELNS1_3gpuE4ELNS1_3repE0EEENS1_30default_config_static_selectorELNS0_4arch9wavefront6targetE1EEEvT1_
                                        ; -- End function
	.set _ZN7rocprim17ROCPRIM_400000_NS6detail17trampoline_kernelINS0_14default_configENS1_25partition_config_selectorILNS1_17partition_subalgoE9EllbEEZZNS1_14partition_implILS5_9ELb0ES3_jPlS8_PNS0_10empty_typeENS0_5tupleIJS8_S9_EEENSB_IJS8_SA_EEENS0_18inequality_wrapperIZN2at6native12_GLOBAL__N_124unique_dim_cuda_templateItEESt5tupleIJNSF_6TensorESK_SK_EERKSK_lbbbEUlllE0_EEPmJS9_EEE10hipError_tPvRmT3_T4_T5_T6_T7_T9_mT8_P12ihipStream_tbDpT10_ENKUlT_T0_E_clISt17integral_constantIbLb1EES1A_EEDaS15_S16_EUlS15_E_NS1_11comp_targetILNS1_3genE10ELNS1_11target_archE1200ELNS1_3gpuE4ELNS1_3repE0EEENS1_30default_config_static_selectorELNS0_4arch9wavefront6targetE1EEEvT1_.num_vgpr, 0
	.set _ZN7rocprim17ROCPRIM_400000_NS6detail17trampoline_kernelINS0_14default_configENS1_25partition_config_selectorILNS1_17partition_subalgoE9EllbEEZZNS1_14partition_implILS5_9ELb0ES3_jPlS8_PNS0_10empty_typeENS0_5tupleIJS8_S9_EEENSB_IJS8_SA_EEENS0_18inequality_wrapperIZN2at6native12_GLOBAL__N_124unique_dim_cuda_templateItEESt5tupleIJNSF_6TensorESK_SK_EERKSK_lbbbEUlllE0_EEPmJS9_EEE10hipError_tPvRmT3_T4_T5_T6_T7_T9_mT8_P12ihipStream_tbDpT10_ENKUlT_T0_E_clISt17integral_constantIbLb1EES1A_EEDaS15_S16_EUlS15_E_NS1_11comp_targetILNS1_3genE10ELNS1_11target_archE1200ELNS1_3gpuE4ELNS1_3repE0EEENS1_30default_config_static_selectorELNS0_4arch9wavefront6targetE1EEEvT1_.num_agpr, 0
	.set _ZN7rocprim17ROCPRIM_400000_NS6detail17trampoline_kernelINS0_14default_configENS1_25partition_config_selectorILNS1_17partition_subalgoE9EllbEEZZNS1_14partition_implILS5_9ELb0ES3_jPlS8_PNS0_10empty_typeENS0_5tupleIJS8_S9_EEENSB_IJS8_SA_EEENS0_18inequality_wrapperIZN2at6native12_GLOBAL__N_124unique_dim_cuda_templateItEESt5tupleIJNSF_6TensorESK_SK_EERKSK_lbbbEUlllE0_EEPmJS9_EEE10hipError_tPvRmT3_T4_T5_T6_T7_T9_mT8_P12ihipStream_tbDpT10_ENKUlT_T0_E_clISt17integral_constantIbLb1EES1A_EEDaS15_S16_EUlS15_E_NS1_11comp_targetILNS1_3genE10ELNS1_11target_archE1200ELNS1_3gpuE4ELNS1_3repE0EEENS1_30default_config_static_selectorELNS0_4arch9wavefront6targetE1EEEvT1_.numbered_sgpr, 0
	.set _ZN7rocprim17ROCPRIM_400000_NS6detail17trampoline_kernelINS0_14default_configENS1_25partition_config_selectorILNS1_17partition_subalgoE9EllbEEZZNS1_14partition_implILS5_9ELb0ES3_jPlS8_PNS0_10empty_typeENS0_5tupleIJS8_S9_EEENSB_IJS8_SA_EEENS0_18inequality_wrapperIZN2at6native12_GLOBAL__N_124unique_dim_cuda_templateItEESt5tupleIJNSF_6TensorESK_SK_EERKSK_lbbbEUlllE0_EEPmJS9_EEE10hipError_tPvRmT3_T4_T5_T6_T7_T9_mT8_P12ihipStream_tbDpT10_ENKUlT_T0_E_clISt17integral_constantIbLb1EES1A_EEDaS15_S16_EUlS15_E_NS1_11comp_targetILNS1_3genE10ELNS1_11target_archE1200ELNS1_3gpuE4ELNS1_3repE0EEENS1_30default_config_static_selectorELNS0_4arch9wavefront6targetE1EEEvT1_.num_named_barrier, 0
	.set _ZN7rocprim17ROCPRIM_400000_NS6detail17trampoline_kernelINS0_14default_configENS1_25partition_config_selectorILNS1_17partition_subalgoE9EllbEEZZNS1_14partition_implILS5_9ELb0ES3_jPlS8_PNS0_10empty_typeENS0_5tupleIJS8_S9_EEENSB_IJS8_SA_EEENS0_18inequality_wrapperIZN2at6native12_GLOBAL__N_124unique_dim_cuda_templateItEESt5tupleIJNSF_6TensorESK_SK_EERKSK_lbbbEUlllE0_EEPmJS9_EEE10hipError_tPvRmT3_T4_T5_T6_T7_T9_mT8_P12ihipStream_tbDpT10_ENKUlT_T0_E_clISt17integral_constantIbLb1EES1A_EEDaS15_S16_EUlS15_E_NS1_11comp_targetILNS1_3genE10ELNS1_11target_archE1200ELNS1_3gpuE4ELNS1_3repE0EEENS1_30default_config_static_selectorELNS0_4arch9wavefront6targetE1EEEvT1_.private_seg_size, 0
	.set _ZN7rocprim17ROCPRIM_400000_NS6detail17trampoline_kernelINS0_14default_configENS1_25partition_config_selectorILNS1_17partition_subalgoE9EllbEEZZNS1_14partition_implILS5_9ELb0ES3_jPlS8_PNS0_10empty_typeENS0_5tupleIJS8_S9_EEENSB_IJS8_SA_EEENS0_18inequality_wrapperIZN2at6native12_GLOBAL__N_124unique_dim_cuda_templateItEESt5tupleIJNSF_6TensorESK_SK_EERKSK_lbbbEUlllE0_EEPmJS9_EEE10hipError_tPvRmT3_T4_T5_T6_T7_T9_mT8_P12ihipStream_tbDpT10_ENKUlT_T0_E_clISt17integral_constantIbLb1EES1A_EEDaS15_S16_EUlS15_E_NS1_11comp_targetILNS1_3genE10ELNS1_11target_archE1200ELNS1_3gpuE4ELNS1_3repE0EEENS1_30default_config_static_selectorELNS0_4arch9wavefront6targetE1EEEvT1_.uses_vcc, 0
	.set _ZN7rocprim17ROCPRIM_400000_NS6detail17trampoline_kernelINS0_14default_configENS1_25partition_config_selectorILNS1_17partition_subalgoE9EllbEEZZNS1_14partition_implILS5_9ELb0ES3_jPlS8_PNS0_10empty_typeENS0_5tupleIJS8_S9_EEENSB_IJS8_SA_EEENS0_18inequality_wrapperIZN2at6native12_GLOBAL__N_124unique_dim_cuda_templateItEESt5tupleIJNSF_6TensorESK_SK_EERKSK_lbbbEUlllE0_EEPmJS9_EEE10hipError_tPvRmT3_T4_T5_T6_T7_T9_mT8_P12ihipStream_tbDpT10_ENKUlT_T0_E_clISt17integral_constantIbLb1EES1A_EEDaS15_S16_EUlS15_E_NS1_11comp_targetILNS1_3genE10ELNS1_11target_archE1200ELNS1_3gpuE4ELNS1_3repE0EEENS1_30default_config_static_selectorELNS0_4arch9wavefront6targetE1EEEvT1_.uses_flat_scratch, 0
	.set _ZN7rocprim17ROCPRIM_400000_NS6detail17trampoline_kernelINS0_14default_configENS1_25partition_config_selectorILNS1_17partition_subalgoE9EllbEEZZNS1_14partition_implILS5_9ELb0ES3_jPlS8_PNS0_10empty_typeENS0_5tupleIJS8_S9_EEENSB_IJS8_SA_EEENS0_18inequality_wrapperIZN2at6native12_GLOBAL__N_124unique_dim_cuda_templateItEESt5tupleIJNSF_6TensorESK_SK_EERKSK_lbbbEUlllE0_EEPmJS9_EEE10hipError_tPvRmT3_T4_T5_T6_T7_T9_mT8_P12ihipStream_tbDpT10_ENKUlT_T0_E_clISt17integral_constantIbLb1EES1A_EEDaS15_S16_EUlS15_E_NS1_11comp_targetILNS1_3genE10ELNS1_11target_archE1200ELNS1_3gpuE4ELNS1_3repE0EEENS1_30default_config_static_selectorELNS0_4arch9wavefront6targetE1EEEvT1_.has_dyn_sized_stack, 0
	.set _ZN7rocprim17ROCPRIM_400000_NS6detail17trampoline_kernelINS0_14default_configENS1_25partition_config_selectorILNS1_17partition_subalgoE9EllbEEZZNS1_14partition_implILS5_9ELb0ES3_jPlS8_PNS0_10empty_typeENS0_5tupleIJS8_S9_EEENSB_IJS8_SA_EEENS0_18inequality_wrapperIZN2at6native12_GLOBAL__N_124unique_dim_cuda_templateItEESt5tupleIJNSF_6TensorESK_SK_EERKSK_lbbbEUlllE0_EEPmJS9_EEE10hipError_tPvRmT3_T4_T5_T6_T7_T9_mT8_P12ihipStream_tbDpT10_ENKUlT_T0_E_clISt17integral_constantIbLb1EES1A_EEDaS15_S16_EUlS15_E_NS1_11comp_targetILNS1_3genE10ELNS1_11target_archE1200ELNS1_3gpuE4ELNS1_3repE0EEENS1_30default_config_static_selectorELNS0_4arch9wavefront6targetE1EEEvT1_.has_recursion, 0
	.set _ZN7rocprim17ROCPRIM_400000_NS6detail17trampoline_kernelINS0_14default_configENS1_25partition_config_selectorILNS1_17partition_subalgoE9EllbEEZZNS1_14partition_implILS5_9ELb0ES3_jPlS8_PNS0_10empty_typeENS0_5tupleIJS8_S9_EEENSB_IJS8_SA_EEENS0_18inequality_wrapperIZN2at6native12_GLOBAL__N_124unique_dim_cuda_templateItEESt5tupleIJNSF_6TensorESK_SK_EERKSK_lbbbEUlllE0_EEPmJS9_EEE10hipError_tPvRmT3_T4_T5_T6_T7_T9_mT8_P12ihipStream_tbDpT10_ENKUlT_T0_E_clISt17integral_constantIbLb1EES1A_EEDaS15_S16_EUlS15_E_NS1_11comp_targetILNS1_3genE10ELNS1_11target_archE1200ELNS1_3gpuE4ELNS1_3repE0EEENS1_30default_config_static_selectorELNS0_4arch9wavefront6targetE1EEEvT1_.has_indirect_call, 0
	.section	.AMDGPU.csdata,"",@progbits
; Kernel info:
; codeLenInByte = 0
; TotalNumSgprs: 6
; NumVgprs: 0
; NumAgprs: 0
; TotalNumVgprs: 0
; ScratchSize: 0
; MemoryBound: 0
; FloatMode: 240
; IeeeMode: 1
; LDSByteSize: 0 bytes/workgroup (compile time only)
; SGPRBlocks: 0
; VGPRBlocks: 0
; NumSGPRsForWavesPerEU: 6
; NumVGPRsForWavesPerEU: 1
; AccumOffset: 4
; Occupancy: 8
; WaveLimiterHint : 0
; COMPUTE_PGM_RSRC2:SCRATCH_EN: 0
; COMPUTE_PGM_RSRC2:USER_SGPR: 2
; COMPUTE_PGM_RSRC2:TRAP_HANDLER: 0
; COMPUTE_PGM_RSRC2:TGID_X_EN: 1
; COMPUTE_PGM_RSRC2:TGID_Y_EN: 0
; COMPUTE_PGM_RSRC2:TGID_Z_EN: 0
; COMPUTE_PGM_RSRC2:TIDIG_COMP_CNT: 0
; COMPUTE_PGM_RSRC3_GFX90A:ACCUM_OFFSET: 0
; COMPUTE_PGM_RSRC3_GFX90A:TG_SPLIT: 0
	.section	.text._ZN7rocprim17ROCPRIM_400000_NS6detail17trampoline_kernelINS0_14default_configENS1_25partition_config_selectorILNS1_17partition_subalgoE9EllbEEZZNS1_14partition_implILS5_9ELb0ES3_jPlS8_PNS0_10empty_typeENS0_5tupleIJS8_S9_EEENSB_IJS8_SA_EEENS0_18inequality_wrapperIZN2at6native12_GLOBAL__N_124unique_dim_cuda_templateItEESt5tupleIJNSF_6TensorESK_SK_EERKSK_lbbbEUlllE0_EEPmJS9_EEE10hipError_tPvRmT3_T4_T5_T6_T7_T9_mT8_P12ihipStream_tbDpT10_ENKUlT_T0_E_clISt17integral_constantIbLb1EES1A_EEDaS15_S16_EUlS15_E_NS1_11comp_targetILNS1_3genE9ELNS1_11target_archE1100ELNS1_3gpuE3ELNS1_3repE0EEENS1_30default_config_static_selectorELNS0_4arch9wavefront6targetE1EEEvT1_,"axG",@progbits,_ZN7rocprim17ROCPRIM_400000_NS6detail17trampoline_kernelINS0_14default_configENS1_25partition_config_selectorILNS1_17partition_subalgoE9EllbEEZZNS1_14partition_implILS5_9ELb0ES3_jPlS8_PNS0_10empty_typeENS0_5tupleIJS8_S9_EEENSB_IJS8_SA_EEENS0_18inequality_wrapperIZN2at6native12_GLOBAL__N_124unique_dim_cuda_templateItEESt5tupleIJNSF_6TensorESK_SK_EERKSK_lbbbEUlllE0_EEPmJS9_EEE10hipError_tPvRmT3_T4_T5_T6_T7_T9_mT8_P12ihipStream_tbDpT10_ENKUlT_T0_E_clISt17integral_constantIbLb1EES1A_EEDaS15_S16_EUlS15_E_NS1_11comp_targetILNS1_3genE9ELNS1_11target_archE1100ELNS1_3gpuE3ELNS1_3repE0EEENS1_30default_config_static_selectorELNS0_4arch9wavefront6targetE1EEEvT1_,comdat
	.globl	_ZN7rocprim17ROCPRIM_400000_NS6detail17trampoline_kernelINS0_14default_configENS1_25partition_config_selectorILNS1_17partition_subalgoE9EllbEEZZNS1_14partition_implILS5_9ELb0ES3_jPlS8_PNS0_10empty_typeENS0_5tupleIJS8_S9_EEENSB_IJS8_SA_EEENS0_18inequality_wrapperIZN2at6native12_GLOBAL__N_124unique_dim_cuda_templateItEESt5tupleIJNSF_6TensorESK_SK_EERKSK_lbbbEUlllE0_EEPmJS9_EEE10hipError_tPvRmT3_T4_T5_T6_T7_T9_mT8_P12ihipStream_tbDpT10_ENKUlT_T0_E_clISt17integral_constantIbLb1EES1A_EEDaS15_S16_EUlS15_E_NS1_11comp_targetILNS1_3genE9ELNS1_11target_archE1100ELNS1_3gpuE3ELNS1_3repE0EEENS1_30default_config_static_selectorELNS0_4arch9wavefront6targetE1EEEvT1_ ; -- Begin function _ZN7rocprim17ROCPRIM_400000_NS6detail17trampoline_kernelINS0_14default_configENS1_25partition_config_selectorILNS1_17partition_subalgoE9EllbEEZZNS1_14partition_implILS5_9ELb0ES3_jPlS8_PNS0_10empty_typeENS0_5tupleIJS8_S9_EEENSB_IJS8_SA_EEENS0_18inequality_wrapperIZN2at6native12_GLOBAL__N_124unique_dim_cuda_templateItEESt5tupleIJNSF_6TensorESK_SK_EERKSK_lbbbEUlllE0_EEPmJS9_EEE10hipError_tPvRmT3_T4_T5_T6_T7_T9_mT8_P12ihipStream_tbDpT10_ENKUlT_T0_E_clISt17integral_constantIbLb1EES1A_EEDaS15_S16_EUlS15_E_NS1_11comp_targetILNS1_3genE9ELNS1_11target_archE1100ELNS1_3gpuE3ELNS1_3repE0EEENS1_30default_config_static_selectorELNS0_4arch9wavefront6targetE1EEEvT1_
	.p2align	8
	.type	_ZN7rocprim17ROCPRIM_400000_NS6detail17trampoline_kernelINS0_14default_configENS1_25partition_config_selectorILNS1_17partition_subalgoE9EllbEEZZNS1_14partition_implILS5_9ELb0ES3_jPlS8_PNS0_10empty_typeENS0_5tupleIJS8_S9_EEENSB_IJS8_SA_EEENS0_18inequality_wrapperIZN2at6native12_GLOBAL__N_124unique_dim_cuda_templateItEESt5tupleIJNSF_6TensorESK_SK_EERKSK_lbbbEUlllE0_EEPmJS9_EEE10hipError_tPvRmT3_T4_T5_T6_T7_T9_mT8_P12ihipStream_tbDpT10_ENKUlT_T0_E_clISt17integral_constantIbLb1EES1A_EEDaS15_S16_EUlS15_E_NS1_11comp_targetILNS1_3genE9ELNS1_11target_archE1100ELNS1_3gpuE3ELNS1_3repE0EEENS1_30default_config_static_selectorELNS0_4arch9wavefront6targetE1EEEvT1_,@function
_ZN7rocprim17ROCPRIM_400000_NS6detail17trampoline_kernelINS0_14default_configENS1_25partition_config_selectorILNS1_17partition_subalgoE9EllbEEZZNS1_14partition_implILS5_9ELb0ES3_jPlS8_PNS0_10empty_typeENS0_5tupleIJS8_S9_EEENSB_IJS8_SA_EEENS0_18inequality_wrapperIZN2at6native12_GLOBAL__N_124unique_dim_cuda_templateItEESt5tupleIJNSF_6TensorESK_SK_EERKSK_lbbbEUlllE0_EEPmJS9_EEE10hipError_tPvRmT3_T4_T5_T6_T7_T9_mT8_P12ihipStream_tbDpT10_ENKUlT_T0_E_clISt17integral_constantIbLb1EES1A_EEDaS15_S16_EUlS15_E_NS1_11comp_targetILNS1_3genE9ELNS1_11target_archE1100ELNS1_3gpuE3ELNS1_3repE0EEENS1_30default_config_static_selectorELNS0_4arch9wavefront6targetE1EEEvT1_: ; @_ZN7rocprim17ROCPRIM_400000_NS6detail17trampoline_kernelINS0_14default_configENS1_25partition_config_selectorILNS1_17partition_subalgoE9EllbEEZZNS1_14partition_implILS5_9ELb0ES3_jPlS8_PNS0_10empty_typeENS0_5tupleIJS8_S9_EEENSB_IJS8_SA_EEENS0_18inequality_wrapperIZN2at6native12_GLOBAL__N_124unique_dim_cuda_templateItEESt5tupleIJNSF_6TensorESK_SK_EERKSK_lbbbEUlllE0_EEPmJS9_EEE10hipError_tPvRmT3_T4_T5_T6_T7_T9_mT8_P12ihipStream_tbDpT10_ENKUlT_T0_E_clISt17integral_constantIbLb1EES1A_EEDaS15_S16_EUlS15_E_NS1_11comp_targetILNS1_3genE9ELNS1_11target_archE1100ELNS1_3gpuE3ELNS1_3repE0EEENS1_30default_config_static_selectorELNS0_4arch9wavefront6targetE1EEEvT1_
; %bb.0:
	.section	.rodata,"a",@progbits
	.p2align	6, 0x0
	.amdhsa_kernel _ZN7rocprim17ROCPRIM_400000_NS6detail17trampoline_kernelINS0_14default_configENS1_25partition_config_selectorILNS1_17partition_subalgoE9EllbEEZZNS1_14partition_implILS5_9ELb0ES3_jPlS8_PNS0_10empty_typeENS0_5tupleIJS8_S9_EEENSB_IJS8_SA_EEENS0_18inequality_wrapperIZN2at6native12_GLOBAL__N_124unique_dim_cuda_templateItEESt5tupleIJNSF_6TensorESK_SK_EERKSK_lbbbEUlllE0_EEPmJS9_EEE10hipError_tPvRmT3_T4_T5_T6_T7_T9_mT8_P12ihipStream_tbDpT10_ENKUlT_T0_E_clISt17integral_constantIbLb1EES1A_EEDaS15_S16_EUlS15_E_NS1_11comp_targetILNS1_3genE9ELNS1_11target_archE1100ELNS1_3gpuE3ELNS1_3repE0EEENS1_30default_config_static_selectorELNS0_4arch9wavefront6targetE1EEEvT1_
		.amdhsa_group_segment_fixed_size 0
		.amdhsa_private_segment_fixed_size 0
		.amdhsa_kernarg_size 136
		.amdhsa_user_sgpr_count 2
		.amdhsa_user_sgpr_dispatch_ptr 0
		.amdhsa_user_sgpr_queue_ptr 0
		.amdhsa_user_sgpr_kernarg_segment_ptr 1
		.amdhsa_user_sgpr_dispatch_id 0
		.amdhsa_user_sgpr_kernarg_preload_length 0
		.amdhsa_user_sgpr_kernarg_preload_offset 0
		.amdhsa_user_sgpr_private_segment_size 0
		.amdhsa_uses_dynamic_stack 0
		.amdhsa_enable_private_segment 0
		.amdhsa_system_sgpr_workgroup_id_x 1
		.amdhsa_system_sgpr_workgroup_id_y 0
		.amdhsa_system_sgpr_workgroup_id_z 0
		.amdhsa_system_sgpr_workgroup_info 0
		.amdhsa_system_vgpr_workitem_id 0
		.amdhsa_next_free_vgpr 1
		.amdhsa_next_free_sgpr 0
		.amdhsa_accum_offset 4
		.amdhsa_reserve_vcc 0
		.amdhsa_float_round_mode_32 0
		.amdhsa_float_round_mode_16_64 0
		.amdhsa_float_denorm_mode_32 3
		.amdhsa_float_denorm_mode_16_64 3
		.amdhsa_dx10_clamp 1
		.amdhsa_ieee_mode 1
		.amdhsa_fp16_overflow 0
		.amdhsa_tg_split 0
		.amdhsa_exception_fp_ieee_invalid_op 0
		.amdhsa_exception_fp_denorm_src 0
		.amdhsa_exception_fp_ieee_div_zero 0
		.amdhsa_exception_fp_ieee_overflow 0
		.amdhsa_exception_fp_ieee_underflow 0
		.amdhsa_exception_fp_ieee_inexact 0
		.amdhsa_exception_int_div_zero 0
	.end_amdhsa_kernel
	.section	.text._ZN7rocprim17ROCPRIM_400000_NS6detail17trampoline_kernelINS0_14default_configENS1_25partition_config_selectorILNS1_17partition_subalgoE9EllbEEZZNS1_14partition_implILS5_9ELb0ES3_jPlS8_PNS0_10empty_typeENS0_5tupleIJS8_S9_EEENSB_IJS8_SA_EEENS0_18inequality_wrapperIZN2at6native12_GLOBAL__N_124unique_dim_cuda_templateItEESt5tupleIJNSF_6TensorESK_SK_EERKSK_lbbbEUlllE0_EEPmJS9_EEE10hipError_tPvRmT3_T4_T5_T6_T7_T9_mT8_P12ihipStream_tbDpT10_ENKUlT_T0_E_clISt17integral_constantIbLb1EES1A_EEDaS15_S16_EUlS15_E_NS1_11comp_targetILNS1_3genE9ELNS1_11target_archE1100ELNS1_3gpuE3ELNS1_3repE0EEENS1_30default_config_static_selectorELNS0_4arch9wavefront6targetE1EEEvT1_,"axG",@progbits,_ZN7rocprim17ROCPRIM_400000_NS6detail17trampoline_kernelINS0_14default_configENS1_25partition_config_selectorILNS1_17partition_subalgoE9EllbEEZZNS1_14partition_implILS5_9ELb0ES3_jPlS8_PNS0_10empty_typeENS0_5tupleIJS8_S9_EEENSB_IJS8_SA_EEENS0_18inequality_wrapperIZN2at6native12_GLOBAL__N_124unique_dim_cuda_templateItEESt5tupleIJNSF_6TensorESK_SK_EERKSK_lbbbEUlllE0_EEPmJS9_EEE10hipError_tPvRmT3_T4_T5_T6_T7_T9_mT8_P12ihipStream_tbDpT10_ENKUlT_T0_E_clISt17integral_constantIbLb1EES1A_EEDaS15_S16_EUlS15_E_NS1_11comp_targetILNS1_3genE9ELNS1_11target_archE1100ELNS1_3gpuE3ELNS1_3repE0EEENS1_30default_config_static_selectorELNS0_4arch9wavefront6targetE1EEEvT1_,comdat
.Lfunc_end1465:
	.size	_ZN7rocprim17ROCPRIM_400000_NS6detail17trampoline_kernelINS0_14default_configENS1_25partition_config_selectorILNS1_17partition_subalgoE9EllbEEZZNS1_14partition_implILS5_9ELb0ES3_jPlS8_PNS0_10empty_typeENS0_5tupleIJS8_S9_EEENSB_IJS8_SA_EEENS0_18inequality_wrapperIZN2at6native12_GLOBAL__N_124unique_dim_cuda_templateItEESt5tupleIJNSF_6TensorESK_SK_EERKSK_lbbbEUlllE0_EEPmJS9_EEE10hipError_tPvRmT3_T4_T5_T6_T7_T9_mT8_P12ihipStream_tbDpT10_ENKUlT_T0_E_clISt17integral_constantIbLb1EES1A_EEDaS15_S16_EUlS15_E_NS1_11comp_targetILNS1_3genE9ELNS1_11target_archE1100ELNS1_3gpuE3ELNS1_3repE0EEENS1_30default_config_static_selectorELNS0_4arch9wavefront6targetE1EEEvT1_, .Lfunc_end1465-_ZN7rocprim17ROCPRIM_400000_NS6detail17trampoline_kernelINS0_14default_configENS1_25partition_config_selectorILNS1_17partition_subalgoE9EllbEEZZNS1_14partition_implILS5_9ELb0ES3_jPlS8_PNS0_10empty_typeENS0_5tupleIJS8_S9_EEENSB_IJS8_SA_EEENS0_18inequality_wrapperIZN2at6native12_GLOBAL__N_124unique_dim_cuda_templateItEESt5tupleIJNSF_6TensorESK_SK_EERKSK_lbbbEUlllE0_EEPmJS9_EEE10hipError_tPvRmT3_T4_T5_T6_T7_T9_mT8_P12ihipStream_tbDpT10_ENKUlT_T0_E_clISt17integral_constantIbLb1EES1A_EEDaS15_S16_EUlS15_E_NS1_11comp_targetILNS1_3genE9ELNS1_11target_archE1100ELNS1_3gpuE3ELNS1_3repE0EEENS1_30default_config_static_selectorELNS0_4arch9wavefront6targetE1EEEvT1_
                                        ; -- End function
	.set _ZN7rocprim17ROCPRIM_400000_NS6detail17trampoline_kernelINS0_14default_configENS1_25partition_config_selectorILNS1_17partition_subalgoE9EllbEEZZNS1_14partition_implILS5_9ELb0ES3_jPlS8_PNS0_10empty_typeENS0_5tupleIJS8_S9_EEENSB_IJS8_SA_EEENS0_18inequality_wrapperIZN2at6native12_GLOBAL__N_124unique_dim_cuda_templateItEESt5tupleIJNSF_6TensorESK_SK_EERKSK_lbbbEUlllE0_EEPmJS9_EEE10hipError_tPvRmT3_T4_T5_T6_T7_T9_mT8_P12ihipStream_tbDpT10_ENKUlT_T0_E_clISt17integral_constantIbLb1EES1A_EEDaS15_S16_EUlS15_E_NS1_11comp_targetILNS1_3genE9ELNS1_11target_archE1100ELNS1_3gpuE3ELNS1_3repE0EEENS1_30default_config_static_selectorELNS0_4arch9wavefront6targetE1EEEvT1_.num_vgpr, 0
	.set _ZN7rocprim17ROCPRIM_400000_NS6detail17trampoline_kernelINS0_14default_configENS1_25partition_config_selectorILNS1_17partition_subalgoE9EllbEEZZNS1_14partition_implILS5_9ELb0ES3_jPlS8_PNS0_10empty_typeENS0_5tupleIJS8_S9_EEENSB_IJS8_SA_EEENS0_18inequality_wrapperIZN2at6native12_GLOBAL__N_124unique_dim_cuda_templateItEESt5tupleIJNSF_6TensorESK_SK_EERKSK_lbbbEUlllE0_EEPmJS9_EEE10hipError_tPvRmT3_T4_T5_T6_T7_T9_mT8_P12ihipStream_tbDpT10_ENKUlT_T0_E_clISt17integral_constantIbLb1EES1A_EEDaS15_S16_EUlS15_E_NS1_11comp_targetILNS1_3genE9ELNS1_11target_archE1100ELNS1_3gpuE3ELNS1_3repE0EEENS1_30default_config_static_selectorELNS0_4arch9wavefront6targetE1EEEvT1_.num_agpr, 0
	.set _ZN7rocprim17ROCPRIM_400000_NS6detail17trampoline_kernelINS0_14default_configENS1_25partition_config_selectorILNS1_17partition_subalgoE9EllbEEZZNS1_14partition_implILS5_9ELb0ES3_jPlS8_PNS0_10empty_typeENS0_5tupleIJS8_S9_EEENSB_IJS8_SA_EEENS0_18inequality_wrapperIZN2at6native12_GLOBAL__N_124unique_dim_cuda_templateItEESt5tupleIJNSF_6TensorESK_SK_EERKSK_lbbbEUlllE0_EEPmJS9_EEE10hipError_tPvRmT3_T4_T5_T6_T7_T9_mT8_P12ihipStream_tbDpT10_ENKUlT_T0_E_clISt17integral_constantIbLb1EES1A_EEDaS15_S16_EUlS15_E_NS1_11comp_targetILNS1_3genE9ELNS1_11target_archE1100ELNS1_3gpuE3ELNS1_3repE0EEENS1_30default_config_static_selectorELNS0_4arch9wavefront6targetE1EEEvT1_.numbered_sgpr, 0
	.set _ZN7rocprim17ROCPRIM_400000_NS6detail17trampoline_kernelINS0_14default_configENS1_25partition_config_selectorILNS1_17partition_subalgoE9EllbEEZZNS1_14partition_implILS5_9ELb0ES3_jPlS8_PNS0_10empty_typeENS0_5tupleIJS8_S9_EEENSB_IJS8_SA_EEENS0_18inequality_wrapperIZN2at6native12_GLOBAL__N_124unique_dim_cuda_templateItEESt5tupleIJNSF_6TensorESK_SK_EERKSK_lbbbEUlllE0_EEPmJS9_EEE10hipError_tPvRmT3_T4_T5_T6_T7_T9_mT8_P12ihipStream_tbDpT10_ENKUlT_T0_E_clISt17integral_constantIbLb1EES1A_EEDaS15_S16_EUlS15_E_NS1_11comp_targetILNS1_3genE9ELNS1_11target_archE1100ELNS1_3gpuE3ELNS1_3repE0EEENS1_30default_config_static_selectorELNS0_4arch9wavefront6targetE1EEEvT1_.num_named_barrier, 0
	.set _ZN7rocprim17ROCPRIM_400000_NS6detail17trampoline_kernelINS0_14default_configENS1_25partition_config_selectorILNS1_17partition_subalgoE9EllbEEZZNS1_14partition_implILS5_9ELb0ES3_jPlS8_PNS0_10empty_typeENS0_5tupleIJS8_S9_EEENSB_IJS8_SA_EEENS0_18inequality_wrapperIZN2at6native12_GLOBAL__N_124unique_dim_cuda_templateItEESt5tupleIJNSF_6TensorESK_SK_EERKSK_lbbbEUlllE0_EEPmJS9_EEE10hipError_tPvRmT3_T4_T5_T6_T7_T9_mT8_P12ihipStream_tbDpT10_ENKUlT_T0_E_clISt17integral_constantIbLb1EES1A_EEDaS15_S16_EUlS15_E_NS1_11comp_targetILNS1_3genE9ELNS1_11target_archE1100ELNS1_3gpuE3ELNS1_3repE0EEENS1_30default_config_static_selectorELNS0_4arch9wavefront6targetE1EEEvT1_.private_seg_size, 0
	.set _ZN7rocprim17ROCPRIM_400000_NS6detail17trampoline_kernelINS0_14default_configENS1_25partition_config_selectorILNS1_17partition_subalgoE9EllbEEZZNS1_14partition_implILS5_9ELb0ES3_jPlS8_PNS0_10empty_typeENS0_5tupleIJS8_S9_EEENSB_IJS8_SA_EEENS0_18inequality_wrapperIZN2at6native12_GLOBAL__N_124unique_dim_cuda_templateItEESt5tupleIJNSF_6TensorESK_SK_EERKSK_lbbbEUlllE0_EEPmJS9_EEE10hipError_tPvRmT3_T4_T5_T6_T7_T9_mT8_P12ihipStream_tbDpT10_ENKUlT_T0_E_clISt17integral_constantIbLb1EES1A_EEDaS15_S16_EUlS15_E_NS1_11comp_targetILNS1_3genE9ELNS1_11target_archE1100ELNS1_3gpuE3ELNS1_3repE0EEENS1_30default_config_static_selectorELNS0_4arch9wavefront6targetE1EEEvT1_.uses_vcc, 0
	.set _ZN7rocprim17ROCPRIM_400000_NS6detail17trampoline_kernelINS0_14default_configENS1_25partition_config_selectorILNS1_17partition_subalgoE9EllbEEZZNS1_14partition_implILS5_9ELb0ES3_jPlS8_PNS0_10empty_typeENS0_5tupleIJS8_S9_EEENSB_IJS8_SA_EEENS0_18inequality_wrapperIZN2at6native12_GLOBAL__N_124unique_dim_cuda_templateItEESt5tupleIJNSF_6TensorESK_SK_EERKSK_lbbbEUlllE0_EEPmJS9_EEE10hipError_tPvRmT3_T4_T5_T6_T7_T9_mT8_P12ihipStream_tbDpT10_ENKUlT_T0_E_clISt17integral_constantIbLb1EES1A_EEDaS15_S16_EUlS15_E_NS1_11comp_targetILNS1_3genE9ELNS1_11target_archE1100ELNS1_3gpuE3ELNS1_3repE0EEENS1_30default_config_static_selectorELNS0_4arch9wavefront6targetE1EEEvT1_.uses_flat_scratch, 0
	.set _ZN7rocprim17ROCPRIM_400000_NS6detail17trampoline_kernelINS0_14default_configENS1_25partition_config_selectorILNS1_17partition_subalgoE9EllbEEZZNS1_14partition_implILS5_9ELb0ES3_jPlS8_PNS0_10empty_typeENS0_5tupleIJS8_S9_EEENSB_IJS8_SA_EEENS0_18inequality_wrapperIZN2at6native12_GLOBAL__N_124unique_dim_cuda_templateItEESt5tupleIJNSF_6TensorESK_SK_EERKSK_lbbbEUlllE0_EEPmJS9_EEE10hipError_tPvRmT3_T4_T5_T6_T7_T9_mT8_P12ihipStream_tbDpT10_ENKUlT_T0_E_clISt17integral_constantIbLb1EES1A_EEDaS15_S16_EUlS15_E_NS1_11comp_targetILNS1_3genE9ELNS1_11target_archE1100ELNS1_3gpuE3ELNS1_3repE0EEENS1_30default_config_static_selectorELNS0_4arch9wavefront6targetE1EEEvT1_.has_dyn_sized_stack, 0
	.set _ZN7rocprim17ROCPRIM_400000_NS6detail17trampoline_kernelINS0_14default_configENS1_25partition_config_selectorILNS1_17partition_subalgoE9EllbEEZZNS1_14partition_implILS5_9ELb0ES3_jPlS8_PNS0_10empty_typeENS0_5tupleIJS8_S9_EEENSB_IJS8_SA_EEENS0_18inequality_wrapperIZN2at6native12_GLOBAL__N_124unique_dim_cuda_templateItEESt5tupleIJNSF_6TensorESK_SK_EERKSK_lbbbEUlllE0_EEPmJS9_EEE10hipError_tPvRmT3_T4_T5_T6_T7_T9_mT8_P12ihipStream_tbDpT10_ENKUlT_T0_E_clISt17integral_constantIbLb1EES1A_EEDaS15_S16_EUlS15_E_NS1_11comp_targetILNS1_3genE9ELNS1_11target_archE1100ELNS1_3gpuE3ELNS1_3repE0EEENS1_30default_config_static_selectorELNS0_4arch9wavefront6targetE1EEEvT1_.has_recursion, 0
	.set _ZN7rocprim17ROCPRIM_400000_NS6detail17trampoline_kernelINS0_14default_configENS1_25partition_config_selectorILNS1_17partition_subalgoE9EllbEEZZNS1_14partition_implILS5_9ELb0ES3_jPlS8_PNS0_10empty_typeENS0_5tupleIJS8_S9_EEENSB_IJS8_SA_EEENS0_18inequality_wrapperIZN2at6native12_GLOBAL__N_124unique_dim_cuda_templateItEESt5tupleIJNSF_6TensorESK_SK_EERKSK_lbbbEUlllE0_EEPmJS9_EEE10hipError_tPvRmT3_T4_T5_T6_T7_T9_mT8_P12ihipStream_tbDpT10_ENKUlT_T0_E_clISt17integral_constantIbLb1EES1A_EEDaS15_S16_EUlS15_E_NS1_11comp_targetILNS1_3genE9ELNS1_11target_archE1100ELNS1_3gpuE3ELNS1_3repE0EEENS1_30default_config_static_selectorELNS0_4arch9wavefront6targetE1EEEvT1_.has_indirect_call, 0
	.section	.AMDGPU.csdata,"",@progbits
; Kernel info:
; codeLenInByte = 0
; TotalNumSgprs: 6
; NumVgprs: 0
; NumAgprs: 0
; TotalNumVgprs: 0
; ScratchSize: 0
; MemoryBound: 0
; FloatMode: 240
; IeeeMode: 1
; LDSByteSize: 0 bytes/workgroup (compile time only)
; SGPRBlocks: 0
; VGPRBlocks: 0
; NumSGPRsForWavesPerEU: 6
; NumVGPRsForWavesPerEU: 1
; AccumOffset: 4
; Occupancy: 8
; WaveLimiterHint : 0
; COMPUTE_PGM_RSRC2:SCRATCH_EN: 0
; COMPUTE_PGM_RSRC2:USER_SGPR: 2
; COMPUTE_PGM_RSRC2:TRAP_HANDLER: 0
; COMPUTE_PGM_RSRC2:TGID_X_EN: 1
; COMPUTE_PGM_RSRC2:TGID_Y_EN: 0
; COMPUTE_PGM_RSRC2:TGID_Z_EN: 0
; COMPUTE_PGM_RSRC2:TIDIG_COMP_CNT: 0
; COMPUTE_PGM_RSRC3_GFX90A:ACCUM_OFFSET: 0
; COMPUTE_PGM_RSRC3_GFX90A:TG_SPLIT: 0
	.section	.text._ZN7rocprim17ROCPRIM_400000_NS6detail17trampoline_kernelINS0_14default_configENS1_25partition_config_selectorILNS1_17partition_subalgoE9EllbEEZZNS1_14partition_implILS5_9ELb0ES3_jPlS8_PNS0_10empty_typeENS0_5tupleIJS8_S9_EEENSB_IJS8_SA_EEENS0_18inequality_wrapperIZN2at6native12_GLOBAL__N_124unique_dim_cuda_templateItEESt5tupleIJNSF_6TensorESK_SK_EERKSK_lbbbEUlllE0_EEPmJS9_EEE10hipError_tPvRmT3_T4_T5_T6_T7_T9_mT8_P12ihipStream_tbDpT10_ENKUlT_T0_E_clISt17integral_constantIbLb1EES1A_EEDaS15_S16_EUlS15_E_NS1_11comp_targetILNS1_3genE8ELNS1_11target_archE1030ELNS1_3gpuE2ELNS1_3repE0EEENS1_30default_config_static_selectorELNS0_4arch9wavefront6targetE1EEEvT1_,"axG",@progbits,_ZN7rocprim17ROCPRIM_400000_NS6detail17trampoline_kernelINS0_14default_configENS1_25partition_config_selectorILNS1_17partition_subalgoE9EllbEEZZNS1_14partition_implILS5_9ELb0ES3_jPlS8_PNS0_10empty_typeENS0_5tupleIJS8_S9_EEENSB_IJS8_SA_EEENS0_18inequality_wrapperIZN2at6native12_GLOBAL__N_124unique_dim_cuda_templateItEESt5tupleIJNSF_6TensorESK_SK_EERKSK_lbbbEUlllE0_EEPmJS9_EEE10hipError_tPvRmT3_T4_T5_T6_T7_T9_mT8_P12ihipStream_tbDpT10_ENKUlT_T0_E_clISt17integral_constantIbLb1EES1A_EEDaS15_S16_EUlS15_E_NS1_11comp_targetILNS1_3genE8ELNS1_11target_archE1030ELNS1_3gpuE2ELNS1_3repE0EEENS1_30default_config_static_selectorELNS0_4arch9wavefront6targetE1EEEvT1_,comdat
	.globl	_ZN7rocprim17ROCPRIM_400000_NS6detail17trampoline_kernelINS0_14default_configENS1_25partition_config_selectorILNS1_17partition_subalgoE9EllbEEZZNS1_14partition_implILS5_9ELb0ES3_jPlS8_PNS0_10empty_typeENS0_5tupleIJS8_S9_EEENSB_IJS8_SA_EEENS0_18inequality_wrapperIZN2at6native12_GLOBAL__N_124unique_dim_cuda_templateItEESt5tupleIJNSF_6TensorESK_SK_EERKSK_lbbbEUlllE0_EEPmJS9_EEE10hipError_tPvRmT3_T4_T5_T6_T7_T9_mT8_P12ihipStream_tbDpT10_ENKUlT_T0_E_clISt17integral_constantIbLb1EES1A_EEDaS15_S16_EUlS15_E_NS1_11comp_targetILNS1_3genE8ELNS1_11target_archE1030ELNS1_3gpuE2ELNS1_3repE0EEENS1_30default_config_static_selectorELNS0_4arch9wavefront6targetE1EEEvT1_ ; -- Begin function _ZN7rocprim17ROCPRIM_400000_NS6detail17trampoline_kernelINS0_14default_configENS1_25partition_config_selectorILNS1_17partition_subalgoE9EllbEEZZNS1_14partition_implILS5_9ELb0ES3_jPlS8_PNS0_10empty_typeENS0_5tupleIJS8_S9_EEENSB_IJS8_SA_EEENS0_18inequality_wrapperIZN2at6native12_GLOBAL__N_124unique_dim_cuda_templateItEESt5tupleIJNSF_6TensorESK_SK_EERKSK_lbbbEUlllE0_EEPmJS9_EEE10hipError_tPvRmT3_T4_T5_T6_T7_T9_mT8_P12ihipStream_tbDpT10_ENKUlT_T0_E_clISt17integral_constantIbLb1EES1A_EEDaS15_S16_EUlS15_E_NS1_11comp_targetILNS1_3genE8ELNS1_11target_archE1030ELNS1_3gpuE2ELNS1_3repE0EEENS1_30default_config_static_selectorELNS0_4arch9wavefront6targetE1EEEvT1_
	.p2align	8
	.type	_ZN7rocprim17ROCPRIM_400000_NS6detail17trampoline_kernelINS0_14default_configENS1_25partition_config_selectorILNS1_17partition_subalgoE9EllbEEZZNS1_14partition_implILS5_9ELb0ES3_jPlS8_PNS0_10empty_typeENS0_5tupleIJS8_S9_EEENSB_IJS8_SA_EEENS0_18inequality_wrapperIZN2at6native12_GLOBAL__N_124unique_dim_cuda_templateItEESt5tupleIJNSF_6TensorESK_SK_EERKSK_lbbbEUlllE0_EEPmJS9_EEE10hipError_tPvRmT3_T4_T5_T6_T7_T9_mT8_P12ihipStream_tbDpT10_ENKUlT_T0_E_clISt17integral_constantIbLb1EES1A_EEDaS15_S16_EUlS15_E_NS1_11comp_targetILNS1_3genE8ELNS1_11target_archE1030ELNS1_3gpuE2ELNS1_3repE0EEENS1_30default_config_static_selectorELNS0_4arch9wavefront6targetE1EEEvT1_,@function
_ZN7rocprim17ROCPRIM_400000_NS6detail17trampoline_kernelINS0_14default_configENS1_25partition_config_selectorILNS1_17partition_subalgoE9EllbEEZZNS1_14partition_implILS5_9ELb0ES3_jPlS8_PNS0_10empty_typeENS0_5tupleIJS8_S9_EEENSB_IJS8_SA_EEENS0_18inequality_wrapperIZN2at6native12_GLOBAL__N_124unique_dim_cuda_templateItEESt5tupleIJNSF_6TensorESK_SK_EERKSK_lbbbEUlllE0_EEPmJS9_EEE10hipError_tPvRmT3_T4_T5_T6_T7_T9_mT8_P12ihipStream_tbDpT10_ENKUlT_T0_E_clISt17integral_constantIbLb1EES1A_EEDaS15_S16_EUlS15_E_NS1_11comp_targetILNS1_3genE8ELNS1_11target_archE1030ELNS1_3gpuE2ELNS1_3repE0EEENS1_30default_config_static_selectorELNS0_4arch9wavefront6targetE1EEEvT1_: ; @_ZN7rocprim17ROCPRIM_400000_NS6detail17trampoline_kernelINS0_14default_configENS1_25partition_config_selectorILNS1_17partition_subalgoE9EllbEEZZNS1_14partition_implILS5_9ELb0ES3_jPlS8_PNS0_10empty_typeENS0_5tupleIJS8_S9_EEENSB_IJS8_SA_EEENS0_18inequality_wrapperIZN2at6native12_GLOBAL__N_124unique_dim_cuda_templateItEESt5tupleIJNSF_6TensorESK_SK_EERKSK_lbbbEUlllE0_EEPmJS9_EEE10hipError_tPvRmT3_T4_T5_T6_T7_T9_mT8_P12ihipStream_tbDpT10_ENKUlT_T0_E_clISt17integral_constantIbLb1EES1A_EEDaS15_S16_EUlS15_E_NS1_11comp_targetILNS1_3genE8ELNS1_11target_archE1030ELNS1_3gpuE2ELNS1_3repE0EEENS1_30default_config_static_selectorELNS0_4arch9wavefront6targetE1EEEvT1_
; %bb.0:
	.section	.rodata,"a",@progbits
	.p2align	6, 0x0
	.amdhsa_kernel _ZN7rocprim17ROCPRIM_400000_NS6detail17trampoline_kernelINS0_14default_configENS1_25partition_config_selectorILNS1_17partition_subalgoE9EllbEEZZNS1_14partition_implILS5_9ELb0ES3_jPlS8_PNS0_10empty_typeENS0_5tupleIJS8_S9_EEENSB_IJS8_SA_EEENS0_18inequality_wrapperIZN2at6native12_GLOBAL__N_124unique_dim_cuda_templateItEESt5tupleIJNSF_6TensorESK_SK_EERKSK_lbbbEUlllE0_EEPmJS9_EEE10hipError_tPvRmT3_T4_T5_T6_T7_T9_mT8_P12ihipStream_tbDpT10_ENKUlT_T0_E_clISt17integral_constantIbLb1EES1A_EEDaS15_S16_EUlS15_E_NS1_11comp_targetILNS1_3genE8ELNS1_11target_archE1030ELNS1_3gpuE2ELNS1_3repE0EEENS1_30default_config_static_selectorELNS0_4arch9wavefront6targetE1EEEvT1_
		.amdhsa_group_segment_fixed_size 0
		.amdhsa_private_segment_fixed_size 0
		.amdhsa_kernarg_size 136
		.amdhsa_user_sgpr_count 2
		.amdhsa_user_sgpr_dispatch_ptr 0
		.amdhsa_user_sgpr_queue_ptr 0
		.amdhsa_user_sgpr_kernarg_segment_ptr 1
		.amdhsa_user_sgpr_dispatch_id 0
		.amdhsa_user_sgpr_kernarg_preload_length 0
		.amdhsa_user_sgpr_kernarg_preload_offset 0
		.amdhsa_user_sgpr_private_segment_size 0
		.amdhsa_uses_dynamic_stack 0
		.amdhsa_enable_private_segment 0
		.amdhsa_system_sgpr_workgroup_id_x 1
		.amdhsa_system_sgpr_workgroup_id_y 0
		.amdhsa_system_sgpr_workgroup_id_z 0
		.amdhsa_system_sgpr_workgroup_info 0
		.amdhsa_system_vgpr_workitem_id 0
		.amdhsa_next_free_vgpr 1
		.amdhsa_next_free_sgpr 0
		.amdhsa_accum_offset 4
		.amdhsa_reserve_vcc 0
		.amdhsa_float_round_mode_32 0
		.amdhsa_float_round_mode_16_64 0
		.amdhsa_float_denorm_mode_32 3
		.amdhsa_float_denorm_mode_16_64 3
		.amdhsa_dx10_clamp 1
		.amdhsa_ieee_mode 1
		.amdhsa_fp16_overflow 0
		.amdhsa_tg_split 0
		.amdhsa_exception_fp_ieee_invalid_op 0
		.amdhsa_exception_fp_denorm_src 0
		.amdhsa_exception_fp_ieee_div_zero 0
		.amdhsa_exception_fp_ieee_overflow 0
		.amdhsa_exception_fp_ieee_underflow 0
		.amdhsa_exception_fp_ieee_inexact 0
		.amdhsa_exception_int_div_zero 0
	.end_amdhsa_kernel
	.section	.text._ZN7rocprim17ROCPRIM_400000_NS6detail17trampoline_kernelINS0_14default_configENS1_25partition_config_selectorILNS1_17partition_subalgoE9EllbEEZZNS1_14partition_implILS5_9ELb0ES3_jPlS8_PNS0_10empty_typeENS0_5tupleIJS8_S9_EEENSB_IJS8_SA_EEENS0_18inequality_wrapperIZN2at6native12_GLOBAL__N_124unique_dim_cuda_templateItEESt5tupleIJNSF_6TensorESK_SK_EERKSK_lbbbEUlllE0_EEPmJS9_EEE10hipError_tPvRmT3_T4_T5_T6_T7_T9_mT8_P12ihipStream_tbDpT10_ENKUlT_T0_E_clISt17integral_constantIbLb1EES1A_EEDaS15_S16_EUlS15_E_NS1_11comp_targetILNS1_3genE8ELNS1_11target_archE1030ELNS1_3gpuE2ELNS1_3repE0EEENS1_30default_config_static_selectorELNS0_4arch9wavefront6targetE1EEEvT1_,"axG",@progbits,_ZN7rocprim17ROCPRIM_400000_NS6detail17trampoline_kernelINS0_14default_configENS1_25partition_config_selectorILNS1_17partition_subalgoE9EllbEEZZNS1_14partition_implILS5_9ELb0ES3_jPlS8_PNS0_10empty_typeENS0_5tupleIJS8_S9_EEENSB_IJS8_SA_EEENS0_18inequality_wrapperIZN2at6native12_GLOBAL__N_124unique_dim_cuda_templateItEESt5tupleIJNSF_6TensorESK_SK_EERKSK_lbbbEUlllE0_EEPmJS9_EEE10hipError_tPvRmT3_T4_T5_T6_T7_T9_mT8_P12ihipStream_tbDpT10_ENKUlT_T0_E_clISt17integral_constantIbLb1EES1A_EEDaS15_S16_EUlS15_E_NS1_11comp_targetILNS1_3genE8ELNS1_11target_archE1030ELNS1_3gpuE2ELNS1_3repE0EEENS1_30default_config_static_selectorELNS0_4arch9wavefront6targetE1EEEvT1_,comdat
.Lfunc_end1466:
	.size	_ZN7rocprim17ROCPRIM_400000_NS6detail17trampoline_kernelINS0_14default_configENS1_25partition_config_selectorILNS1_17partition_subalgoE9EllbEEZZNS1_14partition_implILS5_9ELb0ES3_jPlS8_PNS0_10empty_typeENS0_5tupleIJS8_S9_EEENSB_IJS8_SA_EEENS0_18inequality_wrapperIZN2at6native12_GLOBAL__N_124unique_dim_cuda_templateItEESt5tupleIJNSF_6TensorESK_SK_EERKSK_lbbbEUlllE0_EEPmJS9_EEE10hipError_tPvRmT3_T4_T5_T6_T7_T9_mT8_P12ihipStream_tbDpT10_ENKUlT_T0_E_clISt17integral_constantIbLb1EES1A_EEDaS15_S16_EUlS15_E_NS1_11comp_targetILNS1_3genE8ELNS1_11target_archE1030ELNS1_3gpuE2ELNS1_3repE0EEENS1_30default_config_static_selectorELNS0_4arch9wavefront6targetE1EEEvT1_, .Lfunc_end1466-_ZN7rocprim17ROCPRIM_400000_NS6detail17trampoline_kernelINS0_14default_configENS1_25partition_config_selectorILNS1_17partition_subalgoE9EllbEEZZNS1_14partition_implILS5_9ELb0ES3_jPlS8_PNS0_10empty_typeENS0_5tupleIJS8_S9_EEENSB_IJS8_SA_EEENS0_18inequality_wrapperIZN2at6native12_GLOBAL__N_124unique_dim_cuda_templateItEESt5tupleIJNSF_6TensorESK_SK_EERKSK_lbbbEUlllE0_EEPmJS9_EEE10hipError_tPvRmT3_T4_T5_T6_T7_T9_mT8_P12ihipStream_tbDpT10_ENKUlT_T0_E_clISt17integral_constantIbLb1EES1A_EEDaS15_S16_EUlS15_E_NS1_11comp_targetILNS1_3genE8ELNS1_11target_archE1030ELNS1_3gpuE2ELNS1_3repE0EEENS1_30default_config_static_selectorELNS0_4arch9wavefront6targetE1EEEvT1_
                                        ; -- End function
	.set _ZN7rocprim17ROCPRIM_400000_NS6detail17trampoline_kernelINS0_14default_configENS1_25partition_config_selectorILNS1_17partition_subalgoE9EllbEEZZNS1_14partition_implILS5_9ELb0ES3_jPlS8_PNS0_10empty_typeENS0_5tupleIJS8_S9_EEENSB_IJS8_SA_EEENS0_18inequality_wrapperIZN2at6native12_GLOBAL__N_124unique_dim_cuda_templateItEESt5tupleIJNSF_6TensorESK_SK_EERKSK_lbbbEUlllE0_EEPmJS9_EEE10hipError_tPvRmT3_T4_T5_T6_T7_T9_mT8_P12ihipStream_tbDpT10_ENKUlT_T0_E_clISt17integral_constantIbLb1EES1A_EEDaS15_S16_EUlS15_E_NS1_11comp_targetILNS1_3genE8ELNS1_11target_archE1030ELNS1_3gpuE2ELNS1_3repE0EEENS1_30default_config_static_selectorELNS0_4arch9wavefront6targetE1EEEvT1_.num_vgpr, 0
	.set _ZN7rocprim17ROCPRIM_400000_NS6detail17trampoline_kernelINS0_14default_configENS1_25partition_config_selectorILNS1_17partition_subalgoE9EllbEEZZNS1_14partition_implILS5_9ELb0ES3_jPlS8_PNS0_10empty_typeENS0_5tupleIJS8_S9_EEENSB_IJS8_SA_EEENS0_18inequality_wrapperIZN2at6native12_GLOBAL__N_124unique_dim_cuda_templateItEESt5tupleIJNSF_6TensorESK_SK_EERKSK_lbbbEUlllE0_EEPmJS9_EEE10hipError_tPvRmT3_T4_T5_T6_T7_T9_mT8_P12ihipStream_tbDpT10_ENKUlT_T0_E_clISt17integral_constantIbLb1EES1A_EEDaS15_S16_EUlS15_E_NS1_11comp_targetILNS1_3genE8ELNS1_11target_archE1030ELNS1_3gpuE2ELNS1_3repE0EEENS1_30default_config_static_selectorELNS0_4arch9wavefront6targetE1EEEvT1_.num_agpr, 0
	.set _ZN7rocprim17ROCPRIM_400000_NS6detail17trampoline_kernelINS0_14default_configENS1_25partition_config_selectorILNS1_17partition_subalgoE9EllbEEZZNS1_14partition_implILS5_9ELb0ES3_jPlS8_PNS0_10empty_typeENS0_5tupleIJS8_S9_EEENSB_IJS8_SA_EEENS0_18inequality_wrapperIZN2at6native12_GLOBAL__N_124unique_dim_cuda_templateItEESt5tupleIJNSF_6TensorESK_SK_EERKSK_lbbbEUlllE0_EEPmJS9_EEE10hipError_tPvRmT3_T4_T5_T6_T7_T9_mT8_P12ihipStream_tbDpT10_ENKUlT_T0_E_clISt17integral_constantIbLb1EES1A_EEDaS15_S16_EUlS15_E_NS1_11comp_targetILNS1_3genE8ELNS1_11target_archE1030ELNS1_3gpuE2ELNS1_3repE0EEENS1_30default_config_static_selectorELNS0_4arch9wavefront6targetE1EEEvT1_.numbered_sgpr, 0
	.set _ZN7rocprim17ROCPRIM_400000_NS6detail17trampoline_kernelINS0_14default_configENS1_25partition_config_selectorILNS1_17partition_subalgoE9EllbEEZZNS1_14partition_implILS5_9ELb0ES3_jPlS8_PNS0_10empty_typeENS0_5tupleIJS8_S9_EEENSB_IJS8_SA_EEENS0_18inequality_wrapperIZN2at6native12_GLOBAL__N_124unique_dim_cuda_templateItEESt5tupleIJNSF_6TensorESK_SK_EERKSK_lbbbEUlllE0_EEPmJS9_EEE10hipError_tPvRmT3_T4_T5_T6_T7_T9_mT8_P12ihipStream_tbDpT10_ENKUlT_T0_E_clISt17integral_constantIbLb1EES1A_EEDaS15_S16_EUlS15_E_NS1_11comp_targetILNS1_3genE8ELNS1_11target_archE1030ELNS1_3gpuE2ELNS1_3repE0EEENS1_30default_config_static_selectorELNS0_4arch9wavefront6targetE1EEEvT1_.num_named_barrier, 0
	.set _ZN7rocprim17ROCPRIM_400000_NS6detail17trampoline_kernelINS0_14default_configENS1_25partition_config_selectorILNS1_17partition_subalgoE9EllbEEZZNS1_14partition_implILS5_9ELb0ES3_jPlS8_PNS0_10empty_typeENS0_5tupleIJS8_S9_EEENSB_IJS8_SA_EEENS0_18inequality_wrapperIZN2at6native12_GLOBAL__N_124unique_dim_cuda_templateItEESt5tupleIJNSF_6TensorESK_SK_EERKSK_lbbbEUlllE0_EEPmJS9_EEE10hipError_tPvRmT3_T4_T5_T6_T7_T9_mT8_P12ihipStream_tbDpT10_ENKUlT_T0_E_clISt17integral_constantIbLb1EES1A_EEDaS15_S16_EUlS15_E_NS1_11comp_targetILNS1_3genE8ELNS1_11target_archE1030ELNS1_3gpuE2ELNS1_3repE0EEENS1_30default_config_static_selectorELNS0_4arch9wavefront6targetE1EEEvT1_.private_seg_size, 0
	.set _ZN7rocprim17ROCPRIM_400000_NS6detail17trampoline_kernelINS0_14default_configENS1_25partition_config_selectorILNS1_17partition_subalgoE9EllbEEZZNS1_14partition_implILS5_9ELb0ES3_jPlS8_PNS0_10empty_typeENS0_5tupleIJS8_S9_EEENSB_IJS8_SA_EEENS0_18inequality_wrapperIZN2at6native12_GLOBAL__N_124unique_dim_cuda_templateItEESt5tupleIJNSF_6TensorESK_SK_EERKSK_lbbbEUlllE0_EEPmJS9_EEE10hipError_tPvRmT3_T4_T5_T6_T7_T9_mT8_P12ihipStream_tbDpT10_ENKUlT_T0_E_clISt17integral_constantIbLb1EES1A_EEDaS15_S16_EUlS15_E_NS1_11comp_targetILNS1_3genE8ELNS1_11target_archE1030ELNS1_3gpuE2ELNS1_3repE0EEENS1_30default_config_static_selectorELNS0_4arch9wavefront6targetE1EEEvT1_.uses_vcc, 0
	.set _ZN7rocprim17ROCPRIM_400000_NS6detail17trampoline_kernelINS0_14default_configENS1_25partition_config_selectorILNS1_17partition_subalgoE9EllbEEZZNS1_14partition_implILS5_9ELb0ES3_jPlS8_PNS0_10empty_typeENS0_5tupleIJS8_S9_EEENSB_IJS8_SA_EEENS0_18inequality_wrapperIZN2at6native12_GLOBAL__N_124unique_dim_cuda_templateItEESt5tupleIJNSF_6TensorESK_SK_EERKSK_lbbbEUlllE0_EEPmJS9_EEE10hipError_tPvRmT3_T4_T5_T6_T7_T9_mT8_P12ihipStream_tbDpT10_ENKUlT_T0_E_clISt17integral_constantIbLb1EES1A_EEDaS15_S16_EUlS15_E_NS1_11comp_targetILNS1_3genE8ELNS1_11target_archE1030ELNS1_3gpuE2ELNS1_3repE0EEENS1_30default_config_static_selectorELNS0_4arch9wavefront6targetE1EEEvT1_.uses_flat_scratch, 0
	.set _ZN7rocprim17ROCPRIM_400000_NS6detail17trampoline_kernelINS0_14default_configENS1_25partition_config_selectorILNS1_17partition_subalgoE9EllbEEZZNS1_14partition_implILS5_9ELb0ES3_jPlS8_PNS0_10empty_typeENS0_5tupleIJS8_S9_EEENSB_IJS8_SA_EEENS0_18inequality_wrapperIZN2at6native12_GLOBAL__N_124unique_dim_cuda_templateItEESt5tupleIJNSF_6TensorESK_SK_EERKSK_lbbbEUlllE0_EEPmJS9_EEE10hipError_tPvRmT3_T4_T5_T6_T7_T9_mT8_P12ihipStream_tbDpT10_ENKUlT_T0_E_clISt17integral_constantIbLb1EES1A_EEDaS15_S16_EUlS15_E_NS1_11comp_targetILNS1_3genE8ELNS1_11target_archE1030ELNS1_3gpuE2ELNS1_3repE0EEENS1_30default_config_static_selectorELNS0_4arch9wavefront6targetE1EEEvT1_.has_dyn_sized_stack, 0
	.set _ZN7rocprim17ROCPRIM_400000_NS6detail17trampoline_kernelINS0_14default_configENS1_25partition_config_selectorILNS1_17partition_subalgoE9EllbEEZZNS1_14partition_implILS5_9ELb0ES3_jPlS8_PNS0_10empty_typeENS0_5tupleIJS8_S9_EEENSB_IJS8_SA_EEENS0_18inequality_wrapperIZN2at6native12_GLOBAL__N_124unique_dim_cuda_templateItEESt5tupleIJNSF_6TensorESK_SK_EERKSK_lbbbEUlllE0_EEPmJS9_EEE10hipError_tPvRmT3_T4_T5_T6_T7_T9_mT8_P12ihipStream_tbDpT10_ENKUlT_T0_E_clISt17integral_constantIbLb1EES1A_EEDaS15_S16_EUlS15_E_NS1_11comp_targetILNS1_3genE8ELNS1_11target_archE1030ELNS1_3gpuE2ELNS1_3repE0EEENS1_30default_config_static_selectorELNS0_4arch9wavefront6targetE1EEEvT1_.has_recursion, 0
	.set _ZN7rocprim17ROCPRIM_400000_NS6detail17trampoline_kernelINS0_14default_configENS1_25partition_config_selectorILNS1_17partition_subalgoE9EllbEEZZNS1_14partition_implILS5_9ELb0ES3_jPlS8_PNS0_10empty_typeENS0_5tupleIJS8_S9_EEENSB_IJS8_SA_EEENS0_18inequality_wrapperIZN2at6native12_GLOBAL__N_124unique_dim_cuda_templateItEESt5tupleIJNSF_6TensorESK_SK_EERKSK_lbbbEUlllE0_EEPmJS9_EEE10hipError_tPvRmT3_T4_T5_T6_T7_T9_mT8_P12ihipStream_tbDpT10_ENKUlT_T0_E_clISt17integral_constantIbLb1EES1A_EEDaS15_S16_EUlS15_E_NS1_11comp_targetILNS1_3genE8ELNS1_11target_archE1030ELNS1_3gpuE2ELNS1_3repE0EEENS1_30default_config_static_selectorELNS0_4arch9wavefront6targetE1EEEvT1_.has_indirect_call, 0
	.section	.AMDGPU.csdata,"",@progbits
; Kernel info:
; codeLenInByte = 0
; TotalNumSgprs: 6
; NumVgprs: 0
; NumAgprs: 0
; TotalNumVgprs: 0
; ScratchSize: 0
; MemoryBound: 0
; FloatMode: 240
; IeeeMode: 1
; LDSByteSize: 0 bytes/workgroup (compile time only)
; SGPRBlocks: 0
; VGPRBlocks: 0
; NumSGPRsForWavesPerEU: 6
; NumVGPRsForWavesPerEU: 1
; AccumOffset: 4
; Occupancy: 8
; WaveLimiterHint : 0
; COMPUTE_PGM_RSRC2:SCRATCH_EN: 0
; COMPUTE_PGM_RSRC2:USER_SGPR: 2
; COMPUTE_PGM_RSRC2:TRAP_HANDLER: 0
; COMPUTE_PGM_RSRC2:TGID_X_EN: 1
; COMPUTE_PGM_RSRC2:TGID_Y_EN: 0
; COMPUTE_PGM_RSRC2:TGID_Z_EN: 0
; COMPUTE_PGM_RSRC2:TIDIG_COMP_CNT: 0
; COMPUTE_PGM_RSRC3_GFX90A:ACCUM_OFFSET: 0
; COMPUTE_PGM_RSRC3_GFX90A:TG_SPLIT: 0
	.section	.text._ZN7rocprim17ROCPRIM_400000_NS6detail17trampoline_kernelINS0_14default_configENS1_25partition_config_selectorILNS1_17partition_subalgoE9EllbEEZZNS1_14partition_implILS5_9ELb0ES3_jPlS8_PNS0_10empty_typeENS0_5tupleIJS8_S9_EEENSB_IJS8_SA_EEENS0_18inequality_wrapperIZN2at6native12_GLOBAL__N_124unique_dim_cuda_templateItEESt5tupleIJNSF_6TensorESK_SK_EERKSK_lbbbEUlllE0_EEPmJS9_EEE10hipError_tPvRmT3_T4_T5_T6_T7_T9_mT8_P12ihipStream_tbDpT10_ENKUlT_T0_E_clISt17integral_constantIbLb1EES19_IbLb0EEEEDaS15_S16_EUlS15_E_NS1_11comp_targetILNS1_3genE0ELNS1_11target_archE4294967295ELNS1_3gpuE0ELNS1_3repE0EEENS1_30default_config_static_selectorELNS0_4arch9wavefront6targetE1EEEvT1_,"axG",@progbits,_ZN7rocprim17ROCPRIM_400000_NS6detail17trampoline_kernelINS0_14default_configENS1_25partition_config_selectorILNS1_17partition_subalgoE9EllbEEZZNS1_14partition_implILS5_9ELb0ES3_jPlS8_PNS0_10empty_typeENS0_5tupleIJS8_S9_EEENSB_IJS8_SA_EEENS0_18inequality_wrapperIZN2at6native12_GLOBAL__N_124unique_dim_cuda_templateItEESt5tupleIJNSF_6TensorESK_SK_EERKSK_lbbbEUlllE0_EEPmJS9_EEE10hipError_tPvRmT3_T4_T5_T6_T7_T9_mT8_P12ihipStream_tbDpT10_ENKUlT_T0_E_clISt17integral_constantIbLb1EES19_IbLb0EEEEDaS15_S16_EUlS15_E_NS1_11comp_targetILNS1_3genE0ELNS1_11target_archE4294967295ELNS1_3gpuE0ELNS1_3repE0EEENS1_30default_config_static_selectorELNS0_4arch9wavefront6targetE1EEEvT1_,comdat
	.globl	_ZN7rocprim17ROCPRIM_400000_NS6detail17trampoline_kernelINS0_14default_configENS1_25partition_config_selectorILNS1_17partition_subalgoE9EllbEEZZNS1_14partition_implILS5_9ELb0ES3_jPlS8_PNS0_10empty_typeENS0_5tupleIJS8_S9_EEENSB_IJS8_SA_EEENS0_18inequality_wrapperIZN2at6native12_GLOBAL__N_124unique_dim_cuda_templateItEESt5tupleIJNSF_6TensorESK_SK_EERKSK_lbbbEUlllE0_EEPmJS9_EEE10hipError_tPvRmT3_T4_T5_T6_T7_T9_mT8_P12ihipStream_tbDpT10_ENKUlT_T0_E_clISt17integral_constantIbLb1EES19_IbLb0EEEEDaS15_S16_EUlS15_E_NS1_11comp_targetILNS1_3genE0ELNS1_11target_archE4294967295ELNS1_3gpuE0ELNS1_3repE0EEENS1_30default_config_static_selectorELNS0_4arch9wavefront6targetE1EEEvT1_ ; -- Begin function _ZN7rocprim17ROCPRIM_400000_NS6detail17trampoline_kernelINS0_14default_configENS1_25partition_config_selectorILNS1_17partition_subalgoE9EllbEEZZNS1_14partition_implILS5_9ELb0ES3_jPlS8_PNS0_10empty_typeENS0_5tupleIJS8_S9_EEENSB_IJS8_SA_EEENS0_18inequality_wrapperIZN2at6native12_GLOBAL__N_124unique_dim_cuda_templateItEESt5tupleIJNSF_6TensorESK_SK_EERKSK_lbbbEUlllE0_EEPmJS9_EEE10hipError_tPvRmT3_T4_T5_T6_T7_T9_mT8_P12ihipStream_tbDpT10_ENKUlT_T0_E_clISt17integral_constantIbLb1EES19_IbLb0EEEEDaS15_S16_EUlS15_E_NS1_11comp_targetILNS1_3genE0ELNS1_11target_archE4294967295ELNS1_3gpuE0ELNS1_3repE0EEENS1_30default_config_static_selectorELNS0_4arch9wavefront6targetE1EEEvT1_
	.p2align	8
	.type	_ZN7rocprim17ROCPRIM_400000_NS6detail17trampoline_kernelINS0_14default_configENS1_25partition_config_selectorILNS1_17partition_subalgoE9EllbEEZZNS1_14partition_implILS5_9ELb0ES3_jPlS8_PNS0_10empty_typeENS0_5tupleIJS8_S9_EEENSB_IJS8_SA_EEENS0_18inequality_wrapperIZN2at6native12_GLOBAL__N_124unique_dim_cuda_templateItEESt5tupleIJNSF_6TensorESK_SK_EERKSK_lbbbEUlllE0_EEPmJS9_EEE10hipError_tPvRmT3_T4_T5_T6_T7_T9_mT8_P12ihipStream_tbDpT10_ENKUlT_T0_E_clISt17integral_constantIbLb1EES19_IbLb0EEEEDaS15_S16_EUlS15_E_NS1_11comp_targetILNS1_3genE0ELNS1_11target_archE4294967295ELNS1_3gpuE0ELNS1_3repE0EEENS1_30default_config_static_selectorELNS0_4arch9wavefront6targetE1EEEvT1_,@function
_ZN7rocprim17ROCPRIM_400000_NS6detail17trampoline_kernelINS0_14default_configENS1_25partition_config_selectorILNS1_17partition_subalgoE9EllbEEZZNS1_14partition_implILS5_9ELb0ES3_jPlS8_PNS0_10empty_typeENS0_5tupleIJS8_S9_EEENSB_IJS8_SA_EEENS0_18inequality_wrapperIZN2at6native12_GLOBAL__N_124unique_dim_cuda_templateItEESt5tupleIJNSF_6TensorESK_SK_EERKSK_lbbbEUlllE0_EEPmJS9_EEE10hipError_tPvRmT3_T4_T5_T6_T7_T9_mT8_P12ihipStream_tbDpT10_ENKUlT_T0_E_clISt17integral_constantIbLb1EES19_IbLb0EEEEDaS15_S16_EUlS15_E_NS1_11comp_targetILNS1_3genE0ELNS1_11target_archE4294967295ELNS1_3gpuE0ELNS1_3repE0EEENS1_30default_config_static_selectorELNS0_4arch9wavefront6targetE1EEEvT1_: ; @_ZN7rocprim17ROCPRIM_400000_NS6detail17trampoline_kernelINS0_14default_configENS1_25partition_config_selectorILNS1_17partition_subalgoE9EllbEEZZNS1_14partition_implILS5_9ELb0ES3_jPlS8_PNS0_10empty_typeENS0_5tupleIJS8_S9_EEENSB_IJS8_SA_EEENS0_18inequality_wrapperIZN2at6native12_GLOBAL__N_124unique_dim_cuda_templateItEESt5tupleIJNSF_6TensorESK_SK_EERKSK_lbbbEUlllE0_EEPmJS9_EEE10hipError_tPvRmT3_T4_T5_T6_T7_T9_mT8_P12ihipStream_tbDpT10_ENKUlT_T0_E_clISt17integral_constantIbLb1EES19_IbLb0EEEEDaS15_S16_EUlS15_E_NS1_11comp_targetILNS1_3genE0ELNS1_11target_archE4294967295ELNS1_3gpuE0ELNS1_3repE0EEENS1_30default_config_static_selectorELNS0_4arch9wavefront6targetE1EEEvT1_
; %bb.0:
	s_endpgm
	.section	.rodata,"a",@progbits
	.p2align	6, 0x0
	.amdhsa_kernel _ZN7rocprim17ROCPRIM_400000_NS6detail17trampoline_kernelINS0_14default_configENS1_25partition_config_selectorILNS1_17partition_subalgoE9EllbEEZZNS1_14partition_implILS5_9ELb0ES3_jPlS8_PNS0_10empty_typeENS0_5tupleIJS8_S9_EEENSB_IJS8_SA_EEENS0_18inequality_wrapperIZN2at6native12_GLOBAL__N_124unique_dim_cuda_templateItEESt5tupleIJNSF_6TensorESK_SK_EERKSK_lbbbEUlllE0_EEPmJS9_EEE10hipError_tPvRmT3_T4_T5_T6_T7_T9_mT8_P12ihipStream_tbDpT10_ENKUlT_T0_E_clISt17integral_constantIbLb1EES19_IbLb0EEEEDaS15_S16_EUlS15_E_NS1_11comp_targetILNS1_3genE0ELNS1_11target_archE4294967295ELNS1_3gpuE0ELNS1_3repE0EEENS1_30default_config_static_selectorELNS0_4arch9wavefront6targetE1EEEvT1_
		.amdhsa_group_segment_fixed_size 0
		.amdhsa_private_segment_fixed_size 0
		.amdhsa_kernarg_size 120
		.amdhsa_user_sgpr_count 2
		.amdhsa_user_sgpr_dispatch_ptr 0
		.amdhsa_user_sgpr_queue_ptr 0
		.amdhsa_user_sgpr_kernarg_segment_ptr 1
		.amdhsa_user_sgpr_dispatch_id 0
		.amdhsa_user_sgpr_kernarg_preload_length 0
		.amdhsa_user_sgpr_kernarg_preload_offset 0
		.amdhsa_user_sgpr_private_segment_size 0
		.amdhsa_uses_dynamic_stack 0
		.amdhsa_enable_private_segment 0
		.amdhsa_system_sgpr_workgroup_id_x 1
		.amdhsa_system_sgpr_workgroup_id_y 0
		.amdhsa_system_sgpr_workgroup_id_z 0
		.amdhsa_system_sgpr_workgroup_info 0
		.amdhsa_system_vgpr_workitem_id 0
		.amdhsa_next_free_vgpr 1
		.amdhsa_next_free_sgpr 0
		.amdhsa_accum_offset 4
		.amdhsa_reserve_vcc 0
		.amdhsa_float_round_mode_32 0
		.amdhsa_float_round_mode_16_64 0
		.amdhsa_float_denorm_mode_32 3
		.amdhsa_float_denorm_mode_16_64 3
		.amdhsa_dx10_clamp 1
		.amdhsa_ieee_mode 1
		.amdhsa_fp16_overflow 0
		.amdhsa_tg_split 0
		.amdhsa_exception_fp_ieee_invalid_op 0
		.amdhsa_exception_fp_denorm_src 0
		.amdhsa_exception_fp_ieee_div_zero 0
		.amdhsa_exception_fp_ieee_overflow 0
		.amdhsa_exception_fp_ieee_underflow 0
		.amdhsa_exception_fp_ieee_inexact 0
		.amdhsa_exception_int_div_zero 0
	.end_amdhsa_kernel
	.section	.text._ZN7rocprim17ROCPRIM_400000_NS6detail17trampoline_kernelINS0_14default_configENS1_25partition_config_selectorILNS1_17partition_subalgoE9EllbEEZZNS1_14partition_implILS5_9ELb0ES3_jPlS8_PNS0_10empty_typeENS0_5tupleIJS8_S9_EEENSB_IJS8_SA_EEENS0_18inequality_wrapperIZN2at6native12_GLOBAL__N_124unique_dim_cuda_templateItEESt5tupleIJNSF_6TensorESK_SK_EERKSK_lbbbEUlllE0_EEPmJS9_EEE10hipError_tPvRmT3_T4_T5_T6_T7_T9_mT8_P12ihipStream_tbDpT10_ENKUlT_T0_E_clISt17integral_constantIbLb1EES19_IbLb0EEEEDaS15_S16_EUlS15_E_NS1_11comp_targetILNS1_3genE0ELNS1_11target_archE4294967295ELNS1_3gpuE0ELNS1_3repE0EEENS1_30default_config_static_selectorELNS0_4arch9wavefront6targetE1EEEvT1_,"axG",@progbits,_ZN7rocprim17ROCPRIM_400000_NS6detail17trampoline_kernelINS0_14default_configENS1_25partition_config_selectorILNS1_17partition_subalgoE9EllbEEZZNS1_14partition_implILS5_9ELb0ES3_jPlS8_PNS0_10empty_typeENS0_5tupleIJS8_S9_EEENSB_IJS8_SA_EEENS0_18inequality_wrapperIZN2at6native12_GLOBAL__N_124unique_dim_cuda_templateItEESt5tupleIJNSF_6TensorESK_SK_EERKSK_lbbbEUlllE0_EEPmJS9_EEE10hipError_tPvRmT3_T4_T5_T6_T7_T9_mT8_P12ihipStream_tbDpT10_ENKUlT_T0_E_clISt17integral_constantIbLb1EES19_IbLb0EEEEDaS15_S16_EUlS15_E_NS1_11comp_targetILNS1_3genE0ELNS1_11target_archE4294967295ELNS1_3gpuE0ELNS1_3repE0EEENS1_30default_config_static_selectorELNS0_4arch9wavefront6targetE1EEEvT1_,comdat
.Lfunc_end1467:
	.size	_ZN7rocprim17ROCPRIM_400000_NS6detail17trampoline_kernelINS0_14default_configENS1_25partition_config_selectorILNS1_17partition_subalgoE9EllbEEZZNS1_14partition_implILS5_9ELb0ES3_jPlS8_PNS0_10empty_typeENS0_5tupleIJS8_S9_EEENSB_IJS8_SA_EEENS0_18inequality_wrapperIZN2at6native12_GLOBAL__N_124unique_dim_cuda_templateItEESt5tupleIJNSF_6TensorESK_SK_EERKSK_lbbbEUlllE0_EEPmJS9_EEE10hipError_tPvRmT3_T4_T5_T6_T7_T9_mT8_P12ihipStream_tbDpT10_ENKUlT_T0_E_clISt17integral_constantIbLb1EES19_IbLb0EEEEDaS15_S16_EUlS15_E_NS1_11comp_targetILNS1_3genE0ELNS1_11target_archE4294967295ELNS1_3gpuE0ELNS1_3repE0EEENS1_30default_config_static_selectorELNS0_4arch9wavefront6targetE1EEEvT1_, .Lfunc_end1467-_ZN7rocprim17ROCPRIM_400000_NS6detail17trampoline_kernelINS0_14default_configENS1_25partition_config_selectorILNS1_17partition_subalgoE9EllbEEZZNS1_14partition_implILS5_9ELb0ES3_jPlS8_PNS0_10empty_typeENS0_5tupleIJS8_S9_EEENSB_IJS8_SA_EEENS0_18inequality_wrapperIZN2at6native12_GLOBAL__N_124unique_dim_cuda_templateItEESt5tupleIJNSF_6TensorESK_SK_EERKSK_lbbbEUlllE0_EEPmJS9_EEE10hipError_tPvRmT3_T4_T5_T6_T7_T9_mT8_P12ihipStream_tbDpT10_ENKUlT_T0_E_clISt17integral_constantIbLb1EES19_IbLb0EEEEDaS15_S16_EUlS15_E_NS1_11comp_targetILNS1_3genE0ELNS1_11target_archE4294967295ELNS1_3gpuE0ELNS1_3repE0EEENS1_30default_config_static_selectorELNS0_4arch9wavefront6targetE1EEEvT1_
                                        ; -- End function
	.set _ZN7rocprim17ROCPRIM_400000_NS6detail17trampoline_kernelINS0_14default_configENS1_25partition_config_selectorILNS1_17partition_subalgoE9EllbEEZZNS1_14partition_implILS5_9ELb0ES3_jPlS8_PNS0_10empty_typeENS0_5tupleIJS8_S9_EEENSB_IJS8_SA_EEENS0_18inequality_wrapperIZN2at6native12_GLOBAL__N_124unique_dim_cuda_templateItEESt5tupleIJNSF_6TensorESK_SK_EERKSK_lbbbEUlllE0_EEPmJS9_EEE10hipError_tPvRmT3_T4_T5_T6_T7_T9_mT8_P12ihipStream_tbDpT10_ENKUlT_T0_E_clISt17integral_constantIbLb1EES19_IbLb0EEEEDaS15_S16_EUlS15_E_NS1_11comp_targetILNS1_3genE0ELNS1_11target_archE4294967295ELNS1_3gpuE0ELNS1_3repE0EEENS1_30default_config_static_selectorELNS0_4arch9wavefront6targetE1EEEvT1_.num_vgpr, 0
	.set _ZN7rocprim17ROCPRIM_400000_NS6detail17trampoline_kernelINS0_14default_configENS1_25partition_config_selectorILNS1_17partition_subalgoE9EllbEEZZNS1_14partition_implILS5_9ELb0ES3_jPlS8_PNS0_10empty_typeENS0_5tupleIJS8_S9_EEENSB_IJS8_SA_EEENS0_18inequality_wrapperIZN2at6native12_GLOBAL__N_124unique_dim_cuda_templateItEESt5tupleIJNSF_6TensorESK_SK_EERKSK_lbbbEUlllE0_EEPmJS9_EEE10hipError_tPvRmT3_T4_T5_T6_T7_T9_mT8_P12ihipStream_tbDpT10_ENKUlT_T0_E_clISt17integral_constantIbLb1EES19_IbLb0EEEEDaS15_S16_EUlS15_E_NS1_11comp_targetILNS1_3genE0ELNS1_11target_archE4294967295ELNS1_3gpuE0ELNS1_3repE0EEENS1_30default_config_static_selectorELNS0_4arch9wavefront6targetE1EEEvT1_.num_agpr, 0
	.set _ZN7rocprim17ROCPRIM_400000_NS6detail17trampoline_kernelINS0_14default_configENS1_25partition_config_selectorILNS1_17partition_subalgoE9EllbEEZZNS1_14partition_implILS5_9ELb0ES3_jPlS8_PNS0_10empty_typeENS0_5tupleIJS8_S9_EEENSB_IJS8_SA_EEENS0_18inequality_wrapperIZN2at6native12_GLOBAL__N_124unique_dim_cuda_templateItEESt5tupleIJNSF_6TensorESK_SK_EERKSK_lbbbEUlllE0_EEPmJS9_EEE10hipError_tPvRmT3_T4_T5_T6_T7_T9_mT8_P12ihipStream_tbDpT10_ENKUlT_T0_E_clISt17integral_constantIbLb1EES19_IbLb0EEEEDaS15_S16_EUlS15_E_NS1_11comp_targetILNS1_3genE0ELNS1_11target_archE4294967295ELNS1_3gpuE0ELNS1_3repE0EEENS1_30default_config_static_selectorELNS0_4arch9wavefront6targetE1EEEvT1_.numbered_sgpr, 0
	.set _ZN7rocprim17ROCPRIM_400000_NS6detail17trampoline_kernelINS0_14default_configENS1_25partition_config_selectorILNS1_17partition_subalgoE9EllbEEZZNS1_14partition_implILS5_9ELb0ES3_jPlS8_PNS0_10empty_typeENS0_5tupleIJS8_S9_EEENSB_IJS8_SA_EEENS0_18inequality_wrapperIZN2at6native12_GLOBAL__N_124unique_dim_cuda_templateItEESt5tupleIJNSF_6TensorESK_SK_EERKSK_lbbbEUlllE0_EEPmJS9_EEE10hipError_tPvRmT3_T4_T5_T6_T7_T9_mT8_P12ihipStream_tbDpT10_ENKUlT_T0_E_clISt17integral_constantIbLb1EES19_IbLb0EEEEDaS15_S16_EUlS15_E_NS1_11comp_targetILNS1_3genE0ELNS1_11target_archE4294967295ELNS1_3gpuE0ELNS1_3repE0EEENS1_30default_config_static_selectorELNS0_4arch9wavefront6targetE1EEEvT1_.num_named_barrier, 0
	.set _ZN7rocprim17ROCPRIM_400000_NS6detail17trampoline_kernelINS0_14default_configENS1_25partition_config_selectorILNS1_17partition_subalgoE9EllbEEZZNS1_14partition_implILS5_9ELb0ES3_jPlS8_PNS0_10empty_typeENS0_5tupleIJS8_S9_EEENSB_IJS8_SA_EEENS0_18inequality_wrapperIZN2at6native12_GLOBAL__N_124unique_dim_cuda_templateItEESt5tupleIJNSF_6TensorESK_SK_EERKSK_lbbbEUlllE0_EEPmJS9_EEE10hipError_tPvRmT3_T4_T5_T6_T7_T9_mT8_P12ihipStream_tbDpT10_ENKUlT_T0_E_clISt17integral_constantIbLb1EES19_IbLb0EEEEDaS15_S16_EUlS15_E_NS1_11comp_targetILNS1_3genE0ELNS1_11target_archE4294967295ELNS1_3gpuE0ELNS1_3repE0EEENS1_30default_config_static_selectorELNS0_4arch9wavefront6targetE1EEEvT1_.private_seg_size, 0
	.set _ZN7rocprim17ROCPRIM_400000_NS6detail17trampoline_kernelINS0_14default_configENS1_25partition_config_selectorILNS1_17partition_subalgoE9EllbEEZZNS1_14partition_implILS5_9ELb0ES3_jPlS8_PNS0_10empty_typeENS0_5tupleIJS8_S9_EEENSB_IJS8_SA_EEENS0_18inequality_wrapperIZN2at6native12_GLOBAL__N_124unique_dim_cuda_templateItEESt5tupleIJNSF_6TensorESK_SK_EERKSK_lbbbEUlllE0_EEPmJS9_EEE10hipError_tPvRmT3_T4_T5_T6_T7_T9_mT8_P12ihipStream_tbDpT10_ENKUlT_T0_E_clISt17integral_constantIbLb1EES19_IbLb0EEEEDaS15_S16_EUlS15_E_NS1_11comp_targetILNS1_3genE0ELNS1_11target_archE4294967295ELNS1_3gpuE0ELNS1_3repE0EEENS1_30default_config_static_selectorELNS0_4arch9wavefront6targetE1EEEvT1_.uses_vcc, 0
	.set _ZN7rocprim17ROCPRIM_400000_NS6detail17trampoline_kernelINS0_14default_configENS1_25partition_config_selectorILNS1_17partition_subalgoE9EllbEEZZNS1_14partition_implILS5_9ELb0ES3_jPlS8_PNS0_10empty_typeENS0_5tupleIJS8_S9_EEENSB_IJS8_SA_EEENS0_18inequality_wrapperIZN2at6native12_GLOBAL__N_124unique_dim_cuda_templateItEESt5tupleIJNSF_6TensorESK_SK_EERKSK_lbbbEUlllE0_EEPmJS9_EEE10hipError_tPvRmT3_T4_T5_T6_T7_T9_mT8_P12ihipStream_tbDpT10_ENKUlT_T0_E_clISt17integral_constantIbLb1EES19_IbLb0EEEEDaS15_S16_EUlS15_E_NS1_11comp_targetILNS1_3genE0ELNS1_11target_archE4294967295ELNS1_3gpuE0ELNS1_3repE0EEENS1_30default_config_static_selectorELNS0_4arch9wavefront6targetE1EEEvT1_.uses_flat_scratch, 0
	.set _ZN7rocprim17ROCPRIM_400000_NS6detail17trampoline_kernelINS0_14default_configENS1_25partition_config_selectorILNS1_17partition_subalgoE9EllbEEZZNS1_14partition_implILS5_9ELb0ES3_jPlS8_PNS0_10empty_typeENS0_5tupleIJS8_S9_EEENSB_IJS8_SA_EEENS0_18inequality_wrapperIZN2at6native12_GLOBAL__N_124unique_dim_cuda_templateItEESt5tupleIJNSF_6TensorESK_SK_EERKSK_lbbbEUlllE0_EEPmJS9_EEE10hipError_tPvRmT3_T4_T5_T6_T7_T9_mT8_P12ihipStream_tbDpT10_ENKUlT_T0_E_clISt17integral_constantIbLb1EES19_IbLb0EEEEDaS15_S16_EUlS15_E_NS1_11comp_targetILNS1_3genE0ELNS1_11target_archE4294967295ELNS1_3gpuE0ELNS1_3repE0EEENS1_30default_config_static_selectorELNS0_4arch9wavefront6targetE1EEEvT1_.has_dyn_sized_stack, 0
	.set _ZN7rocprim17ROCPRIM_400000_NS6detail17trampoline_kernelINS0_14default_configENS1_25partition_config_selectorILNS1_17partition_subalgoE9EllbEEZZNS1_14partition_implILS5_9ELb0ES3_jPlS8_PNS0_10empty_typeENS0_5tupleIJS8_S9_EEENSB_IJS8_SA_EEENS0_18inequality_wrapperIZN2at6native12_GLOBAL__N_124unique_dim_cuda_templateItEESt5tupleIJNSF_6TensorESK_SK_EERKSK_lbbbEUlllE0_EEPmJS9_EEE10hipError_tPvRmT3_T4_T5_T6_T7_T9_mT8_P12ihipStream_tbDpT10_ENKUlT_T0_E_clISt17integral_constantIbLb1EES19_IbLb0EEEEDaS15_S16_EUlS15_E_NS1_11comp_targetILNS1_3genE0ELNS1_11target_archE4294967295ELNS1_3gpuE0ELNS1_3repE0EEENS1_30default_config_static_selectorELNS0_4arch9wavefront6targetE1EEEvT1_.has_recursion, 0
	.set _ZN7rocprim17ROCPRIM_400000_NS6detail17trampoline_kernelINS0_14default_configENS1_25partition_config_selectorILNS1_17partition_subalgoE9EllbEEZZNS1_14partition_implILS5_9ELb0ES3_jPlS8_PNS0_10empty_typeENS0_5tupleIJS8_S9_EEENSB_IJS8_SA_EEENS0_18inequality_wrapperIZN2at6native12_GLOBAL__N_124unique_dim_cuda_templateItEESt5tupleIJNSF_6TensorESK_SK_EERKSK_lbbbEUlllE0_EEPmJS9_EEE10hipError_tPvRmT3_T4_T5_T6_T7_T9_mT8_P12ihipStream_tbDpT10_ENKUlT_T0_E_clISt17integral_constantIbLb1EES19_IbLb0EEEEDaS15_S16_EUlS15_E_NS1_11comp_targetILNS1_3genE0ELNS1_11target_archE4294967295ELNS1_3gpuE0ELNS1_3repE0EEENS1_30default_config_static_selectorELNS0_4arch9wavefront6targetE1EEEvT1_.has_indirect_call, 0
	.section	.AMDGPU.csdata,"",@progbits
; Kernel info:
; codeLenInByte = 4
; TotalNumSgprs: 6
; NumVgprs: 0
; NumAgprs: 0
; TotalNumVgprs: 0
; ScratchSize: 0
; MemoryBound: 0
; FloatMode: 240
; IeeeMode: 1
; LDSByteSize: 0 bytes/workgroup (compile time only)
; SGPRBlocks: 0
; VGPRBlocks: 0
; NumSGPRsForWavesPerEU: 6
; NumVGPRsForWavesPerEU: 1
; AccumOffset: 4
; Occupancy: 8
; WaveLimiterHint : 0
; COMPUTE_PGM_RSRC2:SCRATCH_EN: 0
; COMPUTE_PGM_RSRC2:USER_SGPR: 2
; COMPUTE_PGM_RSRC2:TRAP_HANDLER: 0
; COMPUTE_PGM_RSRC2:TGID_X_EN: 1
; COMPUTE_PGM_RSRC2:TGID_Y_EN: 0
; COMPUTE_PGM_RSRC2:TGID_Z_EN: 0
; COMPUTE_PGM_RSRC2:TIDIG_COMP_CNT: 0
; COMPUTE_PGM_RSRC3_GFX90A:ACCUM_OFFSET: 0
; COMPUTE_PGM_RSRC3_GFX90A:TG_SPLIT: 0
	.section	.text._ZN7rocprim17ROCPRIM_400000_NS6detail17trampoline_kernelINS0_14default_configENS1_25partition_config_selectorILNS1_17partition_subalgoE9EllbEEZZNS1_14partition_implILS5_9ELb0ES3_jPlS8_PNS0_10empty_typeENS0_5tupleIJS8_S9_EEENSB_IJS8_SA_EEENS0_18inequality_wrapperIZN2at6native12_GLOBAL__N_124unique_dim_cuda_templateItEESt5tupleIJNSF_6TensorESK_SK_EERKSK_lbbbEUlllE0_EEPmJS9_EEE10hipError_tPvRmT3_T4_T5_T6_T7_T9_mT8_P12ihipStream_tbDpT10_ENKUlT_T0_E_clISt17integral_constantIbLb1EES19_IbLb0EEEEDaS15_S16_EUlS15_E_NS1_11comp_targetILNS1_3genE5ELNS1_11target_archE942ELNS1_3gpuE9ELNS1_3repE0EEENS1_30default_config_static_selectorELNS0_4arch9wavefront6targetE1EEEvT1_,"axG",@progbits,_ZN7rocprim17ROCPRIM_400000_NS6detail17trampoline_kernelINS0_14default_configENS1_25partition_config_selectorILNS1_17partition_subalgoE9EllbEEZZNS1_14partition_implILS5_9ELb0ES3_jPlS8_PNS0_10empty_typeENS0_5tupleIJS8_S9_EEENSB_IJS8_SA_EEENS0_18inequality_wrapperIZN2at6native12_GLOBAL__N_124unique_dim_cuda_templateItEESt5tupleIJNSF_6TensorESK_SK_EERKSK_lbbbEUlllE0_EEPmJS9_EEE10hipError_tPvRmT3_T4_T5_T6_T7_T9_mT8_P12ihipStream_tbDpT10_ENKUlT_T0_E_clISt17integral_constantIbLb1EES19_IbLb0EEEEDaS15_S16_EUlS15_E_NS1_11comp_targetILNS1_3genE5ELNS1_11target_archE942ELNS1_3gpuE9ELNS1_3repE0EEENS1_30default_config_static_selectorELNS0_4arch9wavefront6targetE1EEEvT1_,comdat
	.globl	_ZN7rocprim17ROCPRIM_400000_NS6detail17trampoline_kernelINS0_14default_configENS1_25partition_config_selectorILNS1_17partition_subalgoE9EllbEEZZNS1_14partition_implILS5_9ELb0ES3_jPlS8_PNS0_10empty_typeENS0_5tupleIJS8_S9_EEENSB_IJS8_SA_EEENS0_18inequality_wrapperIZN2at6native12_GLOBAL__N_124unique_dim_cuda_templateItEESt5tupleIJNSF_6TensorESK_SK_EERKSK_lbbbEUlllE0_EEPmJS9_EEE10hipError_tPvRmT3_T4_T5_T6_T7_T9_mT8_P12ihipStream_tbDpT10_ENKUlT_T0_E_clISt17integral_constantIbLb1EES19_IbLb0EEEEDaS15_S16_EUlS15_E_NS1_11comp_targetILNS1_3genE5ELNS1_11target_archE942ELNS1_3gpuE9ELNS1_3repE0EEENS1_30default_config_static_selectorELNS0_4arch9wavefront6targetE1EEEvT1_ ; -- Begin function _ZN7rocprim17ROCPRIM_400000_NS6detail17trampoline_kernelINS0_14default_configENS1_25partition_config_selectorILNS1_17partition_subalgoE9EllbEEZZNS1_14partition_implILS5_9ELb0ES3_jPlS8_PNS0_10empty_typeENS0_5tupleIJS8_S9_EEENSB_IJS8_SA_EEENS0_18inequality_wrapperIZN2at6native12_GLOBAL__N_124unique_dim_cuda_templateItEESt5tupleIJNSF_6TensorESK_SK_EERKSK_lbbbEUlllE0_EEPmJS9_EEE10hipError_tPvRmT3_T4_T5_T6_T7_T9_mT8_P12ihipStream_tbDpT10_ENKUlT_T0_E_clISt17integral_constantIbLb1EES19_IbLb0EEEEDaS15_S16_EUlS15_E_NS1_11comp_targetILNS1_3genE5ELNS1_11target_archE942ELNS1_3gpuE9ELNS1_3repE0EEENS1_30default_config_static_selectorELNS0_4arch9wavefront6targetE1EEEvT1_
	.p2align	8
	.type	_ZN7rocprim17ROCPRIM_400000_NS6detail17trampoline_kernelINS0_14default_configENS1_25partition_config_selectorILNS1_17partition_subalgoE9EllbEEZZNS1_14partition_implILS5_9ELb0ES3_jPlS8_PNS0_10empty_typeENS0_5tupleIJS8_S9_EEENSB_IJS8_SA_EEENS0_18inequality_wrapperIZN2at6native12_GLOBAL__N_124unique_dim_cuda_templateItEESt5tupleIJNSF_6TensorESK_SK_EERKSK_lbbbEUlllE0_EEPmJS9_EEE10hipError_tPvRmT3_T4_T5_T6_T7_T9_mT8_P12ihipStream_tbDpT10_ENKUlT_T0_E_clISt17integral_constantIbLb1EES19_IbLb0EEEEDaS15_S16_EUlS15_E_NS1_11comp_targetILNS1_3genE5ELNS1_11target_archE942ELNS1_3gpuE9ELNS1_3repE0EEENS1_30default_config_static_selectorELNS0_4arch9wavefront6targetE1EEEvT1_,@function
_ZN7rocprim17ROCPRIM_400000_NS6detail17trampoline_kernelINS0_14default_configENS1_25partition_config_selectorILNS1_17partition_subalgoE9EllbEEZZNS1_14partition_implILS5_9ELb0ES3_jPlS8_PNS0_10empty_typeENS0_5tupleIJS8_S9_EEENSB_IJS8_SA_EEENS0_18inequality_wrapperIZN2at6native12_GLOBAL__N_124unique_dim_cuda_templateItEESt5tupleIJNSF_6TensorESK_SK_EERKSK_lbbbEUlllE0_EEPmJS9_EEE10hipError_tPvRmT3_T4_T5_T6_T7_T9_mT8_P12ihipStream_tbDpT10_ENKUlT_T0_E_clISt17integral_constantIbLb1EES19_IbLb0EEEEDaS15_S16_EUlS15_E_NS1_11comp_targetILNS1_3genE5ELNS1_11target_archE942ELNS1_3gpuE9ELNS1_3repE0EEENS1_30default_config_static_selectorELNS0_4arch9wavefront6targetE1EEEvT1_: ; @_ZN7rocprim17ROCPRIM_400000_NS6detail17trampoline_kernelINS0_14default_configENS1_25partition_config_selectorILNS1_17partition_subalgoE9EllbEEZZNS1_14partition_implILS5_9ELb0ES3_jPlS8_PNS0_10empty_typeENS0_5tupleIJS8_S9_EEENSB_IJS8_SA_EEENS0_18inequality_wrapperIZN2at6native12_GLOBAL__N_124unique_dim_cuda_templateItEESt5tupleIJNSF_6TensorESK_SK_EERKSK_lbbbEUlllE0_EEPmJS9_EEE10hipError_tPvRmT3_T4_T5_T6_T7_T9_mT8_P12ihipStream_tbDpT10_ENKUlT_T0_E_clISt17integral_constantIbLb1EES19_IbLb0EEEEDaS15_S16_EUlS15_E_NS1_11comp_targetILNS1_3genE5ELNS1_11target_archE942ELNS1_3gpuE9ELNS1_3repE0EEENS1_30default_config_static_selectorELNS0_4arch9wavefront6targetE1EEEvT1_
; %bb.0:
	.section	.rodata,"a",@progbits
	.p2align	6, 0x0
	.amdhsa_kernel _ZN7rocprim17ROCPRIM_400000_NS6detail17trampoline_kernelINS0_14default_configENS1_25partition_config_selectorILNS1_17partition_subalgoE9EllbEEZZNS1_14partition_implILS5_9ELb0ES3_jPlS8_PNS0_10empty_typeENS0_5tupleIJS8_S9_EEENSB_IJS8_SA_EEENS0_18inequality_wrapperIZN2at6native12_GLOBAL__N_124unique_dim_cuda_templateItEESt5tupleIJNSF_6TensorESK_SK_EERKSK_lbbbEUlllE0_EEPmJS9_EEE10hipError_tPvRmT3_T4_T5_T6_T7_T9_mT8_P12ihipStream_tbDpT10_ENKUlT_T0_E_clISt17integral_constantIbLb1EES19_IbLb0EEEEDaS15_S16_EUlS15_E_NS1_11comp_targetILNS1_3genE5ELNS1_11target_archE942ELNS1_3gpuE9ELNS1_3repE0EEENS1_30default_config_static_selectorELNS0_4arch9wavefront6targetE1EEEvT1_
		.amdhsa_group_segment_fixed_size 0
		.amdhsa_private_segment_fixed_size 0
		.amdhsa_kernarg_size 120
		.amdhsa_user_sgpr_count 2
		.amdhsa_user_sgpr_dispatch_ptr 0
		.amdhsa_user_sgpr_queue_ptr 0
		.amdhsa_user_sgpr_kernarg_segment_ptr 1
		.amdhsa_user_sgpr_dispatch_id 0
		.amdhsa_user_sgpr_kernarg_preload_length 0
		.amdhsa_user_sgpr_kernarg_preload_offset 0
		.amdhsa_user_sgpr_private_segment_size 0
		.amdhsa_uses_dynamic_stack 0
		.amdhsa_enable_private_segment 0
		.amdhsa_system_sgpr_workgroup_id_x 1
		.amdhsa_system_sgpr_workgroup_id_y 0
		.amdhsa_system_sgpr_workgroup_id_z 0
		.amdhsa_system_sgpr_workgroup_info 0
		.amdhsa_system_vgpr_workitem_id 0
		.amdhsa_next_free_vgpr 1
		.amdhsa_next_free_sgpr 0
		.amdhsa_accum_offset 4
		.amdhsa_reserve_vcc 0
		.amdhsa_float_round_mode_32 0
		.amdhsa_float_round_mode_16_64 0
		.amdhsa_float_denorm_mode_32 3
		.amdhsa_float_denorm_mode_16_64 3
		.amdhsa_dx10_clamp 1
		.amdhsa_ieee_mode 1
		.amdhsa_fp16_overflow 0
		.amdhsa_tg_split 0
		.amdhsa_exception_fp_ieee_invalid_op 0
		.amdhsa_exception_fp_denorm_src 0
		.amdhsa_exception_fp_ieee_div_zero 0
		.amdhsa_exception_fp_ieee_overflow 0
		.amdhsa_exception_fp_ieee_underflow 0
		.amdhsa_exception_fp_ieee_inexact 0
		.amdhsa_exception_int_div_zero 0
	.end_amdhsa_kernel
	.section	.text._ZN7rocprim17ROCPRIM_400000_NS6detail17trampoline_kernelINS0_14default_configENS1_25partition_config_selectorILNS1_17partition_subalgoE9EllbEEZZNS1_14partition_implILS5_9ELb0ES3_jPlS8_PNS0_10empty_typeENS0_5tupleIJS8_S9_EEENSB_IJS8_SA_EEENS0_18inequality_wrapperIZN2at6native12_GLOBAL__N_124unique_dim_cuda_templateItEESt5tupleIJNSF_6TensorESK_SK_EERKSK_lbbbEUlllE0_EEPmJS9_EEE10hipError_tPvRmT3_T4_T5_T6_T7_T9_mT8_P12ihipStream_tbDpT10_ENKUlT_T0_E_clISt17integral_constantIbLb1EES19_IbLb0EEEEDaS15_S16_EUlS15_E_NS1_11comp_targetILNS1_3genE5ELNS1_11target_archE942ELNS1_3gpuE9ELNS1_3repE0EEENS1_30default_config_static_selectorELNS0_4arch9wavefront6targetE1EEEvT1_,"axG",@progbits,_ZN7rocprim17ROCPRIM_400000_NS6detail17trampoline_kernelINS0_14default_configENS1_25partition_config_selectorILNS1_17partition_subalgoE9EllbEEZZNS1_14partition_implILS5_9ELb0ES3_jPlS8_PNS0_10empty_typeENS0_5tupleIJS8_S9_EEENSB_IJS8_SA_EEENS0_18inequality_wrapperIZN2at6native12_GLOBAL__N_124unique_dim_cuda_templateItEESt5tupleIJNSF_6TensorESK_SK_EERKSK_lbbbEUlllE0_EEPmJS9_EEE10hipError_tPvRmT3_T4_T5_T6_T7_T9_mT8_P12ihipStream_tbDpT10_ENKUlT_T0_E_clISt17integral_constantIbLb1EES19_IbLb0EEEEDaS15_S16_EUlS15_E_NS1_11comp_targetILNS1_3genE5ELNS1_11target_archE942ELNS1_3gpuE9ELNS1_3repE0EEENS1_30default_config_static_selectorELNS0_4arch9wavefront6targetE1EEEvT1_,comdat
.Lfunc_end1468:
	.size	_ZN7rocprim17ROCPRIM_400000_NS6detail17trampoline_kernelINS0_14default_configENS1_25partition_config_selectorILNS1_17partition_subalgoE9EllbEEZZNS1_14partition_implILS5_9ELb0ES3_jPlS8_PNS0_10empty_typeENS0_5tupleIJS8_S9_EEENSB_IJS8_SA_EEENS0_18inequality_wrapperIZN2at6native12_GLOBAL__N_124unique_dim_cuda_templateItEESt5tupleIJNSF_6TensorESK_SK_EERKSK_lbbbEUlllE0_EEPmJS9_EEE10hipError_tPvRmT3_T4_T5_T6_T7_T9_mT8_P12ihipStream_tbDpT10_ENKUlT_T0_E_clISt17integral_constantIbLb1EES19_IbLb0EEEEDaS15_S16_EUlS15_E_NS1_11comp_targetILNS1_3genE5ELNS1_11target_archE942ELNS1_3gpuE9ELNS1_3repE0EEENS1_30default_config_static_selectorELNS0_4arch9wavefront6targetE1EEEvT1_, .Lfunc_end1468-_ZN7rocprim17ROCPRIM_400000_NS6detail17trampoline_kernelINS0_14default_configENS1_25partition_config_selectorILNS1_17partition_subalgoE9EllbEEZZNS1_14partition_implILS5_9ELb0ES3_jPlS8_PNS0_10empty_typeENS0_5tupleIJS8_S9_EEENSB_IJS8_SA_EEENS0_18inequality_wrapperIZN2at6native12_GLOBAL__N_124unique_dim_cuda_templateItEESt5tupleIJNSF_6TensorESK_SK_EERKSK_lbbbEUlllE0_EEPmJS9_EEE10hipError_tPvRmT3_T4_T5_T6_T7_T9_mT8_P12ihipStream_tbDpT10_ENKUlT_T0_E_clISt17integral_constantIbLb1EES19_IbLb0EEEEDaS15_S16_EUlS15_E_NS1_11comp_targetILNS1_3genE5ELNS1_11target_archE942ELNS1_3gpuE9ELNS1_3repE0EEENS1_30default_config_static_selectorELNS0_4arch9wavefront6targetE1EEEvT1_
                                        ; -- End function
	.set _ZN7rocprim17ROCPRIM_400000_NS6detail17trampoline_kernelINS0_14default_configENS1_25partition_config_selectorILNS1_17partition_subalgoE9EllbEEZZNS1_14partition_implILS5_9ELb0ES3_jPlS8_PNS0_10empty_typeENS0_5tupleIJS8_S9_EEENSB_IJS8_SA_EEENS0_18inequality_wrapperIZN2at6native12_GLOBAL__N_124unique_dim_cuda_templateItEESt5tupleIJNSF_6TensorESK_SK_EERKSK_lbbbEUlllE0_EEPmJS9_EEE10hipError_tPvRmT3_T4_T5_T6_T7_T9_mT8_P12ihipStream_tbDpT10_ENKUlT_T0_E_clISt17integral_constantIbLb1EES19_IbLb0EEEEDaS15_S16_EUlS15_E_NS1_11comp_targetILNS1_3genE5ELNS1_11target_archE942ELNS1_3gpuE9ELNS1_3repE0EEENS1_30default_config_static_selectorELNS0_4arch9wavefront6targetE1EEEvT1_.num_vgpr, 0
	.set _ZN7rocprim17ROCPRIM_400000_NS6detail17trampoline_kernelINS0_14default_configENS1_25partition_config_selectorILNS1_17partition_subalgoE9EllbEEZZNS1_14partition_implILS5_9ELb0ES3_jPlS8_PNS0_10empty_typeENS0_5tupleIJS8_S9_EEENSB_IJS8_SA_EEENS0_18inequality_wrapperIZN2at6native12_GLOBAL__N_124unique_dim_cuda_templateItEESt5tupleIJNSF_6TensorESK_SK_EERKSK_lbbbEUlllE0_EEPmJS9_EEE10hipError_tPvRmT3_T4_T5_T6_T7_T9_mT8_P12ihipStream_tbDpT10_ENKUlT_T0_E_clISt17integral_constantIbLb1EES19_IbLb0EEEEDaS15_S16_EUlS15_E_NS1_11comp_targetILNS1_3genE5ELNS1_11target_archE942ELNS1_3gpuE9ELNS1_3repE0EEENS1_30default_config_static_selectorELNS0_4arch9wavefront6targetE1EEEvT1_.num_agpr, 0
	.set _ZN7rocprim17ROCPRIM_400000_NS6detail17trampoline_kernelINS0_14default_configENS1_25partition_config_selectorILNS1_17partition_subalgoE9EllbEEZZNS1_14partition_implILS5_9ELb0ES3_jPlS8_PNS0_10empty_typeENS0_5tupleIJS8_S9_EEENSB_IJS8_SA_EEENS0_18inequality_wrapperIZN2at6native12_GLOBAL__N_124unique_dim_cuda_templateItEESt5tupleIJNSF_6TensorESK_SK_EERKSK_lbbbEUlllE0_EEPmJS9_EEE10hipError_tPvRmT3_T4_T5_T6_T7_T9_mT8_P12ihipStream_tbDpT10_ENKUlT_T0_E_clISt17integral_constantIbLb1EES19_IbLb0EEEEDaS15_S16_EUlS15_E_NS1_11comp_targetILNS1_3genE5ELNS1_11target_archE942ELNS1_3gpuE9ELNS1_3repE0EEENS1_30default_config_static_selectorELNS0_4arch9wavefront6targetE1EEEvT1_.numbered_sgpr, 0
	.set _ZN7rocprim17ROCPRIM_400000_NS6detail17trampoline_kernelINS0_14default_configENS1_25partition_config_selectorILNS1_17partition_subalgoE9EllbEEZZNS1_14partition_implILS5_9ELb0ES3_jPlS8_PNS0_10empty_typeENS0_5tupleIJS8_S9_EEENSB_IJS8_SA_EEENS0_18inequality_wrapperIZN2at6native12_GLOBAL__N_124unique_dim_cuda_templateItEESt5tupleIJNSF_6TensorESK_SK_EERKSK_lbbbEUlllE0_EEPmJS9_EEE10hipError_tPvRmT3_T4_T5_T6_T7_T9_mT8_P12ihipStream_tbDpT10_ENKUlT_T0_E_clISt17integral_constantIbLb1EES19_IbLb0EEEEDaS15_S16_EUlS15_E_NS1_11comp_targetILNS1_3genE5ELNS1_11target_archE942ELNS1_3gpuE9ELNS1_3repE0EEENS1_30default_config_static_selectorELNS0_4arch9wavefront6targetE1EEEvT1_.num_named_barrier, 0
	.set _ZN7rocprim17ROCPRIM_400000_NS6detail17trampoline_kernelINS0_14default_configENS1_25partition_config_selectorILNS1_17partition_subalgoE9EllbEEZZNS1_14partition_implILS5_9ELb0ES3_jPlS8_PNS0_10empty_typeENS0_5tupleIJS8_S9_EEENSB_IJS8_SA_EEENS0_18inequality_wrapperIZN2at6native12_GLOBAL__N_124unique_dim_cuda_templateItEESt5tupleIJNSF_6TensorESK_SK_EERKSK_lbbbEUlllE0_EEPmJS9_EEE10hipError_tPvRmT3_T4_T5_T6_T7_T9_mT8_P12ihipStream_tbDpT10_ENKUlT_T0_E_clISt17integral_constantIbLb1EES19_IbLb0EEEEDaS15_S16_EUlS15_E_NS1_11comp_targetILNS1_3genE5ELNS1_11target_archE942ELNS1_3gpuE9ELNS1_3repE0EEENS1_30default_config_static_selectorELNS0_4arch9wavefront6targetE1EEEvT1_.private_seg_size, 0
	.set _ZN7rocprim17ROCPRIM_400000_NS6detail17trampoline_kernelINS0_14default_configENS1_25partition_config_selectorILNS1_17partition_subalgoE9EllbEEZZNS1_14partition_implILS5_9ELb0ES3_jPlS8_PNS0_10empty_typeENS0_5tupleIJS8_S9_EEENSB_IJS8_SA_EEENS0_18inequality_wrapperIZN2at6native12_GLOBAL__N_124unique_dim_cuda_templateItEESt5tupleIJNSF_6TensorESK_SK_EERKSK_lbbbEUlllE0_EEPmJS9_EEE10hipError_tPvRmT3_T4_T5_T6_T7_T9_mT8_P12ihipStream_tbDpT10_ENKUlT_T0_E_clISt17integral_constantIbLb1EES19_IbLb0EEEEDaS15_S16_EUlS15_E_NS1_11comp_targetILNS1_3genE5ELNS1_11target_archE942ELNS1_3gpuE9ELNS1_3repE0EEENS1_30default_config_static_selectorELNS0_4arch9wavefront6targetE1EEEvT1_.uses_vcc, 0
	.set _ZN7rocprim17ROCPRIM_400000_NS6detail17trampoline_kernelINS0_14default_configENS1_25partition_config_selectorILNS1_17partition_subalgoE9EllbEEZZNS1_14partition_implILS5_9ELb0ES3_jPlS8_PNS0_10empty_typeENS0_5tupleIJS8_S9_EEENSB_IJS8_SA_EEENS0_18inequality_wrapperIZN2at6native12_GLOBAL__N_124unique_dim_cuda_templateItEESt5tupleIJNSF_6TensorESK_SK_EERKSK_lbbbEUlllE0_EEPmJS9_EEE10hipError_tPvRmT3_T4_T5_T6_T7_T9_mT8_P12ihipStream_tbDpT10_ENKUlT_T0_E_clISt17integral_constantIbLb1EES19_IbLb0EEEEDaS15_S16_EUlS15_E_NS1_11comp_targetILNS1_3genE5ELNS1_11target_archE942ELNS1_3gpuE9ELNS1_3repE0EEENS1_30default_config_static_selectorELNS0_4arch9wavefront6targetE1EEEvT1_.uses_flat_scratch, 0
	.set _ZN7rocprim17ROCPRIM_400000_NS6detail17trampoline_kernelINS0_14default_configENS1_25partition_config_selectorILNS1_17partition_subalgoE9EllbEEZZNS1_14partition_implILS5_9ELb0ES3_jPlS8_PNS0_10empty_typeENS0_5tupleIJS8_S9_EEENSB_IJS8_SA_EEENS0_18inequality_wrapperIZN2at6native12_GLOBAL__N_124unique_dim_cuda_templateItEESt5tupleIJNSF_6TensorESK_SK_EERKSK_lbbbEUlllE0_EEPmJS9_EEE10hipError_tPvRmT3_T4_T5_T6_T7_T9_mT8_P12ihipStream_tbDpT10_ENKUlT_T0_E_clISt17integral_constantIbLb1EES19_IbLb0EEEEDaS15_S16_EUlS15_E_NS1_11comp_targetILNS1_3genE5ELNS1_11target_archE942ELNS1_3gpuE9ELNS1_3repE0EEENS1_30default_config_static_selectorELNS0_4arch9wavefront6targetE1EEEvT1_.has_dyn_sized_stack, 0
	.set _ZN7rocprim17ROCPRIM_400000_NS6detail17trampoline_kernelINS0_14default_configENS1_25partition_config_selectorILNS1_17partition_subalgoE9EllbEEZZNS1_14partition_implILS5_9ELb0ES3_jPlS8_PNS0_10empty_typeENS0_5tupleIJS8_S9_EEENSB_IJS8_SA_EEENS0_18inequality_wrapperIZN2at6native12_GLOBAL__N_124unique_dim_cuda_templateItEESt5tupleIJNSF_6TensorESK_SK_EERKSK_lbbbEUlllE0_EEPmJS9_EEE10hipError_tPvRmT3_T4_T5_T6_T7_T9_mT8_P12ihipStream_tbDpT10_ENKUlT_T0_E_clISt17integral_constantIbLb1EES19_IbLb0EEEEDaS15_S16_EUlS15_E_NS1_11comp_targetILNS1_3genE5ELNS1_11target_archE942ELNS1_3gpuE9ELNS1_3repE0EEENS1_30default_config_static_selectorELNS0_4arch9wavefront6targetE1EEEvT1_.has_recursion, 0
	.set _ZN7rocprim17ROCPRIM_400000_NS6detail17trampoline_kernelINS0_14default_configENS1_25partition_config_selectorILNS1_17partition_subalgoE9EllbEEZZNS1_14partition_implILS5_9ELb0ES3_jPlS8_PNS0_10empty_typeENS0_5tupleIJS8_S9_EEENSB_IJS8_SA_EEENS0_18inequality_wrapperIZN2at6native12_GLOBAL__N_124unique_dim_cuda_templateItEESt5tupleIJNSF_6TensorESK_SK_EERKSK_lbbbEUlllE0_EEPmJS9_EEE10hipError_tPvRmT3_T4_T5_T6_T7_T9_mT8_P12ihipStream_tbDpT10_ENKUlT_T0_E_clISt17integral_constantIbLb1EES19_IbLb0EEEEDaS15_S16_EUlS15_E_NS1_11comp_targetILNS1_3genE5ELNS1_11target_archE942ELNS1_3gpuE9ELNS1_3repE0EEENS1_30default_config_static_selectorELNS0_4arch9wavefront6targetE1EEEvT1_.has_indirect_call, 0
	.section	.AMDGPU.csdata,"",@progbits
; Kernel info:
; codeLenInByte = 0
; TotalNumSgprs: 6
; NumVgprs: 0
; NumAgprs: 0
; TotalNumVgprs: 0
; ScratchSize: 0
; MemoryBound: 0
; FloatMode: 240
; IeeeMode: 1
; LDSByteSize: 0 bytes/workgroup (compile time only)
; SGPRBlocks: 0
; VGPRBlocks: 0
; NumSGPRsForWavesPerEU: 6
; NumVGPRsForWavesPerEU: 1
; AccumOffset: 4
; Occupancy: 8
; WaveLimiterHint : 0
; COMPUTE_PGM_RSRC2:SCRATCH_EN: 0
; COMPUTE_PGM_RSRC2:USER_SGPR: 2
; COMPUTE_PGM_RSRC2:TRAP_HANDLER: 0
; COMPUTE_PGM_RSRC2:TGID_X_EN: 1
; COMPUTE_PGM_RSRC2:TGID_Y_EN: 0
; COMPUTE_PGM_RSRC2:TGID_Z_EN: 0
; COMPUTE_PGM_RSRC2:TIDIG_COMP_CNT: 0
; COMPUTE_PGM_RSRC3_GFX90A:ACCUM_OFFSET: 0
; COMPUTE_PGM_RSRC3_GFX90A:TG_SPLIT: 0
	.section	.text._ZN7rocprim17ROCPRIM_400000_NS6detail17trampoline_kernelINS0_14default_configENS1_25partition_config_selectorILNS1_17partition_subalgoE9EllbEEZZNS1_14partition_implILS5_9ELb0ES3_jPlS8_PNS0_10empty_typeENS0_5tupleIJS8_S9_EEENSB_IJS8_SA_EEENS0_18inequality_wrapperIZN2at6native12_GLOBAL__N_124unique_dim_cuda_templateItEESt5tupleIJNSF_6TensorESK_SK_EERKSK_lbbbEUlllE0_EEPmJS9_EEE10hipError_tPvRmT3_T4_T5_T6_T7_T9_mT8_P12ihipStream_tbDpT10_ENKUlT_T0_E_clISt17integral_constantIbLb1EES19_IbLb0EEEEDaS15_S16_EUlS15_E_NS1_11comp_targetILNS1_3genE4ELNS1_11target_archE910ELNS1_3gpuE8ELNS1_3repE0EEENS1_30default_config_static_selectorELNS0_4arch9wavefront6targetE1EEEvT1_,"axG",@progbits,_ZN7rocprim17ROCPRIM_400000_NS6detail17trampoline_kernelINS0_14default_configENS1_25partition_config_selectorILNS1_17partition_subalgoE9EllbEEZZNS1_14partition_implILS5_9ELb0ES3_jPlS8_PNS0_10empty_typeENS0_5tupleIJS8_S9_EEENSB_IJS8_SA_EEENS0_18inequality_wrapperIZN2at6native12_GLOBAL__N_124unique_dim_cuda_templateItEESt5tupleIJNSF_6TensorESK_SK_EERKSK_lbbbEUlllE0_EEPmJS9_EEE10hipError_tPvRmT3_T4_T5_T6_T7_T9_mT8_P12ihipStream_tbDpT10_ENKUlT_T0_E_clISt17integral_constantIbLb1EES19_IbLb0EEEEDaS15_S16_EUlS15_E_NS1_11comp_targetILNS1_3genE4ELNS1_11target_archE910ELNS1_3gpuE8ELNS1_3repE0EEENS1_30default_config_static_selectorELNS0_4arch9wavefront6targetE1EEEvT1_,comdat
	.globl	_ZN7rocprim17ROCPRIM_400000_NS6detail17trampoline_kernelINS0_14default_configENS1_25partition_config_selectorILNS1_17partition_subalgoE9EllbEEZZNS1_14partition_implILS5_9ELb0ES3_jPlS8_PNS0_10empty_typeENS0_5tupleIJS8_S9_EEENSB_IJS8_SA_EEENS0_18inequality_wrapperIZN2at6native12_GLOBAL__N_124unique_dim_cuda_templateItEESt5tupleIJNSF_6TensorESK_SK_EERKSK_lbbbEUlllE0_EEPmJS9_EEE10hipError_tPvRmT3_T4_T5_T6_T7_T9_mT8_P12ihipStream_tbDpT10_ENKUlT_T0_E_clISt17integral_constantIbLb1EES19_IbLb0EEEEDaS15_S16_EUlS15_E_NS1_11comp_targetILNS1_3genE4ELNS1_11target_archE910ELNS1_3gpuE8ELNS1_3repE0EEENS1_30default_config_static_selectorELNS0_4arch9wavefront6targetE1EEEvT1_ ; -- Begin function _ZN7rocprim17ROCPRIM_400000_NS6detail17trampoline_kernelINS0_14default_configENS1_25partition_config_selectorILNS1_17partition_subalgoE9EllbEEZZNS1_14partition_implILS5_9ELb0ES3_jPlS8_PNS0_10empty_typeENS0_5tupleIJS8_S9_EEENSB_IJS8_SA_EEENS0_18inequality_wrapperIZN2at6native12_GLOBAL__N_124unique_dim_cuda_templateItEESt5tupleIJNSF_6TensorESK_SK_EERKSK_lbbbEUlllE0_EEPmJS9_EEE10hipError_tPvRmT3_T4_T5_T6_T7_T9_mT8_P12ihipStream_tbDpT10_ENKUlT_T0_E_clISt17integral_constantIbLb1EES19_IbLb0EEEEDaS15_S16_EUlS15_E_NS1_11comp_targetILNS1_3genE4ELNS1_11target_archE910ELNS1_3gpuE8ELNS1_3repE0EEENS1_30default_config_static_selectorELNS0_4arch9wavefront6targetE1EEEvT1_
	.p2align	8
	.type	_ZN7rocprim17ROCPRIM_400000_NS6detail17trampoline_kernelINS0_14default_configENS1_25partition_config_selectorILNS1_17partition_subalgoE9EllbEEZZNS1_14partition_implILS5_9ELb0ES3_jPlS8_PNS0_10empty_typeENS0_5tupleIJS8_S9_EEENSB_IJS8_SA_EEENS0_18inequality_wrapperIZN2at6native12_GLOBAL__N_124unique_dim_cuda_templateItEESt5tupleIJNSF_6TensorESK_SK_EERKSK_lbbbEUlllE0_EEPmJS9_EEE10hipError_tPvRmT3_T4_T5_T6_T7_T9_mT8_P12ihipStream_tbDpT10_ENKUlT_T0_E_clISt17integral_constantIbLb1EES19_IbLb0EEEEDaS15_S16_EUlS15_E_NS1_11comp_targetILNS1_3genE4ELNS1_11target_archE910ELNS1_3gpuE8ELNS1_3repE0EEENS1_30default_config_static_selectorELNS0_4arch9wavefront6targetE1EEEvT1_,@function
_ZN7rocprim17ROCPRIM_400000_NS6detail17trampoline_kernelINS0_14default_configENS1_25partition_config_selectorILNS1_17partition_subalgoE9EllbEEZZNS1_14partition_implILS5_9ELb0ES3_jPlS8_PNS0_10empty_typeENS0_5tupleIJS8_S9_EEENSB_IJS8_SA_EEENS0_18inequality_wrapperIZN2at6native12_GLOBAL__N_124unique_dim_cuda_templateItEESt5tupleIJNSF_6TensorESK_SK_EERKSK_lbbbEUlllE0_EEPmJS9_EEE10hipError_tPvRmT3_T4_T5_T6_T7_T9_mT8_P12ihipStream_tbDpT10_ENKUlT_T0_E_clISt17integral_constantIbLb1EES19_IbLb0EEEEDaS15_S16_EUlS15_E_NS1_11comp_targetILNS1_3genE4ELNS1_11target_archE910ELNS1_3gpuE8ELNS1_3repE0EEENS1_30default_config_static_selectorELNS0_4arch9wavefront6targetE1EEEvT1_: ; @_ZN7rocprim17ROCPRIM_400000_NS6detail17trampoline_kernelINS0_14default_configENS1_25partition_config_selectorILNS1_17partition_subalgoE9EllbEEZZNS1_14partition_implILS5_9ELb0ES3_jPlS8_PNS0_10empty_typeENS0_5tupleIJS8_S9_EEENSB_IJS8_SA_EEENS0_18inequality_wrapperIZN2at6native12_GLOBAL__N_124unique_dim_cuda_templateItEESt5tupleIJNSF_6TensorESK_SK_EERKSK_lbbbEUlllE0_EEPmJS9_EEE10hipError_tPvRmT3_T4_T5_T6_T7_T9_mT8_P12ihipStream_tbDpT10_ENKUlT_T0_E_clISt17integral_constantIbLb1EES19_IbLb0EEEEDaS15_S16_EUlS15_E_NS1_11comp_targetILNS1_3genE4ELNS1_11target_archE910ELNS1_3gpuE8ELNS1_3repE0EEENS1_30default_config_static_selectorELNS0_4arch9wavefront6targetE1EEEvT1_
; %bb.0:
	.section	.rodata,"a",@progbits
	.p2align	6, 0x0
	.amdhsa_kernel _ZN7rocprim17ROCPRIM_400000_NS6detail17trampoline_kernelINS0_14default_configENS1_25partition_config_selectorILNS1_17partition_subalgoE9EllbEEZZNS1_14partition_implILS5_9ELb0ES3_jPlS8_PNS0_10empty_typeENS0_5tupleIJS8_S9_EEENSB_IJS8_SA_EEENS0_18inequality_wrapperIZN2at6native12_GLOBAL__N_124unique_dim_cuda_templateItEESt5tupleIJNSF_6TensorESK_SK_EERKSK_lbbbEUlllE0_EEPmJS9_EEE10hipError_tPvRmT3_T4_T5_T6_T7_T9_mT8_P12ihipStream_tbDpT10_ENKUlT_T0_E_clISt17integral_constantIbLb1EES19_IbLb0EEEEDaS15_S16_EUlS15_E_NS1_11comp_targetILNS1_3genE4ELNS1_11target_archE910ELNS1_3gpuE8ELNS1_3repE0EEENS1_30default_config_static_selectorELNS0_4arch9wavefront6targetE1EEEvT1_
		.amdhsa_group_segment_fixed_size 0
		.amdhsa_private_segment_fixed_size 0
		.amdhsa_kernarg_size 120
		.amdhsa_user_sgpr_count 2
		.amdhsa_user_sgpr_dispatch_ptr 0
		.amdhsa_user_sgpr_queue_ptr 0
		.amdhsa_user_sgpr_kernarg_segment_ptr 1
		.amdhsa_user_sgpr_dispatch_id 0
		.amdhsa_user_sgpr_kernarg_preload_length 0
		.amdhsa_user_sgpr_kernarg_preload_offset 0
		.amdhsa_user_sgpr_private_segment_size 0
		.amdhsa_uses_dynamic_stack 0
		.amdhsa_enable_private_segment 0
		.amdhsa_system_sgpr_workgroup_id_x 1
		.amdhsa_system_sgpr_workgroup_id_y 0
		.amdhsa_system_sgpr_workgroup_id_z 0
		.amdhsa_system_sgpr_workgroup_info 0
		.amdhsa_system_vgpr_workitem_id 0
		.amdhsa_next_free_vgpr 1
		.amdhsa_next_free_sgpr 0
		.amdhsa_accum_offset 4
		.amdhsa_reserve_vcc 0
		.amdhsa_float_round_mode_32 0
		.amdhsa_float_round_mode_16_64 0
		.amdhsa_float_denorm_mode_32 3
		.amdhsa_float_denorm_mode_16_64 3
		.amdhsa_dx10_clamp 1
		.amdhsa_ieee_mode 1
		.amdhsa_fp16_overflow 0
		.amdhsa_tg_split 0
		.amdhsa_exception_fp_ieee_invalid_op 0
		.amdhsa_exception_fp_denorm_src 0
		.amdhsa_exception_fp_ieee_div_zero 0
		.amdhsa_exception_fp_ieee_overflow 0
		.amdhsa_exception_fp_ieee_underflow 0
		.amdhsa_exception_fp_ieee_inexact 0
		.amdhsa_exception_int_div_zero 0
	.end_amdhsa_kernel
	.section	.text._ZN7rocprim17ROCPRIM_400000_NS6detail17trampoline_kernelINS0_14default_configENS1_25partition_config_selectorILNS1_17partition_subalgoE9EllbEEZZNS1_14partition_implILS5_9ELb0ES3_jPlS8_PNS0_10empty_typeENS0_5tupleIJS8_S9_EEENSB_IJS8_SA_EEENS0_18inequality_wrapperIZN2at6native12_GLOBAL__N_124unique_dim_cuda_templateItEESt5tupleIJNSF_6TensorESK_SK_EERKSK_lbbbEUlllE0_EEPmJS9_EEE10hipError_tPvRmT3_T4_T5_T6_T7_T9_mT8_P12ihipStream_tbDpT10_ENKUlT_T0_E_clISt17integral_constantIbLb1EES19_IbLb0EEEEDaS15_S16_EUlS15_E_NS1_11comp_targetILNS1_3genE4ELNS1_11target_archE910ELNS1_3gpuE8ELNS1_3repE0EEENS1_30default_config_static_selectorELNS0_4arch9wavefront6targetE1EEEvT1_,"axG",@progbits,_ZN7rocprim17ROCPRIM_400000_NS6detail17trampoline_kernelINS0_14default_configENS1_25partition_config_selectorILNS1_17partition_subalgoE9EllbEEZZNS1_14partition_implILS5_9ELb0ES3_jPlS8_PNS0_10empty_typeENS0_5tupleIJS8_S9_EEENSB_IJS8_SA_EEENS0_18inequality_wrapperIZN2at6native12_GLOBAL__N_124unique_dim_cuda_templateItEESt5tupleIJNSF_6TensorESK_SK_EERKSK_lbbbEUlllE0_EEPmJS9_EEE10hipError_tPvRmT3_T4_T5_T6_T7_T9_mT8_P12ihipStream_tbDpT10_ENKUlT_T0_E_clISt17integral_constantIbLb1EES19_IbLb0EEEEDaS15_S16_EUlS15_E_NS1_11comp_targetILNS1_3genE4ELNS1_11target_archE910ELNS1_3gpuE8ELNS1_3repE0EEENS1_30default_config_static_selectorELNS0_4arch9wavefront6targetE1EEEvT1_,comdat
.Lfunc_end1469:
	.size	_ZN7rocprim17ROCPRIM_400000_NS6detail17trampoline_kernelINS0_14default_configENS1_25partition_config_selectorILNS1_17partition_subalgoE9EllbEEZZNS1_14partition_implILS5_9ELb0ES3_jPlS8_PNS0_10empty_typeENS0_5tupleIJS8_S9_EEENSB_IJS8_SA_EEENS0_18inequality_wrapperIZN2at6native12_GLOBAL__N_124unique_dim_cuda_templateItEESt5tupleIJNSF_6TensorESK_SK_EERKSK_lbbbEUlllE0_EEPmJS9_EEE10hipError_tPvRmT3_T4_T5_T6_T7_T9_mT8_P12ihipStream_tbDpT10_ENKUlT_T0_E_clISt17integral_constantIbLb1EES19_IbLb0EEEEDaS15_S16_EUlS15_E_NS1_11comp_targetILNS1_3genE4ELNS1_11target_archE910ELNS1_3gpuE8ELNS1_3repE0EEENS1_30default_config_static_selectorELNS0_4arch9wavefront6targetE1EEEvT1_, .Lfunc_end1469-_ZN7rocprim17ROCPRIM_400000_NS6detail17trampoline_kernelINS0_14default_configENS1_25partition_config_selectorILNS1_17partition_subalgoE9EllbEEZZNS1_14partition_implILS5_9ELb0ES3_jPlS8_PNS0_10empty_typeENS0_5tupleIJS8_S9_EEENSB_IJS8_SA_EEENS0_18inequality_wrapperIZN2at6native12_GLOBAL__N_124unique_dim_cuda_templateItEESt5tupleIJNSF_6TensorESK_SK_EERKSK_lbbbEUlllE0_EEPmJS9_EEE10hipError_tPvRmT3_T4_T5_T6_T7_T9_mT8_P12ihipStream_tbDpT10_ENKUlT_T0_E_clISt17integral_constantIbLb1EES19_IbLb0EEEEDaS15_S16_EUlS15_E_NS1_11comp_targetILNS1_3genE4ELNS1_11target_archE910ELNS1_3gpuE8ELNS1_3repE0EEENS1_30default_config_static_selectorELNS0_4arch9wavefront6targetE1EEEvT1_
                                        ; -- End function
	.set _ZN7rocprim17ROCPRIM_400000_NS6detail17trampoline_kernelINS0_14default_configENS1_25partition_config_selectorILNS1_17partition_subalgoE9EllbEEZZNS1_14partition_implILS5_9ELb0ES3_jPlS8_PNS0_10empty_typeENS0_5tupleIJS8_S9_EEENSB_IJS8_SA_EEENS0_18inequality_wrapperIZN2at6native12_GLOBAL__N_124unique_dim_cuda_templateItEESt5tupleIJNSF_6TensorESK_SK_EERKSK_lbbbEUlllE0_EEPmJS9_EEE10hipError_tPvRmT3_T4_T5_T6_T7_T9_mT8_P12ihipStream_tbDpT10_ENKUlT_T0_E_clISt17integral_constantIbLb1EES19_IbLb0EEEEDaS15_S16_EUlS15_E_NS1_11comp_targetILNS1_3genE4ELNS1_11target_archE910ELNS1_3gpuE8ELNS1_3repE0EEENS1_30default_config_static_selectorELNS0_4arch9wavefront6targetE1EEEvT1_.num_vgpr, 0
	.set _ZN7rocprim17ROCPRIM_400000_NS6detail17trampoline_kernelINS0_14default_configENS1_25partition_config_selectorILNS1_17partition_subalgoE9EllbEEZZNS1_14partition_implILS5_9ELb0ES3_jPlS8_PNS0_10empty_typeENS0_5tupleIJS8_S9_EEENSB_IJS8_SA_EEENS0_18inequality_wrapperIZN2at6native12_GLOBAL__N_124unique_dim_cuda_templateItEESt5tupleIJNSF_6TensorESK_SK_EERKSK_lbbbEUlllE0_EEPmJS9_EEE10hipError_tPvRmT3_T4_T5_T6_T7_T9_mT8_P12ihipStream_tbDpT10_ENKUlT_T0_E_clISt17integral_constantIbLb1EES19_IbLb0EEEEDaS15_S16_EUlS15_E_NS1_11comp_targetILNS1_3genE4ELNS1_11target_archE910ELNS1_3gpuE8ELNS1_3repE0EEENS1_30default_config_static_selectorELNS0_4arch9wavefront6targetE1EEEvT1_.num_agpr, 0
	.set _ZN7rocprim17ROCPRIM_400000_NS6detail17trampoline_kernelINS0_14default_configENS1_25partition_config_selectorILNS1_17partition_subalgoE9EllbEEZZNS1_14partition_implILS5_9ELb0ES3_jPlS8_PNS0_10empty_typeENS0_5tupleIJS8_S9_EEENSB_IJS8_SA_EEENS0_18inequality_wrapperIZN2at6native12_GLOBAL__N_124unique_dim_cuda_templateItEESt5tupleIJNSF_6TensorESK_SK_EERKSK_lbbbEUlllE0_EEPmJS9_EEE10hipError_tPvRmT3_T4_T5_T6_T7_T9_mT8_P12ihipStream_tbDpT10_ENKUlT_T0_E_clISt17integral_constantIbLb1EES19_IbLb0EEEEDaS15_S16_EUlS15_E_NS1_11comp_targetILNS1_3genE4ELNS1_11target_archE910ELNS1_3gpuE8ELNS1_3repE0EEENS1_30default_config_static_selectorELNS0_4arch9wavefront6targetE1EEEvT1_.numbered_sgpr, 0
	.set _ZN7rocprim17ROCPRIM_400000_NS6detail17trampoline_kernelINS0_14default_configENS1_25partition_config_selectorILNS1_17partition_subalgoE9EllbEEZZNS1_14partition_implILS5_9ELb0ES3_jPlS8_PNS0_10empty_typeENS0_5tupleIJS8_S9_EEENSB_IJS8_SA_EEENS0_18inequality_wrapperIZN2at6native12_GLOBAL__N_124unique_dim_cuda_templateItEESt5tupleIJNSF_6TensorESK_SK_EERKSK_lbbbEUlllE0_EEPmJS9_EEE10hipError_tPvRmT3_T4_T5_T6_T7_T9_mT8_P12ihipStream_tbDpT10_ENKUlT_T0_E_clISt17integral_constantIbLb1EES19_IbLb0EEEEDaS15_S16_EUlS15_E_NS1_11comp_targetILNS1_3genE4ELNS1_11target_archE910ELNS1_3gpuE8ELNS1_3repE0EEENS1_30default_config_static_selectorELNS0_4arch9wavefront6targetE1EEEvT1_.num_named_barrier, 0
	.set _ZN7rocprim17ROCPRIM_400000_NS6detail17trampoline_kernelINS0_14default_configENS1_25partition_config_selectorILNS1_17partition_subalgoE9EllbEEZZNS1_14partition_implILS5_9ELb0ES3_jPlS8_PNS0_10empty_typeENS0_5tupleIJS8_S9_EEENSB_IJS8_SA_EEENS0_18inequality_wrapperIZN2at6native12_GLOBAL__N_124unique_dim_cuda_templateItEESt5tupleIJNSF_6TensorESK_SK_EERKSK_lbbbEUlllE0_EEPmJS9_EEE10hipError_tPvRmT3_T4_T5_T6_T7_T9_mT8_P12ihipStream_tbDpT10_ENKUlT_T0_E_clISt17integral_constantIbLb1EES19_IbLb0EEEEDaS15_S16_EUlS15_E_NS1_11comp_targetILNS1_3genE4ELNS1_11target_archE910ELNS1_3gpuE8ELNS1_3repE0EEENS1_30default_config_static_selectorELNS0_4arch9wavefront6targetE1EEEvT1_.private_seg_size, 0
	.set _ZN7rocprim17ROCPRIM_400000_NS6detail17trampoline_kernelINS0_14default_configENS1_25partition_config_selectorILNS1_17partition_subalgoE9EllbEEZZNS1_14partition_implILS5_9ELb0ES3_jPlS8_PNS0_10empty_typeENS0_5tupleIJS8_S9_EEENSB_IJS8_SA_EEENS0_18inequality_wrapperIZN2at6native12_GLOBAL__N_124unique_dim_cuda_templateItEESt5tupleIJNSF_6TensorESK_SK_EERKSK_lbbbEUlllE0_EEPmJS9_EEE10hipError_tPvRmT3_T4_T5_T6_T7_T9_mT8_P12ihipStream_tbDpT10_ENKUlT_T0_E_clISt17integral_constantIbLb1EES19_IbLb0EEEEDaS15_S16_EUlS15_E_NS1_11comp_targetILNS1_3genE4ELNS1_11target_archE910ELNS1_3gpuE8ELNS1_3repE0EEENS1_30default_config_static_selectorELNS0_4arch9wavefront6targetE1EEEvT1_.uses_vcc, 0
	.set _ZN7rocprim17ROCPRIM_400000_NS6detail17trampoline_kernelINS0_14default_configENS1_25partition_config_selectorILNS1_17partition_subalgoE9EllbEEZZNS1_14partition_implILS5_9ELb0ES3_jPlS8_PNS0_10empty_typeENS0_5tupleIJS8_S9_EEENSB_IJS8_SA_EEENS0_18inequality_wrapperIZN2at6native12_GLOBAL__N_124unique_dim_cuda_templateItEESt5tupleIJNSF_6TensorESK_SK_EERKSK_lbbbEUlllE0_EEPmJS9_EEE10hipError_tPvRmT3_T4_T5_T6_T7_T9_mT8_P12ihipStream_tbDpT10_ENKUlT_T0_E_clISt17integral_constantIbLb1EES19_IbLb0EEEEDaS15_S16_EUlS15_E_NS1_11comp_targetILNS1_3genE4ELNS1_11target_archE910ELNS1_3gpuE8ELNS1_3repE0EEENS1_30default_config_static_selectorELNS0_4arch9wavefront6targetE1EEEvT1_.uses_flat_scratch, 0
	.set _ZN7rocprim17ROCPRIM_400000_NS6detail17trampoline_kernelINS0_14default_configENS1_25partition_config_selectorILNS1_17partition_subalgoE9EllbEEZZNS1_14partition_implILS5_9ELb0ES3_jPlS8_PNS0_10empty_typeENS0_5tupleIJS8_S9_EEENSB_IJS8_SA_EEENS0_18inequality_wrapperIZN2at6native12_GLOBAL__N_124unique_dim_cuda_templateItEESt5tupleIJNSF_6TensorESK_SK_EERKSK_lbbbEUlllE0_EEPmJS9_EEE10hipError_tPvRmT3_T4_T5_T6_T7_T9_mT8_P12ihipStream_tbDpT10_ENKUlT_T0_E_clISt17integral_constantIbLb1EES19_IbLb0EEEEDaS15_S16_EUlS15_E_NS1_11comp_targetILNS1_3genE4ELNS1_11target_archE910ELNS1_3gpuE8ELNS1_3repE0EEENS1_30default_config_static_selectorELNS0_4arch9wavefront6targetE1EEEvT1_.has_dyn_sized_stack, 0
	.set _ZN7rocprim17ROCPRIM_400000_NS6detail17trampoline_kernelINS0_14default_configENS1_25partition_config_selectorILNS1_17partition_subalgoE9EllbEEZZNS1_14partition_implILS5_9ELb0ES3_jPlS8_PNS0_10empty_typeENS0_5tupleIJS8_S9_EEENSB_IJS8_SA_EEENS0_18inequality_wrapperIZN2at6native12_GLOBAL__N_124unique_dim_cuda_templateItEESt5tupleIJNSF_6TensorESK_SK_EERKSK_lbbbEUlllE0_EEPmJS9_EEE10hipError_tPvRmT3_T4_T5_T6_T7_T9_mT8_P12ihipStream_tbDpT10_ENKUlT_T0_E_clISt17integral_constantIbLb1EES19_IbLb0EEEEDaS15_S16_EUlS15_E_NS1_11comp_targetILNS1_3genE4ELNS1_11target_archE910ELNS1_3gpuE8ELNS1_3repE0EEENS1_30default_config_static_selectorELNS0_4arch9wavefront6targetE1EEEvT1_.has_recursion, 0
	.set _ZN7rocprim17ROCPRIM_400000_NS6detail17trampoline_kernelINS0_14default_configENS1_25partition_config_selectorILNS1_17partition_subalgoE9EllbEEZZNS1_14partition_implILS5_9ELb0ES3_jPlS8_PNS0_10empty_typeENS0_5tupleIJS8_S9_EEENSB_IJS8_SA_EEENS0_18inequality_wrapperIZN2at6native12_GLOBAL__N_124unique_dim_cuda_templateItEESt5tupleIJNSF_6TensorESK_SK_EERKSK_lbbbEUlllE0_EEPmJS9_EEE10hipError_tPvRmT3_T4_T5_T6_T7_T9_mT8_P12ihipStream_tbDpT10_ENKUlT_T0_E_clISt17integral_constantIbLb1EES19_IbLb0EEEEDaS15_S16_EUlS15_E_NS1_11comp_targetILNS1_3genE4ELNS1_11target_archE910ELNS1_3gpuE8ELNS1_3repE0EEENS1_30default_config_static_selectorELNS0_4arch9wavefront6targetE1EEEvT1_.has_indirect_call, 0
	.section	.AMDGPU.csdata,"",@progbits
; Kernel info:
; codeLenInByte = 0
; TotalNumSgprs: 6
; NumVgprs: 0
; NumAgprs: 0
; TotalNumVgprs: 0
; ScratchSize: 0
; MemoryBound: 0
; FloatMode: 240
; IeeeMode: 1
; LDSByteSize: 0 bytes/workgroup (compile time only)
; SGPRBlocks: 0
; VGPRBlocks: 0
; NumSGPRsForWavesPerEU: 6
; NumVGPRsForWavesPerEU: 1
; AccumOffset: 4
; Occupancy: 8
; WaveLimiterHint : 0
; COMPUTE_PGM_RSRC2:SCRATCH_EN: 0
; COMPUTE_PGM_RSRC2:USER_SGPR: 2
; COMPUTE_PGM_RSRC2:TRAP_HANDLER: 0
; COMPUTE_PGM_RSRC2:TGID_X_EN: 1
; COMPUTE_PGM_RSRC2:TGID_Y_EN: 0
; COMPUTE_PGM_RSRC2:TGID_Z_EN: 0
; COMPUTE_PGM_RSRC2:TIDIG_COMP_CNT: 0
; COMPUTE_PGM_RSRC3_GFX90A:ACCUM_OFFSET: 0
; COMPUTE_PGM_RSRC3_GFX90A:TG_SPLIT: 0
	.section	.text._ZN7rocprim17ROCPRIM_400000_NS6detail17trampoline_kernelINS0_14default_configENS1_25partition_config_selectorILNS1_17partition_subalgoE9EllbEEZZNS1_14partition_implILS5_9ELb0ES3_jPlS8_PNS0_10empty_typeENS0_5tupleIJS8_S9_EEENSB_IJS8_SA_EEENS0_18inequality_wrapperIZN2at6native12_GLOBAL__N_124unique_dim_cuda_templateItEESt5tupleIJNSF_6TensorESK_SK_EERKSK_lbbbEUlllE0_EEPmJS9_EEE10hipError_tPvRmT3_T4_T5_T6_T7_T9_mT8_P12ihipStream_tbDpT10_ENKUlT_T0_E_clISt17integral_constantIbLb1EES19_IbLb0EEEEDaS15_S16_EUlS15_E_NS1_11comp_targetILNS1_3genE3ELNS1_11target_archE908ELNS1_3gpuE7ELNS1_3repE0EEENS1_30default_config_static_selectorELNS0_4arch9wavefront6targetE1EEEvT1_,"axG",@progbits,_ZN7rocprim17ROCPRIM_400000_NS6detail17trampoline_kernelINS0_14default_configENS1_25partition_config_selectorILNS1_17partition_subalgoE9EllbEEZZNS1_14partition_implILS5_9ELb0ES3_jPlS8_PNS0_10empty_typeENS0_5tupleIJS8_S9_EEENSB_IJS8_SA_EEENS0_18inequality_wrapperIZN2at6native12_GLOBAL__N_124unique_dim_cuda_templateItEESt5tupleIJNSF_6TensorESK_SK_EERKSK_lbbbEUlllE0_EEPmJS9_EEE10hipError_tPvRmT3_T4_T5_T6_T7_T9_mT8_P12ihipStream_tbDpT10_ENKUlT_T0_E_clISt17integral_constantIbLb1EES19_IbLb0EEEEDaS15_S16_EUlS15_E_NS1_11comp_targetILNS1_3genE3ELNS1_11target_archE908ELNS1_3gpuE7ELNS1_3repE0EEENS1_30default_config_static_selectorELNS0_4arch9wavefront6targetE1EEEvT1_,comdat
	.globl	_ZN7rocprim17ROCPRIM_400000_NS6detail17trampoline_kernelINS0_14default_configENS1_25partition_config_selectorILNS1_17partition_subalgoE9EllbEEZZNS1_14partition_implILS5_9ELb0ES3_jPlS8_PNS0_10empty_typeENS0_5tupleIJS8_S9_EEENSB_IJS8_SA_EEENS0_18inequality_wrapperIZN2at6native12_GLOBAL__N_124unique_dim_cuda_templateItEESt5tupleIJNSF_6TensorESK_SK_EERKSK_lbbbEUlllE0_EEPmJS9_EEE10hipError_tPvRmT3_T4_T5_T6_T7_T9_mT8_P12ihipStream_tbDpT10_ENKUlT_T0_E_clISt17integral_constantIbLb1EES19_IbLb0EEEEDaS15_S16_EUlS15_E_NS1_11comp_targetILNS1_3genE3ELNS1_11target_archE908ELNS1_3gpuE7ELNS1_3repE0EEENS1_30default_config_static_selectorELNS0_4arch9wavefront6targetE1EEEvT1_ ; -- Begin function _ZN7rocprim17ROCPRIM_400000_NS6detail17trampoline_kernelINS0_14default_configENS1_25partition_config_selectorILNS1_17partition_subalgoE9EllbEEZZNS1_14partition_implILS5_9ELb0ES3_jPlS8_PNS0_10empty_typeENS0_5tupleIJS8_S9_EEENSB_IJS8_SA_EEENS0_18inequality_wrapperIZN2at6native12_GLOBAL__N_124unique_dim_cuda_templateItEESt5tupleIJNSF_6TensorESK_SK_EERKSK_lbbbEUlllE0_EEPmJS9_EEE10hipError_tPvRmT3_T4_T5_T6_T7_T9_mT8_P12ihipStream_tbDpT10_ENKUlT_T0_E_clISt17integral_constantIbLb1EES19_IbLb0EEEEDaS15_S16_EUlS15_E_NS1_11comp_targetILNS1_3genE3ELNS1_11target_archE908ELNS1_3gpuE7ELNS1_3repE0EEENS1_30default_config_static_selectorELNS0_4arch9wavefront6targetE1EEEvT1_
	.p2align	8
	.type	_ZN7rocprim17ROCPRIM_400000_NS6detail17trampoline_kernelINS0_14default_configENS1_25partition_config_selectorILNS1_17partition_subalgoE9EllbEEZZNS1_14partition_implILS5_9ELb0ES3_jPlS8_PNS0_10empty_typeENS0_5tupleIJS8_S9_EEENSB_IJS8_SA_EEENS0_18inequality_wrapperIZN2at6native12_GLOBAL__N_124unique_dim_cuda_templateItEESt5tupleIJNSF_6TensorESK_SK_EERKSK_lbbbEUlllE0_EEPmJS9_EEE10hipError_tPvRmT3_T4_T5_T6_T7_T9_mT8_P12ihipStream_tbDpT10_ENKUlT_T0_E_clISt17integral_constantIbLb1EES19_IbLb0EEEEDaS15_S16_EUlS15_E_NS1_11comp_targetILNS1_3genE3ELNS1_11target_archE908ELNS1_3gpuE7ELNS1_3repE0EEENS1_30default_config_static_selectorELNS0_4arch9wavefront6targetE1EEEvT1_,@function
_ZN7rocprim17ROCPRIM_400000_NS6detail17trampoline_kernelINS0_14default_configENS1_25partition_config_selectorILNS1_17partition_subalgoE9EllbEEZZNS1_14partition_implILS5_9ELb0ES3_jPlS8_PNS0_10empty_typeENS0_5tupleIJS8_S9_EEENSB_IJS8_SA_EEENS0_18inequality_wrapperIZN2at6native12_GLOBAL__N_124unique_dim_cuda_templateItEESt5tupleIJNSF_6TensorESK_SK_EERKSK_lbbbEUlllE0_EEPmJS9_EEE10hipError_tPvRmT3_T4_T5_T6_T7_T9_mT8_P12ihipStream_tbDpT10_ENKUlT_T0_E_clISt17integral_constantIbLb1EES19_IbLb0EEEEDaS15_S16_EUlS15_E_NS1_11comp_targetILNS1_3genE3ELNS1_11target_archE908ELNS1_3gpuE7ELNS1_3repE0EEENS1_30default_config_static_selectorELNS0_4arch9wavefront6targetE1EEEvT1_: ; @_ZN7rocprim17ROCPRIM_400000_NS6detail17trampoline_kernelINS0_14default_configENS1_25partition_config_selectorILNS1_17partition_subalgoE9EllbEEZZNS1_14partition_implILS5_9ELb0ES3_jPlS8_PNS0_10empty_typeENS0_5tupleIJS8_S9_EEENSB_IJS8_SA_EEENS0_18inequality_wrapperIZN2at6native12_GLOBAL__N_124unique_dim_cuda_templateItEESt5tupleIJNSF_6TensorESK_SK_EERKSK_lbbbEUlllE0_EEPmJS9_EEE10hipError_tPvRmT3_T4_T5_T6_T7_T9_mT8_P12ihipStream_tbDpT10_ENKUlT_T0_E_clISt17integral_constantIbLb1EES19_IbLb0EEEEDaS15_S16_EUlS15_E_NS1_11comp_targetILNS1_3genE3ELNS1_11target_archE908ELNS1_3gpuE7ELNS1_3repE0EEENS1_30default_config_static_selectorELNS0_4arch9wavefront6targetE1EEEvT1_
; %bb.0:
	.section	.rodata,"a",@progbits
	.p2align	6, 0x0
	.amdhsa_kernel _ZN7rocprim17ROCPRIM_400000_NS6detail17trampoline_kernelINS0_14default_configENS1_25partition_config_selectorILNS1_17partition_subalgoE9EllbEEZZNS1_14partition_implILS5_9ELb0ES3_jPlS8_PNS0_10empty_typeENS0_5tupleIJS8_S9_EEENSB_IJS8_SA_EEENS0_18inequality_wrapperIZN2at6native12_GLOBAL__N_124unique_dim_cuda_templateItEESt5tupleIJNSF_6TensorESK_SK_EERKSK_lbbbEUlllE0_EEPmJS9_EEE10hipError_tPvRmT3_T4_T5_T6_T7_T9_mT8_P12ihipStream_tbDpT10_ENKUlT_T0_E_clISt17integral_constantIbLb1EES19_IbLb0EEEEDaS15_S16_EUlS15_E_NS1_11comp_targetILNS1_3genE3ELNS1_11target_archE908ELNS1_3gpuE7ELNS1_3repE0EEENS1_30default_config_static_selectorELNS0_4arch9wavefront6targetE1EEEvT1_
		.amdhsa_group_segment_fixed_size 0
		.amdhsa_private_segment_fixed_size 0
		.amdhsa_kernarg_size 120
		.amdhsa_user_sgpr_count 2
		.amdhsa_user_sgpr_dispatch_ptr 0
		.amdhsa_user_sgpr_queue_ptr 0
		.amdhsa_user_sgpr_kernarg_segment_ptr 1
		.amdhsa_user_sgpr_dispatch_id 0
		.amdhsa_user_sgpr_kernarg_preload_length 0
		.amdhsa_user_sgpr_kernarg_preload_offset 0
		.amdhsa_user_sgpr_private_segment_size 0
		.amdhsa_uses_dynamic_stack 0
		.amdhsa_enable_private_segment 0
		.amdhsa_system_sgpr_workgroup_id_x 1
		.amdhsa_system_sgpr_workgroup_id_y 0
		.amdhsa_system_sgpr_workgroup_id_z 0
		.amdhsa_system_sgpr_workgroup_info 0
		.amdhsa_system_vgpr_workitem_id 0
		.amdhsa_next_free_vgpr 1
		.amdhsa_next_free_sgpr 0
		.amdhsa_accum_offset 4
		.amdhsa_reserve_vcc 0
		.amdhsa_float_round_mode_32 0
		.amdhsa_float_round_mode_16_64 0
		.amdhsa_float_denorm_mode_32 3
		.amdhsa_float_denorm_mode_16_64 3
		.amdhsa_dx10_clamp 1
		.amdhsa_ieee_mode 1
		.amdhsa_fp16_overflow 0
		.amdhsa_tg_split 0
		.amdhsa_exception_fp_ieee_invalid_op 0
		.amdhsa_exception_fp_denorm_src 0
		.amdhsa_exception_fp_ieee_div_zero 0
		.amdhsa_exception_fp_ieee_overflow 0
		.amdhsa_exception_fp_ieee_underflow 0
		.amdhsa_exception_fp_ieee_inexact 0
		.amdhsa_exception_int_div_zero 0
	.end_amdhsa_kernel
	.section	.text._ZN7rocprim17ROCPRIM_400000_NS6detail17trampoline_kernelINS0_14default_configENS1_25partition_config_selectorILNS1_17partition_subalgoE9EllbEEZZNS1_14partition_implILS5_9ELb0ES3_jPlS8_PNS0_10empty_typeENS0_5tupleIJS8_S9_EEENSB_IJS8_SA_EEENS0_18inequality_wrapperIZN2at6native12_GLOBAL__N_124unique_dim_cuda_templateItEESt5tupleIJNSF_6TensorESK_SK_EERKSK_lbbbEUlllE0_EEPmJS9_EEE10hipError_tPvRmT3_T4_T5_T6_T7_T9_mT8_P12ihipStream_tbDpT10_ENKUlT_T0_E_clISt17integral_constantIbLb1EES19_IbLb0EEEEDaS15_S16_EUlS15_E_NS1_11comp_targetILNS1_3genE3ELNS1_11target_archE908ELNS1_3gpuE7ELNS1_3repE0EEENS1_30default_config_static_selectorELNS0_4arch9wavefront6targetE1EEEvT1_,"axG",@progbits,_ZN7rocprim17ROCPRIM_400000_NS6detail17trampoline_kernelINS0_14default_configENS1_25partition_config_selectorILNS1_17partition_subalgoE9EllbEEZZNS1_14partition_implILS5_9ELb0ES3_jPlS8_PNS0_10empty_typeENS0_5tupleIJS8_S9_EEENSB_IJS8_SA_EEENS0_18inequality_wrapperIZN2at6native12_GLOBAL__N_124unique_dim_cuda_templateItEESt5tupleIJNSF_6TensorESK_SK_EERKSK_lbbbEUlllE0_EEPmJS9_EEE10hipError_tPvRmT3_T4_T5_T6_T7_T9_mT8_P12ihipStream_tbDpT10_ENKUlT_T0_E_clISt17integral_constantIbLb1EES19_IbLb0EEEEDaS15_S16_EUlS15_E_NS1_11comp_targetILNS1_3genE3ELNS1_11target_archE908ELNS1_3gpuE7ELNS1_3repE0EEENS1_30default_config_static_selectorELNS0_4arch9wavefront6targetE1EEEvT1_,comdat
.Lfunc_end1470:
	.size	_ZN7rocprim17ROCPRIM_400000_NS6detail17trampoline_kernelINS0_14default_configENS1_25partition_config_selectorILNS1_17partition_subalgoE9EllbEEZZNS1_14partition_implILS5_9ELb0ES3_jPlS8_PNS0_10empty_typeENS0_5tupleIJS8_S9_EEENSB_IJS8_SA_EEENS0_18inequality_wrapperIZN2at6native12_GLOBAL__N_124unique_dim_cuda_templateItEESt5tupleIJNSF_6TensorESK_SK_EERKSK_lbbbEUlllE0_EEPmJS9_EEE10hipError_tPvRmT3_T4_T5_T6_T7_T9_mT8_P12ihipStream_tbDpT10_ENKUlT_T0_E_clISt17integral_constantIbLb1EES19_IbLb0EEEEDaS15_S16_EUlS15_E_NS1_11comp_targetILNS1_3genE3ELNS1_11target_archE908ELNS1_3gpuE7ELNS1_3repE0EEENS1_30default_config_static_selectorELNS0_4arch9wavefront6targetE1EEEvT1_, .Lfunc_end1470-_ZN7rocprim17ROCPRIM_400000_NS6detail17trampoline_kernelINS0_14default_configENS1_25partition_config_selectorILNS1_17partition_subalgoE9EllbEEZZNS1_14partition_implILS5_9ELb0ES3_jPlS8_PNS0_10empty_typeENS0_5tupleIJS8_S9_EEENSB_IJS8_SA_EEENS0_18inequality_wrapperIZN2at6native12_GLOBAL__N_124unique_dim_cuda_templateItEESt5tupleIJNSF_6TensorESK_SK_EERKSK_lbbbEUlllE0_EEPmJS9_EEE10hipError_tPvRmT3_T4_T5_T6_T7_T9_mT8_P12ihipStream_tbDpT10_ENKUlT_T0_E_clISt17integral_constantIbLb1EES19_IbLb0EEEEDaS15_S16_EUlS15_E_NS1_11comp_targetILNS1_3genE3ELNS1_11target_archE908ELNS1_3gpuE7ELNS1_3repE0EEENS1_30default_config_static_selectorELNS0_4arch9wavefront6targetE1EEEvT1_
                                        ; -- End function
	.set _ZN7rocprim17ROCPRIM_400000_NS6detail17trampoline_kernelINS0_14default_configENS1_25partition_config_selectorILNS1_17partition_subalgoE9EllbEEZZNS1_14partition_implILS5_9ELb0ES3_jPlS8_PNS0_10empty_typeENS0_5tupleIJS8_S9_EEENSB_IJS8_SA_EEENS0_18inequality_wrapperIZN2at6native12_GLOBAL__N_124unique_dim_cuda_templateItEESt5tupleIJNSF_6TensorESK_SK_EERKSK_lbbbEUlllE0_EEPmJS9_EEE10hipError_tPvRmT3_T4_T5_T6_T7_T9_mT8_P12ihipStream_tbDpT10_ENKUlT_T0_E_clISt17integral_constantIbLb1EES19_IbLb0EEEEDaS15_S16_EUlS15_E_NS1_11comp_targetILNS1_3genE3ELNS1_11target_archE908ELNS1_3gpuE7ELNS1_3repE0EEENS1_30default_config_static_selectorELNS0_4arch9wavefront6targetE1EEEvT1_.num_vgpr, 0
	.set _ZN7rocprim17ROCPRIM_400000_NS6detail17trampoline_kernelINS0_14default_configENS1_25partition_config_selectorILNS1_17partition_subalgoE9EllbEEZZNS1_14partition_implILS5_9ELb0ES3_jPlS8_PNS0_10empty_typeENS0_5tupleIJS8_S9_EEENSB_IJS8_SA_EEENS0_18inequality_wrapperIZN2at6native12_GLOBAL__N_124unique_dim_cuda_templateItEESt5tupleIJNSF_6TensorESK_SK_EERKSK_lbbbEUlllE0_EEPmJS9_EEE10hipError_tPvRmT3_T4_T5_T6_T7_T9_mT8_P12ihipStream_tbDpT10_ENKUlT_T0_E_clISt17integral_constantIbLb1EES19_IbLb0EEEEDaS15_S16_EUlS15_E_NS1_11comp_targetILNS1_3genE3ELNS1_11target_archE908ELNS1_3gpuE7ELNS1_3repE0EEENS1_30default_config_static_selectorELNS0_4arch9wavefront6targetE1EEEvT1_.num_agpr, 0
	.set _ZN7rocprim17ROCPRIM_400000_NS6detail17trampoline_kernelINS0_14default_configENS1_25partition_config_selectorILNS1_17partition_subalgoE9EllbEEZZNS1_14partition_implILS5_9ELb0ES3_jPlS8_PNS0_10empty_typeENS0_5tupleIJS8_S9_EEENSB_IJS8_SA_EEENS0_18inequality_wrapperIZN2at6native12_GLOBAL__N_124unique_dim_cuda_templateItEESt5tupleIJNSF_6TensorESK_SK_EERKSK_lbbbEUlllE0_EEPmJS9_EEE10hipError_tPvRmT3_T4_T5_T6_T7_T9_mT8_P12ihipStream_tbDpT10_ENKUlT_T0_E_clISt17integral_constantIbLb1EES19_IbLb0EEEEDaS15_S16_EUlS15_E_NS1_11comp_targetILNS1_3genE3ELNS1_11target_archE908ELNS1_3gpuE7ELNS1_3repE0EEENS1_30default_config_static_selectorELNS0_4arch9wavefront6targetE1EEEvT1_.numbered_sgpr, 0
	.set _ZN7rocprim17ROCPRIM_400000_NS6detail17trampoline_kernelINS0_14default_configENS1_25partition_config_selectorILNS1_17partition_subalgoE9EllbEEZZNS1_14partition_implILS5_9ELb0ES3_jPlS8_PNS0_10empty_typeENS0_5tupleIJS8_S9_EEENSB_IJS8_SA_EEENS0_18inequality_wrapperIZN2at6native12_GLOBAL__N_124unique_dim_cuda_templateItEESt5tupleIJNSF_6TensorESK_SK_EERKSK_lbbbEUlllE0_EEPmJS9_EEE10hipError_tPvRmT3_T4_T5_T6_T7_T9_mT8_P12ihipStream_tbDpT10_ENKUlT_T0_E_clISt17integral_constantIbLb1EES19_IbLb0EEEEDaS15_S16_EUlS15_E_NS1_11comp_targetILNS1_3genE3ELNS1_11target_archE908ELNS1_3gpuE7ELNS1_3repE0EEENS1_30default_config_static_selectorELNS0_4arch9wavefront6targetE1EEEvT1_.num_named_barrier, 0
	.set _ZN7rocprim17ROCPRIM_400000_NS6detail17trampoline_kernelINS0_14default_configENS1_25partition_config_selectorILNS1_17partition_subalgoE9EllbEEZZNS1_14partition_implILS5_9ELb0ES3_jPlS8_PNS0_10empty_typeENS0_5tupleIJS8_S9_EEENSB_IJS8_SA_EEENS0_18inequality_wrapperIZN2at6native12_GLOBAL__N_124unique_dim_cuda_templateItEESt5tupleIJNSF_6TensorESK_SK_EERKSK_lbbbEUlllE0_EEPmJS9_EEE10hipError_tPvRmT3_T4_T5_T6_T7_T9_mT8_P12ihipStream_tbDpT10_ENKUlT_T0_E_clISt17integral_constantIbLb1EES19_IbLb0EEEEDaS15_S16_EUlS15_E_NS1_11comp_targetILNS1_3genE3ELNS1_11target_archE908ELNS1_3gpuE7ELNS1_3repE0EEENS1_30default_config_static_selectorELNS0_4arch9wavefront6targetE1EEEvT1_.private_seg_size, 0
	.set _ZN7rocprim17ROCPRIM_400000_NS6detail17trampoline_kernelINS0_14default_configENS1_25partition_config_selectorILNS1_17partition_subalgoE9EllbEEZZNS1_14partition_implILS5_9ELb0ES3_jPlS8_PNS0_10empty_typeENS0_5tupleIJS8_S9_EEENSB_IJS8_SA_EEENS0_18inequality_wrapperIZN2at6native12_GLOBAL__N_124unique_dim_cuda_templateItEESt5tupleIJNSF_6TensorESK_SK_EERKSK_lbbbEUlllE0_EEPmJS9_EEE10hipError_tPvRmT3_T4_T5_T6_T7_T9_mT8_P12ihipStream_tbDpT10_ENKUlT_T0_E_clISt17integral_constantIbLb1EES19_IbLb0EEEEDaS15_S16_EUlS15_E_NS1_11comp_targetILNS1_3genE3ELNS1_11target_archE908ELNS1_3gpuE7ELNS1_3repE0EEENS1_30default_config_static_selectorELNS0_4arch9wavefront6targetE1EEEvT1_.uses_vcc, 0
	.set _ZN7rocprim17ROCPRIM_400000_NS6detail17trampoline_kernelINS0_14default_configENS1_25partition_config_selectorILNS1_17partition_subalgoE9EllbEEZZNS1_14partition_implILS5_9ELb0ES3_jPlS8_PNS0_10empty_typeENS0_5tupleIJS8_S9_EEENSB_IJS8_SA_EEENS0_18inequality_wrapperIZN2at6native12_GLOBAL__N_124unique_dim_cuda_templateItEESt5tupleIJNSF_6TensorESK_SK_EERKSK_lbbbEUlllE0_EEPmJS9_EEE10hipError_tPvRmT3_T4_T5_T6_T7_T9_mT8_P12ihipStream_tbDpT10_ENKUlT_T0_E_clISt17integral_constantIbLb1EES19_IbLb0EEEEDaS15_S16_EUlS15_E_NS1_11comp_targetILNS1_3genE3ELNS1_11target_archE908ELNS1_3gpuE7ELNS1_3repE0EEENS1_30default_config_static_selectorELNS0_4arch9wavefront6targetE1EEEvT1_.uses_flat_scratch, 0
	.set _ZN7rocprim17ROCPRIM_400000_NS6detail17trampoline_kernelINS0_14default_configENS1_25partition_config_selectorILNS1_17partition_subalgoE9EllbEEZZNS1_14partition_implILS5_9ELb0ES3_jPlS8_PNS0_10empty_typeENS0_5tupleIJS8_S9_EEENSB_IJS8_SA_EEENS0_18inequality_wrapperIZN2at6native12_GLOBAL__N_124unique_dim_cuda_templateItEESt5tupleIJNSF_6TensorESK_SK_EERKSK_lbbbEUlllE0_EEPmJS9_EEE10hipError_tPvRmT3_T4_T5_T6_T7_T9_mT8_P12ihipStream_tbDpT10_ENKUlT_T0_E_clISt17integral_constantIbLb1EES19_IbLb0EEEEDaS15_S16_EUlS15_E_NS1_11comp_targetILNS1_3genE3ELNS1_11target_archE908ELNS1_3gpuE7ELNS1_3repE0EEENS1_30default_config_static_selectorELNS0_4arch9wavefront6targetE1EEEvT1_.has_dyn_sized_stack, 0
	.set _ZN7rocprim17ROCPRIM_400000_NS6detail17trampoline_kernelINS0_14default_configENS1_25partition_config_selectorILNS1_17partition_subalgoE9EllbEEZZNS1_14partition_implILS5_9ELb0ES3_jPlS8_PNS0_10empty_typeENS0_5tupleIJS8_S9_EEENSB_IJS8_SA_EEENS0_18inequality_wrapperIZN2at6native12_GLOBAL__N_124unique_dim_cuda_templateItEESt5tupleIJNSF_6TensorESK_SK_EERKSK_lbbbEUlllE0_EEPmJS9_EEE10hipError_tPvRmT3_T4_T5_T6_T7_T9_mT8_P12ihipStream_tbDpT10_ENKUlT_T0_E_clISt17integral_constantIbLb1EES19_IbLb0EEEEDaS15_S16_EUlS15_E_NS1_11comp_targetILNS1_3genE3ELNS1_11target_archE908ELNS1_3gpuE7ELNS1_3repE0EEENS1_30default_config_static_selectorELNS0_4arch9wavefront6targetE1EEEvT1_.has_recursion, 0
	.set _ZN7rocprim17ROCPRIM_400000_NS6detail17trampoline_kernelINS0_14default_configENS1_25partition_config_selectorILNS1_17partition_subalgoE9EllbEEZZNS1_14partition_implILS5_9ELb0ES3_jPlS8_PNS0_10empty_typeENS0_5tupleIJS8_S9_EEENSB_IJS8_SA_EEENS0_18inequality_wrapperIZN2at6native12_GLOBAL__N_124unique_dim_cuda_templateItEESt5tupleIJNSF_6TensorESK_SK_EERKSK_lbbbEUlllE0_EEPmJS9_EEE10hipError_tPvRmT3_T4_T5_T6_T7_T9_mT8_P12ihipStream_tbDpT10_ENKUlT_T0_E_clISt17integral_constantIbLb1EES19_IbLb0EEEEDaS15_S16_EUlS15_E_NS1_11comp_targetILNS1_3genE3ELNS1_11target_archE908ELNS1_3gpuE7ELNS1_3repE0EEENS1_30default_config_static_selectorELNS0_4arch9wavefront6targetE1EEEvT1_.has_indirect_call, 0
	.section	.AMDGPU.csdata,"",@progbits
; Kernel info:
; codeLenInByte = 0
; TotalNumSgprs: 6
; NumVgprs: 0
; NumAgprs: 0
; TotalNumVgprs: 0
; ScratchSize: 0
; MemoryBound: 0
; FloatMode: 240
; IeeeMode: 1
; LDSByteSize: 0 bytes/workgroup (compile time only)
; SGPRBlocks: 0
; VGPRBlocks: 0
; NumSGPRsForWavesPerEU: 6
; NumVGPRsForWavesPerEU: 1
; AccumOffset: 4
; Occupancy: 8
; WaveLimiterHint : 0
; COMPUTE_PGM_RSRC2:SCRATCH_EN: 0
; COMPUTE_PGM_RSRC2:USER_SGPR: 2
; COMPUTE_PGM_RSRC2:TRAP_HANDLER: 0
; COMPUTE_PGM_RSRC2:TGID_X_EN: 1
; COMPUTE_PGM_RSRC2:TGID_Y_EN: 0
; COMPUTE_PGM_RSRC2:TGID_Z_EN: 0
; COMPUTE_PGM_RSRC2:TIDIG_COMP_CNT: 0
; COMPUTE_PGM_RSRC3_GFX90A:ACCUM_OFFSET: 0
; COMPUTE_PGM_RSRC3_GFX90A:TG_SPLIT: 0
	.section	.text._ZN7rocprim17ROCPRIM_400000_NS6detail17trampoline_kernelINS0_14default_configENS1_25partition_config_selectorILNS1_17partition_subalgoE9EllbEEZZNS1_14partition_implILS5_9ELb0ES3_jPlS8_PNS0_10empty_typeENS0_5tupleIJS8_S9_EEENSB_IJS8_SA_EEENS0_18inequality_wrapperIZN2at6native12_GLOBAL__N_124unique_dim_cuda_templateItEESt5tupleIJNSF_6TensorESK_SK_EERKSK_lbbbEUlllE0_EEPmJS9_EEE10hipError_tPvRmT3_T4_T5_T6_T7_T9_mT8_P12ihipStream_tbDpT10_ENKUlT_T0_E_clISt17integral_constantIbLb1EES19_IbLb0EEEEDaS15_S16_EUlS15_E_NS1_11comp_targetILNS1_3genE2ELNS1_11target_archE906ELNS1_3gpuE6ELNS1_3repE0EEENS1_30default_config_static_selectorELNS0_4arch9wavefront6targetE1EEEvT1_,"axG",@progbits,_ZN7rocprim17ROCPRIM_400000_NS6detail17trampoline_kernelINS0_14default_configENS1_25partition_config_selectorILNS1_17partition_subalgoE9EllbEEZZNS1_14partition_implILS5_9ELb0ES3_jPlS8_PNS0_10empty_typeENS0_5tupleIJS8_S9_EEENSB_IJS8_SA_EEENS0_18inequality_wrapperIZN2at6native12_GLOBAL__N_124unique_dim_cuda_templateItEESt5tupleIJNSF_6TensorESK_SK_EERKSK_lbbbEUlllE0_EEPmJS9_EEE10hipError_tPvRmT3_T4_T5_T6_T7_T9_mT8_P12ihipStream_tbDpT10_ENKUlT_T0_E_clISt17integral_constantIbLb1EES19_IbLb0EEEEDaS15_S16_EUlS15_E_NS1_11comp_targetILNS1_3genE2ELNS1_11target_archE906ELNS1_3gpuE6ELNS1_3repE0EEENS1_30default_config_static_selectorELNS0_4arch9wavefront6targetE1EEEvT1_,comdat
	.globl	_ZN7rocprim17ROCPRIM_400000_NS6detail17trampoline_kernelINS0_14default_configENS1_25partition_config_selectorILNS1_17partition_subalgoE9EllbEEZZNS1_14partition_implILS5_9ELb0ES3_jPlS8_PNS0_10empty_typeENS0_5tupleIJS8_S9_EEENSB_IJS8_SA_EEENS0_18inequality_wrapperIZN2at6native12_GLOBAL__N_124unique_dim_cuda_templateItEESt5tupleIJNSF_6TensorESK_SK_EERKSK_lbbbEUlllE0_EEPmJS9_EEE10hipError_tPvRmT3_T4_T5_T6_T7_T9_mT8_P12ihipStream_tbDpT10_ENKUlT_T0_E_clISt17integral_constantIbLb1EES19_IbLb0EEEEDaS15_S16_EUlS15_E_NS1_11comp_targetILNS1_3genE2ELNS1_11target_archE906ELNS1_3gpuE6ELNS1_3repE0EEENS1_30default_config_static_selectorELNS0_4arch9wavefront6targetE1EEEvT1_ ; -- Begin function _ZN7rocprim17ROCPRIM_400000_NS6detail17trampoline_kernelINS0_14default_configENS1_25partition_config_selectorILNS1_17partition_subalgoE9EllbEEZZNS1_14partition_implILS5_9ELb0ES3_jPlS8_PNS0_10empty_typeENS0_5tupleIJS8_S9_EEENSB_IJS8_SA_EEENS0_18inequality_wrapperIZN2at6native12_GLOBAL__N_124unique_dim_cuda_templateItEESt5tupleIJNSF_6TensorESK_SK_EERKSK_lbbbEUlllE0_EEPmJS9_EEE10hipError_tPvRmT3_T4_T5_T6_T7_T9_mT8_P12ihipStream_tbDpT10_ENKUlT_T0_E_clISt17integral_constantIbLb1EES19_IbLb0EEEEDaS15_S16_EUlS15_E_NS1_11comp_targetILNS1_3genE2ELNS1_11target_archE906ELNS1_3gpuE6ELNS1_3repE0EEENS1_30default_config_static_selectorELNS0_4arch9wavefront6targetE1EEEvT1_
	.p2align	8
	.type	_ZN7rocprim17ROCPRIM_400000_NS6detail17trampoline_kernelINS0_14default_configENS1_25partition_config_selectorILNS1_17partition_subalgoE9EllbEEZZNS1_14partition_implILS5_9ELb0ES3_jPlS8_PNS0_10empty_typeENS0_5tupleIJS8_S9_EEENSB_IJS8_SA_EEENS0_18inequality_wrapperIZN2at6native12_GLOBAL__N_124unique_dim_cuda_templateItEESt5tupleIJNSF_6TensorESK_SK_EERKSK_lbbbEUlllE0_EEPmJS9_EEE10hipError_tPvRmT3_T4_T5_T6_T7_T9_mT8_P12ihipStream_tbDpT10_ENKUlT_T0_E_clISt17integral_constantIbLb1EES19_IbLb0EEEEDaS15_S16_EUlS15_E_NS1_11comp_targetILNS1_3genE2ELNS1_11target_archE906ELNS1_3gpuE6ELNS1_3repE0EEENS1_30default_config_static_selectorELNS0_4arch9wavefront6targetE1EEEvT1_,@function
_ZN7rocprim17ROCPRIM_400000_NS6detail17trampoline_kernelINS0_14default_configENS1_25partition_config_selectorILNS1_17partition_subalgoE9EllbEEZZNS1_14partition_implILS5_9ELb0ES3_jPlS8_PNS0_10empty_typeENS0_5tupleIJS8_S9_EEENSB_IJS8_SA_EEENS0_18inequality_wrapperIZN2at6native12_GLOBAL__N_124unique_dim_cuda_templateItEESt5tupleIJNSF_6TensorESK_SK_EERKSK_lbbbEUlllE0_EEPmJS9_EEE10hipError_tPvRmT3_T4_T5_T6_T7_T9_mT8_P12ihipStream_tbDpT10_ENKUlT_T0_E_clISt17integral_constantIbLb1EES19_IbLb0EEEEDaS15_S16_EUlS15_E_NS1_11comp_targetILNS1_3genE2ELNS1_11target_archE906ELNS1_3gpuE6ELNS1_3repE0EEENS1_30default_config_static_selectorELNS0_4arch9wavefront6targetE1EEEvT1_: ; @_ZN7rocprim17ROCPRIM_400000_NS6detail17trampoline_kernelINS0_14default_configENS1_25partition_config_selectorILNS1_17partition_subalgoE9EllbEEZZNS1_14partition_implILS5_9ELb0ES3_jPlS8_PNS0_10empty_typeENS0_5tupleIJS8_S9_EEENSB_IJS8_SA_EEENS0_18inequality_wrapperIZN2at6native12_GLOBAL__N_124unique_dim_cuda_templateItEESt5tupleIJNSF_6TensorESK_SK_EERKSK_lbbbEUlllE0_EEPmJS9_EEE10hipError_tPvRmT3_T4_T5_T6_T7_T9_mT8_P12ihipStream_tbDpT10_ENKUlT_T0_E_clISt17integral_constantIbLb1EES19_IbLb0EEEEDaS15_S16_EUlS15_E_NS1_11comp_targetILNS1_3genE2ELNS1_11target_archE906ELNS1_3gpuE6ELNS1_3repE0EEENS1_30default_config_static_selectorELNS0_4arch9wavefront6targetE1EEEvT1_
; %bb.0:
	.section	.rodata,"a",@progbits
	.p2align	6, 0x0
	.amdhsa_kernel _ZN7rocprim17ROCPRIM_400000_NS6detail17trampoline_kernelINS0_14default_configENS1_25partition_config_selectorILNS1_17partition_subalgoE9EllbEEZZNS1_14partition_implILS5_9ELb0ES3_jPlS8_PNS0_10empty_typeENS0_5tupleIJS8_S9_EEENSB_IJS8_SA_EEENS0_18inequality_wrapperIZN2at6native12_GLOBAL__N_124unique_dim_cuda_templateItEESt5tupleIJNSF_6TensorESK_SK_EERKSK_lbbbEUlllE0_EEPmJS9_EEE10hipError_tPvRmT3_T4_T5_T6_T7_T9_mT8_P12ihipStream_tbDpT10_ENKUlT_T0_E_clISt17integral_constantIbLb1EES19_IbLb0EEEEDaS15_S16_EUlS15_E_NS1_11comp_targetILNS1_3genE2ELNS1_11target_archE906ELNS1_3gpuE6ELNS1_3repE0EEENS1_30default_config_static_selectorELNS0_4arch9wavefront6targetE1EEEvT1_
		.amdhsa_group_segment_fixed_size 0
		.amdhsa_private_segment_fixed_size 0
		.amdhsa_kernarg_size 120
		.amdhsa_user_sgpr_count 2
		.amdhsa_user_sgpr_dispatch_ptr 0
		.amdhsa_user_sgpr_queue_ptr 0
		.amdhsa_user_sgpr_kernarg_segment_ptr 1
		.amdhsa_user_sgpr_dispatch_id 0
		.amdhsa_user_sgpr_kernarg_preload_length 0
		.amdhsa_user_sgpr_kernarg_preload_offset 0
		.amdhsa_user_sgpr_private_segment_size 0
		.amdhsa_uses_dynamic_stack 0
		.amdhsa_enable_private_segment 0
		.amdhsa_system_sgpr_workgroup_id_x 1
		.amdhsa_system_sgpr_workgroup_id_y 0
		.amdhsa_system_sgpr_workgroup_id_z 0
		.amdhsa_system_sgpr_workgroup_info 0
		.amdhsa_system_vgpr_workitem_id 0
		.amdhsa_next_free_vgpr 1
		.amdhsa_next_free_sgpr 0
		.amdhsa_accum_offset 4
		.amdhsa_reserve_vcc 0
		.amdhsa_float_round_mode_32 0
		.amdhsa_float_round_mode_16_64 0
		.amdhsa_float_denorm_mode_32 3
		.amdhsa_float_denorm_mode_16_64 3
		.amdhsa_dx10_clamp 1
		.amdhsa_ieee_mode 1
		.amdhsa_fp16_overflow 0
		.amdhsa_tg_split 0
		.amdhsa_exception_fp_ieee_invalid_op 0
		.amdhsa_exception_fp_denorm_src 0
		.amdhsa_exception_fp_ieee_div_zero 0
		.amdhsa_exception_fp_ieee_overflow 0
		.amdhsa_exception_fp_ieee_underflow 0
		.amdhsa_exception_fp_ieee_inexact 0
		.amdhsa_exception_int_div_zero 0
	.end_amdhsa_kernel
	.section	.text._ZN7rocprim17ROCPRIM_400000_NS6detail17trampoline_kernelINS0_14default_configENS1_25partition_config_selectorILNS1_17partition_subalgoE9EllbEEZZNS1_14partition_implILS5_9ELb0ES3_jPlS8_PNS0_10empty_typeENS0_5tupleIJS8_S9_EEENSB_IJS8_SA_EEENS0_18inequality_wrapperIZN2at6native12_GLOBAL__N_124unique_dim_cuda_templateItEESt5tupleIJNSF_6TensorESK_SK_EERKSK_lbbbEUlllE0_EEPmJS9_EEE10hipError_tPvRmT3_T4_T5_T6_T7_T9_mT8_P12ihipStream_tbDpT10_ENKUlT_T0_E_clISt17integral_constantIbLb1EES19_IbLb0EEEEDaS15_S16_EUlS15_E_NS1_11comp_targetILNS1_3genE2ELNS1_11target_archE906ELNS1_3gpuE6ELNS1_3repE0EEENS1_30default_config_static_selectorELNS0_4arch9wavefront6targetE1EEEvT1_,"axG",@progbits,_ZN7rocprim17ROCPRIM_400000_NS6detail17trampoline_kernelINS0_14default_configENS1_25partition_config_selectorILNS1_17partition_subalgoE9EllbEEZZNS1_14partition_implILS5_9ELb0ES3_jPlS8_PNS0_10empty_typeENS0_5tupleIJS8_S9_EEENSB_IJS8_SA_EEENS0_18inequality_wrapperIZN2at6native12_GLOBAL__N_124unique_dim_cuda_templateItEESt5tupleIJNSF_6TensorESK_SK_EERKSK_lbbbEUlllE0_EEPmJS9_EEE10hipError_tPvRmT3_T4_T5_T6_T7_T9_mT8_P12ihipStream_tbDpT10_ENKUlT_T0_E_clISt17integral_constantIbLb1EES19_IbLb0EEEEDaS15_S16_EUlS15_E_NS1_11comp_targetILNS1_3genE2ELNS1_11target_archE906ELNS1_3gpuE6ELNS1_3repE0EEENS1_30default_config_static_selectorELNS0_4arch9wavefront6targetE1EEEvT1_,comdat
.Lfunc_end1471:
	.size	_ZN7rocprim17ROCPRIM_400000_NS6detail17trampoline_kernelINS0_14default_configENS1_25partition_config_selectorILNS1_17partition_subalgoE9EllbEEZZNS1_14partition_implILS5_9ELb0ES3_jPlS8_PNS0_10empty_typeENS0_5tupleIJS8_S9_EEENSB_IJS8_SA_EEENS0_18inequality_wrapperIZN2at6native12_GLOBAL__N_124unique_dim_cuda_templateItEESt5tupleIJNSF_6TensorESK_SK_EERKSK_lbbbEUlllE0_EEPmJS9_EEE10hipError_tPvRmT3_T4_T5_T6_T7_T9_mT8_P12ihipStream_tbDpT10_ENKUlT_T0_E_clISt17integral_constantIbLb1EES19_IbLb0EEEEDaS15_S16_EUlS15_E_NS1_11comp_targetILNS1_3genE2ELNS1_11target_archE906ELNS1_3gpuE6ELNS1_3repE0EEENS1_30default_config_static_selectorELNS0_4arch9wavefront6targetE1EEEvT1_, .Lfunc_end1471-_ZN7rocprim17ROCPRIM_400000_NS6detail17trampoline_kernelINS0_14default_configENS1_25partition_config_selectorILNS1_17partition_subalgoE9EllbEEZZNS1_14partition_implILS5_9ELb0ES3_jPlS8_PNS0_10empty_typeENS0_5tupleIJS8_S9_EEENSB_IJS8_SA_EEENS0_18inequality_wrapperIZN2at6native12_GLOBAL__N_124unique_dim_cuda_templateItEESt5tupleIJNSF_6TensorESK_SK_EERKSK_lbbbEUlllE0_EEPmJS9_EEE10hipError_tPvRmT3_T4_T5_T6_T7_T9_mT8_P12ihipStream_tbDpT10_ENKUlT_T0_E_clISt17integral_constantIbLb1EES19_IbLb0EEEEDaS15_S16_EUlS15_E_NS1_11comp_targetILNS1_3genE2ELNS1_11target_archE906ELNS1_3gpuE6ELNS1_3repE0EEENS1_30default_config_static_selectorELNS0_4arch9wavefront6targetE1EEEvT1_
                                        ; -- End function
	.set _ZN7rocprim17ROCPRIM_400000_NS6detail17trampoline_kernelINS0_14default_configENS1_25partition_config_selectorILNS1_17partition_subalgoE9EllbEEZZNS1_14partition_implILS5_9ELb0ES3_jPlS8_PNS0_10empty_typeENS0_5tupleIJS8_S9_EEENSB_IJS8_SA_EEENS0_18inequality_wrapperIZN2at6native12_GLOBAL__N_124unique_dim_cuda_templateItEESt5tupleIJNSF_6TensorESK_SK_EERKSK_lbbbEUlllE0_EEPmJS9_EEE10hipError_tPvRmT3_T4_T5_T6_T7_T9_mT8_P12ihipStream_tbDpT10_ENKUlT_T0_E_clISt17integral_constantIbLb1EES19_IbLb0EEEEDaS15_S16_EUlS15_E_NS1_11comp_targetILNS1_3genE2ELNS1_11target_archE906ELNS1_3gpuE6ELNS1_3repE0EEENS1_30default_config_static_selectorELNS0_4arch9wavefront6targetE1EEEvT1_.num_vgpr, 0
	.set _ZN7rocprim17ROCPRIM_400000_NS6detail17trampoline_kernelINS0_14default_configENS1_25partition_config_selectorILNS1_17partition_subalgoE9EllbEEZZNS1_14partition_implILS5_9ELb0ES3_jPlS8_PNS0_10empty_typeENS0_5tupleIJS8_S9_EEENSB_IJS8_SA_EEENS0_18inequality_wrapperIZN2at6native12_GLOBAL__N_124unique_dim_cuda_templateItEESt5tupleIJNSF_6TensorESK_SK_EERKSK_lbbbEUlllE0_EEPmJS9_EEE10hipError_tPvRmT3_T4_T5_T6_T7_T9_mT8_P12ihipStream_tbDpT10_ENKUlT_T0_E_clISt17integral_constantIbLb1EES19_IbLb0EEEEDaS15_S16_EUlS15_E_NS1_11comp_targetILNS1_3genE2ELNS1_11target_archE906ELNS1_3gpuE6ELNS1_3repE0EEENS1_30default_config_static_selectorELNS0_4arch9wavefront6targetE1EEEvT1_.num_agpr, 0
	.set _ZN7rocprim17ROCPRIM_400000_NS6detail17trampoline_kernelINS0_14default_configENS1_25partition_config_selectorILNS1_17partition_subalgoE9EllbEEZZNS1_14partition_implILS5_9ELb0ES3_jPlS8_PNS0_10empty_typeENS0_5tupleIJS8_S9_EEENSB_IJS8_SA_EEENS0_18inequality_wrapperIZN2at6native12_GLOBAL__N_124unique_dim_cuda_templateItEESt5tupleIJNSF_6TensorESK_SK_EERKSK_lbbbEUlllE0_EEPmJS9_EEE10hipError_tPvRmT3_T4_T5_T6_T7_T9_mT8_P12ihipStream_tbDpT10_ENKUlT_T0_E_clISt17integral_constantIbLb1EES19_IbLb0EEEEDaS15_S16_EUlS15_E_NS1_11comp_targetILNS1_3genE2ELNS1_11target_archE906ELNS1_3gpuE6ELNS1_3repE0EEENS1_30default_config_static_selectorELNS0_4arch9wavefront6targetE1EEEvT1_.numbered_sgpr, 0
	.set _ZN7rocprim17ROCPRIM_400000_NS6detail17trampoline_kernelINS0_14default_configENS1_25partition_config_selectorILNS1_17partition_subalgoE9EllbEEZZNS1_14partition_implILS5_9ELb0ES3_jPlS8_PNS0_10empty_typeENS0_5tupleIJS8_S9_EEENSB_IJS8_SA_EEENS0_18inequality_wrapperIZN2at6native12_GLOBAL__N_124unique_dim_cuda_templateItEESt5tupleIJNSF_6TensorESK_SK_EERKSK_lbbbEUlllE0_EEPmJS9_EEE10hipError_tPvRmT3_T4_T5_T6_T7_T9_mT8_P12ihipStream_tbDpT10_ENKUlT_T0_E_clISt17integral_constantIbLb1EES19_IbLb0EEEEDaS15_S16_EUlS15_E_NS1_11comp_targetILNS1_3genE2ELNS1_11target_archE906ELNS1_3gpuE6ELNS1_3repE0EEENS1_30default_config_static_selectorELNS0_4arch9wavefront6targetE1EEEvT1_.num_named_barrier, 0
	.set _ZN7rocprim17ROCPRIM_400000_NS6detail17trampoline_kernelINS0_14default_configENS1_25partition_config_selectorILNS1_17partition_subalgoE9EllbEEZZNS1_14partition_implILS5_9ELb0ES3_jPlS8_PNS0_10empty_typeENS0_5tupleIJS8_S9_EEENSB_IJS8_SA_EEENS0_18inequality_wrapperIZN2at6native12_GLOBAL__N_124unique_dim_cuda_templateItEESt5tupleIJNSF_6TensorESK_SK_EERKSK_lbbbEUlllE0_EEPmJS9_EEE10hipError_tPvRmT3_T4_T5_T6_T7_T9_mT8_P12ihipStream_tbDpT10_ENKUlT_T0_E_clISt17integral_constantIbLb1EES19_IbLb0EEEEDaS15_S16_EUlS15_E_NS1_11comp_targetILNS1_3genE2ELNS1_11target_archE906ELNS1_3gpuE6ELNS1_3repE0EEENS1_30default_config_static_selectorELNS0_4arch9wavefront6targetE1EEEvT1_.private_seg_size, 0
	.set _ZN7rocprim17ROCPRIM_400000_NS6detail17trampoline_kernelINS0_14default_configENS1_25partition_config_selectorILNS1_17partition_subalgoE9EllbEEZZNS1_14partition_implILS5_9ELb0ES3_jPlS8_PNS0_10empty_typeENS0_5tupleIJS8_S9_EEENSB_IJS8_SA_EEENS0_18inequality_wrapperIZN2at6native12_GLOBAL__N_124unique_dim_cuda_templateItEESt5tupleIJNSF_6TensorESK_SK_EERKSK_lbbbEUlllE0_EEPmJS9_EEE10hipError_tPvRmT3_T4_T5_T6_T7_T9_mT8_P12ihipStream_tbDpT10_ENKUlT_T0_E_clISt17integral_constantIbLb1EES19_IbLb0EEEEDaS15_S16_EUlS15_E_NS1_11comp_targetILNS1_3genE2ELNS1_11target_archE906ELNS1_3gpuE6ELNS1_3repE0EEENS1_30default_config_static_selectorELNS0_4arch9wavefront6targetE1EEEvT1_.uses_vcc, 0
	.set _ZN7rocprim17ROCPRIM_400000_NS6detail17trampoline_kernelINS0_14default_configENS1_25partition_config_selectorILNS1_17partition_subalgoE9EllbEEZZNS1_14partition_implILS5_9ELb0ES3_jPlS8_PNS0_10empty_typeENS0_5tupleIJS8_S9_EEENSB_IJS8_SA_EEENS0_18inequality_wrapperIZN2at6native12_GLOBAL__N_124unique_dim_cuda_templateItEESt5tupleIJNSF_6TensorESK_SK_EERKSK_lbbbEUlllE0_EEPmJS9_EEE10hipError_tPvRmT3_T4_T5_T6_T7_T9_mT8_P12ihipStream_tbDpT10_ENKUlT_T0_E_clISt17integral_constantIbLb1EES19_IbLb0EEEEDaS15_S16_EUlS15_E_NS1_11comp_targetILNS1_3genE2ELNS1_11target_archE906ELNS1_3gpuE6ELNS1_3repE0EEENS1_30default_config_static_selectorELNS0_4arch9wavefront6targetE1EEEvT1_.uses_flat_scratch, 0
	.set _ZN7rocprim17ROCPRIM_400000_NS6detail17trampoline_kernelINS0_14default_configENS1_25partition_config_selectorILNS1_17partition_subalgoE9EllbEEZZNS1_14partition_implILS5_9ELb0ES3_jPlS8_PNS0_10empty_typeENS0_5tupleIJS8_S9_EEENSB_IJS8_SA_EEENS0_18inequality_wrapperIZN2at6native12_GLOBAL__N_124unique_dim_cuda_templateItEESt5tupleIJNSF_6TensorESK_SK_EERKSK_lbbbEUlllE0_EEPmJS9_EEE10hipError_tPvRmT3_T4_T5_T6_T7_T9_mT8_P12ihipStream_tbDpT10_ENKUlT_T0_E_clISt17integral_constantIbLb1EES19_IbLb0EEEEDaS15_S16_EUlS15_E_NS1_11comp_targetILNS1_3genE2ELNS1_11target_archE906ELNS1_3gpuE6ELNS1_3repE0EEENS1_30default_config_static_selectorELNS0_4arch9wavefront6targetE1EEEvT1_.has_dyn_sized_stack, 0
	.set _ZN7rocprim17ROCPRIM_400000_NS6detail17trampoline_kernelINS0_14default_configENS1_25partition_config_selectorILNS1_17partition_subalgoE9EllbEEZZNS1_14partition_implILS5_9ELb0ES3_jPlS8_PNS0_10empty_typeENS0_5tupleIJS8_S9_EEENSB_IJS8_SA_EEENS0_18inequality_wrapperIZN2at6native12_GLOBAL__N_124unique_dim_cuda_templateItEESt5tupleIJNSF_6TensorESK_SK_EERKSK_lbbbEUlllE0_EEPmJS9_EEE10hipError_tPvRmT3_T4_T5_T6_T7_T9_mT8_P12ihipStream_tbDpT10_ENKUlT_T0_E_clISt17integral_constantIbLb1EES19_IbLb0EEEEDaS15_S16_EUlS15_E_NS1_11comp_targetILNS1_3genE2ELNS1_11target_archE906ELNS1_3gpuE6ELNS1_3repE0EEENS1_30default_config_static_selectorELNS0_4arch9wavefront6targetE1EEEvT1_.has_recursion, 0
	.set _ZN7rocprim17ROCPRIM_400000_NS6detail17trampoline_kernelINS0_14default_configENS1_25partition_config_selectorILNS1_17partition_subalgoE9EllbEEZZNS1_14partition_implILS5_9ELb0ES3_jPlS8_PNS0_10empty_typeENS0_5tupleIJS8_S9_EEENSB_IJS8_SA_EEENS0_18inequality_wrapperIZN2at6native12_GLOBAL__N_124unique_dim_cuda_templateItEESt5tupleIJNSF_6TensorESK_SK_EERKSK_lbbbEUlllE0_EEPmJS9_EEE10hipError_tPvRmT3_T4_T5_T6_T7_T9_mT8_P12ihipStream_tbDpT10_ENKUlT_T0_E_clISt17integral_constantIbLb1EES19_IbLb0EEEEDaS15_S16_EUlS15_E_NS1_11comp_targetILNS1_3genE2ELNS1_11target_archE906ELNS1_3gpuE6ELNS1_3repE0EEENS1_30default_config_static_selectorELNS0_4arch9wavefront6targetE1EEEvT1_.has_indirect_call, 0
	.section	.AMDGPU.csdata,"",@progbits
; Kernel info:
; codeLenInByte = 0
; TotalNumSgprs: 6
; NumVgprs: 0
; NumAgprs: 0
; TotalNumVgprs: 0
; ScratchSize: 0
; MemoryBound: 0
; FloatMode: 240
; IeeeMode: 1
; LDSByteSize: 0 bytes/workgroup (compile time only)
; SGPRBlocks: 0
; VGPRBlocks: 0
; NumSGPRsForWavesPerEU: 6
; NumVGPRsForWavesPerEU: 1
; AccumOffset: 4
; Occupancy: 8
; WaveLimiterHint : 0
; COMPUTE_PGM_RSRC2:SCRATCH_EN: 0
; COMPUTE_PGM_RSRC2:USER_SGPR: 2
; COMPUTE_PGM_RSRC2:TRAP_HANDLER: 0
; COMPUTE_PGM_RSRC2:TGID_X_EN: 1
; COMPUTE_PGM_RSRC2:TGID_Y_EN: 0
; COMPUTE_PGM_RSRC2:TGID_Z_EN: 0
; COMPUTE_PGM_RSRC2:TIDIG_COMP_CNT: 0
; COMPUTE_PGM_RSRC3_GFX90A:ACCUM_OFFSET: 0
; COMPUTE_PGM_RSRC3_GFX90A:TG_SPLIT: 0
	.section	.text._ZN7rocprim17ROCPRIM_400000_NS6detail17trampoline_kernelINS0_14default_configENS1_25partition_config_selectorILNS1_17partition_subalgoE9EllbEEZZNS1_14partition_implILS5_9ELb0ES3_jPlS8_PNS0_10empty_typeENS0_5tupleIJS8_S9_EEENSB_IJS8_SA_EEENS0_18inequality_wrapperIZN2at6native12_GLOBAL__N_124unique_dim_cuda_templateItEESt5tupleIJNSF_6TensorESK_SK_EERKSK_lbbbEUlllE0_EEPmJS9_EEE10hipError_tPvRmT3_T4_T5_T6_T7_T9_mT8_P12ihipStream_tbDpT10_ENKUlT_T0_E_clISt17integral_constantIbLb1EES19_IbLb0EEEEDaS15_S16_EUlS15_E_NS1_11comp_targetILNS1_3genE10ELNS1_11target_archE1200ELNS1_3gpuE4ELNS1_3repE0EEENS1_30default_config_static_selectorELNS0_4arch9wavefront6targetE1EEEvT1_,"axG",@progbits,_ZN7rocprim17ROCPRIM_400000_NS6detail17trampoline_kernelINS0_14default_configENS1_25partition_config_selectorILNS1_17partition_subalgoE9EllbEEZZNS1_14partition_implILS5_9ELb0ES3_jPlS8_PNS0_10empty_typeENS0_5tupleIJS8_S9_EEENSB_IJS8_SA_EEENS0_18inequality_wrapperIZN2at6native12_GLOBAL__N_124unique_dim_cuda_templateItEESt5tupleIJNSF_6TensorESK_SK_EERKSK_lbbbEUlllE0_EEPmJS9_EEE10hipError_tPvRmT3_T4_T5_T6_T7_T9_mT8_P12ihipStream_tbDpT10_ENKUlT_T0_E_clISt17integral_constantIbLb1EES19_IbLb0EEEEDaS15_S16_EUlS15_E_NS1_11comp_targetILNS1_3genE10ELNS1_11target_archE1200ELNS1_3gpuE4ELNS1_3repE0EEENS1_30default_config_static_selectorELNS0_4arch9wavefront6targetE1EEEvT1_,comdat
	.globl	_ZN7rocprim17ROCPRIM_400000_NS6detail17trampoline_kernelINS0_14default_configENS1_25partition_config_selectorILNS1_17partition_subalgoE9EllbEEZZNS1_14partition_implILS5_9ELb0ES3_jPlS8_PNS0_10empty_typeENS0_5tupleIJS8_S9_EEENSB_IJS8_SA_EEENS0_18inequality_wrapperIZN2at6native12_GLOBAL__N_124unique_dim_cuda_templateItEESt5tupleIJNSF_6TensorESK_SK_EERKSK_lbbbEUlllE0_EEPmJS9_EEE10hipError_tPvRmT3_T4_T5_T6_T7_T9_mT8_P12ihipStream_tbDpT10_ENKUlT_T0_E_clISt17integral_constantIbLb1EES19_IbLb0EEEEDaS15_S16_EUlS15_E_NS1_11comp_targetILNS1_3genE10ELNS1_11target_archE1200ELNS1_3gpuE4ELNS1_3repE0EEENS1_30default_config_static_selectorELNS0_4arch9wavefront6targetE1EEEvT1_ ; -- Begin function _ZN7rocprim17ROCPRIM_400000_NS6detail17trampoline_kernelINS0_14default_configENS1_25partition_config_selectorILNS1_17partition_subalgoE9EllbEEZZNS1_14partition_implILS5_9ELb0ES3_jPlS8_PNS0_10empty_typeENS0_5tupleIJS8_S9_EEENSB_IJS8_SA_EEENS0_18inequality_wrapperIZN2at6native12_GLOBAL__N_124unique_dim_cuda_templateItEESt5tupleIJNSF_6TensorESK_SK_EERKSK_lbbbEUlllE0_EEPmJS9_EEE10hipError_tPvRmT3_T4_T5_T6_T7_T9_mT8_P12ihipStream_tbDpT10_ENKUlT_T0_E_clISt17integral_constantIbLb1EES19_IbLb0EEEEDaS15_S16_EUlS15_E_NS1_11comp_targetILNS1_3genE10ELNS1_11target_archE1200ELNS1_3gpuE4ELNS1_3repE0EEENS1_30default_config_static_selectorELNS0_4arch9wavefront6targetE1EEEvT1_
	.p2align	8
	.type	_ZN7rocprim17ROCPRIM_400000_NS6detail17trampoline_kernelINS0_14default_configENS1_25partition_config_selectorILNS1_17partition_subalgoE9EllbEEZZNS1_14partition_implILS5_9ELb0ES3_jPlS8_PNS0_10empty_typeENS0_5tupleIJS8_S9_EEENSB_IJS8_SA_EEENS0_18inequality_wrapperIZN2at6native12_GLOBAL__N_124unique_dim_cuda_templateItEESt5tupleIJNSF_6TensorESK_SK_EERKSK_lbbbEUlllE0_EEPmJS9_EEE10hipError_tPvRmT3_T4_T5_T6_T7_T9_mT8_P12ihipStream_tbDpT10_ENKUlT_T0_E_clISt17integral_constantIbLb1EES19_IbLb0EEEEDaS15_S16_EUlS15_E_NS1_11comp_targetILNS1_3genE10ELNS1_11target_archE1200ELNS1_3gpuE4ELNS1_3repE0EEENS1_30default_config_static_selectorELNS0_4arch9wavefront6targetE1EEEvT1_,@function
_ZN7rocprim17ROCPRIM_400000_NS6detail17trampoline_kernelINS0_14default_configENS1_25partition_config_selectorILNS1_17partition_subalgoE9EllbEEZZNS1_14partition_implILS5_9ELb0ES3_jPlS8_PNS0_10empty_typeENS0_5tupleIJS8_S9_EEENSB_IJS8_SA_EEENS0_18inequality_wrapperIZN2at6native12_GLOBAL__N_124unique_dim_cuda_templateItEESt5tupleIJNSF_6TensorESK_SK_EERKSK_lbbbEUlllE0_EEPmJS9_EEE10hipError_tPvRmT3_T4_T5_T6_T7_T9_mT8_P12ihipStream_tbDpT10_ENKUlT_T0_E_clISt17integral_constantIbLb1EES19_IbLb0EEEEDaS15_S16_EUlS15_E_NS1_11comp_targetILNS1_3genE10ELNS1_11target_archE1200ELNS1_3gpuE4ELNS1_3repE0EEENS1_30default_config_static_selectorELNS0_4arch9wavefront6targetE1EEEvT1_: ; @_ZN7rocprim17ROCPRIM_400000_NS6detail17trampoline_kernelINS0_14default_configENS1_25partition_config_selectorILNS1_17partition_subalgoE9EllbEEZZNS1_14partition_implILS5_9ELb0ES3_jPlS8_PNS0_10empty_typeENS0_5tupleIJS8_S9_EEENSB_IJS8_SA_EEENS0_18inequality_wrapperIZN2at6native12_GLOBAL__N_124unique_dim_cuda_templateItEESt5tupleIJNSF_6TensorESK_SK_EERKSK_lbbbEUlllE0_EEPmJS9_EEE10hipError_tPvRmT3_T4_T5_T6_T7_T9_mT8_P12ihipStream_tbDpT10_ENKUlT_T0_E_clISt17integral_constantIbLb1EES19_IbLb0EEEEDaS15_S16_EUlS15_E_NS1_11comp_targetILNS1_3genE10ELNS1_11target_archE1200ELNS1_3gpuE4ELNS1_3repE0EEENS1_30default_config_static_selectorELNS0_4arch9wavefront6targetE1EEEvT1_
; %bb.0:
	.section	.rodata,"a",@progbits
	.p2align	6, 0x0
	.amdhsa_kernel _ZN7rocprim17ROCPRIM_400000_NS6detail17trampoline_kernelINS0_14default_configENS1_25partition_config_selectorILNS1_17partition_subalgoE9EllbEEZZNS1_14partition_implILS5_9ELb0ES3_jPlS8_PNS0_10empty_typeENS0_5tupleIJS8_S9_EEENSB_IJS8_SA_EEENS0_18inequality_wrapperIZN2at6native12_GLOBAL__N_124unique_dim_cuda_templateItEESt5tupleIJNSF_6TensorESK_SK_EERKSK_lbbbEUlllE0_EEPmJS9_EEE10hipError_tPvRmT3_T4_T5_T6_T7_T9_mT8_P12ihipStream_tbDpT10_ENKUlT_T0_E_clISt17integral_constantIbLb1EES19_IbLb0EEEEDaS15_S16_EUlS15_E_NS1_11comp_targetILNS1_3genE10ELNS1_11target_archE1200ELNS1_3gpuE4ELNS1_3repE0EEENS1_30default_config_static_selectorELNS0_4arch9wavefront6targetE1EEEvT1_
		.amdhsa_group_segment_fixed_size 0
		.amdhsa_private_segment_fixed_size 0
		.amdhsa_kernarg_size 120
		.amdhsa_user_sgpr_count 2
		.amdhsa_user_sgpr_dispatch_ptr 0
		.amdhsa_user_sgpr_queue_ptr 0
		.amdhsa_user_sgpr_kernarg_segment_ptr 1
		.amdhsa_user_sgpr_dispatch_id 0
		.amdhsa_user_sgpr_kernarg_preload_length 0
		.amdhsa_user_sgpr_kernarg_preload_offset 0
		.amdhsa_user_sgpr_private_segment_size 0
		.amdhsa_uses_dynamic_stack 0
		.amdhsa_enable_private_segment 0
		.amdhsa_system_sgpr_workgroup_id_x 1
		.amdhsa_system_sgpr_workgroup_id_y 0
		.amdhsa_system_sgpr_workgroup_id_z 0
		.amdhsa_system_sgpr_workgroup_info 0
		.amdhsa_system_vgpr_workitem_id 0
		.amdhsa_next_free_vgpr 1
		.amdhsa_next_free_sgpr 0
		.amdhsa_accum_offset 4
		.amdhsa_reserve_vcc 0
		.amdhsa_float_round_mode_32 0
		.amdhsa_float_round_mode_16_64 0
		.amdhsa_float_denorm_mode_32 3
		.amdhsa_float_denorm_mode_16_64 3
		.amdhsa_dx10_clamp 1
		.amdhsa_ieee_mode 1
		.amdhsa_fp16_overflow 0
		.amdhsa_tg_split 0
		.amdhsa_exception_fp_ieee_invalid_op 0
		.amdhsa_exception_fp_denorm_src 0
		.amdhsa_exception_fp_ieee_div_zero 0
		.amdhsa_exception_fp_ieee_overflow 0
		.amdhsa_exception_fp_ieee_underflow 0
		.amdhsa_exception_fp_ieee_inexact 0
		.amdhsa_exception_int_div_zero 0
	.end_amdhsa_kernel
	.section	.text._ZN7rocprim17ROCPRIM_400000_NS6detail17trampoline_kernelINS0_14default_configENS1_25partition_config_selectorILNS1_17partition_subalgoE9EllbEEZZNS1_14partition_implILS5_9ELb0ES3_jPlS8_PNS0_10empty_typeENS0_5tupleIJS8_S9_EEENSB_IJS8_SA_EEENS0_18inequality_wrapperIZN2at6native12_GLOBAL__N_124unique_dim_cuda_templateItEESt5tupleIJNSF_6TensorESK_SK_EERKSK_lbbbEUlllE0_EEPmJS9_EEE10hipError_tPvRmT3_T4_T5_T6_T7_T9_mT8_P12ihipStream_tbDpT10_ENKUlT_T0_E_clISt17integral_constantIbLb1EES19_IbLb0EEEEDaS15_S16_EUlS15_E_NS1_11comp_targetILNS1_3genE10ELNS1_11target_archE1200ELNS1_3gpuE4ELNS1_3repE0EEENS1_30default_config_static_selectorELNS0_4arch9wavefront6targetE1EEEvT1_,"axG",@progbits,_ZN7rocprim17ROCPRIM_400000_NS6detail17trampoline_kernelINS0_14default_configENS1_25partition_config_selectorILNS1_17partition_subalgoE9EllbEEZZNS1_14partition_implILS5_9ELb0ES3_jPlS8_PNS0_10empty_typeENS0_5tupleIJS8_S9_EEENSB_IJS8_SA_EEENS0_18inequality_wrapperIZN2at6native12_GLOBAL__N_124unique_dim_cuda_templateItEESt5tupleIJNSF_6TensorESK_SK_EERKSK_lbbbEUlllE0_EEPmJS9_EEE10hipError_tPvRmT3_T4_T5_T6_T7_T9_mT8_P12ihipStream_tbDpT10_ENKUlT_T0_E_clISt17integral_constantIbLb1EES19_IbLb0EEEEDaS15_S16_EUlS15_E_NS1_11comp_targetILNS1_3genE10ELNS1_11target_archE1200ELNS1_3gpuE4ELNS1_3repE0EEENS1_30default_config_static_selectorELNS0_4arch9wavefront6targetE1EEEvT1_,comdat
.Lfunc_end1472:
	.size	_ZN7rocprim17ROCPRIM_400000_NS6detail17trampoline_kernelINS0_14default_configENS1_25partition_config_selectorILNS1_17partition_subalgoE9EllbEEZZNS1_14partition_implILS5_9ELb0ES3_jPlS8_PNS0_10empty_typeENS0_5tupleIJS8_S9_EEENSB_IJS8_SA_EEENS0_18inequality_wrapperIZN2at6native12_GLOBAL__N_124unique_dim_cuda_templateItEESt5tupleIJNSF_6TensorESK_SK_EERKSK_lbbbEUlllE0_EEPmJS9_EEE10hipError_tPvRmT3_T4_T5_T6_T7_T9_mT8_P12ihipStream_tbDpT10_ENKUlT_T0_E_clISt17integral_constantIbLb1EES19_IbLb0EEEEDaS15_S16_EUlS15_E_NS1_11comp_targetILNS1_3genE10ELNS1_11target_archE1200ELNS1_3gpuE4ELNS1_3repE0EEENS1_30default_config_static_selectorELNS0_4arch9wavefront6targetE1EEEvT1_, .Lfunc_end1472-_ZN7rocprim17ROCPRIM_400000_NS6detail17trampoline_kernelINS0_14default_configENS1_25partition_config_selectorILNS1_17partition_subalgoE9EllbEEZZNS1_14partition_implILS5_9ELb0ES3_jPlS8_PNS0_10empty_typeENS0_5tupleIJS8_S9_EEENSB_IJS8_SA_EEENS0_18inequality_wrapperIZN2at6native12_GLOBAL__N_124unique_dim_cuda_templateItEESt5tupleIJNSF_6TensorESK_SK_EERKSK_lbbbEUlllE0_EEPmJS9_EEE10hipError_tPvRmT3_T4_T5_T6_T7_T9_mT8_P12ihipStream_tbDpT10_ENKUlT_T0_E_clISt17integral_constantIbLb1EES19_IbLb0EEEEDaS15_S16_EUlS15_E_NS1_11comp_targetILNS1_3genE10ELNS1_11target_archE1200ELNS1_3gpuE4ELNS1_3repE0EEENS1_30default_config_static_selectorELNS0_4arch9wavefront6targetE1EEEvT1_
                                        ; -- End function
	.set _ZN7rocprim17ROCPRIM_400000_NS6detail17trampoline_kernelINS0_14default_configENS1_25partition_config_selectorILNS1_17partition_subalgoE9EllbEEZZNS1_14partition_implILS5_9ELb0ES3_jPlS8_PNS0_10empty_typeENS0_5tupleIJS8_S9_EEENSB_IJS8_SA_EEENS0_18inequality_wrapperIZN2at6native12_GLOBAL__N_124unique_dim_cuda_templateItEESt5tupleIJNSF_6TensorESK_SK_EERKSK_lbbbEUlllE0_EEPmJS9_EEE10hipError_tPvRmT3_T4_T5_T6_T7_T9_mT8_P12ihipStream_tbDpT10_ENKUlT_T0_E_clISt17integral_constantIbLb1EES19_IbLb0EEEEDaS15_S16_EUlS15_E_NS1_11comp_targetILNS1_3genE10ELNS1_11target_archE1200ELNS1_3gpuE4ELNS1_3repE0EEENS1_30default_config_static_selectorELNS0_4arch9wavefront6targetE1EEEvT1_.num_vgpr, 0
	.set _ZN7rocprim17ROCPRIM_400000_NS6detail17trampoline_kernelINS0_14default_configENS1_25partition_config_selectorILNS1_17partition_subalgoE9EllbEEZZNS1_14partition_implILS5_9ELb0ES3_jPlS8_PNS0_10empty_typeENS0_5tupleIJS8_S9_EEENSB_IJS8_SA_EEENS0_18inequality_wrapperIZN2at6native12_GLOBAL__N_124unique_dim_cuda_templateItEESt5tupleIJNSF_6TensorESK_SK_EERKSK_lbbbEUlllE0_EEPmJS9_EEE10hipError_tPvRmT3_T4_T5_T6_T7_T9_mT8_P12ihipStream_tbDpT10_ENKUlT_T0_E_clISt17integral_constantIbLb1EES19_IbLb0EEEEDaS15_S16_EUlS15_E_NS1_11comp_targetILNS1_3genE10ELNS1_11target_archE1200ELNS1_3gpuE4ELNS1_3repE0EEENS1_30default_config_static_selectorELNS0_4arch9wavefront6targetE1EEEvT1_.num_agpr, 0
	.set _ZN7rocprim17ROCPRIM_400000_NS6detail17trampoline_kernelINS0_14default_configENS1_25partition_config_selectorILNS1_17partition_subalgoE9EllbEEZZNS1_14partition_implILS5_9ELb0ES3_jPlS8_PNS0_10empty_typeENS0_5tupleIJS8_S9_EEENSB_IJS8_SA_EEENS0_18inequality_wrapperIZN2at6native12_GLOBAL__N_124unique_dim_cuda_templateItEESt5tupleIJNSF_6TensorESK_SK_EERKSK_lbbbEUlllE0_EEPmJS9_EEE10hipError_tPvRmT3_T4_T5_T6_T7_T9_mT8_P12ihipStream_tbDpT10_ENKUlT_T0_E_clISt17integral_constantIbLb1EES19_IbLb0EEEEDaS15_S16_EUlS15_E_NS1_11comp_targetILNS1_3genE10ELNS1_11target_archE1200ELNS1_3gpuE4ELNS1_3repE0EEENS1_30default_config_static_selectorELNS0_4arch9wavefront6targetE1EEEvT1_.numbered_sgpr, 0
	.set _ZN7rocprim17ROCPRIM_400000_NS6detail17trampoline_kernelINS0_14default_configENS1_25partition_config_selectorILNS1_17partition_subalgoE9EllbEEZZNS1_14partition_implILS5_9ELb0ES3_jPlS8_PNS0_10empty_typeENS0_5tupleIJS8_S9_EEENSB_IJS8_SA_EEENS0_18inequality_wrapperIZN2at6native12_GLOBAL__N_124unique_dim_cuda_templateItEESt5tupleIJNSF_6TensorESK_SK_EERKSK_lbbbEUlllE0_EEPmJS9_EEE10hipError_tPvRmT3_T4_T5_T6_T7_T9_mT8_P12ihipStream_tbDpT10_ENKUlT_T0_E_clISt17integral_constantIbLb1EES19_IbLb0EEEEDaS15_S16_EUlS15_E_NS1_11comp_targetILNS1_3genE10ELNS1_11target_archE1200ELNS1_3gpuE4ELNS1_3repE0EEENS1_30default_config_static_selectorELNS0_4arch9wavefront6targetE1EEEvT1_.num_named_barrier, 0
	.set _ZN7rocprim17ROCPRIM_400000_NS6detail17trampoline_kernelINS0_14default_configENS1_25partition_config_selectorILNS1_17partition_subalgoE9EllbEEZZNS1_14partition_implILS5_9ELb0ES3_jPlS8_PNS0_10empty_typeENS0_5tupleIJS8_S9_EEENSB_IJS8_SA_EEENS0_18inequality_wrapperIZN2at6native12_GLOBAL__N_124unique_dim_cuda_templateItEESt5tupleIJNSF_6TensorESK_SK_EERKSK_lbbbEUlllE0_EEPmJS9_EEE10hipError_tPvRmT3_T4_T5_T6_T7_T9_mT8_P12ihipStream_tbDpT10_ENKUlT_T0_E_clISt17integral_constantIbLb1EES19_IbLb0EEEEDaS15_S16_EUlS15_E_NS1_11comp_targetILNS1_3genE10ELNS1_11target_archE1200ELNS1_3gpuE4ELNS1_3repE0EEENS1_30default_config_static_selectorELNS0_4arch9wavefront6targetE1EEEvT1_.private_seg_size, 0
	.set _ZN7rocprim17ROCPRIM_400000_NS6detail17trampoline_kernelINS0_14default_configENS1_25partition_config_selectorILNS1_17partition_subalgoE9EllbEEZZNS1_14partition_implILS5_9ELb0ES3_jPlS8_PNS0_10empty_typeENS0_5tupleIJS8_S9_EEENSB_IJS8_SA_EEENS0_18inequality_wrapperIZN2at6native12_GLOBAL__N_124unique_dim_cuda_templateItEESt5tupleIJNSF_6TensorESK_SK_EERKSK_lbbbEUlllE0_EEPmJS9_EEE10hipError_tPvRmT3_T4_T5_T6_T7_T9_mT8_P12ihipStream_tbDpT10_ENKUlT_T0_E_clISt17integral_constantIbLb1EES19_IbLb0EEEEDaS15_S16_EUlS15_E_NS1_11comp_targetILNS1_3genE10ELNS1_11target_archE1200ELNS1_3gpuE4ELNS1_3repE0EEENS1_30default_config_static_selectorELNS0_4arch9wavefront6targetE1EEEvT1_.uses_vcc, 0
	.set _ZN7rocprim17ROCPRIM_400000_NS6detail17trampoline_kernelINS0_14default_configENS1_25partition_config_selectorILNS1_17partition_subalgoE9EllbEEZZNS1_14partition_implILS5_9ELb0ES3_jPlS8_PNS0_10empty_typeENS0_5tupleIJS8_S9_EEENSB_IJS8_SA_EEENS0_18inequality_wrapperIZN2at6native12_GLOBAL__N_124unique_dim_cuda_templateItEESt5tupleIJNSF_6TensorESK_SK_EERKSK_lbbbEUlllE0_EEPmJS9_EEE10hipError_tPvRmT3_T4_T5_T6_T7_T9_mT8_P12ihipStream_tbDpT10_ENKUlT_T0_E_clISt17integral_constantIbLb1EES19_IbLb0EEEEDaS15_S16_EUlS15_E_NS1_11comp_targetILNS1_3genE10ELNS1_11target_archE1200ELNS1_3gpuE4ELNS1_3repE0EEENS1_30default_config_static_selectorELNS0_4arch9wavefront6targetE1EEEvT1_.uses_flat_scratch, 0
	.set _ZN7rocprim17ROCPRIM_400000_NS6detail17trampoline_kernelINS0_14default_configENS1_25partition_config_selectorILNS1_17partition_subalgoE9EllbEEZZNS1_14partition_implILS5_9ELb0ES3_jPlS8_PNS0_10empty_typeENS0_5tupleIJS8_S9_EEENSB_IJS8_SA_EEENS0_18inequality_wrapperIZN2at6native12_GLOBAL__N_124unique_dim_cuda_templateItEESt5tupleIJNSF_6TensorESK_SK_EERKSK_lbbbEUlllE0_EEPmJS9_EEE10hipError_tPvRmT3_T4_T5_T6_T7_T9_mT8_P12ihipStream_tbDpT10_ENKUlT_T0_E_clISt17integral_constantIbLb1EES19_IbLb0EEEEDaS15_S16_EUlS15_E_NS1_11comp_targetILNS1_3genE10ELNS1_11target_archE1200ELNS1_3gpuE4ELNS1_3repE0EEENS1_30default_config_static_selectorELNS0_4arch9wavefront6targetE1EEEvT1_.has_dyn_sized_stack, 0
	.set _ZN7rocprim17ROCPRIM_400000_NS6detail17trampoline_kernelINS0_14default_configENS1_25partition_config_selectorILNS1_17partition_subalgoE9EllbEEZZNS1_14partition_implILS5_9ELb0ES3_jPlS8_PNS0_10empty_typeENS0_5tupleIJS8_S9_EEENSB_IJS8_SA_EEENS0_18inequality_wrapperIZN2at6native12_GLOBAL__N_124unique_dim_cuda_templateItEESt5tupleIJNSF_6TensorESK_SK_EERKSK_lbbbEUlllE0_EEPmJS9_EEE10hipError_tPvRmT3_T4_T5_T6_T7_T9_mT8_P12ihipStream_tbDpT10_ENKUlT_T0_E_clISt17integral_constantIbLb1EES19_IbLb0EEEEDaS15_S16_EUlS15_E_NS1_11comp_targetILNS1_3genE10ELNS1_11target_archE1200ELNS1_3gpuE4ELNS1_3repE0EEENS1_30default_config_static_selectorELNS0_4arch9wavefront6targetE1EEEvT1_.has_recursion, 0
	.set _ZN7rocprim17ROCPRIM_400000_NS6detail17trampoline_kernelINS0_14default_configENS1_25partition_config_selectorILNS1_17partition_subalgoE9EllbEEZZNS1_14partition_implILS5_9ELb0ES3_jPlS8_PNS0_10empty_typeENS0_5tupleIJS8_S9_EEENSB_IJS8_SA_EEENS0_18inequality_wrapperIZN2at6native12_GLOBAL__N_124unique_dim_cuda_templateItEESt5tupleIJNSF_6TensorESK_SK_EERKSK_lbbbEUlllE0_EEPmJS9_EEE10hipError_tPvRmT3_T4_T5_T6_T7_T9_mT8_P12ihipStream_tbDpT10_ENKUlT_T0_E_clISt17integral_constantIbLb1EES19_IbLb0EEEEDaS15_S16_EUlS15_E_NS1_11comp_targetILNS1_3genE10ELNS1_11target_archE1200ELNS1_3gpuE4ELNS1_3repE0EEENS1_30default_config_static_selectorELNS0_4arch9wavefront6targetE1EEEvT1_.has_indirect_call, 0
	.section	.AMDGPU.csdata,"",@progbits
; Kernel info:
; codeLenInByte = 0
; TotalNumSgprs: 6
; NumVgprs: 0
; NumAgprs: 0
; TotalNumVgprs: 0
; ScratchSize: 0
; MemoryBound: 0
; FloatMode: 240
; IeeeMode: 1
; LDSByteSize: 0 bytes/workgroup (compile time only)
; SGPRBlocks: 0
; VGPRBlocks: 0
; NumSGPRsForWavesPerEU: 6
; NumVGPRsForWavesPerEU: 1
; AccumOffset: 4
; Occupancy: 8
; WaveLimiterHint : 0
; COMPUTE_PGM_RSRC2:SCRATCH_EN: 0
; COMPUTE_PGM_RSRC2:USER_SGPR: 2
; COMPUTE_PGM_RSRC2:TRAP_HANDLER: 0
; COMPUTE_PGM_RSRC2:TGID_X_EN: 1
; COMPUTE_PGM_RSRC2:TGID_Y_EN: 0
; COMPUTE_PGM_RSRC2:TGID_Z_EN: 0
; COMPUTE_PGM_RSRC2:TIDIG_COMP_CNT: 0
; COMPUTE_PGM_RSRC3_GFX90A:ACCUM_OFFSET: 0
; COMPUTE_PGM_RSRC3_GFX90A:TG_SPLIT: 0
	.section	.text._ZN7rocprim17ROCPRIM_400000_NS6detail17trampoline_kernelINS0_14default_configENS1_25partition_config_selectorILNS1_17partition_subalgoE9EllbEEZZNS1_14partition_implILS5_9ELb0ES3_jPlS8_PNS0_10empty_typeENS0_5tupleIJS8_S9_EEENSB_IJS8_SA_EEENS0_18inequality_wrapperIZN2at6native12_GLOBAL__N_124unique_dim_cuda_templateItEESt5tupleIJNSF_6TensorESK_SK_EERKSK_lbbbEUlllE0_EEPmJS9_EEE10hipError_tPvRmT3_T4_T5_T6_T7_T9_mT8_P12ihipStream_tbDpT10_ENKUlT_T0_E_clISt17integral_constantIbLb1EES19_IbLb0EEEEDaS15_S16_EUlS15_E_NS1_11comp_targetILNS1_3genE9ELNS1_11target_archE1100ELNS1_3gpuE3ELNS1_3repE0EEENS1_30default_config_static_selectorELNS0_4arch9wavefront6targetE1EEEvT1_,"axG",@progbits,_ZN7rocprim17ROCPRIM_400000_NS6detail17trampoline_kernelINS0_14default_configENS1_25partition_config_selectorILNS1_17partition_subalgoE9EllbEEZZNS1_14partition_implILS5_9ELb0ES3_jPlS8_PNS0_10empty_typeENS0_5tupleIJS8_S9_EEENSB_IJS8_SA_EEENS0_18inequality_wrapperIZN2at6native12_GLOBAL__N_124unique_dim_cuda_templateItEESt5tupleIJNSF_6TensorESK_SK_EERKSK_lbbbEUlllE0_EEPmJS9_EEE10hipError_tPvRmT3_T4_T5_T6_T7_T9_mT8_P12ihipStream_tbDpT10_ENKUlT_T0_E_clISt17integral_constantIbLb1EES19_IbLb0EEEEDaS15_S16_EUlS15_E_NS1_11comp_targetILNS1_3genE9ELNS1_11target_archE1100ELNS1_3gpuE3ELNS1_3repE0EEENS1_30default_config_static_selectorELNS0_4arch9wavefront6targetE1EEEvT1_,comdat
	.globl	_ZN7rocprim17ROCPRIM_400000_NS6detail17trampoline_kernelINS0_14default_configENS1_25partition_config_selectorILNS1_17partition_subalgoE9EllbEEZZNS1_14partition_implILS5_9ELb0ES3_jPlS8_PNS0_10empty_typeENS0_5tupleIJS8_S9_EEENSB_IJS8_SA_EEENS0_18inequality_wrapperIZN2at6native12_GLOBAL__N_124unique_dim_cuda_templateItEESt5tupleIJNSF_6TensorESK_SK_EERKSK_lbbbEUlllE0_EEPmJS9_EEE10hipError_tPvRmT3_T4_T5_T6_T7_T9_mT8_P12ihipStream_tbDpT10_ENKUlT_T0_E_clISt17integral_constantIbLb1EES19_IbLb0EEEEDaS15_S16_EUlS15_E_NS1_11comp_targetILNS1_3genE9ELNS1_11target_archE1100ELNS1_3gpuE3ELNS1_3repE0EEENS1_30default_config_static_selectorELNS0_4arch9wavefront6targetE1EEEvT1_ ; -- Begin function _ZN7rocprim17ROCPRIM_400000_NS6detail17trampoline_kernelINS0_14default_configENS1_25partition_config_selectorILNS1_17partition_subalgoE9EllbEEZZNS1_14partition_implILS5_9ELb0ES3_jPlS8_PNS0_10empty_typeENS0_5tupleIJS8_S9_EEENSB_IJS8_SA_EEENS0_18inequality_wrapperIZN2at6native12_GLOBAL__N_124unique_dim_cuda_templateItEESt5tupleIJNSF_6TensorESK_SK_EERKSK_lbbbEUlllE0_EEPmJS9_EEE10hipError_tPvRmT3_T4_T5_T6_T7_T9_mT8_P12ihipStream_tbDpT10_ENKUlT_T0_E_clISt17integral_constantIbLb1EES19_IbLb0EEEEDaS15_S16_EUlS15_E_NS1_11comp_targetILNS1_3genE9ELNS1_11target_archE1100ELNS1_3gpuE3ELNS1_3repE0EEENS1_30default_config_static_selectorELNS0_4arch9wavefront6targetE1EEEvT1_
	.p2align	8
	.type	_ZN7rocprim17ROCPRIM_400000_NS6detail17trampoline_kernelINS0_14default_configENS1_25partition_config_selectorILNS1_17partition_subalgoE9EllbEEZZNS1_14partition_implILS5_9ELb0ES3_jPlS8_PNS0_10empty_typeENS0_5tupleIJS8_S9_EEENSB_IJS8_SA_EEENS0_18inequality_wrapperIZN2at6native12_GLOBAL__N_124unique_dim_cuda_templateItEESt5tupleIJNSF_6TensorESK_SK_EERKSK_lbbbEUlllE0_EEPmJS9_EEE10hipError_tPvRmT3_T4_T5_T6_T7_T9_mT8_P12ihipStream_tbDpT10_ENKUlT_T0_E_clISt17integral_constantIbLb1EES19_IbLb0EEEEDaS15_S16_EUlS15_E_NS1_11comp_targetILNS1_3genE9ELNS1_11target_archE1100ELNS1_3gpuE3ELNS1_3repE0EEENS1_30default_config_static_selectorELNS0_4arch9wavefront6targetE1EEEvT1_,@function
_ZN7rocprim17ROCPRIM_400000_NS6detail17trampoline_kernelINS0_14default_configENS1_25partition_config_selectorILNS1_17partition_subalgoE9EllbEEZZNS1_14partition_implILS5_9ELb0ES3_jPlS8_PNS0_10empty_typeENS0_5tupleIJS8_S9_EEENSB_IJS8_SA_EEENS0_18inequality_wrapperIZN2at6native12_GLOBAL__N_124unique_dim_cuda_templateItEESt5tupleIJNSF_6TensorESK_SK_EERKSK_lbbbEUlllE0_EEPmJS9_EEE10hipError_tPvRmT3_T4_T5_T6_T7_T9_mT8_P12ihipStream_tbDpT10_ENKUlT_T0_E_clISt17integral_constantIbLb1EES19_IbLb0EEEEDaS15_S16_EUlS15_E_NS1_11comp_targetILNS1_3genE9ELNS1_11target_archE1100ELNS1_3gpuE3ELNS1_3repE0EEENS1_30default_config_static_selectorELNS0_4arch9wavefront6targetE1EEEvT1_: ; @_ZN7rocprim17ROCPRIM_400000_NS6detail17trampoline_kernelINS0_14default_configENS1_25partition_config_selectorILNS1_17partition_subalgoE9EllbEEZZNS1_14partition_implILS5_9ELb0ES3_jPlS8_PNS0_10empty_typeENS0_5tupleIJS8_S9_EEENSB_IJS8_SA_EEENS0_18inequality_wrapperIZN2at6native12_GLOBAL__N_124unique_dim_cuda_templateItEESt5tupleIJNSF_6TensorESK_SK_EERKSK_lbbbEUlllE0_EEPmJS9_EEE10hipError_tPvRmT3_T4_T5_T6_T7_T9_mT8_P12ihipStream_tbDpT10_ENKUlT_T0_E_clISt17integral_constantIbLb1EES19_IbLb0EEEEDaS15_S16_EUlS15_E_NS1_11comp_targetILNS1_3genE9ELNS1_11target_archE1100ELNS1_3gpuE3ELNS1_3repE0EEENS1_30default_config_static_selectorELNS0_4arch9wavefront6targetE1EEEvT1_
; %bb.0:
	.section	.rodata,"a",@progbits
	.p2align	6, 0x0
	.amdhsa_kernel _ZN7rocprim17ROCPRIM_400000_NS6detail17trampoline_kernelINS0_14default_configENS1_25partition_config_selectorILNS1_17partition_subalgoE9EllbEEZZNS1_14partition_implILS5_9ELb0ES3_jPlS8_PNS0_10empty_typeENS0_5tupleIJS8_S9_EEENSB_IJS8_SA_EEENS0_18inequality_wrapperIZN2at6native12_GLOBAL__N_124unique_dim_cuda_templateItEESt5tupleIJNSF_6TensorESK_SK_EERKSK_lbbbEUlllE0_EEPmJS9_EEE10hipError_tPvRmT3_T4_T5_T6_T7_T9_mT8_P12ihipStream_tbDpT10_ENKUlT_T0_E_clISt17integral_constantIbLb1EES19_IbLb0EEEEDaS15_S16_EUlS15_E_NS1_11comp_targetILNS1_3genE9ELNS1_11target_archE1100ELNS1_3gpuE3ELNS1_3repE0EEENS1_30default_config_static_selectorELNS0_4arch9wavefront6targetE1EEEvT1_
		.amdhsa_group_segment_fixed_size 0
		.amdhsa_private_segment_fixed_size 0
		.amdhsa_kernarg_size 120
		.amdhsa_user_sgpr_count 2
		.amdhsa_user_sgpr_dispatch_ptr 0
		.amdhsa_user_sgpr_queue_ptr 0
		.amdhsa_user_sgpr_kernarg_segment_ptr 1
		.amdhsa_user_sgpr_dispatch_id 0
		.amdhsa_user_sgpr_kernarg_preload_length 0
		.amdhsa_user_sgpr_kernarg_preload_offset 0
		.amdhsa_user_sgpr_private_segment_size 0
		.amdhsa_uses_dynamic_stack 0
		.amdhsa_enable_private_segment 0
		.amdhsa_system_sgpr_workgroup_id_x 1
		.amdhsa_system_sgpr_workgroup_id_y 0
		.amdhsa_system_sgpr_workgroup_id_z 0
		.amdhsa_system_sgpr_workgroup_info 0
		.amdhsa_system_vgpr_workitem_id 0
		.amdhsa_next_free_vgpr 1
		.amdhsa_next_free_sgpr 0
		.amdhsa_accum_offset 4
		.amdhsa_reserve_vcc 0
		.amdhsa_float_round_mode_32 0
		.amdhsa_float_round_mode_16_64 0
		.amdhsa_float_denorm_mode_32 3
		.amdhsa_float_denorm_mode_16_64 3
		.amdhsa_dx10_clamp 1
		.amdhsa_ieee_mode 1
		.amdhsa_fp16_overflow 0
		.amdhsa_tg_split 0
		.amdhsa_exception_fp_ieee_invalid_op 0
		.amdhsa_exception_fp_denorm_src 0
		.amdhsa_exception_fp_ieee_div_zero 0
		.amdhsa_exception_fp_ieee_overflow 0
		.amdhsa_exception_fp_ieee_underflow 0
		.amdhsa_exception_fp_ieee_inexact 0
		.amdhsa_exception_int_div_zero 0
	.end_amdhsa_kernel
	.section	.text._ZN7rocprim17ROCPRIM_400000_NS6detail17trampoline_kernelINS0_14default_configENS1_25partition_config_selectorILNS1_17partition_subalgoE9EllbEEZZNS1_14partition_implILS5_9ELb0ES3_jPlS8_PNS0_10empty_typeENS0_5tupleIJS8_S9_EEENSB_IJS8_SA_EEENS0_18inequality_wrapperIZN2at6native12_GLOBAL__N_124unique_dim_cuda_templateItEESt5tupleIJNSF_6TensorESK_SK_EERKSK_lbbbEUlllE0_EEPmJS9_EEE10hipError_tPvRmT3_T4_T5_T6_T7_T9_mT8_P12ihipStream_tbDpT10_ENKUlT_T0_E_clISt17integral_constantIbLb1EES19_IbLb0EEEEDaS15_S16_EUlS15_E_NS1_11comp_targetILNS1_3genE9ELNS1_11target_archE1100ELNS1_3gpuE3ELNS1_3repE0EEENS1_30default_config_static_selectorELNS0_4arch9wavefront6targetE1EEEvT1_,"axG",@progbits,_ZN7rocprim17ROCPRIM_400000_NS6detail17trampoline_kernelINS0_14default_configENS1_25partition_config_selectorILNS1_17partition_subalgoE9EllbEEZZNS1_14partition_implILS5_9ELb0ES3_jPlS8_PNS0_10empty_typeENS0_5tupleIJS8_S9_EEENSB_IJS8_SA_EEENS0_18inequality_wrapperIZN2at6native12_GLOBAL__N_124unique_dim_cuda_templateItEESt5tupleIJNSF_6TensorESK_SK_EERKSK_lbbbEUlllE0_EEPmJS9_EEE10hipError_tPvRmT3_T4_T5_T6_T7_T9_mT8_P12ihipStream_tbDpT10_ENKUlT_T0_E_clISt17integral_constantIbLb1EES19_IbLb0EEEEDaS15_S16_EUlS15_E_NS1_11comp_targetILNS1_3genE9ELNS1_11target_archE1100ELNS1_3gpuE3ELNS1_3repE0EEENS1_30default_config_static_selectorELNS0_4arch9wavefront6targetE1EEEvT1_,comdat
.Lfunc_end1473:
	.size	_ZN7rocprim17ROCPRIM_400000_NS6detail17trampoline_kernelINS0_14default_configENS1_25partition_config_selectorILNS1_17partition_subalgoE9EllbEEZZNS1_14partition_implILS5_9ELb0ES3_jPlS8_PNS0_10empty_typeENS0_5tupleIJS8_S9_EEENSB_IJS8_SA_EEENS0_18inequality_wrapperIZN2at6native12_GLOBAL__N_124unique_dim_cuda_templateItEESt5tupleIJNSF_6TensorESK_SK_EERKSK_lbbbEUlllE0_EEPmJS9_EEE10hipError_tPvRmT3_T4_T5_T6_T7_T9_mT8_P12ihipStream_tbDpT10_ENKUlT_T0_E_clISt17integral_constantIbLb1EES19_IbLb0EEEEDaS15_S16_EUlS15_E_NS1_11comp_targetILNS1_3genE9ELNS1_11target_archE1100ELNS1_3gpuE3ELNS1_3repE0EEENS1_30default_config_static_selectorELNS0_4arch9wavefront6targetE1EEEvT1_, .Lfunc_end1473-_ZN7rocprim17ROCPRIM_400000_NS6detail17trampoline_kernelINS0_14default_configENS1_25partition_config_selectorILNS1_17partition_subalgoE9EllbEEZZNS1_14partition_implILS5_9ELb0ES3_jPlS8_PNS0_10empty_typeENS0_5tupleIJS8_S9_EEENSB_IJS8_SA_EEENS0_18inequality_wrapperIZN2at6native12_GLOBAL__N_124unique_dim_cuda_templateItEESt5tupleIJNSF_6TensorESK_SK_EERKSK_lbbbEUlllE0_EEPmJS9_EEE10hipError_tPvRmT3_T4_T5_T6_T7_T9_mT8_P12ihipStream_tbDpT10_ENKUlT_T0_E_clISt17integral_constantIbLb1EES19_IbLb0EEEEDaS15_S16_EUlS15_E_NS1_11comp_targetILNS1_3genE9ELNS1_11target_archE1100ELNS1_3gpuE3ELNS1_3repE0EEENS1_30default_config_static_selectorELNS0_4arch9wavefront6targetE1EEEvT1_
                                        ; -- End function
	.set _ZN7rocprim17ROCPRIM_400000_NS6detail17trampoline_kernelINS0_14default_configENS1_25partition_config_selectorILNS1_17partition_subalgoE9EllbEEZZNS1_14partition_implILS5_9ELb0ES3_jPlS8_PNS0_10empty_typeENS0_5tupleIJS8_S9_EEENSB_IJS8_SA_EEENS0_18inequality_wrapperIZN2at6native12_GLOBAL__N_124unique_dim_cuda_templateItEESt5tupleIJNSF_6TensorESK_SK_EERKSK_lbbbEUlllE0_EEPmJS9_EEE10hipError_tPvRmT3_T4_T5_T6_T7_T9_mT8_P12ihipStream_tbDpT10_ENKUlT_T0_E_clISt17integral_constantIbLb1EES19_IbLb0EEEEDaS15_S16_EUlS15_E_NS1_11comp_targetILNS1_3genE9ELNS1_11target_archE1100ELNS1_3gpuE3ELNS1_3repE0EEENS1_30default_config_static_selectorELNS0_4arch9wavefront6targetE1EEEvT1_.num_vgpr, 0
	.set _ZN7rocprim17ROCPRIM_400000_NS6detail17trampoline_kernelINS0_14default_configENS1_25partition_config_selectorILNS1_17partition_subalgoE9EllbEEZZNS1_14partition_implILS5_9ELb0ES3_jPlS8_PNS0_10empty_typeENS0_5tupleIJS8_S9_EEENSB_IJS8_SA_EEENS0_18inequality_wrapperIZN2at6native12_GLOBAL__N_124unique_dim_cuda_templateItEESt5tupleIJNSF_6TensorESK_SK_EERKSK_lbbbEUlllE0_EEPmJS9_EEE10hipError_tPvRmT3_T4_T5_T6_T7_T9_mT8_P12ihipStream_tbDpT10_ENKUlT_T0_E_clISt17integral_constantIbLb1EES19_IbLb0EEEEDaS15_S16_EUlS15_E_NS1_11comp_targetILNS1_3genE9ELNS1_11target_archE1100ELNS1_3gpuE3ELNS1_3repE0EEENS1_30default_config_static_selectorELNS0_4arch9wavefront6targetE1EEEvT1_.num_agpr, 0
	.set _ZN7rocprim17ROCPRIM_400000_NS6detail17trampoline_kernelINS0_14default_configENS1_25partition_config_selectorILNS1_17partition_subalgoE9EllbEEZZNS1_14partition_implILS5_9ELb0ES3_jPlS8_PNS0_10empty_typeENS0_5tupleIJS8_S9_EEENSB_IJS8_SA_EEENS0_18inequality_wrapperIZN2at6native12_GLOBAL__N_124unique_dim_cuda_templateItEESt5tupleIJNSF_6TensorESK_SK_EERKSK_lbbbEUlllE0_EEPmJS9_EEE10hipError_tPvRmT3_T4_T5_T6_T7_T9_mT8_P12ihipStream_tbDpT10_ENKUlT_T0_E_clISt17integral_constantIbLb1EES19_IbLb0EEEEDaS15_S16_EUlS15_E_NS1_11comp_targetILNS1_3genE9ELNS1_11target_archE1100ELNS1_3gpuE3ELNS1_3repE0EEENS1_30default_config_static_selectorELNS0_4arch9wavefront6targetE1EEEvT1_.numbered_sgpr, 0
	.set _ZN7rocprim17ROCPRIM_400000_NS6detail17trampoline_kernelINS0_14default_configENS1_25partition_config_selectorILNS1_17partition_subalgoE9EllbEEZZNS1_14partition_implILS5_9ELb0ES3_jPlS8_PNS0_10empty_typeENS0_5tupleIJS8_S9_EEENSB_IJS8_SA_EEENS0_18inequality_wrapperIZN2at6native12_GLOBAL__N_124unique_dim_cuda_templateItEESt5tupleIJNSF_6TensorESK_SK_EERKSK_lbbbEUlllE0_EEPmJS9_EEE10hipError_tPvRmT3_T4_T5_T6_T7_T9_mT8_P12ihipStream_tbDpT10_ENKUlT_T0_E_clISt17integral_constantIbLb1EES19_IbLb0EEEEDaS15_S16_EUlS15_E_NS1_11comp_targetILNS1_3genE9ELNS1_11target_archE1100ELNS1_3gpuE3ELNS1_3repE0EEENS1_30default_config_static_selectorELNS0_4arch9wavefront6targetE1EEEvT1_.num_named_barrier, 0
	.set _ZN7rocprim17ROCPRIM_400000_NS6detail17trampoline_kernelINS0_14default_configENS1_25partition_config_selectorILNS1_17partition_subalgoE9EllbEEZZNS1_14partition_implILS5_9ELb0ES3_jPlS8_PNS0_10empty_typeENS0_5tupleIJS8_S9_EEENSB_IJS8_SA_EEENS0_18inequality_wrapperIZN2at6native12_GLOBAL__N_124unique_dim_cuda_templateItEESt5tupleIJNSF_6TensorESK_SK_EERKSK_lbbbEUlllE0_EEPmJS9_EEE10hipError_tPvRmT3_T4_T5_T6_T7_T9_mT8_P12ihipStream_tbDpT10_ENKUlT_T0_E_clISt17integral_constantIbLb1EES19_IbLb0EEEEDaS15_S16_EUlS15_E_NS1_11comp_targetILNS1_3genE9ELNS1_11target_archE1100ELNS1_3gpuE3ELNS1_3repE0EEENS1_30default_config_static_selectorELNS0_4arch9wavefront6targetE1EEEvT1_.private_seg_size, 0
	.set _ZN7rocprim17ROCPRIM_400000_NS6detail17trampoline_kernelINS0_14default_configENS1_25partition_config_selectorILNS1_17partition_subalgoE9EllbEEZZNS1_14partition_implILS5_9ELb0ES3_jPlS8_PNS0_10empty_typeENS0_5tupleIJS8_S9_EEENSB_IJS8_SA_EEENS0_18inequality_wrapperIZN2at6native12_GLOBAL__N_124unique_dim_cuda_templateItEESt5tupleIJNSF_6TensorESK_SK_EERKSK_lbbbEUlllE0_EEPmJS9_EEE10hipError_tPvRmT3_T4_T5_T6_T7_T9_mT8_P12ihipStream_tbDpT10_ENKUlT_T0_E_clISt17integral_constantIbLb1EES19_IbLb0EEEEDaS15_S16_EUlS15_E_NS1_11comp_targetILNS1_3genE9ELNS1_11target_archE1100ELNS1_3gpuE3ELNS1_3repE0EEENS1_30default_config_static_selectorELNS0_4arch9wavefront6targetE1EEEvT1_.uses_vcc, 0
	.set _ZN7rocprim17ROCPRIM_400000_NS6detail17trampoline_kernelINS0_14default_configENS1_25partition_config_selectorILNS1_17partition_subalgoE9EllbEEZZNS1_14partition_implILS5_9ELb0ES3_jPlS8_PNS0_10empty_typeENS0_5tupleIJS8_S9_EEENSB_IJS8_SA_EEENS0_18inequality_wrapperIZN2at6native12_GLOBAL__N_124unique_dim_cuda_templateItEESt5tupleIJNSF_6TensorESK_SK_EERKSK_lbbbEUlllE0_EEPmJS9_EEE10hipError_tPvRmT3_T4_T5_T6_T7_T9_mT8_P12ihipStream_tbDpT10_ENKUlT_T0_E_clISt17integral_constantIbLb1EES19_IbLb0EEEEDaS15_S16_EUlS15_E_NS1_11comp_targetILNS1_3genE9ELNS1_11target_archE1100ELNS1_3gpuE3ELNS1_3repE0EEENS1_30default_config_static_selectorELNS0_4arch9wavefront6targetE1EEEvT1_.uses_flat_scratch, 0
	.set _ZN7rocprim17ROCPRIM_400000_NS6detail17trampoline_kernelINS0_14default_configENS1_25partition_config_selectorILNS1_17partition_subalgoE9EllbEEZZNS1_14partition_implILS5_9ELb0ES3_jPlS8_PNS0_10empty_typeENS0_5tupleIJS8_S9_EEENSB_IJS8_SA_EEENS0_18inequality_wrapperIZN2at6native12_GLOBAL__N_124unique_dim_cuda_templateItEESt5tupleIJNSF_6TensorESK_SK_EERKSK_lbbbEUlllE0_EEPmJS9_EEE10hipError_tPvRmT3_T4_T5_T6_T7_T9_mT8_P12ihipStream_tbDpT10_ENKUlT_T0_E_clISt17integral_constantIbLb1EES19_IbLb0EEEEDaS15_S16_EUlS15_E_NS1_11comp_targetILNS1_3genE9ELNS1_11target_archE1100ELNS1_3gpuE3ELNS1_3repE0EEENS1_30default_config_static_selectorELNS0_4arch9wavefront6targetE1EEEvT1_.has_dyn_sized_stack, 0
	.set _ZN7rocprim17ROCPRIM_400000_NS6detail17trampoline_kernelINS0_14default_configENS1_25partition_config_selectorILNS1_17partition_subalgoE9EllbEEZZNS1_14partition_implILS5_9ELb0ES3_jPlS8_PNS0_10empty_typeENS0_5tupleIJS8_S9_EEENSB_IJS8_SA_EEENS0_18inequality_wrapperIZN2at6native12_GLOBAL__N_124unique_dim_cuda_templateItEESt5tupleIJNSF_6TensorESK_SK_EERKSK_lbbbEUlllE0_EEPmJS9_EEE10hipError_tPvRmT3_T4_T5_T6_T7_T9_mT8_P12ihipStream_tbDpT10_ENKUlT_T0_E_clISt17integral_constantIbLb1EES19_IbLb0EEEEDaS15_S16_EUlS15_E_NS1_11comp_targetILNS1_3genE9ELNS1_11target_archE1100ELNS1_3gpuE3ELNS1_3repE0EEENS1_30default_config_static_selectorELNS0_4arch9wavefront6targetE1EEEvT1_.has_recursion, 0
	.set _ZN7rocprim17ROCPRIM_400000_NS6detail17trampoline_kernelINS0_14default_configENS1_25partition_config_selectorILNS1_17partition_subalgoE9EllbEEZZNS1_14partition_implILS5_9ELb0ES3_jPlS8_PNS0_10empty_typeENS0_5tupleIJS8_S9_EEENSB_IJS8_SA_EEENS0_18inequality_wrapperIZN2at6native12_GLOBAL__N_124unique_dim_cuda_templateItEESt5tupleIJNSF_6TensorESK_SK_EERKSK_lbbbEUlllE0_EEPmJS9_EEE10hipError_tPvRmT3_T4_T5_T6_T7_T9_mT8_P12ihipStream_tbDpT10_ENKUlT_T0_E_clISt17integral_constantIbLb1EES19_IbLb0EEEEDaS15_S16_EUlS15_E_NS1_11comp_targetILNS1_3genE9ELNS1_11target_archE1100ELNS1_3gpuE3ELNS1_3repE0EEENS1_30default_config_static_selectorELNS0_4arch9wavefront6targetE1EEEvT1_.has_indirect_call, 0
	.section	.AMDGPU.csdata,"",@progbits
; Kernel info:
; codeLenInByte = 0
; TotalNumSgprs: 6
; NumVgprs: 0
; NumAgprs: 0
; TotalNumVgprs: 0
; ScratchSize: 0
; MemoryBound: 0
; FloatMode: 240
; IeeeMode: 1
; LDSByteSize: 0 bytes/workgroup (compile time only)
; SGPRBlocks: 0
; VGPRBlocks: 0
; NumSGPRsForWavesPerEU: 6
; NumVGPRsForWavesPerEU: 1
; AccumOffset: 4
; Occupancy: 8
; WaveLimiterHint : 0
; COMPUTE_PGM_RSRC2:SCRATCH_EN: 0
; COMPUTE_PGM_RSRC2:USER_SGPR: 2
; COMPUTE_PGM_RSRC2:TRAP_HANDLER: 0
; COMPUTE_PGM_RSRC2:TGID_X_EN: 1
; COMPUTE_PGM_RSRC2:TGID_Y_EN: 0
; COMPUTE_PGM_RSRC2:TGID_Z_EN: 0
; COMPUTE_PGM_RSRC2:TIDIG_COMP_CNT: 0
; COMPUTE_PGM_RSRC3_GFX90A:ACCUM_OFFSET: 0
; COMPUTE_PGM_RSRC3_GFX90A:TG_SPLIT: 0
	.section	.text._ZN7rocprim17ROCPRIM_400000_NS6detail17trampoline_kernelINS0_14default_configENS1_25partition_config_selectorILNS1_17partition_subalgoE9EllbEEZZNS1_14partition_implILS5_9ELb0ES3_jPlS8_PNS0_10empty_typeENS0_5tupleIJS8_S9_EEENSB_IJS8_SA_EEENS0_18inequality_wrapperIZN2at6native12_GLOBAL__N_124unique_dim_cuda_templateItEESt5tupleIJNSF_6TensorESK_SK_EERKSK_lbbbEUlllE0_EEPmJS9_EEE10hipError_tPvRmT3_T4_T5_T6_T7_T9_mT8_P12ihipStream_tbDpT10_ENKUlT_T0_E_clISt17integral_constantIbLb1EES19_IbLb0EEEEDaS15_S16_EUlS15_E_NS1_11comp_targetILNS1_3genE8ELNS1_11target_archE1030ELNS1_3gpuE2ELNS1_3repE0EEENS1_30default_config_static_selectorELNS0_4arch9wavefront6targetE1EEEvT1_,"axG",@progbits,_ZN7rocprim17ROCPRIM_400000_NS6detail17trampoline_kernelINS0_14default_configENS1_25partition_config_selectorILNS1_17partition_subalgoE9EllbEEZZNS1_14partition_implILS5_9ELb0ES3_jPlS8_PNS0_10empty_typeENS0_5tupleIJS8_S9_EEENSB_IJS8_SA_EEENS0_18inequality_wrapperIZN2at6native12_GLOBAL__N_124unique_dim_cuda_templateItEESt5tupleIJNSF_6TensorESK_SK_EERKSK_lbbbEUlllE0_EEPmJS9_EEE10hipError_tPvRmT3_T4_T5_T6_T7_T9_mT8_P12ihipStream_tbDpT10_ENKUlT_T0_E_clISt17integral_constantIbLb1EES19_IbLb0EEEEDaS15_S16_EUlS15_E_NS1_11comp_targetILNS1_3genE8ELNS1_11target_archE1030ELNS1_3gpuE2ELNS1_3repE0EEENS1_30default_config_static_selectorELNS0_4arch9wavefront6targetE1EEEvT1_,comdat
	.globl	_ZN7rocprim17ROCPRIM_400000_NS6detail17trampoline_kernelINS0_14default_configENS1_25partition_config_selectorILNS1_17partition_subalgoE9EllbEEZZNS1_14partition_implILS5_9ELb0ES3_jPlS8_PNS0_10empty_typeENS0_5tupleIJS8_S9_EEENSB_IJS8_SA_EEENS0_18inequality_wrapperIZN2at6native12_GLOBAL__N_124unique_dim_cuda_templateItEESt5tupleIJNSF_6TensorESK_SK_EERKSK_lbbbEUlllE0_EEPmJS9_EEE10hipError_tPvRmT3_T4_T5_T6_T7_T9_mT8_P12ihipStream_tbDpT10_ENKUlT_T0_E_clISt17integral_constantIbLb1EES19_IbLb0EEEEDaS15_S16_EUlS15_E_NS1_11comp_targetILNS1_3genE8ELNS1_11target_archE1030ELNS1_3gpuE2ELNS1_3repE0EEENS1_30default_config_static_selectorELNS0_4arch9wavefront6targetE1EEEvT1_ ; -- Begin function _ZN7rocprim17ROCPRIM_400000_NS6detail17trampoline_kernelINS0_14default_configENS1_25partition_config_selectorILNS1_17partition_subalgoE9EllbEEZZNS1_14partition_implILS5_9ELb0ES3_jPlS8_PNS0_10empty_typeENS0_5tupleIJS8_S9_EEENSB_IJS8_SA_EEENS0_18inequality_wrapperIZN2at6native12_GLOBAL__N_124unique_dim_cuda_templateItEESt5tupleIJNSF_6TensorESK_SK_EERKSK_lbbbEUlllE0_EEPmJS9_EEE10hipError_tPvRmT3_T4_T5_T6_T7_T9_mT8_P12ihipStream_tbDpT10_ENKUlT_T0_E_clISt17integral_constantIbLb1EES19_IbLb0EEEEDaS15_S16_EUlS15_E_NS1_11comp_targetILNS1_3genE8ELNS1_11target_archE1030ELNS1_3gpuE2ELNS1_3repE0EEENS1_30default_config_static_selectorELNS0_4arch9wavefront6targetE1EEEvT1_
	.p2align	8
	.type	_ZN7rocprim17ROCPRIM_400000_NS6detail17trampoline_kernelINS0_14default_configENS1_25partition_config_selectorILNS1_17partition_subalgoE9EllbEEZZNS1_14partition_implILS5_9ELb0ES3_jPlS8_PNS0_10empty_typeENS0_5tupleIJS8_S9_EEENSB_IJS8_SA_EEENS0_18inequality_wrapperIZN2at6native12_GLOBAL__N_124unique_dim_cuda_templateItEESt5tupleIJNSF_6TensorESK_SK_EERKSK_lbbbEUlllE0_EEPmJS9_EEE10hipError_tPvRmT3_T4_T5_T6_T7_T9_mT8_P12ihipStream_tbDpT10_ENKUlT_T0_E_clISt17integral_constantIbLb1EES19_IbLb0EEEEDaS15_S16_EUlS15_E_NS1_11comp_targetILNS1_3genE8ELNS1_11target_archE1030ELNS1_3gpuE2ELNS1_3repE0EEENS1_30default_config_static_selectorELNS0_4arch9wavefront6targetE1EEEvT1_,@function
_ZN7rocprim17ROCPRIM_400000_NS6detail17trampoline_kernelINS0_14default_configENS1_25partition_config_selectorILNS1_17partition_subalgoE9EllbEEZZNS1_14partition_implILS5_9ELb0ES3_jPlS8_PNS0_10empty_typeENS0_5tupleIJS8_S9_EEENSB_IJS8_SA_EEENS0_18inequality_wrapperIZN2at6native12_GLOBAL__N_124unique_dim_cuda_templateItEESt5tupleIJNSF_6TensorESK_SK_EERKSK_lbbbEUlllE0_EEPmJS9_EEE10hipError_tPvRmT3_T4_T5_T6_T7_T9_mT8_P12ihipStream_tbDpT10_ENKUlT_T0_E_clISt17integral_constantIbLb1EES19_IbLb0EEEEDaS15_S16_EUlS15_E_NS1_11comp_targetILNS1_3genE8ELNS1_11target_archE1030ELNS1_3gpuE2ELNS1_3repE0EEENS1_30default_config_static_selectorELNS0_4arch9wavefront6targetE1EEEvT1_: ; @_ZN7rocprim17ROCPRIM_400000_NS6detail17trampoline_kernelINS0_14default_configENS1_25partition_config_selectorILNS1_17partition_subalgoE9EllbEEZZNS1_14partition_implILS5_9ELb0ES3_jPlS8_PNS0_10empty_typeENS0_5tupleIJS8_S9_EEENSB_IJS8_SA_EEENS0_18inequality_wrapperIZN2at6native12_GLOBAL__N_124unique_dim_cuda_templateItEESt5tupleIJNSF_6TensorESK_SK_EERKSK_lbbbEUlllE0_EEPmJS9_EEE10hipError_tPvRmT3_T4_T5_T6_T7_T9_mT8_P12ihipStream_tbDpT10_ENKUlT_T0_E_clISt17integral_constantIbLb1EES19_IbLb0EEEEDaS15_S16_EUlS15_E_NS1_11comp_targetILNS1_3genE8ELNS1_11target_archE1030ELNS1_3gpuE2ELNS1_3repE0EEENS1_30default_config_static_selectorELNS0_4arch9wavefront6targetE1EEEvT1_
; %bb.0:
	.section	.rodata,"a",@progbits
	.p2align	6, 0x0
	.amdhsa_kernel _ZN7rocprim17ROCPRIM_400000_NS6detail17trampoline_kernelINS0_14default_configENS1_25partition_config_selectorILNS1_17partition_subalgoE9EllbEEZZNS1_14partition_implILS5_9ELb0ES3_jPlS8_PNS0_10empty_typeENS0_5tupleIJS8_S9_EEENSB_IJS8_SA_EEENS0_18inequality_wrapperIZN2at6native12_GLOBAL__N_124unique_dim_cuda_templateItEESt5tupleIJNSF_6TensorESK_SK_EERKSK_lbbbEUlllE0_EEPmJS9_EEE10hipError_tPvRmT3_T4_T5_T6_T7_T9_mT8_P12ihipStream_tbDpT10_ENKUlT_T0_E_clISt17integral_constantIbLb1EES19_IbLb0EEEEDaS15_S16_EUlS15_E_NS1_11comp_targetILNS1_3genE8ELNS1_11target_archE1030ELNS1_3gpuE2ELNS1_3repE0EEENS1_30default_config_static_selectorELNS0_4arch9wavefront6targetE1EEEvT1_
		.amdhsa_group_segment_fixed_size 0
		.amdhsa_private_segment_fixed_size 0
		.amdhsa_kernarg_size 120
		.amdhsa_user_sgpr_count 2
		.amdhsa_user_sgpr_dispatch_ptr 0
		.amdhsa_user_sgpr_queue_ptr 0
		.amdhsa_user_sgpr_kernarg_segment_ptr 1
		.amdhsa_user_sgpr_dispatch_id 0
		.amdhsa_user_sgpr_kernarg_preload_length 0
		.amdhsa_user_sgpr_kernarg_preload_offset 0
		.amdhsa_user_sgpr_private_segment_size 0
		.amdhsa_uses_dynamic_stack 0
		.amdhsa_enable_private_segment 0
		.amdhsa_system_sgpr_workgroup_id_x 1
		.amdhsa_system_sgpr_workgroup_id_y 0
		.amdhsa_system_sgpr_workgroup_id_z 0
		.amdhsa_system_sgpr_workgroup_info 0
		.amdhsa_system_vgpr_workitem_id 0
		.amdhsa_next_free_vgpr 1
		.amdhsa_next_free_sgpr 0
		.amdhsa_accum_offset 4
		.amdhsa_reserve_vcc 0
		.amdhsa_float_round_mode_32 0
		.amdhsa_float_round_mode_16_64 0
		.amdhsa_float_denorm_mode_32 3
		.amdhsa_float_denorm_mode_16_64 3
		.amdhsa_dx10_clamp 1
		.amdhsa_ieee_mode 1
		.amdhsa_fp16_overflow 0
		.amdhsa_tg_split 0
		.amdhsa_exception_fp_ieee_invalid_op 0
		.amdhsa_exception_fp_denorm_src 0
		.amdhsa_exception_fp_ieee_div_zero 0
		.amdhsa_exception_fp_ieee_overflow 0
		.amdhsa_exception_fp_ieee_underflow 0
		.amdhsa_exception_fp_ieee_inexact 0
		.amdhsa_exception_int_div_zero 0
	.end_amdhsa_kernel
	.section	.text._ZN7rocprim17ROCPRIM_400000_NS6detail17trampoline_kernelINS0_14default_configENS1_25partition_config_selectorILNS1_17partition_subalgoE9EllbEEZZNS1_14partition_implILS5_9ELb0ES3_jPlS8_PNS0_10empty_typeENS0_5tupleIJS8_S9_EEENSB_IJS8_SA_EEENS0_18inequality_wrapperIZN2at6native12_GLOBAL__N_124unique_dim_cuda_templateItEESt5tupleIJNSF_6TensorESK_SK_EERKSK_lbbbEUlllE0_EEPmJS9_EEE10hipError_tPvRmT3_T4_T5_T6_T7_T9_mT8_P12ihipStream_tbDpT10_ENKUlT_T0_E_clISt17integral_constantIbLb1EES19_IbLb0EEEEDaS15_S16_EUlS15_E_NS1_11comp_targetILNS1_3genE8ELNS1_11target_archE1030ELNS1_3gpuE2ELNS1_3repE0EEENS1_30default_config_static_selectorELNS0_4arch9wavefront6targetE1EEEvT1_,"axG",@progbits,_ZN7rocprim17ROCPRIM_400000_NS6detail17trampoline_kernelINS0_14default_configENS1_25partition_config_selectorILNS1_17partition_subalgoE9EllbEEZZNS1_14partition_implILS5_9ELb0ES3_jPlS8_PNS0_10empty_typeENS0_5tupleIJS8_S9_EEENSB_IJS8_SA_EEENS0_18inequality_wrapperIZN2at6native12_GLOBAL__N_124unique_dim_cuda_templateItEESt5tupleIJNSF_6TensorESK_SK_EERKSK_lbbbEUlllE0_EEPmJS9_EEE10hipError_tPvRmT3_T4_T5_T6_T7_T9_mT8_P12ihipStream_tbDpT10_ENKUlT_T0_E_clISt17integral_constantIbLb1EES19_IbLb0EEEEDaS15_S16_EUlS15_E_NS1_11comp_targetILNS1_3genE8ELNS1_11target_archE1030ELNS1_3gpuE2ELNS1_3repE0EEENS1_30default_config_static_selectorELNS0_4arch9wavefront6targetE1EEEvT1_,comdat
.Lfunc_end1474:
	.size	_ZN7rocprim17ROCPRIM_400000_NS6detail17trampoline_kernelINS0_14default_configENS1_25partition_config_selectorILNS1_17partition_subalgoE9EllbEEZZNS1_14partition_implILS5_9ELb0ES3_jPlS8_PNS0_10empty_typeENS0_5tupleIJS8_S9_EEENSB_IJS8_SA_EEENS0_18inequality_wrapperIZN2at6native12_GLOBAL__N_124unique_dim_cuda_templateItEESt5tupleIJNSF_6TensorESK_SK_EERKSK_lbbbEUlllE0_EEPmJS9_EEE10hipError_tPvRmT3_T4_T5_T6_T7_T9_mT8_P12ihipStream_tbDpT10_ENKUlT_T0_E_clISt17integral_constantIbLb1EES19_IbLb0EEEEDaS15_S16_EUlS15_E_NS1_11comp_targetILNS1_3genE8ELNS1_11target_archE1030ELNS1_3gpuE2ELNS1_3repE0EEENS1_30default_config_static_selectorELNS0_4arch9wavefront6targetE1EEEvT1_, .Lfunc_end1474-_ZN7rocprim17ROCPRIM_400000_NS6detail17trampoline_kernelINS0_14default_configENS1_25partition_config_selectorILNS1_17partition_subalgoE9EllbEEZZNS1_14partition_implILS5_9ELb0ES3_jPlS8_PNS0_10empty_typeENS0_5tupleIJS8_S9_EEENSB_IJS8_SA_EEENS0_18inequality_wrapperIZN2at6native12_GLOBAL__N_124unique_dim_cuda_templateItEESt5tupleIJNSF_6TensorESK_SK_EERKSK_lbbbEUlllE0_EEPmJS9_EEE10hipError_tPvRmT3_T4_T5_T6_T7_T9_mT8_P12ihipStream_tbDpT10_ENKUlT_T0_E_clISt17integral_constantIbLb1EES19_IbLb0EEEEDaS15_S16_EUlS15_E_NS1_11comp_targetILNS1_3genE8ELNS1_11target_archE1030ELNS1_3gpuE2ELNS1_3repE0EEENS1_30default_config_static_selectorELNS0_4arch9wavefront6targetE1EEEvT1_
                                        ; -- End function
	.set _ZN7rocprim17ROCPRIM_400000_NS6detail17trampoline_kernelINS0_14default_configENS1_25partition_config_selectorILNS1_17partition_subalgoE9EllbEEZZNS1_14partition_implILS5_9ELb0ES3_jPlS8_PNS0_10empty_typeENS0_5tupleIJS8_S9_EEENSB_IJS8_SA_EEENS0_18inequality_wrapperIZN2at6native12_GLOBAL__N_124unique_dim_cuda_templateItEESt5tupleIJNSF_6TensorESK_SK_EERKSK_lbbbEUlllE0_EEPmJS9_EEE10hipError_tPvRmT3_T4_T5_T6_T7_T9_mT8_P12ihipStream_tbDpT10_ENKUlT_T0_E_clISt17integral_constantIbLb1EES19_IbLb0EEEEDaS15_S16_EUlS15_E_NS1_11comp_targetILNS1_3genE8ELNS1_11target_archE1030ELNS1_3gpuE2ELNS1_3repE0EEENS1_30default_config_static_selectorELNS0_4arch9wavefront6targetE1EEEvT1_.num_vgpr, 0
	.set _ZN7rocprim17ROCPRIM_400000_NS6detail17trampoline_kernelINS0_14default_configENS1_25partition_config_selectorILNS1_17partition_subalgoE9EllbEEZZNS1_14partition_implILS5_9ELb0ES3_jPlS8_PNS0_10empty_typeENS0_5tupleIJS8_S9_EEENSB_IJS8_SA_EEENS0_18inequality_wrapperIZN2at6native12_GLOBAL__N_124unique_dim_cuda_templateItEESt5tupleIJNSF_6TensorESK_SK_EERKSK_lbbbEUlllE0_EEPmJS9_EEE10hipError_tPvRmT3_T4_T5_T6_T7_T9_mT8_P12ihipStream_tbDpT10_ENKUlT_T0_E_clISt17integral_constantIbLb1EES19_IbLb0EEEEDaS15_S16_EUlS15_E_NS1_11comp_targetILNS1_3genE8ELNS1_11target_archE1030ELNS1_3gpuE2ELNS1_3repE0EEENS1_30default_config_static_selectorELNS0_4arch9wavefront6targetE1EEEvT1_.num_agpr, 0
	.set _ZN7rocprim17ROCPRIM_400000_NS6detail17trampoline_kernelINS0_14default_configENS1_25partition_config_selectorILNS1_17partition_subalgoE9EllbEEZZNS1_14partition_implILS5_9ELb0ES3_jPlS8_PNS0_10empty_typeENS0_5tupleIJS8_S9_EEENSB_IJS8_SA_EEENS0_18inequality_wrapperIZN2at6native12_GLOBAL__N_124unique_dim_cuda_templateItEESt5tupleIJNSF_6TensorESK_SK_EERKSK_lbbbEUlllE0_EEPmJS9_EEE10hipError_tPvRmT3_T4_T5_T6_T7_T9_mT8_P12ihipStream_tbDpT10_ENKUlT_T0_E_clISt17integral_constantIbLb1EES19_IbLb0EEEEDaS15_S16_EUlS15_E_NS1_11comp_targetILNS1_3genE8ELNS1_11target_archE1030ELNS1_3gpuE2ELNS1_3repE0EEENS1_30default_config_static_selectorELNS0_4arch9wavefront6targetE1EEEvT1_.numbered_sgpr, 0
	.set _ZN7rocprim17ROCPRIM_400000_NS6detail17trampoline_kernelINS0_14default_configENS1_25partition_config_selectorILNS1_17partition_subalgoE9EllbEEZZNS1_14partition_implILS5_9ELb0ES3_jPlS8_PNS0_10empty_typeENS0_5tupleIJS8_S9_EEENSB_IJS8_SA_EEENS0_18inequality_wrapperIZN2at6native12_GLOBAL__N_124unique_dim_cuda_templateItEESt5tupleIJNSF_6TensorESK_SK_EERKSK_lbbbEUlllE0_EEPmJS9_EEE10hipError_tPvRmT3_T4_T5_T6_T7_T9_mT8_P12ihipStream_tbDpT10_ENKUlT_T0_E_clISt17integral_constantIbLb1EES19_IbLb0EEEEDaS15_S16_EUlS15_E_NS1_11comp_targetILNS1_3genE8ELNS1_11target_archE1030ELNS1_3gpuE2ELNS1_3repE0EEENS1_30default_config_static_selectorELNS0_4arch9wavefront6targetE1EEEvT1_.num_named_barrier, 0
	.set _ZN7rocprim17ROCPRIM_400000_NS6detail17trampoline_kernelINS0_14default_configENS1_25partition_config_selectorILNS1_17partition_subalgoE9EllbEEZZNS1_14partition_implILS5_9ELb0ES3_jPlS8_PNS0_10empty_typeENS0_5tupleIJS8_S9_EEENSB_IJS8_SA_EEENS0_18inequality_wrapperIZN2at6native12_GLOBAL__N_124unique_dim_cuda_templateItEESt5tupleIJNSF_6TensorESK_SK_EERKSK_lbbbEUlllE0_EEPmJS9_EEE10hipError_tPvRmT3_T4_T5_T6_T7_T9_mT8_P12ihipStream_tbDpT10_ENKUlT_T0_E_clISt17integral_constantIbLb1EES19_IbLb0EEEEDaS15_S16_EUlS15_E_NS1_11comp_targetILNS1_3genE8ELNS1_11target_archE1030ELNS1_3gpuE2ELNS1_3repE0EEENS1_30default_config_static_selectorELNS0_4arch9wavefront6targetE1EEEvT1_.private_seg_size, 0
	.set _ZN7rocprim17ROCPRIM_400000_NS6detail17trampoline_kernelINS0_14default_configENS1_25partition_config_selectorILNS1_17partition_subalgoE9EllbEEZZNS1_14partition_implILS5_9ELb0ES3_jPlS8_PNS0_10empty_typeENS0_5tupleIJS8_S9_EEENSB_IJS8_SA_EEENS0_18inequality_wrapperIZN2at6native12_GLOBAL__N_124unique_dim_cuda_templateItEESt5tupleIJNSF_6TensorESK_SK_EERKSK_lbbbEUlllE0_EEPmJS9_EEE10hipError_tPvRmT3_T4_T5_T6_T7_T9_mT8_P12ihipStream_tbDpT10_ENKUlT_T0_E_clISt17integral_constantIbLb1EES19_IbLb0EEEEDaS15_S16_EUlS15_E_NS1_11comp_targetILNS1_3genE8ELNS1_11target_archE1030ELNS1_3gpuE2ELNS1_3repE0EEENS1_30default_config_static_selectorELNS0_4arch9wavefront6targetE1EEEvT1_.uses_vcc, 0
	.set _ZN7rocprim17ROCPRIM_400000_NS6detail17trampoline_kernelINS0_14default_configENS1_25partition_config_selectorILNS1_17partition_subalgoE9EllbEEZZNS1_14partition_implILS5_9ELb0ES3_jPlS8_PNS0_10empty_typeENS0_5tupleIJS8_S9_EEENSB_IJS8_SA_EEENS0_18inequality_wrapperIZN2at6native12_GLOBAL__N_124unique_dim_cuda_templateItEESt5tupleIJNSF_6TensorESK_SK_EERKSK_lbbbEUlllE0_EEPmJS9_EEE10hipError_tPvRmT3_T4_T5_T6_T7_T9_mT8_P12ihipStream_tbDpT10_ENKUlT_T0_E_clISt17integral_constantIbLb1EES19_IbLb0EEEEDaS15_S16_EUlS15_E_NS1_11comp_targetILNS1_3genE8ELNS1_11target_archE1030ELNS1_3gpuE2ELNS1_3repE0EEENS1_30default_config_static_selectorELNS0_4arch9wavefront6targetE1EEEvT1_.uses_flat_scratch, 0
	.set _ZN7rocprim17ROCPRIM_400000_NS6detail17trampoline_kernelINS0_14default_configENS1_25partition_config_selectorILNS1_17partition_subalgoE9EllbEEZZNS1_14partition_implILS5_9ELb0ES3_jPlS8_PNS0_10empty_typeENS0_5tupleIJS8_S9_EEENSB_IJS8_SA_EEENS0_18inequality_wrapperIZN2at6native12_GLOBAL__N_124unique_dim_cuda_templateItEESt5tupleIJNSF_6TensorESK_SK_EERKSK_lbbbEUlllE0_EEPmJS9_EEE10hipError_tPvRmT3_T4_T5_T6_T7_T9_mT8_P12ihipStream_tbDpT10_ENKUlT_T0_E_clISt17integral_constantIbLb1EES19_IbLb0EEEEDaS15_S16_EUlS15_E_NS1_11comp_targetILNS1_3genE8ELNS1_11target_archE1030ELNS1_3gpuE2ELNS1_3repE0EEENS1_30default_config_static_selectorELNS0_4arch9wavefront6targetE1EEEvT1_.has_dyn_sized_stack, 0
	.set _ZN7rocprim17ROCPRIM_400000_NS6detail17trampoline_kernelINS0_14default_configENS1_25partition_config_selectorILNS1_17partition_subalgoE9EllbEEZZNS1_14partition_implILS5_9ELb0ES3_jPlS8_PNS0_10empty_typeENS0_5tupleIJS8_S9_EEENSB_IJS8_SA_EEENS0_18inequality_wrapperIZN2at6native12_GLOBAL__N_124unique_dim_cuda_templateItEESt5tupleIJNSF_6TensorESK_SK_EERKSK_lbbbEUlllE0_EEPmJS9_EEE10hipError_tPvRmT3_T4_T5_T6_T7_T9_mT8_P12ihipStream_tbDpT10_ENKUlT_T0_E_clISt17integral_constantIbLb1EES19_IbLb0EEEEDaS15_S16_EUlS15_E_NS1_11comp_targetILNS1_3genE8ELNS1_11target_archE1030ELNS1_3gpuE2ELNS1_3repE0EEENS1_30default_config_static_selectorELNS0_4arch9wavefront6targetE1EEEvT1_.has_recursion, 0
	.set _ZN7rocprim17ROCPRIM_400000_NS6detail17trampoline_kernelINS0_14default_configENS1_25partition_config_selectorILNS1_17partition_subalgoE9EllbEEZZNS1_14partition_implILS5_9ELb0ES3_jPlS8_PNS0_10empty_typeENS0_5tupleIJS8_S9_EEENSB_IJS8_SA_EEENS0_18inequality_wrapperIZN2at6native12_GLOBAL__N_124unique_dim_cuda_templateItEESt5tupleIJNSF_6TensorESK_SK_EERKSK_lbbbEUlllE0_EEPmJS9_EEE10hipError_tPvRmT3_T4_T5_T6_T7_T9_mT8_P12ihipStream_tbDpT10_ENKUlT_T0_E_clISt17integral_constantIbLb1EES19_IbLb0EEEEDaS15_S16_EUlS15_E_NS1_11comp_targetILNS1_3genE8ELNS1_11target_archE1030ELNS1_3gpuE2ELNS1_3repE0EEENS1_30default_config_static_selectorELNS0_4arch9wavefront6targetE1EEEvT1_.has_indirect_call, 0
	.section	.AMDGPU.csdata,"",@progbits
; Kernel info:
; codeLenInByte = 0
; TotalNumSgprs: 6
; NumVgprs: 0
; NumAgprs: 0
; TotalNumVgprs: 0
; ScratchSize: 0
; MemoryBound: 0
; FloatMode: 240
; IeeeMode: 1
; LDSByteSize: 0 bytes/workgroup (compile time only)
; SGPRBlocks: 0
; VGPRBlocks: 0
; NumSGPRsForWavesPerEU: 6
; NumVGPRsForWavesPerEU: 1
; AccumOffset: 4
; Occupancy: 8
; WaveLimiterHint : 0
; COMPUTE_PGM_RSRC2:SCRATCH_EN: 0
; COMPUTE_PGM_RSRC2:USER_SGPR: 2
; COMPUTE_PGM_RSRC2:TRAP_HANDLER: 0
; COMPUTE_PGM_RSRC2:TGID_X_EN: 1
; COMPUTE_PGM_RSRC2:TGID_Y_EN: 0
; COMPUTE_PGM_RSRC2:TGID_Z_EN: 0
; COMPUTE_PGM_RSRC2:TIDIG_COMP_CNT: 0
; COMPUTE_PGM_RSRC3_GFX90A:ACCUM_OFFSET: 0
; COMPUTE_PGM_RSRC3_GFX90A:TG_SPLIT: 0
	.section	.text._ZN7rocprim17ROCPRIM_400000_NS6detail17trampoline_kernelINS0_14default_configENS1_25partition_config_selectorILNS1_17partition_subalgoE9EllbEEZZNS1_14partition_implILS5_9ELb0ES3_jPlS8_PNS0_10empty_typeENS0_5tupleIJS8_S9_EEENSB_IJS8_SA_EEENS0_18inequality_wrapperIZN2at6native12_GLOBAL__N_124unique_dim_cuda_templateItEESt5tupleIJNSF_6TensorESK_SK_EERKSK_lbbbEUlllE0_EEPmJS9_EEE10hipError_tPvRmT3_T4_T5_T6_T7_T9_mT8_P12ihipStream_tbDpT10_ENKUlT_T0_E_clISt17integral_constantIbLb0EES19_IbLb1EEEEDaS15_S16_EUlS15_E_NS1_11comp_targetILNS1_3genE0ELNS1_11target_archE4294967295ELNS1_3gpuE0ELNS1_3repE0EEENS1_30default_config_static_selectorELNS0_4arch9wavefront6targetE1EEEvT1_,"axG",@progbits,_ZN7rocprim17ROCPRIM_400000_NS6detail17trampoline_kernelINS0_14default_configENS1_25partition_config_selectorILNS1_17partition_subalgoE9EllbEEZZNS1_14partition_implILS5_9ELb0ES3_jPlS8_PNS0_10empty_typeENS0_5tupleIJS8_S9_EEENSB_IJS8_SA_EEENS0_18inequality_wrapperIZN2at6native12_GLOBAL__N_124unique_dim_cuda_templateItEESt5tupleIJNSF_6TensorESK_SK_EERKSK_lbbbEUlllE0_EEPmJS9_EEE10hipError_tPvRmT3_T4_T5_T6_T7_T9_mT8_P12ihipStream_tbDpT10_ENKUlT_T0_E_clISt17integral_constantIbLb0EES19_IbLb1EEEEDaS15_S16_EUlS15_E_NS1_11comp_targetILNS1_3genE0ELNS1_11target_archE4294967295ELNS1_3gpuE0ELNS1_3repE0EEENS1_30default_config_static_selectorELNS0_4arch9wavefront6targetE1EEEvT1_,comdat
	.globl	_ZN7rocprim17ROCPRIM_400000_NS6detail17trampoline_kernelINS0_14default_configENS1_25partition_config_selectorILNS1_17partition_subalgoE9EllbEEZZNS1_14partition_implILS5_9ELb0ES3_jPlS8_PNS0_10empty_typeENS0_5tupleIJS8_S9_EEENSB_IJS8_SA_EEENS0_18inequality_wrapperIZN2at6native12_GLOBAL__N_124unique_dim_cuda_templateItEESt5tupleIJNSF_6TensorESK_SK_EERKSK_lbbbEUlllE0_EEPmJS9_EEE10hipError_tPvRmT3_T4_T5_T6_T7_T9_mT8_P12ihipStream_tbDpT10_ENKUlT_T0_E_clISt17integral_constantIbLb0EES19_IbLb1EEEEDaS15_S16_EUlS15_E_NS1_11comp_targetILNS1_3genE0ELNS1_11target_archE4294967295ELNS1_3gpuE0ELNS1_3repE0EEENS1_30default_config_static_selectorELNS0_4arch9wavefront6targetE1EEEvT1_ ; -- Begin function _ZN7rocprim17ROCPRIM_400000_NS6detail17trampoline_kernelINS0_14default_configENS1_25partition_config_selectorILNS1_17partition_subalgoE9EllbEEZZNS1_14partition_implILS5_9ELb0ES3_jPlS8_PNS0_10empty_typeENS0_5tupleIJS8_S9_EEENSB_IJS8_SA_EEENS0_18inequality_wrapperIZN2at6native12_GLOBAL__N_124unique_dim_cuda_templateItEESt5tupleIJNSF_6TensorESK_SK_EERKSK_lbbbEUlllE0_EEPmJS9_EEE10hipError_tPvRmT3_T4_T5_T6_T7_T9_mT8_P12ihipStream_tbDpT10_ENKUlT_T0_E_clISt17integral_constantIbLb0EES19_IbLb1EEEEDaS15_S16_EUlS15_E_NS1_11comp_targetILNS1_3genE0ELNS1_11target_archE4294967295ELNS1_3gpuE0ELNS1_3repE0EEENS1_30default_config_static_selectorELNS0_4arch9wavefront6targetE1EEEvT1_
	.p2align	8
	.type	_ZN7rocprim17ROCPRIM_400000_NS6detail17trampoline_kernelINS0_14default_configENS1_25partition_config_selectorILNS1_17partition_subalgoE9EllbEEZZNS1_14partition_implILS5_9ELb0ES3_jPlS8_PNS0_10empty_typeENS0_5tupleIJS8_S9_EEENSB_IJS8_SA_EEENS0_18inequality_wrapperIZN2at6native12_GLOBAL__N_124unique_dim_cuda_templateItEESt5tupleIJNSF_6TensorESK_SK_EERKSK_lbbbEUlllE0_EEPmJS9_EEE10hipError_tPvRmT3_T4_T5_T6_T7_T9_mT8_P12ihipStream_tbDpT10_ENKUlT_T0_E_clISt17integral_constantIbLb0EES19_IbLb1EEEEDaS15_S16_EUlS15_E_NS1_11comp_targetILNS1_3genE0ELNS1_11target_archE4294967295ELNS1_3gpuE0ELNS1_3repE0EEENS1_30default_config_static_selectorELNS0_4arch9wavefront6targetE1EEEvT1_,@function
_ZN7rocprim17ROCPRIM_400000_NS6detail17trampoline_kernelINS0_14default_configENS1_25partition_config_selectorILNS1_17partition_subalgoE9EllbEEZZNS1_14partition_implILS5_9ELb0ES3_jPlS8_PNS0_10empty_typeENS0_5tupleIJS8_S9_EEENSB_IJS8_SA_EEENS0_18inequality_wrapperIZN2at6native12_GLOBAL__N_124unique_dim_cuda_templateItEESt5tupleIJNSF_6TensorESK_SK_EERKSK_lbbbEUlllE0_EEPmJS9_EEE10hipError_tPvRmT3_T4_T5_T6_T7_T9_mT8_P12ihipStream_tbDpT10_ENKUlT_T0_E_clISt17integral_constantIbLb0EES19_IbLb1EEEEDaS15_S16_EUlS15_E_NS1_11comp_targetILNS1_3genE0ELNS1_11target_archE4294967295ELNS1_3gpuE0ELNS1_3repE0EEENS1_30default_config_static_selectorELNS0_4arch9wavefront6targetE1EEEvT1_: ; @_ZN7rocprim17ROCPRIM_400000_NS6detail17trampoline_kernelINS0_14default_configENS1_25partition_config_selectorILNS1_17partition_subalgoE9EllbEEZZNS1_14partition_implILS5_9ELb0ES3_jPlS8_PNS0_10empty_typeENS0_5tupleIJS8_S9_EEENSB_IJS8_SA_EEENS0_18inequality_wrapperIZN2at6native12_GLOBAL__N_124unique_dim_cuda_templateItEESt5tupleIJNSF_6TensorESK_SK_EERKSK_lbbbEUlllE0_EEPmJS9_EEE10hipError_tPvRmT3_T4_T5_T6_T7_T9_mT8_P12ihipStream_tbDpT10_ENKUlT_T0_E_clISt17integral_constantIbLb0EES19_IbLb1EEEEDaS15_S16_EUlS15_E_NS1_11comp_targetILNS1_3genE0ELNS1_11target_archE4294967295ELNS1_3gpuE0ELNS1_3repE0EEENS1_30default_config_static_selectorELNS0_4arch9wavefront6targetE1EEEvT1_
; %bb.0:
	s_load_dwordx4 s[4:7], s[0:1], 0x8
	s_load_dwordx2 s[10:11], s[0:1], 0x18
	s_load_dwordx8 s[20:27], s[0:1], 0x40
	s_load_dwordx4 s[36:39], s[0:1], 0x60
	v_cmp_ne_u32_e64 s[2:3], 0, v0
	v_cmp_eq_u32_e64 s[18:19], 0, v0
	s_and_saveexec_b64 s[8:9], s[18:19]
	s_cbranch_execz .LBB1475_4
; %bb.1:
	s_mov_b64 s[14:15], exec
	v_mbcnt_lo_u32_b32 v1, s14, 0
	v_mbcnt_hi_u32_b32 v1, s15, v1
	v_cmp_eq_u32_e32 vcc, 0, v1
                                        ; implicit-def: $vgpr2
	s_and_saveexec_b64 s[12:13], vcc
	s_cbranch_execz .LBB1475_3
; %bb.2:
	s_load_dwordx2 s[16:17], s[0:1], 0x78
	s_bcnt1_i32_b64 s14, s[14:15]
	v_mov_b32_e32 v2, 0
	v_mov_b32_e32 v3, s14
	s_waitcnt lgkmcnt(0)
	global_atomic_add v2, v2, v3, s[16:17] sc0
.LBB1475_3:
	s_or_b64 exec, exec, s[12:13]
	s_waitcnt vmcnt(0)
	v_readfirstlane_b32 s12, v2
	v_mov_b32_e32 v2, 0
	s_nop 0
	v_add_u32_e32 v1, s12, v1
	ds_write_b32 v2, v1
.LBB1475_4:
	s_or_b64 exec, exec, s[8:9]
	v_mov_b32_e32 v3, 0
	s_load_dwordx4 s[28:31], s[0:1], 0x28
	s_load_dword s8, s[0:1], 0x70
	s_waitcnt lgkmcnt(0)
	s_barrier
	ds_read_b32 v1, v3
	s_waitcnt lgkmcnt(0)
	s_barrier
	global_load_dwordx2 v[4:5], v3, s[22:23]
	s_lshl_b64 s[12:13], s[6:7], 3
	s_mul_i32 s14, s8, 0x280
	s_add_u32 s16, s4, s12
	s_addc_u32 s17, s5, s13
	s_add_i32 s4, s14, s6
	s_sub_i32 s48, s24, s4
	s_add_i32 s15, s8, -1
	s_addk_i32 s48, 0x280
	s_add_u32 s4, s6, s14
	v_readfirstlane_b32 s33, v1
	s_addc_u32 s5, s7, 0
	v_mov_b64_e32 v[6:7], s[4:5]
	s_cmp_eq_u32 s33, s15
	s_mov_b32 s9, 0
	s_mul_i32 s8, s33, 0x280
	v_cmp_le_u64_e32 vcc, s[24:25], v[6:7]
	s_cselect_b64 s[24:25], -1, 0
	s_lshl_b64 s[14:15], s[8:9], 3
	s_and_b64 s[8:9], vcc, s[24:25]
	s_xor_b64 s[34:35], s[8:9], -1
	s_add_u32 s4, s16, s14
	s_mov_b64 s[0:1], -1
	v_lshlrev_b32_e32 v32, 3, v0
	s_addc_u32 s5, s17, s15
	s_and_b64 vcc, exec, s[34:35]
	s_waitcnt vmcnt(0)
	v_readfirstlane_b32 s22, v4
	v_readfirstlane_b32 s23, v5
	s_cbranch_vccz .LBB1475_6
; %bb.5:
	v_lshlrev_b32_e32 v2, 3, v0
	v_lshl_add_u64 v[4:5], s[4:5], 0, v[2:3]
	v_add_co_u32_e32 v4, vcc, 0x1000, v4
	global_load_dwordx2 v[6:7], v2, s[4:5] offset:3072
	s_nop 0
	v_addc_co_u32_e32 v5, vcc, 0, v5, vcc
	global_load_dwordx2 v[8:9], v2, s[4:5]
	global_load_dwordx2 v[10:11], v2, s[4:5] offset:1024
	global_load_dwordx2 v[12:13], v2, s[4:5] offset:2048
	global_load_dwordx2 v[14:15], v[4:5], off
	s_mov_b64 s[0:1], 0
	s_waitcnt vmcnt(2)
	ds_write2st64_b64 v2, v[8:9], v[10:11] offset1:2
	s_waitcnt vmcnt(1)
	ds_write2st64_b64 v2, v[12:13], v[6:7] offset0:4 offset1:6
	s_waitcnt vmcnt(0)
	ds_write_b64 v2, v[14:15] offset:4096
	s_waitcnt lgkmcnt(0)
	s_barrier
.LBB1475_6:
	s_andn2_b64 vcc, exec, s[0:1]
	v_cmp_gt_u32_e64 s[0:1], s48, v0
	s_cbranch_vccnz .LBB1475_18
; %bb.7:
	v_mov_b32_e32 v2, 0
	v_mov_b32_e32 v3, v2
	;; [unrolled: 1-line block ×10, first 2 shown]
	s_and_saveexec_b64 s[16:17], s[0:1]
	s_cbranch_execz .LBB1475_9
; %bb.8:
	v_lshlrev_b32_e32 v1, 3, v0
	global_load_dwordx2 v[4:5], v1, s[4:5]
	v_mov_b32_e32 v6, v2
	v_mov_b32_e32 v7, v2
	;; [unrolled: 1-line block ×8, first 2 shown]
	s_waitcnt vmcnt(0)
	v_mov_b64_e32 v[2:3], v[4:5]
	v_mov_b64_e32 v[4:5], v[6:7]
	v_mov_b64_e32 v[6:7], v[8:9]
	v_mov_b64_e32 v[8:9], v[10:11]
	v_mov_b64_e32 v[10:11], v[12:13]
	v_mov_b64_e32 v[12:13], v[14:15]
	v_mov_b64_e32 v[14:15], v[16:17]
	v_mov_b64_e32 v[16:17], v[18:19]
.LBB1475_9:
	s_or_b64 exec, exec, s[16:17]
	v_or_b32_e32 v1, 0x80, v0
	v_cmp_gt_u32_e32 vcc, s48, v1
	s_and_saveexec_b64 s[0:1], vcc
	s_cbranch_execz .LBB1475_11
; %bb.10:
	v_lshlrev_b32_e32 v1, 3, v0
	global_load_dwordx2 v[4:5], v1, s[4:5] offset:1024
.LBB1475_11:
	s_or_b64 exec, exec, s[0:1]
	v_or_b32_e32 v1, 0x100, v0
	v_cmp_gt_u32_e32 vcc, s48, v1
	s_and_saveexec_b64 s[0:1], vcc
	s_cbranch_execz .LBB1475_13
; %bb.12:
	v_lshlrev_b32_e32 v1, 3, v0
	global_load_dwordx2 v[6:7], v1, s[4:5] offset:2048
.LBB1475_13:
	;; [unrolled: 9-line block ×3, first 2 shown]
	s_or_b64 exec, exec, s[0:1]
	v_or_b32_e32 v1, 0x200, v0
	v_cmp_gt_u32_e32 vcc, s48, v1
	s_and_saveexec_b64 s[0:1], vcc
	s_cbranch_execz .LBB1475_17
; %bb.16:
	v_lshlrev_b32_e32 v1, 3, v1
	global_load_dwordx2 v[10:11], v1, s[4:5]
.LBB1475_17:
	s_or_b64 exec, exec, s[0:1]
	v_lshlrev_b32_e32 v1, 3, v0
	s_waitcnt vmcnt(0)
	ds_write2st64_b64 v1, v[2:3], v[4:5] offset1:2
	ds_write2st64_b64 v1, v[6:7], v[8:9] offset0:4 offset1:6
	ds_write_b64 v1, v[10:11] offset:4096
	s_waitcnt lgkmcnt(0)
	s_barrier
.LBB1475_18:
	v_mul_u32_u24_e32 v1, 5, v0
	v_lshlrev_b32_e32 v22, 3, v1
	ds_read2_b64 v[6:9], v22 offset1:1
	ds_read2_b64 v[2:5], v22 offset0:2 offset1:3
	ds_read_b64 v[12:13], v22 offset:32
	s_add_u32 s0, s10, s12
	s_addc_u32 s1, s11, s13
	s_add_u32 s0, s0, s14
	s_addc_u32 s1, s1, s15
	s_mov_b64 s[10:11], -1
	s_and_b64 vcc, exec, s[34:35]
	s_waitcnt lgkmcnt(0)
	s_barrier
	s_cbranch_vccz .LBB1475_20
; %bb.19:
	v_lshlrev_b32_e32 v10, 3, v0
	v_mov_b32_e32 v11, 0
	v_lshl_add_u64 v[14:15], s[0:1], 0, v[10:11]
	v_add_co_u32_e32 v14, vcc, 0x1000, v14
	global_load_dwordx2 v[16:17], v10, s[0:1] offset:3072
	s_nop 0
	v_addc_co_u32_e32 v15, vcc, 0, v15, vcc
	global_load_dwordx2 v[18:19], v10, s[0:1]
	global_load_dwordx2 v[20:21], v10, s[0:1] offset:1024
	global_load_dwordx2 v[24:25], v10, s[0:1] offset:2048
	global_load_dwordx2 v[26:27], v[14:15], off
	s_mov_b64 s[10:11], 0
	s_waitcnt vmcnt(2)
	ds_write2st64_b64 v10, v[18:19], v[20:21] offset1:2
	s_waitcnt vmcnt(1)
	ds_write2st64_b64 v10, v[24:25], v[16:17] offset0:4 offset1:6
	s_waitcnt vmcnt(0)
	ds_write_b64 v10, v[26:27] offset:4096
	s_waitcnt lgkmcnt(0)
	s_barrier
.LBB1475_20:
	s_andn2_b64 vcc, exec, s[10:11]
	s_cbranch_vccnz .LBB1475_32
; %bb.21:
	v_cmp_gt_u32_e32 vcc, s48, v0
                                        ; implicit-def: $vgpr10_vgpr11
	s_and_saveexec_b64 s[10:11], vcc
	s_cbranch_execz .LBB1475_23
; %bb.22:
	v_lshlrev_b32_e32 v10, 3, v0
	global_load_dwordx2 v[10:11], v10, s[0:1]
.LBB1475_23:
	s_or_b64 exec, exec, s[10:11]
	v_or_b32_e32 v14, 0x80, v0
	v_cmp_gt_u32_e32 vcc, s48, v14
                                        ; implicit-def: $vgpr14_vgpr15
	s_and_saveexec_b64 s[10:11], vcc
	s_cbranch_execz .LBB1475_25
; %bb.24:
	v_lshlrev_b32_e32 v14, 3, v0
	global_load_dwordx2 v[14:15], v14, s[0:1] offset:1024
.LBB1475_25:
	s_or_b64 exec, exec, s[10:11]
	v_or_b32_e32 v16, 0x100, v0
	v_cmp_gt_u32_e32 vcc, s48, v16
                                        ; implicit-def: $vgpr16_vgpr17
	s_and_saveexec_b64 s[10:11], vcc
	s_cbranch_execz .LBB1475_27
; %bb.26:
	v_lshlrev_b32_e32 v16, 3, v0
	global_load_dwordx2 v[16:17], v16, s[0:1] offset:2048
.LBB1475_27:
	s_or_b64 exec, exec, s[10:11]
	v_or_b32_e32 v18, 0x180, v0
	v_cmp_gt_u32_e32 vcc, s48, v18
                                        ; implicit-def: $vgpr18_vgpr19
	s_and_saveexec_b64 s[10:11], vcc
	s_cbranch_execz .LBB1475_29
; %bb.28:
	v_lshlrev_b32_e32 v18, 3, v0
	global_load_dwordx2 v[18:19], v18, s[0:1] offset:3072
.LBB1475_29:
	s_or_b64 exec, exec, s[10:11]
	v_or_b32_e32 v20, 0x200, v0
	v_cmp_gt_u32_e32 vcc, s48, v20
                                        ; implicit-def: $vgpr24_vgpr25
	s_and_saveexec_b64 s[10:11], vcc
	s_cbranch_execz .LBB1475_31
; %bb.30:
	v_lshlrev_b32_e32 v20, 3, v20
	global_load_dwordx2 v[24:25], v20, s[0:1]
.LBB1475_31:
	s_or_b64 exec, exec, s[10:11]
	v_lshlrev_b32_e32 v20, 5, v0
	v_sub_u32_e32 v20, v22, v20
	s_waitcnt vmcnt(0)
	ds_write2st64_b64 v20, v[10:11], v[14:15] offset1:2
	ds_write2st64_b64 v20, v[16:17], v[18:19] offset0:4 offset1:6
	ds_write_b64 v20, v[24:25] offset:4096
	s_waitcnt lgkmcnt(0)
	s_barrier
.LBB1475_32:
	ds_read_b64 v[10:11], v22 offset:32
	ds_read2_b64 v[52:55], v22 offset0:2 offset1:3
	ds_read2_b64 v[56:59], v22 offset1:1
	s_cmp_lg_u32 s33, 0
	s_cselect_b64 s[16:17], -1, 0
	s_cmp_lg_u64 s[6:7], 0
	s_cselect_b64 s[0:1], -1, 0
	s_or_b64 s[0:1], s[0:1], s[16:17]
	s_mov_b64 s[10:11], 0
	s_and_b64 vcc, exec, s[0:1]
	v_cmp_gt_i64_e64 s[6:7], s[26:27], 0
	s_waitcnt lgkmcnt(0)
	s_barrier
	s_cbranch_vccz .LBB1475_51
; %bb.33:
	v_mov_b32_e32 v18, 0
	global_load_dwordx2 v[14:15], v18, s[4:5] offset:-8
	v_cndmask_b32_e64 v16, 0, 1, s[6:7]
	v_lshlrev_b32_e32 v23, 3, v0
	s_mov_b64 s[0:1], 0
	s_and_b64 vcc, exec, s[34:35]
	v_cmp_ne_u32_e64 s[4:5], 1, v16
	ds_write_b64 v23, v[12:13]
	s_cbranch_vccz .LBB1475_53
; %bb.34:
	s_and_b64 vcc, exec, s[4:5]
	v_mov_b32_e32 v33, 0
	s_cbranch_vccnz .LBB1475_44
; %bb.35:
	v_mul_lo_u32 v18, v5, s26
	v_mul_lo_u32 v19, v4, s27
	v_mad_u64_u32 v[16:17], s[0:1], v4, s26, 0
	v_add3_u32 v17, v17, v19, v18
	v_mul_lo_u32 v20, v13, s26
	v_mul_lo_u32 v21, v12, s27
	v_mad_u64_u32 v[18:19], s[0:1], v12, s26, 0
	s_add_u32 s10, s26, -1
	v_lshl_add_u64 v[16:17], v[16:17], 1, s[36:37]
	v_add3_u32 v19, v19, v21, v20
	s_addc_u32 s11, s27, -1
	v_lshl_add_u64 v[18:19], v[18:19], 1, s[36:37]
	s_mov_b64 s[12:13], 0
	s_mov_b64 s[14:15], s[10:11]
	v_mov_b64_e32 v[20:21], v[16:17]
                                        ; implicit-def: $sgpr6_sgpr7
.LBB1475_36:                            ; =>This Inner Loop Header: Depth=1
	global_load_ushort v24, v[20:21], off
	global_load_ushort v25, v[18:19], off
	s_add_u32 s0, s14, -1
	s_addc_u32 s1, s15, -1
	s_cmp_eq_u64 s[14:15], 0
	s_mov_b64 s[14:15], s[0:1]
	s_cselect_b64 s[40:41], -1, 0
	v_lshl_add_u64 v[20:21], v[20:21], 0, 2
	v_lshl_add_u64 v[18:19], v[18:19], 0, 2
	s_waitcnt vmcnt(0)
	v_cmp_ne_u16_e64 s[0:1], v24, v25
	s_or_b64 s[0:1], s[0:1], s[40:41]
	s_and_b64 s[0:1], exec, s[0:1]
	v_cmp_eq_u16_e32 vcc, v24, v25
	s_or_b64 s[12:13], s[0:1], s[12:13]
	s_andn2_b64 s[0:1], s[6:7], exec
	s_and_b64 s[6:7], vcc, exec
	s_or_b64 s[6:7], s[0:1], s[6:7]
	s_andn2_b64 exec, exec, s[12:13]
	s_cbranch_execnz .LBB1475_36
; %bb.37:
	s_or_b64 exec, exec, s[12:13]
	v_mul_lo_u32 v20, v3, s26
	v_mul_lo_u32 v21, v2, s27
	v_mad_u64_u32 v[18:19], s[0:1], v2, s26, 0
	v_add3_u32 v19, v19, v21, v20
	v_lshl_add_u64 v[18:19], v[18:19], 1, s[36:37]
	s_mov_b64 s[14:15], 0
	s_mov_b64 s[40:41], s[10:11]
	v_mov_b64_e32 v[20:21], v[18:19]
                                        ; implicit-def: $sgpr12_sgpr13
.LBB1475_38:                            ; =>This Inner Loop Header: Depth=1
	global_load_ushort v24, v[20:21], off
	global_load_ushort v25, v[16:17], off
	s_add_u32 s0, s40, -1
	s_addc_u32 s1, s41, -1
	s_cmp_eq_u64 s[40:41], 0
	s_mov_b64 s[40:41], s[0:1]
	s_cselect_b64 s[42:43], -1, 0
	v_lshl_add_u64 v[20:21], v[20:21], 0, 2
	v_lshl_add_u64 v[16:17], v[16:17], 0, 2
	s_waitcnt vmcnt(0)
	v_cmp_ne_u16_e64 s[0:1], v24, v25
	s_or_b64 s[0:1], s[0:1], s[42:43]
	s_and_b64 s[0:1], exec, s[0:1]
	v_cmp_eq_u16_e32 vcc, v24, v25
	s_or_b64 s[14:15], s[0:1], s[14:15]
	s_andn2_b64 s[0:1], s[12:13], exec
	s_and_b64 s[12:13], vcc, exec
	s_or_b64 s[12:13], s[0:1], s[12:13]
	s_andn2_b64 exec, exec, s[14:15]
	s_cbranch_execnz .LBB1475_38
; %bb.39:
	s_or_b64 exec, exec, s[14:15]
	v_mul_lo_u32 v20, v9, s26
	v_mul_lo_u32 v21, v8, s27
	v_mad_u64_u32 v[16:17], s[0:1], v8, s26, 0
	v_add3_u32 v17, v17, v21, v20
	v_lshl_add_u64 v[16:17], v[16:17], 1, s[36:37]
	s_mov_b64 s[40:41], 0
	s_mov_b64 s[42:43], s[10:11]
	v_mov_b64_e32 v[20:21], v[16:17]
                                        ; implicit-def: $sgpr14_sgpr15
.LBB1475_40:                            ; =>This Inner Loop Header: Depth=1
	global_load_ushort v24, v[20:21], off
	global_load_ushort v25, v[18:19], off
	s_add_u32 s0, s42, -1
	s_addc_u32 s1, s43, -1
	s_cmp_eq_u64 s[42:43], 0
	s_mov_b64 s[42:43], s[0:1]
	s_cselect_b64 s[44:45], -1, 0
	v_lshl_add_u64 v[20:21], v[20:21], 0, 2
	v_lshl_add_u64 v[18:19], v[18:19], 0, 2
	s_waitcnt vmcnt(0)
	v_cmp_ne_u16_e64 s[0:1], v24, v25
	s_or_b64 s[0:1], s[0:1], s[44:45]
	s_and_b64 s[0:1], exec, s[0:1]
	v_cmp_eq_u16_e32 vcc, v24, v25
	s_or_b64 s[40:41], s[0:1], s[40:41]
	s_andn2_b64 s[0:1], s[14:15], exec
	s_and_b64 s[14:15], vcc, exec
	s_or_b64 s[14:15], s[0:1], s[14:15]
	s_andn2_b64 exec, exec, s[40:41]
	s_cbranch_execnz .LBB1475_40
; %bb.41:
	s_or_b64 exec, exec, s[40:41]
	v_mul_lo_u32 v20, v7, s26
	v_mul_lo_u32 v21, v6, s27
	v_mad_u64_u32 v[18:19], s[0:1], v6, s26, 0
	v_add3_u32 v19, v19, v21, v20
	v_lshl_add_u64 v[18:19], v[18:19], 1, s[36:37]
	s_mov_b64 s[42:43], 0
                                        ; implicit-def: $sgpr40_sgpr41
.LBB1475_42:                            ; =>This Inner Loop Header: Depth=1
	global_load_ushort v20, v[18:19], off
	global_load_ushort v21, v[16:17], off
	s_add_u32 s0, s10, -1
	s_addc_u32 s1, s11, -1
	s_cmp_eq_u64 s[10:11], 0
	s_mov_b64 s[10:11], s[0:1]
	s_cselect_b64 s[44:45], -1, 0
	v_lshl_add_u64 v[18:19], v[18:19], 0, 2
	v_lshl_add_u64 v[16:17], v[16:17], 0, 2
	s_waitcnt vmcnt(0)
	v_cmp_ne_u16_e64 s[0:1], v20, v21
	s_or_b64 s[0:1], s[0:1], s[44:45]
	s_and_b64 s[0:1], exec, s[0:1]
	v_cmp_eq_u16_e32 vcc, v20, v21
	s_or_b64 s[42:43], s[0:1], s[42:43]
	s_andn2_b64 s[0:1], s[40:41], exec
	s_and_b64 s[40:41], vcc, exec
	s_or_b64 s[40:41], s[0:1], s[40:41]
	s_andn2_b64 exec, exec, s[42:43]
	s_cbranch_execnz .LBB1475_42
; %bb.43:
	s_or_b64 exec, exec, s[42:43]
	s_xor_b64 s[0:1], s[6:7], -1
	v_cndmask_b32_e64 v33, 0, 1, s[0:1]
	s_xor_b64 s[0:1], s[12:13], -1
	v_cndmask_b32_e64 v16, 0, 1, s[0:1]
	v_lshlrev_b16_e32 v16, 8, v16
	v_mov_b32_e32 v17, 8
	s_xor_b64 s[6:7], s[14:15], -1
	v_lshrrev_b32_sdwa v16, v17, v16 dst_sel:BYTE_1 dst_unused:UNUSED_PAD src0_sel:DWORD src1_sel:DWORD
	v_cndmask_b32_e64 v17, 0, 1, s[6:7]
	s_xor_b64 s[0:1], s[40:41], -1
	v_or_b32_sdwa v18, v17, v16 dst_sel:WORD_1 dst_unused:UNUSED_PAD src0_sel:DWORD src1_sel:DWORD
.LBB1475_44:
	s_waitcnt vmcnt(0)
	v_mov_b64_e32 v[16:17], v[14:15]
	s_waitcnt lgkmcnt(0)
	s_barrier
	s_and_saveexec_b64 s[6:7], s[2:3]
; %bb.45:
	v_add_u32_e32 v16, -8, v23
	ds_read_b64 v[16:17], v16
; %bb.46:
	s_or_b64 exec, exec, s[6:7]
	v_cndmask_b32_e64 v19, 0, 1, s[0:1]
	v_lshrrev_b32_e32 v20, 16, v18
	s_mov_b32 s0, 0xc0c0304
	v_perm_b32 v20, v20, v18, s0
	v_lshlrev_b16_e32 v19, 8, v19
	s_movk_i32 s0, 0xff
	v_bitop3_b16 v18, v18, v19, s0 bitop3:0xec
	v_and_b32_e32 v21, 0xffff, v18
	s_mov_b64 s[6:7], 0
	s_and_b64 vcc, exec, s[4:5]
	s_mov_b64 s[0:1], 0
	s_cbranch_vccnz .LBB1475_50
; %bb.47:
	s_waitcnt lgkmcnt(0)
	v_mul_lo_u32 v18, v17, s26
	v_mul_lo_u32 v19, v16, s27
	v_mad_u64_u32 v[16:17], s[0:1], v16, s26, 0
	v_add3_u32 v17, v17, v19, v18
	v_mul_lo_u32 v24, v7, s26
	v_mul_lo_u32 v25, v6, s27
	v_mad_u64_u32 v[18:19], s[0:1], v6, s26, 0
	v_add3_u32 v19, v19, v25, v24
	s_add_u32 s14, s26, -1
	v_lshl_add_u64 v[16:17], v[16:17], 1, s[36:37]
	v_lshl_add_u64 v[18:19], v[18:19], 1, s[36:37]
	s_addc_u32 s15, s27, -1
	s_mov_b64 s[10:11], 0
                                        ; implicit-def: $sgpr12_sgpr13
.LBB1475_48:                            ; =>This Inner Loop Header: Depth=1
	global_load_ushort v24, v[16:17], off
	global_load_ushort v25, v[18:19], off
	s_add_u32 s0, s14, -1
	s_addc_u32 s1, s15, -1
	s_cmp_eq_u64 s[14:15], 0
	s_mov_b64 s[14:15], s[0:1]
	s_cselect_b64 s[40:41], -1, 0
	v_lshl_add_u64 v[16:17], v[16:17], 0, 2
	v_lshl_add_u64 v[18:19], v[18:19], 0, 2
	s_waitcnt vmcnt(0)
	v_cmp_ne_u16_e64 s[0:1], v24, v25
	s_or_b64 s[0:1], s[0:1], s[40:41]
	s_and_b64 s[0:1], exec, s[0:1]
	v_cmp_eq_u16_e32 vcc, v24, v25
	s_or_b64 s[10:11], s[0:1], s[10:11]
	s_andn2_b64 s[0:1], s[12:13], exec
	s_and_b64 s[12:13], vcc, exec
	s_or_b64 s[12:13], s[0:1], s[12:13]
	s_andn2_b64 exec, exec, s[10:11]
	s_cbranch_execnz .LBB1475_48
; %bb.49:
	s_or_b64 exec, exec, s[10:11]
	s_xor_b64 s[0:1], s[12:13], -1
.LBB1475_50:
	s_waitcnt lgkmcnt(0)
	v_lshl_or_b32 v17, v20, 16, v21
	s_and_b64 vcc, exec, s[6:7]
	s_cbranch_vccnz .LBB1475_54
	s_branch .LBB1475_87
.LBB1475_51:
                                        ; implicit-def: $sgpr0_sgpr1
                                        ; implicit-def: $vgpr33
                                        ; implicit-def: $vgpr17
	s_branch .LBB1475_88
.LBB1475_52:
                                        ; implicit-def: $vgpr16
                                        ; implicit-def: $vgpr35
                                        ; implicit-def: $vgpr34
                                        ; implicit-def: $vgpr14
	s_branch .LBB1475_141
.LBB1475_53:
                                        ; implicit-def: $sgpr0_sgpr1
                                        ; implicit-def: $vgpr33
                                        ; implicit-def: $vgpr17
	s_cbranch_execz .LBB1475_87
.LBB1475_54:
	v_add_u32_e32 v16, 4, v1
	v_cmp_gt_u32_e32 vcc, s48, v16
	s_mov_b64 s[10:11], 0
	s_mov_b64 s[6:7], 0
	s_and_saveexec_b64 s[12:13], vcc
	s_cbranch_execz .LBB1475_60
; %bb.55:
	s_and_b64 vcc, exec, s[4:5]
	s_mov_b64 s[0:1], 0
	s_cbranch_vccnz .LBB1475_59
; %bb.56:
	v_mul_lo_u32 v18, v5, s26
	v_mul_lo_u32 v19, v4, s27
	v_mad_u64_u32 v[16:17], s[0:1], v4, s26, 0
	v_add3_u32 v17, v17, v19, v18
	v_mul_lo_u32 v20, v13, s26
	v_mul_lo_u32 v21, v12, s27
	v_mad_u64_u32 v[18:19], s[0:1], v12, s26, 0
	v_add3_u32 v19, v19, v21, v20
	s_add_u32 s40, s26, -1
	v_lshl_add_u64 v[16:17], v[16:17], 1, s[36:37]
	v_lshl_add_u64 v[18:19], v[18:19], 1, s[36:37]
	s_addc_u32 s41, s27, -1
                                        ; implicit-def: $sgpr14_sgpr15
.LBB1475_57:                            ; =>This Inner Loop Header: Depth=1
	global_load_ushort v20, v[16:17], off
	global_load_ushort v21, v[18:19], off
	s_add_u32 s0, s40, -1
	s_addc_u32 s1, s41, -1
	s_cmp_eq_u64 s[40:41], 0
	s_mov_b64 s[40:41], s[0:1]
	s_cselect_b64 s[42:43], -1, 0
	v_lshl_add_u64 v[16:17], v[16:17], 0, 2
	v_lshl_add_u64 v[18:19], v[18:19], 0, 2
	s_waitcnt vmcnt(0)
	v_cmp_ne_u16_e64 s[0:1], v20, v21
	s_or_b64 s[0:1], s[0:1], s[42:43]
	s_and_b64 s[0:1], exec, s[0:1]
	v_cmp_eq_u16_e32 vcc, v20, v21
	s_or_b64 s[6:7], s[0:1], s[6:7]
	s_andn2_b64 s[0:1], s[14:15], exec
	s_and_b64 s[14:15], vcc, exec
	s_or_b64 s[14:15], s[0:1], s[14:15]
	s_andn2_b64 exec, exec, s[6:7]
	s_cbranch_execnz .LBB1475_57
; %bb.58:
	s_or_b64 exec, exec, s[6:7]
	s_xor_b64 s[0:1], s[14:15], -1
.LBB1475_59:
	s_and_b64 s[6:7], s[0:1], exec
.LBB1475_60:
	s_or_b64 exec, exec, s[12:13]
	v_add_u32_e32 v16, 3, v1
	v_cmp_gt_u32_e32 vcc, s48, v16
	s_and_saveexec_b64 s[12:13], vcc
	s_cbranch_execz .LBB1475_66
; %bb.61:
	s_and_b64 vcc, exec, s[4:5]
	s_mov_b64 s[0:1], 0
	s_cbranch_vccnz .LBB1475_65
; %bb.62:
	v_mul_lo_u32 v18, v3, s26
	v_mul_lo_u32 v19, v2, s27
	v_mad_u64_u32 v[16:17], s[0:1], v2, s26, 0
	v_add3_u32 v17, v17, v19, v18
	v_mul_lo_u32 v20, v5, s26
	v_mul_lo_u32 v21, v4, s27
	v_mad_u64_u32 v[18:19], s[0:1], v4, s26, 0
	v_add3_u32 v19, v19, v21, v20
	s_add_u32 s40, s26, -1
	v_lshl_add_u64 v[16:17], v[16:17], 1, s[36:37]
	v_lshl_add_u64 v[18:19], v[18:19], 1, s[36:37]
	s_addc_u32 s41, s27, -1
	s_mov_b64 s[10:11], 0
                                        ; implicit-def: $sgpr14_sgpr15
.LBB1475_63:                            ; =>This Inner Loop Header: Depth=1
	global_load_ushort v20, v[16:17], off
	global_load_ushort v21, v[18:19], off
	s_add_u32 s0, s40, -1
	s_addc_u32 s1, s41, -1
	s_cmp_eq_u64 s[40:41], 0
	s_mov_b64 s[40:41], s[0:1]
	s_cselect_b64 s[42:43], -1, 0
	v_lshl_add_u64 v[16:17], v[16:17], 0, 2
	v_lshl_add_u64 v[18:19], v[18:19], 0, 2
	s_waitcnt vmcnt(0)
	v_cmp_ne_u16_e64 s[0:1], v20, v21
	s_or_b64 s[0:1], s[0:1], s[42:43]
	s_and_b64 s[0:1], exec, s[0:1]
	v_cmp_eq_u16_e32 vcc, v20, v21
	s_or_b64 s[10:11], s[0:1], s[10:11]
	s_andn2_b64 s[0:1], s[14:15], exec
	s_and_b64 s[14:15], vcc, exec
	s_or_b64 s[14:15], s[0:1], s[14:15]
	s_andn2_b64 exec, exec, s[10:11]
	s_cbranch_execnz .LBB1475_63
; %bb.64:
	s_or_b64 exec, exec, s[10:11]
	s_xor_b64 s[0:1], s[14:15], -1
.LBB1475_65:
	s_and_b64 s[10:11], s[0:1], exec
.LBB1475_66:
	s_or_b64 exec, exec, s[12:13]
	v_add_u32_e32 v16, 2, v1
	v_cmp_gt_u32_e32 vcc, s48, v16
	s_mov_b64 s[12:13], 0
	s_mov_b64 s[14:15], 0
	s_and_saveexec_b64 s[40:41], vcc
	s_cbranch_execz .LBB1475_72
; %bb.67:
	s_and_b64 vcc, exec, s[4:5]
	s_mov_b64 s[0:1], 0
	s_cbranch_vccnz .LBB1475_71
; %bb.68:
	v_mul_lo_u32 v18, v9, s26
	v_mul_lo_u32 v19, v8, s27
	v_mad_u64_u32 v[16:17], s[0:1], v8, s26, 0
	v_add3_u32 v17, v17, v19, v18
	v_mul_lo_u32 v20, v3, s26
	v_mul_lo_u32 v21, v2, s27
	v_mad_u64_u32 v[18:19], s[0:1], v2, s26, 0
	v_add3_u32 v19, v19, v21, v20
	s_add_u32 s44, s26, -1
	v_lshl_add_u64 v[16:17], v[16:17], 1, s[36:37]
	v_lshl_add_u64 v[18:19], v[18:19], 1, s[36:37]
	s_addc_u32 s45, s27, -1
                                        ; implicit-def: $sgpr42_sgpr43
.LBB1475_69:                            ; =>This Inner Loop Header: Depth=1
	global_load_ushort v20, v[16:17], off
	global_load_ushort v21, v[18:19], off
	s_add_u32 s0, s44, -1
	s_addc_u32 s1, s45, -1
	s_cmp_eq_u64 s[44:45], 0
	s_mov_b64 s[44:45], s[0:1]
	s_cselect_b64 s[46:47], -1, 0
	v_lshl_add_u64 v[16:17], v[16:17], 0, 2
	v_lshl_add_u64 v[18:19], v[18:19], 0, 2
	s_waitcnt vmcnt(0)
	v_cmp_ne_u16_e64 s[0:1], v20, v21
	s_or_b64 s[0:1], s[0:1], s[46:47]
	s_and_b64 s[0:1], exec, s[0:1]
	v_cmp_eq_u16_e32 vcc, v20, v21
	s_or_b64 s[14:15], s[0:1], s[14:15]
	s_andn2_b64 s[0:1], s[42:43], exec
	s_and_b64 s[42:43], vcc, exec
	s_or_b64 s[42:43], s[0:1], s[42:43]
	s_andn2_b64 exec, exec, s[14:15]
	s_cbranch_execnz .LBB1475_69
; %bb.70:
	s_or_b64 exec, exec, s[14:15]
	s_xor_b64 s[0:1], s[42:43], -1
.LBB1475_71:
	s_and_b64 s[14:15], s[0:1], exec
.LBB1475_72:
	s_or_b64 exec, exec, s[40:41]
	v_add_u32_e32 v16, 1, v1
	v_cmp_gt_u32_e32 vcc, s48, v16
	s_and_saveexec_b64 s[40:41], vcc
	s_cbranch_execz .LBB1475_78
; %bb.73:
	s_and_b64 vcc, exec, s[4:5]
	s_mov_b64 s[0:1], 0
	s_cbranch_vccnz .LBB1475_77
; %bb.74:
	v_mul_lo_u32 v18, v7, s26
	v_mul_lo_u32 v19, v6, s27
	v_mad_u64_u32 v[16:17], s[0:1], v6, s26, 0
	v_add3_u32 v17, v17, v19, v18
	v_mul_lo_u32 v20, v9, s26
	v_mul_lo_u32 v21, v8, s27
	v_mad_u64_u32 v[18:19], s[0:1], v8, s26, 0
	v_add3_u32 v19, v19, v21, v20
	s_add_u32 s44, s26, -1
	v_lshl_add_u64 v[16:17], v[16:17], 1, s[36:37]
	v_lshl_add_u64 v[18:19], v[18:19], 1, s[36:37]
	s_addc_u32 s45, s27, -1
	s_mov_b64 s[12:13], 0
                                        ; implicit-def: $sgpr42_sgpr43
.LBB1475_75:                            ; =>This Inner Loop Header: Depth=1
	global_load_ushort v20, v[16:17], off
	global_load_ushort v21, v[18:19], off
	s_add_u32 s0, s44, -1
	s_addc_u32 s1, s45, -1
	s_cmp_eq_u64 s[44:45], 0
	s_mov_b64 s[44:45], s[0:1]
	s_cselect_b64 s[46:47], -1, 0
	v_lshl_add_u64 v[16:17], v[16:17], 0, 2
	v_lshl_add_u64 v[18:19], v[18:19], 0, 2
	s_waitcnt vmcnt(0)
	v_cmp_ne_u16_e64 s[0:1], v20, v21
	s_or_b64 s[0:1], s[0:1], s[46:47]
	s_and_b64 s[0:1], exec, s[0:1]
	v_cmp_eq_u16_e32 vcc, v20, v21
	s_or_b64 s[12:13], s[0:1], s[12:13]
	s_andn2_b64 s[0:1], s[42:43], exec
	s_and_b64 s[42:43], vcc, exec
	s_or_b64 s[42:43], s[0:1], s[42:43]
	s_andn2_b64 exec, exec, s[12:13]
	s_cbranch_execnz .LBB1475_75
; %bb.76:
	s_or_b64 exec, exec, s[12:13]
	s_xor_b64 s[0:1], s[42:43], -1
.LBB1475_77:
	s_and_b64 s[12:13], s[0:1], exec
.LBB1475_78:
	s_or_b64 exec, exec, s[40:41]
	s_waitcnt lgkmcnt(0)
	s_barrier
	s_and_saveexec_b64 s[0:1], s[2:3]
	s_cbranch_execz .LBB1475_80
; %bb.79:
	s_waitcnt vmcnt(0)
	v_add_u32_e32 v14, -8, v23
	ds_read_b64 v[14:15], v14
.LBB1475_80:
	s_or_b64 exec, exec, s[0:1]
	v_cndmask_b32_e64 v17, 0, 1, s[10:11]
	v_cndmask_b32_e64 v16, 0, 1, s[14:15]
	;; [unrolled: 1-line block ×3, first 2 shown]
	v_lshlrev_b16_e32 v17, 8, v17
	v_cmp_gt_u32_e32 vcc, s48, v1
	v_lshlrev_b16_e32 v18, 8, v18
	v_or_b32_sdwa v19, v16, v17 dst_sel:WORD_1 dst_unused:UNUSED_PAD src0_sel:DWORD src1_sel:DWORD
	s_mov_b64 s[0:1], 0
	s_and_saveexec_b64 s[10:11], vcc
	s_cbranch_execz .LBB1475_86
; %bb.81:
	s_and_b64 vcc, exec, s[4:5]
	s_cbranch_vccnz .LBB1475_85
; %bb.82:
	s_waitcnt vmcnt(0) lgkmcnt(0)
	v_mul_lo_u32 v16, v15, s26
	v_mul_lo_u32 v17, v14, s27
	v_mad_u64_u32 v[14:15], s[0:1], v14, s26, 0
	v_add3_u32 v15, v15, v17, v16
	v_mul_lo_u32 v20, v7, s26
	v_mul_lo_u32 v21, v6, s27
	v_mad_u64_u32 v[16:17], s[0:1], v6, s26, 0
	v_add3_u32 v17, v17, v21, v20
	s_add_u32 s14, s26, -1
	v_lshl_add_u64 v[14:15], v[14:15], 1, s[36:37]
	v_lshl_add_u64 v[16:17], v[16:17], 1, s[36:37]
	s_addc_u32 s15, s27, -1
	s_mov_b64 s[4:5], 0
                                        ; implicit-def: $sgpr12_sgpr13
.LBB1475_83:                            ; =>This Inner Loop Header: Depth=1
	global_load_ushort v20, v[14:15], off
	global_load_ushort v21, v[16:17], off
	s_add_u32 s0, s14, -1
	s_addc_u32 s1, s15, -1
	s_cmp_eq_u64 s[14:15], 0
	s_mov_b64 s[14:15], s[0:1]
	s_cselect_b64 s[40:41], -1, 0
	v_lshl_add_u64 v[14:15], v[14:15], 0, 2
	v_lshl_add_u64 v[16:17], v[16:17], 0, 2
	s_waitcnt vmcnt(0)
	v_cmp_ne_u16_e64 s[0:1], v20, v21
	s_or_b64 s[0:1], s[0:1], s[40:41]
	s_and_b64 s[0:1], exec, s[0:1]
	v_cmp_eq_u16_e32 vcc, v20, v21
	s_or_b64 s[4:5], s[0:1], s[4:5]
	s_andn2_b64 s[0:1], s[12:13], exec
	s_and_b64 s[12:13], vcc, exec
	s_or_b64 s[12:13], s[0:1], s[12:13]
	s_andn2_b64 exec, exec, s[4:5]
	s_cbranch_execnz .LBB1475_83
; %bb.84:
	s_or_b64 exec, exec, s[4:5]
	s_xor_b64 s[0:1], s[12:13], -1
.LBB1475_85:
	s_and_b64 s[0:1], s[0:1], exec
.LBB1475_86:
	s_or_b64 exec, exec, s[10:11]
	v_cndmask_b32_e64 v33, 0, 1, s[6:7]
	v_or_b32_e32 v17, v18, v19
.LBB1475_87:
	s_mov_b64 s[10:11], -1
	s_cbranch_execnz .LBB1475_52
.LBB1475_88:
	s_waitcnt vmcnt(0) lgkmcnt(0)
	v_lshlrev_b32_e32 v14, 5, v0
	v_sub_u32_e32 v22, v22, v14
	s_mov_b64 s[0:1], 0
	v_cmp_gt_i64_e64 s[6:7], s[26:27], 0
	s_and_b64 vcc, exec, s[34:35]
	ds_write_b64 v22, v[12:13]
	s_cbranch_vccz .LBB1475_99
; %bb.89:
	v_cndmask_b32_e64 v14, 0, 1, s[6:7]
	v_cmp_ne_u32_e64 s[4:5], 1, v14
	s_andn2_b64 vcc, exec, s[6:7]
	s_cbranch_vccnz .LBB1475_100
; %bb.90:
	v_mul_lo_u32 v16, v5, s26
	v_mul_lo_u32 v17, v4, s27
	v_mad_u64_u32 v[14:15], s[0:1], v4, s26, 0
	v_add3_u32 v15, v15, v17, v16
	v_mul_lo_u32 v18, v13, s26
	v_mul_lo_u32 v19, v12, s27
	v_mad_u64_u32 v[16:17], s[0:1], v12, s26, 0
	s_add_u32 s14, s26, -1
	v_lshl_add_u64 v[14:15], v[14:15], 1, s[36:37]
	v_add3_u32 v17, v17, v19, v18
	s_addc_u32 s15, s27, -1
	v_lshl_add_u64 v[16:17], v[16:17], 1, s[36:37]
	s_mov_b64 s[40:41], 0
	s_mov_b64 s[42:43], s[14:15]
	v_mov_b64_e32 v[18:19], v[14:15]
                                        ; implicit-def: $sgpr12_sgpr13
.LBB1475_91:                            ; =>This Inner Loop Header: Depth=1
	global_load_ushort v20, v[18:19], off
	global_load_ushort v21, v[16:17], off
	s_add_u32 s0, s42, -1
	s_addc_u32 s1, s43, -1
	s_cmp_eq_u64 s[42:43], 0
	s_mov_b64 s[42:43], s[0:1]
	s_cselect_b64 s[44:45], -1, 0
	v_lshl_add_u64 v[18:19], v[18:19], 0, 2
	v_lshl_add_u64 v[16:17], v[16:17], 0, 2
	s_waitcnt vmcnt(0)
	v_cmp_ne_u16_e64 s[0:1], v20, v21
	s_or_b64 s[0:1], s[0:1], s[44:45]
	s_and_b64 s[0:1], exec, s[0:1]
	v_cmp_eq_u16_e32 vcc, v20, v21
	s_or_b64 s[40:41], s[0:1], s[40:41]
	s_andn2_b64 s[0:1], s[12:13], exec
	s_and_b64 s[12:13], vcc, exec
	s_or_b64 s[12:13], s[0:1], s[12:13]
	s_andn2_b64 exec, exec, s[40:41]
	s_cbranch_execnz .LBB1475_91
; %bb.92:
	s_or_b64 exec, exec, s[40:41]
	v_mul_lo_u32 v18, v3, s26
	v_mul_lo_u32 v19, v2, s27
	v_mad_u64_u32 v[16:17], s[0:1], v2, s26, 0
	v_add3_u32 v17, v17, v19, v18
	v_lshl_add_u64 v[16:17], v[16:17], 1, s[36:37]
	s_mov_b64 s[42:43], 0
	s_mov_b64 s[44:45], s[14:15]
	v_mov_b64_e32 v[18:19], v[16:17]
                                        ; implicit-def: $sgpr40_sgpr41
.LBB1475_93:                            ; =>This Inner Loop Header: Depth=1
	global_load_ushort v20, v[18:19], off
	global_load_ushort v21, v[14:15], off
	s_add_u32 s0, s44, -1
	s_addc_u32 s1, s45, -1
	s_cmp_eq_u64 s[44:45], 0
	s_mov_b64 s[44:45], s[0:1]
	s_cselect_b64 s[46:47], -1, 0
	v_lshl_add_u64 v[18:19], v[18:19], 0, 2
	v_lshl_add_u64 v[14:15], v[14:15], 0, 2
	s_waitcnt vmcnt(0)
	v_cmp_ne_u16_e64 s[0:1], v20, v21
	s_or_b64 s[0:1], s[0:1], s[46:47]
	s_and_b64 s[0:1], exec, s[0:1]
	v_cmp_eq_u16_e32 vcc, v20, v21
	s_or_b64 s[42:43], s[0:1], s[42:43]
	s_andn2_b64 s[0:1], s[40:41], exec
	s_and_b64 s[40:41], vcc, exec
	s_or_b64 s[40:41], s[0:1], s[40:41]
	s_andn2_b64 exec, exec, s[42:43]
	s_cbranch_execnz .LBB1475_93
; %bb.94:
	s_or_b64 exec, exec, s[42:43]
	v_mul_lo_u32 v18, v9, s26
	v_mul_lo_u32 v19, v8, s27
	v_mad_u64_u32 v[14:15], s[0:1], v8, s26, 0
	v_add3_u32 v15, v15, v19, v18
	v_lshl_add_u64 v[14:15], v[14:15], 1, s[36:37]
	s_mov_b64 s[44:45], 0
	s_mov_b64 s[46:47], s[14:15]
	v_mov_b64_e32 v[18:19], v[14:15]
                                        ; implicit-def: $sgpr42_sgpr43
.LBB1475_95:                            ; =>This Inner Loop Header: Depth=1
	global_load_ushort v20, v[18:19], off
	global_load_ushort v21, v[16:17], off
	s_add_u32 s0, s46, -1
	s_addc_u32 s1, s47, -1
	s_cmp_eq_u64 s[46:47], 0
	s_mov_b64 s[46:47], s[0:1]
	s_cselect_b64 s[50:51], -1, 0
	v_lshl_add_u64 v[18:19], v[18:19], 0, 2
	v_lshl_add_u64 v[16:17], v[16:17], 0, 2
	s_waitcnt vmcnt(0)
	v_cmp_ne_u16_e64 s[0:1], v20, v21
	s_or_b64 s[0:1], s[0:1], s[50:51]
	s_and_b64 s[0:1], exec, s[0:1]
	v_cmp_eq_u16_e32 vcc, v20, v21
	s_or_b64 s[44:45], s[0:1], s[44:45]
	s_andn2_b64 s[0:1], s[42:43], exec
	s_and_b64 s[42:43], vcc, exec
	s_or_b64 s[42:43], s[0:1], s[42:43]
	s_andn2_b64 exec, exec, s[44:45]
	s_cbranch_execnz .LBB1475_95
; %bb.96:
	s_or_b64 exec, exec, s[44:45]
	v_mul_lo_u32 v18, v7, s26
	v_mul_lo_u32 v19, v6, s27
	v_mad_u64_u32 v[16:17], s[0:1], v6, s26, 0
	v_add3_u32 v17, v17, v19, v18
	v_lshl_add_u64 v[16:17], v[16:17], 1, s[36:37]
	s_mov_b64 s[46:47], 0
                                        ; implicit-def: $sgpr44_sgpr45
.LBB1475_97:                            ; =>This Inner Loop Header: Depth=1
	global_load_ushort v18, v[16:17], off
	global_load_ushort v19, v[14:15], off
	s_add_u32 s0, s14, -1
	s_addc_u32 s1, s15, -1
	s_cmp_eq_u64 s[14:15], 0
	s_mov_b64 s[14:15], s[0:1]
	s_cselect_b64 s[50:51], -1, 0
	v_lshl_add_u64 v[16:17], v[16:17], 0, 2
	v_lshl_add_u64 v[14:15], v[14:15], 0, 2
	s_waitcnt vmcnt(0)
	v_cmp_ne_u16_e64 s[0:1], v18, v19
	s_or_b64 s[0:1], s[0:1], s[50:51]
	s_and_b64 s[0:1], exec, s[0:1]
	v_cmp_eq_u16_e32 vcc, v18, v19
	s_or_b64 s[46:47], s[0:1], s[46:47]
	s_andn2_b64 s[0:1], s[44:45], exec
	s_and_b64 s[44:45], vcc, exec
	s_or_b64 s[44:45], s[0:1], s[44:45]
	s_andn2_b64 exec, exec, s[46:47]
	s_cbranch_execnz .LBB1475_97
; %bb.98:
	s_or_b64 exec, exec, s[46:47]
	s_xor_b64 s[0:1], s[12:13], -1
	v_cndmask_b32_e64 v33, 0, 1, s[0:1]
	s_xor_b64 s[0:1], s[40:41], -1
	v_cndmask_b32_e64 v14, 0, 1, s[0:1]
	v_lshlrev_b16_e32 v14, 8, v14
	v_mov_b32_e32 v15, 8
	s_xor_b64 s[12:13], s[42:43], -1
	v_lshrrev_b32_sdwa v14, v15, v14 dst_sel:BYTE_1 dst_unused:UNUSED_PAD src0_sel:DWORD src1_sel:DWORD
	v_cndmask_b32_e64 v15, 0, 1, s[12:13]
	s_xor_b64 s[0:1], s[44:45], -1
	v_or_b32_sdwa v14, v15, v14 dst_sel:WORD_1 dst_unused:UNUSED_PAD src0_sel:DWORD src1_sel:DWORD
	s_branch .LBB1475_101
.LBB1475_99:
                                        ; implicit-def: $sgpr0_sgpr1
                                        ; implicit-def: $vgpr33
                                        ; implicit-def: $vgpr17
                                        ; implicit-def: $vgpr16
                                        ; implicit-def: $vgpr35
                                        ; implicit-def: $vgpr34
                                        ; implicit-def: $vgpr14
	s_cbranch_execnz .LBB1475_108
	s_branch .LBB1475_141
.LBB1475_100:
	v_mov_b32_e32 v14, 0
	v_mov_b32_e32 v33, 0
.LBB1475_101:
	v_lshrrev_b32_e32 v34, 16, v14
	v_lshrrev_b32_e32 v14, 24, v14
	v_cndmask_b32_e64 v35, 0, 1, s[0:1]
	v_mov_b32_e32 v16, 1
	s_waitcnt lgkmcnt(0)
	s_barrier
                                        ; implicit-def: $sgpr0_sgpr1
                                        ; implicit-def: $vgpr17
	s_and_saveexec_b64 s[12:13], s[2:3]
	s_xor_b64 s[12:13], exec, s[12:13]
	s_cbranch_execz .LBB1475_107
; %bb.102:
	v_lshlrev_b16_e32 v15, 8, v14
	s_movk_i32 s0, 0xff
	v_bitop3_b16 v15, v34, v15, s0 bitop3:0xec
	v_lshlrev_b16_e32 v17, 8, v35
	v_lshlrev_b32_e32 v15, 16, v15
	v_or_b32_e32 v17, 1, v17
	v_or_b32_sdwa v15, v17, v15 dst_sel:DWORD dst_unused:UNUSED_PAD src0_sel:WORD_0 src1_sel:DWORD
	s_mov_b32 s42, 0x3020104
	s_and_b64 vcc, exec, s[4:5]
	s_mov_b64 s[0:1], 0
	s_cbranch_vccnz .LBB1475_106
; %bb.103:
	v_add_u32_e32 v17, -8, v22
	ds_read_b64 v[18:19], v17
	v_mul_lo_u32 v17, v7, s26
	v_mul_lo_u32 v23, v6, s27
	s_add_u32 s40, s26, -1
	s_addc_u32 s41, s27, -1
	s_waitcnt lgkmcnt(0)
	v_mul_lo_u32 v20, v19, s26
	v_mul_lo_u32 v21, v18, s27
	v_mad_u64_u32 v[18:19], s[0:1], v18, s26, 0
	v_add3_u32 v19, v19, v21, v20
	v_mad_u64_u32 v[20:21], s[0:1], v6, s26, 0
	v_add3_u32 v21, v21, v23, v17
	v_lshl_add_u64 v[18:19], v[18:19], 1, s[36:37]
	v_lshl_add_u64 v[20:21], v[20:21], 1, s[36:37]
	s_mov_b64 s[4:5], 0
                                        ; implicit-def: $sgpr14_sgpr15
.LBB1475_104:                           ; =>This Inner Loop Header: Depth=1
	global_load_ushort v17, v[18:19], off
	global_load_ushort v23, v[20:21], off
	s_add_u32 s0, s40, -1
	s_addc_u32 s1, s41, -1
	s_cmp_eq_u64 s[40:41], 0
	s_mov_b64 s[40:41], s[0:1]
	s_cselect_b64 s[44:45], -1, 0
	v_lshl_add_u64 v[18:19], v[18:19], 0, 2
	v_lshl_add_u64 v[20:21], v[20:21], 0, 2
	s_waitcnt vmcnt(0)
	v_cmp_ne_u16_e64 s[0:1], v17, v23
	s_or_b64 s[0:1], s[0:1], s[44:45]
	s_and_b64 s[0:1], exec, s[0:1]
	v_cmp_eq_u16_e32 vcc, v17, v23
	s_or_b64 s[4:5], s[0:1], s[4:5]
	s_andn2_b64 s[0:1], s[14:15], exec
	s_and_b64 s[14:15], vcc, exec
	s_or_b64 s[14:15], s[0:1], s[14:15]
	s_andn2_b64 exec, exec, s[4:5]
	s_cbranch_execnz .LBB1475_104
; %bb.105:
	s_or_b64 exec, exec, s[4:5]
	s_xor_b64 s[0:1], s[14:15], -1
.LBB1475_106:
	v_perm_b32 v17, v15, v15, s42
	s_or_b64 s[10:11], s[10:11], exec
.LBB1475_107:
	s_or_b64 exec, exec, s[12:13]
	s_branch .LBB1475_141
.LBB1475_108:
	v_add_u32_e32 v14, 4, v1
	v_cmp_gt_u32_e32 vcc, s48, v14
	s_mov_b64 s[4:5], 0
	s_mov_b64 s[12:13], 0
	s_and_saveexec_b64 s[14:15], vcc
	s_cbranch_execz .LBB1475_114
; %bb.109:
	s_andn2_b64 vcc, exec, s[6:7]
	s_mov_b64 s[0:1], 0
	s_cbranch_vccnz .LBB1475_113
; %bb.110:
	v_mul_lo_u32 v16, v5, s26
	v_mul_lo_u32 v17, v4, s27
	v_mad_u64_u32 v[14:15], s[0:1], v4, s26, 0
	v_add3_u32 v15, v15, v17, v16
	v_mul_lo_u32 v18, v13, s26
	v_mul_lo_u32 v19, v12, s27
	v_mad_u64_u32 v[16:17], s[0:1], v12, s26, 0
	v_add3_u32 v17, v17, v19, v18
	s_add_u32 s42, s26, -1
	v_lshl_add_u64 v[14:15], v[14:15], 1, s[36:37]
	v_lshl_add_u64 v[16:17], v[16:17], 1, s[36:37]
	s_addc_u32 s43, s27, -1
                                        ; implicit-def: $sgpr40_sgpr41
.LBB1475_111:                           ; =>This Inner Loop Header: Depth=1
	global_load_ushort v18, v[14:15], off
	global_load_ushort v19, v[16:17], off
	s_add_u32 s0, s42, -1
	s_addc_u32 s1, s43, -1
	s_cmp_eq_u64 s[42:43], 0
	s_mov_b64 s[42:43], s[0:1]
	s_cselect_b64 s[44:45], -1, 0
	v_lshl_add_u64 v[14:15], v[14:15], 0, 2
	v_lshl_add_u64 v[16:17], v[16:17], 0, 2
	s_waitcnt vmcnt(0)
	v_cmp_ne_u16_e64 s[0:1], v18, v19
	s_or_b64 s[0:1], s[0:1], s[44:45]
	s_and_b64 s[0:1], exec, s[0:1]
	v_cmp_eq_u16_e32 vcc, v18, v19
	s_or_b64 s[12:13], s[0:1], s[12:13]
	s_andn2_b64 s[0:1], s[40:41], exec
	s_and_b64 s[40:41], vcc, exec
	s_or_b64 s[40:41], s[0:1], s[40:41]
	s_andn2_b64 exec, exec, s[12:13]
	s_cbranch_execnz .LBB1475_111
; %bb.112:
	s_or_b64 exec, exec, s[12:13]
	s_xor_b64 s[0:1], s[40:41], -1
.LBB1475_113:
	s_and_b64 s[12:13], s[0:1], exec
.LBB1475_114:
	s_or_b64 exec, exec, s[14:15]
	v_add_u32_e32 v14, 3, v1
	v_cmp_gt_u32_e32 vcc, s48, v14
	s_and_saveexec_b64 s[14:15], vcc
	s_cbranch_execz .LBB1475_120
; %bb.115:
	s_andn2_b64 vcc, exec, s[6:7]
	s_mov_b64 s[0:1], 0
	s_cbranch_vccnz .LBB1475_119
; %bb.116:
	v_mul_lo_u32 v16, v3, s26
	v_mul_lo_u32 v17, v2, s27
	v_mad_u64_u32 v[14:15], s[0:1], v2, s26, 0
	v_add3_u32 v15, v15, v17, v16
	v_mul_lo_u32 v18, v5, s26
	v_mul_lo_u32 v19, v4, s27
	v_mad_u64_u32 v[16:17], s[0:1], v4, s26, 0
	v_add3_u32 v17, v17, v19, v18
	s_add_u32 s42, s26, -1
	v_lshl_add_u64 v[14:15], v[14:15], 1, s[36:37]
	v_lshl_add_u64 v[16:17], v[16:17], 1, s[36:37]
	s_addc_u32 s43, s27, -1
	s_mov_b64 s[4:5], 0
                                        ; implicit-def: $sgpr40_sgpr41
.LBB1475_117:                           ; =>This Inner Loop Header: Depth=1
	global_load_ushort v18, v[14:15], off
	global_load_ushort v19, v[16:17], off
	s_add_u32 s0, s42, -1
	s_addc_u32 s1, s43, -1
	s_cmp_eq_u64 s[42:43], 0
	s_mov_b64 s[42:43], s[0:1]
	s_cselect_b64 s[44:45], -1, 0
	v_lshl_add_u64 v[14:15], v[14:15], 0, 2
	v_lshl_add_u64 v[16:17], v[16:17], 0, 2
	s_waitcnt vmcnt(0)
	v_cmp_ne_u16_e64 s[0:1], v18, v19
	s_or_b64 s[0:1], s[0:1], s[44:45]
	s_and_b64 s[0:1], exec, s[0:1]
	v_cmp_eq_u16_e32 vcc, v18, v19
	s_or_b64 s[4:5], s[0:1], s[4:5]
	s_andn2_b64 s[0:1], s[40:41], exec
	s_and_b64 s[40:41], vcc, exec
	s_or_b64 s[40:41], s[0:1], s[40:41]
	s_andn2_b64 exec, exec, s[4:5]
	s_cbranch_execnz .LBB1475_117
; %bb.118:
	s_or_b64 exec, exec, s[4:5]
	s_xor_b64 s[0:1], s[40:41], -1
.LBB1475_119:
	s_and_b64 s[4:5], s[0:1], exec
.LBB1475_120:
	s_or_b64 exec, exec, s[14:15]
	v_add_u32_e32 v14, 2, v1
	v_cmp_gt_u32_e32 vcc, s48, v14
	s_mov_b64 s[14:15], 0
	s_mov_b64 s[40:41], 0
	s_and_saveexec_b64 s[42:43], vcc
	s_cbranch_execz .LBB1475_126
; %bb.121:
	s_andn2_b64 vcc, exec, s[6:7]
	s_mov_b64 s[0:1], 0
	s_cbranch_vccnz .LBB1475_125
; %bb.122:
	v_mul_lo_u32 v16, v9, s26
	v_mul_lo_u32 v17, v8, s27
	v_mad_u64_u32 v[14:15], s[0:1], v8, s26, 0
	v_add3_u32 v15, v15, v17, v16
	v_mul_lo_u32 v18, v3, s26
	v_mul_lo_u32 v19, v2, s27
	v_mad_u64_u32 v[16:17], s[0:1], v2, s26, 0
	v_add3_u32 v17, v17, v19, v18
	s_add_u32 s46, s26, -1
	v_lshl_add_u64 v[14:15], v[14:15], 1, s[36:37]
	v_lshl_add_u64 v[16:17], v[16:17], 1, s[36:37]
	s_addc_u32 s47, s27, -1
                                        ; implicit-def: $sgpr44_sgpr45
.LBB1475_123:                           ; =>This Inner Loop Header: Depth=1
	global_load_ushort v18, v[14:15], off
	global_load_ushort v19, v[16:17], off
	s_add_u32 s0, s46, -1
	s_addc_u32 s1, s47, -1
	s_cmp_eq_u64 s[46:47], 0
	s_mov_b64 s[46:47], s[0:1]
	s_cselect_b64 s[50:51], -1, 0
	v_lshl_add_u64 v[14:15], v[14:15], 0, 2
	v_lshl_add_u64 v[16:17], v[16:17], 0, 2
	s_waitcnt vmcnt(0)
	v_cmp_ne_u16_e64 s[0:1], v18, v19
	s_or_b64 s[0:1], s[0:1], s[50:51]
	s_and_b64 s[0:1], exec, s[0:1]
	v_cmp_eq_u16_e32 vcc, v18, v19
	s_or_b64 s[40:41], s[0:1], s[40:41]
	s_andn2_b64 s[0:1], s[44:45], exec
	s_and_b64 s[44:45], vcc, exec
	s_or_b64 s[44:45], s[0:1], s[44:45]
	s_andn2_b64 exec, exec, s[40:41]
	s_cbranch_execnz .LBB1475_123
; %bb.124:
	s_or_b64 exec, exec, s[40:41]
	s_xor_b64 s[0:1], s[44:45], -1
.LBB1475_125:
	s_and_b64 s[40:41], s[0:1], exec
.LBB1475_126:
	s_or_b64 exec, exec, s[42:43]
	v_add_u32_e32 v14, 1, v1
	v_cmp_gt_u32_e32 vcc, s48, v14
	s_and_saveexec_b64 s[42:43], vcc
	s_cbranch_execz .LBB1475_132
; %bb.127:
	s_andn2_b64 vcc, exec, s[6:7]
	s_mov_b64 s[0:1], 0
	s_cbranch_vccnz .LBB1475_131
; %bb.128:
	v_mul_lo_u32 v16, v7, s26
	v_mul_lo_u32 v17, v6, s27
	v_mad_u64_u32 v[14:15], s[0:1], v6, s26, 0
	v_add3_u32 v15, v15, v17, v16
	v_mul_lo_u32 v18, v9, s26
	v_mul_lo_u32 v19, v8, s27
	v_mad_u64_u32 v[16:17], s[0:1], v8, s26, 0
	v_add3_u32 v17, v17, v19, v18
	s_add_u32 s46, s26, -1
	v_lshl_add_u64 v[14:15], v[14:15], 1, s[36:37]
	v_lshl_add_u64 v[16:17], v[16:17], 1, s[36:37]
	s_addc_u32 s47, s27, -1
	s_mov_b64 s[14:15], 0
                                        ; implicit-def: $sgpr44_sgpr45
.LBB1475_129:                           ; =>This Inner Loop Header: Depth=1
	global_load_ushort v18, v[14:15], off
	global_load_ushort v19, v[16:17], off
	s_add_u32 s0, s46, -1
	s_addc_u32 s1, s47, -1
	s_cmp_eq_u64 s[46:47], 0
	s_mov_b64 s[46:47], s[0:1]
	s_cselect_b64 s[50:51], -1, 0
	v_lshl_add_u64 v[14:15], v[14:15], 0, 2
	v_lshl_add_u64 v[16:17], v[16:17], 0, 2
	s_waitcnt vmcnt(0)
	v_cmp_ne_u16_e64 s[0:1], v18, v19
	s_or_b64 s[0:1], s[0:1], s[50:51]
	s_and_b64 s[0:1], exec, s[0:1]
	v_cmp_eq_u16_e32 vcc, v18, v19
	s_or_b64 s[14:15], s[0:1], s[14:15]
	s_andn2_b64 s[0:1], s[44:45], exec
	s_and_b64 s[44:45], vcc, exec
	s_or_b64 s[44:45], s[0:1], s[44:45]
	s_andn2_b64 exec, exec, s[14:15]
	s_cbranch_execnz .LBB1475_129
; %bb.130:
	s_or_b64 exec, exec, s[14:15]
	s_xor_b64 s[0:1], s[44:45], -1
.LBB1475_131:
	s_and_b64 s[14:15], s[0:1], exec
.LBB1475_132:
	s_or_b64 exec, exec, s[42:43]
	v_cndmask_b32_e64 v33, 0, 1, s[12:13]
	v_cndmask_b32_e64 v34, 0, 1, s[40:41]
	;; [unrolled: 1-line block ×4, first 2 shown]
	v_mov_b32_e32 v16, 1
	s_waitcnt lgkmcnt(0)
	s_barrier
                                        ; implicit-def: $sgpr0_sgpr1
                                        ; implicit-def: $vgpr17
	s_and_saveexec_b64 s[4:5], s[2:3]
	s_cbranch_execz .LBB1475_140
; %bb.133:
	v_lshlrev_b16_e32 v15, 8, v35
	v_lshlrev_b16_e32 v17, 8, v14
	v_or_b32_e32 v15, 1, v15
	v_or_b32_sdwa v17, v34, v17 dst_sel:WORD_1 dst_unused:UNUSED_PAD src0_sel:DWORD src1_sel:DWORD
	v_cmp_gt_u32_e32 vcc, s48, v1
	v_or_b32_sdwa v15, v15, v17 dst_sel:DWORD dst_unused:UNUSED_PAD src0_sel:WORD_0 src1_sel:DWORD
	s_mov_b32 s40, 0x3020104
	s_mov_b64 s[0:1], 0
	s_and_saveexec_b64 s[2:3], vcc
	s_cbranch_execz .LBB1475_139
; %bb.134:
	s_andn2_b64 vcc, exec, s[6:7]
	s_cbranch_vccnz .LBB1475_138
; %bb.135:
	v_add_u32_e32 v17, -8, v22
	ds_read_b64 v[18:19], v17
	v_mul_lo_u32 v17, v7, s26
	v_mul_lo_u32 v22, v6, s27
	s_add_u32 s14, s26, -1
	s_addc_u32 s15, s27, -1
	s_waitcnt lgkmcnt(0)
	v_mul_lo_u32 v20, v19, s26
	v_mul_lo_u32 v21, v18, s27
	v_mad_u64_u32 v[18:19], s[0:1], v18, s26, 0
	v_add3_u32 v19, v19, v21, v20
	v_mad_u64_u32 v[20:21], s[0:1], v6, s26, 0
	v_add3_u32 v21, v21, v22, v17
	v_lshl_add_u64 v[18:19], v[18:19], 1, s[36:37]
	v_lshl_add_u64 v[20:21], v[20:21], 1, s[36:37]
	s_mov_b64 s[6:7], 0
                                        ; implicit-def: $sgpr12_sgpr13
.LBB1475_136:                           ; =>This Inner Loop Header: Depth=1
	global_load_ushort v17, v[18:19], off
	global_load_ushort v22, v[20:21], off
	s_add_u32 s0, s14, -1
	s_addc_u32 s1, s15, -1
	s_cmp_eq_u64 s[14:15], 0
	s_mov_b64 s[14:15], s[0:1]
	s_cselect_b64 s[26:27], -1, 0
	v_lshl_add_u64 v[18:19], v[18:19], 0, 2
	v_lshl_add_u64 v[20:21], v[20:21], 0, 2
	s_waitcnt vmcnt(0)
	v_cmp_ne_u16_e64 s[0:1], v17, v22
	s_or_b64 s[0:1], s[0:1], s[26:27]
	s_and_b64 s[0:1], exec, s[0:1]
	v_cmp_eq_u16_e32 vcc, v17, v22
	s_or_b64 s[6:7], s[0:1], s[6:7]
	s_andn2_b64 s[0:1], s[12:13], exec
	s_and_b64 s[12:13], vcc, exec
	s_or_b64 s[12:13], s[0:1], s[12:13]
	s_andn2_b64 exec, exec, s[6:7]
	s_cbranch_execnz .LBB1475_136
; %bb.137:
	s_or_b64 exec, exec, s[6:7]
	s_xor_b64 s[0:1], s[12:13], -1
.LBB1475_138:
	s_and_b64 s[0:1], s[0:1], exec
.LBB1475_139:
	s_or_b64 exec, exec, s[2:3]
	v_perm_b32 v17, v15, v15, s40
	s_or_b64 s[10:11], s[10:11], exec
.LBB1475_140:
	s_or_b64 exec, exec, s[4:5]
.LBB1475_141:
	s_and_saveexec_b64 s[2:3], s[10:11]
	s_cbranch_execz .LBB1475_143
; %bb.142:
	s_waitcnt vmcnt(0) lgkmcnt(0)
	v_lshrrev_b32_e32 v14, 24, v17
	v_lshrrev_b32_e32 v34, 16, v17
	;; [unrolled: 1-line block ×3, first 2 shown]
	v_cndmask_b32_e64 v16, 0, 1, s[0:1]
.LBB1475_143:
	s_or_b64 exec, exec, s[2:3]
	s_andn2_b64 vcc, exec, s[8:9]
	s_cbranch_vccnz .LBB1475_147
; %bb.144:
	s_mov_b32 s0, 0xc0c0004
	s_waitcnt vmcnt(0) lgkmcnt(0)
	v_perm_b32 v14, v34, v14, s0
	v_perm_b32 v15, v16, v35, s0
	v_lshlrev_b32_e32 v14, 16, v14
	v_or_b32_e32 v15, v15, v14
	v_cmp_gt_u32_e32 vcc, s48, v1
	v_add_u32_e32 v16, 1, v1
	s_mov_b32 s0, 0x40c0100
	v_cndmask_b32_e32 v14, v14, v15, vcc
	v_and_b32_e32 v14, 0xffff00ff, v14
	v_cmp_gt_u32_e32 vcc, s48, v16
	v_add_u32_e32 v16, 2, v1
	v_and_b32_e32 v33, 0xff, v33
	v_cndmask_b32_e32 v14, v14, v15, vcc
	v_lshrrev_b32_e32 v18, 24, v14
	v_perm_b32 v14, v18, v14, s0
	v_cmp_gt_u32_e32 vcc, s48, v16
	v_add_u32_e32 v16, 3, v1
	v_and_b32_e32 v17, 0xffff, v33
	v_cndmask_b32_e32 v14, v14, v15, vcc
	v_and_b32_e32 v14, 0xffffff, v14
	v_cmp_gt_u32_e32 vcc, s48, v16
	v_add_u32_e32 v1, 4, v1
	s_nop 0
	v_cndmask_b32_e32 v16, v14, v15, vcc
	v_lshrrev_b32_e32 v34, 16, v16
	v_lshrrev_b32_e32 v35, 8, v16
	v_lshrrev_b64 v[14:15], 24, v[16:17]
	v_cmp_le_u32_e32 vcc, s48, v1
	s_and_saveexec_b64 s[0:1], vcc
; %bb.145:
	v_mov_b32_e32 v33, 0
; %bb.146:
	s_or_b64 exec, exec, s[0:1]
.LBB1475_147:
	v_and_b32_e32 v1, 0xff, v16
	s_waitcnt vmcnt(0) lgkmcnt(0)
	v_and_b32_e32 v15, 0xff, v35
	v_and_b32_e32 v17, 0xff, v34
	;; [unrolled: 1-line block ×4, first 2 shown]
	v_add3_u32 v19, v15, v1, v17
	v_add3_u32 v37, v19, v29, v18
	v_mbcnt_lo_u32_b32 v18, -1, 0
	v_mbcnt_hi_u32_b32 v31, -1, v18
	v_and_b32_e32 v18, 15, v31
	v_cmp_eq_u32_e64 s[14:15], 0, v18
	v_cmp_lt_u32_e64 s[12:13], 1, v18
	v_cmp_lt_u32_e64 s[10:11], 3, v18
	v_cmp_lt_u32_e64 s[8:9], 7, v18
	v_and_b32_e32 v18, 16, v31
	v_cmp_eq_u32_e64 s[6:7], 0, v18
	v_or_b32_e32 v18, 63, v0
	v_cmp_lt_u32_e64 s[2:3], 31, v31
	v_lshrrev_b32_e32 v36, 6, v0
	v_cmp_eq_u32_e64 s[4:5], v0, v18
	s_and_b64 vcc, exec, s[16:17]
	s_barrier
	s_cbranch_vccz .LBB1475_169
; %bb.148:
	v_mov_b32_dpp v18, v37 row_shr:1 row_mask:0xf bank_mask:0xf
	v_cndmask_b32_e64 v18, v18, 0, s[14:15]
	v_add_u32_e32 v18, v18, v37
	s_nop 1
	v_mov_b32_dpp v19, v18 row_shr:2 row_mask:0xf bank_mask:0xf
	v_cndmask_b32_e64 v19, 0, v19, s[12:13]
	v_add_u32_e32 v18, v18, v19
	s_nop 1
	;; [unrolled: 4-line block ×4, first 2 shown]
	v_mov_b32_dpp v19, v18 row_bcast:15 row_mask:0xf bank_mask:0xf
	v_cndmask_b32_e64 v19, v19, 0, s[6:7]
	v_add_u32_e32 v18, v18, v19
	s_nop 1
	v_mov_b32_dpp v19, v18 row_bcast:31 row_mask:0xf bank_mask:0xf
	v_cndmask_b32_e64 v19, 0, v19, s[2:3]
	v_add_u32_e32 v18, v18, v19
	s_and_saveexec_b64 s[0:1], s[4:5]
; %bb.149:
	v_lshlrev_b32_e32 v19, 2, v36
	ds_write_b32 v19, v18
; %bb.150:
	s_or_b64 exec, exec, s[0:1]
	v_cmp_gt_u32_e32 vcc, 2, v0
	s_waitcnt lgkmcnt(0)
	s_barrier
	s_and_saveexec_b64 s[0:1], vcc
	s_cbranch_execz .LBB1475_152
; %bb.151:
	v_lshlrev_b32_e32 v19, 2, v0
	ds_read_b32 v20, v19
	v_bfe_i32 v21, v31, 0, 1
	s_waitcnt lgkmcnt(0)
	v_mov_b32_dpp v22, v20 row_shr:1 row_mask:0xf bank_mask:0xf
	v_and_b32_e32 v21, v21, v22
	v_add_u32_e32 v20, v21, v20
	ds_write_b32 v19, v20
.LBB1475_152:
	s_or_b64 exec, exec, s[0:1]
	v_cmp_gt_u32_e32 vcc, 64, v0
	v_cmp_lt_u32_e64 s[0:1], 63, v0
	s_waitcnt lgkmcnt(0)
	s_barrier
                                        ; implicit-def: $vgpr28
	s_and_saveexec_b64 s[16:17], s[0:1]
	s_cbranch_execz .LBB1475_154
; %bb.153:
	v_lshl_add_u32 v19, v36, 2, -4
	ds_read_b32 v28, v19
	s_waitcnt lgkmcnt(0)
	v_add_u32_e32 v18, v28, v18
.LBB1475_154:
	s_or_b64 exec, exec, s[16:17]
	v_subrev_co_u32_e64 v19, s[16:17], 1, v31
	v_and_b32_e32 v20, 64, v31
	v_cmp_lt_i32_e64 s[0:1], v19, v20
	s_nop 1
	v_cndmask_b32_e64 v19, v19, v31, s[0:1]
	v_lshlrev_b32_e32 v19, 2, v19
	ds_bpermute_b32 v30, v19, v18
	s_and_saveexec_b64 s[0:1], vcc
	s_cbranch_execz .LBB1475_174
; %bb.155:
	v_mov_b32_e32 v25, 0
	ds_read_b32 v18, v25 offset:4
	s_and_saveexec_b64 s[26:27], s[16:17]
	s_cbranch_execz .LBB1475_157
; %bb.156:
	s_add_i32 s36, s33, 64
	s_mov_b32 s37, 0
	s_lshl_b64 s[36:37], s[36:37], 3
	s_add_u32 s36, s38, s36
	v_mov_b32_e32 v19, 1
	s_addc_u32 s37, s39, s37
	s_waitcnt lgkmcnt(0)
	global_store_dwordx2 v25, v[18:19], s[36:37] sc1
.LBB1475_157:
	s_or_b64 exec, exec, s[26:27]
	v_xad_u32 v20, v31, -1, s33
	v_add_u32_e32 v24, 64, v20
	v_lshl_add_u64 v[26:27], v[24:25], 3, s[38:39]
	global_load_dwordx2 v[22:23], v[26:27], off sc1
	s_waitcnt vmcnt(0)
	v_cmp_eq_u16_sdwa s[36:37], v23, v25 src0_sel:BYTE_0 src1_sel:DWORD
	s_and_saveexec_b64 s[26:27], s[36:37]
	s_cbranch_execz .LBB1475_161
; %bb.158:
	s_mov_b64 s[36:37], 0
	v_mov_b32_e32 v19, 0
.LBB1475_159:                           ; =>This Inner Loop Header: Depth=1
	global_load_dwordx2 v[22:23], v[26:27], off sc1
	s_waitcnt vmcnt(0)
	v_cmp_ne_u16_sdwa s[40:41], v23, v19 src0_sel:BYTE_0 src1_sel:DWORD
	s_or_b64 s[36:37], s[40:41], s[36:37]
	s_andn2_b64 exec, exec, s[36:37]
	s_cbranch_execnz .LBB1475_159
; %bb.160:
	s_or_b64 exec, exec, s[36:37]
.LBB1475_161:
	s_or_b64 exec, exec, s[26:27]
	v_and_b32_e32 v39, 63, v31
	v_mov_b32_e32 v38, 2
	v_cmp_ne_u32_e32 vcc, 63, v39
	v_cmp_eq_u16_sdwa s[26:27], v23, v38 src0_sel:BYTE_0 src1_sel:DWORD
	v_lshlrev_b64 v[24:25], v31, -1
	v_addc_co_u32_e32 v26, vcc, 0, v31, vcc
	v_and_b32_e32 v19, s27, v25
	v_lshlrev_b32_e32 v40, 2, v26
	v_or_b32_e32 v19, 0x80000000, v19
	ds_bpermute_b32 v26, v40, v22
	v_and_b32_e32 v21, s26, v24
	v_ffbl_b32_e32 v19, v19
	v_add_u32_e32 v19, 32, v19
	v_ffbl_b32_e32 v21, v21
	v_min_u32_e32 v19, v21, v19
	v_cmp_lt_u32_e32 vcc, v39, v19
	v_add_u32_e32 v42, 2, v39
	v_add_u32_e32 v44, 4, v39
	s_waitcnt lgkmcnt(0)
	v_cndmask_b32_e32 v21, 0, v26, vcc
	v_cmp_gt_u32_e32 vcc, 62, v39
	v_add_u32_e32 v21, v21, v22
	v_add_u32_e32 v46, 8, v39
	v_cndmask_b32_e64 v22, 0, 2, vcc
	v_add_lshl_u32 v41, v22, v31, 2
	ds_bpermute_b32 v22, v41, v21
	v_cmp_le_u32_e32 vcc, v42, v19
	v_add_u32_e32 v48, 16, v39
	v_add_u32_e32 v50, 32, v39
	s_waitcnt lgkmcnt(0)
	v_cndmask_b32_e32 v22, 0, v22, vcc
	v_cmp_gt_u32_e32 vcc, 60, v39
	v_add_u32_e32 v21, v21, v22
	s_nop 0
	v_cndmask_b32_e64 v22, 0, 4, vcc
	v_add_lshl_u32 v43, v22, v31, 2
	ds_bpermute_b32 v22, v43, v21
	v_cmp_le_u32_e32 vcc, v44, v19
	s_waitcnt lgkmcnt(0)
	s_nop 0
	v_cndmask_b32_e32 v22, 0, v22, vcc
	v_cmp_gt_u32_e32 vcc, 56, v39
	v_add_u32_e32 v21, v21, v22
	s_nop 0
	v_cndmask_b32_e64 v22, 0, 8, vcc
	v_add_lshl_u32 v45, v22, v31, 2
	ds_bpermute_b32 v22, v45, v21
	v_cmp_le_u32_e32 vcc, v46, v19
	s_waitcnt lgkmcnt(0)
	s_nop 0
	;; [unrolled: 10-line block ×3, first 2 shown]
	v_cndmask_b32_e32 v22, 0, v22, vcc
	v_add_u32_e32 v21, v21, v22
	v_mov_b32_e32 v22, 0x80
	v_lshl_or_b32 v49, v31, 2, v22
	ds_bpermute_b32 v22, v49, v21
	v_cmp_le_u32_e32 vcc, v50, v19
	s_waitcnt lgkmcnt(0)
	s_nop 0
	v_cndmask_b32_e32 v19, 0, v22, vcc
	v_add_u32_e32 v22, v21, v19
	v_mov_b32_e32 v21, 0
	s_branch .LBB1475_164
.LBB1475_162:                           ;   in Loop: Header=BB1475_164 Depth=1
	s_or_b64 exec, exec, s[26:27]
	v_cmp_eq_u16_sdwa s[26:27], v23, v38 src0_sel:BYTE_0 src1_sel:DWORD
	ds_bpermute_b32 v51, v40, v22
	v_subrev_u32_e32 v20, 64, v20
	v_and_b32_e32 v26, s27, v25
	v_or_b32_e32 v26, 0x80000000, v26
	v_and_b32_e32 v27, s26, v24
	v_ffbl_b32_e32 v26, v26
	v_add_u32_e32 v26, 32, v26
	v_ffbl_b32_e32 v27, v27
	v_min_u32_e32 v26, v27, v26
	v_cmp_lt_u32_e32 vcc, v39, v26
	s_mov_b64 s[26:27], 0
	s_waitcnt lgkmcnt(0)
	v_cndmask_b32_e32 v27, 0, v51, vcc
	v_add_u32_e32 v22, v27, v22
	ds_bpermute_b32 v27, v41, v22
	v_cmp_le_u32_e32 vcc, v42, v26
	s_waitcnt lgkmcnt(0)
	s_nop 0
	v_cndmask_b32_e32 v27, 0, v27, vcc
	v_add_u32_e32 v22, v22, v27
	ds_bpermute_b32 v27, v43, v22
	v_cmp_le_u32_e32 vcc, v44, v26
	s_waitcnt lgkmcnt(0)
	s_nop 0
	;; [unrolled: 6-line block ×5, first 2 shown]
	v_cndmask_b32_e32 v26, 0, v27, vcc
	v_add3_u32 v22, v26, v19, v22
.LBB1475_163:                           ;   in Loop: Header=BB1475_164 Depth=1
	s_and_b64 vcc, exec, s[26:27]
	s_cbranch_vccnz .LBB1475_170
.LBB1475_164:                           ; =>This Loop Header: Depth=1
                                        ;     Child Loop BB1475_167 Depth 2
	v_cmp_ne_u16_sdwa s[26:27], v23, v38 src0_sel:BYTE_0 src1_sel:DWORD
	v_mov_b32_e32 v19, v22
	s_cmp_lg_u64 s[26:27], exec
	s_mov_b64 s[26:27], -1
                                        ; implicit-def: $vgpr22
                                        ; implicit-def: $vgpr23
	s_cbranch_scc1 .LBB1475_163
; %bb.165:                              ;   in Loop: Header=BB1475_164 Depth=1
	v_lshl_add_u64 v[26:27], v[20:21], 3, s[38:39]
	global_load_dwordx2 v[22:23], v[26:27], off sc1
	s_waitcnt vmcnt(0)
	v_cmp_eq_u16_sdwa s[36:37], v23, v21 src0_sel:BYTE_0 src1_sel:DWORD
	s_and_saveexec_b64 s[26:27], s[36:37]
	s_cbranch_execz .LBB1475_162
; %bb.166:                              ;   in Loop: Header=BB1475_164 Depth=1
	s_mov_b64 s[36:37], 0
.LBB1475_167:                           ;   Parent Loop BB1475_164 Depth=1
                                        ; =>  This Inner Loop Header: Depth=2
	global_load_dwordx2 v[22:23], v[26:27], off sc1
	s_waitcnt vmcnt(0)
	v_cmp_ne_u16_sdwa s[40:41], v23, v21 src0_sel:BYTE_0 src1_sel:DWORD
	s_or_b64 s[36:37], s[40:41], s[36:37]
	s_andn2_b64 exec, exec, s[36:37]
	s_cbranch_execnz .LBB1475_167
; %bb.168:                              ;   in Loop: Header=BB1475_164 Depth=1
	s_or_b64 exec, exec, s[36:37]
	s_branch .LBB1475_162
.LBB1475_169:
                                        ; implicit-def: $vgpr22
                                        ; implicit-def: $vgpr24
                                        ; implicit-def: $vgpr26
                                        ; implicit-def: $vgpr28
                                        ; implicit-def: $vgpr30
                                        ; implicit-def: $vgpr20
                                        ; implicit-def: $vgpr18
	s_cbranch_execnz .LBB1475_175
	s_branch .LBB1475_184
.LBB1475_170:
	s_and_saveexec_b64 s[26:27], s[16:17]
	s_cbranch_execz .LBB1475_172
; %bb.171:
	s_add_i32 s36, s33, 64
	s_mov_b32 s37, 0
	s_lshl_b64 s[36:37], s[36:37], 3
	s_add_u32 s36, s38, s36
	v_add_u32_e32 v20, v19, v18
	v_mov_b32_e32 v21, 2
	s_addc_u32 s37, s39, s37
	v_mov_b32_e32 v22, 0
	global_store_dwordx2 v22, v[20:21], s[36:37] sc1
	ds_write_b64 v22, v[18:19] offset:5120
.LBB1475_172:
	s_or_b64 exec, exec, s[26:27]
	s_and_b64 exec, exec, s[18:19]
; %bb.173:
	v_mov_b32_e32 v18, 0
	ds_write_b32 v18, v19 offset:4
.LBB1475_174:
	s_or_b64 exec, exec, s[0:1]
	v_mov_b32_e32 v18, 0
	s_waitcnt lgkmcnt(0)
	s_barrier
	ds_read_b32 v19, v18 offset:4
	v_cndmask_b32_e64 v20, v30, v28, s[16:17]
	v_cndmask_b32_e64 v20, v20, 0, s[18:19]
	s_waitcnt lgkmcnt(0)
	s_barrier
	v_add_u32_e32 v30, v19, v20
	ds_read_b64 v[18:19], v18 offset:5120
	v_add_u32_e32 v28, v30, v1
	v_add_u32_e32 v26, v28, v15
	v_add_u32_e32 v24, v26, v17
	v_add_u32_e32 v22, v24, v29
	s_waitcnt lgkmcnt(0)
	v_mov_b32_e32 v20, v19
	s_branch .LBB1475_184
.LBB1475_175:
	v_mov_b32_dpp v18, v37 row_shr:1 row_mask:0xf bank_mask:0xf
	v_cndmask_b32_e64 v18, v18, 0, s[14:15]
	v_add_u32_e32 v18, v18, v37
	s_nop 1
	v_mov_b32_dpp v19, v18 row_shr:2 row_mask:0xf bank_mask:0xf
	v_cndmask_b32_e64 v19, 0, v19, s[12:13]
	v_add_u32_e32 v18, v18, v19
	s_nop 1
	;; [unrolled: 4-line block ×4, first 2 shown]
	v_mov_b32_dpp v19, v18 row_bcast:15 row_mask:0xf bank_mask:0xf
	v_cndmask_b32_e64 v19, v19, 0, s[6:7]
	v_add_u32_e32 v18, v18, v19
	s_nop 1
	v_mov_b32_dpp v19, v18 row_bcast:31 row_mask:0xf bank_mask:0xf
	v_cndmask_b32_e64 v19, 0, v19, s[2:3]
	v_add_u32_e32 v18, v18, v19
	s_and_saveexec_b64 s[0:1], s[4:5]
; %bb.176:
	v_lshlrev_b32_e32 v19, 2, v36
	ds_write_b32 v19, v18
; %bb.177:
	s_or_b64 exec, exec, s[0:1]
	v_cmp_gt_u32_e32 vcc, 2, v0
	s_waitcnt lgkmcnt(0)
	s_barrier
	s_and_saveexec_b64 s[0:1], vcc
	s_cbranch_execz .LBB1475_179
; %bb.178:
	v_lshlrev_b32_e32 v19, 2, v0
	ds_read_b32 v20, v19
	v_bfe_i32 v21, v31, 0, 1
	s_waitcnt lgkmcnt(0)
	v_mov_b32_dpp v22, v20 row_shr:1 row_mask:0xf bank_mask:0xf
	v_and_b32_e32 v21, v21, v22
	v_add_u32_e32 v20, v21, v20
	ds_write_b32 v19, v20
.LBB1475_179:
	s_or_b64 exec, exec, s[0:1]
	v_cmp_lt_u32_e32 vcc, 63, v0
	v_mov_b32_e32 v19, 0
	v_mov_b32_e32 v20, 0
	s_waitcnt lgkmcnt(0)
	s_barrier
	s_and_saveexec_b64 s[0:1], vcc
; %bb.180:
	v_lshl_add_u32 v20, v36, 2, -4
	ds_read_b32 v20, v20
; %bb.181:
	s_or_b64 exec, exec, s[0:1]
	v_subrev_co_u32_e32 v21, vcc, 1, v31
	v_and_b32_e32 v22, 64, v31
	v_cmp_lt_i32_e64 s[0:1], v21, v22
	s_waitcnt lgkmcnt(0)
	v_add_u32_e32 v18, v20, v18
	v_cndmask_b32_e64 v21, v21, v31, s[0:1]
	v_lshlrev_b32_e32 v21, 2, v21
	ds_bpermute_b32 v21, v21, v18
	ds_read_b32 v18, v19 offset:4
	s_and_saveexec_b64 s[0:1], s[18:19]
	s_cbranch_execz .LBB1475_183
; %bb.182:
	v_mov_b32_e32 v22, 0
	v_mov_b32_e32 v19, 2
	s_waitcnt lgkmcnt(0)
	global_store_dwordx2 v22, v[18:19], s[38:39] offset:512 sc1
.LBB1475_183:
	s_or_b64 exec, exec, s[0:1]
	s_waitcnt lgkmcnt(1)
	v_cndmask_b32_e32 v19, v21, v20, vcc
	v_cndmask_b32_e64 v30, v19, 0, s[18:19]
	v_add_u32_e32 v28, v30, v1
	v_add_u32_e32 v26, v28, v15
	v_add_u32_e32 v24, v26, v17
	v_add_u32_e32 v22, v24, v29
	s_waitcnt lgkmcnt(0)
	s_barrier
	v_mov_b32_e32 v20, 0
.LBB1475_184:
	s_movk_i32 s0, 0x81
	v_cmp_gt_u32_e64 s[2:3], s0, v18
	v_add_u32_e32 v15, v20, v18
	v_and_b32_e32 v1, 1, v16
	s_mov_b64 s[6:7], -1
	s_and_b64 vcc, exec, s[2:3]
	v_cmp_lt_u32_e64 s[0:1], v30, v15
	v_cmp_eq_u32_e64 s[4:5], 1, v1
	s_cbranch_vccz .LBB1475_196
; %bb.185:
	s_or_b64 s[0:1], s[34:35], s[0:1]
	s_and_b64 s[4:5], s[0:1], s[4:5]
	s_and_saveexec_b64 s[0:1], s[4:5]
	s_cbranch_execz .LBB1475_187
; %bb.186:
	s_lshl_b64 s[4:5], s[22:23], 3
	s_add_u32 s4, s28, s4
	s_addc_u32 s5, s29, s5
	v_mov_b32_e32 v31, 0
	v_lshl_add_u64 v[16:17], v[30:31], 3, s[4:5]
	global_store_dwordx2 v[16:17], v[6:7], off
.LBB1475_187:
	s_or_b64 exec, exec, s[0:1]
	v_cmp_lt_u32_e32 vcc, v28, v15
	v_and_b32_e32 v16, 1, v35
	s_or_b64 s[0:1], s[34:35], vcc
	v_cmp_eq_u32_e32 vcc, 1, v16
	s_and_b64 s[4:5], s[0:1], vcc
	s_and_saveexec_b64 s[0:1], s[4:5]
	s_cbranch_execz .LBB1475_189
; %bb.188:
	s_lshl_b64 s[4:5], s[22:23], 3
	s_add_u32 s4, s28, s4
	s_addc_u32 s5, s29, s5
	v_mov_b32_e32 v29, 0
	v_lshl_add_u64 v[16:17], v[28:29], 3, s[4:5]
	global_store_dwordx2 v[16:17], v[8:9], off
.LBB1475_189:
	s_or_b64 exec, exec, s[0:1]
	v_cmp_lt_u32_e32 vcc, v26, v15
	v_and_b32_e32 v16, 1, v34
	s_or_b64 s[0:1], s[34:35], vcc
	v_cmp_eq_u32_e32 vcc, 1, v16
	s_and_b64 s[4:5], s[0:1], vcc
	;; [unrolled: 16-line block ×4, first 2 shown]
	s_and_saveexec_b64 s[0:1], s[4:5]
	s_cbranch_execz .LBB1475_195
; %bb.194:
	s_lshl_b64 s[4:5], s[22:23], 3
	s_add_u32 s4, s28, s4
	s_addc_u32 s5, s29, s5
	v_mov_b32_e32 v23, 0
	v_lshl_add_u64 v[16:17], v[22:23], 3, s[4:5]
	global_store_dwordx2 v[16:17], v[12:13], off
.LBB1475_195:
	s_or_b64 exec, exec, s[0:1]
	s_mov_b64 s[6:7], 0
.LBB1475_196:
	s_and_b64 vcc, exec, s[6:7]
	s_cbranch_vccz .LBB1475_210
; %bb.197:
	v_cmp_eq_u32_e32 vcc, 1, v1
	s_and_saveexec_b64 s[0:1], vcc
; %bb.198:
	v_sub_u32_e32 v16, v30, v20
	v_lshlrev_b32_e32 v16, 3, v16
	ds_write_b64 v16, v[6:7]
; %bb.199:
	s_or_b64 exec, exec, s[0:1]
	v_and_b32_e32 v6, 1, v35
	v_cmp_eq_u32_e32 vcc, 1, v6
	s_and_saveexec_b64 s[0:1], vcc
; %bb.200:
	v_sub_u32_e32 v6, v28, v20
	v_lshlrev_b32_e32 v6, 3, v6
	ds_write_b64 v6, v[8:9]
; %bb.201:
	s_or_b64 exec, exec, s[0:1]
	v_and_b32_e32 v6, 1, v34
	;; [unrolled: 9-line block ×4, first 2 shown]
	v_cmp_eq_u32_e32 vcc, 1, v2
	s_and_saveexec_b64 s[0:1], vcc
; %bb.206:
	v_sub_u32_e32 v2, v22, v20
	v_lshlrev_b32_e32 v2, 3, v2
	ds_write_b64 v2, v[12:13]
; %bb.207:
	s_or_b64 exec, exec, s[0:1]
	v_mov_b32_e32 v3, 0
	v_mov_b32_e32 v21, v3
	v_lshlrev_b64 v[4:5], 3, v[20:21]
	v_lshl_add_u64 v[4:5], s[28:29], 0, v[4:5]
	s_lshl_b64 s[0:1], s[22:23], 3
	v_lshl_add_u64 v[4:5], v[4:5], 0, s[0:1]
	v_lshlrev_b32_e32 v6, 3, v0
	s_mov_b64 s[0:1], 0
	v_mov_b32_e32 v2, v0
	s_waitcnt lgkmcnt(0)
	s_barrier
.LBB1475_208:                           ; =>This Inner Loop Header: Depth=1
	ds_read_b64 v[8:9], v6
	v_lshl_add_u64 v[12:13], v[2:3], 3, v[4:5]
	v_add_u32_e32 v2, 0x80, v2
	v_cmp_ge_u32_e32 vcc, v2, v18
	v_add_u32_e32 v6, 0x400, v6
	s_or_b64 s[0:1], vcc, s[0:1]
	s_waitcnt lgkmcnt(0)
	global_store_dwordx2 v[12:13], v[8:9], off
	s_andn2_b64 exec, exec, s[0:1]
	s_cbranch_execnz .LBB1475_208
; %bb.209:
	s_or_b64 exec, exec, s[0:1]
.LBB1475_210:
	s_mov_b64 s[0:1], -1
	s_and_b64 vcc, exec, s[2:3]
	s_barrier
	s_cbranch_vccnz .LBB1475_214
; %bb.211:
	s_and_b64 vcc, exec, s[0:1]
	s_cbranch_vccnz .LBB1475_225
.LBB1475_212:
	s_and_b64 s[0:1], s[18:19], s[24:25]
	s_and_saveexec_b64 s[2:3], s[0:1]
	s_cbranch_execnz .LBB1475_238
.LBB1475_213:
	s_endpgm
.LBB1475_214:
	v_cmp_lt_u32_e32 vcc, v30, v15
	s_or_b64 s[0:1], s[34:35], vcc
	v_cmp_eq_u32_e32 vcc, 1, v1
	s_and_b64 s[2:3], s[0:1], vcc
	s_and_saveexec_b64 s[0:1], s[2:3]
	s_cbranch_execz .LBB1475_216
; %bb.215:
	s_lshl_b64 s[2:3], s[22:23], 3
	s_add_u32 s2, s30, s2
	s_addc_u32 s3, s31, s3
	v_mov_b32_e32 v31, 0
	v_lshl_add_u64 v[2:3], v[30:31], 3, s[2:3]
	global_store_dwordx2 v[2:3], v[56:57], off
.LBB1475_216:
	s_or_b64 exec, exec, s[0:1]
	v_cmp_lt_u32_e32 vcc, v28, v15
	v_and_b32_e32 v2, 1, v35
	s_or_b64 s[0:1], s[34:35], vcc
	v_cmp_eq_u32_e32 vcc, 1, v2
	s_and_b64 s[2:3], s[0:1], vcc
	s_and_saveexec_b64 s[0:1], s[2:3]
	s_cbranch_execz .LBB1475_218
; %bb.217:
	s_lshl_b64 s[2:3], s[22:23], 3
	s_add_u32 s2, s30, s2
	s_addc_u32 s3, s31, s3
	v_mov_b32_e32 v29, 0
	v_lshl_add_u64 v[2:3], v[28:29], 3, s[2:3]
	global_store_dwordx2 v[2:3], v[58:59], off
.LBB1475_218:
	s_or_b64 exec, exec, s[0:1]
	v_cmp_lt_u32_e32 vcc, v26, v15
	v_and_b32_e32 v2, 1, v34
	;; [unrolled: 16-line block ×4, first 2 shown]
	s_or_b64 s[0:1], s[34:35], vcc
	v_cmp_eq_u32_e32 vcc, 1, v2
	s_and_b64 s[2:3], s[0:1], vcc
	s_and_saveexec_b64 s[0:1], s[2:3]
	s_cbranch_execz .LBB1475_224
; %bb.223:
	s_lshl_b64 s[2:3], s[22:23], 3
	s_add_u32 s2, s30, s2
	s_addc_u32 s3, s31, s3
	v_mov_b32_e32 v23, 0
	v_lshl_add_u64 v[2:3], v[22:23], 3, s[2:3]
	global_store_dwordx2 v[2:3], v[10:11], off
.LBB1475_224:
	s_or_b64 exec, exec, s[0:1]
	s_branch .LBB1475_212
.LBB1475_225:
	v_cmp_eq_u32_e32 vcc, 1, v1
	s_and_saveexec_b64 s[0:1], vcc
; %bb.226:
	v_sub_u32_e32 v1, v30, v20
	v_lshlrev_b32_e32 v1, 3, v1
	ds_write_b64 v1, v[56:57]
; %bb.227:
	s_or_b64 exec, exec, s[0:1]
	v_and_b32_e32 v1, 1, v35
	v_cmp_eq_u32_e32 vcc, 1, v1
	s_and_saveexec_b64 s[0:1], vcc
; %bb.228:
	v_sub_u32_e32 v1, v28, v20
	v_lshlrev_b32_e32 v1, 3, v1
	ds_write_b64 v1, v[58:59]
; %bb.229:
	s_or_b64 exec, exec, s[0:1]
	v_and_b32_e32 v1, 1, v34
	;; [unrolled: 9-line block ×4, first 2 shown]
	v_cmp_eq_u32_e32 vcc, 1, v1
	s_and_saveexec_b64 s[0:1], vcc
; %bb.234:
	v_sub_u32_e32 v1, v22, v20
	v_lshlrev_b32_e32 v1, 3, v1
	ds_write_b64 v1, v[10:11]
; %bb.235:
	s_or_b64 exec, exec, s[0:1]
	v_mov_b32_e32 v1, 0
	v_mov_b32_e32 v21, v1
	v_lshlrev_b64 v[2:3], 3, v[20:21]
	v_lshl_add_u64 v[2:3], s[30:31], 0, v[2:3]
	s_lshl_b64 s[0:1], s[22:23], 3
	v_lshl_add_u64 v[2:3], v[2:3], 0, s[0:1]
	s_mov_b64 s[0:1], 0
	s_waitcnt lgkmcnt(0)
	s_barrier
.LBB1475_236:                           ; =>This Inner Loop Header: Depth=1
	ds_read_b64 v[4:5], v32
	v_lshl_add_u64 v[6:7], v[0:1], 3, v[2:3]
	v_add_u32_e32 v0, 0x80, v0
	v_cmp_ge_u32_e32 vcc, v0, v18
	v_add_u32_e32 v32, 0x400, v32
	s_or_b64 s[0:1], vcc, s[0:1]
	s_waitcnt lgkmcnt(0)
	global_store_dwordx2 v[6:7], v[4:5], off
	s_andn2_b64 exec, exec, s[0:1]
	s_cbranch_execnz .LBB1475_236
; %bb.237:
	s_or_b64 exec, exec, s[0:1]
	s_and_b64 s[0:1], s[18:19], s[24:25]
	s_and_saveexec_b64 s[2:3], s[0:1]
	s_cbranch_execz .LBB1475_213
.LBB1475_238:
	v_mov_b32_e32 v19, 0
	v_lshl_add_u64 v[0:1], s[22:23], 0, v[18:19]
	v_mov_b32_e32 v21, v19
	v_lshl_add_u64 v[0:1], v[0:1], 0, v[20:21]
	global_store_dwordx2 v19, v[0:1], s[20:21]
	s_endpgm
	.section	.rodata,"a",@progbits
	.p2align	6, 0x0
	.amdhsa_kernel _ZN7rocprim17ROCPRIM_400000_NS6detail17trampoline_kernelINS0_14default_configENS1_25partition_config_selectorILNS1_17partition_subalgoE9EllbEEZZNS1_14partition_implILS5_9ELb0ES3_jPlS8_PNS0_10empty_typeENS0_5tupleIJS8_S9_EEENSB_IJS8_SA_EEENS0_18inequality_wrapperIZN2at6native12_GLOBAL__N_124unique_dim_cuda_templateItEESt5tupleIJNSF_6TensorESK_SK_EERKSK_lbbbEUlllE0_EEPmJS9_EEE10hipError_tPvRmT3_T4_T5_T6_T7_T9_mT8_P12ihipStream_tbDpT10_ENKUlT_T0_E_clISt17integral_constantIbLb0EES19_IbLb1EEEEDaS15_S16_EUlS15_E_NS1_11comp_targetILNS1_3genE0ELNS1_11target_archE4294967295ELNS1_3gpuE0ELNS1_3repE0EEENS1_30default_config_static_selectorELNS0_4arch9wavefront6targetE1EEEvT1_
		.amdhsa_group_segment_fixed_size 5128
		.amdhsa_private_segment_fixed_size 0
		.amdhsa_kernarg_size 136
		.amdhsa_user_sgpr_count 2
		.amdhsa_user_sgpr_dispatch_ptr 0
		.amdhsa_user_sgpr_queue_ptr 0
		.amdhsa_user_sgpr_kernarg_segment_ptr 1
		.amdhsa_user_sgpr_dispatch_id 0
		.amdhsa_user_sgpr_kernarg_preload_length 0
		.amdhsa_user_sgpr_kernarg_preload_offset 0
		.amdhsa_user_sgpr_private_segment_size 0
		.amdhsa_uses_dynamic_stack 0
		.amdhsa_enable_private_segment 0
		.amdhsa_system_sgpr_workgroup_id_x 1
		.amdhsa_system_sgpr_workgroup_id_y 0
		.amdhsa_system_sgpr_workgroup_id_z 0
		.amdhsa_system_sgpr_workgroup_info 0
		.amdhsa_system_vgpr_workitem_id 0
		.amdhsa_next_free_vgpr 60
		.amdhsa_next_free_sgpr 52
		.amdhsa_accum_offset 60
		.amdhsa_reserve_vcc 1
		.amdhsa_float_round_mode_32 0
		.amdhsa_float_round_mode_16_64 0
		.amdhsa_float_denorm_mode_32 3
		.amdhsa_float_denorm_mode_16_64 3
		.amdhsa_dx10_clamp 1
		.amdhsa_ieee_mode 1
		.amdhsa_fp16_overflow 0
		.amdhsa_tg_split 0
		.amdhsa_exception_fp_ieee_invalid_op 0
		.amdhsa_exception_fp_denorm_src 0
		.amdhsa_exception_fp_ieee_div_zero 0
		.amdhsa_exception_fp_ieee_overflow 0
		.amdhsa_exception_fp_ieee_underflow 0
		.amdhsa_exception_fp_ieee_inexact 0
		.amdhsa_exception_int_div_zero 0
	.end_amdhsa_kernel
	.section	.text._ZN7rocprim17ROCPRIM_400000_NS6detail17trampoline_kernelINS0_14default_configENS1_25partition_config_selectorILNS1_17partition_subalgoE9EllbEEZZNS1_14partition_implILS5_9ELb0ES3_jPlS8_PNS0_10empty_typeENS0_5tupleIJS8_S9_EEENSB_IJS8_SA_EEENS0_18inequality_wrapperIZN2at6native12_GLOBAL__N_124unique_dim_cuda_templateItEESt5tupleIJNSF_6TensorESK_SK_EERKSK_lbbbEUlllE0_EEPmJS9_EEE10hipError_tPvRmT3_T4_T5_T6_T7_T9_mT8_P12ihipStream_tbDpT10_ENKUlT_T0_E_clISt17integral_constantIbLb0EES19_IbLb1EEEEDaS15_S16_EUlS15_E_NS1_11comp_targetILNS1_3genE0ELNS1_11target_archE4294967295ELNS1_3gpuE0ELNS1_3repE0EEENS1_30default_config_static_selectorELNS0_4arch9wavefront6targetE1EEEvT1_,"axG",@progbits,_ZN7rocprim17ROCPRIM_400000_NS6detail17trampoline_kernelINS0_14default_configENS1_25partition_config_selectorILNS1_17partition_subalgoE9EllbEEZZNS1_14partition_implILS5_9ELb0ES3_jPlS8_PNS0_10empty_typeENS0_5tupleIJS8_S9_EEENSB_IJS8_SA_EEENS0_18inequality_wrapperIZN2at6native12_GLOBAL__N_124unique_dim_cuda_templateItEESt5tupleIJNSF_6TensorESK_SK_EERKSK_lbbbEUlllE0_EEPmJS9_EEE10hipError_tPvRmT3_T4_T5_T6_T7_T9_mT8_P12ihipStream_tbDpT10_ENKUlT_T0_E_clISt17integral_constantIbLb0EES19_IbLb1EEEEDaS15_S16_EUlS15_E_NS1_11comp_targetILNS1_3genE0ELNS1_11target_archE4294967295ELNS1_3gpuE0ELNS1_3repE0EEENS1_30default_config_static_selectorELNS0_4arch9wavefront6targetE1EEEvT1_,comdat
.Lfunc_end1475:
	.size	_ZN7rocprim17ROCPRIM_400000_NS6detail17trampoline_kernelINS0_14default_configENS1_25partition_config_selectorILNS1_17partition_subalgoE9EllbEEZZNS1_14partition_implILS5_9ELb0ES3_jPlS8_PNS0_10empty_typeENS0_5tupleIJS8_S9_EEENSB_IJS8_SA_EEENS0_18inequality_wrapperIZN2at6native12_GLOBAL__N_124unique_dim_cuda_templateItEESt5tupleIJNSF_6TensorESK_SK_EERKSK_lbbbEUlllE0_EEPmJS9_EEE10hipError_tPvRmT3_T4_T5_T6_T7_T9_mT8_P12ihipStream_tbDpT10_ENKUlT_T0_E_clISt17integral_constantIbLb0EES19_IbLb1EEEEDaS15_S16_EUlS15_E_NS1_11comp_targetILNS1_3genE0ELNS1_11target_archE4294967295ELNS1_3gpuE0ELNS1_3repE0EEENS1_30default_config_static_selectorELNS0_4arch9wavefront6targetE1EEEvT1_, .Lfunc_end1475-_ZN7rocprim17ROCPRIM_400000_NS6detail17trampoline_kernelINS0_14default_configENS1_25partition_config_selectorILNS1_17partition_subalgoE9EllbEEZZNS1_14partition_implILS5_9ELb0ES3_jPlS8_PNS0_10empty_typeENS0_5tupleIJS8_S9_EEENSB_IJS8_SA_EEENS0_18inequality_wrapperIZN2at6native12_GLOBAL__N_124unique_dim_cuda_templateItEESt5tupleIJNSF_6TensorESK_SK_EERKSK_lbbbEUlllE0_EEPmJS9_EEE10hipError_tPvRmT3_T4_T5_T6_T7_T9_mT8_P12ihipStream_tbDpT10_ENKUlT_T0_E_clISt17integral_constantIbLb0EES19_IbLb1EEEEDaS15_S16_EUlS15_E_NS1_11comp_targetILNS1_3genE0ELNS1_11target_archE4294967295ELNS1_3gpuE0ELNS1_3repE0EEENS1_30default_config_static_selectorELNS0_4arch9wavefront6targetE1EEEvT1_
                                        ; -- End function
	.set _ZN7rocprim17ROCPRIM_400000_NS6detail17trampoline_kernelINS0_14default_configENS1_25partition_config_selectorILNS1_17partition_subalgoE9EllbEEZZNS1_14partition_implILS5_9ELb0ES3_jPlS8_PNS0_10empty_typeENS0_5tupleIJS8_S9_EEENSB_IJS8_SA_EEENS0_18inequality_wrapperIZN2at6native12_GLOBAL__N_124unique_dim_cuda_templateItEESt5tupleIJNSF_6TensorESK_SK_EERKSK_lbbbEUlllE0_EEPmJS9_EEE10hipError_tPvRmT3_T4_T5_T6_T7_T9_mT8_P12ihipStream_tbDpT10_ENKUlT_T0_E_clISt17integral_constantIbLb0EES19_IbLb1EEEEDaS15_S16_EUlS15_E_NS1_11comp_targetILNS1_3genE0ELNS1_11target_archE4294967295ELNS1_3gpuE0ELNS1_3repE0EEENS1_30default_config_static_selectorELNS0_4arch9wavefront6targetE1EEEvT1_.num_vgpr, 60
	.set _ZN7rocprim17ROCPRIM_400000_NS6detail17trampoline_kernelINS0_14default_configENS1_25partition_config_selectorILNS1_17partition_subalgoE9EllbEEZZNS1_14partition_implILS5_9ELb0ES3_jPlS8_PNS0_10empty_typeENS0_5tupleIJS8_S9_EEENSB_IJS8_SA_EEENS0_18inequality_wrapperIZN2at6native12_GLOBAL__N_124unique_dim_cuda_templateItEESt5tupleIJNSF_6TensorESK_SK_EERKSK_lbbbEUlllE0_EEPmJS9_EEE10hipError_tPvRmT3_T4_T5_T6_T7_T9_mT8_P12ihipStream_tbDpT10_ENKUlT_T0_E_clISt17integral_constantIbLb0EES19_IbLb1EEEEDaS15_S16_EUlS15_E_NS1_11comp_targetILNS1_3genE0ELNS1_11target_archE4294967295ELNS1_3gpuE0ELNS1_3repE0EEENS1_30default_config_static_selectorELNS0_4arch9wavefront6targetE1EEEvT1_.num_agpr, 0
	.set _ZN7rocprim17ROCPRIM_400000_NS6detail17trampoline_kernelINS0_14default_configENS1_25partition_config_selectorILNS1_17partition_subalgoE9EllbEEZZNS1_14partition_implILS5_9ELb0ES3_jPlS8_PNS0_10empty_typeENS0_5tupleIJS8_S9_EEENSB_IJS8_SA_EEENS0_18inequality_wrapperIZN2at6native12_GLOBAL__N_124unique_dim_cuda_templateItEESt5tupleIJNSF_6TensorESK_SK_EERKSK_lbbbEUlllE0_EEPmJS9_EEE10hipError_tPvRmT3_T4_T5_T6_T7_T9_mT8_P12ihipStream_tbDpT10_ENKUlT_T0_E_clISt17integral_constantIbLb0EES19_IbLb1EEEEDaS15_S16_EUlS15_E_NS1_11comp_targetILNS1_3genE0ELNS1_11target_archE4294967295ELNS1_3gpuE0ELNS1_3repE0EEENS1_30default_config_static_selectorELNS0_4arch9wavefront6targetE1EEEvT1_.numbered_sgpr, 52
	.set _ZN7rocprim17ROCPRIM_400000_NS6detail17trampoline_kernelINS0_14default_configENS1_25partition_config_selectorILNS1_17partition_subalgoE9EllbEEZZNS1_14partition_implILS5_9ELb0ES3_jPlS8_PNS0_10empty_typeENS0_5tupleIJS8_S9_EEENSB_IJS8_SA_EEENS0_18inequality_wrapperIZN2at6native12_GLOBAL__N_124unique_dim_cuda_templateItEESt5tupleIJNSF_6TensorESK_SK_EERKSK_lbbbEUlllE0_EEPmJS9_EEE10hipError_tPvRmT3_T4_T5_T6_T7_T9_mT8_P12ihipStream_tbDpT10_ENKUlT_T0_E_clISt17integral_constantIbLb0EES19_IbLb1EEEEDaS15_S16_EUlS15_E_NS1_11comp_targetILNS1_3genE0ELNS1_11target_archE4294967295ELNS1_3gpuE0ELNS1_3repE0EEENS1_30default_config_static_selectorELNS0_4arch9wavefront6targetE1EEEvT1_.num_named_barrier, 0
	.set _ZN7rocprim17ROCPRIM_400000_NS6detail17trampoline_kernelINS0_14default_configENS1_25partition_config_selectorILNS1_17partition_subalgoE9EllbEEZZNS1_14partition_implILS5_9ELb0ES3_jPlS8_PNS0_10empty_typeENS0_5tupleIJS8_S9_EEENSB_IJS8_SA_EEENS0_18inequality_wrapperIZN2at6native12_GLOBAL__N_124unique_dim_cuda_templateItEESt5tupleIJNSF_6TensorESK_SK_EERKSK_lbbbEUlllE0_EEPmJS9_EEE10hipError_tPvRmT3_T4_T5_T6_T7_T9_mT8_P12ihipStream_tbDpT10_ENKUlT_T0_E_clISt17integral_constantIbLb0EES19_IbLb1EEEEDaS15_S16_EUlS15_E_NS1_11comp_targetILNS1_3genE0ELNS1_11target_archE4294967295ELNS1_3gpuE0ELNS1_3repE0EEENS1_30default_config_static_selectorELNS0_4arch9wavefront6targetE1EEEvT1_.private_seg_size, 0
	.set _ZN7rocprim17ROCPRIM_400000_NS6detail17trampoline_kernelINS0_14default_configENS1_25partition_config_selectorILNS1_17partition_subalgoE9EllbEEZZNS1_14partition_implILS5_9ELb0ES3_jPlS8_PNS0_10empty_typeENS0_5tupleIJS8_S9_EEENSB_IJS8_SA_EEENS0_18inequality_wrapperIZN2at6native12_GLOBAL__N_124unique_dim_cuda_templateItEESt5tupleIJNSF_6TensorESK_SK_EERKSK_lbbbEUlllE0_EEPmJS9_EEE10hipError_tPvRmT3_T4_T5_T6_T7_T9_mT8_P12ihipStream_tbDpT10_ENKUlT_T0_E_clISt17integral_constantIbLb0EES19_IbLb1EEEEDaS15_S16_EUlS15_E_NS1_11comp_targetILNS1_3genE0ELNS1_11target_archE4294967295ELNS1_3gpuE0ELNS1_3repE0EEENS1_30default_config_static_selectorELNS0_4arch9wavefront6targetE1EEEvT1_.uses_vcc, 1
	.set _ZN7rocprim17ROCPRIM_400000_NS6detail17trampoline_kernelINS0_14default_configENS1_25partition_config_selectorILNS1_17partition_subalgoE9EllbEEZZNS1_14partition_implILS5_9ELb0ES3_jPlS8_PNS0_10empty_typeENS0_5tupleIJS8_S9_EEENSB_IJS8_SA_EEENS0_18inequality_wrapperIZN2at6native12_GLOBAL__N_124unique_dim_cuda_templateItEESt5tupleIJNSF_6TensorESK_SK_EERKSK_lbbbEUlllE0_EEPmJS9_EEE10hipError_tPvRmT3_T4_T5_T6_T7_T9_mT8_P12ihipStream_tbDpT10_ENKUlT_T0_E_clISt17integral_constantIbLb0EES19_IbLb1EEEEDaS15_S16_EUlS15_E_NS1_11comp_targetILNS1_3genE0ELNS1_11target_archE4294967295ELNS1_3gpuE0ELNS1_3repE0EEENS1_30default_config_static_selectorELNS0_4arch9wavefront6targetE1EEEvT1_.uses_flat_scratch, 0
	.set _ZN7rocprim17ROCPRIM_400000_NS6detail17trampoline_kernelINS0_14default_configENS1_25partition_config_selectorILNS1_17partition_subalgoE9EllbEEZZNS1_14partition_implILS5_9ELb0ES3_jPlS8_PNS0_10empty_typeENS0_5tupleIJS8_S9_EEENSB_IJS8_SA_EEENS0_18inequality_wrapperIZN2at6native12_GLOBAL__N_124unique_dim_cuda_templateItEESt5tupleIJNSF_6TensorESK_SK_EERKSK_lbbbEUlllE0_EEPmJS9_EEE10hipError_tPvRmT3_T4_T5_T6_T7_T9_mT8_P12ihipStream_tbDpT10_ENKUlT_T0_E_clISt17integral_constantIbLb0EES19_IbLb1EEEEDaS15_S16_EUlS15_E_NS1_11comp_targetILNS1_3genE0ELNS1_11target_archE4294967295ELNS1_3gpuE0ELNS1_3repE0EEENS1_30default_config_static_selectorELNS0_4arch9wavefront6targetE1EEEvT1_.has_dyn_sized_stack, 0
	.set _ZN7rocprim17ROCPRIM_400000_NS6detail17trampoline_kernelINS0_14default_configENS1_25partition_config_selectorILNS1_17partition_subalgoE9EllbEEZZNS1_14partition_implILS5_9ELb0ES3_jPlS8_PNS0_10empty_typeENS0_5tupleIJS8_S9_EEENSB_IJS8_SA_EEENS0_18inequality_wrapperIZN2at6native12_GLOBAL__N_124unique_dim_cuda_templateItEESt5tupleIJNSF_6TensorESK_SK_EERKSK_lbbbEUlllE0_EEPmJS9_EEE10hipError_tPvRmT3_T4_T5_T6_T7_T9_mT8_P12ihipStream_tbDpT10_ENKUlT_T0_E_clISt17integral_constantIbLb0EES19_IbLb1EEEEDaS15_S16_EUlS15_E_NS1_11comp_targetILNS1_3genE0ELNS1_11target_archE4294967295ELNS1_3gpuE0ELNS1_3repE0EEENS1_30default_config_static_selectorELNS0_4arch9wavefront6targetE1EEEvT1_.has_recursion, 0
	.set _ZN7rocprim17ROCPRIM_400000_NS6detail17trampoline_kernelINS0_14default_configENS1_25partition_config_selectorILNS1_17partition_subalgoE9EllbEEZZNS1_14partition_implILS5_9ELb0ES3_jPlS8_PNS0_10empty_typeENS0_5tupleIJS8_S9_EEENSB_IJS8_SA_EEENS0_18inequality_wrapperIZN2at6native12_GLOBAL__N_124unique_dim_cuda_templateItEESt5tupleIJNSF_6TensorESK_SK_EERKSK_lbbbEUlllE0_EEPmJS9_EEE10hipError_tPvRmT3_T4_T5_T6_T7_T9_mT8_P12ihipStream_tbDpT10_ENKUlT_T0_E_clISt17integral_constantIbLb0EES19_IbLb1EEEEDaS15_S16_EUlS15_E_NS1_11comp_targetILNS1_3genE0ELNS1_11target_archE4294967295ELNS1_3gpuE0ELNS1_3repE0EEENS1_30default_config_static_selectorELNS0_4arch9wavefront6targetE1EEEvT1_.has_indirect_call, 0
	.section	.AMDGPU.csdata,"",@progbits
; Kernel info:
; codeLenInByte = 9596
; TotalNumSgprs: 58
; NumVgprs: 60
; NumAgprs: 0
; TotalNumVgprs: 60
; ScratchSize: 0
; MemoryBound: 0
; FloatMode: 240
; IeeeMode: 1
; LDSByteSize: 5128 bytes/workgroup (compile time only)
; SGPRBlocks: 7
; VGPRBlocks: 7
; NumSGPRsForWavesPerEU: 58
; NumVGPRsForWavesPerEU: 60
; AccumOffset: 60
; Occupancy: 8
; WaveLimiterHint : 1
; COMPUTE_PGM_RSRC2:SCRATCH_EN: 0
; COMPUTE_PGM_RSRC2:USER_SGPR: 2
; COMPUTE_PGM_RSRC2:TRAP_HANDLER: 0
; COMPUTE_PGM_RSRC2:TGID_X_EN: 1
; COMPUTE_PGM_RSRC2:TGID_Y_EN: 0
; COMPUTE_PGM_RSRC2:TGID_Z_EN: 0
; COMPUTE_PGM_RSRC2:TIDIG_COMP_CNT: 0
; COMPUTE_PGM_RSRC3_GFX90A:ACCUM_OFFSET: 14
; COMPUTE_PGM_RSRC3_GFX90A:TG_SPLIT: 0
	.section	.text._ZN7rocprim17ROCPRIM_400000_NS6detail17trampoline_kernelINS0_14default_configENS1_25partition_config_selectorILNS1_17partition_subalgoE9EllbEEZZNS1_14partition_implILS5_9ELb0ES3_jPlS8_PNS0_10empty_typeENS0_5tupleIJS8_S9_EEENSB_IJS8_SA_EEENS0_18inequality_wrapperIZN2at6native12_GLOBAL__N_124unique_dim_cuda_templateItEESt5tupleIJNSF_6TensorESK_SK_EERKSK_lbbbEUlllE0_EEPmJS9_EEE10hipError_tPvRmT3_T4_T5_T6_T7_T9_mT8_P12ihipStream_tbDpT10_ENKUlT_T0_E_clISt17integral_constantIbLb0EES19_IbLb1EEEEDaS15_S16_EUlS15_E_NS1_11comp_targetILNS1_3genE5ELNS1_11target_archE942ELNS1_3gpuE9ELNS1_3repE0EEENS1_30default_config_static_selectorELNS0_4arch9wavefront6targetE1EEEvT1_,"axG",@progbits,_ZN7rocprim17ROCPRIM_400000_NS6detail17trampoline_kernelINS0_14default_configENS1_25partition_config_selectorILNS1_17partition_subalgoE9EllbEEZZNS1_14partition_implILS5_9ELb0ES3_jPlS8_PNS0_10empty_typeENS0_5tupleIJS8_S9_EEENSB_IJS8_SA_EEENS0_18inequality_wrapperIZN2at6native12_GLOBAL__N_124unique_dim_cuda_templateItEESt5tupleIJNSF_6TensorESK_SK_EERKSK_lbbbEUlllE0_EEPmJS9_EEE10hipError_tPvRmT3_T4_T5_T6_T7_T9_mT8_P12ihipStream_tbDpT10_ENKUlT_T0_E_clISt17integral_constantIbLb0EES19_IbLb1EEEEDaS15_S16_EUlS15_E_NS1_11comp_targetILNS1_3genE5ELNS1_11target_archE942ELNS1_3gpuE9ELNS1_3repE0EEENS1_30default_config_static_selectorELNS0_4arch9wavefront6targetE1EEEvT1_,comdat
	.globl	_ZN7rocprim17ROCPRIM_400000_NS6detail17trampoline_kernelINS0_14default_configENS1_25partition_config_selectorILNS1_17partition_subalgoE9EllbEEZZNS1_14partition_implILS5_9ELb0ES3_jPlS8_PNS0_10empty_typeENS0_5tupleIJS8_S9_EEENSB_IJS8_SA_EEENS0_18inequality_wrapperIZN2at6native12_GLOBAL__N_124unique_dim_cuda_templateItEESt5tupleIJNSF_6TensorESK_SK_EERKSK_lbbbEUlllE0_EEPmJS9_EEE10hipError_tPvRmT3_T4_T5_T6_T7_T9_mT8_P12ihipStream_tbDpT10_ENKUlT_T0_E_clISt17integral_constantIbLb0EES19_IbLb1EEEEDaS15_S16_EUlS15_E_NS1_11comp_targetILNS1_3genE5ELNS1_11target_archE942ELNS1_3gpuE9ELNS1_3repE0EEENS1_30default_config_static_selectorELNS0_4arch9wavefront6targetE1EEEvT1_ ; -- Begin function _ZN7rocprim17ROCPRIM_400000_NS6detail17trampoline_kernelINS0_14default_configENS1_25partition_config_selectorILNS1_17partition_subalgoE9EllbEEZZNS1_14partition_implILS5_9ELb0ES3_jPlS8_PNS0_10empty_typeENS0_5tupleIJS8_S9_EEENSB_IJS8_SA_EEENS0_18inequality_wrapperIZN2at6native12_GLOBAL__N_124unique_dim_cuda_templateItEESt5tupleIJNSF_6TensorESK_SK_EERKSK_lbbbEUlllE0_EEPmJS9_EEE10hipError_tPvRmT3_T4_T5_T6_T7_T9_mT8_P12ihipStream_tbDpT10_ENKUlT_T0_E_clISt17integral_constantIbLb0EES19_IbLb1EEEEDaS15_S16_EUlS15_E_NS1_11comp_targetILNS1_3genE5ELNS1_11target_archE942ELNS1_3gpuE9ELNS1_3repE0EEENS1_30default_config_static_selectorELNS0_4arch9wavefront6targetE1EEEvT1_
	.p2align	8
	.type	_ZN7rocprim17ROCPRIM_400000_NS6detail17trampoline_kernelINS0_14default_configENS1_25partition_config_selectorILNS1_17partition_subalgoE9EllbEEZZNS1_14partition_implILS5_9ELb0ES3_jPlS8_PNS0_10empty_typeENS0_5tupleIJS8_S9_EEENSB_IJS8_SA_EEENS0_18inequality_wrapperIZN2at6native12_GLOBAL__N_124unique_dim_cuda_templateItEESt5tupleIJNSF_6TensorESK_SK_EERKSK_lbbbEUlllE0_EEPmJS9_EEE10hipError_tPvRmT3_T4_T5_T6_T7_T9_mT8_P12ihipStream_tbDpT10_ENKUlT_T0_E_clISt17integral_constantIbLb0EES19_IbLb1EEEEDaS15_S16_EUlS15_E_NS1_11comp_targetILNS1_3genE5ELNS1_11target_archE942ELNS1_3gpuE9ELNS1_3repE0EEENS1_30default_config_static_selectorELNS0_4arch9wavefront6targetE1EEEvT1_,@function
_ZN7rocprim17ROCPRIM_400000_NS6detail17trampoline_kernelINS0_14default_configENS1_25partition_config_selectorILNS1_17partition_subalgoE9EllbEEZZNS1_14partition_implILS5_9ELb0ES3_jPlS8_PNS0_10empty_typeENS0_5tupleIJS8_S9_EEENSB_IJS8_SA_EEENS0_18inequality_wrapperIZN2at6native12_GLOBAL__N_124unique_dim_cuda_templateItEESt5tupleIJNSF_6TensorESK_SK_EERKSK_lbbbEUlllE0_EEPmJS9_EEE10hipError_tPvRmT3_T4_T5_T6_T7_T9_mT8_P12ihipStream_tbDpT10_ENKUlT_T0_E_clISt17integral_constantIbLb0EES19_IbLb1EEEEDaS15_S16_EUlS15_E_NS1_11comp_targetILNS1_3genE5ELNS1_11target_archE942ELNS1_3gpuE9ELNS1_3repE0EEENS1_30default_config_static_selectorELNS0_4arch9wavefront6targetE1EEEvT1_: ; @_ZN7rocprim17ROCPRIM_400000_NS6detail17trampoline_kernelINS0_14default_configENS1_25partition_config_selectorILNS1_17partition_subalgoE9EllbEEZZNS1_14partition_implILS5_9ELb0ES3_jPlS8_PNS0_10empty_typeENS0_5tupleIJS8_S9_EEENSB_IJS8_SA_EEENS0_18inequality_wrapperIZN2at6native12_GLOBAL__N_124unique_dim_cuda_templateItEESt5tupleIJNSF_6TensorESK_SK_EERKSK_lbbbEUlllE0_EEPmJS9_EEE10hipError_tPvRmT3_T4_T5_T6_T7_T9_mT8_P12ihipStream_tbDpT10_ENKUlT_T0_E_clISt17integral_constantIbLb0EES19_IbLb1EEEEDaS15_S16_EUlS15_E_NS1_11comp_targetILNS1_3genE5ELNS1_11target_archE942ELNS1_3gpuE9ELNS1_3repE0EEENS1_30default_config_static_selectorELNS0_4arch9wavefront6targetE1EEEvT1_
; %bb.0:
	.section	.rodata,"a",@progbits
	.p2align	6, 0x0
	.amdhsa_kernel _ZN7rocprim17ROCPRIM_400000_NS6detail17trampoline_kernelINS0_14default_configENS1_25partition_config_selectorILNS1_17partition_subalgoE9EllbEEZZNS1_14partition_implILS5_9ELb0ES3_jPlS8_PNS0_10empty_typeENS0_5tupleIJS8_S9_EEENSB_IJS8_SA_EEENS0_18inequality_wrapperIZN2at6native12_GLOBAL__N_124unique_dim_cuda_templateItEESt5tupleIJNSF_6TensorESK_SK_EERKSK_lbbbEUlllE0_EEPmJS9_EEE10hipError_tPvRmT3_T4_T5_T6_T7_T9_mT8_P12ihipStream_tbDpT10_ENKUlT_T0_E_clISt17integral_constantIbLb0EES19_IbLb1EEEEDaS15_S16_EUlS15_E_NS1_11comp_targetILNS1_3genE5ELNS1_11target_archE942ELNS1_3gpuE9ELNS1_3repE0EEENS1_30default_config_static_selectorELNS0_4arch9wavefront6targetE1EEEvT1_
		.amdhsa_group_segment_fixed_size 0
		.amdhsa_private_segment_fixed_size 0
		.amdhsa_kernarg_size 136
		.amdhsa_user_sgpr_count 2
		.amdhsa_user_sgpr_dispatch_ptr 0
		.amdhsa_user_sgpr_queue_ptr 0
		.amdhsa_user_sgpr_kernarg_segment_ptr 1
		.amdhsa_user_sgpr_dispatch_id 0
		.amdhsa_user_sgpr_kernarg_preload_length 0
		.amdhsa_user_sgpr_kernarg_preload_offset 0
		.amdhsa_user_sgpr_private_segment_size 0
		.amdhsa_uses_dynamic_stack 0
		.amdhsa_enable_private_segment 0
		.amdhsa_system_sgpr_workgroup_id_x 1
		.amdhsa_system_sgpr_workgroup_id_y 0
		.amdhsa_system_sgpr_workgroup_id_z 0
		.amdhsa_system_sgpr_workgroup_info 0
		.amdhsa_system_vgpr_workitem_id 0
		.amdhsa_next_free_vgpr 1
		.amdhsa_next_free_sgpr 0
		.amdhsa_accum_offset 4
		.amdhsa_reserve_vcc 0
		.amdhsa_float_round_mode_32 0
		.amdhsa_float_round_mode_16_64 0
		.amdhsa_float_denorm_mode_32 3
		.amdhsa_float_denorm_mode_16_64 3
		.amdhsa_dx10_clamp 1
		.amdhsa_ieee_mode 1
		.amdhsa_fp16_overflow 0
		.amdhsa_tg_split 0
		.amdhsa_exception_fp_ieee_invalid_op 0
		.amdhsa_exception_fp_denorm_src 0
		.amdhsa_exception_fp_ieee_div_zero 0
		.amdhsa_exception_fp_ieee_overflow 0
		.amdhsa_exception_fp_ieee_underflow 0
		.amdhsa_exception_fp_ieee_inexact 0
		.amdhsa_exception_int_div_zero 0
	.end_amdhsa_kernel
	.section	.text._ZN7rocprim17ROCPRIM_400000_NS6detail17trampoline_kernelINS0_14default_configENS1_25partition_config_selectorILNS1_17partition_subalgoE9EllbEEZZNS1_14partition_implILS5_9ELb0ES3_jPlS8_PNS0_10empty_typeENS0_5tupleIJS8_S9_EEENSB_IJS8_SA_EEENS0_18inequality_wrapperIZN2at6native12_GLOBAL__N_124unique_dim_cuda_templateItEESt5tupleIJNSF_6TensorESK_SK_EERKSK_lbbbEUlllE0_EEPmJS9_EEE10hipError_tPvRmT3_T4_T5_T6_T7_T9_mT8_P12ihipStream_tbDpT10_ENKUlT_T0_E_clISt17integral_constantIbLb0EES19_IbLb1EEEEDaS15_S16_EUlS15_E_NS1_11comp_targetILNS1_3genE5ELNS1_11target_archE942ELNS1_3gpuE9ELNS1_3repE0EEENS1_30default_config_static_selectorELNS0_4arch9wavefront6targetE1EEEvT1_,"axG",@progbits,_ZN7rocprim17ROCPRIM_400000_NS6detail17trampoline_kernelINS0_14default_configENS1_25partition_config_selectorILNS1_17partition_subalgoE9EllbEEZZNS1_14partition_implILS5_9ELb0ES3_jPlS8_PNS0_10empty_typeENS0_5tupleIJS8_S9_EEENSB_IJS8_SA_EEENS0_18inequality_wrapperIZN2at6native12_GLOBAL__N_124unique_dim_cuda_templateItEESt5tupleIJNSF_6TensorESK_SK_EERKSK_lbbbEUlllE0_EEPmJS9_EEE10hipError_tPvRmT3_T4_T5_T6_T7_T9_mT8_P12ihipStream_tbDpT10_ENKUlT_T0_E_clISt17integral_constantIbLb0EES19_IbLb1EEEEDaS15_S16_EUlS15_E_NS1_11comp_targetILNS1_3genE5ELNS1_11target_archE942ELNS1_3gpuE9ELNS1_3repE0EEENS1_30default_config_static_selectorELNS0_4arch9wavefront6targetE1EEEvT1_,comdat
.Lfunc_end1476:
	.size	_ZN7rocprim17ROCPRIM_400000_NS6detail17trampoline_kernelINS0_14default_configENS1_25partition_config_selectorILNS1_17partition_subalgoE9EllbEEZZNS1_14partition_implILS5_9ELb0ES3_jPlS8_PNS0_10empty_typeENS0_5tupleIJS8_S9_EEENSB_IJS8_SA_EEENS0_18inequality_wrapperIZN2at6native12_GLOBAL__N_124unique_dim_cuda_templateItEESt5tupleIJNSF_6TensorESK_SK_EERKSK_lbbbEUlllE0_EEPmJS9_EEE10hipError_tPvRmT3_T4_T5_T6_T7_T9_mT8_P12ihipStream_tbDpT10_ENKUlT_T0_E_clISt17integral_constantIbLb0EES19_IbLb1EEEEDaS15_S16_EUlS15_E_NS1_11comp_targetILNS1_3genE5ELNS1_11target_archE942ELNS1_3gpuE9ELNS1_3repE0EEENS1_30default_config_static_selectorELNS0_4arch9wavefront6targetE1EEEvT1_, .Lfunc_end1476-_ZN7rocprim17ROCPRIM_400000_NS6detail17trampoline_kernelINS0_14default_configENS1_25partition_config_selectorILNS1_17partition_subalgoE9EllbEEZZNS1_14partition_implILS5_9ELb0ES3_jPlS8_PNS0_10empty_typeENS0_5tupleIJS8_S9_EEENSB_IJS8_SA_EEENS0_18inequality_wrapperIZN2at6native12_GLOBAL__N_124unique_dim_cuda_templateItEESt5tupleIJNSF_6TensorESK_SK_EERKSK_lbbbEUlllE0_EEPmJS9_EEE10hipError_tPvRmT3_T4_T5_T6_T7_T9_mT8_P12ihipStream_tbDpT10_ENKUlT_T0_E_clISt17integral_constantIbLb0EES19_IbLb1EEEEDaS15_S16_EUlS15_E_NS1_11comp_targetILNS1_3genE5ELNS1_11target_archE942ELNS1_3gpuE9ELNS1_3repE0EEENS1_30default_config_static_selectorELNS0_4arch9wavefront6targetE1EEEvT1_
                                        ; -- End function
	.set _ZN7rocprim17ROCPRIM_400000_NS6detail17trampoline_kernelINS0_14default_configENS1_25partition_config_selectorILNS1_17partition_subalgoE9EllbEEZZNS1_14partition_implILS5_9ELb0ES3_jPlS8_PNS0_10empty_typeENS0_5tupleIJS8_S9_EEENSB_IJS8_SA_EEENS0_18inequality_wrapperIZN2at6native12_GLOBAL__N_124unique_dim_cuda_templateItEESt5tupleIJNSF_6TensorESK_SK_EERKSK_lbbbEUlllE0_EEPmJS9_EEE10hipError_tPvRmT3_T4_T5_T6_T7_T9_mT8_P12ihipStream_tbDpT10_ENKUlT_T0_E_clISt17integral_constantIbLb0EES19_IbLb1EEEEDaS15_S16_EUlS15_E_NS1_11comp_targetILNS1_3genE5ELNS1_11target_archE942ELNS1_3gpuE9ELNS1_3repE0EEENS1_30default_config_static_selectorELNS0_4arch9wavefront6targetE1EEEvT1_.num_vgpr, 0
	.set _ZN7rocprim17ROCPRIM_400000_NS6detail17trampoline_kernelINS0_14default_configENS1_25partition_config_selectorILNS1_17partition_subalgoE9EllbEEZZNS1_14partition_implILS5_9ELb0ES3_jPlS8_PNS0_10empty_typeENS0_5tupleIJS8_S9_EEENSB_IJS8_SA_EEENS0_18inequality_wrapperIZN2at6native12_GLOBAL__N_124unique_dim_cuda_templateItEESt5tupleIJNSF_6TensorESK_SK_EERKSK_lbbbEUlllE0_EEPmJS9_EEE10hipError_tPvRmT3_T4_T5_T6_T7_T9_mT8_P12ihipStream_tbDpT10_ENKUlT_T0_E_clISt17integral_constantIbLb0EES19_IbLb1EEEEDaS15_S16_EUlS15_E_NS1_11comp_targetILNS1_3genE5ELNS1_11target_archE942ELNS1_3gpuE9ELNS1_3repE0EEENS1_30default_config_static_selectorELNS0_4arch9wavefront6targetE1EEEvT1_.num_agpr, 0
	.set _ZN7rocprim17ROCPRIM_400000_NS6detail17trampoline_kernelINS0_14default_configENS1_25partition_config_selectorILNS1_17partition_subalgoE9EllbEEZZNS1_14partition_implILS5_9ELb0ES3_jPlS8_PNS0_10empty_typeENS0_5tupleIJS8_S9_EEENSB_IJS8_SA_EEENS0_18inequality_wrapperIZN2at6native12_GLOBAL__N_124unique_dim_cuda_templateItEESt5tupleIJNSF_6TensorESK_SK_EERKSK_lbbbEUlllE0_EEPmJS9_EEE10hipError_tPvRmT3_T4_T5_T6_T7_T9_mT8_P12ihipStream_tbDpT10_ENKUlT_T0_E_clISt17integral_constantIbLb0EES19_IbLb1EEEEDaS15_S16_EUlS15_E_NS1_11comp_targetILNS1_3genE5ELNS1_11target_archE942ELNS1_3gpuE9ELNS1_3repE0EEENS1_30default_config_static_selectorELNS0_4arch9wavefront6targetE1EEEvT1_.numbered_sgpr, 0
	.set _ZN7rocprim17ROCPRIM_400000_NS6detail17trampoline_kernelINS0_14default_configENS1_25partition_config_selectorILNS1_17partition_subalgoE9EllbEEZZNS1_14partition_implILS5_9ELb0ES3_jPlS8_PNS0_10empty_typeENS0_5tupleIJS8_S9_EEENSB_IJS8_SA_EEENS0_18inequality_wrapperIZN2at6native12_GLOBAL__N_124unique_dim_cuda_templateItEESt5tupleIJNSF_6TensorESK_SK_EERKSK_lbbbEUlllE0_EEPmJS9_EEE10hipError_tPvRmT3_T4_T5_T6_T7_T9_mT8_P12ihipStream_tbDpT10_ENKUlT_T0_E_clISt17integral_constantIbLb0EES19_IbLb1EEEEDaS15_S16_EUlS15_E_NS1_11comp_targetILNS1_3genE5ELNS1_11target_archE942ELNS1_3gpuE9ELNS1_3repE0EEENS1_30default_config_static_selectorELNS0_4arch9wavefront6targetE1EEEvT1_.num_named_barrier, 0
	.set _ZN7rocprim17ROCPRIM_400000_NS6detail17trampoline_kernelINS0_14default_configENS1_25partition_config_selectorILNS1_17partition_subalgoE9EllbEEZZNS1_14partition_implILS5_9ELb0ES3_jPlS8_PNS0_10empty_typeENS0_5tupleIJS8_S9_EEENSB_IJS8_SA_EEENS0_18inequality_wrapperIZN2at6native12_GLOBAL__N_124unique_dim_cuda_templateItEESt5tupleIJNSF_6TensorESK_SK_EERKSK_lbbbEUlllE0_EEPmJS9_EEE10hipError_tPvRmT3_T4_T5_T6_T7_T9_mT8_P12ihipStream_tbDpT10_ENKUlT_T0_E_clISt17integral_constantIbLb0EES19_IbLb1EEEEDaS15_S16_EUlS15_E_NS1_11comp_targetILNS1_3genE5ELNS1_11target_archE942ELNS1_3gpuE9ELNS1_3repE0EEENS1_30default_config_static_selectorELNS0_4arch9wavefront6targetE1EEEvT1_.private_seg_size, 0
	.set _ZN7rocprim17ROCPRIM_400000_NS6detail17trampoline_kernelINS0_14default_configENS1_25partition_config_selectorILNS1_17partition_subalgoE9EllbEEZZNS1_14partition_implILS5_9ELb0ES3_jPlS8_PNS0_10empty_typeENS0_5tupleIJS8_S9_EEENSB_IJS8_SA_EEENS0_18inequality_wrapperIZN2at6native12_GLOBAL__N_124unique_dim_cuda_templateItEESt5tupleIJNSF_6TensorESK_SK_EERKSK_lbbbEUlllE0_EEPmJS9_EEE10hipError_tPvRmT3_T4_T5_T6_T7_T9_mT8_P12ihipStream_tbDpT10_ENKUlT_T0_E_clISt17integral_constantIbLb0EES19_IbLb1EEEEDaS15_S16_EUlS15_E_NS1_11comp_targetILNS1_3genE5ELNS1_11target_archE942ELNS1_3gpuE9ELNS1_3repE0EEENS1_30default_config_static_selectorELNS0_4arch9wavefront6targetE1EEEvT1_.uses_vcc, 0
	.set _ZN7rocprim17ROCPRIM_400000_NS6detail17trampoline_kernelINS0_14default_configENS1_25partition_config_selectorILNS1_17partition_subalgoE9EllbEEZZNS1_14partition_implILS5_9ELb0ES3_jPlS8_PNS0_10empty_typeENS0_5tupleIJS8_S9_EEENSB_IJS8_SA_EEENS0_18inequality_wrapperIZN2at6native12_GLOBAL__N_124unique_dim_cuda_templateItEESt5tupleIJNSF_6TensorESK_SK_EERKSK_lbbbEUlllE0_EEPmJS9_EEE10hipError_tPvRmT3_T4_T5_T6_T7_T9_mT8_P12ihipStream_tbDpT10_ENKUlT_T0_E_clISt17integral_constantIbLb0EES19_IbLb1EEEEDaS15_S16_EUlS15_E_NS1_11comp_targetILNS1_3genE5ELNS1_11target_archE942ELNS1_3gpuE9ELNS1_3repE0EEENS1_30default_config_static_selectorELNS0_4arch9wavefront6targetE1EEEvT1_.uses_flat_scratch, 0
	.set _ZN7rocprim17ROCPRIM_400000_NS6detail17trampoline_kernelINS0_14default_configENS1_25partition_config_selectorILNS1_17partition_subalgoE9EllbEEZZNS1_14partition_implILS5_9ELb0ES3_jPlS8_PNS0_10empty_typeENS0_5tupleIJS8_S9_EEENSB_IJS8_SA_EEENS0_18inequality_wrapperIZN2at6native12_GLOBAL__N_124unique_dim_cuda_templateItEESt5tupleIJNSF_6TensorESK_SK_EERKSK_lbbbEUlllE0_EEPmJS9_EEE10hipError_tPvRmT3_T4_T5_T6_T7_T9_mT8_P12ihipStream_tbDpT10_ENKUlT_T0_E_clISt17integral_constantIbLb0EES19_IbLb1EEEEDaS15_S16_EUlS15_E_NS1_11comp_targetILNS1_3genE5ELNS1_11target_archE942ELNS1_3gpuE9ELNS1_3repE0EEENS1_30default_config_static_selectorELNS0_4arch9wavefront6targetE1EEEvT1_.has_dyn_sized_stack, 0
	.set _ZN7rocprim17ROCPRIM_400000_NS6detail17trampoline_kernelINS0_14default_configENS1_25partition_config_selectorILNS1_17partition_subalgoE9EllbEEZZNS1_14partition_implILS5_9ELb0ES3_jPlS8_PNS0_10empty_typeENS0_5tupleIJS8_S9_EEENSB_IJS8_SA_EEENS0_18inequality_wrapperIZN2at6native12_GLOBAL__N_124unique_dim_cuda_templateItEESt5tupleIJNSF_6TensorESK_SK_EERKSK_lbbbEUlllE0_EEPmJS9_EEE10hipError_tPvRmT3_T4_T5_T6_T7_T9_mT8_P12ihipStream_tbDpT10_ENKUlT_T0_E_clISt17integral_constantIbLb0EES19_IbLb1EEEEDaS15_S16_EUlS15_E_NS1_11comp_targetILNS1_3genE5ELNS1_11target_archE942ELNS1_3gpuE9ELNS1_3repE0EEENS1_30default_config_static_selectorELNS0_4arch9wavefront6targetE1EEEvT1_.has_recursion, 0
	.set _ZN7rocprim17ROCPRIM_400000_NS6detail17trampoline_kernelINS0_14default_configENS1_25partition_config_selectorILNS1_17partition_subalgoE9EllbEEZZNS1_14partition_implILS5_9ELb0ES3_jPlS8_PNS0_10empty_typeENS0_5tupleIJS8_S9_EEENSB_IJS8_SA_EEENS0_18inequality_wrapperIZN2at6native12_GLOBAL__N_124unique_dim_cuda_templateItEESt5tupleIJNSF_6TensorESK_SK_EERKSK_lbbbEUlllE0_EEPmJS9_EEE10hipError_tPvRmT3_T4_T5_T6_T7_T9_mT8_P12ihipStream_tbDpT10_ENKUlT_T0_E_clISt17integral_constantIbLb0EES19_IbLb1EEEEDaS15_S16_EUlS15_E_NS1_11comp_targetILNS1_3genE5ELNS1_11target_archE942ELNS1_3gpuE9ELNS1_3repE0EEENS1_30default_config_static_selectorELNS0_4arch9wavefront6targetE1EEEvT1_.has_indirect_call, 0
	.section	.AMDGPU.csdata,"",@progbits
; Kernel info:
; codeLenInByte = 0
; TotalNumSgprs: 6
; NumVgprs: 0
; NumAgprs: 0
; TotalNumVgprs: 0
; ScratchSize: 0
; MemoryBound: 0
; FloatMode: 240
; IeeeMode: 1
; LDSByteSize: 0 bytes/workgroup (compile time only)
; SGPRBlocks: 0
; VGPRBlocks: 0
; NumSGPRsForWavesPerEU: 6
; NumVGPRsForWavesPerEU: 1
; AccumOffset: 4
; Occupancy: 8
; WaveLimiterHint : 0
; COMPUTE_PGM_RSRC2:SCRATCH_EN: 0
; COMPUTE_PGM_RSRC2:USER_SGPR: 2
; COMPUTE_PGM_RSRC2:TRAP_HANDLER: 0
; COMPUTE_PGM_RSRC2:TGID_X_EN: 1
; COMPUTE_PGM_RSRC2:TGID_Y_EN: 0
; COMPUTE_PGM_RSRC2:TGID_Z_EN: 0
; COMPUTE_PGM_RSRC2:TIDIG_COMP_CNT: 0
; COMPUTE_PGM_RSRC3_GFX90A:ACCUM_OFFSET: 0
; COMPUTE_PGM_RSRC3_GFX90A:TG_SPLIT: 0
	.section	.text._ZN7rocprim17ROCPRIM_400000_NS6detail17trampoline_kernelINS0_14default_configENS1_25partition_config_selectorILNS1_17partition_subalgoE9EllbEEZZNS1_14partition_implILS5_9ELb0ES3_jPlS8_PNS0_10empty_typeENS0_5tupleIJS8_S9_EEENSB_IJS8_SA_EEENS0_18inequality_wrapperIZN2at6native12_GLOBAL__N_124unique_dim_cuda_templateItEESt5tupleIJNSF_6TensorESK_SK_EERKSK_lbbbEUlllE0_EEPmJS9_EEE10hipError_tPvRmT3_T4_T5_T6_T7_T9_mT8_P12ihipStream_tbDpT10_ENKUlT_T0_E_clISt17integral_constantIbLb0EES19_IbLb1EEEEDaS15_S16_EUlS15_E_NS1_11comp_targetILNS1_3genE4ELNS1_11target_archE910ELNS1_3gpuE8ELNS1_3repE0EEENS1_30default_config_static_selectorELNS0_4arch9wavefront6targetE1EEEvT1_,"axG",@progbits,_ZN7rocprim17ROCPRIM_400000_NS6detail17trampoline_kernelINS0_14default_configENS1_25partition_config_selectorILNS1_17partition_subalgoE9EllbEEZZNS1_14partition_implILS5_9ELb0ES3_jPlS8_PNS0_10empty_typeENS0_5tupleIJS8_S9_EEENSB_IJS8_SA_EEENS0_18inequality_wrapperIZN2at6native12_GLOBAL__N_124unique_dim_cuda_templateItEESt5tupleIJNSF_6TensorESK_SK_EERKSK_lbbbEUlllE0_EEPmJS9_EEE10hipError_tPvRmT3_T4_T5_T6_T7_T9_mT8_P12ihipStream_tbDpT10_ENKUlT_T0_E_clISt17integral_constantIbLb0EES19_IbLb1EEEEDaS15_S16_EUlS15_E_NS1_11comp_targetILNS1_3genE4ELNS1_11target_archE910ELNS1_3gpuE8ELNS1_3repE0EEENS1_30default_config_static_selectorELNS0_4arch9wavefront6targetE1EEEvT1_,comdat
	.globl	_ZN7rocprim17ROCPRIM_400000_NS6detail17trampoline_kernelINS0_14default_configENS1_25partition_config_selectorILNS1_17partition_subalgoE9EllbEEZZNS1_14partition_implILS5_9ELb0ES3_jPlS8_PNS0_10empty_typeENS0_5tupleIJS8_S9_EEENSB_IJS8_SA_EEENS0_18inequality_wrapperIZN2at6native12_GLOBAL__N_124unique_dim_cuda_templateItEESt5tupleIJNSF_6TensorESK_SK_EERKSK_lbbbEUlllE0_EEPmJS9_EEE10hipError_tPvRmT3_T4_T5_T6_T7_T9_mT8_P12ihipStream_tbDpT10_ENKUlT_T0_E_clISt17integral_constantIbLb0EES19_IbLb1EEEEDaS15_S16_EUlS15_E_NS1_11comp_targetILNS1_3genE4ELNS1_11target_archE910ELNS1_3gpuE8ELNS1_3repE0EEENS1_30default_config_static_selectorELNS0_4arch9wavefront6targetE1EEEvT1_ ; -- Begin function _ZN7rocprim17ROCPRIM_400000_NS6detail17trampoline_kernelINS0_14default_configENS1_25partition_config_selectorILNS1_17partition_subalgoE9EllbEEZZNS1_14partition_implILS5_9ELb0ES3_jPlS8_PNS0_10empty_typeENS0_5tupleIJS8_S9_EEENSB_IJS8_SA_EEENS0_18inequality_wrapperIZN2at6native12_GLOBAL__N_124unique_dim_cuda_templateItEESt5tupleIJNSF_6TensorESK_SK_EERKSK_lbbbEUlllE0_EEPmJS9_EEE10hipError_tPvRmT3_T4_T5_T6_T7_T9_mT8_P12ihipStream_tbDpT10_ENKUlT_T0_E_clISt17integral_constantIbLb0EES19_IbLb1EEEEDaS15_S16_EUlS15_E_NS1_11comp_targetILNS1_3genE4ELNS1_11target_archE910ELNS1_3gpuE8ELNS1_3repE0EEENS1_30default_config_static_selectorELNS0_4arch9wavefront6targetE1EEEvT1_
	.p2align	8
	.type	_ZN7rocprim17ROCPRIM_400000_NS6detail17trampoline_kernelINS0_14default_configENS1_25partition_config_selectorILNS1_17partition_subalgoE9EllbEEZZNS1_14partition_implILS5_9ELb0ES3_jPlS8_PNS0_10empty_typeENS0_5tupleIJS8_S9_EEENSB_IJS8_SA_EEENS0_18inequality_wrapperIZN2at6native12_GLOBAL__N_124unique_dim_cuda_templateItEESt5tupleIJNSF_6TensorESK_SK_EERKSK_lbbbEUlllE0_EEPmJS9_EEE10hipError_tPvRmT3_T4_T5_T6_T7_T9_mT8_P12ihipStream_tbDpT10_ENKUlT_T0_E_clISt17integral_constantIbLb0EES19_IbLb1EEEEDaS15_S16_EUlS15_E_NS1_11comp_targetILNS1_3genE4ELNS1_11target_archE910ELNS1_3gpuE8ELNS1_3repE0EEENS1_30default_config_static_selectorELNS0_4arch9wavefront6targetE1EEEvT1_,@function
_ZN7rocprim17ROCPRIM_400000_NS6detail17trampoline_kernelINS0_14default_configENS1_25partition_config_selectorILNS1_17partition_subalgoE9EllbEEZZNS1_14partition_implILS5_9ELb0ES3_jPlS8_PNS0_10empty_typeENS0_5tupleIJS8_S9_EEENSB_IJS8_SA_EEENS0_18inequality_wrapperIZN2at6native12_GLOBAL__N_124unique_dim_cuda_templateItEESt5tupleIJNSF_6TensorESK_SK_EERKSK_lbbbEUlllE0_EEPmJS9_EEE10hipError_tPvRmT3_T4_T5_T6_T7_T9_mT8_P12ihipStream_tbDpT10_ENKUlT_T0_E_clISt17integral_constantIbLb0EES19_IbLb1EEEEDaS15_S16_EUlS15_E_NS1_11comp_targetILNS1_3genE4ELNS1_11target_archE910ELNS1_3gpuE8ELNS1_3repE0EEENS1_30default_config_static_selectorELNS0_4arch9wavefront6targetE1EEEvT1_: ; @_ZN7rocprim17ROCPRIM_400000_NS6detail17trampoline_kernelINS0_14default_configENS1_25partition_config_selectorILNS1_17partition_subalgoE9EllbEEZZNS1_14partition_implILS5_9ELb0ES3_jPlS8_PNS0_10empty_typeENS0_5tupleIJS8_S9_EEENSB_IJS8_SA_EEENS0_18inequality_wrapperIZN2at6native12_GLOBAL__N_124unique_dim_cuda_templateItEESt5tupleIJNSF_6TensorESK_SK_EERKSK_lbbbEUlllE0_EEPmJS9_EEE10hipError_tPvRmT3_T4_T5_T6_T7_T9_mT8_P12ihipStream_tbDpT10_ENKUlT_T0_E_clISt17integral_constantIbLb0EES19_IbLb1EEEEDaS15_S16_EUlS15_E_NS1_11comp_targetILNS1_3genE4ELNS1_11target_archE910ELNS1_3gpuE8ELNS1_3repE0EEENS1_30default_config_static_selectorELNS0_4arch9wavefront6targetE1EEEvT1_
; %bb.0:
	.section	.rodata,"a",@progbits
	.p2align	6, 0x0
	.amdhsa_kernel _ZN7rocprim17ROCPRIM_400000_NS6detail17trampoline_kernelINS0_14default_configENS1_25partition_config_selectorILNS1_17partition_subalgoE9EllbEEZZNS1_14partition_implILS5_9ELb0ES3_jPlS8_PNS0_10empty_typeENS0_5tupleIJS8_S9_EEENSB_IJS8_SA_EEENS0_18inequality_wrapperIZN2at6native12_GLOBAL__N_124unique_dim_cuda_templateItEESt5tupleIJNSF_6TensorESK_SK_EERKSK_lbbbEUlllE0_EEPmJS9_EEE10hipError_tPvRmT3_T4_T5_T6_T7_T9_mT8_P12ihipStream_tbDpT10_ENKUlT_T0_E_clISt17integral_constantIbLb0EES19_IbLb1EEEEDaS15_S16_EUlS15_E_NS1_11comp_targetILNS1_3genE4ELNS1_11target_archE910ELNS1_3gpuE8ELNS1_3repE0EEENS1_30default_config_static_selectorELNS0_4arch9wavefront6targetE1EEEvT1_
		.amdhsa_group_segment_fixed_size 0
		.amdhsa_private_segment_fixed_size 0
		.amdhsa_kernarg_size 136
		.amdhsa_user_sgpr_count 2
		.amdhsa_user_sgpr_dispatch_ptr 0
		.amdhsa_user_sgpr_queue_ptr 0
		.amdhsa_user_sgpr_kernarg_segment_ptr 1
		.amdhsa_user_sgpr_dispatch_id 0
		.amdhsa_user_sgpr_kernarg_preload_length 0
		.amdhsa_user_sgpr_kernarg_preload_offset 0
		.amdhsa_user_sgpr_private_segment_size 0
		.amdhsa_uses_dynamic_stack 0
		.amdhsa_enable_private_segment 0
		.amdhsa_system_sgpr_workgroup_id_x 1
		.amdhsa_system_sgpr_workgroup_id_y 0
		.amdhsa_system_sgpr_workgroup_id_z 0
		.amdhsa_system_sgpr_workgroup_info 0
		.amdhsa_system_vgpr_workitem_id 0
		.amdhsa_next_free_vgpr 1
		.amdhsa_next_free_sgpr 0
		.amdhsa_accum_offset 4
		.amdhsa_reserve_vcc 0
		.amdhsa_float_round_mode_32 0
		.amdhsa_float_round_mode_16_64 0
		.amdhsa_float_denorm_mode_32 3
		.amdhsa_float_denorm_mode_16_64 3
		.amdhsa_dx10_clamp 1
		.amdhsa_ieee_mode 1
		.amdhsa_fp16_overflow 0
		.amdhsa_tg_split 0
		.amdhsa_exception_fp_ieee_invalid_op 0
		.amdhsa_exception_fp_denorm_src 0
		.amdhsa_exception_fp_ieee_div_zero 0
		.amdhsa_exception_fp_ieee_overflow 0
		.amdhsa_exception_fp_ieee_underflow 0
		.amdhsa_exception_fp_ieee_inexact 0
		.amdhsa_exception_int_div_zero 0
	.end_amdhsa_kernel
	.section	.text._ZN7rocprim17ROCPRIM_400000_NS6detail17trampoline_kernelINS0_14default_configENS1_25partition_config_selectorILNS1_17partition_subalgoE9EllbEEZZNS1_14partition_implILS5_9ELb0ES3_jPlS8_PNS0_10empty_typeENS0_5tupleIJS8_S9_EEENSB_IJS8_SA_EEENS0_18inequality_wrapperIZN2at6native12_GLOBAL__N_124unique_dim_cuda_templateItEESt5tupleIJNSF_6TensorESK_SK_EERKSK_lbbbEUlllE0_EEPmJS9_EEE10hipError_tPvRmT3_T4_T5_T6_T7_T9_mT8_P12ihipStream_tbDpT10_ENKUlT_T0_E_clISt17integral_constantIbLb0EES19_IbLb1EEEEDaS15_S16_EUlS15_E_NS1_11comp_targetILNS1_3genE4ELNS1_11target_archE910ELNS1_3gpuE8ELNS1_3repE0EEENS1_30default_config_static_selectorELNS0_4arch9wavefront6targetE1EEEvT1_,"axG",@progbits,_ZN7rocprim17ROCPRIM_400000_NS6detail17trampoline_kernelINS0_14default_configENS1_25partition_config_selectorILNS1_17partition_subalgoE9EllbEEZZNS1_14partition_implILS5_9ELb0ES3_jPlS8_PNS0_10empty_typeENS0_5tupleIJS8_S9_EEENSB_IJS8_SA_EEENS0_18inequality_wrapperIZN2at6native12_GLOBAL__N_124unique_dim_cuda_templateItEESt5tupleIJNSF_6TensorESK_SK_EERKSK_lbbbEUlllE0_EEPmJS9_EEE10hipError_tPvRmT3_T4_T5_T6_T7_T9_mT8_P12ihipStream_tbDpT10_ENKUlT_T0_E_clISt17integral_constantIbLb0EES19_IbLb1EEEEDaS15_S16_EUlS15_E_NS1_11comp_targetILNS1_3genE4ELNS1_11target_archE910ELNS1_3gpuE8ELNS1_3repE0EEENS1_30default_config_static_selectorELNS0_4arch9wavefront6targetE1EEEvT1_,comdat
.Lfunc_end1477:
	.size	_ZN7rocprim17ROCPRIM_400000_NS6detail17trampoline_kernelINS0_14default_configENS1_25partition_config_selectorILNS1_17partition_subalgoE9EllbEEZZNS1_14partition_implILS5_9ELb0ES3_jPlS8_PNS0_10empty_typeENS0_5tupleIJS8_S9_EEENSB_IJS8_SA_EEENS0_18inequality_wrapperIZN2at6native12_GLOBAL__N_124unique_dim_cuda_templateItEESt5tupleIJNSF_6TensorESK_SK_EERKSK_lbbbEUlllE0_EEPmJS9_EEE10hipError_tPvRmT3_T4_T5_T6_T7_T9_mT8_P12ihipStream_tbDpT10_ENKUlT_T0_E_clISt17integral_constantIbLb0EES19_IbLb1EEEEDaS15_S16_EUlS15_E_NS1_11comp_targetILNS1_3genE4ELNS1_11target_archE910ELNS1_3gpuE8ELNS1_3repE0EEENS1_30default_config_static_selectorELNS0_4arch9wavefront6targetE1EEEvT1_, .Lfunc_end1477-_ZN7rocprim17ROCPRIM_400000_NS6detail17trampoline_kernelINS0_14default_configENS1_25partition_config_selectorILNS1_17partition_subalgoE9EllbEEZZNS1_14partition_implILS5_9ELb0ES3_jPlS8_PNS0_10empty_typeENS0_5tupleIJS8_S9_EEENSB_IJS8_SA_EEENS0_18inequality_wrapperIZN2at6native12_GLOBAL__N_124unique_dim_cuda_templateItEESt5tupleIJNSF_6TensorESK_SK_EERKSK_lbbbEUlllE0_EEPmJS9_EEE10hipError_tPvRmT3_T4_T5_T6_T7_T9_mT8_P12ihipStream_tbDpT10_ENKUlT_T0_E_clISt17integral_constantIbLb0EES19_IbLb1EEEEDaS15_S16_EUlS15_E_NS1_11comp_targetILNS1_3genE4ELNS1_11target_archE910ELNS1_3gpuE8ELNS1_3repE0EEENS1_30default_config_static_selectorELNS0_4arch9wavefront6targetE1EEEvT1_
                                        ; -- End function
	.set _ZN7rocprim17ROCPRIM_400000_NS6detail17trampoline_kernelINS0_14default_configENS1_25partition_config_selectorILNS1_17partition_subalgoE9EllbEEZZNS1_14partition_implILS5_9ELb0ES3_jPlS8_PNS0_10empty_typeENS0_5tupleIJS8_S9_EEENSB_IJS8_SA_EEENS0_18inequality_wrapperIZN2at6native12_GLOBAL__N_124unique_dim_cuda_templateItEESt5tupleIJNSF_6TensorESK_SK_EERKSK_lbbbEUlllE0_EEPmJS9_EEE10hipError_tPvRmT3_T4_T5_T6_T7_T9_mT8_P12ihipStream_tbDpT10_ENKUlT_T0_E_clISt17integral_constantIbLb0EES19_IbLb1EEEEDaS15_S16_EUlS15_E_NS1_11comp_targetILNS1_3genE4ELNS1_11target_archE910ELNS1_3gpuE8ELNS1_3repE0EEENS1_30default_config_static_selectorELNS0_4arch9wavefront6targetE1EEEvT1_.num_vgpr, 0
	.set _ZN7rocprim17ROCPRIM_400000_NS6detail17trampoline_kernelINS0_14default_configENS1_25partition_config_selectorILNS1_17partition_subalgoE9EllbEEZZNS1_14partition_implILS5_9ELb0ES3_jPlS8_PNS0_10empty_typeENS0_5tupleIJS8_S9_EEENSB_IJS8_SA_EEENS0_18inequality_wrapperIZN2at6native12_GLOBAL__N_124unique_dim_cuda_templateItEESt5tupleIJNSF_6TensorESK_SK_EERKSK_lbbbEUlllE0_EEPmJS9_EEE10hipError_tPvRmT3_T4_T5_T6_T7_T9_mT8_P12ihipStream_tbDpT10_ENKUlT_T0_E_clISt17integral_constantIbLb0EES19_IbLb1EEEEDaS15_S16_EUlS15_E_NS1_11comp_targetILNS1_3genE4ELNS1_11target_archE910ELNS1_3gpuE8ELNS1_3repE0EEENS1_30default_config_static_selectorELNS0_4arch9wavefront6targetE1EEEvT1_.num_agpr, 0
	.set _ZN7rocprim17ROCPRIM_400000_NS6detail17trampoline_kernelINS0_14default_configENS1_25partition_config_selectorILNS1_17partition_subalgoE9EllbEEZZNS1_14partition_implILS5_9ELb0ES3_jPlS8_PNS0_10empty_typeENS0_5tupleIJS8_S9_EEENSB_IJS8_SA_EEENS0_18inequality_wrapperIZN2at6native12_GLOBAL__N_124unique_dim_cuda_templateItEESt5tupleIJNSF_6TensorESK_SK_EERKSK_lbbbEUlllE0_EEPmJS9_EEE10hipError_tPvRmT3_T4_T5_T6_T7_T9_mT8_P12ihipStream_tbDpT10_ENKUlT_T0_E_clISt17integral_constantIbLb0EES19_IbLb1EEEEDaS15_S16_EUlS15_E_NS1_11comp_targetILNS1_3genE4ELNS1_11target_archE910ELNS1_3gpuE8ELNS1_3repE0EEENS1_30default_config_static_selectorELNS0_4arch9wavefront6targetE1EEEvT1_.numbered_sgpr, 0
	.set _ZN7rocprim17ROCPRIM_400000_NS6detail17trampoline_kernelINS0_14default_configENS1_25partition_config_selectorILNS1_17partition_subalgoE9EllbEEZZNS1_14partition_implILS5_9ELb0ES3_jPlS8_PNS0_10empty_typeENS0_5tupleIJS8_S9_EEENSB_IJS8_SA_EEENS0_18inequality_wrapperIZN2at6native12_GLOBAL__N_124unique_dim_cuda_templateItEESt5tupleIJNSF_6TensorESK_SK_EERKSK_lbbbEUlllE0_EEPmJS9_EEE10hipError_tPvRmT3_T4_T5_T6_T7_T9_mT8_P12ihipStream_tbDpT10_ENKUlT_T0_E_clISt17integral_constantIbLb0EES19_IbLb1EEEEDaS15_S16_EUlS15_E_NS1_11comp_targetILNS1_3genE4ELNS1_11target_archE910ELNS1_3gpuE8ELNS1_3repE0EEENS1_30default_config_static_selectorELNS0_4arch9wavefront6targetE1EEEvT1_.num_named_barrier, 0
	.set _ZN7rocprim17ROCPRIM_400000_NS6detail17trampoline_kernelINS0_14default_configENS1_25partition_config_selectorILNS1_17partition_subalgoE9EllbEEZZNS1_14partition_implILS5_9ELb0ES3_jPlS8_PNS0_10empty_typeENS0_5tupleIJS8_S9_EEENSB_IJS8_SA_EEENS0_18inequality_wrapperIZN2at6native12_GLOBAL__N_124unique_dim_cuda_templateItEESt5tupleIJNSF_6TensorESK_SK_EERKSK_lbbbEUlllE0_EEPmJS9_EEE10hipError_tPvRmT3_T4_T5_T6_T7_T9_mT8_P12ihipStream_tbDpT10_ENKUlT_T0_E_clISt17integral_constantIbLb0EES19_IbLb1EEEEDaS15_S16_EUlS15_E_NS1_11comp_targetILNS1_3genE4ELNS1_11target_archE910ELNS1_3gpuE8ELNS1_3repE0EEENS1_30default_config_static_selectorELNS0_4arch9wavefront6targetE1EEEvT1_.private_seg_size, 0
	.set _ZN7rocprim17ROCPRIM_400000_NS6detail17trampoline_kernelINS0_14default_configENS1_25partition_config_selectorILNS1_17partition_subalgoE9EllbEEZZNS1_14partition_implILS5_9ELb0ES3_jPlS8_PNS0_10empty_typeENS0_5tupleIJS8_S9_EEENSB_IJS8_SA_EEENS0_18inequality_wrapperIZN2at6native12_GLOBAL__N_124unique_dim_cuda_templateItEESt5tupleIJNSF_6TensorESK_SK_EERKSK_lbbbEUlllE0_EEPmJS9_EEE10hipError_tPvRmT3_T4_T5_T6_T7_T9_mT8_P12ihipStream_tbDpT10_ENKUlT_T0_E_clISt17integral_constantIbLb0EES19_IbLb1EEEEDaS15_S16_EUlS15_E_NS1_11comp_targetILNS1_3genE4ELNS1_11target_archE910ELNS1_3gpuE8ELNS1_3repE0EEENS1_30default_config_static_selectorELNS0_4arch9wavefront6targetE1EEEvT1_.uses_vcc, 0
	.set _ZN7rocprim17ROCPRIM_400000_NS6detail17trampoline_kernelINS0_14default_configENS1_25partition_config_selectorILNS1_17partition_subalgoE9EllbEEZZNS1_14partition_implILS5_9ELb0ES3_jPlS8_PNS0_10empty_typeENS0_5tupleIJS8_S9_EEENSB_IJS8_SA_EEENS0_18inequality_wrapperIZN2at6native12_GLOBAL__N_124unique_dim_cuda_templateItEESt5tupleIJNSF_6TensorESK_SK_EERKSK_lbbbEUlllE0_EEPmJS9_EEE10hipError_tPvRmT3_T4_T5_T6_T7_T9_mT8_P12ihipStream_tbDpT10_ENKUlT_T0_E_clISt17integral_constantIbLb0EES19_IbLb1EEEEDaS15_S16_EUlS15_E_NS1_11comp_targetILNS1_3genE4ELNS1_11target_archE910ELNS1_3gpuE8ELNS1_3repE0EEENS1_30default_config_static_selectorELNS0_4arch9wavefront6targetE1EEEvT1_.uses_flat_scratch, 0
	.set _ZN7rocprim17ROCPRIM_400000_NS6detail17trampoline_kernelINS0_14default_configENS1_25partition_config_selectorILNS1_17partition_subalgoE9EllbEEZZNS1_14partition_implILS5_9ELb0ES3_jPlS8_PNS0_10empty_typeENS0_5tupleIJS8_S9_EEENSB_IJS8_SA_EEENS0_18inequality_wrapperIZN2at6native12_GLOBAL__N_124unique_dim_cuda_templateItEESt5tupleIJNSF_6TensorESK_SK_EERKSK_lbbbEUlllE0_EEPmJS9_EEE10hipError_tPvRmT3_T4_T5_T6_T7_T9_mT8_P12ihipStream_tbDpT10_ENKUlT_T0_E_clISt17integral_constantIbLb0EES19_IbLb1EEEEDaS15_S16_EUlS15_E_NS1_11comp_targetILNS1_3genE4ELNS1_11target_archE910ELNS1_3gpuE8ELNS1_3repE0EEENS1_30default_config_static_selectorELNS0_4arch9wavefront6targetE1EEEvT1_.has_dyn_sized_stack, 0
	.set _ZN7rocprim17ROCPRIM_400000_NS6detail17trampoline_kernelINS0_14default_configENS1_25partition_config_selectorILNS1_17partition_subalgoE9EllbEEZZNS1_14partition_implILS5_9ELb0ES3_jPlS8_PNS0_10empty_typeENS0_5tupleIJS8_S9_EEENSB_IJS8_SA_EEENS0_18inequality_wrapperIZN2at6native12_GLOBAL__N_124unique_dim_cuda_templateItEESt5tupleIJNSF_6TensorESK_SK_EERKSK_lbbbEUlllE0_EEPmJS9_EEE10hipError_tPvRmT3_T4_T5_T6_T7_T9_mT8_P12ihipStream_tbDpT10_ENKUlT_T0_E_clISt17integral_constantIbLb0EES19_IbLb1EEEEDaS15_S16_EUlS15_E_NS1_11comp_targetILNS1_3genE4ELNS1_11target_archE910ELNS1_3gpuE8ELNS1_3repE0EEENS1_30default_config_static_selectorELNS0_4arch9wavefront6targetE1EEEvT1_.has_recursion, 0
	.set _ZN7rocprim17ROCPRIM_400000_NS6detail17trampoline_kernelINS0_14default_configENS1_25partition_config_selectorILNS1_17partition_subalgoE9EllbEEZZNS1_14partition_implILS5_9ELb0ES3_jPlS8_PNS0_10empty_typeENS0_5tupleIJS8_S9_EEENSB_IJS8_SA_EEENS0_18inequality_wrapperIZN2at6native12_GLOBAL__N_124unique_dim_cuda_templateItEESt5tupleIJNSF_6TensorESK_SK_EERKSK_lbbbEUlllE0_EEPmJS9_EEE10hipError_tPvRmT3_T4_T5_T6_T7_T9_mT8_P12ihipStream_tbDpT10_ENKUlT_T0_E_clISt17integral_constantIbLb0EES19_IbLb1EEEEDaS15_S16_EUlS15_E_NS1_11comp_targetILNS1_3genE4ELNS1_11target_archE910ELNS1_3gpuE8ELNS1_3repE0EEENS1_30default_config_static_selectorELNS0_4arch9wavefront6targetE1EEEvT1_.has_indirect_call, 0
	.section	.AMDGPU.csdata,"",@progbits
; Kernel info:
; codeLenInByte = 0
; TotalNumSgprs: 6
; NumVgprs: 0
; NumAgprs: 0
; TotalNumVgprs: 0
; ScratchSize: 0
; MemoryBound: 0
; FloatMode: 240
; IeeeMode: 1
; LDSByteSize: 0 bytes/workgroup (compile time only)
; SGPRBlocks: 0
; VGPRBlocks: 0
; NumSGPRsForWavesPerEU: 6
; NumVGPRsForWavesPerEU: 1
; AccumOffset: 4
; Occupancy: 8
; WaveLimiterHint : 0
; COMPUTE_PGM_RSRC2:SCRATCH_EN: 0
; COMPUTE_PGM_RSRC2:USER_SGPR: 2
; COMPUTE_PGM_RSRC2:TRAP_HANDLER: 0
; COMPUTE_PGM_RSRC2:TGID_X_EN: 1
; COMPUTE_PGM_RSRC2:TGID_Y_EN: 0
; COMPUTE_PGM_RSRC2:TGID_Z_EN: 0
; COMPUTE_PGM_RSRC2:TIDIG_COMP_CNT: 0
; COMPUTE_PGM_RSRC3_GFX90A:ACCUM_OFFSET: 0
; COMPUTE_PGM_RSRC3_GFX90A:TG_SPLIT: 0
	.section	.text._ZN7rocprim17ROCPRIM_400000_NS6detail17trampoline_kernelINS0_14default_configENS1_25partition_config_selectorILNS1_17partition_subalgoE9EllbEEZZNS1_14partition_implILS5_9ELb0ES3_jPlS8_PNS0_10empty_typeENS0_5tupleIJS8_S9_EEENSB_IJS8_SA_EEENS0_18inequality_wrapperIZN2at6native12_GLOBAL__N_124unique_dim_cuda_templateItEESt5tupleIJNSF_6TensorESK_SK_EERKSK_lbbbEUlllE0_EEPmJS9_EEE10hipError_tPvRmT3_T4_T5_T6_T7_T9_mT8_P12ihipStream_tbDpT10_ENKUlT_T0_E_clISt17integral_constantIbLb0EES19_IbLb1EEEEDaS15_S16_EUlS15_E_NS1_11comp_targetILNS1_3genE3ELNS1_11target_archE908ELNS1_3gpuE7ELNS1_3repE0EEENS1_30default_config_static_selectorELNS0_4arch9wavefront6targetE1EEEvT1_,"axG",@progbits,_ZN7rocprim17ROCPRIM_400000_NS6detail17trampoline_kernelINS0_14default_configENS1_25partition_config_selectorILNS1_17partition_subalgoE9EllbEEZZNS1_14partition_implILS5_9ELb0ES3_jPlS8_PNS0_10empty_typeENS0_5tupleIJS8_S9_EEENSB_IJS8_SA_EEENS0_18inequality_wrapperIZN2at6native12_GLOBAL__N_124unique_dim_cuda_templateItEESt5tupleIJNSF_6TensorESK_SK_EERKSK_lbbbEUlllE0_EEPmJS9_EEE10hipError_tPvRmT3_T4_T5_T6_T7_T9_mT8_P12ihipStream_tbDpT10_ENKUlT_T0_E_clISt17integral_constantIbLb0EES19_IbLb1EEEEDaS15_S16_EUlS15_E_NS1_11comp_targetILNS1_3genE3ELNS1_11target_archE908ELNS1_3gpuE7ELNS1_3repE0EEENS1_30default_config_static_selectorELNS0_4arch9wavefront6targetE1EEEvT1_,comdat
	.globl	_ZN7rocprim17ROCPRIM_400000_NS6detail17trampoline_kernelINS0_14default_configENS1_25partition_config_selectorILNS1_17partition_subalgoE9EllbEEZZNS1_14partition_implILS5_9ELb0ES3_jPlS8_PNS0_10empty_typeENS0_5tupleIJS8_S9_EEENSB_IJS8_SA_EEENS0_18inequality_wrapperIZN2at6native12_GLOBAL__N_124unique_dim_cuda_templateItEESt5tupleIJNSF_6TensorESK_SK_EERKSK_lbbbEUlllE0_EEPmJS9_EEE10hipError_tPvRmT3_T4_T5_T6_T7_T9_mT8_P12ihipStream_tbDpT10_ENKUlT_T0_E_clISt17integral_constantIbLb0EES19_IbLb1EEEEDaS15_S16_EUlS15_E_NS1_11comp_targetILNS1_3genE3ELNS1_11target_archE908ELNS1_3gpuE7ELNS1_3repE0EEENS1_30default_config_static_selectorELNS0_4arch9wavefront6targetE1EEEvT1_ ; -- Begin function _ZN7rocprim17ROCPRIM_400000_NS6detail17trampoline_kernelINS0_14default_configENS1_25partition_config_selectorILNS1_17partition_subalgoE9EllbEEZZNS1_14partition_implILS5_9ELb0ES3_jPlS8_PNS0_10empty_typeENS0_5tupleIJS8_S9_EEENSB_IJS8_SA_EEENS0_18inequality_wrapperIZN2at6native12_GLOBAL__N_124unique_dim_cuda_templateItEESt5tupleIJNSF_6TensorESK_SK_EERKSK_lbbbEUlllE0_EEPmJS9_EEE10hipError_tPvRmT3_T4_T5_T6_T7_T9_mT8_P12ihipStream_tbDpT10_ENKUlT_T0_E_clISt17integral_constantIbLb0EES19_IbLb1EEEEDaS15_S16_EUlS15_E_NS1_11comp_targetILNS1_3genE3ELNS1_11target_archE908ELNS1_3gpuE7ELNS1_3repE0EEENS1_30default_config_static_selectorELNS0_4arch9wavefront6targetE1EEEvT1_
	.p2align	8
	.type	_ZN7rocprim17ROCPRIM_400000_NS6detail17trampoline_kernelINS0_14default_configENS1_25partition_config_selectorILNS1_17partition_subalgoE9EllbEEZZNS1_14partition_implILS5_9ELb0ES3_jPlS8_PNS0_10empty_typeENS0_5tupleIJS8_S9_EEENSB_IJS8_SA_EEENS0_18inequality_wrapperIZN2at6native12_GLOBAL__N_124unique_dim_cuda_templateItEESt5tupleIJNSF_6TensorESK_SK_EERKSK_lbbbEUlllE0_EEPmJS9_EEE10hipError_tPvRmT3_T4_T5_T6_T7_T9_mT8_P12ihipStream_tbDpT10_ENKUlT_T0_E_clISt17integral_constantIbLb0EES19_IbLb1EEEEDaS15_S16_EUlS15_E_NS1_11comp_targetILNS1_3genE3ELNS1_11target_archE908ELNS1_3gpuE7ELNS1_3repE0EEENS1_30default_config_static_selectorELNS0_4arch9wavefront6targetE1EEEvT1_,@function
_ZN7rocprim17ROCPRIM_400000_NS6detail17trampoline_kernelINS0_14default_configENS1_25partition_config_selectorILNS1_17partition_subalgoE9EllbEEZZNS1_14partition_implILS5_9ELb0ES3_jPlS8_PNS0_10empty_typeENS0_5tupleIJS8_S9_EEENSB_IJS8_SA_EEENS0_18inequality_wrapperIZN2at6native12_GLOBAL__N_124unique_dim_cuda_templateItEESt5tupleIJNSF_6TensorESK_SK_EERKSK_lbbbEUlllE0_EEPmJS9_EEE10hipError_tPvRmT3_T4_T5_T6_T7_T9_mT8_P12ihipStream_tbDpT10_ENKUlT_T0_E_clISt17integral_constantIbLb0EES19_IbLb1EEEEDaS15_S16_EUlS15_E_NS1_11comp_targetILNS1_3genE3ELNS1_11target_archE908ELNS1_3gpuE7ELNS1_3repE0EEENS1_30default_config_static_selectorELNS0_4arch9wavefront6targetE1EEEvT1_: ; @_ZN7rocprim17ROCPRIM_400000_NS6detail17trampoline_kernelINS0_14default_configENS1_25partition_config_selectorILNS1_17partition_subalgoE9EllbEEZZNS1_14partition_implILS5_9ELb0ES3_jPlS8_PNS0_10empty_typeENS0_5tupleIJS8_S9_EEENSB_IJS8_SA_EEENS0_18inequality_wrapperIZN2at6native12_GLOBAL__N_124unique_dim_cuda_templateItEESt5tupleIJNSF_6TensorESK_SK_EERKSK_lbbbEUlllE0_EEPmJS9_EEE10hipError_tPvRmT3_T4_T5_T6_T7_T9_mT8_P12ihipStream_tbDpT10_ENKUlT_T0_E_clISt17integral_constantIbLb0EES19_IbLb1EEEEDaS15_S16_EUlS15_E_NS1_11comp_targetILNS1_3genE3ELNS1_11target_archE908ELNS1_3gpuE7ELNS1_3repE0EEENS1_30default_config_static_selectorELNS0_4arch9wavefront6targetE1EEEvT1_
; %bb.0:
	.section	.rodata,"a",@progbits
	.p2align	6, 0x0
	.amdhsa_kernel _ZN7rocprim17ROCPRIM_400000_NS6detail17trampoline_kernelINS0_14default_configENS1_25partition_config_selectorILNS1_17partition_subalgoE9EllbEEZZNS1_14partition_implILS5_9ELb0ES3_jPlS8_PNS0_10empty_typeENS0_5tupleIJS8_S9_EEENSB_IJS8_SA_EEENS0_18inequality_wrapperIZN2at6native12_GLOBAL__N_124unique_dim_cuda_templateItEESt5tupleIJNSF_6TensorESK_SK_EERKSK_lbbbEUlllE0_EEPmJS9_EEE10hipError_tPvRmT3_T4_T5_T6_T7_T9_mT8_P12ihipStream_tbDpT10_ENKUlT_T0_E_clISt17integral_constantIbLb0EES19_IbLb1EEEEDaS15_S16_EUlS15_E_NS1_11comp_targetILNS1_3genE3ELNS1_11target_archE908ELNS1_3gpuE7ELNS1_3repE0EEENS1_30default_config_static_selectorELNS0_4arch9wavefront6targetE1EEEvT1_
		.amdhsa_group_segment_fixed_size 0
		.amdhsa_private_segment_fixed_size 0
		.amdhsa_kernarg_size 136
		.amdhsa_user_sgpr_count 2
		.amdhsa_user_sgpr_dispatch_ptr 0
		.amdhsa_user_sgpr_queue_ptr 0
		.amdhsa_user_sgpr_kernarg_segment_ptr 1
		.amdhsa_user_sgpr_dispatch_id 0
		.amdhsa_user_sgpr_kernarg_preload_length 0
		.amdhsa_user_sgpr_kernarg_preload_offset 0
		.amdhsa_user_sgpr_private_segment_size 0
		.amdhsa_uses_dynamic_stack 0
		.amdhsa_enable_private_segment 0
		.amdhsa_system_sgpr_workgroup_id_x 1
		.amdhsa_system_sgpr_workgroup_id_y 0
		.amdhsa_system_sgpr_workgroup_id_z 0
		.amdhsa_system_sgpr_workgroup_info 0
		.amdhsa_system_vgpr_workitem_id 0
		.amdhsa_next_free_vgpr 1
		.amdhsa_next_free_sgpr 0
		.amdhsa_accum_offset 4
		.amdhsa_reserve_vcc 0
		.amdhsa_float_round_mode_32 0
		.amdhsa_float_round_mode_16_64 0
		.amdhsa_float_denorm_mode_32 3
		.amdhsa_float_denorm_mode_16_64 3
		.amdhsa_dx10_clamp 1
		.amdhsa_ieee_mode 1
		.amdhsa_fp16_overflow 0
		.amdhsa_tg_split 0
		.amdhsa_exception_fp_ieee_invalid_op 0
		.amdhsa_exception_fp_denorm_src 0
		.amdhsa_exception_fp_ieee_div_zero 0
		.amdhsa_exception_fp_ieee_overflow 0
		.amdhsa_exception_fp_ieee_underflow 0
		.amdhsa_exception_fp_ieee_inexact 0
		.amdhsa_exception_int_div_zero 0
	.end_amdhsa_kernel
	.section	.text._ZN7rocprim17ROCPRIM_400000_NS6detail17trampoline_kernelINS0_14default_configENS1_25partition_config_selectorILNS1_17partition_subalgoE9EllbEEZZNS1_14partition_implILS5_9ELb0ES3_jPlS8_PNS0_10empty_typeENS0_5tupleIJS8_S9_EEENSB_IJS8_SA_EEENS0_18inequality_wrapperIZN2at6native12_GLOBAL__N_124unique_dim_cuda_templateItEESt5tupleIJNSF_6TensorESK_SK_EERKSK_lbbbEUlllE0_EEPmJS9_EEE10hipError_tPvRmT3_T4_T5_T6_T7_T9_mT8_P12ihipStream_tbDpT10_ENKUlT_T0_E_clISt17integral_constantIbLb0EES19_IbLb1EEEEDaS15_S16_EUlS15_E_NS1_11comp_targetILNS1_3genE3ELNS1_11target_archE908ELNS1_3gpuE7ELNS1_3repE0EEENS1_30default_config_static_selectorELNS0_4arch9wavefront6targetE1EEEvT1_,"axG",@progbits,_ZN7rocprim17ROCPRIM_400000_NS6detail17trampoline_kernelINS0_14default_configENS1_25partition_config_selectorILNS1_17partition_subalgoE9EllbEEZZNS1_14partition_implILS5_9ELb0ES3_jPlS8_PNS0_10empty_typeENS0_5tupleIJS8_S9_EEENSB_IJS8_SA_EEENS0_18inequality_wrapperIZN2at6native12_GLOBAL__N_124unique_dim_cuda_templateItEESt5tupleIJNSF_6TensorESK_SK_EERKSK_lbbbEUlllE0_EEPmJS9_EEE10hipError_tPvRmT3_T4_T5_T6_T7_T9_mT8_P12ihipStream_tbDpT10_ENKUlT_T0_E_clISt17integral_constantIbLb0EES19_IbLb1EEEEDaS15_S16_EUlS15_E_NS1_11comp_targetILNS1_3genE3ELNS1_11target_archE908ELNS1_3gpuE7ELNS1_3repE0EEENS1_30default_config_static_selectorELNS0_4arch9wavefront6targetE1EEEvT1_,comdat
.Lfunc_end1478:
	.size	_ZN7rocprim17ROCPRIM_400000_NS6detail17trampoline_kernelINS0_14default_configENS1_25partition_config_selectorILNS1_17partition_subalgoE9EllbEEZZNS1_14partition_implILS5_9ELb0ES3_jPlS8_PNS0_10empty_typeENS0_5tupleIJS8_S9_EEENSB_IJS8_SA_EEENS0_18inequality_wrapperIZN2at6native12_GLOBAL__N_124unique_dim_cuda_templateItEESt5tupleIJNSF_6TensorESK_SK_EERKSK_lbbbEUlllE0_EEPmJS9_EEE10hipError_tPvRmT3_T4_T5_T6_T7_T9_mT8_P12ihipStream_tbDpT10_ENKUlT_T0_E_clISt17integral_constantIbLb0EES19_IbLb1EEEEDaS15_S16_EUlS15_E_NS1_11comp_targetILNS1_3genE3ELNS1_11target_archE908ELNS1_3gpuE7ELNS1_3repE0EEENS1_30default_config_static_selectorELNS0_4arch9wavefront6targetE1EEEvT1_, .Lfunc_end1478-_ZN7rocprim17ROCPRIM_400000_NS6detail17trampoline_kernelINS0_14default_configENS1_25partition_config_selectorILNS1_17partition_subalgoE9EllbEEZZNS1_14partition_implILS5_9ELb0ES3_jPlS8_PNS0_10empty_typeENS0_5tupleIJS8_S9_EEENSB_IJS8_SA_EEENS0_18inequality_wrapperIZN2at6native12_GLOBAL__N_124unique_dim_cuda_templateItEESt5tupleIJNSF_6TensorESK_SK_EERKSK_lbbbEUlllE0_EEPmJS9_EEE10hipError_tPvRmT3_T4_T5_T6_T7_T9_mT8_P12ihipStream_tbDpT10_ENKUlT_T0_E_clISt17integral_constantIbLb0EES19_IbLb1EEEEDaS15_S16_EUlS15_E_NS1_11comp_targetILNS1_3genE3ELNS1_11target_archE908ELNS1_3gpuE7ELNS1_3repE0EEENS1_30default_config_static_selectorELNS0_4arch9wavefront6targetE1EEEvT1_
                                        ; -- End function
	.set _ZN7rocprim17ROCPRIM_400000_NS6detail17trampoline_kernelINS0_14default_configENS1_25partition_config_selectorILNS1_17partition_subalgoE9EllbEEZZNS1_14partition_implILS5_9ELb0ES3_jPlS8_PNS0_10empty_typeENS0_5tupleIJS8_S9_EEENSB_IJS8_SA_EEENS0_18inequality_wrapperIZN2at6native12_GLOBAL__N_124unique_dim_cuda_templateItEESt5tupleIJNSF_6TensorESK_SK_EERKSK_lbbbEUlllE0_EEPmJS9_EEE10hipError_tPvRmT3_T4_T5_T6_T7_T9_mT8_P12ihipStream_tbDpT10_ENKUlT_T0_E_clISt17integral_constantIbLb0EES19_IbLb1EEEEDaS15_S16_EUlS15_E_NS1_11comp_targetILNS1_3genE3ELNS1_11target_archE908ELNS1_3gpuE7ELNS1_3repE0EEENS1_30default_config_static_selectorELNS0_4arch9wavefront6targetE1EEEvT1_.num_vgpr, 0
	.set _ZN7rocprim17ROCPRIM_400000_NS6detail17trampoline_kernelINS0_14default_configENS1_25partition_config_selectorILNS1_17partition_subalgoE9EllbEEZZNS1_14partition_implILS5_9ELb0ES3_jPlS8_PNS0_10empty_typeENS0_5tupleIJS8_S9_EEENSB_IJS8_SA_EEENS0_18inequality_wrapperIZN2at6native12_GLOBAL__N_124unique_dim_cuda_templateItEESt5tupleIJNSF_6TensorESK_SK_EERKSK_lbbbEUlllE0_EEPmJS9_EEE10hipError_tPvRmT3_T4_T5_T6_T7_T9_mT8_P12ihipStream_tbDpT10_ENKUlT_T0_E_clISt17integral_constantIbLb0EES19_IbLb1EEEEDaS15_S16_EUlS15_E_NS1_11comp_targetILNS1_3genE3ELNS1_11target_archE908ELNS1_3gpuE7ELNS1_3repE0EEENS1_30default_config_static_selectorELNS0_4arch9wavefront6targetE1EEEvT1_.num_agpr, 0
	.set _ZN7rocprim17ROCPRIM_400000_NS6detail17trampoline_kernelINS0_14default_configENS1_25partition_config_selectorILNS1_17partition_subalgoE9EllbEEZZNS1_14partition_implILS5_9ELb0ES3_jPlS8_PNS0_10empty_typeENS0_5tupleIJS8_S9_EEENSB_IJS8_SA_EEENS0_18inequality_wrapperIZN2at6native12_GLOBAL__N_124unique_dim_cuda_templateItEESt5tupleIJNSF_6TensorESK_SK_EERKSK_lbbbEUlllE0_EEPmJS9_EEE10hipError_tPvRmT3_T4_T5_T6_T7_T9_mT8_P12ihipStream_tbDpT10_ENKUlT_T0_E_clISt17integral_constantIbLb0EES19_IbLb1EEEEDaS15_S16_EUlS15_E_NS1_11comp_targetILNS1_3genE3ELNS1_11target_archE908ELNS1_3gpuE7ELNS1_3repE0EEENS1_30default_config_static_selectorELNS0_4arch9wavefront6targetE1EEEvT1_.numbered_sgpr, 0
	.set _ZN7rocprim17ROCPRIM_400000_NS6detail17trampoline_kernelINS0_14default_configENS1_25partition_config_selectorILNS1_17partition_subalgoE9EllbEEZZNS1_14partition_implILS5_9ELb0ES3_jPlS8_PNS0_10empty_typeENS0_5tupleIJS8_S9_EEENSB_IJS8_SA_EEENS0_18inequality_wrapperIZN2at6native12_GLOBAL__N_124unique_dim_cuda_templateItEESt5tupleIJNSF_6TensorESK_SK_EERKSK_lbbbEUlllE0_EEPmJS9_EEE10hipError_tPvRmT3_T4_T5_T6_T7_T9_mT8_P12ihipStream_tbDpT10_ENKUlT_T0_E_clISt17integral_constantIbLb0EES19_IbLb1EEEEDaS15_S16_EUlS15_E_NS1_11comp_targetILNS1_3genE3ELNS1_11target_archE908ELNS1_3gpuE7ELNS1_3repE0EEENS1_30default_config_static_selectorELNS0_4arch9wavefront6targetE1EEEvT1_.num_named_barrier, 0
	.set _ZN7rocprim17ROCPRIM_400000_NS6detail17trampoline_kernelINS0_14default_configENS1_25partition_config_selectorILNS1_17partition_subalgoE9EllbEEZZNS1_14partition_implILS5_9ELb0ES3_jPlS8_PNS0_10empty_typeENS0_5tupleIJS8_S9_EEENSB_IJS8_SA_EEENS0_18inequality_wrapperIZN2at6native12_GLOBAL__N_124unique_dim_cuda_templateItEESt5tupleIJNSF_6TensorESK_SK_EERKSK_lbbbEUlllE0_EEPmJS9_EEE10hipError_tPvRmT3_T4_T5_T6_T7_T9_mT8_P12ihipStream_tbDpT10_ENKUlT_T0_E_clISt17integral_constantIbLb0EES19_IbLb1EEEEDaS15_S16_EUlS15_E_NS1_11comp_targetILNS1_3genE3ELNS1_11target_archE908ELNS1_3gpuE7ELNS1_3repE0EEENS1_30default_config_static_selectorELNS0_4arch9wavefront6targetE1EEEvT1_.private_seg_size, 0
	.set _ZN7rocprim17ROCPRIM_400000_NS6detail17trampoline_kernelINS0_14default_configENS1_25partition_config_selectorILNS1_17partition_subalgoE9EllbEEZZNS1_14partition_implILS5_9ELb0ES3_jPlS8_PNS0_10empty_typeENS0_5tupleIJS8_S9_EEENSB_IJS8_SA_EEENS0_18inequality_wrapperIZN2at6native12_GLOBAL__N_124unique_dim_cuda_templateItEESt5tupleIJNSF_6TensorESK_SK_EERKSK_lbbbEUlllE0_EEPmJS9_EEE10hipError_tPvRmT3_T4_T5_T6_T7_T9_mT8_P12ihipStream_tbDpT10_ENKUlT_T0_E_clISt17integral_constantIbLb0EES19_IbLb1EEEEDaS15_S16_EUlS15_E_NS1_11comp_targetILNS1_3genE3ELNS1_11target_archE908ELNS1_3gpuE7ELNS1_3repE0EEENS1_30default_config_static_selectorELNS0_4arch9wavefront6targetE1EEEvT1_.uses_vcc, 0
	.set _ZN7rocprim17ROCPRIM_400000_NS6detail17trampoline_kernelINS0_14default_configENS1_25partition_config_selectorILNS1_17partition_subalgoE9EllbEEZZNS1_14partition_implILS5_9ELb0ES3_jPlS8_PNS0_10empty_typeENS0_5tupleIJS8_S9_EEENSB_IJS8_SA_EEENS0_18inequality_wrapperIZN2at6native12_GLOBAL__N_124unique_dim_cuda_templateItEESt5tupleIJNSF_6TensorESK_SK_EERKSK_lbbbEUlllE0_EEPmJS9_EEE10hipError_tPvRmT3_T4_T5_T6_T7_T9_mT8_P12ihipStream_tbDpT10_ENKUlT_T0_E_clISt17integral_constantIbLb0EES19_IbLb1EEEEDaS15_S16_EUlS15_E_NS1_11comp_targetILNS1_3genE3ELNS1_11target_archE908ELNS1_3gpuE7ELNS1_3repE0EEENS1_30default_config_static_selectorELNS0_4arch9wavefront6targetE1EEEvT1_.uses_flat_scratch, 0
	.set _ZN7rocprim17ROCPRIM_400000_NS6detail17trampoline_kernelINS0_14default_configENS1_25partition_config_selectorILNS1_17partition_subalgoE9EllbEEZZNS1_14partition_implILS5_9ELb0ES3_jPlS8_PNS0_10empty_typeENS0_5tupleIJS8_S9_EEENSB_IJS8_SA_EEENS0_18inequality_wrapperIZN2at6native12_GLOBAL__N_124unique_dim_cuda_templateItEESt5tupleIJNSF_6TensorESK_SK_EERKSK_lbbbEUlllE0_EEPmJS9_EEE10hipError_tPvRmT3_T4_T5_T6_T7_T9_mT8_P12ihipStream_tbDpT10_ENKUlT_T0_E_clISt17integral_constantIbLb0EES19_IbLb1EEEEDaS15_S16_EUlS15_E_NS1_11comp_targetILNS1_3genE3ELNS1_11target_archE908ELNS1_3gpuE7ELNS1_3repE0EEENS1_30default_config_static_selectorELNS0_4arch9wavefront6targetE1EEEvT1_.has_dyn_sized_stack, 0
	.set _ZN7rocprim17ROCPRIM_400000_NS6detail17trampoline_kernelINS0_14default_configENS1_25partition_config_selectorILNS1_17partition_subalgoE9EllbEEZZNS1_14partition_implILS5_9ELb0ES3_jPlS8_PNS0_10empty_typeENS0_5tupleIJS8_S9_EEENSB_IJS8_SA_EEENS0_18inequality_wrapperIZN2at6native12_GLOBAL__N_124unique_dim_cuda_templateItEESt5tupleIJNSF_6TensorESK_SK_EERKSK_lbbbEUlllE0_EEPmJS9_EEE10hipError_tPvRmT3_T4_T5_T6_T7_T9_mT8_P12ihipStream_tbDpT10_ENKUlT_T0_E_clISt17integral_constantIbLb0EES19_IbLb1EEEEDaS15_S16_EUlS15_E_NS1_11comp_targetILNS1_3genE3ELNS1_11target_archE908ELNS1_3gpuE7ELNS1_3repE0EEENS1_30default_config_static_selectorELNS0_4arch9wavefront6targetE1EEEvT1_.has_recursion, 0
	.set _ZN7rocprim17ROCPRIM_400000_NS6detail17trampoline_kernelINS0_14default_configENS1_25partition_config_selectorILNS1_17partition_subalgoE9EllbEEZZNS1_14partition_implILS5_9ELb0ES3_jPlS8_PNS0_10empty_typeENS0_5tupleIJS8_S9_EEENSB_IJS8_SA_EEENS0_18inequality_wrapperIZN2at6native12_GLOBAL__N_124unique_dim_cuda_templateItEESt5tupleIJNSF_6TensorESK_SK_EERKSK_lbbbEUlllE0_EEPmJS9_EEE10hipError_tPvRmT3_T4_T5_T6_T7_T9_mT8_P12ihipStream_tbDpT10_ENKUlT_T0_E_clISt17integral_constantIbLb0EES19_IbLb1EEEEDaS15_S16_EUlS15_E_NS1_11comp_targetILNS1_3genE3ELNS1_11target_archE908ELNS1_3gpuE7ELNS1_3repE0EEENS1_30default_config_static_selectorELNS0_4arch9wavefront6targetE1EEEvT1_.has_indirect_call, 0
	.section	.AMDGPU.csdata,"",@progbits
; Kernel info:
; codeLenInByte = 0
; TotalNumSgprs: 6
; NumVgprs: 0
; NumAgprs: 0
; TotalNumVgprs: 0
; ScratchSize: 0
; MemoryBound: 0
; FloatMode: 240
; IeeeMode: 1
; LDSByteSize: 0 bytes/workgroup (compile time only)
; SGPRBlocks: 0
; VGPRBlocks: 0
; NumSGPRsForWavesPerEU: 6
; NumVGPRsForWavesPerEU: 1
; AccumOffset: 4
; Occupancy: 8
; WaveLimiterHint : 0
; COMPUTE_PGM_RSRC2:SCRATCH_EN: 0
; COMPUTE_PGM_RSRC2:USER_SGPR: 2
; COMPUTE_PGM_RSRC2:TRAP_HANDLER: 0
; COMPUTE_PGM_RSRC2:TGID_X_EN: 1
; COMPUTE_PGM_RSRC2:TGID_Y_EN: 0
; COMPUTE_PGM_RSRC2:TGID_Z_EN: 0
; COMPUTE_PGM_RSRC2:TIDIG_COMP_CNT: 0
; COMPUTE_PGM_RSRC3_GFX90A:ACCUM_OFFSET: 0
; COMPUTE_PGM_RSRC3_GFX90A:TG_SPLIT: 0
	.section	.text._ZN7rocprim17ROCPRIM_400000_NS6detail17trampoline_kernelINS0_14default_configENS1_25partition_config_selectorILNS1_17partition_subalgoE9EllbEEZZNS1_14partition_implILS5_9ELb0ES3_jPlS8_PNS0_10empty_typeENS0_5tupleIJS8_S9_EEENSB_IJS8_SA_EEENS0_18inequality_wrapperIZN2at6native12_GLOBAL__N_124unique_dim_cuda_templateItEESt5tupleIJNSF_6TensorESK_SK_EERKSK_lbbbEUlllE0_EEPmJS9_EEE10hipError_tPvRmT3_T4_T5_T6_T7_T9_mT8_P12ihipStream_tbDpT10_ENKUlT_T0_E_clISt17integral_constantIbLb0EES19_IbLb1EEEEDaS15_S16_EUlS15_E_NS1_11comp_targetILNS1_3genE2ELNS1_11target_archE906ELNS1_3gpuE6ELNS1_3repE0EEENS1_30default_config_static_selectorELNS0_4arch9wavefront6targetE1EEEvT1_,"axG",@progbits,_ZN7rocprim17ROCPRIM_400000_NS6detail17trampoline_kernelINS0_14default_configENS1_25partition_config_selectorILNS1_17partition_subalgoE9EllbEEZZNS1_14partition_implILS5_9ELb0ES3_jPlS8_PNS0_10empty_typeENS0_5tupleIJS8_S9_EEENSB_IJS8_SA_EEENS0_18inequality_wrapperIZN2at6native12_GLOBAL__N_124unique_dim_cuda_templateItEESt5tupleIJNSF_6TensorESK_SK_EERKSK_lbbbEUlllE0_EEPmJS9_EEE10hipError_tPvRmT3_T4_T5_T6_T7_T9_mT8_P12ihipStream_tbDpT10_ENKUlT_T0_E_clISt17integral_constantIbLb0EES19_IbLb1EEEEDaS15_S16_EUlS15_E_NS1_11comp_targetILNS1_3genE2ELNS1_11target_archE906ELNS1_3gpuE6ELNS1_3repE0EEENS1_30default_config_static_selectorELNS0_4arch9wavefront6targetE1EEEvT1_,comdat
	.globl	_ZN7rocprim17ROCPRIM_400000_NS6detail17trampoline_kernelINS0_14default_configENS1_25partition_config_selectorILNS1_17partition_subalgoE9EllbEEZZNS1_14partition_implILS5_9ELb0ES3_jPlS8_PNS0_10empty_typeENS0_5tupleIJS8_S9_EEENSB_IJS8_SA_EEENS0_18inequality_wrapperIZN2at6native12_GLOBAL__N_124unique_dim_cuda_templateItEESt5tupleIJNSF_6TensorESK_SK_EERKSK_lbbbEUlllE0_EEPmJS9_EEE10hipError_tPvRmT3_T4_T5_T6_T7_T9_mT8_P12ihipStream_tbDpT10_ENKUlT_T0_E_clISt17integral_constantIbLb0EES19_IbLb1EEEEDaS15_S16_EUlS15_E_NS1_11comp_targetILNS1_3genE2ELNS1_11target_archE906ELNS1_3gpuE6ELNS1_3repE0EEENS1_30default_config_static_selectorELNS0_4arch9wavefront6targetE1EEEvT1_ ; -- Begin function _ZN7rocprim17ROCPRIM_400000_NS6detail17trampoline_kernelINS0_14default_configENS1_25partition_config_selectorILNS1_17partition_subalgoE9EllbEEZZNS1_14partition_implILS5_9ELb0ES3_jPlS8_PNS0_10empty_typeENS0_5tupleIJS8_S9_EEENSB_IJS8_SA_EEENS0_18inequality_wrapperIZN2at6native12_GLOBAL__N_124unique_dim_cuda_templateItEESt5tupleIJNSF_6TensorESK_SK_EERKSK_lbbbEUlllE0_EEPmJS9_EEE10hipError_tPvRmT3_T4_T5_T6_T7_T9_mT8_P12ihipStream_tbDpT10_ENKUlT_T0_E_clISt17integral_constantIbLb0EES19_IbLb1EEEEDaS15_S16_EUlS15_E_NS1_11comp_targetILNS1_3genE2ELNS1_11target_archE906ELNS1_3gpuE6ELNS1_3repE0EEENS1_30default_config_static_selectorELNS0_4arch9wavefront6targetE1EEEvT1_
	.p2align	8
	.type	_ZN7rocprim17ROCPRIM_400000_NS6detail17trampoline_kernelINS0_14default_configENS1_25partition_config_selectorILNS1_17partition_subalgoE9EllbEEZZNS1_14partition_implILS5_9ELb0ES3_jPlS8_PNS0_10empty_typeENS0_5tupleIJS8_S9_EEENSB_IJS8_SA_EEENS0_18inequality_wrapperIZN2at6native12_GLOBAL__N_124unique_dim_cuda_templateItEESt5tupleIJNSF_6TensorESK_SK_EERKSK_lbbbEUlllE0_EEPmJS9_EEE10hipError_tPvRmT3_T4_T5_T6_T7_T9_mT8_P12ihipStream_tbDpT10_ENKUlT_T0_E_clISt17integral_constantIbLb0EES19_IbLb1EEEEDaS15_S16_EUlS15_E_NS1_11comp_targetILNS1_3genE2ELNS1_11target_archE906ELNS1_3gpuE6ELNS1_3repE0EEENS1_30default_config_static_selectorELNS0_4arch9wavefront6targetE1EEEvT1_,@function
_ZN7rocprim17ROCPRIM_400000_NS6detail17trampoline_kernelINS0_14default_configENS1_25partition_config_selectorILNS1_17partition_subalgoE9EllbEEZZNS1_14partition_implILS5_9ELb0ES3_jPlS8_PNS0_10empty_typeENS0_5tupleIJS8_S9_EEENSB_IJS8_SA_EEENS0_18inequality_wrapperIZN2at6native12_GLOBAL__N_124unique_dim_cuda_templateItEESt5tupleIJNSF_6TensorESK_SK_EERKSK_lbbbEUlllE0_EEPmJS9_EEE10hipError_tPvRmT3_T4_T5_T6_T7_T9_mT8_P12ihipStream_tbDpT10_ENKUlT_T0_E_clISt17integral_constantIbLb0EES19_IbLb1EEEEDaS15_S16_EUlS15_E_NS1_11comp_targetILNS1_3genE2ELNS1_11target_archE906ELNS1_3gpuE6ELNS1_3repE0EEENS1_30default_config_static_selectorELNS0_4arch9wavefront6targetE1EEEvT1_: ; @_ZN7rocprim17ROCPRIM_400000_NS6detail17trampoline_kernelINS0_14default_configENS1_25partition_config_selectorILNS1_17partition_subalgoE9EllbEEZZNS1_14partition_implILS5_9ELb0ES3_jPlS8_PNS0_10empty_typeENS0_5tupleIJS8_S9_EEENSB_IJS8_SA_EEENS0_18inequality_wrapperIZN2at6native12_GLOBAL__N_124unique_dim_cuda_templateItEESt5tupleIJNSF_6TensorESK_SK_EERKSK_lbbbEUlllE0_EEPmJS9_EEE10hipError_tPvRmT3_T4_T5_T6_T7_T9_mT8_P12ihipStream_tbDpT10_ENKUlT_T0_E_clISt17integral_constantIbLb0EES19_IbLb1EEEEDaS15_S16_EUlS15_E_NS1_11comp_targetILNS1_3genE2ELNS1_11target_archE906ELNS1_3gpuE6ELNS1_3repE0EEENS1_30default_config_static_selectorELNS0_4arch9wavefront6targetE1EEEvT1_
; %bb.0:
	.section	.rodata,"a",@progbits
	.p2align	6, 0x0
	.amdhsa_kernel _ZN7rocprim17ROCPRIM_400000_NS6detail17trampoline_kernelINS0_14default_configENS1_25partition_config_selectorILNS1_17partition_subalgoE9EllbEEZZNS1_14partition_implILS5_9ELb0ES3_jPlS8_PNS0_10empty_typeENS0_5tupleIJS8_S9_EEENSB_IJS8_SA_EEENS0_18inequality_wrapperIZN2at6native12_GLOBAL__N_124unique_dim_cuda_templateItEESt5tupleIJNSF_6TensorESK_SK_EERKSK_lbbbEUlllE0_EEPmJS9_EEE10hipError_tPvRmT3_T4_T5_T6_T7_T9_mT8_P12ihipStream_tbDpT10_ENKUlT_T0_E_clISt17integral_constantIbLb0EES19_IbLb1EEEEDaS15_S16_EUlS15_E_NS1_11comp_targetILNS1_3genE2ELNS1_11target_archE906ELNS1_3gpuE6ELNS1_3repE0EEENS1_30default_config_static_selectorELNS0_4arch9wavefront6targetE1EEEvT1_
		.amdhsa_group_segment_fixed_size 0
		.amdhsa_private_segment_fixed_size 0
		.amdhsa_kernarg_size 136
		.amdhsa_user_sgpr_count 2
		.amdhsa_user_sgpr_dispatch_ptr 0
		.amdhsa_user_sgpr_queue_ptr 0
		.amdhsa_user_sgpr_kernarg_segment_ptr 1
		.amdhsa_user_sgpr_dispatch_id 0
		.amdhsa_user_sgpr_kernarg_preload_length 0
		.amdhsa_user_sgpr_kernarg_preload_offset 0
		.amdhsa_user_sgpr_private_segment_size 0
		.amdhsa_uses_dynamic_stack 0
		.amdhsa_enable_private_segment 0
		.amdhsa_system_sgpr_workgroup_id_x 1
		.amdhsa_system_sgpr_workgroup_id_y 0
		.amdhsa_system_sgpr_workgroup_id_z 0
		.amdhsa_system_sgpr_workgroup_info 0
		.amdhsa_system_vgpr_workitem_id 0
		.amdhsa_next_free_vgpr 1
		.amdhsa_next_free_sgpr 0
		.amdhsa_accum_offset 4
		.amdhsa_reserve_vcc 0
		.amdhsa_float_round_mode_32 0
		.amdhsa_float_round_mode_16_64 0
		.amdhsa_float_denorm_mode_32 3
		.amdhsa_float_denorm_mode_16_64 3
		.amdhsa_dx10_clamp 1
		.amdhsa_ieee_mode 1
		.amdhsa_fp16_overflow 0
		.amdhsa_tg_split 0
		.amdhsa_exception_fp_ieee_invalid_op 0
		.amdhsa_exception_fp_denorm_src 0
		.amdhsa_exception_fp_ieee_div_zero 0
		.amdhsa_exception_fp_ieee_overflow 0
		.amdhsa_exception_fp_ieee_underflow 0
		.amdhsa_exception_fp_ieee_inexact 0
		.amdhsa_exception_int_div_zero 0
	.end_amdhsa_kernel
	.section	.text._ZN7rocprim17ROCPRIM_400000_NS6detail17trampoline_kernelINS0_14default_configENS1_25partition_config_selectorILNS1_17partition_subalgoE9EllbEEZZNS1_14partition_implILS5_9ELb0ES3_jPlS8_PNS0_10empty_typeENS0_5tupleIJS8_S9_EEENSB_IJS8_SA_EEENS0_18inequality_wrapperIZN2at6native12_GLOBAL__N_124unique_dim_cuda_templateItEESt5tupleIJNSF_6TensorESK_SK_EERKSK_lbbbEUlllE0_EEPmJS9_EEE10hipError_tPvRmT3_T4_T5_T6_T7_T9_mT8_P12ihipStream_tbDpT10_ENKUlT_T0_E_clISt17integral_constantIbLb0EES19_IbLb1EEEEDaS15_S16_EUlS15_E_NS1_11comp_targetILNS1_3genE2ELNS1_11target_archE906ELNS1_3gpuE6ELNS1_3repE0EEENS1_30default_config_static_selectorELNS0_4arch9wavefront6targetE1EEEvT1_,"axG",@progbits,_ZN7rocprim17ROCPRIM_400000_NS6detail17trampoline_kernelINS0_14default_configENS1_25partition_config_selectorILNS1_17partition_subalgoE9EllbEEZZNS1_14partition_implILS5_9ELb0ES3_jPlS8_PNS0_10empty_typeENS0_5tupleIJS8_S9_EEENSB_IJS8_SA_EEENS0_18inequality_wrapperIZN2at6native12_GLOBAL__N_124unique_dim_cuda_templateItEESt5tupleIJNSF_6TensorESK_SK_EERKSK_lbbbEUlllE0_EEPmJS9_EEE10hipError_tPvRmT3_T4_T5_T6_T7_T9_mT8_P12ihipStream_tbDpT10_ENKUlT_T0_E_clISt17integral_constantIbLb0EES19_IbLb1EEEEDaS15_S16_EUlS15_E_NS1_11comp_targetILNS1_3genE2ELNS1_11target_archE906ELNS1_3gpuE6ELNS1_3repE0EEENS1_30default_config_static_selectorELNS0_4arch9wavefront6targetE1EEEvT1_,comdat
.Lfunc_end1479:
	.size	_ZN7rocprim17ROCPRIM_400000_NS6detail17trampoline_kernelINS0_14default_configENS1_25partition_config_selectorILNS1_17partition_subalgoE9EllbEEZZNS1_14partition_implILS5_9ELb0ES3_jPlS8_PNS0_10empty_typeENS0_5tupleIJS8_S9_EEENSB_IJS8_SA_EEENS0_18inequality_wrapperIZN2at6native12_GLOBAL__N_124unique_dim_cuda_templateItEESt5tupleIJNSF_6TensorESK_SK_EERKSK_lbbbEUlllE0_EEPmJS9_EEE10hipError_tPvRmT3_T4_T5_T6_T7_T9_mT8_P12ihipStream_tbDpT10_ENKUlT_T0_E_clISt17integral_constantIbLb0EES19_IbLb1EEEEDaS15_S16_EUlS15_E_NS1_11comp_targetILNS1_3genE2ELNS1_11target_archE906ELNS1_3gpuE6ELNS1_3repE0EEENS1_30default_config_static_selectorELNS0_4arch9wavefront6targetE1EEEvT1_, .Lfunc_end1479-_ZN7rocprim17ROCPRIM_400000_NS6detail17trampoline_kernelINS0_14default_configENS1_25partition_config_selectorILNS1_17partition_subalgoE9EllbEEZZNS1_14partition_implILS5_9ELb0ES3_jPlS8_PNS0_10empty_typeENS0_5tupleIJS8_S9_EEENSB_IJS8_SA_EEENS0_18inequality_wrapperIZN2at6native12_GLOBAL__N_124unique_dim_cuda_templateItEESt5tupleIJNSF_6TensorESK_SK_EERKSK_lbbbEUlllE0_EEPmJS9_EEE10hipError_tPvRmT3_T4_T5_T6_T7_T9_mT8_P12ihipStream_tbDpT10_ENKUlT_T0_E_clISt17integral_constantIbLb0EES19_IbLb1EEEEDaS15_S16_EUlS15_E_NS1_11comp_targetILNS1_3genE2ELNS1_11target_archE906ELNS1_3gpuE6ELNS1_3repE0EEENS1_30default_config_static_selectorELNS0_4arch9wavefront6targetE1EEEvT1_
                                        ; -- End function
	.set _ZN7rocprim17ROCPRIM_400000_NS6detail17trampoline_kernelINS0_14default_configENS1_25partition_config_selectorILNS1_17partition_subalgoE9EllbEEZZNS1_14partition_implILS5_9ELb0ES3_jPlS8_PNS0_10empty_typeENS0_5tupleIJS8_S9_EEENSB_IJS8_SA_EEENS0_18inequality_wrapperIZN2at6native12_GLOBAL__N_124unique_dim_cuda_templateItEESt5tupleIJNSF_6TensorESK_SK_EERKSK_lbbbEUlllE0_EEPmJS9_EEE10hipError_tPvRmT3_T4_T5_T6_T7_T9_mT8_P12ihipStream_tbDpT10_ENKUlT_T0_E_clISt17integral_constantIbLb0EES19_IbLb1EEEEDaS15_S16_EUlS15_E_NS1_11comp_targetILNS1_3genE2ELNS1_11target_archE906ELNS1_3gpuE6ELNS1_3repE0EEENS1_30default_config_static_selectorELNS0_4arch9wavefront6targetE1EEEvT1_.num_vgpr, 0
	.set _ZN7rocprim17ROCPRIM_400000_NS6detail17trampoline_kernelINS0_14default_configENS1_25partition_config_selectorILNS1_17partition_subalgoE9EllbEEZZNS1_14partition_implILS5_9ELb0ES3_jPlS8_PNS0_10empty_typeENS0_5tupleIJS8_S9_EEENSB_IJS8_SA_EEENS0_18inequality_wrapperIZN2at6native12_GLOBAL__N_124unique_dim_cuda_templateItEESt5tupleIJNSF_6TensorESK_SK_EERKSK_lbbbEUlllE0_EEPmJS9_EEE10hipError_tPvRmT3_T4_T5_T6_T7_T9_mT8_P12ihipStream_tbDpT10_ENKUlT_T0_E_clISt17integral_constantIbLb0EES19_IbLb1EEEEDaS15_S16_EUlS15_E_NS1_11comp_targetILNS1_3genE2ELNS1_11target_archE906ELNS1_3gpuE6ELNS1_3repE0EEENS1_30default_config_static_selectorELNS0_4arch9wavefront6targetE1EEEvT1_.num_agpr, 0
	.set _ZN7rocprim17ROCPRIM_400000_NS6detail17trampoline_kernelINS0_14default_configENS1_25partition_config_selectorILNS1_17partition_subalgoE9EllbEEZZNS1_14partition_implILS5_9ELb0ES3_jPlS8_PNS0_10empty_typeENS0_5tupleIJS8_S9_EEENSB_IJS8_SA_EEENS0_18inequality_wrapperIZN2at6native12_GLOBAL__N_124unique_dim_cuda_templateItEESt5tupleIJNSF_6TensorESK_SK_EERKSK_lbbbEUlllE0_EEPmJS9_EEE10hipError_tPvRmT3_T4_T5_T6_T7_T9_mT8_P12ihipStream_tbDpT10_ENKUlT_T0_E_clISt17integral_constantIbLb0EES19_IbLb1EEEEDaS15_S16_EUlS15_E_NS1_11comp_targetILNS1_3genE2ELNS1_11target_archE906ELNS1_3gpuE6ELNS1_3repE0EEENS1_30default_config_static_selectorELNS0_4arch9wavefront6targetE1EEEvT1_.numbered_sgpr, 0
	.set _ZN7rocprim17ROCPRIM_400000_NS6detail17trampoline_kernelINS0_14default_configENS1_25partition_config_selectorILNS1_17partition_subalgoE9EllbEEZZNS1_14partition_implILS5_9ELb0ES3_jPlS8_PNS0_10empty_typeENS0_5tupleIJS8_S9_EEENSB_IJS8_SA_EEENS0_18inequality_wrapperIZN2at6native12_GLOBAL__N_124unique_dim_cuda_templateItEESt5tupleIJNSF_6TensorESK_SK_EERKSK_lbbbEUlllE0_EEPmJS9_EEE10hipError_tPvRmT3_T4_T5_T6_T7_T9_mT8_P12ihipStream_tbDpT10_ENKUlT_T0_E_clISt17integral_constantIbLb0EES19_IbLb1EEEEDaS15_S16_EUlS15_E_NS1_11comp_targetILNS1_3genE2ELNS1_11target_archE906ELNS1_3gpuE6ELNS1_3repE0EEENS1_30default_config_static_selectorELNS0_4arch9wavefront6targetE1EEEvT1_.num_named_barrier, 0
	.set _ZN7rocprim17ROCPRIM_400000_NS6detail17trampoline_kernelINS0_14default_configENS1_25partition_config_selectorILNS1_17partition_subalgoE9EllbEEZZNS1_14partition_implILS5_9ELb0ES3_jPlS8_PNS0_10empty_typeENS0_5tupleIJS8_S9_EEENSB_IJS8_SA_EEENS0_18inequality_wrapperIZN2at6native12_GLOBAL__N_124unique_dim_cuda_templateItEESt5tupleIJNSF_6TensorESK_SK_EERKSK_lbbbEUlllE0_EEPmJS9_EEE10hipError_tPvRmT3_T4_T5_T6_T7_T9_mT8_P12ihipStream_tbDpT10_ENKUlT_T0_E_clISt17integral_constantIbLb0EES19_IbLb1EEEEDaS15_S16_EUlS15_E_NS1_11comp_targetILNS1_3genE2ELNS1_11target_archE906ELNS1_3gpuE6ELNS1_3repE0EEENS1_30default_config_static_selectorELNS0_4arch9wavefront6targetE1EEEvT1_.private_seg_size, 0
	.set _ZN7rocprim17ROCPRIM_400000_NS6detail17trampoline_kernelINS0_14default_configENS1_25partition_config_selectorILNS1_17partition_subalgoE9EllbEEZZNS1_14partition_implILS5_9ELb0ES3_jPlS8_PNS0_10empty_typeENS0_5tupleIJS8_S9_EEENSB_IJS8_SA_EEENS0_18inequality_wrapperIZN2at6native12_GLOBAL__N_124unique_dim_cuda_templateItEESt5tupleIJNSF_6TensorESK_SK_EERKSK_lbbbEUlllE0_EEPmJS9_EEE10hipError_tPvRmT3_T4_T5_T6_T7_T9_mT8_P12ihipStream_tbDpT10_ENKUlT_T0_E_clISt17integral_constantIbLb0EES19_IbLb1EEEEDaS15_S16_EUlS15_E_NS1_11comp_targetILNS1_3genE2ELNS1_11target_archE906ELNS1_3gpuE6ELNS1_3repE0EEENS1_30default_config_static_selectorELNS0_4arch9wavefront6targetE1EEEvT1_.uses_vcc, 0
	.set _ZN7rocprim17ROCPRIM_400000_NS6detail17trampoline_kernelINS0_14default_configENS1_25partition_config_selectorILNS1_17partition_subalgoE9EllbEEZZNS1_14partition_implILS5_9ELb0ES3_jPlS8_PNS0_10empty_typeENS0_5tupleIJS8_S9_EEENSB_IJS8_SA_EEENS0_18inequality_wrapperIZN2at6native12_GLOBAL__N_124unique_dim_cuda_templateItEESt5tupleIJNSF_6TensorESK_SK_EERKSK_lbbbEUlllE0_EEPmJS9_EEE10hipError_tPvRmT3_T4_T5_T6_T7_T9_mT8_P12ihipStream_tbDpT10_ENKUlT_T0_E_clISt17integral_constantIbLb0EES19_IbLb1EEEEDaS15_S16_EUlS15_E_NS1_11comp_targetILNS1_3genE2ELNS1_11target_archE906ELNS1_3gpuE6ELNS1_3repE0EEENS1_30default_config_static_selectorELNS0_4arch9wavefront6targetE1EEEvT1_.uses_flat_scratch, 0
	.set _ZN7rocprim17ROCPRIM_400000_NS6detail17trampoline_kernelINS0_14default_configENS1_25partition_config_selectorILNS1_17partition_subalgoE9EllbEEZZNS1_14partition_implILS5_9ELb0ES3_jPlS8_PNS0_10empty_typeENS0_5tupleIJS8_S9_EEENSB_IJS8_SA_EEENS0_18inequality_wrapperIZN2at6native12_GLOBAL__N_124unique_dim_cuda_templateItEESt5tupleIJNSF_6TensorESK_SK_EERKSK_lbbbEUlllE0_EEPmJS9_EEE10hipError_tPvRmT3_T4_T5_T6_T7_T9_mT8_P12ihipStream_tbDpT10_ENKUlT_T0_E_clISt17integral_constantIbLb0EES19_IbLb1EEEEDaS15_S16_EUlS15_E_NS1_11comp_targetILNS1_3genE2ELNS1_11target_archE906ELNS1_3gpuE6ELNS1_3repE0EEENS1_30default_config_static_selectorELNS0_4arch9wavefront6targetE1EEEvT1_.has_dyn_sized_stack, 0
	.set _ZN7rocprim17ROCPRIM_400000_NS6detail17trampoline_kernelINS0_14default_configENS1_25partition_config_selectorILNS1_17partition_subalgoE9EllbEEZZNS1_14partition_implILS5_9ELb0ES3_jPlS8_PNS0_10empty_typeENS0_5tupleIJS8_S9_EEENSB_IJS8_SA_EEENS0_18inequality_wrapperIZN2at6native12_GLOBAL__N_124unique_dim_cuda_templateItEESt5tupleIJNSF_6TensorESK_SK_EERKSK_lbbbEUlllE0_EEPmJS9_EEE10hipError_tPvRmT3_T4_T5_T6_T7_T9_mT8_P12ihipStream_tbDpT10_ENKUlT_T0_E_clISt17integral_constantIbLb0EES19_IbLb1EEEEDaS15_S16_EUlS15_E_NS1_11comp_targetILNS1_3genE2ELNS1_11target_archE906ELNS1_3gpuE6ELNS1_3repE0EEENS1_30default_config_static_selectorELNS0_4arch9wavefront6targetE1EEEvT1_.has_recursion, 0
	.set _ZN7rocprim17ROCPRIM_400000_NS6detail17trampoline_kernelINS0_14default_configENS1_25partition_config_selectorILNS1_17partition_subalgoE9EllbEEZZNS1_14partition_implILS5_9ELb0ES3_jPlS8_PNS0_10empty_typeENS0_5tupleIJS8_S9_EEENSB_IJS8_SA_EEENS0_18inequality_wrapperIZN2at6native12_GLOBAL__N_124unique_dim_cuda_templateItEESt5tupleIJNSF_6TensorESK_SK_EERKSK_lbbbEUlllE0_EEPmJS9_EEE10hipError_tPvRmT3_T4_T5_T6_T7_T9_mT8_P12ihipStream_tbDpT10_ENKUlT_T0_E_clISt17integral_constantIbLb0EES19_IbLb1EEEEDaS15_S16_EUlS15_E_NS1_11comp_targetILNS1_3genE2ELNS1_11target_archE906ELNS1_3gpuE6ELNS1_3repE0EEENS1_30default_config_static_selectorELNS0_4arch9wavefront6targetE1EEEvT1_.has_indirect_call, 0
	.section	.AMDGPU.csdata,"",@progbits
; Kernel info:
; codeLenInByte = 0
; TotalNumSgprs: 6
; NumVgprs: 0
; NumAgprs: 0
; TotalNumVgprs: 0
; ScratchSize: 0
; MemoryBound: 0
; FloatMode: 240
; IeeeMode: 1
; LDSByteSize: 0 bytes/workgroup (compile time only)
; SGPRBlocks: 0
; VGPRBlocks: 0
; NumSGPRsForWavesPerEU: 6
; NumVGPRsForWavesPerEU: 1
; AccumOffset: 4
; Occupancy: 8
; WaveLimiterHint : 0
; COMPUTE_PGM_RSRC2:SCRATCH_EN: 0
; COMPUTE_PGM_RSRC2:USER_SGPR: 2
; COMPUTE_PGM_RSRC2:TRAP_HANDLER: 0
; COMPUTE_PGM_RSRC2:TGID_X_EN: 1
; COMPUTE_PGM_RSRC2:TGID_Y_EN: 0
; COMPUTE_PGM_RSRC2:TGID_Z_EN: 0
; COMPUTE_PGM_RSRC2:TIDIG_COMP_CNT: 0
; COMPUTE_PGM_RSRC3_GFX90A:ACCUM_OFFSET: 0
; COMPUTE_PGM_RSRC3_GFX90A:TG_SPLIT: 0
	.section	.text._ZN7rocprim17ROCPRIM_400000_NS6detail17trampoline_kernelINS0_14default_configENS1_25partition_config_selectorILNS1_17partition_subalgoE9EllbEEZZNS1_14partition_implILS5_9ELb0ES3_jPlS8_PNS0_10empty_typeENS0_5tupleIJS8_S9_EEENSB_IJS8_SA_EEENS0_18inequality_wrapperIZN2at6native12_GLOBAL__N_124unique_dim_cuda_templateItEESt5tupleIJNSF_6TensorESK_SK_EERKSK_lbbbEUlllE0_EEPmJS9_EEE10hipError_tPvRmT3_T4_T5_T6_T7_T9_mT8_P12ihipStream_tbDpT10_ENKUlT_T0_E_clISt17integral_constantIbLb0EES19_IbLb1EEEEDaS15_S16_EUlS15_E_NS1_11comp_targetILNS1_3genE10ELNS1_11target_archE1200ELNS1_3gpuE4ELNS1_3repE0EEENS1_30default_config_static_selectorELNS0_4arch9wavefront6targetE1EEEvT1_,"axG",@progbits,_ZN7rocprim17ROCPRIM_400000_NS6detail17trampoline_kernelINS0_14default_configENS1_25partition_config_selectorILNS1_17partition_subalgoE9EllbEEZZNS1_14partition_implILS5_9ELb0ES3_jPlS8_PNS0_10empty_typeENS0_5tupleIJS8_S9_EEENSB_IJS8_SA_EEENS0_18inequality_wrapperIZN2at6native12_GLOBAL__N_124unique_dim_cuda_templateItEESt5tupleIJNSF_6TensorESK_SK_EERKSK_lbbbEUlllE0_EEPmJS9_EEE10hipError_tPvRmT3_T4_T5_T6_T7_T9_mT8_P12ihipStream_tbDpT10_ENKUlT_T0_E_clISt17integral_constantIbLb0EES19_IbLb1EEEEDaS15_S16_EUlS15_E_NS1_11comp_targetILNS1_3genE10ELNS1_11target_archE1200ELNS1_3gpuE4ELNS1_3repE0EEENS1_30default_config_static_selectorELNS0_4arch9wavefront6targetE1EEEvT1_,comdat
	.globl	_ZN7rocprim17ROCPRIM_400000_NS6detail17trampoline_kernelINS0_14default_configENS1_25partition_config_selectorILNS1_17partition_subalgoE9EllbEEZZNS1_14partition_implILS5_9ELb0ES3_jPlS8_PNS0_10empty_typeENS0_5tupleIJS8_S9_EEENSB_IJS8_SA_EEENS0_18inequality_wrapperIZN2at6native12_GLOBAL__N_124unique_dim_cuda_templateItEESt5tupleIJNSF_6TensorESK_SK_EERKSK_lbbbEUlllE0_EEPmJS9_EEE10hipError_tPvRmT3_T4_T5_T6_T7_T9_mT8_P12ihipStream_tbDpT10_ENKUlT_T0_E_clISt17integral_constantIbLb0EES19_IbLb1EEEEDaS15_S16_EUlS15_E_NS1_11comp_targetILNS1_3genE10ELNS1_11target_archE1200ELNS1_3gpuE4ELNS1_3repE0EEENS1_30default_config_static_selectorELNS0_4arch9wavefront6targetE1EEEvT1_ ; -- Begin function _ZN7rocprim17ROCPRIM_400000_NS6detail17trampoline_kernelINS0_14default_configENS1_25partition_config_selectorILNS1_17partition_subalgoE9EllbEEZZNS1_14partition_implILS5_9ELb0ES3_jPlS8_PNS0_10empty_typeENS0_5tupleIJS8_S9_EEENSB_IJS8_SA_EEENS0_18inequality_wrapperIZN2at6native12_GLOBAL__N_124unique_dim_cuda_templateItEESt5tupleIJNSF_6TensorESK_SK_EERKSK_lbbbEUlllE0_EEPmJS9_EEE10hipError_tPvRmT3_T4_T5_T6_T7_T9_mT8_P12ihipStream_tbDpT10_ENKUlT_T0_E_clISt17integral_constantIbLb0EES19_IbLb1EEEEDaS15_S16_EUlS15_E_NS1_11comp_targetILNS1_3genE10ELNS1_11target_archE1200ELNS1_3gpuE4ELNS1_3repE0EEENS1_30default_config_static_selectorELNS0_4arch9wavefront6targetE1EEEvT1_
	.p2align	8
	.type	_ZN7rocprim17ROCPRIM_400000_NS6detail17trampoline_kernelINS0_14default_configENS1_25partition_config_selectorILNS1_17partition_subalgoE9EllbEEZZNS1_14partition_implILS5_9ELb0ES3_jPlS8_PNS0_10empty_typeENS0_5tupleIJS8_S9_EEENSB_IJS8_SA_EEENS0_18inequality_wrapperIZN2at6native12_GLOBAL__N_124unique_dim_cuda_templateItEESt5tupleIJNSF_6TensorESK_SK_EERKSK_lbbbEUlllE0_EEPmJS9_EEE10hipError_tPvRmT3_T4_T5_T6_T7_T9_mT8_P12ihipStream_tbDpT10_ENKUlT_T0_E_clISt17integral_constantIbLb0EES19_IbLb1EEEEDaS15_S16_EUlS15_E_NS1_11comp_targetILNS1_3genE10ELNS1_11target_archE1200ELNS1_3gpuE4ELNS1_3repE0EEENS1_30default_config_static_selectorELNS0_4arch9wavefront6targetE1EEEvT1_,@function
_ZN7rocprim17ROCPRIM_400000_NS6detail17trampoline_kernelINS0_14default_configENS1_25partition_config_selectorILNS1_17partition_subalgoE9EllbEEZZNS1_14partition_implILS5_9ELb0ES3_jPlS8_PNS0_10empty_typeENS0_5tupleIJS8_S9_EEENSB_IJS8_SA_EEENS0_18inequality_wrapperIZN2at6native12_GLOBAL__N_124unique_dim_cuda_templateItEESt5tupleIJNSF_6TensorESK_SK_EERKSK_lbbbEUlllE0_EEPmJS9_EEE10hipError_tPvRmT3_T4_T5_T6_T7_T9_mT8_P12ihipStream_tbDpT10_ENKUlT_T0_E_clISt17integral_constantIbLb0EES19_IbLb1EEEEDaS15_S16_EUlS15_E_NS1_11comp_targetILNS1_3genE10ELNS1_11target_archE1200ELNS1_3gpuE4ELNS1_3repE0EEENS1_30default_config_static_selectorELNS0_4arch9wavefront6targetE1EEEvT1_: ; @_ZN7rocprim17ROCPRIM_400000_NS6detail17trampoline_kernelINS0_14default_configENS1_25partition_config_selectorILNS1_17partition_subalgoE9EllbEEZZNS1_14partition_implILS5_9ELb0ES3_jPlS8_PNS0_10empty_typeENS0_5tupleIJS8_S9_EEENSB_IJS8_SA_EEENS0_18inequality_wrapperIZN2at6native12_GLOBAL__N_124unique_dim_cuda_templateItEESt5tupleIJNSF_6TensorESK_SK_EERKSK_lbbbEUlllE0_EEPmJS9_EEE10hipError_tPvRmT3_T4_T5_T6_T7_T9_mT8_P12ihipStream_tbDpT10_ENKUlT_T0_E_clISt17integral_constantIbLb0EES19_IbLb1EEEEDaS15_S16_EUlS15_E_NS1_11comp_targetILNS1_3genE10ELNS1_11target_archE1200ELNS1_3gpuE4ELNS1_3repE0EEENS1_30default_config_static_selectorELNS0_4arch9wavefront6targetE1EEEvT1_
; %bb.0:
	.section	.rodata,"a",@progbits
	.p2align	6, 0x0
	.amdhsa_kernel _ZN7rocprim17ROCPRIM_400000_NS6detail17trampoline_kernelINS0_14default_configENS1_25partition_config_selectorILNS1_17partition_subalgoE9EllbEEZZNS1_14partition_implILS5_9ELb0ES3_jPlS8_PNS0_10empty_typeENS0_5tupleIJS8_S9_EEENSB_IJS8_SA_EEENS0_18inequality_wrapperIZN2at6native12_GLOBAL__N_124unique_dim_cuda_templateItEESt5tupleIJNSF_6TensorESK_SK_EERKSK_lbbbEUlllE0_EEPmJS9_EEE10hipError_tPvRmT3_T4_T5_T6_T7_T9_mT8_P12ihipStream_tbDpT10_ENKUlT_T0_E_clISt17integral_constantIbLb0EES19_IbLb1EEEEDaS15_S16_EUlS15_E_NS1_11comp_targetILNS1_3genE10ELNS1_11target_archE1200ELNS1_3gpuE4ELNS1_3repE0EEENS1_30default_config_static_selectorELNS0_4arch9wavefront6targetE1EEEvT1_
		.amdhsa_group_segment_fixed_size 0
		.amdhsa_private_segment_fixed_size 0
		.amdhsa_kernarg_size 136
		.amdhsa_user_sgpr_count 2
		.amdhsa_user_sgpr_dispatch_ptr 0
		.amdhsa_user_sgpr_queue_ptr 0
		.amdhsa_user_sgpr_kernarg_segment_ptr 1
		.amdhsa_user_sgpr_dispatch_id 0
		.amdhsa_user_sgpr_kernarg_preload_length 0
		.amdhsa_user_sgpr_kernarg_preload_offset 0
		.amdhsa_user_sgpr_private_segment_size 0
		.amdhsa_uses_dynamic_stack 0
		.amdhsa_enable_private_segment 0
		.amdhsa_system_sgpr_workgroup_id_x 1
		.amdhsa_system_sgpr_workgroup_id_y 0
		.amdhsa_system_sgpr_workgroup_id_z 0
		.amdhsa_system_sgpr_workgroup_info 0
		.amdhsa_system_vgpr_workitem_id 0
		.amdhsa_next_free_vgpr 1
		.amdhsa_next_free_sgpr 0
		.amdhsa_accum_offset 4
		.amdhsa_reserve_vcc 0
		.amdhsa_float_round_mode_32 0
		.amdhsa_float_round_mode_16_64 0
		.amdhsa_float_denorm_mode_32 3
		.amdhsa_float_denorm_mode_16_64 3
		.amdhsa_dx10_clamp 1
		.amdhsa_ieee_mode 1
		.amdhsa_fp16_overflow 0
		.amdhsa_tg_split 0
		.amdhsa_exception_fp_ieee_invalid_op 0
		.amdhsa_exception_fp_denorm_src 0
		.amdhsa_exception_fp_ieee_div_zero 0
		.amdhsa_exception_fp_ieee_overflow 0
		.amdhsa_exception_fp_ieee_underflow 0
		.amdhsa_exception_fp_ieee_inexact 0
		.amdhsa_exception_int_div_zero 0
	.end_amdhsa_kernel
	.section	.text._ZN7rocprim17ROCPRIM_400000_NS6detail17trampoline_kernelINS0_14default_configENS1_25partition_config_selectorILNS1_17partition_subalgoE9EllbEEZZNS1_14partition_implILS5_9ELb0ES3_jPlS8_PNS0_10empty_typeENS0_5tupleIJS8_S9_EEENSB_IJS8_SA_EEENS0_18inequality_wrapperIZN2at6native12_GLOBAL__N_124unique_dim_cuda_templateItEESt5tupleIJNSF_6TensorESK_SK_EERKSK_lbbbEUlllE0_EEPmJS9_EEE10hipError_tPvRmT3_T4_T5_T6_T7_T9_mT8_P12ihipStream_tbDpT10_ENKUlT_T0_E_clISt17integral_constantIbLb0EES19_IbLb1EEEEDaS15_S16_EUlS15_E_NS1_11comp_targetILNS1_3genE10ELNS1_11target_archE1200ELNS1_3gpuE4ELNS1_3repE0EEENS1_30default_config_static_selectorELNS0_4arch9wavefront6targetE1EEEvT1_,"axG",@progbits,_ZN7rocprim17ROCPRIM_400000_NS6detail17trampoline_kernelINS0_14default_configENS1_25partition_config_selectorILNS1_17partition_subalgoE9EllbEEZZNS1_14partition_implILS5_9ELb0ES3_jPlS8_PNS0_10empty_typeENS0_5tupleIJS8_S9_EEENSB_IJS8_SA_EEENS0_18inequality_wrapperIZN2at6native12_GLOBAL__N_124unique_dim_cuda_templateItEESt5tupleIJNSF_6TensorESK_SK_EERKSK_lbbbEUlllE0_EEPmJS9_EEE10hipError_tPvRmT3_T4_T5_T6_T7_T9_mT8_P12ihipStream_tbDpT10_ENKUlT_T0_E_clISt17integral_constantIbLb0EES19_IbLb1EEEEDaS15_S16_EUlS15_E_NS1_11comp_targetILNS1_3genE10ELNS1_11target_archE1200ELNS1_3gpuE4ELNS1_3repE0EEENS1_30default_config_static_selectorELNS0_4arch9wavefront6targetE1EEEvT1_,comdat
.Lfunc_end1480:
	.size	_ZN7rocprim17ROCPRIM_400000_NS6detail17trampoline_kernelINS0_14default_configENS1_25partition_config_selectorILNS1_17partition_subalgoE9EllbEEZZNS1_14partition_implILS5_9ELb0ES3_jPlS8_PNS0_10empty_typeENS0_5tupleIJS8_S9_EEENSB_IJS8_SA_EEENS0_18inequality_wrapperIZN2at6native12_GLOBAL__N_124unique_dim_cuda_templateItEESt5tupleIJNSF_6TensorESK_SK_EERKSK_lbbbEUlllE0_EEPmJS9_EEE10hipError_tPvRmT3_T4_T5_T6_T7_T9_mT8_P12ihipStream_tbDpT10_ENKUlT_T0_E_clISt17integral_constantIbLb0EES19_IbLb1EEEEDaS15_S16_EUlS15_E_NS1_11comp_targetILNS1_3genE10ELNS1_11target_archE1200ELNS1_3gpuE4ELNS1_3repE0EEENS1_30default_config_static_selectorELNS0_4arch9wavefront6targetE1EEEvT1_, .Lfunc_end1480-_ZN7rocprim17ROCPRIM_400000_NS6detail17trampoline_kernelINS0_14default_configENS1_25partition_config_selectorILNS1_17partition_subalgoE9EllbEEZZNS1_14partition_implILS5_9ELb0ES3_jPlS8_PNS0_10empty_typeENS0_5tupleIJS8_S9_EEENSB_IJS8_SA_EEENS0_18inequality_wrapperIZN2at6native12_GLOBAL__N_124unique_dim_cuda_templateItEESt5tupleIJNSF_6TensorESK_SK_EERKSK_lbbbEUlllE0_EEPmJS9_EEE10hipError_tPvRmT3_T4_T5_T6_T7_T9_mT8_P12ihipStream_tbDpT10_ENKUlT_T0_E_clISt17integral_constantIbLb0EES19_IbLb1EEEEDaS15_S16_EUlS15_E_NS1_11comp_targetILNS1_3genE10ELNS1_11target_archE1200ELNS1_3gpuE4ELNS1_3repE0EEENS1_30default_config_static_selectorELNS0_4arch9wavefront6targetE1EEEvT1_
                                        ; -- End function
	.set _ZN7rocprim17ROCPRIM_400000_NS6detail17trampoline_kernelINS0_14default_configENS1_25partition_config_selectorILNS1_17partition_subalgoE9EllbEEZZNS1_14partition_implILS5_9ELb0ES3_jPlS8_PNS0_10empty_typeENS0_5tupleIJS8_S9_EEENSB_IJS8_SA_EEENS0_18inequality_wrapperIZN2at6native12_GLOBAL__N_124unique_dim_cuda_templateItEESt5tupleIJNSF_6TensorESK_SK_EERKSK_lbbbEUlllE0_EEPmJS9_EEE10hipError_tPvRmT3_T4_T5_T6_T7_T9_mT8_P12ihipStream_tbDpT10_ENKUlT_T0_E_clISt17integral_constantIbLb0EES19_IbLb1EEEEDaS15_S16_EUlS15_E_NS1_11comp_targetILNS1_3genE10ELNS1_11target_archE1200ELNS1_3gpuE4ELNS1_3repE0EEENS1_30default_config_static_selectorELNS0_4arch9wavefront6targetE1EEEvT1_.num_vgpr, 0
	.set _ZN7rocprim17ROCPRIM_400000_NS6detail17trampoline_kernelINS0_14default_configENS1_25partition_config_selectorILNS1_17partition_subalgoE9EllbEEZZNS1_14partition_implILS5_9ELb0ES3_jPlS8_PNS0_10empty_typeENS0_5tupleIJS8_S9_EEENSB_IJS8_SA_EEENS0_18inequality_wrapperIZN2at6native12_GLOBAL__N_124unique_dim_cuda_templateItEESt5tupleIJNSF_6TensorESK_SK_EERKSK_lbbbEUlllE0_EEPmJS9_EEE10hipError_tPvRmT3_T4_T5_T6_T7_T9_mT8_P12ihipStream_tbDpT10_ENKUlT_T0_E_clISt17integral_constantIbLb0EES19_IbLb1EEEEDaS15_S16_EUlS15_E_NS1_11comp_targetILNS1_3genE10ELNS1_11target_archE1200ELNS1_3gpuE4ELNS1_3repE0EEENS1_30default_config_static_selectorELNS0_4arch9wavefront6targetE1EEEvT1_.num_agpr, 0
	.set _ZN7rocprim17ROCPRIM_400000_NS6detail17trampoline_kernelINS0_14default_configENS1_25partition_config_selectorILNS1_17partition_subalgoE9EllbEEZZNS1_14partition_implILS5_9ELb0ES3_jPlS8_PNS0_10empty_typeENS0_5tupleIJS8_S9_EEENSB_IJS8_SA_EEENS0_18inequality_wrapperIZN2at6native12_GLOBAL__N_124unique_dim_cuda_templateItEESt5tupleIJNSF_6TensorESK_SK_EERKSK_lbbbEUlllE0_EEPmJS9_EEE10hipError_tPvRmT3_T4_T5_T6_T7_T9_mT8_P12ihipStream_tbDpT10_ENKUlT_T0_E_clISt17integral_constantIbLb0EES19_IbLb1EEEEDaS15_S16_EUlS15_E_NS1_11comp_targetILNS1_3genE10ELNS1_11target_archE1200ELNS1_3gpuE4ELNS1_3repE0EEENS1_30default_config_static_selectorELNS0_4arch9wavefront6targetE1EEEvT1_.numbered_sgpr, 0
	.set _ZN7rocprim17ROCPRIM_400000_NS6detail17trampoline_kernelINS0_14default_configENS1_25partition_config_selectorILNS1_17partition_subalgoE9EllbEEZZNS1_14partition_implILS5_9ELb0ES3_jPlS8_PNS0_10empty_typeENS0_5tupleIJS8_S9_EEENSB_IJS8_SA_EEENS0_18inequality_wrapperIZN2at6native12_GLOBAL__N_124unique_dim_cuda_templateItEESt5tupleIJNSF_6TensorESK_SK_EERKSK_lbbbEUlllE0_EEPmJS9_EEE10hipError_tPvRmT3_T4_T5_T6_T7_T9_mT8_P12ihipStream_tbDpT10_ENKUlT_T0_E_clISt17integral_constantIbLb0EES19_IbLb1EEEEDaS15_S16_EUlS15_E_NS1_11comp_targetILNS1_3genE10ELNS1_11target_archE1200ELNS1_3gpuE4ELNS1_3repE0EEENS1_30default_config_static_selectorELNS0_4arch9wavefront6targetE1EEEvT1_.num_named_barrier, 0
	.set _ZN7rocprim17ROCPRIM_400000_NS6detail17trampoline_kernelINS0_14default_configENS1_25partition_config_selectorILNS1_17partition_subalgoE9EllbEEZZNS1_14partition_implILS5_9ELb0ES3_jPlS8_PNS0_10empty_typeENS0_5tupleIJS8_S9_EEENSB_IJS8_SA_EEENS0_18inequality_wrapperIZN2at6native12_GLOBAL__N_124unique_dim_cuda_templateItEESt5tupleIJNSF_6TensorESK_SK_EERKSK_lbbbEUlllE0_EEPmJS9_EEE10hipError_tPvRmT3_T4_T5_T6_T7_T9_mT8_P12ihipStream_tbDpT10_ENKUlT_T0_E_clISt17integral_constantIbLb0EES19_IbLb1EEEEDaS15_S16_EUlS15_E_NS1_11comp_targetILNS1_3genE10ELNS1_11target_archE1200ELNS1_3gpuE4ELNS1_3repE0EEENS1_30default_config_static_selectorELNS0_4arch9wavefront6targetE1EEEvT1_.private_seg_size, 0
	.set _ZN7rocprim17ROCPRIM_400000_NS6detail17trampoline_kernelINS0_14default_configENS1_25partition_config_selectorILNS1_17partition_subalgoE9EllbEEZZNS1_14partition_implILS5_9ELb0ES3_jPlS8_PNS0_10empty_typeENS0_5tupleIJS8_S9_EEENSB_IJS8_SA_EEENS0_18inequality_wrapperIZN2at6native12_GLOBAL__N_124unique_dim_cuda_templateItEESt5tupleIJNSF_6TensorESK_SK_EERKSK_lbbbEUlllE0_EEPmJS9_EEE10hipError_tPvRmT3_T4_T5_T6_T7_T9_mT8_P12ihipStream_tbDpT10_ENKUlT_T0_E_clISt17integral_constantIbLb0EES19_IbLb1EEEEDaS15_S16_EUlS15_E_NS1_11comp_targetILNS1_3genE10ELNS1_11target_archE1200ELNS1_3gpuE4ELNS1_3repE0EEENS1_30default_config_static_selectorELNS0_4arch9wavefront6targetE1EEEvT1_.uses_vcc, 0
	.set _ZN7rocprim17ROCPRIM_400000_NS6detail17trampoline_kernelINS0_14default_configENS1_25partition_config_selectorILNS1_17partition_subalgoE9EllbEEZZNS1_14partition_implILS5_9ELb0ES3_jPlS8_PNS0_10empty_typeENS0_5tupleIJS8_S9_EEENSB_IJS8_SA_EEENS0_18inequality_wrapperIZN2at6native12_GLOBAL__N_124unique_dim_cuda_templateItEESt5tupleIJNSF_6TensorESK_SK_EERKSK_lbbbEUlllE0_EEPmJS9_EEE10hipError_tPvRmT3_T4_T5_T6_T7_T9_mT8_P12ihipStream_tbDpT10_ENKUlT_T0_E_clISt17integral_constantIbLb0EES19_IbLb1EEEEDaS15_S16_EUlS15_E_NS1_11comp_targetILNS1_3genE10ELNS1_11target_archE1200ELNS1_3gpuE4ELNS1_3repE0EEENS1_30default_config_static_selectorELNS0_4arch9wavefront6targetE1EEEvT1_.uses_flat_scratch, 0
	.set _ZN7rocprim17ROCPRIM_400000_NS6detail17trampoline_kernelINS0_14default_configENS1_25partition_config_selectorILNS1_17partition_subalgoE9EllbEEZZNS1_14partition_implILS5_9ELb0ES3_jPlS8_PNS0_10empty_typeENS0_5tupleIJS8_S9_EEENSB_IJS8_SA_EEENS0_18inequality_wrapperIZN2at6native12_GLOBAL__N_124unique_dim_cuda_templateItEESt5tupleIJNSF_6TensorESK_SK_EERKSK_lbbbEUlllE0_EEPmJS9_EEE10hipError_tPvRmT3_T4_T5_T6_T7_T9_mT8_P12ihipStream_tbDpT10_ENKUlT_T0_E_clISt17integral_constantIbLb0EES19_IbLb1EEEEDaS15_S16_EUlS15_E_NS1_11comp_targetILNS1_3genE10ELNS1_11target_archE1200ELNS1_3gpuE4ELNS1_3repE0EEENS1_30default_config_static_selectorELNS0_4arch9wavefront6targetE1EEEvT1_.has_dyn_sized_stack, 0
	.set _ZN7rocprim17ROCPRIM_400000_NS6detail17trampoline_kernelINS0_14default_configENS1_25partition_config_selectorILNS1_17partition_subalgoE9EllbEEZZNS1_14partition_implILS5_9ELb0ES3_jPlS8_PNS0_10empty_typeENS0_5tupleIJS8_S9_EEENSB_IJS8_SA_EEENS0_18inequality_wrapperIZN2at6native12_GLOBAL__N_124unique_dim_cuda_templateItEESt5tupleIJNSF_6TensorESK_SK_EERKSK_lbbbEUlllE0_EEPmJS9_EEE10hipError_tPvRmT3_T4_T5_T6_T7_T9_mT8_P12ihipStream_tbDpT10_ENKUlT_T0_E_clISt17integral_constantIbLb0EES19_IbLb1EEEEDaS15_S16_EUlS15_E_NS1_11comp_targetILNS1_3genE10ELNS1_11target_archE1200ELNS1_3gpuE4ELNS1_3repE0EEENS1_30default_config_static_selectorELNS0_4arch9wavefront6targetE1EEEvT1_.has_recursion, 0
	.set _ZN7rocprim17ROCPRIM_400000_NS6detail17trampoline_kernelINS0_14default_configENS1_25partition_config_selectorILNS1_17partition_subalgoE9EllbEEZZNS1_14partition_implILS5_9ELb0ES3_jPlS8_PNS0_10empty_typeENS0_5tupleIJS8_S9_EEENSB_IJS8_SA_EEENS0_18inequality_wrapperIZN2at6native12_GLOBAL__N_124unique_dim_cuda_templateItEESt5tupleIJNSF_6TensorESK_SK_EERKSK_lbbbEUlllE0_EEPmJS9_EEE10hipError_tPvRmT3_T4_T5_T6_T7_T9_mT8_P12ihipStream_tbDpT10_ENKUlT_T0_E_clISt17integral_constantIbLb0EES19_IbLb1EEEEDaS15_S16_EUlS15_E_NS1_11comp_targetILNS1_3genE10ELNS1_11target_archE1200ELNS1_3gpuE4ELNS1_3repE0EEENS1_30default_config_static_selectorELNS0_4arch9wavefront6targetE1EEEvT1_.has_indirect_call, 0
	.section	.AMDGPU.csdata,"",@progbits
; Kernel info:
; codeLenInByte = 0
; TotalNumSgprs: 6
; NumVgprs: 0
; NumAgprs: 0
; TotalNumVgprs: 0
; ScratchSize: 0
; MemoryBound: 0
; FloatMode: 240
; IeeeMode: 1
; LDSByteSize: 0 bytes/workgroup (compile time only)
; SGPRBlocks: 0
; VGPRBlocks: 0
; NumSGPRsForWavesPerEU: 6
; NumVGPRsForWavesPerEU: 1
; AccumOffset: 4
; Occupancy: 8
; WaveLimiterHint : 0
; COMPUTE_PGM_RSRC2:SCRATCH_EN: 0
; COMPUTE_PGM_RSRC2:USER_SGPR: 2
; COMPUTE_PGM_RSRC2:TRAP_HANDLER: 0
; COMPUTE_PGM_RSRC2:TGID_X_EN: 1
; COMPUTE_PGM_RSRC2:TGID_Y_EN: 0
; COMPUTE_PGM_RSRC2:TGID_Z_EN: 0
; COMPUTE_PGM_RSRC2:TIDIG_COMP_CNT: 0
; COMPUTE_PGM_RSRC3_GFX90A:ACCUM_OFFSET: 0
; COMPUTE_PGM_RSRC3_GFX90A:TG_SPLIT: 0
	.section	.text._ZN7rocprim17ROCPRIM_400000_NS6detail17trampoline_kernelINS0_14default_configENS1_25partition_config_selectorILNS1_17partition_subalgoE9EllbEEZZNS1_14partition_implILS5_9ELb0ES3_jPlS8_PNS0_10empty_typeENS0_5tupleIJS8_S9_EEENSB_IJS8_SA_EEENS0_18inequality_wrapperIZN2at6native12_GLOBAL__N_124unique_dim_cuda_templateItEESt5tupleIJNSF_6TensorESK_SK_EERKSK_lbbbEUlllE0_EEPmJS9_EEE10hipError_tPvRmT3_T4_T5_T6_T7_T9_mT8_P12ihipStream_tbDpT10_ENKUlT_T0_E_clISt17integral_constantIbLb0EES19_IbLb1EEEEDaS15_S16_EUlS15_E_NS1_11comp_targetILNS1_3genE9ELNS1_11target_archE1100ELNS1_3gpuE3ELNS1_3repE0EEENS1_30default_config_static_selectorELNS0_4arch9wavefront6targetE1EEEvT1_,"axG",@progbits,_ZN7rocprim17ROCPRIM_400000_NS6detail17trampoline_kernelINS0_14default_configENS1_25partition_config_selectorILNS1_17partition_subalgoE9EllbEEZZNS1_14partition_implILS5_9ELb0ES3_jPlS8_PNS0_10empty_typeENS0_5tupleIJS8_S9_EEENSB_IJS8_SA_EEENS0_18inequality_wrapperIZN2at6native12_GLOBAL__N_124unique_dim_cuda_templateItEESt5tupleIJNSF_6TensorESK_SK_EERKSK_lbbbEUlllE0_EEPmJS9_EEE10hipError_tPvRmT3_T4_T5_T6_T7_T9_mT8_P12ihipStream_tbDpT10_ENKUlT_T0_E_clISt17integral_constantIbLb0EES19_IbLb1EEEEDaS15_S16_EUlS15_E_NS1_11comp_targetILNS1_3genE9ELNS1_11target_archE1100ELNS1_3gpuE3ELNS1_3repE0EEENS1_30default_config_static_selectorELNS0_4arch9wavefront6targetE1EEEvT1_,comdat
	.globl	_ZN7rocprim17ROCPRIM_400000_NS6detail17trampoline_kernelINS0_14default_configENS1_25partition_config_selectorILNS1_17partition_subalgoE9EllbEEZZNS1_14partition_implILS5_9ELb0ES3_jPlS8_PNS0_10empty_typeENS0_5tupleIJS8_S9_EEENSB_IJS8_SA_EEENS0_18inequality_wrapperIZN2at6native12_GLOBAL__N_124unique_dim_cuda_templateItEESt5tupleIJNSF_6TensorESK_SK_EERKSK_lbbbEUlllE0_EEPmJS9_EEE10hipError_tPvRmT3_T4_T5_T6_T7_T9_mT8_P12ihipStream_tbDpT10_ENKUlT_T0_E_clISt17integral_constantIbLb0EES19_IbLb1EEEEDaS15_S16_EUlS15_E_NS1_11comp_targetILNS1_3genE9ELNS1_11target_archE1100ELNS1_3gpuE3ELNS1_3repE0EEENS1_30default_config_static_selectorELNS0_4arch9wavefront6targetE1EEEvT1_ ; -- Begin function _ZN7rocprim17ROCPRIM_400000_NS6detail17trampoline_kernelINS0_14default_configENS1_25partition_config_selectorILNS1_17partition_subalgoE9EllbEEZZNS1_14partition_implILS5_9ELb0ES3_jPlS8_PNS0_10empty_typeENS0_5tupleIJS8_S9_EEENSB_IJS8_SA_EEENS0_18inequality_wrapperIZN2at6native12_GLOBAL__N_124unique_dim_cuda_templateItEESt5tupleIJNSF_6TensorESK_SK_EERKSK_lbbbEUlllE0_EEPmJS9_EEE10hipError_tPvRmT3_T4_T5_T6_T7_T9_mT8_P12ihipStream_tbDpT10_ENKUlT_T0_E_clISt17integral_constantIbLb0EES19_IbLb1EEEEDaS15_S16_EUlS15_E_NS1_11comp_targetILNS1_3genE9ELNS1_11target_archE1100ELNS1_3gpuE3ELNS1_3repE0EEENS1_30default_config_static_selectorELNS0_4arch9wavefront6targetE1EEEvT1_
	.p2align	8
	.type	_ZN7rocprim17ROCPRIM_400000_NS6detail17trampoline_kernelINS0_14default_configENS1_25partition_config_selectorILNS1_17partition_subalgoE9EllbEEZZNS1_14partition_implILS5_9ELb0ES3_jPlS8_PNS0_10empty_typeENS0_5tupleIJS8_S9_EEENSB_IJS8_SA_EEENS0_18inequality_wrapperIZN2at6native12_GLOBAL__N_124unique_dim_cuda_templateItEESt5tupleIJNSF_6TensorESK_SK_EERKSK_lbbbEUlllE0_EEPmJS9_EEE10hipError_tPvRmT3_T4_T5_T6_T7_T9_mT8_P12ihipStream_tbDpT10_ENKUlT_T0_E_clISt17integral_constantIbLb0EES19_IbLb1EEEEDaS15_S16_EUlS15_E_NS1_11comp_targetILNS1_3genE9ELNS1_11target_archE1100ELNS1_3gpuE3ELNS1_3repE0EEENS1_30default_config_static_selectorELNS0_4arch9wavefront6targetE1EEEvT1_,@function
_ZN7rocprim17ROCPRIM_400000_NS6detail17trampoline_kernelINS0_14default_configENS1_25partition_config_selectorILNS1_17partition_subalgoE9EllbEEZZNS1_14partition_implILS5_9ELb0ES3_jPlS8_PNS0_10empty_typeENS0_5tupleIJS8_S9_EEENSB_IJS8_SA_EEENS0_18inequality_wrapperIZN2at6native12_GLOBAL__N_124unique_dim_cuda_templateItEESt5tupleIJNSF_6TensorESK_SK_EERKSK_lbbbEUlllE0_EEPmJS9_EEE10hipError_tPvRmT3_T4_T5_T6_T7_T9_mT8_P12ihipStream_tbDpT10_ENKUlT_T0_E_clISt17integral_constantIbLb0EES19_IbLb1EEEEDaS15_S16_EUlS15_E_NS1_11comp_targetILNS1_3genE9ELNS1_11target_archE1100ELNS1_3gpuE3ELNS1_3repE0EEENS1_30default_config_static_selectorELNS0_4arch9wavefront6targetE1EEEvT1_: ; @_ZN7rocprim17ROCPRIM_400000_NS6detail17trampoline_kernelINS0_14default_configENS1_25partition_config_selectorILNS1_17partition_subalgoE9EllbEEZZNS1_14partition_implILS5_9ELb0ES3_jPlS8_PNS0_10empty_typeENS0_5tupleIJS8_S9_EEENSB_IJS8_SA_EEENS0_18inequality_wrapperIZN2at6native12_GLOBAL__N_124unique_dim_cuda_templateItEESt5tupleIJNSF_6TensorESK_SK_EERKSK_lbbbEUlllE0_EEPmJS9_EEE10hipError_tPvRmT3_T4_T5_T6_T7_T9_mT8_P12ihipStream_tbDpT10_ENKUlT_T0_E_clISt17integral_constantIbLb0EES19_IbLb1EEEEDaS15_S16_EUlS15_E_NS1_11comp_targetILNS1_3genE9ELNS1_11target_archE1100ELNS1_3gpuE3ELNS1_3repE0EEENS1_30default_config_static_selectorELNS0_4arch9wavefront6targetE1EEEvT1_
; %bb.0:
	.section	.rodata,"a",@progbits
	.p2align	6, 0x0
	.amdhsa_kernel _ZN7rocprim17ROCPRIM_400000_NS6detail17trampoline_kernelINS0_14default_configENS1_25partition_config_selectorILNS1_17partition_subalgoE9EllbEEZZNS1_14partition_implILS5_9ELb0ES3_jPlS8_PNS0_10empty_typeENS0_5tupleIJS8_S9_EEENSB_IJS8_SA_EEENS0_18inequality_wrapperIZN2at6native12_GLOBAL__N_124unique_dim_cuda_templateItEESt5tupleIJNSF_6TensorESK_SK_EERKSK_lbbbEUlllE0_EEPmJS9_EEE10hipError_tPvRmT3_T4_T5_T6_T7_T9_mT8_P12ihipStream_tbDpT10_ENKUlT_T0_E_clISt17integral_constantIbLb0EES19_IbLb1EEEEDaS15_S16_EUlS15_E_NS1_11comp_targetILNS1_3genE9ELNS1_11target_archE1100ELNS1_3gpuE3ELNS1_3repE0EEENS1_30default_config_static_selectorELNS0_4arch9wavefront6targetE1EEEvT1_
		.amdhsa_group_segment_fixed_size 0
		.amdhsa_private_segment_fixed_size 0
		.amdhsa_kernarg_size 136
		.amdhsa_user_sgpr_count 2
		.amdhsa_user_sgpr_dispatch_ptr 0
		.amdhsa_user_sgpr_queue_ptr 0
		.amdhsa_user_sgpr_kernarg_segment_ptr 1
		.amdhsa_user_sgpr_dispatch_id 0
		.amdhsa_user_sgpr_kernarg_preload_length 0
		.amdhsa_user_sgpr_kernarg_preload_offset 0
		.amdhsa_user_sgpr_private_segment_size 0
		.amdhsa_uses_dynamic_stack 0
		.amdhsa_enable_private_segment 0
		.amdhsa_system_sgpr_workgroup_id_x 1
		.amdhsa_system_sgpr_workgroup_id_y 0
		.amdhsa_system_sgpr_workgroup_id_z 0
		.amdhsa_system_sgpr_workgroup_info 0
		.amdhsa_system_vgpr_workitem_id 0
		.amdhsa_next_free_vgpr 1
		.amdhsa_next_free_sgpr 0
		.amdhsa_accum_offset 4
		.amdhsa_reserve_vcc 0
		.amdhsa_float_round_mode_32 0
		.amdhsa_float_round_mode_16_64 0
		.amdhsa_float_denorm_mode_32 3
		.amdhsa_float_denorm_mode_16_64 3
		.amdhsa_dx10_clamp 1
		.amdhsa_ieee_mode 1
		.amdhsa_fp16_overflow 0
		.amdhsa_tg_split 0
		.amdhsa_exception_fp_ieee_invalid_op 0
		.amdhsa_exception_fp_denorm_src 0
		.amdhsa_exception_fp_ieee_div_zero 0
		.amdhsa_exception_fp_ieee_overflow 0
		.amdhsa_exception_fp_ieee_underflow 0
		.amdhsa_exception_fp_ieee_inexact 0
		.amdhsa_exception_int_div_zero 0
	.end_amdhsa_kernel
	.section	.text._ZN7rocprim17ROCPRIM_400000_NS6detail17trampoline_kernelINS0_14default_configENS1_25partition_config_selectorILNS1_17partition_subalgoE9EllbEEZZNS1_14partition_implILS5_9ELb0ES3_jPlS8_PNS0_10empty_typeENS0_5tupleIJS8_S9_EEENSB_IJS8_SA_EEENS0_18inequality_wrapperIZN2at6native12_GLOBAL__N_124unique_dim_cuda_templateItEESt5tupleIJNSF_6TensorESK_SK_EERKSK_lbbbEUlllE0_EEPmJS9_EEE10hipError_tPvRmT3_T4_T5_T6_T7_T9_mT8_P12ihipStream_tbDpT10_ENKUlT_T0_E_clISt17integral_constantIbLb0EES19_IbLb1EEEEDaS15_S16_EUlS15_E_NS1_11comp_targetILNS1_3genE9ELNS1_11target_archE1100ELNS1_3gpuE3ELNS1_3repE0EEENS1_30default_config_static_selectorELNS0_4arch9wavefront6targetE1EEEvT1_,"axG",@progbits,_ZN7rocprim17ROCPRIM_400000_NS6detail17trampoline_kernelINS0_14default_configENS1_25partition_config_selectorILNS1_17partition_subalgoE9EllbEEZZNS1_14partition_implILS5_9ELb0ES3_jPlS8_PNS0_10empty_typeENS0_5tupleIJS8_S9_EEENSB_IJS8_SA_EEENS0_18inequality_wrapperIZN2at6native12_GLOBAL__N_124unique_dim_cuda_templateItEESt5tupleIJNSF_6TensorESK_SK_EERKSK_lbbbEUlllE0_EEPmJS9_EEE10hipError_tPvRmT3_T4_T5_T6_T7_T9_mT8_P12ihipStream_tbDpT10_ENKUlT_T0_E_clISt17integral_constantIbLb0EES19_IbLb1EEEEDaS15_S16_EUlS15_E_NS1_11comp_targetILNS1_3genE9ELNS1_11target_archE1100ELNS1_3gpuE3ELNS1_3repE0EEENS1_30default_config_static_selectorELNS0_4arch9wavefront6targetE1EEEvT1_,comdat
.Lfunc_end1481:
	.size	_ZN7rocprim17ROCPRIM_400000_NS6detail17trampoline_kernelINS0_14default_configENS1_25partition_config_selectorILNS1_17partition_subalgoE9EllbEEZZNS1_14partition_implILS5_9ELb0ES3_jPlS8_PNS0_10empty_typeENS0_5tupleIJS8_S9_EEENSB_IJS8_SA_EEENS0_18inequality_wrapperIZN2at6native12_GLOBAL__N_124unique_dim_cuda_templateItEESt5tupleIJNSF_6TensorESK_SK_EERKSK_lbbbEUlllE0_EEPmJS9_EEE10hipError_tPvRmT3_T4_T5_T6_T7_T9_mT8_P12ihipStream_tbDpT10_ENKUlT_T0_E_clISt17integral_constantIbLb0EES19_IbLb1EEEEDaS15_S16_EUlS15_E_NS1_11comp_targetILNS1_3genE9ELNS1_11target_archE1100ELNS1_3gpuE3ELNS1_3repE0EEENS1_30default_config_static_selectorELNS0_4arch9wavefront6targetE1EEEvT1_, .Lfunc_end1481-_ZN7rocprim17ROCPRIM_400000_NS6detail17trampoline_kernelINS0_14default_configENS1_25partition_config_selectorILNS1_17partition_subalgoE9EllbEEZZNS1_14partition_implILS5_9ELb0ES3_jPlS8_PNS0_10empty_typeENS0_5tupleIJS8_S9_EEENSB_IJS8_SA_EEENS0_18inequality_wrapperIZN2at6native12_GLOBAL__N_124unique_dim_cuda_templateItEESt5tupleIJNSF_6TensorESK_SK_EERKSK_lbbbEUlllE0_EEPmJS9_EEE10hipError_tPvRmT3_T4_T5_T6_T7_T9_mT8_P12ihipStream_tbDpT10_ENKUlT_T0_E_clISt17integral_constantIbLb0EES19_IbLb1EEEEDaS15_S16_EUlS15_E_NS1_11comp_targetILNS1_3genE9ELNS1_11target_archE1100ELNS1_3gpuE3ELNS1_3repE0EEENS1_30default_config_static_selectorELNS0_4arch9wavefront6targetE1EEEvT1_
                                        ; -- End function
	.set _ZN7rocprim17ROCPRIM_400000_NS6detail17trampoline_kernelINS0_14default_configENS1_25partition_config_selectorILNS1_17partition_subalgoE9EllbEEZZNS1_14partition_implILS5_9ELb0ES3_jPlS8_PNS0_10empty_typeENS0_5tupleIJS8_S9_EEENSB_IJS8_SA_EEENS0_18inequality_wrapperIZN2at6native12_GLOBAL__N_124unique_dim_cuda_templateItEESt5tupleIJNSF_6TensorESK_SK_EERKSK_lbbbEUlllE0_EEPmJS9_EEE10hipError_tPvRmT3_T4_T5_T6_T7_T9_mT8_P12ihipStream_tbDpT10_ENKUlT_T0_E_clISt17integral_constantIbLb0EES19_IbLb1EEEEDaS15_S16_EUlS15_E_NS1_11comp_targetILNS1_3genE9ELNS1_11target_archE1100ELNS1_3gpuE3ELNS1_3repE0EEENS1_30default_config_static_selectorELNS0_4arch9wavefront6targetE1EEEvT1_.num_vgpr, 0
	.set _ZN7rocprim17ROCPRIM_400000_NS6detail17trampoline_kernelINS0_14default_configENS1_25partition_config_selectorILNS1_17partition_subalgoE9EllbEEZZNS1_14partition_implILS5_9ELb0ES3_jPlS8_PNS0_10empty_typeENS0_5tupleIJS8_S9_EEENSB_IJS8_SA_EEENS0_18inequality_wrapperIZN2at6native12_GLOBAL__N_124unique_dim_cuda_templateItEESt5tupleIJNSF_6TensorESK_SK_EERKSK_lbbbEUlllE0_EEPmJS9_EEE10hipError_tPvRmT3_T4_T5_T6_T7_T9_mT8_P12ihipStream_tbDpT10_ENKUlT_T0_E_clISt17integral_constantIbLb0EES19_IbLb1EEEEDaS15_S16_EUlS15_E_NS1_11comp_targetILNS1_3genE9ELNS1_11target_archE1100ELNS1_3gpuE3ELNS1_3repE0EEENS1_30default_config_static_selectorELNS0_4arch9wavefront6targetE1EEEvT1_.num_agpr, 0
	.set _ZN7rocprim17ROCPRIM_400000_NS6detail17trampoline_kernelINS0_14default_configENS1_25partition_config_selectorILNS1_17partition_subalgoE9EllbEEZZNS1_14partition_implILS5_9ELb0ES3_jPlS8_PNS0_10empty_typeENS0_5tupleIJS8_S9_EEENSB_IJS8_SA_EEENS0_18inequality_wrapperIZN2at6native12_GLOBAL__N_124unique_dim_cuda_templateItEESt5tupleIJNSF_6TensorESK_SK_EERKSK_lbbbEUlllE0_EEPmJS9_EEE10hipError_tPvRmT3_T4_T5_T6_T7_T9_mT8_P12ihipStream_tbDpT10_ENKUlT_T0_E_clISt17integral_constantIbLb0EES19_IbLb1EEEEDaS15_S16_EUlS15_E_NS1_11comp_targetILNS1_3genE9ELNS1_11target_archE1100ELNS1_3gpuE3ELNS1_3repE0EEENS1_30default_config_static_selectorELNS0_4arch9wavefront6targetE1EEEvT1_.numbered_sgpr, 0
	.set _ZN7rocprim17ROCPRIM_400000_NS6detail17trampoline_kernelINS0_14default_configENS1_25partition_config_selectorILNS1_17partition_subalgoE9EllbEEZZNS1_14partition_implILS5_9ELb0ES3_jPlS8_PNS0_10empty_typeENS0_5tupleIJS8_S9_EEENSB_IJS8_SA_EEENS0_18inequality_wrapperIZN2at6native12_GLOBAL__N_124unique_dim_cuda_templateItEESt5tupleIJNSF_6TensorESK_SK_EERKSK_lbbbEUlllE0_EEPmJS9_EEE10hipError_tPvRmT3_T4_T5_T6_T7_T9_mT8_P12ihipStream_tbDpT10_ENKUlT_T0_E_clISt17integral_constantIbLb0EES19_IbLb1EEEEDaS15_S16_EUlS15_E_NS1_11comp_targetILNS1_3genE9ELNS1_11target_archE1100ELNS1_3gpuE3ELNS1_3repE0EEENS1_30default_config_static_selectorELNS0_4arch9wavefront6targetE1EEEvT1_.num_named_barrier, 0
	.set _ZN7rocprim17ROCPRIM_400000_NS6detail17trampoline_kernelINS0_14default_configENS1_25partition_config_selectorILNS1_17partition_subalgoE9EllbEEZZNS1_14partition_implILS5_9ELb0ES3_jPlS8_PNS0_10empty_typeENS0_5tupleIJS8_S9_EEENSB_IJS8_SA_EEENS0_18inequality_wrapperIZN2at6native12_GLOBAL__N_124unique_dim_cuda_templateItEESt5tupleIJNSF_6TensorESK_SK_EERKSK_lbbbEUlllE0_EEPmJS9_EEE10hipError_tPvRmT3_T4_T5_T6_T7_T9_mT8_P12ihipStream_tbDpT10_ENKUlT_T0_E_clISt17integral_constantIbLb0EES19_IbLb1EEEEDaS15_S16_EUlS15_E_NS1_11comp_targetILNS1_3genE9ELNS1_11target_archE1100ELNS1_3gpuE3ELNS1_3repE0EEENS1_30default_config_static_selectorELNS0_4arch9wavefront6targetE1EEEvT1_.private_seg_size, 0
	.set _ZN7rocprim17ROCPRIM_400000_NS6detail17trampoline_kernelINS0_14default_configENS1_25partition_config_selectorILNS1_17partition_subalgoE9EllbEEZZNS1_14partition_implILS5_9ELb0ES3_jPlS8_PNS0_10empty_typeENS0_5tupleIJS8_S9_EEENSB_IJS8_SA_EEENS0_18inequality_wrapperIZN2at6native12_GLOBAL__N_124unique_dim_cuda_templateItEESt5tupleIJNSF_6TensorESK_SK_EERKSK_lbbbEUlllE0_EEPmJS9_EEE10hipError_tPvRmT3_T4_T5_T6_T7_T9_mT8_P12ihipStream_tbDpT10_ENKUlT_T0_E_clISt17integral_constantIbLb0EES19_IbLb1EEEEDaS15_S16_EUlS15_E_NS1_11comp_targetILNS1_3genE9ELNS1_11target_archE1100ELNS1_3gpuE3ELNS1_3repE0EEENS1_30default_config_static_selectorELNS0_4arch9wavefront6targetE1EEEvT1_.uses_vcc, 0
	.set _ZN7rocprim17ROCPRIM_400000_NS6detail17trampoline_kernelINS0_14default_configENS1_25partition_config_selectorILNS1_17partition_subalgoE9EllbEEZZNS1_14partition_implILS5_9ELb0ES3_jPlS8_PNS0_10empty_typeENS0_5tupleIJS8_S9_EEENSB_IJS8_SA_EEENS0_18inequality_wrapperIZN2at6native12_GLOBAL__N_124unique_dim_cuda_templateItEESt5tupleIJNSF_6TensorESK_SK_EERKSK_lbbbEUlllE0_EEPmJS9_EEE10hipError_tPvRmT3_T4_T5_T6_T7_T9_mT8_P12ihipStream_tbDpT10_ENKUlT_T0_E_clISt17integral_constantIbLb0EES19_IbLb1EEEEDaS15_S16_EUlS15_E_NS1_11comp_targetILNS1_3genE9ELNS1_11target_archE1100ELNS1_3gpuE3ELNS1_3repE0EEENS1_30default_config_static_selectorELNS0_4arch9wavefront6targetE1EEEvT1_.uses_flat_scratch, 0
	.set _ZN7rocprim17ROCPRIM_400000_NS6detail17trampoline_kernelINS0_14default_configENS1_25partition_config_selectorILNS1_17partition_subalgoE9EllbEEZZNS1_14partition_implILS5_9ELb0ES3_jPlS8_PNS0_10empty_typeENS0_5tupleIJS8_S9_EEENSB_IJS8_SA_EEENS0_18inequality_wrapperIZN2at6native12_GLOBAL__N_124unique_dim_cuda_templateItEESt5tupleIJNSF_6TensorESK_SK_EERKSK_lbbbEUlllE0_EEPmJS9_EEE10hipError_tPvRmT3_T4_T5_T6_T7_T9_mT8_P12ihipStream_tbDpT10_ENKUlT_T0_E_clISt17integral_constantIbLb0EES19_IbLb1EEEEDaS15_S16_EUlS15_E_NS1_11comp_targetILNS1_3genE9ELNS1_11target_archE1100ELNS1_3gpuE3ELNS1_3repE0EEENS1_30default_config_static_selectorELNS0_4arch9wavefront6targetE1EEEvT1_.has_dyn_sized_stack, 0
	.set _ZN7rocprim17ROCPRIM_400000_NS6detail17trampoline_kernelINS0_14default_configENS1_25partition_config_selectorILNS1_17partition_subalgoE9EllbEEZZNS1_14partition_implILS5_9ELb0ES3_jPlS8_PNS0_10empty_typeENS0_5tupleIJS8_S9_EEENSB_IJS8_SA_EEENS0_18inequality_wrapperIZN2at6native12_GLOBAL__N_124unique_dim_cuda_templateItEESt5tupleIJNSF_6TensorESK_SK_EERKSK_lbbbEUlllE0_EEPmJS9_EEE10hipError_tPvRmT3_T4_T5_T6_T7_T9_mT8_P12ihipStream_tbDpT10_ENKUlT_T0_E_clISt17integral_constantIbLb0EES19_IbLb1EEEEDaS15_S16_EUlS15_E_NS1_11comp_targetILNS1_3genE9ELNS1_11target_archE1100ELNS1_3gpuE3ELNS1_3repE0EEENS1_30default_config_static_selectorELNS0_4arch9wavefront6targetE1EEEvT1_.has_recursion, 0
	.set _ZN7rocprim17ROCPRIM_400000_NS6detail17trampoline_kernelINS0_14default_configENS1_25partition_config_selectorILNS1_17partition_subalgoE9EllbEEZZNS1_14partition_implILS5_9ELb0ES3_jPlS8_PNS0_10empty_typeENS0_5tupleIJS8_S9_EEENSB_IJS8_SA_EEENS0_18inequality_wrapperIZN2at6native12_GLOBAL__N_124unique_dim_cuda_templateItEESt5tupleIJNSF_6TensorESK_SK_EERKSK_lbbbEUlllE0_EEPmJS9_EEE10hipError_tPvRmT3_T4_T5_T6_T7_T9_mT8_P12ihipStream_tbDpT10_ENKUlT_T0_E_clISt17integral_constantIbLb0EES19_IbLb1EEEEDaS15_S16_EUlS15_E_NS1_11comp_targetILNS1_3genE9ELNS1_11target_archE1100ELNS1_3gpuE3ELNS1_3repE0EEENS1_30default_config_static_selectorELNS0_4arch9wavefront6targetE1EEEvT1_.has_indirect_call, 0
	.section	.AMDGPU.csdata,"",@progbits
; Kernel info:
; codeLenInByte = 0
; TotalNumSgprs: 6
; NumVgprs: 0
; NumAgprs: 0
; TotalNumVgprs: 0
; ScratchSize: 0
; MemoryBound: 0
; FloatMode: 240
; IeeeMode: 1
; LDSByteSize: 0 bytes/workgroup (compile time only)
; SGPRBlocks: 0
; VGPRBlocks: 0
; NumSGPRsForWavesPerEU: 6
; NumVGPRsForWavesPerEU: 1
; AccumOffset: 4
; Occupancy: 8
; WaveLimiterHint : 0
; COMPUTE_PGM_RSRC2:SCRATCH_EN: 0
; COMPUTE_PGM_RSRC2:USER_SGPR: 2
; COMPUTE_PGM_RSRC2:TRAP_HANDLER: 0
; COMPUTE_PGM_RSRC2:TGID_X_EN: 1
; COMPUTE_PGM_RSRC2:TGID_Y_EN: 0
; COMPUTE_PGM_RSRC2:TGID_Z_EN: 0
; COMPUTE_PGM_RSRC2:TIDIG_COMP_CNT: 0
; COMPUTE_PGM_RSRC3_GFX90A:ACCUM_OFFSET: 0
; COMPUTE_PGM_RSRC3_GFX90A:TG_SPLIT: 0
	.section	.text._ZN7rocprim17ROCPRIM_400000_NS6detail17trampoline_kernelINS0_14default_configENS1_25partition_config_selectorILNS1_17partition_subalgoE9EllbEEZZNS1_14partition_implILS5_9ELb0ES3_jPlS8_PNS0_10empty_typeENS0_5tupleIJS8_S9_EEENSB_IJS8_SA_EEENS0_18inequality_wrapperIZN2at6native12_GLOBAL__N_124unique_dim_cuda_templateItEESt5tupleIJNSF_6TensorESK_SK_EERKSK_lbbbEUlllE0_EEPmJS9_EEE10hipError_tPvRmT3_T4_T5_T6_T7_T9_mT8_P12ihipStream_tbDpT10_ENKUlT_T0_E_clISt17integral_constantIbLb0EES19_IbLb1EEEEDaS15_S16_EUlS15_E_NS1_11comp_targetILNS1_3genE8ELNS1_11target_archE1030ELNS1_3gpuE2ELNS1_3repE0EEENS1_30default_config_static_selectorELNS0_4arch9wavefront6targetE1EEEvT1_,"axG",@progbits,_ZN7rocprim17ROCPRIM_400000_NS6detail17trampoline_kernelINS0_14default_configENS1_25partition_config_selectorILNS1_17partition_subalgoE9EllbEEZZNS1_14partition_implILS5_9ELb0ES3_jPlS8_PNS0_10empty_typeENS0_5tupleIJS8_S9_EEENSB_IJS8_SA_EEENS0_18inequality_wrapperIZN2at6native12_GLOBAL__N_124unique_dim_cuda_templateItEESt5tupleIJNSF_6TensorESK_SK_EERKSK_lbbbEUlllE0_EEPmJS9_EEE10hipError_tPvRmT3_T4_T5_T6_T7_T9_mT8_P12ihipStream_tbDpT10_ENKUlT_T0_E_clISt17integral_constantIbLb0EES19_IbLb1EEEEDaS15_S16_EUlS15_E_NS1_11comp_targetILNS1_3genE8ELNS1_11target_archE1030ELNS1_3gpuE2ELNS1_3repE0EEENS1_30default_config_static_selectorELNS0_4arch9wavefront6targetE1EEEvT1_,comdat
	.globl	_ZN7rocprim17ROCPRIM_400000_NS6detail17trampoline_kernelINS0_14default_configENS1_25partition_config_selectorILNS1_17partition_subalgoE9EllbEEZZNS1_14partition_implILS5_9ELb0ES3_jPlS8_PNS0_10empty_typeENS0_5tupleIJS8_S9_EEENSB_IJS8_SA_EEENS0_18inequality_wrapperIZN2at6native12_GLOBAL__N_124unique_dim_cuda_templateItEESt5tupleIJNSF_6TensorESK_SK_EERKSK_lbbbEUlllE0_EEPmJS9_EEE10hipError_tPvRmT3_T4_T5_T6_T7_T9_mT8_P12ihipStream_tbDpT10_ENKUlT_T0_E_clISt17integral_constantIbLb0EES19_IbLb1EEEEDaS15_S16_EUlS15_E_NS1_11comp_targetILNS1_3genE8ELNS1_11target_archE1030ELNS1_3gpuE2ELNS1_3repE0EEENS1_30default_config_static_selectorELNS0_4arch9wavefront6targetE1EEEvT1_ ; -- Begin function _ZN7rocprim17ROCPRIM_400000_NS6detail17trampoline_kernelINS0_14default_configENS1_25partition_config_selectorILNS1_17partition_subalgoE9EllbEEZZNS1_14partition_implILS5_9ELb0ES3_jPlS8_PNS0_10empty_typeENS0_5tupleIJS8_S9_EEENSB_IJS8_SA_EEENS0_18inequality_wrapperIZN2at6native12_GLOBAL__N_124unique_dim_cuda_templateItEESt5tupleIJNSF_6TensorESK_SK_EERKSK_lbbbEUlllE0_EEPmJS9_EEE10hipError_tPvRmT3_T4_T5_T6_T7_T9_mT8_P12ihipStream_tbDpT10_ENKUlT_T0_E_clISt17integral_constantIbLb0EES19_IbLb1EEEEDaS15_S16_EUlS15_E_NS1_11comp_targetILNS1_3genE8ELNS1_11target_archE1030ELNS1_3gpuE2ELNS1_3repE0EEENS1_30default_config_static_selectorELNS0_4arch9wavefront6targetE1EEEvT1_
	.p2align	8
	.type	_ZN7rocprim17ROCPRIM_400000_NS6detail17trampoline_kernelINS0_14default_configENS1_25partition_config_selectorILNS1_17partition_subalgoE9EllbEEZZNS1_14partition_implILS5_9ELb0ES3_jPlS8_PNS0_10empty_typeENS0_5tupleIJS8_S9_EEENSB_IJS8_SA_EEENS0_18inequality_wrapperIZN2at6native12_GLOBAL__N_124unique_dim_cuda_templateItEESt5tupleIJNSF_6TensorESK_SK_EERKSK_lbbbEUlllE0_EEPmJS9_EEE10hipError_tPvRmT3_T4_T5_T6_T7_T9_mT8_P12ihipStream_tbDpT10_ENKUlT_T0_E_clISt17integral_constantIbLb0EES19_IbLb1EEEEDaS15_S16_EUlS15_E_NS1_11comp_targetILNS1_3genE8ELNS1_11target_archE1030ELNS1_3gpuE2ELNS1_3repE0EEENS1_30default_config_static_selectorELNS0_4arch9wavefront6targetE1EEEvT1_,@function
_ZN7rocprim17ROCPRIM_400000_NS6detail17trampoline_kernelINS0_14default_configENS1_25partition_config_selectorILNS1_17partition_subalgoE9EllbEEZZNS1_14partition_implILS5_9ELb0ES3_jPlS8_PNS0_10empty_typeENS0_5tupleIJS8_S9_EEENSB_IJS8_SA_EEENS0_18inequality_wrapperIZN2at6native12_GLOBAL__N_124unique_dim_cuda_templateItEESt5tupleIJNSF_6TensorESK_SK_EERKSK_lbbbEUlllE0_EEPmJS9_EEE10hipError_tPvRmT3_T4_T5_T6_T7_T9_mT8_P12ihipStream_tbDpT10_ENKUlT_T0_E_clISt17integral_constantIbLb0EES19_IbLb1EEEEDaS15_S16_EUlS15_E_NS1_11comp_targetILNS1_3genE8ELNS1_11target_archE1030ELNS1_3gpuE2ELNS1_3repE0EEENS1_30default_config_static_selectorELNS0_4arch9wavefront6targetE1EEEvT1_: ; @_ZN7rocprim17ROCPRIM_400000_NS6detail17trampoline_kernelINS0_14default_configENS1_25partition_config_selectorILNS1_17partition_subalgoE9EllbEEZZNS1_14partition_implILS5_9ELb0ES3_jPlS8_PNS0_10empty_typeENS0_5tupleIJS8_S9_EEENSB_IJS8_SA_EEENS0_18inequality_wrapperIZN2at6native12_GLOBAL__N_124unique_dim_cuda_templateItEESt5tupleIJNSF_6TensorESK_SK_EERKSK_lbbbEUlllE0_EEPmJS9_EEE10hipError_tPvRmT3_T4_T5_T6_T7_T9_mT8_P12ihipStream_tbDpT10_ENKUlT_T0_E_clISt17integral_constantIbLb0EES19_IbLb1EEEEDaS15_S16_EUlS15_E_NS1_11comp_targetILNS1_3genE8ELNS1_11target_archE1030ELNS1_3gpuE2ELNS1_3repE0EEENS1_30default_config_static_selectorELNS0_4arch9wavefront6targetE1EEEvT1_
; %bb.0:
	.section	.rodata,"a",@progbits
	.p2align	6, 0x0
	.amdhsa_kernel _ZN7rocprim17ROCPRIM_400000_NS6detail17trampoline_kernelINS0_14default_configENS1_25partition_config_selectorILNS1_17partition_subalgoE9EllbEEZZNS1_14partition_implILS5_9ELb0ES3_jPlS8_PNS0_10empty_typeENS0_5tupleIJS8_S9_EEENSB_IJS8_SA_EEENS0_18inequality_wrapperIZN2at6native12_GLOBAL__N_124unique_dim_cuda_templateItEESt5tupleIJNSF_6TensorESK_SK_EERKSK_lbbbEUlllE0_EEPmJS9_EEE10hipError_tPvRmT3_T4_T5_T6_T7_T9_mT8_P12ihipStream_tbDpT10_ENKUlT_T0_E_clISt17integral_constantIbLb0EES19_IbLb1EEEEDaS15_S16_EUlS15_E_NS1_11comp_targetILNS1_3genE8ELNS1_11target_archE1030ELNS1_3gpuE2ELNS1_3repE0EEENS1_30default_config_static_selectorELNS0_4arch9wavefront6targetE1EEEvT1_
		.amdhsa_group_segment_fixed_size 0
		.amdhsa_private_segment_fixed_size 0
		.amdhsa_kernarg_size 136
		.amdhsa_user_sgpr_count 2
		.amdhsa_user_sgpr_dispatch_ptr 0
		.amdhsa_user_sgpr_queue_ptr 0
		.amdhsa_user_sgpr_kernarg_segment_ptr 1
		.amdhsa_user_sgpr_dispatch_id 0
		.amdhsa_user_sgpr_kernarg_preload_length 0
		.amdhsa_user_sgpr_kernarg_preload_offset 0
		.amdhsa_user_sgpr_private_segment_size 0
		.amdhsa_uses_dynamic_stack 0
		.amdhsa_enable_private_segment 0
		.amdhsa_system_sgpr_workgroup_id_x 1
		.amdhsa_system_sgpr_workgroup_id_y 0
		.amdhsa_system_sgpr_workgroup_id_z 0
		.amdhsa_system_sgpr_workgroup_info 0
		.amdhsa_system_vgpr_workitem_id 0
		.amdhsa_next_free_vgpr 1
		.amdhsa_next_free_sgpr 0
		.amdhsa_accum_offset 4
		.amdhsa_reserve_vcc 0
		.amdhsa_float_round_mode_32 0
		.amdhsa_float_round_mode_16_64 0
		.amdhsa_float_denorm_mode_32 3
		.amdhsa_float_denorm_mode_16_64 3
		.amdhsa_dx10_clamp 1
		.amdhsa_ieee_mode 1
		.amdhsa_fp16_overflow 0
		.amdhsa_tg_split 0
		.amdhsa_exception_fp_ieee_invalid_op 0
		.amdhsa_exception_fp_denorm_src 0
		.amdhsa_exception_fp_ieee_div_zero 0
		.amdhsa_exception_fp_ieee_overflow 0
		.amdhsa_exception_fp_ieee_underflow 0
		.amdhsa_exception_fp_ieee_inexact 0
		.amdhsa_exception_int_div_zero 0
	.end_amdhsa_kernel
	.section	.text._ZN7rocprim17ROCPRIM_400000_NS6detail17trampoline_kernelINS0_14default_configENS1_25partition_config_selectorILNS1_17partition_subalgoE9EllbEEZZNS1_14partition_implILS5_9ELb0ES3_jPlS8_PNS0_10empty_typeENS0_5tupleIJS8_S9_EEENSB_IJS8_SA_EEENS0_18inequality_wrapperIZN2at6native12_GLOBAL__N_124unique_dim_cuda_templateItEESt5tupleIJNSF_6TensorESK_SK_EERKSK_lbbbEUlllE0_EEPmJS9_EEE10hipError_tPvRmT3_T4_T5_T6_T7_T9_mT8_P12ihipStream_tbDpT10_ENKUlT_T0_E_clISt17integral_constantIbLb0EES19_IbLb1EEEEDaS15_S16_EUlS15_E_NS1_11comp_targetILNS1_3genE8ELNS1_11target_archE1030ELNS1_3gpuE2ELNS1_3repE0EEENS1_30default_config_static_selectorELNS0_4arch9wavefront6targetE1EEEvT1_,"axG",@progbits,_ZN7rocprim17ROCPRIM_400000_NS6detail17trampoline_kernelINS0_14default_configENS1_25partition_config_selectorILNS1_17partition_subalgoE9EllbEEZZNS1_14partition_implILS5_9ELb0ES3_jPlS8_PNS0_10empty_typeENS0_5tupleIJS8_S9_EEENSB_IJS8_SA_EEENS0_18inequality_wrapperIZN2at6native12_GLOBAL__N_124unique_dim_cuda_templateItEESt5tupleIJNSF_6TensorESK_SK_EERKSK_lbbbEUlllE0_EEPmJS9_EEE10hipError_tPvRmT3_T4_T5_T6_T7_T9_mT8_P12ihipStream_tbDpT10_ENKUlT_T0_E_clISt17integral_constantIbLb0EES19_IbLb1EEEEDaS15_S16_EUlS15_E_NS1_11comp_targetILNS1_3genE8ELNS1_11target_archE1030ELNS1_3gpuE2ELNS1_3repE0EEENS1_30default_config_static_selectorELNS0_4arch9wavefront6targetE1EEEvT1_,comdat
.Lfunc_end1482:
	.size	_ZN7rocprim17ROCPRIM_400000_NS6detail17trampoline_kernelINS0_14default_configENS1_25partition_config_selectorILNS1_17partition_subalgoE9EllbEEZZNS1_14partition_implILS5_9ELb0ES3_jPlS8_PNS0_10empty_typeENS0_5tupleIJS8_S9_EEENSB_IJS8_SA_EEENS0_18inequality_wrapperIZN2at6native12_GLOBAL__N_124unique_dim_cuda_templateItEESt5tupleIJNSF_6TensorESK_SK_EERKSK_lbbbEUlllE0_EEPmJS9_EEE10hipError_tPvRmT3_T4_T5_T6_T7_T9_mT8_P12ihipStream_tbDpT10_ENKUlT_T0_E_clISt17integral_constantIbLb0EES19_IbLb1EEEEDaS15_S16_EUlS15_E_NS1_11comp_targetILNS1_3genE8ELNS1_11target_archE1030ELNS1_3gpuE2ELNS1_3repE0EEENS1_30default_config_static_selectorELNS0_4arch9wavefront6targetE1EEEvT1_, .Lfunc_end1482-_ZN7rocprim17ROCPRIM_400000_NS6detail17trampoline_kernelINS0_14default_configENS1_25partition_config_selectorILNS1_17partition_subalgoE9EllbEEZZNS1_14partition_implILS5_9ELb0ES3_jPlS8_PNS0_10empty_typeENS0_5tupleIJS8_S9_EEENSB_IJS8_SA_EEENS0_18inequality_wrapperIZN2at6native12_GLOBAL__N_124unique_dim_cuda_templateItEESt5tupleIJNSF_6TensorESK_SK_EERKSK_lbbbEUlllE0_EEPmJS9_EEE10hipError_tPvRmT3_T4_T5_T6_T7_T9_mT8_P12ihipStream_tbDpT10_ENKUlT_T0_E_clISt17integral_constantIbLb0EES19_IbLb1EEEEDaS15_S16_EUlS15_E_NS1_11comp_targetILNS1_3genE8ELNS1_11target_archE1030ELNS1_3gpuE2ELNS1_3repE0EEENS1_30default_config_static_selectorELNS0_4arch9wavefront6targetE1EEEvT1_
                                        ; -- End function
	.set _ZN7rocprim17ROCPRIM_400000_NS6detail17trampoline_kernelINS0_14default_configENS1_25partition_config_selectorILNS1_17partition_subalgoE9EllbEEZZNS1_14partition_implILS5_9ELb0ES3_jPlS8_PNS0_10empty_typeENS0_5tupleIJS8_S9_EEENSB_IJS8_SA_EEENS0_18inequality_wrapperIZN2at6native12_GLOBAL__N_124unique_dim_cuda_templateItEESt5tupleIJNSF_6TensorESK_SK_EERKSK_lbbbEUlllE0_EEPmJS9_EEE10hipError_tPvRmT3_T4_T5_T6_T7_T9_mT8_P12ihipStream_tbDpT10_ENKUlT_T0_E_clISt17integral_constantIbLb0EES19_IbLb1EEEEDaS15_S16_EUlS15_E_NS1_11comp_targetILNS1_3genE8ELNS1_11target_archE1030ELNS1_3gpuE2ELNS1_3repE0EEENS1_30default_config_static_selectorELNS0_4arch9wavefront6targetE1EEEvT1_.num_vgpr, 0
	.set _ZN7rocprim17ROCPRIM_400000_NS6detail17trampoline_kernelINS0_14default_configENS1_25partition_config_selectorILNS1_17partition_subalgoE9EllbEEZZNS1_14partition_implILS5_9ELb0ES3_jPlS8_PNS0_10empty_typeENS0_5tupleIJS8_S9_EEENSB_IJS8_SA_EEENS0_18inequality_wrapperIZN2at6native12_GLOBAL__N_124unique_dim_cuda_templateItEESt5tupleIJNSF_6TensorESK_SK_EERKSK_lbbbEUlllE0_EEPmJS9_EEE10hipError_tPvRmT3_T4_T5_T6_T7_T9_mT8_P12ihipStream_tbDpT10_ENKUlT_T0_E_clISt17integral_constantIbLb0EES19_IbLb1EEEEDaS15_S16_EUlS15_E_NS1_11comp_targetILNS1_3genE8ELNS1_11target_archE1030ELNS1_3gpuE2ELNS1_3repE0EEENS1_30default_config_static_selectorELNS0_4arch9wavefront6targetE1EEEvT1_.num_agpr, 0
	.set _ZN7rocprim17ROCPRIM_400000_NS6detail17trampoline_kernelINS0_14default_configENS1_25partition_config_selectorILNS1_17partition_subalgoE9EllbEEZZNS1_14partition_implILS5_9ELb0ES3_jPlS8_PNS0_10empty_typeENS0_5tupleIJS8_S9_EEENSB_IJS8_SA_EEENS0_18inequality_wrapperIZN2at6native12_GLOBAL__N_124unique_dim_cuda_templateItEESt5tupleIJNSF_6TensorESK_SK_EERKSK_lbbbEUlllE0_EEPmJS9_EEE10hipError_tPvRmT3_T4_T5_T6_T7_T9_mT8_P12ihipStream_tbDpT10_ENKUlT_T0_E_clISt17integral_constantIbLb0EES19_IbLb1EEEEDaS15_S16_EUlS15_E_NS1_11comp_targetILNS1_3genE8ELNS1_11target_archE1030ELNS1_3gpuE2ELNS1_3repE0EEENS1_30default_config_static_selectorELNS0_4arch9wavefront6targetE1EEEvT1_.numbered_sgpr, 0
	.set _ZN7rocprim17ROCPRIM_400000_NS6detail17trampoline_kernelINS0_14default_configENS1_25partition_config_selectorILNS1_17partition_subalgoE9EllbEEZZNS1_14partition_implILS5_9ELb0ES3_jPlS8_PNS0_10empty_typeENS0_5tupleIJS8_S9_EEENSB_IJS8_SA_EEENS0_18inequality_wrapperIZN2at6native12_GLOBAL__N_124unique_dim_cuda_templateItEESt5tupleIJNSF_6TensorESK_SK_EERKSK_lbbbEUlllE0_EEPmJS9_EEE10hipError_tPvRmT3_T4_T5_T6_T7_T9_mT8_P12ihipStream_tbDpT10_ENKUlT_T0_E_clISt17integral_constantIbLb0EES19_IbLb1EEEEDaS15_S16_EUlS15_E_NS1_11comp_targetILNS1_3genE8ELNS1_11target_archE1030ELNS1_3gpuE2ELNS1_3repE0EEENS1_30default_config_static_selectorELNS0_4arch9wavefront6targetE1EEEvT1_.num_named_barrier, 0
	.set _ZN7rocprim17ROCPRIM_400000_NS6detail17trampoline_kernelINS0_14default_configENS1_25partition_config_selectorILNS1_17partition_subalgoE9EllbEEZZNS1_14partition_implILS5_9ELb0ES3_jPlS8_PNS0_10empty_typeENS0_5tupleIJS8_S9_EEENSB_IJS8_SA_EEENS0_18inequality_wrapperIZN2at6native12_GLOBAL__N_124unique_dim_cuda_templateItEESt5tupleIJNSF_6TensorESK_SK_EERKSK_lbbbEUlllE0_EEPmJS9_EEE10hipError_tPvRmT3_T4_T5_T6_T7_T9_mT8_P12ihipStream_tbDpT10_ENKUlT_T0_E_clISt17integral_constantIbLb0EES19_IbLb1EEEEDaS15_S16_EUlS15_E_NS1_11comp_targetILNS1_3genE8ELNS1_11target_archE1030ELNS1_3gpuE2ELNS1_3repE0EEENS1_30default_config_static_selectorELNS0_4arch9wavefront6targetE1EEEvT1_.private_seg_size, 0
	.set _ZN7rocprim17ROCPRIM_400000_NS6detail17trampoline_kernelINS0_14default_configENS1_25partition_config_selectorILNS1_17partition_subalgoE9EllbEEZZNS1_14partition_implILS5_9ELb0ES3_jPlS8_PNS0_10empty_typeENS0_5tupleIJS8_S9_EEENSB_IJS8_SA_EEENS0_18inequality_wrapperIZN2at6native12_GLOBAL__N_124unique_dim_cuda_templateItEESt5tupleIJNSF_6TensorESK_SK_EERKSK_lbbbEUlllE0_EEPmJS9_EEE10hipError_tPvRmT3_T4_T5_T6_T7_T9_mT8_P12ihipStream_tbDpT10_ENKUlT_T0_E_clISt17integral_constantIbLb0EES19_IbLb1EEEEDaS15_S16_EUlS15_E_NS1_11comp_targetILNS1_3genE8ELNS1_11target_archE1030ELNS1_3gpuE2ELNS1_3repE0EEENS1_30default_config_static_selectorELNS0_4arch9wavefront6targetE1EEEvT1_.uses_vcc, 0
	.set _ZN7rocprim17ROCPRIM_400000_NS6detail17trampoline_kernelINS0_14default_configENS1_25partition_config_selectorILNS1_17partition_subalgoE9EllbEEZZNS1_14partition_implILS5_9ELb0ES3_jPlS8_PNS0_10empty_typeENS0_5tupleIJS8_S9_EEENSB_IJS8_SA_EEENS0_18inequality_wrapperIZN2at6native12_GLOBAL__N_124unique_dim_cuda_templateItEESt5tupleIJNSF_6TensorESK_SK_EERKSK_lbbbEUlllE0_EEPmJS9_EEE10hipError_tPvRmT3_T4_T5_T6_T7_T9_mT8_P12ihipStream_tbDpT10_ENKUlT_T0_E_clISt17integral_constantIbLb0EES19_IbLb1EEEEDaS15_S16_EUlS15_E_NS1_11comp_targetILNS1_3genE8ELNS1_11target_archE1030ELNS1_3gpuE2ELNS1_3repE0EEENS1_30default_config_static_selectorELNS0_4arch9wavefront6targetE1EEEvT1_.uses_flat_scratch, 0
	.set _ZN7rocprim17ROCPRIM_400000_NS6detail17trampoline_kernelINS0_14default_configENS1_25partition_config_selectorILNS1_17partition_subalgoE9EllbEEZZNS1_14partition_implILS5_9ELb0ES3_jPlS8_PNS0_10empty_typeENS0_5tupleIJS8_S9_EEENSB_IJS8_SA_EEENS0_18inequality_wrapperIZN2at6native12_GLOBAL__N_124unique_dim_cuda_templateItEESt5tupleIJNSF_6TensorESK_SK_EERKSK_lbbbEUlllE0_EEPmJS9_EEE10hipError_tPvRmT3_T4_T5_T6_T7_T9_mT8_P12ihipStream_tbDpT10_ENKUlT_T0_E_clISt17integral_constantIbLb0EES19_IbLb1EEEEDaS15_S16_EUlS15_E_NS1_11comp_targetILNS1_3genE8ELNS1_11target_archE1030ELNS1_3gpuE2ELNS1_3repE0EEENS1_30default_config_static_selectorELNS0_4arch9wavefront6targetE1EEEvT1_.has_dyn_sized_stack, 0
	.set _ZN7rocprim17ROCPRIM_400000_NS6detail17trampoline_kernelINS0_14default_configENS1_25partition_config_selectorILNS1_17partition_subalgoE9EllbEEZZNS1_14partition_implILS5_9ELb0ES3_jPlS8_PNS0_10empty_typeENS0_5tupleIJS8_S9_EEENSB_IJS8_SA_EEENS0_18inequality_wrapperIZN2at6native12_GLOBAL__N_124unique_dim_cuda_templateItEESt5tupleIJNSF_6TensorESK_SK_EERKSK_lbbbEUlllE0_EEPmJS9_EEE10hipError_tPvRmT3_T4_T5_T6_T7_T9_mT8_P12ihipStream_tbDpT10_ENKUlT_T0_E_clISt17integral_constantIbLb0EES19_IbLb1EEEEDaS15_S16_EUlS15_E_NS1_11comp_targetILNS1_3genE8ELNS1_11target_archE1030ELNS1_3gpuE2ELNS1_3repE0EEENS1_30default_config_static_selectorELNS0_4arch9wavefront6targetE1EEEvT1_.has_recursion, 0
	.set _ZN7rocprim17ROCPRIM_400000_NS6detail17trampoline_kernelINS0_14default_configENS1_25partition_config_selectorILNS1_17partition_subalgoE9EllbEEZZNS1_14partition_implILS5_9ELb0ES3_jPlS8_PNS0_10empty_typeENS0_5tupleIJS8_S9_EEENSB_IJS8_SA_EEENS0_18inequality_wrapperIZN2at6native12_GLOBAL__N_124unique_dim_cuda_templateItEESt5tupleIJNSF_6TensorESK_SK_EERKSK_lbbbEUlllE0_EEPmJS9_EEE10hipError_tPvRmT3_T4_T5_T6_T7_T9_mT8_P12ihipStream_tbDpT10_ENKUlT_T0_E_clISt17integral_constantIbLb0EES19_IbLb1EEEEDaS15_S16_EUlS15_E_NS1_11comp_targetILNS1_3genE8ELNS1_11target_archE1030ELNS1_3gpuE2ELNS1_3repE0EEENS1_30default_config_static_selectorELNS0_4arch9wavefront6targetE1EEEvT1_.has_indirect_call, 0
	.section	.AMDGPU.csdata,"",@progbits
; Kernel info:
; codeLenInByte = 0
; TotalNumSgprs: 6
; NumVgprs: 0
; NumAgprs: 0
; TotalNumVgprs: 0
; ScratchSize: 0
; MemoryBound: 0
; FloatMode: 240
; IeeeMode: 1
; LDSByteSize: 0 bytes/workgroup (compile time only)
; SGPRBlocks: 0
; VGPRBlocks: 0
; NumSGPRsForWavesPerEU: 6
; NumVGPRsForWavesPerEU: 1
; AccumOffset: 4
; Occupancy: 8
; WaveLimiterHint : 0
; COMPUTE_PGM_RSRC2:SCRATCH_EN: 0
; COMPUTE_PGM_RSRC2:USER_SGPR: 2
; COMPUTE_PGM_RSRC2:TRAP_HANDLER: 0
; COMPUTE_PGM_RSRC2:TGID_X_EN: 1
; COMPUTE_PGM_RSRC2:TGID_Y_EN: 0
; COMPUTE_PGM_RSRC2:TGID_Z_EN: 0
; COMPUTE_PGM_RSRC2:TIDIG_COMP_CNT: 0
; COMPUTE_PGM_RSRC3_GFX90A:ACCUM_OFFSET: 0
; COMPUTE_PGM_RSRC3_GFX90A:TG_SPLIT: 0
	.section	.text._ZN7rocprim17ROCPRIM_400000_NS6detail17trampoline_kernelINS0_14default_configENS1_37merge_sort_block_sort_config_selectorIlNS0_10empty_typeEEEZNS1_21merge_sort_block_sortIS3_PlS8_PS5_S9_ZN2at6native12_GLOBAL__N_124unique_dim_cuda_templateIjEESt5tupleIJNSA_6TensorESF_SF_EERKSF_lbbbEUlllE_EE10hipError_tT0_T1_T2_T3_mRjT4_P12ihipStream_tbNS1_7vsmem_tEEUlT_E_NS1_11comp_targetILNS1_3genE0ELNS1_11target_archE4294967295ELNS1_3gpuE0ELNS1_3repE0EEENS1_30default_config_static_selectorELNS0_4arch9wavefront6targetE1EEEvSM_,"axG",@progbits,_ZN7rocprim17ROCPRIM_400000_NS6detail17trampoline_kernelINS0_14default_configENS1_37merge_sort_block_sort_config_selectorIlNS0_10empty_typeEEEZNS1_21merge_sort_block_sortIS3_PlS8_PS5_S9_ZN2at6native12_GLOBAL__N_124unique_dim_cuda_templateIjEESt5tupleIJNSA_6TensorESF_SF_EERKSF_lbbbEUlllE_EE10hipError_tT0_T1_T2_T3_mRjT4_P12ihipStream_tbNS1_7vsmem_tEEUlT_E_NS1_11comp_targetILNS1_3genE0ELNS1_11target_archE4294967295ELNS1_3gpuE0ELNS1_3repE0EEENS1_30default_config_static_selectorELNS0_4arch9wavefront6targetE1EEEvSM_,comdat
	.globl	_ZN7rocprim17ROCPRIM_400000_NS6detail17trampoline_kernelINS0_14default_configENS1_37merge_sort_block_sort_config_selectorIlNS0_10empty_typeEEEZNS1_21merge_sort_block_sortIS3_PlS8_PS5_S9_ZN2at6native12_GLOBAL__N_124unique_dim_cuda_templateIjEESt5tupleIJNSA_6TensorESF_SF_EERKSF_lbbbEUlllE_EE10hipError_tT0_T1_T2_T3_mRjT4_P12ihipStream_tbNS1_7vsmem_tEEUlT_E_NS1_11comp_targetILNS1_3genE0ELNS1_11target_archE4294967295ELNS1_3gpuE0ELNS1_3repE0EEENS1_30default_config_static_selectorELNS0_4arch9wavefront6targetE1EEEvSM_ ; -- Begin function _ZN7rocprim17ROCPRIM_400000_NS6detail17trampoline_kernelINS0_14default_configENS1_37merge_sort_block_sort_config_selectorIlNS0_10empty_typeEEEZNS1_21merge_sort_block_sortIS3_PlS8_PS5_S9_ZN2at6native12_GLOBAL__N_124unique_dim_cuda_templateIjEESt5tupleIJNSA_6TensorESF_SF_EERKSF_lbbbEUlllE_EE10hipError_tT0_T1_T2_T3_mRjT4_P12ihipStream_tbNS1_7vsmem_tEEUlT_E_NS1_11comp_targetILNS1_3genE0ELNS1_11target_archE4294967295ELNS1_3gpuE0ELNS1_3repE0EEENS1_30default_config_static_selectorELNS0_4arch9wavefront6targetE1EEEvSM_
	.p2align	8
	.type	_ZN7rocprim17ROCPRIM_400000_NS6detail17trampoline_kernelINS0_14default_configENS1_37merge_sort_block_sort_config_selectorIlNS0_10empty_typeEEEZNS1_21merge_sort_block_sortIS3_PlS8_PS5_S9_ZN2at6native12_GLOBAL__N_124unique_dim_cuda_templateIjEESt5tupleIJNSA_6TensorESF_SF_EERKSF_lbbbEUlllE_EE10hipError_tT0_T1_T2_T3_mRjT4_P12ihipStream_tbNS1_7vsmem_tEEUlT_E_NS1_11comp_targetILNS1_3genE0ELNS1_11target_archE4294967295ELNS1_3gpuE0ELNS1_3repE0EEENS1_30default_config_static_selectorELNS0_4arch9wavefront6targetE1EEEvSM_,@function
_ZN7rocprim17ROCPRIM_400000_NS6detail17trampoline_kernelINS0_14default_configENS1_37merge_sort_block_sort_config_selectorIlNS0_10empty_typeEEEZNS1_21merge_sort_block_sortIS3_PlS8_PS5_S9_ZN2at6native12_GLOBAL__N_124unique_dim_cuda_templateIjEESt5tupleIJNSA_6TensorESF_SF_EERKSF_lbbbEUlllE_EE10hipError_tT0_T1_T2_T3_mRjT4_P12ihipStream_tbNS1_7vsmem_tEEUlT_E_NS1_11comp_targetILNS1_3genE0ELNS1_11target_archE4294967295ELNS1_3gpuE0ELNS1_3repE0EEENS1_30default_config_static_selectorELNS0_4arch9wavefront6targetE1EEEvSM_: ; @_ZN7rocprim17ROCPRIM_400000_NS6detail17trampoline_kernelINS0_14default_configENS1_37merge_sort_block_sort_config_selectorIlNS0_10empty_typeEEEZNS1_21merge_sort_block_sortIS3_PlS8_PS5_S9_ZN2at6native12_GLOBAL__N_124unique_dim_cuda_templateIjEESt5tupleIJNSA_6TensorESF_SF_EERKSF_lbbbEUlllE_EE10hipError_tT0_T1_T2_T3_mRjT4_P12ihipStream_tbNS1_7vsmem_tEEUlT_E_NS1_11comp_targetILNS1_3genE0ELNS1_11target_archE4294967295ELNS1_3gpuE0ELNS1_3repE0EEENS1_30default_config_static_selectorELNS0_4arch9wavefront6targetE1EEEvSM_
; %bb.0:
	s_mov_b32 s14, s2
	s_load_dwordx2 s[18:19], s[0:1], 0x48
	s_load_dword s2, s[0:1], 0x0
	s_add_u32 s16, s0, 0x48
	s_addc_u32 s17, s1, 0
	s_waitcnt lgkmcnt(0)
	s_mul_i32 s4, s19, s4
	s_add_i32 s3, s4, s3
	s_mul_i32 s3, s3, s18
	s_add_i32 s6, s3, s14
	s_cmp_ge_u32 s6, s2
	s_cbranch_scc1 .LBB1483_1484
; %bb.1:
	s_load_dwordx2 s[8:9], s[0:1], 0x8
	s_load_dwordx4 s[20:23], s[0:1], 0x18
	s_load_dwordx4 s[36:39], s[0:1], 0x38
	s_mov_b32 s7, 0
	s_lshl_b64 s[2:3], s[6:7], 14
	s_waitcnt lgkmcnt(0)
	s_lshr_b64 s[0:1], s[8:9], 11
	s_add_u32 s20, s20, s2
	s_addc_u32 s21, s21, s3
	s_add_u32 s34, s22, s2
	s_addc_u32 s35, s23, s3
	s_cmp_lg_u64 s[0:1], s[6:7]
	v_and_b32_e32 v18, 0x3ff, v0
	s_cbranch_scc0 .LBB1483_8
; %bb.2:
	v_mov_b32_e32 v19, 0
	v_lshlrev_b32_e32 v20, 3, v18
	v_mov_b32_e32 v21, v19
	v_lshl_add_u64 v[2:3], s[20:21], 0, v[20:21]
	v_add_co_u32_e32 v8, vcc, 0x1000, v2
	global_load_dwordx2 v[4:5], v20, s[20:21]
	global_load_dwordx2 v[6:7], v20, s[20:21] offset:2048
	v_addc_co_u32_e32 v9, vcc, 0, v3, vcc
	v_add_co_u32_e32 v10, vcc, 0x2000, v2
	v_lshrrev_b32_e32 v1, 2, v18
	s_nop 0
	v_addc_co_u32_e32 v11, vcc, 0, v3, vcc
	v_add_co_u32_e32 v2, vcc, 0x3000, v2
	global_load_dwordx2 v[12:13], v[8:9], off
	global_load_dwordx2 v[14:15], v[8:9], off offset:2048
	global_load_dwordx2 v[16:17], v[10:11], off
	global_load_dwordx2 v[22:23], v[10:11], off offset:2048
	v_addc_co_u32_e32 v3, vcc, 0, v3, vcc
	global_load_dwordx2 v[8:9], v[2:3], off
	global_load_dwordx2 v[10:11], v[2:3], off offset:2048
	v_add_u32_e32 v2, 0x100, v18
	v_add_u32_e32 v3, 0x200, v18
	;; [unrolled: 1-line block ×3, first 2 shown]
	v_or_b32_e32 v24, 0x400, v18
	v_add_u32_e32 v25, 0x500, v18
	v_add_u32_e32 v26, 0x600, v18
	;; [unrolled: 1-line block ×3, first 2 shown]
	v_lshlrev_b32_e32 v28, 1, v18
	v_and_b32_e32 v1, 0xf8, v1
	v_lshrrev_b32_e32 v2, 2, v2
	v_lshrrev_b32_e32 v3, 2, v3
	;; [unrolled: 1-line block ×7, first 2 shown]
	v_and_b32_e32 v28, 0x7f8, v28
	v_add_u32_e32 v1, v1, v20
	v_and_b32_e32 v2, 0x1f8, v2
	v_and_b32_e32 v3, 0x1f8, v3
	;; [unrolled: 1-line block ×7, first 2 shown]
	v_lshl_add_u32 v34, v18, 6, v28
	v_add_u32_e32 v21, v2, v20
	v_add_u32_e32 v28, v3, v20
	;; [unrolled: 1-line block ×7, first 2 shown]
	v_bfe_u32 v24, v0, 20, 10
	v_cmp_gt_i64_e64 s[12:13], s[36:37], 0
	s_waitcnt vmcnt(7)
	ds_write_b64 v1, v[4:5]
	s_waitcnt vmcnt(6)
	ds_write_b64 v21, v[6:7] offset:2048
	s_waitcnt vmcnt(5)
	ds_write_b64 v28, v[12:13] offset:4096
	;; [unrolled: 2-line block ×7, first 2 shown]
	s_waitcnt lgkmcnt(0)
	s_barrier
	ds_read2_b64 v[14:17], v34 offset1:1
	ds_read2_b64 v[10:13], v34 offset0:2 offset1:3
	ds_read2_b64 v[6:9], v34 offset0:4 offset1:5
	;; [unrolled: 1-line block ×3, first 2 shown]
	s_waitcnt lgkmcnt(0)
	s_barrier
	s_load_dword s0, s[16:17], 0xc
	v_bfe_u32 v23, v0, 10, 10
	v_cndmask_b32_e64 v25, 0, 1, s[12:13]
	s_waitcnt lgkmcnt(0)
	s_lshr_b32 s2, s0, 16
	s_cmp_lt_u32 s14, s18
	s_cselect_b32 s0, 12, 18
	s_add_u32 s0, s16, s0
	s_addc_u32 s1, s17, 0
	global_load_ushort v22, v19, s[0:1]
	v_mad_u32_u24 v23, v24, s2, v23
	s_movk_i32 s0, 0x800
	s_waitcnt vmcnt(0)
	v_mul_lo_u32 v22, v23, v22
	v_add_lshl_u32 v26, v22, v18, 3
	v_cmp_gt_u32_e32 vcc, s0, v26
	v_cmp_ne_u32_e64 s[0:1], 1, v25
	s_and_saveexec_b64 s[10:11], vcc
	s_cbranch_execz .LBB1483_188
; %bb.3:
	s_and_b64 vcc, exec, s[0:1]
	s_cbranch_vccnz .LBB1483_18
; %bb.4:
	v_mul_lo_u32 v24, v17, s36
	v_mul_lo_u32 v25, v16, s37
	v_mad_u64_u32 v[22:23], s[2:3], v16, s36, 0
	v_add3_u32 v23, v23, v25, v24
	v_mul_lo_u32 v27, v15, s36
	v_mul_lo_u32 v35, v14, s37
	v_mad_u64_u32 v[24:25], s[2:3], v14, s36, 0
	v_add3_u32 v25, v25, v35, v27
	v_lshl_add_u64 v[22:23], v[22:23], 2, s[38:39]
	v_lshl_add_u64 v[24:25], v[24:25], 2, s[38:39]
	s_mov_b64 s[24:25], 0
	s_mov_b64 s[42:43], s[36:37]
                                        ; implicit-def: $sgpr22_sgpr23
                                        ; implicit-def: $sgpr26_sgpr27
                                        ; implicit-def: $sgpr30_sgpr31
                                        ; implicit-def: $sgpr28_sgpr29
                                        ; implicit-def: $sgpr40_sgpr41
	s_branch .LBB1483_6
.LBB1483_5:                             ;   in Loop: Header=BB1483_6 Depth=1
	s_or_b64 exec, exec, s[44:45]
	s_and_b64 s[2:3], s[2:3], s[40:41]
	s_or_b64 s[2:3], vcc, s[2:3]
	s_and_b64 s[4:5], exec, s[30:31]
	s_or_b64 s[24:25], s[4:5], s[24:25]
	s_andn2_b64 s[4:5], s[40:41], exec
	s_and_b64 s[2:3], s[2:3], exec
	s_or_b64 s[40:41], s[4:5], s[2:3]
	s_andn2_b64 s[4:5], s[26:27], exec
	s_and_b64 s[26:27], s[28:29], exec
	s_or_b64 s[26:27], s[4:5], s[26:27]
	s_andn2_b64 s[4:5], s[22:23], exec
	s_or_b64 s[22:23], s[4:5], s[2:3]
	s_andn2_b64 exec, exec, s[24:25]
	s_cbranch_execz .LBB1483_9
.LBB1483_6:                             ; =>This Inner Loop Header: Depth=1
	global_load_dword v27, v[22:23], off
	global_load_dword v35, v[24:25], off
	s_or_b64 s[28:29], s[28:29], exec
	s_or_b64 s[30:31], s[30:31], exec
	s_waitcnt vmcnt(0)
	v_cmp_lt_u32_e32 vcc, v27, v35
	v_cmp_le_u32_e64 s[2:3], v27, v35
	v_cmp_eq_u32_e64 s[4:5], v27, v35
	s_and_saveexec_b64 s[44:45], s[4:5]
	s_cbranch_execz .LBB1483_5
; %bb.7:                                ;   in Loop: Header=BB1483_6 Depth=1
	s_add_u32 s42, s42, -1
	s_addc_u32 s43, s43, -1
	s_cmp_eq_u64 s[42:43], 0
	s_cselect_b64 s[4:5], -1, 0
	s_andn2_b64 s[30:31], s[30:31], exec
	s_and_b64 s[4:5], s[4:5], exec
	v_lshl_add_u64 v[22:23], v[22:23], 0, 4
	v_lshl_add_u64 v[24:25], v[24:25], 0, 4
	s_andn2_b64 s[28:29], s[28:29], exec
	s_or_b64 s[30:31], s[30:31], s[4:5]
	s_branch .LBB1483_5
.LBB1483_8:
	s_mov_b64 s[40:41], 0
                                        ; implicit-def: $vgpr14_vgpr15
	s_cbranch_execnz .LBB1483_697
	s_branch .LBB1483_1482
.LBB1483_9:
	s_or_b64 exec, exec, s[24:25]
	s_and_saveexec_b64 s[2:3], s[26:27]
	s_xor_b64 s[2:3], exec, s[2:3]
; %bb.10:
	v_cndmask_b32_e64 v23, v17, v15, s[22:23]
	v_cndmask_b32_e64 v22, v16, v14, s[22:23]
	;; [unrolled: 1-line block ×4, first 2 shown]
	v_mov_b64_e32 v[16:17], v[22:23]
; %bb.11:
	s_or_b64 exec, exec, s[2:3]
	v_mul_lo_u32 v24, v13, s36
	v_mul_lo_u32 v25, v12, s37
	v_mad_u64_u32 v[22:23], s[2:3], v12, s36, 0
	v_add3_u32 v23, v23, v25, v24
	v_mul_lo_u32 v27, v11, s36
	v_mul_lo_u32 v35, v10, s37
	v_mad_u64_u32 v[24:25], s[2:3], v10, s36, 0
	v_add3_u32 v25, v25, v35, v27
	v_lshl_add_u64 v[22:23], v[22:23], 2, s[38:39]
	v_lshl_add_u64 v[24:25], v[24:25], 2, s[38:39]
	s_mov_b64 s[26:27], 0
	s_mov_b64 s[42:43], s[36:37]
                                        ; implicit-def: $sgpr22_sgpr23
                                        ; implicit-def: $sgpr24_sgpr25
                                        ; implicit-def: $sgpr30_sgpr31
                                        ; implicit-def: $sgpr28_sgpr29
                                        ; implicit-def: $sgpr40_sgpr41
	s_branch .LBB1483_13
.LBB1483_12:                            ;   in Loop: Header=BB1483_13 Depth=1
	s_or_b64 exec, exec, s[44:45]
	s_and_b64 s[2:3], s[2:3], s[40:41]
	s_or_b64 s[2:3], vcc, s[2:3]
	s_and_b64 s[4:5], exec, s[30:31]
	s_or_b64 s[26:27], s[4:5], s[26:27]
	s_andn2_b64 s[4:5], s[40:41], exec
	s_and_b64 s[2:3], s[2:3], exec
	s_or_b64 s[40:41], s[4:5], s[2:3]
	s_andn2_b64 s[4:5], s[24:25], exec
	s_and_b64 s[24:25], s[28:29], exec
	s_or_b64 s[24:25], s[4:5], s[24:25]
	s_andn2_b64 s[4:5], s[22:23], exec
	s_or_b64 s[22:23], s[4:5], s[2:3]
	s_andn2_b64 exec, exec, s[26:27]
	s_cbranch_execz .LBB1483_15
.LBB1483_13:                            ; =>This Inner Loop Header: Depth=1
	global_load_dword v27, v[22:23], off
	global_load_dword v35, v[24:25], off
	s_or_b64 s[28:29], s[28:29], exec
	s_or_b64 s[30:31], s[30:31], exec
	s_waitcnt vmcnt(0)
	v_cmp_lt_u32_e32 vcc, v27, v35
	v_cmp_le_u32_e64 s[2:3], v27, v35
	v_cmp_eq_u32_e64 s[4:5], v27, v35
	s_and_saveexec_b64 s[44:45], s[4:5]
	s_cbranch_execz .LBB1483_12
; %bb.14:                               ;   in Loop: Header=BB1483_13 Depth=1
	s_add_u32 s42, s42, -1
	s_addc_u32 s43, s43, -1
	s_cmp_eq_u64 s[42:43], 0
	s_cselect_b64 s[4:5], -1, 0
	s_andn2_b64 s[30:31], s[30:31], exec
	s_and_b64 s[4:5], s[4:5], exec
	v_lshl_add_u64 v[22:23], v[22:23], 0, 4
	v_lshl_add_u64 v[24:25], v[24:25], 0, 4
	s_andn2_b64 s[28:29], s[28:29], exec
	s_or_b64 s[30:31], s[30:31], s[4:5]
	s_branch .LBB1483_12
.LBB1483_15:
	s_or_b64 exec, exec, s[26:27]
	s_and_saveexec_b64 s[2:3], s[24:25]
	s_xor_b64 s[2:3], exec, s[2:3]
; %bb.16:
	v_cndmask_b32_e64 v23, v11, v13, s[22:23]
	v_cndmask_b32_e64 v22, v10, v12, s[22:23]
	;; [unrolled: 1-line block ×4, first 2 shown]
	v_mov_b64_e32 v[10:11], v[22:23]
; %bb.17:
	s_or_b64 exec, exec, s[2:3]
.LBB1483_18:
	s_and_b64 vcc, exec, s[0:1]
	s_cbranch_vccnz .LBB1483_32
; %bb.19:
	v_mul_lo_u32 v24, v9, s36
	v_mul_lo_u32 v25, v8, s37
	v_mad_u64_u32 v[22:23], s[2:3], v8, s36, 0
	v_add3_u32 v23, v23, v25, v24
	v_mul_lo_u32 v27, v7, s36
	v_mul_lo_u32 v35, v6, s37
	v_mad_u64_u32 v[24:25], s[2:3], v6, s36, 0
	v_add3_u32 v25, v25, v35, v27
	v_lshl_add_u64 v[22:23], v[22:23], 2, s[38:39]
	v_lshl_add_u64 v[24:25], v[24:25], 2, s[38:39]
	s_mov_b64 s[24:25], 0
	s_mov_b64 s[42:43], s[36:37]
                                        ; implicit-def: $sgpr22_sgpr23
                                        ; implicit-def: $sgpr26_sgpr27
                                        ; implicit-def: $sgpr30_sgpr31
                                        ; implicit-def: $sgpr28_sgpr29
                                        ; implicit-def: $sgpr40_sgpr41
	s_branch .LBB1483_21
.LBB1483_20:                            ;   in Loop: Header=BB1483_21 Depth=1
	s_or_b64 exec, exec, s[44:45]
	s_and_b64 s[2:3], s[2:3], s[40:41]
	s_or_b64 s[2:3], vcc, s[2:3]
	s_and_b64 s[4:5], exec, s[30:31]
	s_or_b64 s[24:25], s[4:5], s[24:25]
	s_andn2_b64 s[4:5], s[40:41], exec
	s_and_b64 s[2:3], s[2:3], exec
	s_or_b64 s[40:41], s[4:5], s[2:3]
	s_andn2_b64 s[4:5], s[26:27], exec
	s_and_b64 s[26:27], s[28:29], exec
	s_or_b64 s[26:27], s[4:5], s[26:27]
	s_andn2_b64 s[4:5], s[22:23], exec
	s_or_b64 s[22:23], s[4:5], s[2:3]
	s_andn2_b64 exec, exec, s[24:25]
	s_cbranch_execz .LBB1483_23
.LBB1483_21:                            ; =>This Inner Loop Header: Depth=1
	global_load_dword v27, v[22:23], off
	global_load_dword v35, v[24:25], off
	s_or_b64 s[28:29], s[28:29], exec
	s_or_b64 s[30:31], s[30:31], exec
	s_waitcnt vmcnt(0)
	v_cmp_lt_u32_e32 vcc, v27, v35
	v_cmp_le_u32_e64 s[2:3], v27, v35
	v_cmp_eq_u32_e64 s[4:5], v27, v35
	s_and_saveexec_b64 s[44:45], s[4:5]
	s_cbranch_execz .LBB1483_20
; %bb.22:                               ;   in Loop: Header=BB1483_21 Depth=1
	s_add_u32 s42, s42, -1
	s_addc_u32 s43, s43, -1
	s_cmp_eq_u64 s[42:43], 0
	s_cselect_b64 s[4:5], -1, 0
	s_andn2_b64 s[30:31], s[30:31], exec
	s_and_b64 s[4:5], s[4:5], exec
	v_lshl_add_u64 v[22:23], v[22:23], 0, 4
	v_lshl_add_u64 v[24:25], v[24:25], 0, 4
	s_andn2_b64 s[28:29], s[28:29], exec
	s_or_b64 s[30:31], s[30:31], s[4:5]
	s_branch .LBB1483_20
.LBB1483_23:
	s_or_b64 exec, exec, s[24:25]
	s_and_saveexec_b64 s[2:3], s[26:27]
	s_xor_b64 s[2:3], exec, s[2:3]
; %bb.24:
	v_cndmask_b32_e64 v23, v7, v9, s[22:23]
	v_cndmask_b32_e64 v22, v6, v8, s[22:23]
	;; [unrolled: 1-line block ×4, first 2 shown]
	v_mov_b64_e32 v[6:7], v[22:23]
; %bb.25:
	s_or_b64 exec, exec, s[2:3]
	v_mul_lo_u32 v24, v5, s36
	v_mul_lo_u32 v25, v4, s37
	v_mad_u64_u32 v[22:23], s[2:3], v4, s36, 0
	v_add3_u32 v23, v23, v25, v24
	v_mul_lo_u32 v27, v3, s36
	v_mul_lo_u32 v35, v2, s37
	v_mad_u64_u32 v[24:25], s[2:3], v2, s36, 0
	v_add3_u32 v25, v25, v35, v27
	v_lshl_add_u64 v[22:23], v[22:23], 2, s[38:39]
	v_lshl_add_u64 v[24:25], v[24:25], 2, s[38:39]
	s_mov_b64 s[26:27], 0
	s_mov_b64 s[42:43], s[36:37]
                                        ; implicit-def: $sgpr22_sgpr23
                                        ; implicit-def: $sgpr24_sgpr25
                                        ; implicit-def: $sgpr30_sgpr31
                                        ; implicit-def: $sgpr28_sgpr29
                                        ; implicit-def: $sgpr40_sgpr41
	s_branch .LBB1483_27
.LBB1483_26:                            ;   in Loop: Header=BB1483_27 Depth=1
	s_or_b64 exec, exec, s[44:45]
	s_and_b64 s[2:3], s[2:3], s[40:41]
	s_or_b64 s[2:3], vcc, s[2:3]
	s_and_b64 s[4:5], exec, s[30:31]
	s_or_b64 s[26:27], s[4:5], s[26:27]
	s_andn2_b64 s[4:5], s[40:41], exec
	s_and_b64 s[2:3], s[2:3], exec
	s_or_b64 s[40:41], s[4:5], s[2:3]
	s_andn2_b64 s[4:5], s[24:25], exec
	s_and_b64 s[24:25], s[28:29], exec
	s_or_b64 s[24:25], s[4:5], s[24:25]
	s_andn2_b64 s[4:5], s[22:23], exec
	s_or_b64 s[22:23], s[4:5], s[2:3]
	s_andn2_b64 exec, exec, s[26:27]
	s_cbranch_execz .LBB1483_29
.LBB1483_27:                            ; =>This Inner Loop Header: Depth=1
	global_load_dword v27, v[22:23], off
	global_load_dword v35, v[24:25], off
	s_or_b64 s[28:29], s[28:29], exec
	s_or_b64 s[30:31], s[30:31], exec
	s_waitcnt vmcnt(0)
	v_cmp_lt_u32_e32 vcc, v27, v35
	v_cmp_le_u32_e64 s[2:3], v27, v35
	v_cmp_eq_u32_e64 s[4:5], v27, v35
	s_and_saveexec_b64 s[44:45], s[4:5]
	s_cbranch_execz .LBB1483_26
; %bb.28:                               ;   in Loop: Header=BB1483_27 Depth=1
	s_add_u32 s42, s42, -1
	s_addc_u32 s43, s43, -1
	s_cmp_eq_u64 s[42:43], 0
	s_cselect_b64 s[4:5], -1, 0
	s_andn2_b64 s[30:31], s[30:31], exec
	s_and_b64 s[4:5], s[4:5], exec
	v_lshl_add_u64 v[22:23], v[22:23], 0, 4
	v_lshl_add_u64 v[24:25], v[24:25], 0, 4
	s_andn2_b64 s[28:29], s[28:29], exec
	s_or_b64 s[30:31], s[30:31], s[4:5]
	s_branch .LBB1483_26
.LBB1483_29:
	s_or_b64 exec, exec, s[26:27]
	s_and_saveexec_b64 s[2:3], s[24:25]
	s_xor_b64 s[2:3], exec, s[2:3]
; %bb.30:
	v_cndmask_b32_e64 v23, v3, v5, s[22:23]
	v_cndmask_b32_e64 v22, v2, v4, s[22:23]
	;; [unrolled: 1-line block ×4, first 2 shown]
	v_mov_b64_e32 v[2:3], v[22:23]
; %bb.31:
	s_or_b64 exec, exec, s[2:3]
.LBB1483_32:
	s_and_b64 vcc, exec, s[12:13]
	s_cbranch_vccz .LBB1483_46
; %bb.33:
	v_mul_lo_u32 v24, v11, s36
	v_mul_lo_u32 v25, v10, s37
	v_mad_u64_u32 v[22:23], s[2:3], v10, s36, 0
	v_add3_u32 v23, v23, v25, v24
	v_mul_lo_u32 v27, v17, s36
	v_mul_lo_u32 v35, v16, s37
	v_mad_u64_u32 v[24:25], s[2:3], v16, s36, 0
	v_add3_u32 v25, v25, v35, v27
	v_lshl_add_u64 v[22:23], v[22:23], 2, s[38:39]
	v_lshl_add_u64 v[24:25], v[24:25], 2, s[38:39]
	s_mov_b64 s[22:23], 0
	s_mov_b64 s[40:41], s[36:37]
                                        ; implicit-def: $sgpr12_sgpr13
                                        ; implicit-def: $sgpr24_sgpr25
                                        ; implicit-def: $sgpr28_sgpr29
                                        ; implicit-def: $sgpr26_sgpr27
                                        ; implicit-def: $sgpr30_sgpr31
	s_branch .LBB1483_35
.LBB1483_34:                            ;   in Loop: Header=BB1483_35 Depth=1
	s_or_b64 exec, exec, s[42:43]
	s_and_b64 s[2:3], s[2:3], s[30:31]
	s_or_b64 s[2:3], vcc, s[2:3]
	s_and_b64 s[4:5], exec, s[28:29]
	s_or_b64 s[22:23], s[4:5], s[22:23]
	s_andn2_b64 s[4:5], s[30:31], exec
	s_and_b64 s[2:3], s[2:3], exec
	s_or_b64 s[30:31], s[4:5], s[2:3]
	s_andn2_b64 s[4:5], s[24:25], exec
	s_and_b64 s[24:25], s[26:27], exec
	s_or_b64 s[24:25], s[4:5], s[24:25]
	s_andn2_b64 s[4:5], s[12:13], exec
	s_or_b64 s[12:13], s[4:5], s[2:3]
	s_andn2_b64 exec, exec, s[22:23]
	s_cbranch_execz .LBB1483_37
.LBB1483_35:                            ; =>This Inner Loop Header: Depth=1
	global_load_dword v27, v[22:23], off
	global_load_dword v35, v[24:25], off
	s_or_b64 s[26:27], s[26:27], exec
	s_or_b64 s[28:29], s[28:29], exec
	s_waitcnt vmcnt(0)
	v_cmp_lt_u32_e32 vcc, v27, v35
	v_cmp_le_u32_e64 s[2:3], v27, v35
	v_cmp_eq_u32_e64 s[4:5], v27, v35
	s_and_saveexec_b64 s[42:43], s[4:5]
	s_cbranch_execz .LBB1483_34
; %bb.36:                               ;   in Loop: Header=BB1483_35 Depth=1
	s_add_u32 s40, s40, -1
	s_addc_u32 s41, s41, -1
	s_cmp_eq_u64 s[40:41], 0
	s_cselect_b64 s[4:5], -1, 0
	s_andn2_b64 s[28:29], s[28:29], exec
	s_and_b64 s[4:5], s[4:5], exec
	v_lshl_add_u64 v[22:23], v[22:23], 0, 4
	v_lshl_add_u64 v[24:25], v[24:25], 0, 4
	s_andn2_b64 s[26:27], s[26:27], exec
	s_or_b64 s[28:29], s[28:29], s[4:5]
	s_branch .LBB1483_34
.LBB1483_37:
	s_or_b64 exec, exec, s[22:23]
	s_and_saveexec_b64 s[2:3], s[24:25]
	s_xor_b64 s[2:3], exec, s[2:3]
; %bb.38:
	v_cndmask_b32_e64 v23, v17, v11, s[12:13]
	v_cndmask_b32_e64 v22, v16, v10, s[12:13]
	;; [unrolled: 1-line block ×4, first 2 shown]
	v_mov_b64_e32 v[16:17], v[22:23]
; %bb.39:
	s_or_b64 exec, exec, s[2:3]
	v_mul_lo_u32 v24, v7, s36
	v_mul_lo_u32 v25, v6, s37
	v_mad_u64_u32 v[22:23], s[2:3], v6, s36, 0
	v_add3_u32 v23, v23, v25, v24
	v_mul_lo_u32 v27, v13, s36
	v_mul_lo_u32 v35, v12, s37
	v_mad_u64_u32 v[24:25], s[2:3], v12, s36, 0
	v_add3_u32 v25, v25, v35, v27
	v_lshl_add_u64 v[22:23], v[22:23], 2, s[38:39]
	v_lshl_add_u64 v[24:25], v[24:25], 2, s[38:39]
	s_mov_b64 s[24:25], 0
	s_mov_b64 s[40:41], s[36:37]
                                        ; implicit-def: $sgpr12_sgpr13
                                        ; implicit-def: $sgpr22_sgpr23
                                        ; implicit-def: $sgpr28_sgpr29
                                        ; implicit-def: $sgpr26_sgpr27
                                        ; implicit-def: $sgpr30_sgpr31
	s_branch .LBB1483_41
.LBB1483_40:                            ;   in Loop: Header=BB1483_41 Depth=1
	s_or_b64 exec, exec, s[42:43]
	s_and_b64 s[2:3], s[2:3], s[30:31]
	s_or_b64 s[2:3], vcc, s[2:3]
	s_and_b64 s[4:5], exec, s[28:29]
	s_or_b64 s[24:25], s[4:5], s[24:25]
	s_andn2_b64 s[4:5], s[30:31], exec
	s_and_b64 s[2:3], s[2:3], exec
	s_or_b64 s[30:31], s[4:5], s[2:3]
	s_andn2_b64 s[4:5], s[22:23], exec
	s_and_b64 s[22:23], s[26:27], exec
	s_or_b64 s[22:23], s[4:5], s[22:23]
	s_andn2_b64 s[4:5], s[12:13], exec
	s_or_b64 s[12:13], s[4:5], s[2:3]
	s_andn2_b64 exec, exec, s[24:25]
	s_cbranch_execz .LBB1483_43
.LBB1483_41:                            ; =>This Inner Loop Header: Depth=1
	global_load_dword v27, v[22:23], off
	global_load_dword v35, v[24:25], off
	s_or_b64 s[26:27], s[26:27], exec
	s_or_b64 s[28:29], s[28:29], exec
	s_waitcnt vmcnt(0)
	v_cmp_lt_u32_e32 vcc, v27, v35
	v_cmp_le_u32_e64 s[2:3], v27, v35
	v_cmp_eq_u32_e64 s[4:5], v27, v35
	s_and_saveexec_b64 s[42:43], s[4:5]
	s_cbranch_execz .LBB1483_40
; %bb.42:                               ;   in Loop: Header=BB1483_41 Depth=1
	s_add_u32 s40, s40, -1
	s_addc_u32 s41, s41, -1
	s_cmp_eq_u64 s[40:41], 0
	s_cselect_b64 s[4:5], -1, 0
	s_andn2_b64 s[28:29], s[28:29], exec
	s_and_b64 s[4:5], s[4:5], exec
	v_lshl_add_u64 v[22:23], v[22:23], 0, 4
	v_lshl_add_u64 v[24:25], v[24:25], 0, 4
	s_andn2_b64 s[26:27], s[26:27], exec
	s_or_b64 s[28:29], s[28:29], s[4:5]
	s_branch .LBB1483_40
.LBB1483_43:
	s_or_b64 exec, exec, s[24:25]
	s_and_saveexec_b64 s[2:3], s[22:23]
	s_xor_b64 s[2:3], exec, s[2:3]
; %bb.44:
	v_cndmask_b32_e64 v23, v13, v7, s[12:13]
	v_cndmask_b32_e64 v22, v12, v6, s[12:13]
	;; [unrolled: 1-line block ×4, first 2 shown]
	v_mov_b64_e32 v[12:13], v[22:23]
; %bb.45:
	s_or_b64 exec, exec, s[2:3]
.LBB1483_46:
	s_and_b64 vcc, exec, s[0:1]
	s_cbranch_vccnz .LBB1483_72
; %bb.47:
	v_mul_lo_u32 v24, v3, s36
	v_mul_lo_u32 v25, v2, s37
	v_mad_u64_u32 v[22:23], s[2:3], v2, s36, 0
	v_add3_u32 v23, v23, v25, v24
	v_mul_lo_u32 v27, v9, s36
	v_mul_lo_u32 v35, v8, s37
	v_mad_u64_u32 v[24:25], s[2:3], v8, s36, 0
	v_add3_u32 v25, v25, v35, v27
	v_lshl_add_u64 v[22:23], v[22:23], 2, s[38:39]
	v_lshl_add_u64 v[24:25], v[24:25], 2, s[38:39]
	s_mov_b64 s[22:23], 0
	s_mov_b64 s[40:41], s[36:37]
                                        ; implicit-def: $sgpr12_sgpr13
                                        ; implicit-def: $sgpr24_sgpr25
                                        ; implicit-def: $sgpr28_sgpr29
                                        ; implicit-def: $sgpr26_sgpr27
                                        ; implicit-def: $sgpr30_sgpr31
	s_branch .LBB1483_49
.LBB1483_48:                            ;   in Loop: Header=BB1483_49 Depth=1
	s_or_b64 exec, exec, s[42:43]
	s_and_b64 s[2:3], s[2:3], s[30:31]
	s_or_b64 s[2:3], vcc, s[2:3]
	s_and_b64 s[4:5], exec, s[28:29]
	s_or_b64 s[22:23], s[4:5], s[22:23]
	s_andn2_b64 s[4:5], s[30:31], exec
	s_and_b64 s[2:3], s[2:3], exec
	s_or_b64 s[30:31], s[4:5], s[2:3]
	s_andn2_b64 s[4:5], s[24:25], exec
	s_and_b64 s[24:25], s[26:27], exec
	s_or_b64 s[24:25], s[4:5], s[24:25]
	s_andn2_b64 s[4:5], s[12:13], exec
	s_or_b64 s[12:13], s[4:5], s[2:3]
	s_andn2_b64 exec, exec, s[22:23]
	s_cbranch_execz .LBB1483_51
.LBB1483_49:                            ; =>This Inner Loop Header: Depth=1
	global_load_dword v27, v[22:23], off
	global_load_dword v35, v[24:25], off
	s_or_b64 s[26:27], s[26:27], exec
	s_or_b64 s[28:29], s[28:29], exec
	s_waitcnt vmcnt(0)
	v_cmp_lt_u32_e32 vcc, v27, v35
	v_cmp_le_u32_e64 s[2:3], v27, v35
	v_cmp_eq_u32_e64 s[4:5], v27, v35
	s_and_saveexec_b64 s[42:43], s[4:5]
	s_cbranch_execz .LBB1483_48
; %bb.50:                               ;   in Loop: Header=BB1483_49 Depth=1
	s_add_u32 s40, s40, -1
	s_addc_u32 s41, s41, -1
	s_cmp_eq_u64 s[40:41], 0
	s_cselect_b64 s[4:5], -1, 0
	s_andn2_b64 s[28:29], s[28:29], exec
	s_and_b64 s[4:5], s[4:5], exec
	v_lshl_add_u64 v[22:23], v[22:23], 0, 4
	v_lshl_add_u64 v[24:25], v[24:25], 0, 4
	s_andn2_b64 s[26:27], s[26:27], exec
	s_or_b64 s[28:29], s[28:29], s[4:5]
	s_branch .LBB1483_48
.LBB1483_51:
	s_or_b64 exec, exec, s[22:23]
	s_and_saveexec_b64 s[2:3], s[24:25]
	s_xor_b64 s[2:3], exec, s[2:3]
; %bb.52:
	v_cndmask_b32_e64 v23, v9, v3, s[12:13]
	v_cndmask_b32_e64 v22, v8, v2, s[12:13]
	;; [unrolled: 1-line block ×4, first 2 shown]
	v_mov_b64_e32 v[8:9], v[22:23]
; %bb.53:
	s_or_b64 exec, exec, s[2:3]
	v_mul_lo_u32 v24, v17, s36
	v_mul_lo_u32 v25, v16, s37
	v_mad_u64_u32 v[22:23], s[2:3], v16, s36, 0
	v_add3_u32 v23, v23, v25, v24
	v_mul_lo_u32 v27, v15, s36
	v_mul_lo_u32 v35, v14, s37
	v_mad_u64_u32 v[24:25], s[2:3], v14, s36, 0
	v_add3_u32 v25, v25, v35, v27
	v_lshl_add_u64 v[22:23], v[22:23], 2, s[38:39]
	v_lshl_add_u64 v[24:25], v[24:25], 2, s[38:39]
	s_mov_b64 s[22:23], 0
	s_mov_b64 s[40:41], s[36:37]
                                        ; implicit-def: $sgpr12_sgpr13
                                        ; implicit-def: $sgpr24_sgpr25
                                        ; implicit-def: $sgpr28_sgpr29
                                        ; implicit-def: $sgpr26_sgpr27
                                        ; implicit-def: $sgpr30_sgpr31
	s_branch .LBB1483_55
.LBB1483_54:                            ;   in Loop: Header=BB1483_55 Depth=1
	s_or_b64 exec, exec, s[42:43]
	s_and_b64 s[2:3], s[2:3], s[30:31]
	s_or_b64 s[2:3], vcc, s[2:3]
	s_and_b64 s[4:5], exec, s[28:29]
	s_or_b64 s[22:23], s[4:5], s[22:23]
	s_andn2_b64 s[4:5], s[30:31], exec
	s_and_b64 s[2:3], s[2:3], exec
	s_or_b64 s[30:31], s[4:5], s[2:3]
	s_andn2_b64 s[4:5], s[24:25], exec
	s_and_b64 s[24:25], s[26:27], exec
	s_or_b64 s[24:25], s[4:5], s[24:25]
	s_andn2_b64 s[4:5], s[12:13], exec
	s_or_b64 s[12:13], s[4:5], s[2:3]
	s_andn2_b64 exec, exec, s[22:23]
	s_cbranch_execz .LBB1483_57
.LBB1483_55:                            ; =>This Inner Loop Header: Depth=1
	global_load_dword v27, v[22:23], off
	global_load_dword v35, v[24:25], off
	s_or_b64 s[26:27], s[26:27], exec
	s_or_b64 s[28:29], s[28:29], exec
	s_waitcnt vmcnt(0)
	v_cmp_lt_u32_e32 vcc, v27, v35
	v_cmp_le_u32_e64 s[2:3], v27, v35
	v_cmp_eq_u32_e64 s[4:5], v27, v35
	s_and_saveexec_b64 s[42:43], s[4:5]
	s_cbranch_execz .LBB1483_54
; %bb.56:                               ;   in Loop: Header=BB1483_55 Depth=1
	s_add_u32 s40, s40, -1
	s_addc_u32 s41, s41, -1
	s_cmp_eq_u64 s[40:41], 0
	s_cselect_b64 s[4:5], -1, 0
	s_andn2_b64 s[28:29], s[28:29], exec
	s_and_b64 s[4:5], s[4:5], exec
	v_lshl_add_u64 v[22:23], v[22:23], 0, 4
	v_lshl_add_u64 v[24:25], v[24:25], 0, 4
	s_andn2_b64 s[26:27], s[26:27], exec
	s_or_b64 s[28:29], s[28:29], s[4:5]
	s_branch .LBB1483_54
.LBB1483_57:
	s_or_b64 exec, exec, s[22:23]
	s_and_saveexec_b64 s[2:3], s[24:25]
	s_xor_b64 s[2:3], exec, s[2:3]
; %bb.58:
	v_cndmask_b32_e64 v23, v17, v15, s[12:13]
	v_cndmask_b32_e64 v22, v16, v14, s[12:13]
	v_cndmask_b32_e64 v15, v15, v17, s[12:13]
	v_cndmask_b32_e64 v14, v14, v16, s[12:13]
	v_mov_b64_e32 v[16:17], v[22:23]
; %bb.59:
	s_or_b64 exec, exec, s[2:3]
	v_mul_lo_u32 v24, v13, s36
	v_mul_lo_u32 v25, v12, s37
	v_mad_u64_u32 v[22:23], s[2:3], v12, s36, 0
	v_add3_u32 v23, v23, v25, v24
	v_mul_lo_u32 v27, v11, s36
	v_mul_lo_u32 v35, v10, s37
	v_mad_u64_u32 v[24:25], s[2:3], v10, s36, 0
	v_add3_u32 v25, v25, v35, v27
	v_lshl_add_u64 v[22:23], v[22:23], 2, s[38:39]
	v_lshl_add_u64 v[24:25], v[24:25], 2, s[38:39]
	s_mov_b64 s[22:23], 0
	s_mov_b64 s[40:41], s[36:37]
                                        ; implicit-def: $sgpr12_sgpr13
                                        ; implicit-def: $sgpr24_sgpr25
                                        ; implicit-def: $sgpr28_sgpr29
                                        ; implicit-def: $sgpr26_sgpr27
                                        ; implicit-def: $sgpr30_sgpr31
	s_branch .LBB1483_61
.LBB1483_60:                            ;   in Loop: Header=BB1483_61 Depth=1
	s_or_b64 exec, exec, s[42:43]
	s_and_b64 s[2:3], s[2:3], s[30:31]
	s_or_b64 s[2:3], vcc, s[2:3]
	s_and_b64 s[4:5], exec, s[28:29]
	s_or_b64 s[22:23], s[4:5], s[22:23]
	s_andn2_b64 s[4:5], s[30:31], exec
	s_and_b64 s[2:3], s[2:3], exec
	s_or_b64 s[30:31], s[4:5], s[2:3]
	s_andn2_b64 s[4:5], s[24:25], exec
	s_and_b64 s[24:25], s[26:27], exec
	s_or_b64 s[24:25], s[4:5], s[24:25]
	s_andn2_b64 s[4:5], s[12:13], exec
	s_or_b64 s[12:13], s[4:5], s[2:3]
	s_andn2_b64 exec, exec, s[22:23]
	s_cbranch_execz .LBB1483_63
.LBB1483_61:                            ; =>This Inner Loop Header: Depth=1
	global_load_dword v27, v[22:23], off
	global_load_dword v35, v[24:25], off
	s_or_b64 s[26:27], s[26:27], exec
	s_or_b64 s[28:29], s[28:29], exec
	s_waitcnt vmcnt(0)
	v_cmp_lt_u32_e32 vcc, v27, v35
	v_cmp_le_u32_e64 s[2:3], v27, v35
	v_cmp_eq_u32_e64 s[4:5], v27, v35
	s_and_saveexec_b64 s[42:43], s[4:5]
	s_cbranch_execz .LBB1483_60
; %bb.62:                               ;   in Loop: Header=BB1483_61 Depth=1
	s_add_u32 s40, s40, -1
	s_addc_u32 s41, s41, -1
	s_cmp_eq_u64 s[40:41], 0
	s_cselect_b64 s[4:5], -1, 0
	s_andn2_b64 s[28:29], s[28:29], exec
	s_and_b64 s[4:5], s[4:5], exec
	v_lshl_add_u64 v[22:23], v[22:23], 0, 4
	v_lshl_add_u64 v[24:25], v[24:25], 0, 4
	s_andn2_b64 s[26:27], s[26:27], exec
	s_or_b64 s[28:29], s[28:29], s[4:5]
	s_branch .LBB1483_60
.LBB1483_63:
	s_or_b64 exec, exec, s[22:23]
	s_and_saveexec_b64 s[2:3], s[24:25]
	s_xor_b64 s[2:3], exec, s[2:3]
; %bb.64:
	v_cndmask_b32_e64 v23, v11, v13, s[12:13]
	v_cndmask_b32_e64 v22, v10, v12, s[12:13]
	;; [unrolled: 1-line block ×4, first 2 shown]
	v_mov_b64_e32 v[10:11], v[22:23]
; %bb.65:
	s_or_b64 exec, exec, s[2:3]
	v_mul_lo_u32 v24, v9, s36
	v_mul_lo_u32 v25, v8, s37
	v_mad_u64_u32 v[22:23], s[2:3], v8, s36, 0
	v_add3_u32 v23, v23, v25, v24
	v_mul_lo_u32 v27, v7, s36
	v_mul_lo_u32 v35, v6, s37
	v_mad_u64_u32 v[24:25], s[2:3], v6, s36, 0
	v_add3_u32 v25, v25, v35, v27
	v_lshl_add_u64 v[22:23], v[22:23], 2, s[38:39]
	v_lshl_add_u64 v[24:25], v[24:25], 2, s[38:39]
	s_mov_b64 s[24:25], 0
	s_mov_b64 s[40:41], s[36:37]
                                        ; implicit-def: $sgpr12_sgpr13
                                        ; implicit-def: $sgpr22_sgpr23
                                        ; implicit-def: $sgpr28_sgpr29
                                        ; implicit-def: $sgpr26_sgpr27
                                        ; implicit-def: $sgpr30_sgpr31
	s_branch .LBB1483_67
.LBB1483_66:                            ;   in Loop: Header=BB1483_67 Depth=1
	s_or_b64 exec, exec, s[42:43]
	s_and_b64 s[2:3], s[2:3], s[30:31]
	s_or_b64 s[2:3], vcc, s[2:3]
	s_and_b64 s[4:5], exec, s[28:29]
	s_or_b64 s[24:25], s[4:5], s[24:25]
	s_andn2_b64 s[4:5], s[30:31], exec
	s_and_b64 s[2:3], s[2:3], exec
	s_or_b64 s[30:31], s[4:5], s[2:3]
	s_andn2_b64 s[4:5], s[22:23], exec
	s_and_b64 s[22:23], s[26:27], exec
	s_or_b64 s[22:23], s[4:5], s[22:23]
	s_andn2_b64 s[4:5], s[12:13], exec
	s_or_b64 s[12:13], s[4:5], s[2:3]
	s_andn2_b64 exec, exec, s[24:25]
	s_cbranch_execz .LBB1483_69
.LBB1483_67:                            ; =>This Inner Loop Header: Depth=1
	global_load_dword v27, v[22:23], off
	global_load_dword v35, v[24:25], off
	s_or_b64 s[26:27], s[26:27], exec
	s_or_b64 s[28:29], s[28:29], exec
	s_waitcnt vmcnt(0)
	v_cmp_lt_u32_e32 vcc, v27, v35
	v_cmp_le_u32_e64 s[2:3], v27, v35
	v_cmp_eq_u32_e64 s[4:5], v27, v35
	s_and_saveexec_b64 s[42:43], s[4:5]
	s_cbranch_execz .LBB1483_66
; %bb.68:                               ;   in Loop: Header=BB1483_67 Depth=1
	s_add_u32 s40, s40, -1
	s_addc_u32 s41, s41, -1
	s_cmp_eq_u64 s[40:41], 0
	s_cselect_b64 s[4:5], -1, 0
	s_andn2_b64 s[28:29], s[28:29], exec
	s_and_b64 s[4:5], s[4:5], exec
	v_lshl_add_u64 v[22:23], v[22:23], 0, 4
	v_lshl_add_u64 v[24:25], v[24:25], 0, 4
	s_andn2_b64 s[26:27], s[26:27], exec
	s_or_b64 s[28:29], s[28:29], s[4:5]
	s_branch .LBB1483_66
.LBB1483_69:
	s_or_b64 exec, exec, s[24:25]
	s_and_saveexec_b64 s[2:3], s[22:23]
	s_xor_b64 s[2:3], exec, s[2:3]
; %bb.70:
	v_cndmask_b32_e64 v23, v7, v9, s[12:13]
	v_cndmask_b32_e64 v22, v6, v8, s[12:13]
	;; [unrolled: 1-line block ×4, first 2 shown]
	v_mov_b64_e32 v[6:7], v[22:23]
; %bb.71:
	s_or_b64 exec, exec, s[2:3]
.LBB1483_72:
	s_and_b64 vcc, exec, s[0:1]
	s_cbranch_vccnz .LBB1483_86
; %bb.73:
	v_mul_lo_u32 v24, v5, s36
	v_mul_lo_u32 v25, v4, s37
	v_mad_u64_u32 v[22:23], s[2:3], v4, s36, 0
	v_add3_u32 v23, v23, v25, v24
	v_mul_lo_u32 v27, v3, s36
	v_mul_lo_u32 v35, v2, s37
	v_mad_u64_u32 v[24:25], s[2:3], v2, s36, 0
	v_add3_u32 v25, v25, v35, v27
	v_lshl_add_u64 v[22:23], v[22:23], 2, s[38:39]
	v_lshl_add_u64 v[24:25], v[24:25], 2, s[38:39]
	s_mov_b64 s[22:23], 0
	s_mov_b64 s[40:41], s[36:37]
                                        ; implicit-def: $sgpr12_sgpr13
                                        ; implicit-def: $sgpr24_sgpr25
                                        ; implicit-def: $sgpr28_sgpr29
                                        ; implicit-def: $sgpr26_sgpr27
                                        ; implicit-def: $sgpr30_sgpr31
	s_branch .LBB1483_75
.LBB1483_74:                            ;   in Loop: Header=BB1483_75 Depth=1
	s_or_b64 exec, exec, s[42:43]
	s_and_b64 s[2:3], s[2:3], s[30:31]
	s_or_b64 s[2:3], vcc, s[2:3]
	s_and_b64 s[4:5], exec, s[28:29]
	s_or_b64 s[22:23], s[4:5], s[22:23]
	s_andn2_b64 s[4:5], s[30:31], exec
	s_and_b64 s[2:3], s[2:3], exec
	s_or_b64 s[30:31], s[4:5], s[2:3]
	s_andn2_b64 s[4:5], s[24:25], exec
	s_and_b64 s[24:25], s[26:27], exec
	s_or_b64 s[24:25], s[4:5], s[24:25]
	s_andn2_b64 s[4:5], s[12:13], exec
	s_or_b64 s[12:13], s[4:5], s[2:3]
	s_andn2_b64 exec, exec, s[22:23]
	s_cbranch_execz .LBB1483_77
.LBB1483_75:                            ; =>This Inner Loop Header: Depth=1
	global_load_dword v27, v[22:23], off
	global_load_dword v35, v[24:25], off
	s_or_b64 s[26:27], s[26:27], exec
	s_or_b64 s[28:29], s[28:29], exec
	s_waitcnt vmcnt(0)
	v_cmp_lt_u32_e32 vcc, v27, v35
	v_cmp_le_u32_e64 s[2:3], v27, v35
	v_cmp_eq_u32_e64 s[4:5], v27, v35
	s_and_saveexec_b64 s[42:43], s[4:5]
	s_cbranch_execz .LBB1483_74
; %bb.76:                               ;   in Loop: Header=BB1483_75 Depth=1
	s_add_u32 s40, s40, -1
	s_addc_u32 s41, s41, -1
	s_cmp_eq_u64 s[40:41], 0
	s_cselect_b64 s[4:5], -1, 0
	s_andn2_b64 s[28:29], s[28:29], exec
	s_and_b64 s[4:5], s[4:5], exec
	v_lshl_add_u64 v[22:23], v[22:23], 0, 4
	v_lshl_add_u64 v[24:25], v[24:25], 0, 4
	s_andn2_b64 s[26:27], s[26:27], exec
	s_or_b64 s[28:29], s[28:29], s[4:5]
	s_branch .LBB1483_74
.LBB1483_77:
	s_or_b64 exec, exec, s[22:23]
	s_and_saveexec_b64 s[2:3], s[24:25]
	s_xor_b64 s[2:3], exec, s[2:3]
; %bb.78:
	v_cndmask_b32_e64 v23, v3, v5, s[12:13]
	v_cndmask_b32_e64 v22, v2, v4, s[12:13]
	;; [unrolled: 1-line block ×4, first 2 shown]
	v_mov_b64_e32 v[2:3], v[22:23]
; %bb.79:
	s_or_b64 exec, exec, s[2:3]
	v_mul_lo_u32 v24, v11, s36
	v_mul_lo_u32 v25, v10, s37
	v_mad_u64_u32 v[22:23], s[2:3], v10, s36, 0
	v_add3_u32 v23, v23, v25, v24
	v_mul_lo_u32 v27, v17, s36
	v_mul_lo_u32 v35, v16, s37
	v_mad_u64_u32 v[24:25], s[2:3], v16, s36, 0
	v_add3_u32 v25, v25, v35, v27
	v_lshl_add_u64 v[22:23], v[22:23], 2, s[38:39]
	v_lshl_add_u64 v[24:25], v[24:25], 2, s[38:39]
	s_mov_b64 s[24:25], 0
	s_mov_b64 s[40:41], s[36:37]
                                        ; implicit-def: $sgpr12_sgpr13
                                        ; implicit-def: $sgpr22_sgpr23
                                        ; implicit-def: $sgpr28_sgpr29
                                        ; implicit-def: $sgpr26_sgpr27
                                        ; implicit-def: $sgpr30_sgpr31
	s_branch .LBB1483_81
.LBB1483_80:                            ;   in Loop: Header=BB1483_81 Depth=1
	s_or_b64 exec, exec, s[42:43]
	s_and_b64 s[2:3], s[2:3], s[30:31]
	s_or_b64 s[2:3], vcc, s[2:3]
	s_and_b64 s[4:5], exec, s[28:29]
	s_or_b64 s[24:25], s[4:5], s[24:25]
	s_andn2_b64 s[4:5], s[30:31], exec
	s_and_b64 s[2:3], s[2:3], exec
	s_or_b64 s[30:31], s[4:5], s[2:3]
	s_andn2_b64 s[4:5], s[22:23], exec
	s_and_b64 s[22:23], s[26:27], exec
	s_or_b64 s[22:23], s[4:5], s[22:23]
	s_andn2_b64 s[4:5], s[12:13], exec
	s_or_b64 s[12:13], s[4:5], s[2:3]
	s_andn2_b64 exec, exec, s[24:25]
	s_cbranch_execz .LBB1483_83
.LBB1483_81:                            ; =>This Inner Loop Header: Depth=1
	global_load_dword v27, v[22:23], off
	global_load_dword v35, v[24:25], off
	s_or_b64 s[26:27], s[26:27], exec
	s_or_b64 s[28:29], s[28:29], exec
	s_waitcnt vmcnt(0)
	v_cmp_lt_u32_e32 vcc, v27, v35
	v_cmp_le_u32_e64 s[2:3], v27, v35
	v_cmp_eq_u32_e64 s[4:5], v27, v35
	s_and_saveexec_b64 s[42:43], s[4:5]
	s_cbranch_execz .LBB1483_80
; %bb.82:                               ;   in Loop: Header=BB1483_81 Depth=1
	s_add_u32 s40, s40, -1
	s_addc_u32 s41, s41, -1
	s_cmp_eq_u64 s[40:41], 0
	s_cselect_b64 s[4:5], -1, 0
	s_andn2_b64 s[28:29], s[28:29], exec
	s_and_b64 s[4:5], s[4:5], exec
	v_lshl_add_u64 v[22:23], v[22:23], 0, 4
	v_lshl_add_u64 v[24:25], v[24:25], 0, 4
	s_andn2_b64 s[26:27], s[26:27], exec
	s_or_b64 s[28:29], s[28:29], s[4:5]
	s_branch .LBB1483_80
.LBB1483_83:
	s_or_b64 exec, exec, s[24:25]
	s_and_saveexec_b64 s[2:3], s[22:23]
	s_xor_b64 s[2:3], exec, s[2:3]
; %bb.84:
	v_cndmask_b32_e64 v23, v17, v11, s[12:13]
	v_cndmask_b32_e64 v22, v16, v10, s[12:13]
	;; [unrolled: 1-line block ×4, first 2 shown]
	v_mov_b64_e32 v[16:17], v[22:23]
; %bb.85:
	s_or_b64 exec, exec, s[2:3]
.LBB1483_86:
	s_and_b64 vcc, exec, s[0:1]
	s_cbranch_vccnz .LBB1483_100
; %bb.87:
	v_mul_lo_u32 v24, v7, s36
	v_mul_lo_u32 v25, v6, s37
	v_mad_u64_u32 v[22:23], s[2:3], v6, s36, 0
	v_add3_u32 v23, v23, v25, v24
	v_mul_lo_u32 v27, v13, s36
	v_mul_lo_u32 v35, v12, s37
	v_mad_u64_u32 v[24:25], s[2:3], v12, s36, 0
	v_add3_u32 v25, v25, v35, v27
	v_lshl_add_u64 v[22:23], v[22:23], 2, s[38:39]
	v_lshl_add_u64 v[24:25], v[24:25], 2, s[38:39]
	s_mov_b64 s[22:23], 0
	s_mov_b64 s[40:41], s[36:37]
                                        ; implicit-def: $sgpr12_sgpr13
                                        ; implicit-def: $sgpr24_sgpr25
                                        ; implicit-def: $sgpr28_sgpr29
                                        ; implicit-def: $sgpr26_sgpr27
                                        ; implicit-def: $sgpr30_sgpr31
	s_branch .LBB1483_89
.LBB1483_88:                            ;   in Loop: Header=BB1483_89 Depth=1
	s_or_b64 exec, exec, s[42:43]
	s_and_b64 s[2:3], s[2:3], s[30:31]
	s_or_b64 s[2:3], vcc, s[2:3]
	s_and_b64 s[4:5], exec, s[28:29]
	s_or_b64 s[22:23], s[4:5], s[22:23]
	s_andn2_b64 s[4:5], s[30:31], exec
	s_and_b64 s[2:3], s[2:3], exec
	s_or_b64 s[30:31], s[4:5], s[2:3]
	s_andn2_b64 s[4:5], s[24:25], exec
	s_and_b64 s[24:25], s[26:27], exec
	s_or_b64 s[24:25], s[4:5], s[24:25]
	s_andn2_b64 s[4:5], s[12:13], exec
	s_or_b64 s[12:13], s[4:5], s[2:3]
	s_andn2_b64 exec, exec, s[22:23]
	s_cbranch_execz .LBB1483_91
.LBB1483_89:                            ; =>This Inner Loop Header: Depth=1
	global_load_dword v27, v[22:23], off
	global_load_dword v35, v[24:25], off
	s_or_b64 s[26:27], s[26:27], exec
	s_or_b64 s[28:29], s[28:29], exec
	s_waitcnt vmcnt(0)
	v_cmp_lt_u32_e32 vcc, v27, v35
	v_cmp_le_u32_e64 s[2:3], v27, v35
	v_cmp_eq_u32_e64 s[4:5], v27, v35
	s_and_saveexec_b64 s[42:43], s[4:5]
	s_cbranch_execz .LBB1483_88
; %bb.90:                               ;   in Loop: Header=BB1483_89 Depth=1
	s_add_u32 s40, s40, -1
	s_addc_u32 s41, s41, -1
	s_cmp_eq_u64 s[40:41], 0
	s_cselect_b64 s[4:5], -1, 0
	s_andn2_b64 s[28:29], s[28:29], exec
	s_and_b64 s[4:5], s[4:5], exec
	v_lshl_add_u64 v[22:23], v[22:23], 0, 4
	v_lshl_add_u64 v[24:25], v[24:25], 0, 4
	s_andn2_b64 s[26:27], s[26:27], exec
	s_or_b64 s[28:29], s[28:29], s[4:5]
	s_branch .LBB1483_88
.LBB1483_91:
	s_or_b64 exec, exec, s[22:23]
	s_and_saveexec_b64 s[2:3], s[24:25]
	s_xor_b64 s[2:3], exec, s[2:3]
; %bb.92:
	v_cndmask_b32_e64 v23, v13, v7, s[12:13]
	v_cndmask_b32_e64 v22, v12, v6, s[12:13]
	;; [unrolled: 1-line block ×4, first 2 shown]
	v_mov_b64_e32 v[12:13], v[22:23]
; %bb.93:
	s_or_b64 exec, exec, s[2:3]
	v_mul_lo_u32 v24, v3, s36
	v_mul_lo_u32 v25, v2, s37
	v_mad_u64_u32 v[22:23], s[2:3], v2, s36, 0
	v_add3_u32 v23, v23, v25, v24
	v_mul_lo_u32 v27, v9, s36
	v_mul_lo_u32 v35, v8, s37
	v_mad_u64_u32 v[24:25], s[2:3], v8, s36, 0
	v_add3_u32 v25, v25, v35, v27
	v_lshl_add_u64 v[22:23], v[22:23], 2, s[38:39]
	v_lshl_add_u64 v[24:25], v[24:25], 2, s[38:39]
	s_mov_b64 s[24:25], 0
	s_mov_b64 s[40:41], s[36:37]
                                        ; implicit-def: $sgpr12_sgpr13
                                        ; implicit-def: $sgpr22_sgpr23
                                        ; implicit-def: $sgpr28_sgpr29
                                        ; implicit-def: $sgpr26_sgpr27
                                        ; implicit-def: $sgpr30_sgpr31
	s_branch .LBB1483_95
.LBB1483_94:                            ;   in Loop: Header=BB1483_95 Depth=1
	s_or_b64 exec, exec, s[42:43]
	s_and_b64 s[2:3], s[2:3], s[30:31]
	s_or_b64 s[2:3], vcc, s[2:3]
	s_and_b64 s[4:5], exec, s[28:29]
	s_or_b64 s[24:25], s[4:5], s[24:25]
	s_andn2_b64 s[4:5], s[30:31], exec
	s_and_b64 s[2:3], s[2:3], exec
	s_or_b64 s[30:31], s[4:5], s[2:3]
	s_andn2_b64 s[4:5], s[22:23], exec
	s_and_b64 s[22:23], s[26:27], exec
	s_or_b64 s[22:23], s[4:5], s[22:23]
	s_andn2_b64 s[4:5], s[12:13], exec
	s_or_b64 s[12:13], s[4:5], s[2:3]
	s_andn2_b64 exec, exec, s[24:25]
	s_cbranch_execz .LBB1483_97
.LBB1483_95:                            ; =>This Inner Loop Header: Depth=1
	global_load_dword v27, v[22:23], off
	global_load_dword v35, v[24:25], off
	s_or_b64 s[26:27], s[26:27], exec
	s_or_b64 s[28:29], s[28:29], exec
	s_waitcnt vmcnt(0)
	v_cmp_lt_u32_e32 vcc, v27, v35
	v_cmp_le_u32_e64 s[2:3], v27, v35
	v_cmp_eq_u32_e64 s[4:5], v27, v35
	s_and_saveexec_b64 s[42:43], s[4:5]
	s_cbranch_execz .LBB1483_94
; %bb.96:                               ;   in Loop: Header=BB1483_95 Depth=1
	s_add_u32 s40, s40, -1
	s_addc_u32 s41, s41, -1
	s_cmp_eq_u64 s[40:41], 0
	s_cselect_b64 s[4:5], -1, 0
	s_andn2_b64 s[28:29], s[28:29], exec
	s_and_b64 s[4:5], s[4:5], exec
	v_lshl_add_u64 v[22:23], v[22:23], 0, 4
	v_lshl_add_u64 v[24:25], v[24:25], 0, 4
	s_andn2_b64 s[26:27], s[26:27], exec
	s_or_b64 s[28:29], s[28:29], s[4:5]
	s_branch .LBB1483_94
.LBB1483_97:
	s_or_b64 exec, exec, s[24:25]
	s_and_saveexec_b64 s[2:3], s[22:23]
	s_xor_b64 s[2:3], exec, s[2:3]
; %bb.98:
	v_cndmask_b32_e64 v23, v9, v3, s[12:13]
	v_cndmask_b32_e64 v22, v8, v2, s[12:13]
	;; [unrolled: 1-line block ×4, first 2 shown]
	v_mov_b64_e32 v[8:9], v[22:23]
; %bb.99:
	s_or_b64 exec, exec, s[2:3]
.LBB1483_100:
	s_and_b64 vcc, exec, s[0:1]
	s_cbranch_vccnz .LBB1483_114
; %bb.101:
	v_mul_lo_u32 v24, v17, s36
	v_mul_lo_u32 v25, v16, s37
	v_mad_u64_u32 v[22:23], s[2:3], v16, s36, 0
	v_add3_u32 v23, v23, v25, v24
	v_mul_lo_u32 v27, v15, s36
	v_mul_lo_u32 v35, v14, s37
	v_mad_u64_u32 v[24:25], s[2:3], v14, s36, 0
	v_add3_u32 v25, v25, v35, v27
	v_lshl_add_u64 v[22:23], v[22:23], 2, s[38:39]
	v_lshl_add_u64 v[24:25], v[24:25], 2, s[38:39]
	s_mov_b64 s[22:23], 0
	s_mov_b64 s[40:41], s[36:37]
                                        ; implicit-def: $sgpr12_sgpr13
                                        ; implicit-def: $sgpr24_sgpr25
                                        ; implicit-def: $sgpr28_sgpr29
                                        ; implicit-def: $sgpr26_sgpr27
                                        ; implicit-def: $sgpr30_sgpr31
	s_branch .LBB1483_103
.LBB1483_102:                           ;   in Loop: Header=BB1483_103 Depth=1
	s_or_b64 exec, exec, s[42:43]
	s_and_b64 s[2:3], s[2:3], s[30:31]
	s_or_b64 s[2:3], vcc, s[2:3]
	s_and_b64 s[4:5], exec, s[28:29]
	s_or_b64 s[22:23], s[4:5], s[22:23]
	s_andn2_b64 s[4:5], s[30:31], exec
	s_and_b64 s[2:3], s[2:3], exec
	s_or_b64 s[30:31], s[4:5], s[2:3]
	s_andn2_b64 s[4:5], s[24:25], exec
	s_and_b64 s[24:25], s[26:27], exec
	s_or_b64 s[24:25], s[4:5], s[24:25]
	s_andn2_b64 s[4:5], s[12:13], exec
	s_or_b64 s[12:13], s[4:5], s[2:3]
	s_andn2_b64 exec, exec, s[22:23]
	s_cbranch_execz .LBB1483_105
.LBB1483_103:                           ; =>This Inner Loop Header: Depth=1
	global_load_dword v27, v[22:23], off
	global_load_dword v35, v[24:25], off
	s_or_b64 s[26:27], s[26:27], exec
	s_or_b64 s[28:29], s[28:29], exec
	s_waitcnt vmcnt(0)
	v_cmp_lt_u32_e32 vcc, v27, v35
	v_cmp_le_u32_e64 s[2:3], v27, v35
	v_cmp_eq_u32_e64 s[4:5], v27, v35
	s_and_saveexec_b64 s[42:43], s[4:5]
	s_cbranch_execz .LBB1483_102
; %bb.104:                              ;   in Loop: Header=BB1483_103 Depth=1
	s_add_u32 s40, s40, -1
	s_addc_u32 s41, s41, -1
	s_cmp_eq_u64 s[40:41], 0
	s_cselect_b64 s[4:5], -1, 0
	s_andn2_b64 s[28:29], s[28:29], exec
	s_and_b64 s[4:5], s[4:5], exec
	v_lshl_add_u64 v[22:23], v[22:23], 0, 4
	v_lshl_add_u64 v[24:25], v[24:25], 0, 4
	s_andn2_b64 s[26:27], s[26:27], exec
	s_or_b64 s[28:29], s[28:29], s[4:5]
	s_branch .LBB1483_102
.LBB1483_105:
	s_or_b64 exec, exec, s[22:23]
	s_and_saveexec_b64 s[2:3], s[24:25]
	s_xor_b64 s[2:3], exec, s[2:3]
; %bb.106:
	v_cndmask_b32_e64 v23, v17, v15, s[12:13]
	v_cndmask_b32_e64 v22, v16, v14, s[12:13]
	;; [unrolled: 1-line block ×4, first 2 shown]
	v_mov_b64_e32 v[16:17], v[22:23]
; %bb.107:
	s_or_b64 exec, exec, s[2:3]
	v_mul_lo_u32 v24, v13, s36
	v_mul_lo_u32 v25, v12, s37
	v_mad_u64_u32 v[22:23], s[2:3], v12, s36, 0
	v_add3_u32 v23, v23, v25, v24
	v_mul_lo_u32 v27, v11, s36
	v_mul_lo_u32 v35, v10, s37
	v_mad_u64_u32 v[24:25], s[2:3], v10, s36, 0
	v_add3_u32 v25, v25, v35, v27
	v_lshl_add_u64 v[22:23], v[22:23], 2, s[38:39]
	v_lshl_add_u64 v[24:25], v[24:25], 2, s[38:39]
	s_mov_b64 s[24:25], 0
	s_mov_b64 s[40:41], s[36:37]
                                        ; implicit-def: $sgpr12_sgpr13
                                        ; implicit-def: $sgpr22_sgpr23
                                        ; implicit-def: $sgpr28_sgpr29
                                        ; implicit-def: $sgpr26_sgpr27
                                        ; implicit-def: $sgpr30_sgpr31
	s_branch .LBB1483_109
.LBB1483_108:                           ;   in Loop: Header=BB1483_109 Depth=1
	s_or_b64 exec, exec, s[42:43]
	s_and_b64 s[2:3], s[2:3], s[30:31]
	s_or_b64 s[2:3], vcc, s[2:3]
	s_and_b64 s[4:5], exec, s[28:29]
	s_or_b64 s[24:25], s[4:5], s[24:25]
	s_andn2_b64 s[4:5], s[30:31], exec
	s_and_b64 s[2:3], s[2:3], exec
	s_or_b64 s[30:31], s[4:5], s[2:3]
	s_andn2_b64 s[4:5], s[22:23], exec
	s_and_b64 s[22:23], s[26:27], exec
	s_or_b64 s[22:23], s[4:5], s[22:23]
	s_andn2_b64 s[4:5], s[12:13], exec
	s_or_b64 s[12:13], s[4:5], s[2:3]
	s_andn2_b64 exec, exec, s[24:25]
	s_cbranch_execz .LBB1483_111
.LBB1483_109:                           ; =>This Inner Loop Header: Depth=1
	global_load_dword v27, v[22:23], off
	global_load_dword v35, v[24:25], off
	s_or_b64 s[26:27], s[26:27], exec
	s_or_b64 s[28:29], s[28:29], exec
	s_waitcnt vmcnt(0)
	v_cmp_lt_u32_e32 vcc, v27, v35
	v_cmp_le_u32_e64 s[2:3], v27, v35
	v_cmp_eq_u32_e64 s[4:5], v27, v35
	s_and_saveexec_b64 s[42:43], s[4:5]
	s_cbranch_execz .LBB1483_108
; %bb.110:                              ;   in Loop: Header=BB1483_109 Depth=1
	s_add_u32 s40, s40, -1
	s_addc_u32 s41, s41, -1
	s_cmp_eq_u64 s[40:41], 0
	s_cselect_b64 s[4:5], -1, 0
	s_andn2_b64 s[28:29], s[28:29], exec
	s_and_b64 s[4:5], s[4:5], exec
	v_lshl_add_u64 v[22:23], v[22:23], 0, 4
	v_lshl_add_u64 v[24:25], v[24:25], 0, 4
	s_andn2_b64 s[26:27], s[26:27], exec
	s_or_b64 s[28:29], s[28:29], s[4:5]
	s_branch .LBB1483_108
.LBB1483_111:
	s_or_b64 exec, exec, s[24:25]
	s_and_saveexec_b64 s[2:3], s[22:23]
	s_xor_b64 s[2:3], exec, s[2:3]
; %bb.112:
	v_cndmask_b32_e64 v23, v11, v13, s[12:13]
	v_cndmask_b32_e64 v22, v10, v12, s[12:13]
	;; [unrolled: 1-line block ×4, first 2 shown]
	v_mov_b64_e32 v[10:11], v[22:23]
; %bb.113:
	s_or_b64 exec, exec, s[2:3]
.LBB1483_114:
	s_and_b64 vcc, exec, s[0:1]
	s_cbranch_vccnz .LBB1483_188
; %bb.115:
	v_mul_lo_u32 v24, v9, s36
	v_mul_lo_u32 v25, v8, s37
	v_mad_u64_u32 v[22:23], s[2:3], v8, s36, 0
	v_add3_u32 v23, v23, v25, v24
	v_mul_lo_u32 v27, v7, s36
	v_mul_lo_u32 v35, v6, s37
	v_mad_u64_u32 v[24:25], s[2:3], v6, s36, 0
	v_add3_u32 v25, v25, v35, v27
	v_lshl_add_u64 v[22:23], v[22:23], 2, s[38:39]
	v_lshl_add_u64 v[24:25], v[24:25], 2, s[38:39]
	s_mov_b64 s[22:23], 0
	s_mov_b64 s[40:41], s[36:37]
                                        ; implicit-def: $sgpr12_sgpr13
                                        ; implicit-def: $sgpr24_sgpr25
                                        ; implicit-def: $sgpr28_sgpr29
                                        ; implicit-def: $sgpr26_sgpr27
                                        ; implicit-def: $sgpr30_sgpr31
	s_branch .LBB1483_117
.LBB1483_116:                           ;   in Loop: Header=BB1483_117 Depth=1
	s_or_b64 exec, exec, s[42:43]
	s_and_b64 s[2:3], s[2:3], s[30:31]
	s_or_b64 s[2:3], vcc, s[2:3]
	s_and_b64 s[4:5], exec, s[28:29]
	s_or_b64 s[22:23], s[4:5], s[22:23]
	s_andn2_b64 s[4:5], s[30:31], exec
	s_and_b64 s[2:3], s[2:3], exec
	s_or_b64 s[30:31], s[4:5], s[2:3]
	s_andn2_b64 s[4:5], s[24:25], exec
	s_and_b64 s[24:25], s[26:27], exec
	s_or_b64 s[24:25], s[4:5], s[24:25]
	s_andn2_b64 s[4:5], s[12:13], exec
	s_or_b64 s[12:13], s[4:5], s[2:3]
	s_andn2_b64 exec, exec, s[22:23]
	s_cbranch_execz .LBB1483_119
.LBB1483_117:                           ; =>This Inner Loop Header: Depth=1
	global_load_dword v27, v[22:23], off
	global_load_dword v35, v[24:25], off
	s_or_b64 s[26:27], s[26:27], exec
	s_or_b64 s[28:29], s[28:29], exec
	s_waitcnt vmcnt(0)
	v_cmp_lt_u32_e32 vcc, v27, v35
	v_cmp_le_u32_e64 s[2:3], v27, v35
	v_cmp_eq_u32_e64 s[4:5], v27, v35
	s_and_saveexec_b64 s[42:43], s[4:5]
	s_cbranch_execz .LBB1483_116
; %bb.118:                              ;   in Loop: Header=BB1483_117 Depth=1
	s_add_u32 s40, s40, -1
	s_addc_u32 s41, s41, -1
	s_cmp_eq_u64 s[40:41], 0
	s_cselect_b64 s[4:5], -1, 0
	s_andn2_b64 s[28:29], s[28:29], exec
	s_and_b64 s[4:5], s[4:5], exec
	v_lshl_add_u64 v[22:23], v[22:23], 0, 4
	v_lshl_add_u64 v[24:25], v[24:25], 0, 4
	s_andn2_b64 s[26:27], s[26:27], exec
	s_or_b64 s[28:29], s[28:29], s[4:5]
	s_branch .LBB1483_116
.LBB1483_119:
	s_or_b64 exec, exec, s[22:23]
	s_and_saveexec_b64 s[2:3], s[24:25]
	s_xor_b64 s[2:3], exec, s[2:3]
; %bb.120:
	v_cndmask_b32_e64 v23, v7, v9, s[12:13]
	v_cndmask_b32_e64 v22, v6, v8, s[12:13]
	;; [unrolled: 1-line block ×4, first 2 shown]
	v_mov_b64_e32 v[6:7], v[22:23]
; %bb.121:
	s_or_b64 exec, exec, s[2:3]
	v_mul_lo_u32 v24, v5, s36
	v_mul_lo_u32 v25, v4, s37
	v_mad_u64_u32 v[22:23], s[2:3], v4, s36, 0
	v_add3_u32 v23, v23, v25, v24
	v_mul_lo_u32 v27, v3, s36
	v_mul_lo_u32 v35, v2, s37
	v_mad_u64_u32 v[24:25], s[2:3], v2, s36, 0
	v_add3_u32 v25, v25, v35, v27
	v_lshl_add_u64 v[22:23], v[22:23], 2, s[38:39]
	v_lshl_add_u64 v[24:25], v[24:25], 2, s[38:39]
	s_mov_b64 s[22:23], 0
	s_mov_b64 s[40:41], s[36:37]
                                        ; implicit-def: $sgpr12_sgpr13
                                        ; implicit-def: $sgpr24_sgpr25
                                        ; implicit-def: $sgpr28_sgpr29
                                        ; implicit-def: $sgpr26_sgpr27
                                        ; implicit-def: $sgpr30_sgpr31
	s_branch .LBB1483_123
.LBB1483_122:                           ;   in Loop: Header=BB1483_123 Depth=1
	s_or_b64 exec, exec, s[42:43]
	s_and_b64 s[2:3], s[2:3], s[30:31]
	s_or_b64 s[2:3], vcc, s[2:3]
	s_and_b64 s[4:5], exec, s[28:29]
	s_or_b64 s[22:23], s[4:5], s[22:23]
	s_andn2_b64 s[4:5], s[30:31], exec
	s_and_b64 s[2:3], s[2:3], exec
	s_or_b64 s[30:31], s[4:5], s[2:3]
	s_andn2_b64 s[4:5], s[24:25], exec
	s_and_b64 s[24:25], s[26:27], exec
	s_or_b64 s[24:25], s[4:5], s[24:25]
	s_andn2_b64 s[4:5], s[12:13], exec
	s_or_b64 s[12:13], s[4:5], s[2:3]
	s_andn2_b64 exec, exec, s[22:23]
	s_cbranch_execz .LBB1483_125
.LBB1483_123:                           ; =>This Inner Loop Header: Depth=1
	global_load_dword v27, v[22:23], off
	global_load_dword v35, v[24:25], off
	s_or_b64 s[26:27], s[26:27], exec
	s_or_b64 s[28:29], s[28:29], exec
	s_waitcnt vmcnt(0)
	v_cmp_lt_u32_e32 vcc, v27, v35
	v_cmp_le_u32_e64 s[2:3], v27, v35
	v_cmp_eq_u32_e64 s[4:5], v27, v35
	s_and_saveexec_b64 s[42:43], s[4:5]
	s_cbranch_execz .LBB1483_122
; %bb.124:                              ;   in Loop: Header=BB1483_123 Depth=1
	s_add_u32 s40, s40, -1
	s_addc_u32 s41, s41, -1
	s_cmp_eq_u64 s[40:41], 0
	s_cselect_b64 s[4:5], -1, 0
	s_andn2_b64 s[28:29], s[28:29], exec
	s_and_b64 s[4:5], s[4:5], exec
	v_lshl_add_u64 v[22:23], v[22:23], 0, 4
	v_lshl_add_u64 v[24:25], v[24:25], 0, 4
	s_andn2_b64 s[26:27], s[26:27], exec
	s_or_b64 s[28:29], s[28:29], s[4:5]
	s_branch .LBB1483_122
.LBB1483_125:
	s_or_b64 exec, exec, s[22:23]
	s_and_saveexec_b64 s[2:3], s[24:25]
	s_xor_b64 s[2:3], exec, s[2:3]
; %bb.126:
	v_cndmask_b32_e64 v23, v3, v5, s[12:13]
	v_cndmask_b32_e64 v22, v2, v4, s[12:13]
	;; [unrolled: 1-line block ×4, first 2 shown]
	v_mov_b64_e32 v[2:3], v[22:23]
; %bb.127:
	s_or_b64 exec, exec, s[2:3]
	v_mul_lo_u32 v24, v11, s36
	v_mul_lo_u32 v25, v10, s37
	v_mad_u64_u32 v[22:23], s[2:3], v10, s36, 0
	v_add3_u32 v23, v23, v25, v24
	v_mul_lo_u32 v27, v17, s36
	v_mul_lo_u32 v35, v16, s37
	v_mad_u64_u32 v[24:25], s[2:3], v16, s36, 0
	v_add3_u32 v25, v25, v35, v27
	v_lshl_add_u64 v[22:23], v[22:23], 2, s[38:39]
	v_lshl_add_u64 v[24:25], v[24:25], 2, s[38:39]
	s_mov_b64 s[22:23], 0
	s_mov_b64 s[40:41], s[36:37]
                                        ; implicit-def: $sgpr12_sgpr13
                                        ; implicit-def: $sgpr24_sgpr25
                                        ; implicit-def: $sgpr28_sgpr29
                                        ; implicit-def: $sgpr26_sgpr27
                                        ; implicit-def: $sgpr30_sgpr31
	s_branch .LBB1483_129
.LBB1483_128:                           ;   in Loop: Header=BB1483_129 Depth=1
	s_or_b64 exec, exec, s[42:43]
	s_and_b64 s[2:3], s[2:3], s[30:31]
	s_or_b64 s[2:3], vcc, s[2:3]
	s_and_b64 s[4:5], exec, s[28:29]
	s_or_b64 s[22:23], s[4:5], s[22:23]
	s_andn2_b64 s[4:5], s[30:31], exec
	s_and_b64 s[2:3], s[2:3], exec
	s_or_b64 s[30:31], s[4:5], s[2:3]
	s_andn2_b64 s[4:5], s[24:25], exec
	s_and_b64 s[24:25], s[26:27], exec
	s_or_b64 s[24:25], s[4:5], s[24:25]
	s_andn2_b64 s[4:5], s[12:13], exec
	s_or_b64 s[12:13], s[4:5], s[2:3]
	s_andn2_b64 exec, exec, s[22:23]
	s_cbranch_execz .LBB1483_131
.LBB1483_129:                           ; =>This Inner Loop Header: Depth=1
	global_load_dword v27, v[22:23], off
	global_load_dword v35, v[24:25], off
	s_or_b64 s[26:27], s[26:27], exec
	s_or_b64 s[28:29], s[28:29], exec
	s_waitcnt vmcnt(0)
	v_cmp_lt_u32_e32 vcc, v27, v35
	v_cmp_le_u32_e64 s[2:3], v27, v35
	v_cmp_eq_u32_e64 s[4:5], v27, v35
	s_and_saveexec_b64 s[42:43], s[4:5]
	s_cbranch_execz .LBB1483_128
; %bb.130:                              ;   in Loop: Header=BB1483_129 Depth=1
	s_add_u32 s40, s40, -1
	s_addc_u32 s41, s41, -1
	s_cmp_eq_u64 s[40:41], 0
	s_cselect_b64 s[4:5], -1, 0
	s_andn2_b64 s[28:29], s[28:29], exec
	s_and_b64 s[4:5], s[4:5], exec
	v_lshl_add_u64 v[22:23], v[22:23], 0, 4
	v_lshl_add_u64 v[24:25], v[24:25], 0, 4
	s_andn2_b64 s[26:27], s[26:27], exec
	s_or_b64 s[28:29], s[28:29], s[4:5]
	s_branch .LBB1483_128
.LBB1483_131:
	s_or_b64 exec, exec, s[22:23]
	s_and_saveexec_b64 s[2:3], s[24:25]
	s_xor_b64 s[2:3], exec, s[2:3]
; %bb.132:
	v_cndmask_b32_e64 v23, v17, v11, s[12:13]
	v_cndmask_b32_e64 v22, v16, v10, s[12:13]
	;; [unrolled: 1-line block ×4, first 2 shown]
	v_mov_b64_e32 v[16:17], v[22:23]
; %bb.133:
	s_or_b64 exec, exec, s[2:3]
	v_mul_lo_u32 v24, v7, s36
	v_mul_lo_u32 v25, v6, s37
	v_mad_u64_u32 v[22:23], s[2:3], v6, s36, 0
	v_add3_u32 v23, v23, v25, v24
	v_mul_lo_u32 v27, v13, s36
	v_mul_lo_u32 v35, v12, s37
	v_mad_u64_u32 v[24:25], s[2:3], v12, s36, 0
	v_add3_u32 v25, v25, v35, v27
	v_lshl_add_u64 v[22:23], v[22:23], 2, s[38:39]
	v_lshl_add_u64 v[24:25], v[24:25], 2, s[38:39]
	s_mov_b64 s[22:23], 0
	s_mov_b64 s[40:41], s[36:37]
                                        ; implicit-def: $sgpr12_sgpr13
                                        ; implicit-def: $sgpr24_sgpr25
                                        ; implicit-def: $sgpr28_sgpr29
                                        ; implicit-def: $sgpr26_sgpr27
                                        ; implicit-def: $sgpr30_sgpr31
	s_branch .LBB1483_135
.LBB1483_134:                           ;   in Loop: Header=BB1483_135 Depth=1
	s_or_b64 exec, exec, s[42:43]
	s_and_b64 s[2:3], s[2:3], s[30:31]
	s_or_b64 s[2:3], vcc, s[2:3]
	s_and_b64 s[4:5], exec, s[28:29]
	s_or_b64 s[22:23], s[4:5], s[22:23]
	s_andn2_b64 s[4:5], s[30:31], exec
	s_and_b64 s[2:3], s[2:3], exec
	s_or_b64 s[30:31], s[4:5], s[2:3]
	s_andn2_b64 s[4:5], s[24:25], exec
	s_and_b64 s[24:25], s[26:27], exec
	s_or_b64 s[24:25], s[4:5], s[24:25]
	s_andn2_b64 s[4:5], s[12:13], exec
	s_or_b64 s[12:13], s[4:5], s[2:3]
	s_andn2_b64 exec, exec, s[22:23]
	s_cbranch_execz .LBB1483_137
.LBB1483_135:                           ; =>This Inner Loop Header: Depth=1
	global_load_dword v27, v[22:23], off
	global_load_dword v35, v[24:25], off
	s_or_b64 s[26:27], s[26:27], exec
	s_or_b64 s[28:29], s[28:29], exec
	s_waitcnt vmcnt(0)
	v_cmp_lt_u32_e32 vcc, v27, v35
	v_cmp_le_u32_e64 s[2:3], v27, v35
	v_cmp_eq_u32_e64 s[4:5], v27, v35
	s_and_saveexec_b64 s[42:43], s[4:5]
	s_cbranch_execz .LBB1483_134
; %bb.136:                              ;   in Loop: Header=BB1483_135 Depth=1
	s_add_u32 s40, s40, -1
	s_addc_u32 s41, s41, -1
	s_cmp_eq_u64 s[40:41], 0
	s_cselect_b64 s[4:5], -1, 0
	s_andn2_b64 s[28:29], s[28:29], exec
	s_and_b64 s[4:5], s[4:5], exec
	v_lshl_add_u64 v[22:23], v[22:23], 0, 4
	v_lshl_add_u64 v[24:25], v[24:25], 0, 4
	s_andn2_b64 s[26:27], s[26:27], exec
	s_or_b64 s[28:29], s[28:29], s[4:5]
	s_branch .LBB1483_134
.LBB1483_137:
	s_or_b64 exec, exec, s[22:23]
	s_and_saveexec_b64 s[2:3], s[24:25]
	s_xor_b64 s[2:3], exec, s[2:3]
; %bb.138:
	v_cndmask_b32_e64 v23, v13, v7, s[12:13]
	v_cndmask_b32_e64 v22, v12, v6, s[12:13]
	;; [unrolled: 1-line block ×4, first 2 shown]
	v_mov_b64_e32 v[12:13], v[22:23]
; %bb.139:
	s_or_b64 exec, exec, s[2:3]
	v_mul_lo_u32 v24, v3, s36
	v_mul_lo_u32 v25, v2, s37
	v_mad_u64_u32 v[22:23], s[2:3], v2, s36, 0
	v_add3_u32 v23, v23, v25, v24
	v_mul_lo_u32 v27, v9, s36
	v_mul_lo_u32 v35, v8, s37
	v_mad_u64_u32 v[24:25], s[2:3], v8, s36, 0
	v_add3_u32 v25, v25, v35, v27
	v_lshl_add_u64 v[22:23], v[22:23], 2, s[38:39]
	v_lshl_add_u64 v[24:25], v[24:25], 2, s[38:39]
	s_mov_b64 s[22:23], 0
	s_mov_b64 s[40:41], s[36:37]
                                        ; implicit-def: $sgpr12_sgpr13
                                        ; implicit-def: $sgpr24_sgpr25
                                        ; implicit-def: $sgpr28_sgpr29
                                        ; implicit-def: $sgpr26_sgpr27
                                        ; implicit-def: $sgpr30_sgpr31
	s_branch .LBB1483_141
.LBB1483_140:                           ;   in Loop: Header=BB1483_141 Depth=1
	s_or_b64 exec, exec, s[42:43]
	s_and_b64 s[2:3], s[2:3], s[30:31]
	s_or_b64 s[2:3], vcc, s[2:3]
	s_and_b64 s[4:5], exec, s[28:29]
	s_or_b64 s[22:23], s[4:5], s[22:23]
	s_andn2_b64 s[4:5], s[30:31], exec
	s_and_b64 s[2:3], s[2:3], exec
	s_or_b64 s[30:31], s[4:5], s[2:3]
	s_andn2_b64 s[4:5], s[24:25], exec
	s_and_b64 s[24:25], s[26:27], exec
	s_or_b64 s[24:25], s[4:5], s[24:25]
	s_andn2_b64 s[4:5], s[12:13], exec
	s_or_b64 s[12:13], s[4:5], s[2:3]
	s_andn2_b64 exec, exec, s[22:23]
	s_cbranch_execz .LBB1483_143
.LBB1483_141:                           ; =>This Inner Loop Header: Depth=1
	global_load_dword v27, v[22:23], off
	global_load_dword v35, v[24:25], off
	s_or_b64 s[26:27], s[26:27], exec
	s_or_b64 s[28:29], s[28:29], exec
	s_waitcnt vmcnt(0)
	v_cmp_lt_u32_e32 vcc, v27, v35
	v_cmp_le_u32_e64 s[2:3], v27, v35
	v_cmp_eq_u32_e64 s[4:5], v27, v35
	s_and_saveexec_b64 s[42:43], s[4:5]
	s_cbranch_execz .LBB1483_140
; %bb.142:                              ;   in Loop: Header=BB1483_141 Depth=1
	s_add_u32 s40, s40, -1
	s_addc_u32 s41, s41, -1
	s_cmp_eq_u64 s[40:41], 0
	s_cselect_b64 s[4:5], -1, 0
	s_andn2_b64 s[28:29], s[28:29], exec
	s_and_b64 s[4:5], s[4:5], exec
	v_lshl_add_u64 v[22:23], v[22:23], 0, 4
	v_lshl_add_u64 v[24:25], v[24:25], 0, 4
	s_andn2_b64 s[26:27], s[26:27], exec
	s_or_b64 s[28:29], s[28:29], s[4:5]
	s_branch .LBB1483_140
.LBB1483_143:
	s_or_b64 exec, exec, s[22:23]
	s_and_saveexec_b64 s[2:3], s[24:25]
	s_xor_b64 s[2:3], exec, s[2:3]
; %bb.144:
	v_cndmask_b32_e64 v23, v9, v3, s[12:13]
	v_cndmask_b32_e64 v22, v8, v2, s[12:13]
	;; [unrolled: 1-line block ×4, first 2 shown]
	v_mov_b64_e32 v[8:9], v[22:23]
; %bb.145:
	s_or_b64 exec, exec, s[2:3]
	v_mul_lo_u32 v24, v17, s36
	v_mul_lo_u32 v25, v16, s37
	v_mad_u64_u32 v[22:23], s[2:3], v16, s36, 0
	v_add3_u32 v23, v23, v25, v24
	v_mul_lo_u32 v27, v15, s36
	v_mul_lo_u32 v35, v14, s37
	v_mad_u64_u32 v[24:25], s[2:3], v14, s36, 0
	v_add3_u32 v25, v25, v35, v27
	v_lshl_add_u64 v[22:23], v[22:23], 2, s[38:39]
	v_lshl_add_u64 v[24:25], v[24:25], 2, s[38:39]
	s_mov_b64 s[22:23], 0
	s_mov_b64 s[40:41], s[36:37]
                                        ; implicit-def: $sgpr12_sgpr13
                                        ; implicit-def: $sgpr24_sgpr25
                                        ; implicit-def: $sgpr28_sgpr29
                                        ; implicit-def: $sgpr26_sgpr27
                                        ; implicit-def: $sgpr30_sgpr31
	s_branch .LBB1483_147
.LBB1483_146:                           ;   in Loop: Header=BB1483_147 Depth=1
	s_or_b64 exec, exec, s[42:43]
	s_and_b64 s[2:3], s[2:3], s[30:31]
	s_or_b64 s[2:3], vcc, s[2:3]
	s_and_b64 s[4:5], exec, s[28:29]
	s_or_b64 s[22:23], s[4:5], s[22:23]
	s_andn2_b64 s[4:5], s[30:31], exec
	s_and_b64 s[2:3], s[2:3], exec
	s_or_b64 s[30:31], s[4:5], s[2:3]
	s_andn2_b64 s[4:5], s[24:25], exec
	s_and_b64 s[24:25], s[26:27], exec
	s_or_b64 s[24:25], s[4:5], s[24:25]
	s_andn2_b64 s[4:5], s[12:13], exec
	s_or_b64 s[12:13], s[4:5], s[2:3]
	s_andn2_b64 exec, exec, s[22:23]
	s_cbranch_execz .LBB1483_149
.LBB1483_147:                           ; =>This Inner Loop Header: Depth=1
	global_load_dword v27, v[22:23], off
	global_load_dword v35, v[24:25], off
	s_or_b64 s[26:27], s[26:27], exec
	s_or_b64 s[28:29], s[28:29], exec
	s_waitcnt vmcnt(0)
	v_cmp_lt_u32_e32 vcc, v27, v35
	v_cmp_le_u32_e64 s[2:3], v27, v35
	v_cmp_eq_u32_e64 s[4:5], v27, v35
	s_and_saveexec_b64 s[42:43], s[4:5]
	s_cbranch_execz .LBB1483_146
; %bb.148:                              ;   in Loop: Header=BB1483_147 Depth=1
	s_add_u32 s40, s40, -1
	s_addc_u32 s41, s41, -1
	s_cmp_eq_u64 s[40:41], 0
	s_cselect_b64 s[4:5], -1, 0
	s_andn2_b64 s[28:29], s[28:29], exec
	s_and_b64 s[4:5], s[4:5], exec
	v_lshl_add_u64 v[22:23], v[22:23], 0, 4
	v_lshl_add_u64 v[24:25], v[24:25], 0, 4
	s_andn2_b64 s[26:27], s[26:27], exec
	s_or_b64 s[28:29], s[28:29], s[4:5]
	s_branch .LBB1483_146
.LBB1483_149:
	s_or_b64 exec, exec, s[22:23]
	s_and_saveexec_b64 s[2:3], s[24:25]
	s_xor_b64 s[2:3], exec, s[2:3]
; %bb.150:
	v_cndmask_b32_e64 v23, v17, v15, s[12:13]
	v_cndmask_b32_e64 v22, v16, v14, s[12:13]
	;; [unrolled: 1-line block ×4, first 2 shown]
	v_mov_b64_e32 v[16:17], v[22:23]
; %bb.151:
	s_or_b64 exec, exec, s[2:3]
	v_mul_lo_u32 v24, v13, s36
	v_mul_lo_u32 v25, v12, s37
	v_mad_u64_u32 v[22:23], s[2:3], v12, s36, 0
	v_add3_u32 v23, v23, v25, v24
	v_mul_lo_u32 v27, v11, s36
	v_mul_lo_u32 v35, v10, s37
	v_mad_u64_u32 v[24:25], s[2:3], v10, s36, 0
	v_add3_u32 v25, v25, v35, v27
	v_lshl_add_u64 v[22:23], v[22:23], 2, s[38:39]
	v_lshl_add_u64 v[24:25], v[24:25], 2, s[38:39]
	s_mov_b64 s[22:23], 0
	s_mov_b64 s[40:41], s[36:37]
                                        ; implicit-def: $sgpr12_sgpr13
                                        ; implicit-def: $sgpr24_sgpr25
                                        ; implicit-def: $sgpr28_sgpr29
                                        ; implicit-def: $sgpr26_sgpr27
                                        ; implicit-def: $sgpr30_sgpr31
	s_branch .LBB1483_153
.LBB1483_152:                           ;   in Loop: Header=BB1483_153 Depth=1
	s_or_b64 exec, exec, s[42:43]
	s_and_b64 s[2:3], s[2:3], s[30:31]
	s_or_b64 s[2:3], vcc, s[2:3]
	s_and_b64 s[4:5], exec, s[28:29]
	s_or_b64 s[22:23], s[4:5], s[22:23]
	s_andn2_b64 s[4:5], s[30:31], exec
	s_and_b64 s[2:3], s[2:3], exec
	s_or_b64 s[30:31], s[4:5], s[2:3]
	s_andn2_b64 s[4:5], s[24:25], exec
	s_and_b64 s[24:25], s[26:27], exec
	s_or_b64 s[24:25], s[4:5], s[24:25]
	s_andn2_b64 s[4:5], s[12:13], exec
	s_or_b64 s[12:13], s[4:5], s[2:3]
	s_andn2_b64 exec, exec, s[22:23]
	s_cbranch_execz .LBB1483_155
.LBB1483_153:                           ; =>This Inner Loop Header: Depth=1
	global_load_dword v27, v[22:23], off
	global_load_dword v35, v[24:25], off
	s_or_b64 s[26:27], s[26:27], exec
	s_or_b64 s[28:29], s[28:29], exec
	s_waitcnt vmcnt(0)
	v_cmp_lt_u32_e32 vcc, v27, v35
	v_cmp_le_u32_e64 s[2:3], v27, v35
	v_cmp_eq_u32_e64 s[4:5], v27, v35
	s_and_saveexec_b64 s[42:43], s[4:5]
	s_cbranch_execz .LBB1483_152
; %bb.154:                              ;   in Loop: Header=BB1483_153 Depth=1
	s_add_u32 s40, s40, -1
	s_addc_u32 s41, s41, -1
	s_cmp_eq_u64 s[40:41], 0
	s_cselect_b64 s[4:5], -1, 0
	s_andn2_b64 s[28:29], s[28:29], exec
	s_and_b64 s[4:5], s[4:5], exec
	v_lshl_add_u64 v[22:23], v[22:23], 0, 4
	v_lshl_add_u64 v[24:25], v[24:25], 0, 4
	s_andn2_b64 s[26:27], s[26:27], exec
	s_or_b64 s[28:29], s[28:29], s[4:5]
	s_branch .LBB1483_152
.LBB1483_155:
	s_or_b64 exec, exec, s[22:23]
	s_and_saveexec_b64 s[2:3], s[24:25]
	s_xor_b64 s[2:3], exec, s[2:3]
; %bb.156:
	v_cndmask_b32_e64 v23, v11, v13, s[12:13]
	v_cndmask_b32_e64 v22, v10, v12, s[12:13]
	;; [unrolled: 1-line block ×4, first 2 shown]
	v_mov_b64_e32 v[10:11], v[22:23]
; %bb.157:
	s_or_b64 exec, exec, s[2:3]
	v_mul_lo_u32 v24, v9, s36
	v_mul_lo_u32 v25, v8, s37
	v_mad_u64_u32 v[22:23], s[2:3], v8, s36, 0
	v_add3_u32 v23, v23, v25, v24
	v_mul_lo_u32 v27, v7, s36
	v_mul_lo_u32 v35, v6, s37
	v_mad_u64_u32 v[24:25], s[2:3], v6, s36, 0
	v_add3_u32 v25, v25, v35, v27
	v_lshl_add_u64 v[22:23], v[22:23], 2, s[38:39]
	v_lshl_add_u64 v[24:25], v[24:25], 2, s[38:39]
	s_mov_b64 s[22:23], 0
	s_mov_b64 s[40:41], s[36:37]
                                        ; implicit-def: $sgpr12_sgpr13
                                        ; implicit-def: $sgpr24_sgpr25
                                        ; implicit-def: $sgpr28_sgpr29
                                        ; implicit-def: $sgpr26_sgpr27
                                        ; implicit-def: $sgpr30_sgpr31
	s_branch .LBB1483_159
.LBB1483_158:                           ;   in Loop: Header=BB1483_159 Depth=1
	s_or_b64 exec, exec, s[42:43]
	s_and_b64 s[2:3], s[2:3], s[30:31]
	s_or_b64 s[2:3], vcc, s[2:3]
	s_and_b64 s[4:5], exec, s[28:29]
	s_or_b64 s[22:23], s[4:5], s[22:23]
	s_andn2_b64 s[4:5], s[30:31], exec
	s_and_b64 s[2:3], s[2:3], exec
	s_or_b64 s[30:31], s[4:5], s[2:3]
	s_andn2_b64 s[4:5], s[24:25], exec
	s_and_b64 s[24:25], s[26:27], exec
	s_or_b64 s[24:25], s[4:5], s[24:25]
	s_andn2_b64 s[4:5], s[12:13], exec
	s_or_b64 s[12:13], s[4:5], s[2:3]
	s_andn2_b64 exec, exec, s[22:23]
	s_cbranch_execz .LBB1483_161
.LBB1483_159:                           ; =>This Inner Loop Header: Depth=1
	global_load_dword v27, v[22:23], off
	global_load_dword v35, v[24:25], off
	s_or_b64 s[26:27], s[26:27], exec
	s_or_b64 s[28:29], s[28:29], exec
	s_waitcnt vmcnt(0)
	v_cmp_lt_u32_e32 vcc, v27, v35
	v_cmp_le_u32_e64 s[2:3], v27, v35
	v_cmp_eq_u32_e64 s[4:5], v27, v35
	s_and_saveexec_b64 s[42:43], s[4:5]
	s_cbranch_execz .LBB1483_158
; %bb.160:                              ;   in Loop: Header=BB1483_159 Depth=1
	s_add_u32 s40, s40, -1
	s_addc_u32 s41, s41, -1
	s_cmp_eq_u64 s[40:41], 0
	s_cselect_b64 s[4:5], -1, 0
	s_andn2_b64 s[28:29], s[28:29], exec
	s_and_b64 s[4:5], s[4:5], exec
	v_lshl_add_u64 v[22:23], v[22:23], 0, 4
	v_lshl_add_u64 v[24:25], v[24:25], 0, 4
	s_andn2_b64 s[26:27], s[26:27], exec
	s_or_b64 s[28:29], s[28:29], s[4:5]
	s_branch .LBB1483_158
.LBB1483_161:
	s_or_b64 exec, exec, s[22:23]
	s_and_saveexec_b64 s[2:3], s[24:25]
	s_xor_b64 s[2:3], exec, s[2:3]
; %bb.162:
	v_cndmask_b32_e64 v23, v7, v9, s[12:13]
	v_cndmask_b32_e64 v22, v6, v8, s[12:13]
	v_cndmask_b32_e64 v9, v9, v7, s[12:13]
	v_cndmask_b32_e64 v8, v8, v6, s[12:13]
	v_mov_b64_e32 v[6:7], v[22:23]
; %bb.163:
	s_or_b64 exec, exec, s[2:3]
	v_mul_lo_u32 v24, v5, s36
	v_mul_lo_u32 v25, v4, s37
	v_mad_u64_u32 v[22:23], s[2:3], v4, s36, 0
	v_add3_u32 v23, v23, v25, v24
	v_mul_lo_u32 v27, v3, s36
	v_mul_lo_u32 v35, v2, s37
	v_mad_u64_u32 v[24:25], s[2:3], v2, s36, 0
	v_add3_u32 v25, v25, v35, v27
	v_lshl_add_u64 v[22:23], v[22:23], 2, s[38:39]
	v_lshl_add_u64 v[24:25], v[24:25], 2, s[38:39]
	s_mov_b64 s[22:23], 0
	s_mov_b64 s[40:41], s[36:37]
                                        ; implicit-def: $sgpr12_sgpr13
                                        ; implicit-def: $sgpr24_sgpr25
                                        ; implicit-def: $sgpr28_sgpr29
                                        ; implicit-def: $sgpr26_sgpr27
                                        ; implicit-def: $sgpr30_sgpr31
	s_branch .LBB1483_165
.LBB1483_164:                           ;   in Loop: Header=BB1483_165 Depth=1
	s_or_b64 exec, exec, s[42:43]
	s_and_b64 s[2:3], s[2:3], s[30:31]
	s_or_b64 s[2:3], vcc, s[2:3]
	s_and_b64 s[4:5], exec, s[28:29]
	s_or_b64 s[22:23], s[4:5], s[22:23]
	s_andn2_b64 s[4:5], s[30:31], exec
	s_and_b64 s[2:3], s[2:3], exec
	s_or_b64 s[30:31], s[4:5], s[2:3]
	s_andn2_b64 s[4:5], s[24:25], exec
	s_and_b64 s[24:25], s[26:27], exec
	s_or_b64 s[24:25], s[4:5], s[24:25]
	s_andn2_b64 s[4:5], s[12:13], exec
	s_or_b64 s[12:13], s[4:5], s[2:3]
	s_andn2_b64 exec, exec, s[22:23]
	s_cbranch_execz .LBB1483_167
.LBB1483_165:                           ; =>This Inner Loop Header: Depth=1
	global_load_dword v27, v[22:23], off
	global_load_dword v35, v[24:25], off
	s_or_b64 s[26:27], s[26:27], exec
	s_or_b64 s[28:29], s[28:29], exec
	s_waitcnt vmcnt(0)
	v_cmp_lt_u32_e32 vcc, v27, v35
	v_cmp_le_u32_e64 s[2:3], v27, v35
	v_cmp_eq_u32_e64 s[4:5], v27, v35
	s_and_saveexec_b64 s[42:43], s[4:5]
	s_cbranch_execz .LBB1483_164
; %bb.166:                              ;   in Loop: Header=BB1483_165 Depth=1
	s_add_u32 s40, s40, -1
	s_addc_u32 s41, s41, -1
	s_cmp_eq_u64 s[40:41], 0
	s_cselect_b64 s[4:5], -1, 0
	s_andn2_b64 s[28:29], s[28:29], exec
	s_and_b64 s[4:5], s[4:5], exec
	v_lshl_add_u64 v[22:23], v[22:23], 0, 4
	v_lshl_add_u64 v[24:25], v[24:25], 0, 4
	s_andn2_b64 s[26:27], s[26:27], exec
	s_or_b64 s[28:29], s[28:29], s[4:5]
	s_branch .LBB1483_164
.LBB1483_167:
	s_or_b64 exec, exec, s[22:23]
	s_and_saveexec_b64 s[2:3], s[24:25]
	s_xor_b64 s[2:3], exec, s[2:3]
; %bb.168:
	v_cndmask_b32_e64 v23, v3, v5, s[12:13]
	v_cndmask_b32_e64 v22, v2, v4, s[12:13]
	;; [unrolled: 1-line block ×4, first 2 shown]
	v_mov_b64_e32 v[2:3], v[22:23]
; %bb.169:
	s_or_b64 exec, exec, s[2:3]
	v_mul_lo_u32 v24, v11, s36
	v_mul_lo_u32 v25, v10, s37
	v_mad_u64_u32 v[22:23], s[2:3], v10, s36, 0
	v_add3_u32 v23, v23, v25, v24
	v_mul_lo_u32 v27, v17, s36
	v_mul_lo_u32 v35, v16, s37
	v_mad_u64_u32 v[24:25], s[2:3], v16, s36, 0
	v_add3_u32 v25, v25, v35, v27
	v_lshl_add_u64 v[22:23], v[22:23], 2, s[38:39]
	v_lshl_add_u64 v[24:25], v[24:25], 2, s[38:39]
	s_mov_b64 s[22:23], 0
	s_mov_b64 s[40:41], s[36:37]
                                        ; implicit-def: $sgpr12_sgpr13
                                        ; implicit-def: $sgpr24_sgpr25
                                        ; implicit-def: $sgpr28_sgpr29
                                        ; implicit-def: $sgpr26_sgpr27
                                        ; implicit-def: $sgpr30_sgpr31
	s_branch .LBB1483_171
.LBB1483_170:                           ;   in Loop: Header=BB1483_171 Depth=1
	s_or_b64 exec, exec, s[42:43]
	s_and_b64 s[2:3], s[2:3], s[30:31]
	s_or_b64 s[2:3], vcc, s[2:3]
	s_and_b64 s[4:5], exec, s[28:29]
	s_or_b64 s[22:23], s[4:5], s[22:23]
	s_andn2_b64 s[4:5], s[30:31], exec
	s_and_b64 s[2:3], s[2:3], exec
	s_or_b64 s[30:31], s[4:5], s[2:3]
	s_andn2_b64 s[4:5], s[24:25], exec
	s_and_b64 s[24:25], s[26:27], exec
	s_or_b64 s[24:25], s[4:5], s[24:25]
	s_andn2_b64 s[4:5], s[12:13], exec
	s_or_b64 s[12:13], s[4:5], s[2:3]
	s_andn2_b64 exec, exec, s[22:23]
	s_cbranch_execz .LBB1483_173
.LBB1483_171:                           ; =>This Inner Loop Header: Depth=1
	global_load_dword v27, v[22:23], off
	global_load_dword v35, v[24:25], off
	s_or_b64 s[26:27], s[26:27], exec
	s_or_b64 s[28:29], s[28:29], exec
	s_waitcnt vmcnt(0)
	v_cmp_lt_u32_e32 vcc, v27, v35
	v_cmp_le_u32_e64 s[2:3], v27, v35
	v_cmp_eq_u32_e64 s[4:5], v27, v35
	s_and_saveexec_b64 s[42:43], s[4:5]
	s_cbranch_execz .LBB1483_170
; %bb.172:                              ;   in Loop: Header=BB1483_171 Depth=1
	s_add_u32 s40, s40, -1
	s_addc_u32 s41, s41, -1
	s_cmp_eq_u64 s[40:41], 0
	s_cselect_b64 s[4:5], -1, 0
	s_andn2_b64 s[28:29], s[28:29], exec
	s_and_b64 s[4:5], s[4:5], exec
	v_lshl_add_u64 v[22:23], v[22:23], 0, 4
	v_lshl_add_u64 v[24:25], v[24:25], 0, 4
	s_andn2_b64 s[26:27], s[26:27], exec
	s_or_b64 s[28:29], s[28:29], s[4:5]
	s_branch .LBB1483_170
.LBB1483_173:
	s_or_b64 exec, exec, s[22:23]
	s_and_saveexec_b64 s[2:3], s[24:25]
	s_xor_b64 s[2:3], exec, s[2:3]
; %bb.174:
	v_cndmask_b32_e64 v23, v17, v11, s[12:13]
	v_cndmask_b32_e64 v22, v16, v10, s[12:13]
	;; [unrolled: 1-line block ×4, first 2 shown]
	v_mov_b64_e32 v[16:17], v[22:23]
; %bb.175:
	s_or_b64 exec, exec, s[2:3]
	v_mul_lo_u32 v24, v7, s36
	v_mul_lo_u32 v25, v6, s37
	v_mad_u64_u32 v[22:23], s[2:3], v6, s36, 0
	v_add3_u32 v23, v23, v25, v24
	v_mul_lo_u32 v27, v13, s36
	v_mul_lo_u32 v35, v12, s37
	v_mad_u64_u32 v[24:25], s[2:3], v12, s36, 0
	v_add3_u32 v25, v25, v35, v27
	v_lshl_add_u64 v[22:23], v[22:23], 2, s[38:39]
	v_lshl_add_u64 v[24:25], v[24:25], 2, s[38:39]
	s_mov_b64 s[22:23], 0
	s_mov_b64 s[40:41], s[36:37]
                                        ; implicit-def: $sgpr12_sgpr13
                                        ; implicit-def: $sgpr24_sgpr25
                                        ; implicit-def: $sgpr28_sgpr29
                                        ; implicit-def: $sgpr26_sgpr27
                                        ; implicit-def: $sgpr30_sgpr31
	s_branch .LBB1483_177
.LBB1483_176:                           ;   in Loop: Header=BB1483_177 Depth=1
	s_or_b64 exec, exec, s[42:43]
	s_and_b64 s[2:3], s[2:3], s[30:31]
	s_or_b64 s[2:3], vcc, s[2:3]
	s_and_b64 s[4:5], exec, s[28:29]
	s_or_b64 s[22:23], s[4:5], s[22:23]
	s_andn2_b64 s[4:5], s[30:31], exec
	s_and_b64 s[2:3], s[2:3], exec
	s_or_b64 s[30:31], s[4:5], s[2:3]
	s_andn2_b64 s[4:5], s[24:25], exec
	s_and_b64 s[24:25], s[26:27], exec
	s_or_b64 s[24:25], s[4:5], s[24:25]
	s_andn2_b64 s[4:5], s[12:13], exec
	s_or_b64 s[12:13], s[4:5], s[2:3]
	s_andn2_b64 exec, exec, s[22:23]
	s_cbranch_execz .LBB1483_179
.LBB1483_177:                           ; =>This Inner Loop Header: Depth=1
	global_load_dword v27, v[22:23], off
	global_load_dword v35, v[24:25], off
	s_or_b64 s[26:27], s[26:27], exec
	s_or_b64 s[28:29], s[28:29], exec
	s_waitcnt vmcnt(0)
	v_cmp_lt_u32_e32 vcc, v27, v35
	v_cmp_le_u32_e64 s[2:3], v27, v35
	v_cmp_eq_u32_e64 s[4:5], v27, v35
	s_and_saveexec_b64 s[42:43], s[4:5]
	s_cbranch_execz .LBB1483_176
; %bb.178:                              ;   in Loop: Header=BB1483_177 Depth=1
	s_add_u32 s40, s40, -1
	s_addc_u32 s41, s41, -1
	s_cmp_eq_u64 s[40:41], 0
	s_cselect_b64 s[4:5], -1, 0
	s_andn2_b64 s[28:29], s[28:29], exec
	s_and_b64 s[4:5], s[4:5], exec
	v_lshl_add_u64 v[22:23], v[22:23], 0, 4
	v_lshl_add_u64 v[24:25], v[24:25], 0, 4
	s_andn2_b64 s[26:27], s[26:27], exec
	s_or_b64 s[28:29], s[28:29], s[4:5]
	s_branch .LBB1483_176
.LBB1483_179:
	s_or_b64 exec, exec, s[22:23]
	s_and_saveexec_b64 s[2:3], s[24:25]
	s_xor_b64 s[2:3], exec, s[2:3]
; %bb.180:
	v_cndmask_b32_e64 v23, v13, v7, s[12:13]
	v_cndmask_b32_e64 v22, v12, v6, s[12:13]
	;; [unrolled: 1-line block ×4, first 2 shown]
	v_mov_b64_e32 v[12:13], v[22:23]
; %bb.181:
	s_or_b64 exec, exec, s[2:3]
	v_mul_lo_u32 v24, v3, s36
	v_mul_lo_u32 v25, v2, s37
	v_mad_u64_u32 v[22:23], s[2:3], v2, s36, 0
	v_add3_u32 v23, v23, v25, v24
	v_mul_lo_u32 v27, v9, s36
	v_mul_lo_u32 v35, v8, s37
	v_mad_u64_u32 v[24:25], s[2:3], v8, s36, 0
	v_add3_u32 v25, v25, v35, v27
	v_lshl_add_u64 v[22:23], v[22:23], 2, s[38:39]
	v_lshl_add_u64 v[24:25], v[24:25], 2, s[38:39]
	s_mov_b64 s[24:25], 0
	s_mov_b64 s[40:41], s[36:37]
                                        ; implicit-def: $sgpr12_sgpr13
                                        ; implicit-def: $sgpr22_sgpr23
                                        ; implicit-def: $sgpr28_sgpr29
                                        ; implicit-def: $sgpr26_sgpr27
                                        ; implicit-def: $sgpr30_sgpr31
	s_branch .LBB1483_183
.LBB1483_182:                           ;   in Loop: Header=BB1483_183 Depth=1
	s_or_b64 exec, exec, s[42:43]
	s_and_b64 s[2:3], s[2:3], s[30:31]
	s_or_b64 s[2:3], vcc, s[2:3]
	s_and_b64 s[4:5], exec, s[28:29]
	s_or_b64 s[24:25], s[4:5], s[24:25]
	s_andn2_b64 s[4:5], s[30:31], exec
	s_and_b64 s[2:3], s[2:3], exec
	s_or_b64 s[30:31], s[4:5], s[2:3]
	s_andn2_b64 s[4:5], s[22:23], exec
	s_and_b64 s[22:23], s[26:27], exec
	s_or_b64 s[22:23], s[4:5], s[22:23]
	s_andn2_b64 s[4:5], s[12:13], exec
	s_or_b64 s[12:13], s[4:5], s[2:3]
	s_andn2_b64 exec, exec, s[24:25]
	s_cbranch_execz .LBB1483_185
.LBB1483_183:                           ; =>This Inner Loop Header: Depth=1
	global_load_dword v27, v[22:23], off
	global_load_dword v35, v[24:25], off
	s_or_b64 s[26:27], s[26:27], exec
	s_or_b64 s[28:29], s[28:29], exec
	s_waitcnt vmcnt(0)
	v_cmp_lt_u32_e32 vcc, v27, v35
	v_cmp_le_u32_e64 s[2:3], v27, v35
	v_cmp_eq_u32_e64 s[4:5], v27, v35
	s_and_saveexec_b64 s[42:43], s[4:5]
	s_cbranch_execz .LBB1483_182
; %bb.184:                              ;   in Loop: Header=BB1483_183 Depth=1
	s_add_u32 s40, s40, -1
	s_addc_u32 s41, s41, -1
	s_cmp_eq_u64 s[40:41], 0
	s_cselect_b64 s[4:5], -1, 0
	s_andn2_b64 s[28:29], s[28:29], exec
	s_and_b64 s[4:5], s[4:5], exec
	v_lshl_add_u64 v[22:23], v[22:23], 0, 4
	v_lshl_add_u64 v[24:25], v[24:25], 0, 4
	s_andn2_b64 s[26:27], s[26:27], exec
	s_or_b64 s[28:29], s[28:29], s[4:5]
	s_branch .LBB1483_182
.LBB1483_185:
	s_or_b64 exec, exec, s[24:25]
	s_and_saveexec_b64 s[2:3], s[22:23]
	s_xor_b64 s[2:3], exec, s[2:3]
; %bb.186:
	v_cndmask_b32_e64 v23, v9, v3, s[12:13]
	v_cndmask_b32_e64 v22, v8, v2, s[12:13]
	;; [unrolled: 1-line block ×4, first 2 shown]
	v_mov_b64_e32 v[8:9], v[22:23]
; %bb.187:
	s_or_b64 exec, exec, s[2:3]
.LBB1483_188:
	s_or_b64 exec, exec, s[10:11]
	v_mbcnt_lo_u32_b32 v22, -1, 0
	v_mbcnt_hi_u32_b32 v22, -1, v22
	v_and_b32_e32 v23, 0xfffffe00, v26
	s_movk_i32 s2, 0x800
	v_lshlrev_b32_e32 v35, 3, v23
	v_lshlrev_b32_e32 v37, 3, v22
	v_sub_u32_e64 v36, s2, v23 clamp
	v_lshl_add_u32 v38, v22, 6, v35
	v_or_b32_e32 v22, 8, v37
	v_min_u32_e32 v26, v36, v22
	v_add_u32_e32 v22, 8, v26
	v_and_b32_e32 v41, 0x3f0, v37
	v_min_u32_e32 v27, v36, v22
	v_and_b32_e32 v22, 8, v37
	v_min_u32_e32 v42, v36, v22
	v_sub_u32_e32 v22, v26, v41
	v_sub_u32_e32 v23, v27, v26
	v_sub_u32_e64 v40, v42, v23 clamp
	v_min_u32_e32 v43, v42, v22
	v_lshl_add_u32 v39, v41, 3, v35
	v_cmp_lt_u32_e32 vcc, v40, v43
	ds_write_b128 v38, v[14:17]
	ds_write_b128 v38, v[10:13] offset:16
	ds_write_b128 v38, v[6:9] offset:32
	;; [unrolled: 1-line block ×3, first 2 shown]
	; wave barrier
	s_and_saveexec_b64 s[10:11], vcc
	s_cbranch_execz .LBB1483_198
; %bb.189:
	v_lshlrev_b32_e32 v22, 3, v26
	v_lshlrev_b32_e32 v23, 3, v42
	v_add3_u32 v44, v35, v22, v23
	s_lshl_b64 s[22:23], s[36:37], 2
	s_mov_b64 s[12:13], 0
	s_branch .LBB1483_192
.LBB1483_190:                           ;   in Loop: Header=BB1483_192 Depth=1
	s_or_b64 exec, exec, s[26:27]
.LBB1483_191:                           ;   in Loop: Header=BB1483_192 Depth=1
	v_add_u32_e32 v22, 1, v45
	v_cndmask_b32_e64 v43, v43, v45, s[24:25]
	v_cndmask_b32_e64 v40, v22, v40, s[24:25]
	v_cmp_ge_u32_e32 vcc, v40, v43
	s_or_b64 s[12:13], vcc, s[12:13]
	s_andn2_b64 exec, exec, s[12:13]
	s_cbranch_execz .LBB1483_197
.LBB1483_192:                           ; =>This Loop Header: Depth=1
                                        ;     Child Loop BB1483_195 Depth 2
	v_add_u32_e32 v22, v43, v40
	v_lshrrev_b32_e32 v45, 1, v22
	s_and_b64 vcc, exec, s[0:1]
	s_mov_b64 s[24:25], 0
	s_cbranch_vccnz .LBB1483_191
; %bb.193:                              ;   in Loop: Header=BB1483_192 Depth=1
	v_not_b32_e32 v22, v45
	v_lshl_add_u32 v22, v22, 3, v44
	ds_read_b64 v[22:23], v22
	v_lshl_add_u32 v46, v45, 3, v39
	ds_read_b64 v[46:47], v46
	v_mov_b64_e32 v[24:25], s[38:39]
	s_mov_b64 s[26:27], 0
	s_waitcnt lgkmcnt(1)
	v_mul_lo_u32 v48, s22, v23
	v_mul_lo_u32 v49, s23, v22
	v_mad_u64_u32 v[22:23], s[2:3], s22, v22, v[24:25]
	v_add3_u32 v23, v49, v23, v48
	s_waitcnt lgkmcnt(0)
	v_mul_lo_u32 v47, s22, v47
	v_mul_lo_u32 v48, s23, v46
	v_mad_u64_u32 v[24:25], s[2:3], s22, v46, v[24:25]
	v_add3_u32 v25, v48, v25, v47
	s_mov_b64 s[30:31], s[36:37]
                                        ; implicit-def: $sgpr24_sgpr25
                                        ; implicit-def: $sgpr28_sgpr29
                                        ; implicit-def: $sgpr2_sgpr3
                                        ; implicit-def: $sgpr40_sgpr41
	s_branch .LBB1483_195
.LBB1483_194:                           ;   in Loop: Header=BB1483_195 Depth=2
	s_or_b64 exec, exec, s[44:45]
	s_and_b64 s[4:5], exec, s[28:29]
	s_or_b64 s[26:27], s[4:5], s[26:27]
	s_andn2_b64 s[4:5], s[40:41], exec
	s_and_b64 s[40:41], s[42:43], exec
	s_or_b64 s[40:41], s[4:5], s[40:41]
	s_andn2_b64 s[4:5], s[24:25], exec
	s_and_b64 s[24:25], s[2:3], exec
	s_or_b64 s[24:25], s[4:5], s[24:25]
	s_andn2_b64 exec, exec, s[26:27]
	s_cbranch_execz .LBB1483_190
.LBB1483_195:                           ;   Parent Loop BB1483_192 Depth=1
                                        ; =>  This Inner Loop Header: Depth=2
	global_load_dword v46, v[22:23], off
	global_load_dword v47, v[24:25], off
	s_andn2_b64 s[44:45], s[2:3], exec
	s_or_b64 s[28:29], s[28:29], exec
	s_waitcnt vmcnt(0)
	v_cmp_le_u32_e64 s[2:3], v46, v47
	v_cmp_lt_u32_e32 vcc, v46, v47
	s_and_b64 s[2:3], s[2:3], s[40:41]
	s_or_b64 s[42:43], vcc, s[2:3]
	s_and_b64 s[2:3], s[42:43], exec
	v_cmp_eq_u32_e64 s[4:5], v46, v47
	s_or_b64 s[2:3], s[44:45], s[2:3]
	s_and_saveexec_b64 s[44:45], s[4:5]
	s_cbranch_execz .LBB1483_194
; %bb.196:                              ;   in Loop: Header=BB1483_195 Depth=2
	s_add_u32 s30, s30, -1
	s_addc_u32 s31, s31, -1
	s_cmp_eq_u64 s[30:31], 0
	s_cselect_b64 s[4:5], -1, 0
	s_andn2_b64 s[28:29], s[28:29], exec
	s_and_b64 s[4:5], s[4:5], exec
	v_lshl_add_u64 v[22:23], v[22:23], 0, 4
	v_lshl_add_u64 v[24:25], v[24:25], 0, 4
	s_andn2_b64 s[2:3], s[2:3], exec
	s_or_b64 s[28:29], s[28:29], s[4:5]
                                        ; implicit-def: $sgpr40_sgpr41
	s_branch .LBB1483_194
.LBB1483_197:
	s_or_b64 exec, exec, s[12:13]
.LBB1483_198:
	s_or_b64 exec, exec, s[10:11]
	v_add_u32_e32 v22, v26, v42
	v_add_u32_e32 v23, v40, v41
	v_sub_u32_e32 v24, v22, v40
	v_cmp_le_u32_e32 vcc, v23, v26
	v_cmp_le_u32_e64 s[2:3], v24, v27
	s_or_b64 s[2:3], vcc, s[2:3]
	s_and_saveexec_b64 s[10:11], s[2:3]
	s_cbranch_execz .LBB1483_289
; %bb.199:
	v_cmp_ge_u32_e32 vcc, v23, v26
	v_cmp_lt_u32_e64 s[2:3], v23, v26
                                        ; implicit-def: $vgpr2_vgpr3
	s_and_saveexec_b64 s[4:5], s[2:3]
; %bb.200:
	v_lshl_add_u32 v2, v40, 3, v39
	ds_read_b64 v[2:3], v2
; %bb.201:
	s_or_b64 exec, exec, s[4:5]
	v_cmp_ge_u32_e64 s[12:13], v24, v27
	v_cmp_lt_u32_e64 s[2:3], v24, v27
                                        ; implicit-def: $vgpr4_vgpr5
	s_and_saveexec_b64 s[4:5], s[2:3]
; %bb.202:
	v_lshl_add_u32 v4, v24, 3, v35
	ds_read_b64 v[4:5], v4
; %bb.203:
	s_or_b64 exec, exec, s[4:5]
	s_nor_b64 s[2:3], vcc, s[12:13]
	s_and_saveexec_b64 s[22:23], s[2:3]
	s_cbranch_execz .LBB1483_212
; %bb.204:
	s_and_b64 vcc, exec, s[0:1]
	s_cbranch_vccnz .LBB1483_210
; %bb.205:
	s_waitcnt lgkmcnt(0)
	v_mul_lo_u32 v8, v5, s36
	v_mul_lo_u32 v9, v4, s37
	v_mad_u64_u32 v[6:7], s[2:3], v4, s36, 0
	v_add3_u32 v7, v7, v9, v8
	v_mul_lo_u32 v10, v3, s36
	v_mul_lo_u32 v11, v2, s37
	v_mad_u64_u32 v[8:9], s[2:3], v2, s36, 0
	v_add3_u32 v9, v9, v11, v10
	v_lshl_add_u64 v[6:7], v[6:7], 2, s[38:39]
	v_lshl_add_u64 v[8:9], v[8:9], 2, s[38:39]
	s_mov_b64 s[24:25], 0
	s_mov_b64 s[30:31], s[36:37]
                                        ; implicit-def: $sgpr26_sgpr27
                                        ; implicit-def: $sgpr28_sgpr29
                                        ; implicit-def: $sgpr2_sgpr3
                                        ; implicit-def: $sgpr40_sgpr41
	s_branch .LBB1483_207
.LBB1483_206:                           ;   in Loop: Header=BB1483_207 Depth=1
	s_or_b64 exec, exec, s[44:45]
	s_and_b64 s[4:5], exec, s[28:29]
	s_or_b64 s[24:25], s[4:5], s[24:25]
	s_andn2_b64 s[4:5], s[40:41], exec
	s_and_b64 s[40:41], s[42:43], exec
	s_or_b64 s[40:41], s[4:5], s[40:41]
	s_andn2_b64 s[4:5], s[26:27], exec
	s_and_b64 s[26:27], s[2:3], exec
	s_or_b64 s[26:27], s[4:5], s[26:27]
	s_andn2_b64 exec, exec, s[24:25]
	s_cbranch_execz .LBB1483_209
.LBB1483_207:                           ; =>This Inner Loop Header: Depth=1
	global_load_dword v10, v[6:7], off
	global_load_dword v11, v[8:9], off
	s_andn2_b64 s[44:45], s[2:3], exec
	s_or_b64 s[28:29], s[28:29], exec
	s_waitcnt vmcnt(0)
	v_cmp_le_u32_e64 s[2:3], v10, v11
	v_cmp_lt_u32_e32 vcc, v10, v11
	s_and_b64 s[2:3], s[2:3], s[40:41]
	s_or_b64 s[42:43], vcc, s[2:3]
	s_and_b64 s[2:3], s[42:43], exec
	v_cmp_eq_u32_e64 s[4:5], v10, v11
	s_or_b64 s[2:3], s[44:45], s[2:3]
	s_and_saveexec_b64 s[44:45], s[4:5]
	s_cbranch_execz .LBB1483_206
; %bb.208:                              ;   in Loop: Header=BB1483_207 Depth=1
	s_add_u32 s30, s30, -1
	s_addc_u32 s31, s31, -1
	s_cmp_eq_u64 s[30:31], 0
	s_cselect_b64 s[4:5], -1, 0
	s_andn2_b64 s[28:29], s[28:29], exec
	s_and_b64 s[4:5], s[4:5], exec
	v_lshl_add_u64 v[6:7], v[6:7], 0, 4
	v_lshl_add_u64 v[8:9], v[8:9], 0, 4
	s_andn2_b64 s[2:3], s[2:3], exec
	s_or_b64 s[28:29], s[28:29], s[4:5]
                                        ; implicit-def: $sgpr40_sgpr41
	s_branch .LBB1483_206
.LBB1483_209:
	s_or_b64 exec, exec, s[24:25]
	s_xor_b64 s[2:3], s[26:27], -1
	s_branch .LBB1483_211
.LBB1483_210:
	s_mov_b64 s[2:3], -1
.LBB1483_211:
	s_andn2_b64 s[4:5], s[12:13], exec
	s_and_b64 s[2:3], s[2:3], exec
	s_or_b64 s[12:13], s[4:5], s[2:3]
.LBB1483_212:
	s_or_b64 exec, exec, s[22:23]
	v_cndmask_b32_e64 v6, v24, v23, s[12:13]
	v_cndmask_b32_e64 v7, v27, v26, s[12:13]
	v_add_u32_e32 v8, 1, v6
	v_add_u32_e32 v6, -1, v7
	v_min_u32_e32 v6, v8, v6
	v_lshl_add_u32 v6, v6, 3, v35
	ds_read_b64 v[6:7], v6
	v_cndmask_b32_e64 v12, v8, v24, s[12:13]
	v_cndmask_b32_e64 v13, v23, v8, s[12:13]
	v_cmp_lt_u32_e32 vcc, v12, v27
	s_mov_b64 s[24:25], -1
	s_waitcnt lgkmcnt(0)
	v_cndmask_b32_e64 v14, v7, v5, s[12:13]
	v_cndmask_b32_e64 v15, v6, v4, s[12:13]
	v_cndmask_b32_e64 v16, v3, v7, s[12:13]
	v_cndmask_b32_e64 v22, v2, v6, s[12:13]
	s_mov_b64 s[22:23], -1
	s_and_saveexec_b64 s[26:27], vcc
	s_cbranch_execz .LBB1483_223
; %bb.213:
	v_cmp_lt_u32_e32 vcc, v13, v26
	s_mov_b64 s[2:3], 0
	s_and_saveexec_b64 s[22:23], vcc
	s_cbranch_execz .LBB1483_222
; %bb.214:
	s_and_b64 vcc, exec, s[0:1]
	s_cbranch_vccnz .LBB1483_220
; %bb.215:
	v_mul_lo_u32 v8, v14, s36
	v_mul_lo_u32 v9, v15, s37
	v_mad_u64_u32 v[6:7], s[2:3], v15, s36, 0
	v_add3_u32 v7, v7, v9, v8
	v_mul_lo_u32 v10, v16, s36
	v_mul_lo_u32 v11, v22, s37
	v_mad_u64_u32 v[8:9], s[2:3], v22, s36, 0
	v_add3_u32 v9, v9, v11, v10
	v_lshl_add_u64 v[6:7], v[6:7], 2, s[38:39]
	v_lshl_add_u64 v[8:9], v[8:9], 2, s[38:39]
	s_mov_b64 s[28:29], 0
	s_mov_b64 s[42:43], s[36:37]
                                        ; implicit-def: $sgpr30_sgpr31
                                        ; implicit-def: $sgpr40_sgpr41
                                        ; implicit-def: $sgpr2_sgpr3
                                        ; implicit-def: $sgpr44_sgpr45
	s_branch .LBB1483_217
.LBB1483_216:                           ;   in Loop: Header=BB1483_217 Depth=1
	s_or_b64 exec, exec, s[48:49]
	s_and_b64 s[4:5], exec, s[40:41]
	s_or_b64 s[28:29], s[4:5], s[28:29]
	s_andn2_b64 s[4:5], s[44:45], exec
	s_and_b64 s[44:45], s[46:47], exec
	s_or_b64 s[44:45], s[4:5], s[44:45]
	s_andn2_b64 s[4:5], s[30:31], exec
	s_and_b64 s[30:31], s[2:3], exec
	s_or_b64 s[30:31], s[4:5], s[30:31]
	s_andn2_b64 exec, exec, s[28:29]
	s_cbranch_execz .LBB1483_219
.LBB1483_217:                           ; =>This Inner Loop Header: Depth=1
	global_load_dword v10, v[6:7], off
	global_load_dword v11, v[8:9], off
	s_andn2_b64 s[48:49], s[2:3], exec
	s_or_b64 s[40:41], s[40:41], exec
	s_waitcnt vmcnt(0)
	v_cmp_le_u32_e64 s[2:3], v10, v11
	v_cmp_lt_u32_e32 vcc, v10, v11
	s_and_b64 s[2:3], s[2:3], s[44:45]
	s_or_b64 s[46:47], vcc, s[2:3]
	s_and_b64 s[2:3], s[46:47], exec
	v_cmp_eq_u32_e64 s[4:5], v10, v11
	s_or_b64 s[2:3], s[48:49], s[2:3]
	s_and_saveexec_b64 s[48:49], s[4:5]
	s_cbranch_execz .LBB1483_216
; %bb.218:                              ;   in Loop: Header=BB1483_217 Depth=1
	s_add_u32 s42, s42, -1
	s_addc_u32 s43, s43, -1
	s_cmp_eq_u64 s[42:43], 0
	s_cselect_b64 s[4:5], -1, 0
	s_andn2_b64 s[40:41], s[40:41], exec
	s_and_b64 s[4:5], s[4:5], exec
	v_lshl_add_u64 v[6:7], v[6:7], 0, 4
	v_lshl_add_u64 v[8:9], v[8:9], 0, 4
	s_andn2_b64 s[2:3], s[2:3], exec
	s_or_b64 s[40:41], s[40:41], s[4:5]
                                        ; implicit-def: $sgpr44_sgpr45
	s_branch .LBB1483_216
.LBB1483_219:
	s_or_b64 exec, exec, s[28:29]
	s_xor_b64 s[2:3], s[30:31], -1
	s_branch .LBB1483_221
.LBB1483_220:
	s_mov_b64 s[2:3], -1
.LBB1483_221:
	s_and_b64 s[2:3], s[2:3], exec
.LBB1483_222:
	s_or_b64 exec, exec, s[22:23]
	s_orn2_b64 s[22:23], s[2:3], exec
.LBB1483_223:
	s_or_b64 exec, exec, s[26:27]
	v_cndmask_b32_e64 v6, v12, v13, s[22:23]
	v_cndmask_b32_e64 v7, v27, v26, s[22:23]
	v_add_u32_e32 v8, 1, v6
	v_add_u32_e32 v6, -1, v7
	v_min_u32_e32 v6, v8, v6
	v_lshl_add_u32 v6, v6, 3, v35
	ds_read_b64 v[6:7], v6
	v_cndmask_b32_e64 v39, v8, v12, s[22:23]
	v_cndmask_b32_e64 v40, v13, v8, s[22:23]
	v_cmp_lt_u32_e32 vcc, v39, v27
	s_waitcnt lgkmcnt(0)
	v_cndmask_b32_e64 v10, v7, v14, s[22:23]
	v_cndmask_b32_e64 v17, v6, v15, s[22:23]
	;; [unrolled: 1-line block ×4, first 2 shown]
	s_and_saveexec_b64 s[26:27], vcc
	s_cbranch_execz .LBB1483_234
; %bb.224:
	v_cmp_lt_u32_e32 vcc, v40, v26
	s_mov_b64 s[2:3], 0
	s_and_saveexec_b64 s[24:25], vcc
	s_cbranch_execz .LBB1483_233
; %bb.225:
	s_and_b64 vcc, exec, s[0:1]
	s_cbranch_vccnz .LBB1483_231
; %bb.226:
	v_mul_lo_u32 v8, v10, s36
	v_mul_lo_u32 v9, v17, s37
	v_mad_u64_u32 v[6:7], s[2:3], v17, s36, 0
	v_add3_u32 v7, v7, v9, v8
	v_mul_lo_u32 v12, v11, s36
	v_mul_lo_u32 v13, v23, s37
	v_mad_u64_u32 v[8:9], s[2:3], v23, s36, 0
	v_add3_u32 v9, v9, v13, v12
	v_lshl_add_u64 v[6:7], v[6:7], 2, s[38:39]
	v_lshl_add_u64 v[8:9], v[8:9], 2, s[38:39]
	s_mov_b64 s[28:29], 0
	s_mov_b64 s[42:43], s[36:37]
                                        ; implicit-def: $sgpr30_sgpr31
                                        ; implicit-def: $sgpr40_sgpr41
                                        ; implicit-def: $sgpr2_sgpr3
                                        ; implicit-def: $sgpr44_sgpr45
	s_branch .LBB1483_228
.LBB1483_227:                           ;   in Loop: Header=BB1483_228 Depth=1
	s_or_b64 exec, exec, s[48:49]
	s_and_b64 s[4:5], exec, s[40:41]
	s_or_b64 s[28:29], s[4:5], s[28:29]
	s_andn2_b64 s[4:5], s[44:45], exec
	s_and_b64 s[44:45], s[46:47], exec
	s_or_b64 s[44:45], s[4:5], s[44:45]
	s_andn2_b64 s[4:5], s[30:31], exec
	s_and_b64 s[30:31], s[2:3], exec
	s_or_b64 s[30:31], s[4:5], s[30:31]
	s_andn2_b64 exec, exec, s[28:29]
	s_cbranch_execz .LBB1483_230
.LBB1483_228:                           ; =>This Inner Loop Header: Depth=1
	global_load_dword v12, v[6:7], off
	global_load_dword v13, v[8:9], off
	s_andn2_b64 s[48:49], s[2:3], exec
	s_or_b64 s[40:41], s[40:41], exec
	s_waitcnt vmcnt(0)
	v_cmp_le_u32_e64 s[2:3], v12, v13
	v_cmp_lt_u32_e32 vcc, v12, v13
	s_and_b64 s[2:3], s[2:3], s[44:45]
	s_or_b64 s[46:47], vcc, s[2:3]
	s_and_b64 s[2:3], s[46:47], exec
	v_cmp_eq_u32_e64 s[4:5], v12, v13
	s_or_b64 s[2:3], s[48:49], s[2:3]
	s_and_saveexec_b64 s[48:49], s[4:5]
	s_cbranch_execz .LBB1483_227
; %bb.229:                              ;   in Loop: Header=BB1483_228 Depth=1
	s_add_u32 s42, s42, -1
	s_addc_u32 s43, s43, -1
	s_cmp_eq_u64 s[42:43], 0
	s_cselect_b64 s[4:5], -1, 0
	s_andn2_b64 s[40:41], s[40:41], exec
	s_and_b64 s[4:5], s[4:5], exec
	v_lshl_add_u64 v[6:7], v[6:7], 0, 4
	v_lshl_add_u64 v[8:9], v[8:9], 0, 4
	s_andn2_b64 s[2:3], s[2:3], exec
	s_or_b64 s[40:41], s[40:41], s[4:5]
                                        ; implicit-def: $sgpr44_sgpr45
	s_branch .LBB1483_227
.LBB1483_230:
	s_or_b64 exec, exec, s[28:29]
	s_xor_b64 s[2:3], s[30:31], -1
	s_branch .LBB1483_232
.LBB1483_231:
	s_mov_b64 s[2:3], -1
.LBB1483_232:
	s_and_b64 s[2:3], s[2:3], exec
.LBB1483_233:
	s_or_b64 exec, exec, s[24:25]
	s_orn2_b64 s[24:25], s[2:3], exec
.LBB1483_234:
	s_or_b64 exec, exec, s[26:27]
	v_cndmask_b32_e64 v6, v39, v40, s[24:25]
	v_cndmask_b32_e64 v7, v27, v26, s[24:25]
	v_add_u32_e32 v8, 1, v6
	v_add_u32_e32 v6, -1, v7
	v_min_u32_e32 v6, v8, v6
	v_lshl_add_u32 v6, v6, 3, v35
	ds_read_b64 v[6:7], v6
	v_cndmask_b32_e64 v43, v8, v39, s[24:25]
	v_cndmask_b32_e64 v44, v40, v8, s[24:25]
	v_cmp_lt_u32_e32 vcc, v43, v27
	s_mov_b64 s[28:29], -1
	s_waitcnt lgkmcnt(0)
	v_cndmask_b32_e64 v12, v7, v10, s[24:25]
	v_cndmask_b32_e64 v24, v6, v17, s[24:25]
	;; [unrolled: 1-line block ×4, first 2 shown]
	s_mov_b64 s[26:27], -1
	s_and_saveexec_b64 s[30:31], vcc
	s_cbranch_execz .LBB1483_245
; %bb.235:
	v_cmp_lt_u32_e32 vcc, v44, v26
	s_mov_b64 s[2:3], 0
	s_and_saveexec_b64 s[26:27], vcc
	s_cbranch_execz .LBB1483_244
; %bb.236:
	s_and_b64 vcc, exec, s[0:1]
	s_cbranch_vccnz .LBB1483_242
; %bb.237:
	v_mul_lo_u32 v8, v12, s36
	v_mul_lo_u32 v9, v24, s37
	v_mad_u64_u32 v[6:7], s[2:3], v24, s36, 0
	v_add3_u32 v7, v7, v9, v8
	v_mul_lo_u32 v39, v13, s36
	v_mul_lo_u32 v40, v25, s37
	v_mad_u64_u32 v[8:9], s[2:3], v25, s36, 0
	v_add3_u32 v9, v9, v40, v39
	v_lshl_add_u64 v[6:7], v[6:7], 2, s[38:39]
	v_lshl_add_u64 v[8:9], v[8:9], 2, s[38:39]
	s_mov_b64 s[40:41], 0
	s_mov_b64 s[46:47], s[36:37]
                                        ; implicit-def: $sgpr42_sgpr43
                                        ; implicit-def: $sgpr44_sgpr45
                                        ; implicit-def: $sgpr2_sgpr3
                                        ; implicit-def: $sgpr48_sgpr49
	s_branch .LBB1483_239
.LBB1483_238:                           ;   in Loop: Header=BB1483_239 Depth=1
	s_or_b64 exec, exec, s[52:53]
	s_and_b64 s[4:5], exec, s[44:45]
	s_or_b64 s[40:41], s[4:5], s[40:41]
	s_andn2_b64 s[4:5], s[48:49], exec
	s_and_b64 s[48:49], s[50:51], exec
	s_or_b64 s[48:49], s[4:5], s[48:49]
	s_andn2_b64 s[4:5], s[42:43], exec
	s_and_b64 s[42:43], s[2:3], exec
	s_or_b64 s[42:43], s[4:5], s[42:43]
	s_andn2_b64 exec, exec, s[40:41]
	s_cbranch_execz .LBB1483_241
.LBB1483_239:                           ; =>This Inner Loop Header: Depth=1
	global_load_dword v39, v[6:7], off
	global_load_dword v40, v[8:9], off
	s_andn2_b64 s[52:53], s[2:3], exec
	s_or_b64 s[44:45], s[44:45], exec
	s_waitcnt vmcnt(0)
	v_cmp_le_u32_e64 s[2:3], v39, v40
	v_cmp_lt_u32_e32 vcc, v39, v40
	s_and_b64 s[2:3], s[2:3], s[48:49]
	s_or_b64 s[50:51], vcc, s[2:3]
	s_and_b64 s[2:3], s[50:51], exec
	v_cmp_eq_u32_e64 s[4:5], v39, v40
	s_or_b64 s[2:3], s[52:53], s[2:3]
	s_and_saveexec_b64 s[52:53], s[4:5]
	s_cbranch_execz .LBB1483_238
; %bb.240:                              ;   in Loop: Header=BB1483_239 Depth=1
	s_add_u32 s46, s46, -1
	s_addc_u32 s47, s47, -1
	s_cmp_eq_u64 s[46:47], 0
	s_cselect_b64 s[4:5], -1, 0
	s_andn2_b64 s[44:45], s[44:45], exec
	s_and_b64 s[4:5], s[4:5], exec
	v_lshl_add_u64 v[6:7], v[6:7], 0, 4
	v_lshl_add_u64 v[8:9], v[8:9], 0, 4
	s_andn2_b64 s[2:3], s[2:3], exec
	s_or_b64 s[44:45], s[44:45], s[4:5]
                                        ; implicit-def: $sgpr48_sgpr49
	s_branch .LBB1483_238
.LBB1483_241:
	s_or_b64 exec, exec, s[40:41]
	s_xor_b64 s[2:3], s[42:43], -1
	s_branch .LBB1483_243
.LBB1483_242:
	s_mov_b64 s[2:3], -1
.LBB1483_243:
	s_and_b64 s[2:3], s[2:3], exec
.LBB1483_244:
	s_or_b64 exec, exec, s[26:27]
	s_orn2_b64 s[26:27], s[2:3], exec
.LBB1483_245:
	s_or_b64 exec, exec, s[30:31]
	v_cndmask_b32_e64 v6, v43, v44, s[26:27]
	v_cndmask_b32_e64 v7, v27, v26, s[26:27]
	v_add_u32_e32 v8, 1, v6
	v_add_u32_e32 v6, -1, v7
	v_min_u32_e32 v6, v8, v6
	v_lshl_add_u32 v6, v6, 3, v35
	ds_read_b64 v[6:7], v6
	v_cndmask_b32_e64 v47, v8, v43, s[26:27]
	v_cndmask_b32_e64 v48, v44, v8, s[26:27]
	v_cmp_lt_u32_e32 vcc, v47, v27
	s_waitcnt lgkmcnt(0)
	v_cndmask_b32_e64 v39, v7, v12, s[26:27]
	v_cndmask_b32_e64 v40, v6, v24, s[26:27]
	;; [unrolled: 1-line block ×4, first 2 shown]
	s_and_saveexec_b64 s[30:31], vcc
	s_cbranch_execz .LBB1483_256
; %bb.246:
	v_cmp_lt_u32_e32 vcc, v48, v26
	s_mov_b64 s[2:3], 0
	s_and_saveexec_b64 s[28:29], vcc
	s_cbranch_execz .LBB1483_255
; %bb.247:
	s_and_b64 vcc, exec, s[0:1]
	s_cbranch_vccnz .LBB1483_253
; %bb.248:
	v_mul_lo_u32 v8, v39, s36
	v_mul_lo_u32 v9, v40, s37
	v_mad_u64_u32 v[6:7], s[2:3], v40, s36, 0
	v_add3_u32 v7, v7, v9, v8
	v_mul_lo_u32 v43, v41, s36
	v_mul_lo_u32 v44, v42, s37
	v_mad_u64_u32 v[8:9], s[2:3], v42, s36, 0
	v_add3_u32 v9, v9, v44, v43
	v_lshl_add_u64 v[6:7], v[6:7], 2, s[38:39]
	v_lshl_add_u64 v[8:9], v[8:9], 2, s[38:39]
	s_mov_b64 s[40:41], 0
	s_mov_b64 s[46:47], s[36:37]
                                        ; implicit-def: $sgpr42_sgpr43
                                        ; implicit-def: $sgpr44_sgpr45
                                        ; implicit-def: $sgpr2_sgpr3
                                        ; implicit-def: $sgpr48_sgpr49
	s_branch .LBB1483_250
.LBB1483_249:                           ;   in Loop: Header=BB1483_250 Depth=1
	s_or_b64 exec, exec, s[52:53]
	s_and_b64 s[4:5], exec, s[44:45]
	s_or_b64 s[40:41], s[4:5], s[40:41]
	s_andn2_b64 s[4:5], s[48:49], exec
	s_and_b64 s[48:49], s[50:51], exec
	s_or_b64 s[48:49], s[4:5], s[48:49]
	s_andn2_b64 s[4:5], s[42:43], exec
	s_and_b64 s[42:43], s[2:3], exec
	s_or_b64 s[42:43], s[4:5], s[42:43]
	s_andn2_b64 exec, exec, s[40:41]
	s_cbranch_execz .LBB1483_252
.LBB1483_250:                           ; =>This Inner Loop Header: Depth=1
	global_load_dword v43, v[6:7], off
	global_load_dword v44, v[8:9], off
	s_andn2_b64 s[52:53], s[2:3], exec
	s_or_b64 s[44:45], s[44:45], exec
	s_waitcnt vmcnt(0)
	v_cmp_le_u32_e64 s[2:3], v43, v44
	v_cmp_lt_u32_e32 vcc, v43, v44
	s_and_b64 s[2:3], s[2:3], s[48:49]
	s_or_b64 s[50:51], vcc, s[2:3]
	s_and_b64 s[2:3], s[50:51], exec
	v_cmp_eq_u32_e64 s[4:5], v43, v44
	s_or_b64 s[2:3], s[52:53], s[2:3]
	s_and_saveexec_b64 s[52:53], s[4:5]
	s_cbranch_execz .LBB1483_249
; %bb.251:                              ;   in Loop: Header=BB1483_250 Depth=1
	s_add_u32 s46, s46, -1
	s_addc_u32 s47, s47, -1
	s_cmp_eq_u64 s[46:47], 0
	s_cselect_b64 s[4:5], -1, 0
	s_andn2_b64 s[44:45], s[44:45], exec
	s_and_b64 s[4:5], s[4:5], exec
	v_lshl_add_u64 v[6:7], v[6:7], 0, 4
	v_lshl_add_u64 v[8:9], v[8:9], 0, 4
	s_andn2_b64 s[2:3], s[2:3], exec
	s_or_b64 s[44:45], s[44:45], s[4:5]
                                        ; implicit-def: $sgpr48_sgpr49
	s_branch .LBB1483_249
.LBB1483_252:
	s_or_b64 exec, exec, s[40:41]
	s_xor_b64 s[2:3], s[42:43], -1
	s_branch .LBB1483_254
.LBB1483_253:
	s_mov_b64 s[2:3], -1
.LBB1483_254:
	s_and_b64 s[2:3], s[2:3], exec
.LBB1483_255:
	s_or_b64 exec, exec, s[28:29]
	s_orn2_b64 s[28:29], s[2:3], exec
.LBB1483_256:
	s_or_b64 exec, exec, s[30:31]
	v_cndmask_b32_e64 v6, v47, v48, s[28:29]
	v_cndmask_b32_e64 v7, v27, v26, s[28:29]
	v_add_u32_e32 v8, 1, v6
	v_add_u32_e32 v6, -1, v7
	v_min_u32_e32 v6, v8, v6
	v_lshl_add_u32 v6, v6, 3, v35
	ds_read_b64 v[6:7], v6
	v_cndmask_b32_e64 v49, v8, v47, s[28:29]
	v_cndmask_b32_e64 v53, v48, v8, s[28:29]
	v_cmp_lt_u32_e32 vcc, v49, v27
	s_mov_b64 s[30:31], -1
	s_waitcnt lgkmcnt(0)
	v_cndmask_b32_e64 v43, v7, v39, s[28:29]
	v_cndmask_b32_e64 v44, v6, v40, s[28:29]
	;; [unrolled: 1-line block ×4, first 2 shown]
	s_mov_b64 s[40:41], -1
	s_and_saveexec_b64 s[42:43], vcc
	s_cbranch_execz .LBB1483_267
; %bb.257:
	v_cmp_lt_u32_e32 vcc, v53, v26
	s_mov_b64 s[2:3], 0
	s_and_saveexec_b64 s[40:41], vcc
	s_cbranch_execz .LBB1483_266
; %bb.258:
	s_and_b64 vcc, exec, s[0:1]
	s_cbranch_vccnz .LBB1483_264
; %bb.259:
	v_mul_lo_u32 v8, v43, s36
	v_mul_lo_u32 v9, v44, s37
	v_mad_u64_u32 v[6:7], s[2:3], v44, s36, 0
	v_add3_u32 v7, v7, v9, v8
	v_mul_lo_u32 v47, v45, s36
	v_mul_lo_u32 v48, v46, s37
	v_mad_u64_u32 v[8:9], s[2:3], v46, s36, 0
	v_add3_u32 v9, v9, v48, v47
	v_lshl_add_u64 v[6:7], v[6:7], 2, s[38:39]
	v_lshl_add_u64 v[8:9], v[8:9], 2, s[38:39]
	s_mov_b64 s[44:45], 0
	s_mov_b64 s[50:51], s[36:37]
                                        ; implicit-def: $sgpr46_sgpr47
                                        ; implicit-def: $sgpr48_sgpr49
                                        ; implicit-def: $sgpr2_sgpr3
                                        ; implicit-def: $sgpr52_sgpr53
	s_branch .LBB1483_261
.LBB1483_260:                           ;   in Loop: Header=BB1483_261 Depth=1
	s_or_b64 exec, exec, s[56:57]
	s_and_b64 s[4:5], exec, s[48:49]
	s_or_b64 s[44:45], s[4:5], s[44:45]
	s_andn2_b64 s[4:5], s[52:53], exec
	s_and_b64 s[52:53], s[54:55], exec
	s_or_b64 s[52:53], s[4:5], s[52:53]
	s_andn2_b64 s[4:5], s[46:47], exec
	s_and_b64 s[46:47], s[2:3], exec
	s_or_b64 s[46:47], s[4:5], s[46:47]
	s_andn2_b64 exec, exec, s[44:45]
	s_cbranch_execz .LBB1483_263
.LBB1483_261:                           ; =>This Inner Loop Header: Depth=1
	global_load_dword v47, v[6:7], off
	global_load_dword v48, v[8:9], off
	s_andn2_b64 s[56:57], s[2:3], exec
	s_or_b64 s[48:49], s[48:49], exec
	s_waitcnt vmcnt(0)
	v_cmp_le_u32_e64 s[2:3], v47, v48
	v_cmp_lt_u32_e32 vcc, v47, v48
	s_and_b64 s[2:3], s[2:3], s[52:53]
	s_or_b64 s[54:55], vcc, s[2:3]
	s_and_b64 s[2:3], s[54:55], exec
	v_cmp_eq_u32_e64 s[4:5], v47, v48
	s_or_b64 s[2:3], s[56:57], s[2:3]
	s_and_saveexec_b64 s[56:57], s[4:5]
	s_cbranch_execz .LBB1483_260
; %bb.262:                              ;   in Loop: Header=BB1483_261 Depth=1
	s_add_u32 s50, s50, -1
	s_addc_u32 s51, s51, -1
	s_cmp_eq_u64 s[50:51], 0
	s_cselect_b64 s[4:5], -1, 0
	s_andn2_b64 s[48:49], s[48:49], exec
	s_and_b64 s[4:5], s[4:5], exec
	v_lshl_add_u64 v[6:7], v[6:7], 0, 4
	v_lshl_add_u64 v[8:9], v[8:9], 0, 4
	s_andn2_b64 s[2:3], s[2:3], exec
	s_or_b64 s[48:49], s[48:49], s[4:5]
                                        ; implicit-def: $sgpr52_sgpr53
	s_branch .LBB1483_260
.LBB1483_263:
	s_or_b64 exec, exec, s[44:45]
	s_xor_b64 s[2:3], s[46:47], -1
	s_branch .LBB1483_265
.LBB1483_264:
	s_mov_b64 s[2:3], -1
.LBB1483_265:
	s_and_b64 s[2:3], s[2:3], exec
.LBB1483_266:
	s_or_b64 exec, exec, s[40:41]
	s_orn2_b64 s[40:41], s[2:3], exec
.LBB1483_267:
	s_or_b64 exec, exec, s[42:43]
	v_cndmask_b32_e64 v6, v49, v53, s[40:41]
	v_cndmask_b32_e64 v7, v27, v26, s[40:41]
	v_add_u32_e32 v8, 1, v6
	v_add_u32_e32 v6, -1, v7
	v_min_u32_e32 v6, v8, v6
	v_lshl_add_u32 v6, v6, 3, v35
	ds_read_b64 v[6:7], v6
	v_cndmask_b32_e64 v50, v8, v49, s[40:41]
	v_cndmask_b32_e64 v49, v53, v8, s[40:41]
	v_cmp_lt_u32_e32 vcc, v50, v27
	s_waitcnt lgkmcnt(0)
	v_cndmask_b32_e64 v47, v7, v43, s[40:41]
	v_cndmask_b32_e64 v48, v6, v44, s[40:41]
	;; [unrolled: 1-line block ×4, first 2 shown]
	s_and_saveexec_b64 s[42:43], vcc
	s_cbranch_execz .LBB1483_278
; %bb.268:
	v_cmp_lt_u32_e32 vcc, v49, v26
	s_mov_b64 s[2:3], 0
	s_and_saveexec_b64 s[30:31], vcc
	s_cbranch_execz .LBB1483_277
; %bb.269:
	s_and_b64 vcc, exec, s[0:1]
	s_cbranch_vccnz .LBB1483_275
; %bb.270:
	v_mul_lo_u32 v8, v47, s36
	v_mul_lo_u32 v9, v48, s37
	v_mad_u64_u32 v[6:7], s[2:3], v48, s36, 0
	v_add3_u32 v7, v7, v9, v8
	v_mul_lo_u32 v53, v51, s36
	v_mul_lo_u32 v54, v52, s37
	v_mad_u64_u32 v[8:9], s[2:3], v52, s36, 0
	v_add3_u32 v9, v9, v54, v53
	v_lshl_add_u64 v[6:7], v[6:7], 2, s[38:39]
	v_lshl_add_u64 v[8:9], v[8:9], 2, s[38:39]
	s_mov_b64 s[44:45], 0
	s_mov_b64 s[50:51], s[36:37]
                                        ; implicit-def: $sgpr46_sgpr47
                                        ; implicit-def: $sgpr48_sgpr49
                                        ; implicit-def: $sgpr2_sgpr3
                                        ; implicit-def: $sgpr52_sgpr53
	s_branch .LBB1483_272
.LBB1483_271:                           ;   in Loop: Header=BB1483_272 Depth=1
	s_or_b64 exec, exec, s[56:57]
	s_and_b64 s[4:5], exec, s[48:49]
	s_or_b64 s[44:45], s[4:5], s[44:45]
	s_andn2_b64 s[4:5], s[52:53], exec
	s_and_b64 s[52:53], s[54:55], exec
	s_or_b64 s[52:53], s[4:5], s[52:53]
	s_andn2_b64 s[4:5], s[46:47], exec
	s_and_b64 s[46:47], s[2:3], exec
	s_or_b64 s[46:47], s[4:5], s[46:47]
	s_andn2_b64 exec, exec, s[44:45]
	s_cbranch_execz .LBB1483_274
.LBB1483_272:                           ; =>This Inner Loop Header: Depth=1
	global_load_dword v53, v[6:7], off
	global_load_dword v54, v[8:9], off
	s_andn2_b64 s[56:57], s[2:3], exec
	s_or_b64 s[48:49], s[48:49], exec
	s_waitcnt vmcnt(0)
	v_cmp_le_u32_e64 s[2:3], v53, v54
	v_cmp_lt_u32_e32 vcc, v53, v54
	s_and_b64 s[2:3], s[2:3], s[52:53]
	s_or_b64 s[54:55], vcc, s[2:3]
	s_and_b64 s[2:3], s[54:55], exec
	v_cmp_eq_u32_e64 s[4:5], v53, v54
	s_or_b64 s[2:3], s[56:57], s[2:3]
	s_and_saveexec_b64 s[56:57], s[4:5]
	s_cbranch_execz .LBB1483_271
; %bb.273:                              ;   in Loop: Header=BB1483_272 Depth=1
	s_add_u32 s50, s50, -1
	s_addc_u32 s51, s51, -1
	s_cmp_eq_u64 s[50:51], 0
	s_cselect_b64 s[4:5], -1, 0
	s_andn2_b64 s[48:49], s[48:49], exec
	s_and_b64 s[4:5], s[4:5], exec
	v_lshl_add_u64 v[6:7], v[6:7], 0, 4
	v_lshl_add_u64 v[8:9], v[8:9], 0, 4
	s_andn2_b64 s[2:3], s[2:3], exec
	s_or_b64 s[48:49], s[48:49], s[4:5]
                                        ; implicit-def: $sgpr52_sgpr53
	s_branch .LBB1483_271
.LBB1483_274:
	s_or_b64 exec, exec, s[44:45]
	s_xor_b64 s[2:3], s[46:47], -1
	s_branch .LBB1483_276
.LBB1483_275:
	s_mov_b64 s[2:3], -1
.LBB1483_276:
	s_and_b64 s[2:3], s[2:3], exec
.LBB1483_277:
	s_or_b64 exec, exec, s[30:31]
	s_orn2_b64 s[30:31], s[2:3], exec
.LBB1483_278:
	s_or_b64 exec, exec, s[42:43]
	v_cndmask_b32_e64 v11, v10, v11, s[24:25]
	v_cndmask_b32_e64 v10, v17, v23, s[24:25]
	;; [unrolled: 1-line block ×8, first 2 shown]
	v_add_u32_e32 v24, 1, v14
	v_add_u32_e32 v14, -1, v15
	v_min_u32_e32 v14, v24, v14
	v_lshl_add_u32 v14, v14, 3, v35
	ds_read_b64 v[22:23], v14
	v_cndmask_b32_e64 v25, v24, v50, s[30:31]
	v_cndmask_b32_e64 v9, v43, v45, s[40:41]
	;; [unrolled: 1-line block ×9, first 2 shown]
	s_waitcnt lgkmcnt(0)
	v_cndmask_b32_e64 v5, v51, v23, s[30:31]
	v_cndmask_b32_e64 v4, v52, v22, s[30:31]
	v_cmp_lt_u32_e32 vcc, v25, v27
	s_and_saveexec_b64 s[12:13], vcc
	s_cbranch_execz .LBB1483_288
; %bb.279:
	v_cndmask_b32_e64 v24, v49, v24, s[30:31]
	v_cndmask_b32_e64 v23, v23, v47, s[30:31]
	;; [unrolled: 1-line block ×3, first 2 shown]
	v_cmp_lt_u32_e32 vcc, v24, v26
	s_and_saveexec_b64 s[22:23], vcc
	s_cbranch_execz .LBB1483_287
; %bb.280:
	s_and_b64 vcc, exec, s[0:1]
	s_cbranch_vccnz .LBB1483_286
; %bb.281:
	v_mul_lo_u32 v26, v23, s36
	v_mul_lo_u32 v27, v22, s37
	v_mad_u64_u32 v[24:25], s[2:3], v22, s36, 0
	v_add3_u32 v25, v25, v27, v26
	v_mul_lo_u32 v39, v5, s36
	v_mul_lo_u32 v40, v4, s37
	v_mad_u64_u32 v[26:27], s[2:3], v4, s36, 0
	v_add3_u32 v27, v27, v40, v39
	v_lshl_add_u64 v[24:25], v[24:25], 2, s[38:39]
	v_lshl_add_u64 v[26:27], v[26:27], 2, s[38:39]
	s_mov_b64 s[24:25], 0
	s_mov_b64 s[30:31], s[36:37]
                                        ; implicit-def: $sgpr26_sgpr27
                                        ; implicit-def: $sgpr28_sgpr29
                                        ; implicit-def: $sgpr2_sgpr3
                                        ; implicit-def: $sgpr40_sgpr41
	s_branch .LBB1483_283
.LBB1483_282:                           ;   in Loop: Header=BB1483_283 Depth=1
	s_or_b64 exec, exec, s[44:45]
	s_and_b64 s[4:5], exec, s[28:29]
	s_or_b64 s[24:25], s[4:5], s[24:25]
	s_andn2_b64 s[4:5], s[40:41], exec
	s_and_b64 s[40:41], s[42:43], exec
	s_or_b64 s[40:41], s[4:5], s[40:41]
	s_andn2_b64 s[4:5], s[26:27], exec
	s_and_b64 s[26:27], s[2:3], exec
	s_or_b64 s[26:27], s[4:5], s[26:27]
	s_andn2_b64 exec, exec, s[24:25]
	s_cbranch_execz .LBB1483_285
.LBB1483_283:                           ; =>This Inner Loop Header: Depth=1
	global_load_dword v39, v[24:25], off
	global_load_dword v40, v[26:27], off
	s_andn2_b64 s[44:45], s[2:3], exec
	s_or_b64 s[28:29], s[28:29], exec
	s_waitcnt vmcnt(0)
	v_cmp_le_u32_e64 s[2:3], v39, v40
	v_cmp_lt_u32_e32 vcc, v39, v40
	s_and_b64 s[2:3], s[2:3], s[40:41]
	s_or_b64 s[42:43], vcc, s[2:3]
	s_and_b64 s[2:3], s[42:43], exec
	v_cmp_eq_u32_e64 s[4:5], v39, v40
	s_or_b64 s[2:3], s[44:45], s[2:3]
	s_and_saveexec_b64 s[44:45], s[4:5]
	s_cbranch_execz .LBB1483_282
; %bb.284:                              ;   in Loop: Header=BB1483_283 Depth=1
	s_add_u32 s30, s30, -1
	s_addc_u32 s31, s31, -1
	s_cmp_eq_u64 s[30:31], 0
	s_cselect_b64 s[4:5], -1, 0
	s_andn2_b64 s[28:29], s[28:29], exec
	s_and_b64 s[4:5], s[4:5], exec
	v_lshl_add_u64 v[24:25], v[24:25], 0, 4
	v_lshl_add_u64 v[26:27], v[26:27], 0, 4
	s_andn2_b64 s[2:3], s[2:3], exec
	s_or_b64 s[28:29], s[28:29], s[4:5]
                                        ; implicit-def: $sgpr40_sgpr41
	s_branch .LBB1483_282
.LBB1483_285:
	s_or_b64 exec, exec, s[24:25]
	v_cndmask_b32_e64 v5, v5, v23, s[26:27]
	v_cndmask_b32_e64 v4, v4, v22, s[26:27]
.LBB1483_286:
	v_mov_b64_e32 v[22:23], v[4:5]
.LBB1483_287:
	s_or_b64 exec, exec, s[22:23]
	v_mov_b64_e32 v[4:5], v[22:23]
.LBB1483_288:
	s_or_b64 exec, exec, s[12:13]
.LBB1483_289:
	s_or_b64 exec, exec, s[10:11]
	v_and_b32_e32 v41, 0x3e0, v37
	v_or_b32_e32 v22, 16, v41
	v_min_u32_e32 v26, v36, v22
	v_add_u32_e32 v22, 16, v26
	v_min_u32_e32 v27, v36, v22
	v_and_b32_e32 v22, 24, v37
	v_min_u32_e32 v42, v36, v22
	v_sub_u32_e32 v22, v26, v41
	v_sub_u32_e32 v23, v27, v26
	v_sub_u32_e64 v40, v42, v23 clamp
	v_min_u32_e32 v43, v42, v22
	v_lshl_add_u32 v39, v41, 3, v35
	v_cmp_lt_u32_e32 vcc, v40, v43
	; wave barrier
	ds_write_b128 v38, v[14:17]
	ds_write_b128 v38, v[10:13] offset:16
	ds_write_b128 v38, v[6:9] offset:32
	;; [unrolled: 1-line block ×3, first 2 shown]
	; wave barrier
	s_and_saveexec_b64 s[10:11], vcc
	s_cbranch_execz .LBB1483_299
; %bb.290:
	v_lshlrev_b32_e32 v22, 3, v26
	v_lshlrev_b32_e32 v23, 3, v42
	v_add3_u32 v44, v35, v22, v23
	s_lshl_b64 s[22:23], s[36:37], 2
	s_mov_b64 s[12:13], 0
	s_branch .LBB1483_293
.LBB1483_291:                           ;   in Loop: Header=BB1483_293 Depth=1
	s_or_b64 exec, exec, s[26:27]
.LBB1483_292:                           ;   in Loop: Header=BB1483_293 Depth=1
	v_add_u32_e32 v22, 1, v45
	v_cndmask_b32_e64 v43, v43, v45, s[24:25]
	v_cndmask_b32_e64 v40, v22, v40, s[24:25]
	v_cmp_ge_u32_e32 vcc, v40, v43
	s_or_b64 s[12:13], vcc, s[12:13]
	s_andn2_b64 exec, exec, s[12:13]
	s_cbranch_execz .LBB1483_298
.LBB1483_293:                           ; =>This Loop Header: Depth=1
                                        ;     Child Loop BB1483_296 Depth 2
	v_add_u32_e32 v22, v43, v40
	v_lshrrev_b32_e32 v45, 1, v22
	s_and_b64 vcc, exec, s[0:1]
	s_mov_b64 s[24:25], 0
	s_cbranch_vccnz .LBB1483_292
; %bb.294:                              ;   in Loop: Header=BB1483_293 Depth=1
	v_not_b32_e32 v22, v45
	v_lshl_add_u32 v22, v22, 3, v44
	ds_read_b64 v[22:23], v22
	v_lshl_add_u32 v46, v45, 3, v39
	ds_read_b64 v[46:47], v46
	v_mov_b64_e32 v[24:25], s[38:39]
	s_mov_b64 s[26:27], 0
	s_waitcnt lgkmcnt(1)
	v_mul_lo_u32 v48, s22, v23
	v_mul_lo_u32 v49, s23, v22
	v_mad_u64_u32 v[22:23], s[2:3], s22, v22, v[24:25]
	v_add3_u32 v23, v49, v23, v48
	s_waitcnt lgkmcnt(0)
	v_mul_lo_u32 v47, s22, v47
	v_mul_lo_u32 v48, s23, v46
	v_mad_u64_u32 v[24:25], s[2:3], s22, v46, v[24:25]
	v_add3_u32 v25, v48, v25, v47
	s_mov_b64 s[30:31], s[36:37]
                                        ; implicit-def: $sgpr24_sgpr25
                                        ; implicit-def: $sgpr28_sgpr29
                                        ; implicit-def: $sgpr2_sgpr3
                                        ; implicit-def: $sgpr40_sgpr41
	s_branch .LBB1483_296
.LBB1483_295:                           ;   in Loop: Header=BB1483_296 Depth=2
	s_or_b64 exec, exec, s[44:45]
	s_and_b64 s[4:5], exec, s[28:29]
	s_or_b64 s[26:27], s[4:5], s[26:27]
	s_andn2_b64 s[4:5], s[40:41], exec
	s_and_b64 s[40:41], s[42:43], exec
	s_or_b64 s[40:41], s[4:5], s[40:41]
	s_andn2_b64 s[4:5], s[24:25], exec
	s_and_b64 s[24:25], s[2:3], exec
	s_or_b64 s[24:25], s[4:5], s[24:25]
	s_andn2_b64 exec, exec, s[26:27]
	s_cbranch_execz .LBB1483_291
.LBB1483_296:                           ;   Parent Loop BB1483_293 Depth=1
                                        ; =>  This Inner Loop Header: Depth=2
	global_load_dword v46, v[22:23], off
	global_load_dword v47, v[24:25], off
	s_andn2_b64 s[44:45], s[2:3], exec
	s_or_b64 s[28:29], s[28:29], exec
	s_waitcnt vmcnt(0)
	v_cmp_le_u32_e64 s[2:3], v46, v47
	v_cmp_lt_u32_e32 vcc, v46, v47
	s_and_b64 s[2:3], s[2:3], s[40:41]
	s_or_b64 s[42:43], vcc, s[2:3]
	s_and_b64 s[2:3], s[42:43], exec
	v_cmp_eq_u32_e64 s[4:5], v46, v47
	s_or_b64 s[2:3], s[44:45], s[2:3]
	s_and_saveexec_b64 s[44:45], s[4:5]
	s_cbranch_execz .LBB1483_295
; %bb.297:                              ;   in Loop: Header=BB1483_296 Depth=2
	s_add_u32 s30, s30, -1
	s_addc_u32 s31, s31, -1
	s_cmp_eq_u64 s[30:31], 0
	s_cselect_b64 s[4:5], -1, 0
	s_andn2_b64 s[28:29], s[28:29], exec
	s_and_b64 s[4:5], s[4:5], exec
	v_lshl_add_u64 v[22:23], v[22:23], 0, 4
	v_lshl_add_u64 v[24:25], v[24:25], 0, 4
	s_andn2_b64 s[2:3], s[2:3], exec
	s_or_b64 s[28:29], s[28:29], s[4:5]
                                        ; implicit-def: $sgpr40_sgpr41
	s_branch .LBB1483_295
.LBB1483_298:
	s_or_b64 exec, exec, s[12:13]
.LBB1483_299:
	s_or_b64 exec, exec, s[10:11]
	v_add_u32_e32 v22, v26, v42
	v_add_u32_e32 v23, v40, v41
	v_sub_u32_e32 v24, v22, v40
	v_cmp_le_u32_e32 vcc, v23, v26
	v_cmp_le_u32_e64 s[2:3], v24, v27
	s_or_b64 s[2:3], vcc, s[2:3]
	s_and_saveexec_b64 s[10:11], s[2:3]
	s_cbranch_execz .LBB1483_390
; %bb.300:
	v_cmp_ge_u32_e32 vcc, v23, v26
	v_cmp_lt_u32_e64 s[2:3], v23, v26
                                        ; implicit-def: $vgpr2_vgpr3
	s_and_saveexec_b64 s[4:5], s[2:3]
; %bb.301:
	v_lshl_add_u32 v2, v40, 3, v39
	ds_read_b64 v[2:3], v2
; %bb.302:
	s_or_b64 exec, exec, s[4:5]
	v_cmp_ge_u32_e64 s[12:13], v24, v27
	v_cmp_lt_u32_e64 s[2:3], v24, v27
                                        ; implicit-def: $vgpr4_vgpr5
	s_and_saveexec_b64 s[4:5], s[2:3]
; %bb.303:
	v_lshl_add_u32 v4, v24, 3, v35
	ds_read_b64 v[4:5], v4
; %bb.304:
	s_or_b64 exec, exec, s[4:5]
	s_nor_b64 s[2:3], vcc, s[12:13]
	s_and_saveexec_b64 s[22:23], s[2:3]
	s_cbranch_execz .LBB1483_313
; %bb.305:
	s_and_b64 vcc, exec, s[0:1]
	s_cbranch_vccnz .LBB1483_311
; %bb.306:
	s_waitcnt lgkmcnt(0)
	v_mul_lo_u32 v8, v5, s36
	v_mul_lo_u32 v9, v4, s37
	v_mad_u64_u32 v[6:7], s[2:3], v4, s36, 0
	v_add3_u32 v7, v7, v9, v8
	v_mul_lo_u32 v10, v3, s36
	v_mul_lo_u32 v11, v2, s37
	v_mad_u64_u32 v[8:9], s[2:3], v2, s36, 0
	v_add3_u32 v9, v9, v11, v10
	v_lshl_add_u64 v[6:7], v[6:7], 2, s[38:39]
	v_lshl_add_u64 v[8:9], v[8:9], 2, s[38:39]
	s_mov_b64 s[24:25], 0
	s_mov_b64 s[30:31], s[36:37]
                                        ; implicit-def: $sgpr26_sgpr27
                                        ; implicit-def: $sgpr28_sgpr29
                                        ; implicit-def: $sgpr2_sgpr3
                                        ; implicit-def: $sgpr40_sgpr41
	s_branch .LBB1483_308
.LBB1483_307:                           ;   in Loop: Header=BB1483_308 Depth=1
	s_or_b64 exec, exec, s[44:45]
	s_and_b64 s[4:5], exec, s[28:29]
	s_or_b64 s[24:25], s[4:5], s[24:25]
	s_andn2_b64 s[4:5], s[40:41], exec
	s_and_b64 s[40:41], s[42:43], exec
	s_or_b64 s[40:41], s[4:5], s[40:41]
	s_andn2_b64 s[4:5], s[26:27], exec
	s_and_b64 s[26:27], s[2:3], exec
	s_or_b64 s[26:27], s[4:5], s[26:27]
	s_andn2_b64 exec, exec, s[24:25]
	s_cbranch_execz .LBB1483_310
.LBB1483_308:                           ; =>This Inner Loop Header: Depth=1
	global_load_dword v10, v[6:7], off
	global_load_dword v11, v[8:9], off
	s_andn2_b64 s[44:45], s[2:3], exec
	s_or_b64 s[28:29], s[28:29], exec
	s_waitcnt vmcnt(0)
	v_cmp_le_u32_e64 s[2:3], v10, v11
	v_cmp_lt_u32_e32 vcc, v10, v11
	s_and_b64 s[2:3], s[2:3], s[40:41]
	s_or_b64 s[42:43], vcc, s[2:3]
	s_and_b64 s[2:3], s[42:43], exec
	v_cmp_eq_u32_e64 s[4:5], v10, v11
	s_or_b64 s[2:3], s[44:45], s[2:3]
	s_and_saveexec_b64 s[44:45], s[4:5]
	s_cbranch_execz .LBB1483_307
; %bb.309:                              ;   in Loop: Header=BB1483_308 Depth=1
	s_add_u32 s30, s30, -1
	s_addc_u32 s31, s31, -1
	s_cmp_eq_u64 s[30:31], 0
	s_cselect_b64 s[4:5], -1, 0
	s_andn2_b64 s[28:29], s[28:29], exec
	s_and_b64 s[4:5], s[4:5], exec
	v_lshl_add_u64 v[6:7], v[6:7], 0, 4
	v_lshl_add_u64 v[8:9], v[8:9], 0, 4
	s_andn2_b64 s[2:3], s[2:3], exec
	s_or_b64 s[28:29], s[28:29], s[4:5]
                                        ; implicit-def: $sgpr40_sgpr41
	s_branch .LBB1483_307
.LBB1483_310:
	s_or_b64 exec, exec, s[24:25]
	s_xor_b64 s[2:3], s[26:27], -1
	s_branch .LBB1483_312
.LBB1483_311:
	s_mov_b64 s[2:3], -1
.LBB1483_312:
	s_andn2_b64 s[4:5], s[12:13], exec
	s_and_b64 s[2:3], s[2:3], exec
	s_or_b64 s[12:13], s[4:5], s[2:3]
.LBB1483_313:
	s_or_b64 exec, exec, s[22:23]
	v_cndmask_b32_e64 v6, v24, v23, s[12:13]
	v_cndmask_b32_e64 v7, v27, v26, s[12:13]
	v_add_u32_e32 v8, 1, v6
	v_add_u32_e32 v6, -1, v7
	v_min_u32_e32 v6, v8, v6
	v_lshl_add_u32 v6, v6, 3, v35
	ds_read_b64 v[6:7], v6
	v_cndmask_b32_e64 v12, v8, v24, s[12:13]
	v_cndmask_b32_e64 v13, v23, v8, s[12:13]
	v_cmp_lt_u32_e32 vcc, v12, v27
	s_mov_b64 s[24:25], -1
	s_waitcnt lgkmcnt(0)
	v_cndmask_b32_e64 v14, v7, v5, s[12:13]
	v_cndmask_b32_e64 v15, v6, v4, s[12:13]
	;; [unrolled: 1-line block ×4, first 2 shown]
	s_mov_b64 s[22:23], -1
	s_and_saveexec_b64 s[26:27], vcc
	s_cbranch_execz .LBB1483_324
; %bb.314:
	v_cmp_lt_u32_e32 vcc, v13, v26
	s_mov_b64 s[2:3], 0
	s_and_saveexec_b64 s[22:23], vcc
	s_cbranch_execz .LBB1483_323
; %bb.315:
	s_and_b64 vcc, exec, s[0:1]
	s_cbranch_vccnz .LBB1483_321
; %bb.316:
	v_mul_lo_u32 v8, v14, s36
	v_mul_lo_u32 v9, v15, s37
	v_mad_u64_u32 v[6:7], s[2:3], v15, s36, 0
	v_add3_u32 v7, v7, v9, v8
	v_mul_lo_u32 v10, v16, s36
	v_mul_lo_u32 v11, v22, s37
	v_mad_u64_u32 v[8:9], s[2:3], v22, s36, 0
	v_add3_u32 v9, v9, v11, v10
	v_lshl_add_u64 v[6:7], v[6:7], 2, s[38:39]
	v_lshl_add_u64 v[8:9], v[8:9], 2, s[38:39]
	s_mov_b64 s[28:29], 0
	s_mov_b64 s[42:43], s[36:37]
                                        ; implicit-def: $sgpr30_sgpr31
                                        ; implicit-def: $sgpr40_sgpr41
                                        ; implicit-def: $sgpr2_sgpr3
                                        ; implicit-def: $sgpr44_sgpr45
	s_branch .LBB1483_318
.LBB1483_317:                           ;   in Loop: Header=BB1483_318 Depth=1
	s_or_b64 exec, exec, s[48:49]
	s_and_b64 s[4:5], exec, s[40:41]
	s_or_b64 s[28:29], s[4:5], s[28:29]
	s_andn2_b64 s[4:5], s[44:45], exec
	s_and_b64 s[44:45], s[46:47], exec
	s_or_b64 s[44:45], s[4:5], s[44:45]
	s_andn2_b64 s[4:5], s[30:31], exec
	s_and_b64 s[30:31], s[2:3], exec
	s_or_b64 s[30:31], s[4:5], s[30:31]
	s_andn2_b64 exec, exec, s[28:29]
	s_cbranch_execz .LBB1483_320
.LBB1483_318:                           ; =>This Inner Loop Header: Depth=1
	global_load_dword v10, v[6:7], off
	global_load_dword v11, v[8:9], off
	s_andn2_b64 s[48:49], s[2:3], exec
	s_or_b64 s[40:41], s[40:41], exec
	s_waitcnt vmcnt(0)
	v_cmp_le_u32_e64 s[2:3], v10, v11
	v_cmp_lt_u32_e32 vcc, v10, v11
	s_and_b64 s[2:3], s[2:3], s[44:45]
	s_or_b64 s[46:47], vcc, s[2:3]
	s_and_b64 s[2:3], s[46:47], exec
	v_cmp_eq_u32_e64 s[4:5], v10, v11
	s_or_b64 s[2:3], s[48:49], s[2:3]
	s_and_saveexec_b64 s[48:49], s[4:5]
	s_cbranch_execz .LBB1483_317
; %bb.319:                              ;   in Loop: Header=BB1483_318 Depth=1
	s_add_u32 s42, s42, -1
	s_addc_u32 s43, s43, -1
	s_cmp_eq_u64 s[42:43], 0
	s_cselect_b64 s[4:5], -1, 0
	s_andn2_b64 s[40:41], s[40:41], exec
	s_and_b64 s[4:5], s[4:5], exec
	v_lshl_add_u64 v[6:7], v[6:7], 0, 4
	v_lshl_add_u64 v[8:9], v[8:9], 0, 4
	s_andn2_b64 s[2:3], s[2:3], exec
	s_or_b64 s[40:41], s[40:41], s[4:5]
                                        ; implicit-def: $sgpr44_sgpr45
	s_branch .LBB1483_317
.LBB1483_320:
	s_or_b64 exec, exec, s[28:29]
	s_xor_b64 s[2:3], s[30:31], -1
	s_branch .LBB1483_322
.LBB1483_321:
	s_mov_b64 s[2:3], -1
.LBB1483_322:
	s_and_b64 s[2:3], s[2:3], exec
.LBB1483_323:
	s_or_b64 exec, exec, s[22:23]
	s_orn2_b64 s[22:23], s[2:3], exec
.LBB1483_324:
	s_or_b64 exec, exec, s[26:27]
	v_cndmask_b32_e64 v6, v12, v13, s[22:23]
	v_cndmask_b32_e64 v7, v27, v26, s[22:23]
	v_add_u32_e32 v8, 1, v6
	v_add_u32_e32 v6, -1, v7
	v_min_u32_e32 v6, v8, v6
	v_lshl_add_u32 v6, v6, 3, v35
	ds_read_b64 v[6:7], v6
	v_cndmask_b32_e64 v39, v8, v12, s[22:23]
	v_cndmask_b32_e64 v40, v13, v8, s[22:23]
	v_cmp_lt_u32_e32 vcc, v39, v27
	s_waitcnt lgkmcnt(0)
	v_cndmask_b32_e64 v10, v7, v14, s[22:23]
	v_cndmask_b32_e64 v17, v6, v15, s[22:23]
	;; [unrolled: 1-line block ×4, first 2 shown]
	s_and_saveexec_b64 s[26:27], vcc
	s_cbranch_execz .LBB1483_335
; %bb.325:
	v_cmp_lt_u32_e32 vcc, v40, v26
	s_mov_b64 s[2:3], 0
	s_and_saveexec_b64 s[24:25], vcc
	s_cbranch_execz .LBB1483_334
; %bb.326:
	s_and_b64 vcc, exec, s[0:1]
	s_cbranch_vccnz .LBB1483_332
; %bb.327:
	v_mul_lo_u32 v8, v10, s36
	v_mul_lo_u32 v9, v17, s37
	v_mad_u64_u32 v[6:7], s[2:3], v17, s36, 0
	v_add3_u32 v7, v7, v9, v8
	v_mul_lo_u32 v12, v11, s36
	v_mul_lo_u32 v13, v23, s37
	v_mad_u64_u32 v[8:9], s[2:3], v23, s36, 0
	v_add3_u32 v9, v9, v13, v12
	v_lshl_add_u64 v[6:7], v[6:7], 2, s[38:39]
	v_lshl_add_u64 v[8:9], v[8:9], 2, s[38:39]
	s_mov_b64 s[28:29], 0
	s_mov_b64 s[42:43], s[36:37]
                                        ; implicit-def: $sgpr30_sgpr31
                                        ; implicit-def: $sgpr40_sgpr41
                                        ; implicit-def: $sgpr2_sgpr3
                                        ; implicit-def: $sgpr44_sgpr45
	s_branch .LBB1483_329
.LBB1483_328:                           ;   in Loop: Header=BB1483_329 Depth=1
	s_or_b64 exec, exec, s[48:49]
	s_and_b64 s[4:5], exec, s[40:41]
	s_or_b64 s[28:29], s[4:5], s[28:29]
	s_andn2_b64 s[4:5], s[44:45], exec
	s_and_b64 s[44:45], s[46:47], exec
	s_or_b64 s[44:45], s[4:5], s[44:45]
	s_andn2_b64 s[4:5], s[30:31], exec
	s_and_b64 s[30:31], s[2:3], exec
	s_or_b64 s[30:31], s[4:5], s[30:31]
	s_andn2_b64 exec, exec, s[28:29]
	s_cbranch_execz .LBB1483_331
.LBB1483_329:                           ; =>This Inner Loop Header: Depth=1
	global_load_dword v12, v[6:7], off
	global_load_dword v13, v[8:9], off
	s_andn2_b64 s[48:49], s[2:3], exec
	s_or_b64 s[40:41], s[40:41], exec
	s_waitcnt vmcnt(0)
	v_cmp_le_u32_e64 s[2:3], v12, v13
	v_cmp_lt_u32_e32 vcc, v12, v13
	s_and_b64 s[2:3], s[2:3], s[44:45]
	s_or_b64 s[46:47], vcc, s[2:3]
	s_and_b64 s[2:3], s[46:47], exec
	v_cmp_eq_u32_e64 s[4:5], v12, v13
	s_or_b64 s[2:3], s[48:49], s[2:3]
	s_and_saveexec_b64 s[48:49], s[4:5]
	s_cbranch_execz .LBB1483_328
; %bb.330:                              ;   in Loop: Header=BB1483_329 Depth=1
	s_add_u32 s42, s42, -1
	s_addc_u32 s43, s43, -1
	s_cmp_eq_u64 s[42:43], 0
	s_cselect_b64 s[4:5], -1, 0
	s_andn2_b64 s[40:41], s[40:41], exec
	s_and_b64 s[4:5], s[4:5], exec
	v_lshl_add_u64 v[6:7], v[6:7], 0, 4
	v_lshl_add_u64 v[8:9], v[8:9], 0, 4
	s_andn2_b64 s[2:3], s[2:3], exec
	s_or_b64 s[40:41], s[40:41], s[4:5]
                                        ; implicit-def: $sgpr44_sgpr45
	s_branch .LBB1483_328
.LBB1483_331:
	s_or_b64 exec, exec, s[28:29]
	s_xor_b64 s[2:3], s[30:31], -1
	s_branch .LBB1483_333
.LBB1483_332:
	s_mov_b64 s[2:3], -1
.LBB1483_333:
	s_and_b64 s[2:3], s[2:3], exec
.LBB1483_334:
	s_or_b64 exec, exec, s[24:25]
	s_orn2_b64 s[24:25], s[2:3], exec
.LBB1483_335:
	s_or_b64 exec, exec, s[26:27]
	v_cndmask_b32_e64 v6, v39, v40, s[24:25]
	v_cndmask_b32_e64 v7, v27, v26, s[24:25]
	v_add_u32_e32 v8, 1, v6
	v_add_u32_e32 v6, -1, v7
	v_min_u32_e32 v6, v8, v6
	v_lshl_add_u32 v6, v6, 3, v35
	ds_read_b64 v[6:7], v6
	v_cndmask_b32_e64 v43, v8, v39, s[24:25]
	v_cndmask_b32_e64 v44, v40, v8, s[24:25]
	v_cmp_lt_u32_e32 vcc, v43, v27
	s_mov_b64 s[28:29], -1
	s_waitcnt lgkmcnt(0)
	v_cndmask_b32_e64 v12, v7, v10, s[24:25]
	v_cndmask_b32_e64 v24, v6, v17, s[24:25]
	;; [unrolled: 1-line block ×4, first 2 shown]
	s_mov_b64 s[26:27], -1
	s_and_saveexec_b64 s[30:31], vcc
	s_cbranch_execz .LBB1483_346
; %bb.336:
	v_cmp_lt_u32_e32 vcc, v44, v26
	s_mov_b64 s[2:3], 0
	s_and_saveexec_b64 s[26:27], vcc
	s_cbranch_execz .LBB1483_345
; %bb.337:
	s_and_b64 vcc, exec, s[0:1]
	s_cbranch_vccnz .LBB1483_343
; %bb.338:
	v_mul_lo_u32 v8, v12, s36
	v_mul_lo_u32 v9, v24, s37
	v_mad_u64_u32 v[6:7], s[2:3], v24, s36, 0
	v_add3_u32 v7, v7, v9, v8
	v_mul_lo_u32 v39, v13, s36
	v_mul_lo_u32 v40, v25, s37
	v_mad_u64_u32 v[8:9], s[2:3], v25, s36, 0
	v_add3_u32 v9, v9, v40, v39
	v_lshl_add_u64 v[6:7], v[6:7], 2, s[38:39]
	v_lshl_add_u64 v[8:9], v[8:9], 2, s[38:39]
	s_mov_b64 s[40:41], 0
	s_mov_b64 s[46:47], s[36:37]
                                        ; implicit-def: $sgpr42_sgpr43
                                        ; implicit-def: $sgpr44_sgpr45
                                        ; implicit-def: $sgpr2_sgpr3
                                        ; implicit-def: $sgpr48_sgpr49
	s_branch .LBB1483_340
.LBB1483_339:                           ;   in Loop: Header=BB1483_340 Depth=1
	s_or_b64 exec, exec, s[52:53]
	s_and_b64 s[4:5], exec, s[44:45]
	s_or_b64 s[40:41], s[4:5], s[40:41]
	s_andn2_b64 s[4:5], s[48:49], exec
	s_and_b64 s[48:49], s[50:51], exec
	s_or_b64 s[48:49], s[4:5], s[48:49]
	s_andn2_b64 s[4:5], s[42:43], exec
	s_and_b64 s[42:43], s[2:3], exec
	s_or_b64 s[42:43], s[4:5], s[42:43]
	s_andn2_b64 exec, exec, s[40:41]
	s_cbranch_execz .LBB1483_342
.LBB1483_340:                           ; =>This Inner Loop Header: Depth=1
	global_load_dword v39, v[6:7], off
	global_load_dword v40, v[8:9], off
	s_andn2_b64 s[52:53], s[2:3], exec
	s_or_b64 s[44:45], s[44:45], exec
	s_waitcnt vmcnt(0)
	v_cmp_le_u32_e64 s[2:3], v39, v40
	v_cmp_lt_u32_e32 vcc, v39, v40
	s_and_b64 s[2:3], s[2:3], s[48:49]
	s_or_b64 s[50:51], vcc, s[2:3]
	s_and_b64 s[2:3], s[50:51], exec
	v_cmp_eq_u32_e64 s[4:5], v39, v40
	s_or_b64 s[2:3], s[52:53], s[2:3]
	s_and_saveexec_b64 s[52:53], s[4:5]
	s_cbranch_execz .LBB1483_339
; %bb.341:                              ;   in Loop: Header=BB1483_340 Depth=1
	s_add_u32 s46, s46, -1
	s_addc_u32 s47, s47, -1
	s_cmp_eq_u64 s[46:47], 0
	s_cselect_b64 s[4:5], -1, 0
	s_andn2_b64 s[44:45], s[44:45], exec
	s_and_b64 s[4:5], s[4:5], exec
	v_lshl_add_u64 v[6:7], v[6:7], 0, 4
	v_lshl_add_u64 v[8:9], v[8:9], 0, 4
	s_andn2_b64 s[2:3], s[2:3], exec
	s_or_b64 s[44:45], s[44:45], s[4:5]
                                        ; implicit-def: $sgpr48_sgpr49
	s_branch .LBB1483_339
.LBB1483_342:
	s_or_b64 exec, exec, s[40:41]
	s_xor_b64 s[2:3], s[42:43], -1
	s_branch .LBB1483_344
.LBB1483_343:
	s_mov_b64 s[2:3], -1
.LBB1483_344:
	s_and_b64 s[2:3], s[2:3], exec
.LBB1483_345:
	s_or_b64 exec, exec, s[26:27]
	s_orn2_b64 s[26:27], s[2:3], exec
.LBB1483_346:
	s_or_b64 exec, exec, s[30:31]
	v_cndmask_b32_e64 v6, v43, v44, s[26:27]
	v_cndmask_b32_e64 v7, v27, v26, s[26:27]
	v_add_u32_e32 v8, 1, v6
	v_add_u32_e32 v6, -1, v7
	v_min_u32_e32 v6, v8, v6
	v_lshl_add_u32 v6, v6, 3, v35
	ds_read_b64 v[6:7], v6
	v_cndmask_b32_e64 v47, v8, v43, s[26:27]
	v_cndmask_b32_e64 v48, v44, v8, s[26:27]
	v_cmp_lt_u32_e32 vcc, v47, v27
	s_waitcnt lgkmcnt(0)
	v_cndmask_b32_e64 v39, v7, v12, s[26:27]
	v_cndmask_b32_e64 v40, v6, v24, s[26:27]
	;; [unrolled: 1-line block ×4, first 2 shown]
	s_and_saveexec_b64 s[30:31], vcc
	s_cbranch_execz .LBB1483_357
; %bb.347:
	v_cmp_lt_u32_e32 vcc, v48, v26
	s_mov_b64 s[2:3], 0
	s_and_saveexec_b64 s[28:29], vcc
	s_cbranch_execz .LBB1483_356
; %bb.348:
	s_and_b64 vcc, exec, s[0:1]
	s_cbranch_vccnz .LBB1483_354
; %bb.349:
	v_mul_lo_u32 v8, v39, s36
	v_mul_lo_u32 v9, v40, s37
	v_mad_u64_u32 v[6:7], s[2:3], v40, s36, 0
	v_add3_u32 v7, v7, v9, v8
	v_mul_lo_u32 v43, v41, s36
	v_mul_lo_u32 v44, v42, s37
	v_mad_u64_u32 v[8:9], s[2:3], v42, s36, 0
	v_add3_u32 v9, v9, v44, v43
	v_lshl_add_u64 v[6:7], v[6:7], 2, s[38:39]
	v_lshl_add_u64 v[8:9], v[8:9], 2, s[38:39]
	s_mov_b64 s[40:41], 0
	s_mov_b64 s[46:47], s[36:37]
                                        ; implicit-def: $sgpr42_sgpr43
                                        ; implicit-def: $sgpr44_sgpr45
                                        ; implicit-def: $sgpr2_sgpr3
                                        ; implicit-def: $sgpr48_sgpr49
	s_branch .LBB1483_351
.LBB1483_350:                           ;   in Loop: Header=BB1483_351 Depth=1
	s_or_b64 exec, exec, s[52:53]
	s_and_b64 s[4:5], exec, s[44:45]
	s_or_b64 s[40:41], s[4:5], s[40:41]
	s_andn2_b64 s[4:5], s[48:49], exec
	s_and_b64 s[48:49], s[50:51], exec
	s_or_b64 s[48:49], s[4:5], s[48:49]
	s_andn2_b64 s[4:5], s[42:43], exec
	s_and_b64 s[42:43], s[2:3], exec
	s_or_b64 s[42:43], s[4:5], s[42:43]
	s_andn2_b64 exec, exec, s[40:41]
	s_cbranch_execz .LBB1483_353
.LBB1483_351:                           ; =>This Inner Loop Header: Depth=1
	global_load_dword v43, v[6:7], off
	global_load_dword v44, v[8:9], off
	s_andn2_b64 s[52:53], s[2:3], exec
	s_or_b64 s[44:45], s[44:45], exec
	s_waitcnt vmcnt(0)
	v_cmp_le_u32_e64 s[2:3], v43, v44
	v_cmp_lt_u32_e32 vcc, v43, v44
	s_and_b64 s[2:3], s[2:3], s[48:49]
	s_or_b64 s[50:51], vcc, s[2:3]
	s_and_b64 s[2:3], s[50:51], exec
	v_cmp_eq_u32_e64 s[4:5], v43, v44
	s_or_b64 s[2:3], s[52:53], s[2:3]
	s_and_saveexec_b64 s[52:53], s[4:5]
	s_cbranch_execz .LBB1483_350
; %bb.352:                              ;   in Loop: Header=BB1483_351 Depth=1
	s_add_u32 s46, s46, -1
	s_addc_u32 s47, s47, -1
	s_cmp_eq_u64 s[46:47], 0
	s_cselect_b64 s[4:5], -1, 0
	s_andn2_b64 s[44:45], s[44:45], exec
	s_and_b64 s[4:5], s[4:5], exec
	v_lshl_add_u64 v[6:7], v[6:7], 0, 4
	v_lshl_add_u64 v[8:9], v[8:9], 0, 4
	s_andn2_b64 s[2:3], s[2:3], exec
	s_or_b64 s[44:45], s[44:45], s[4:5]
                                        ; implicit-def: $sgpr48_sgpr49
	s_branch .LBB1483_350
.LBB1483_353:
	s_or_b64 exec, exec, s[40:41]
	s_xor_b64 s[2:3], s[42:43], -1
	s_branch .LBB1483_355
.LBB1483_354:
	s_mov_b64 s[2:3], -1
.LBB1483_355:
	s_and_b64 s[2:3], s[2:3], exec
.LBB1483_356:
	s_or_b64 exec, exec, s[28:29]
	s_orn2_b64 s[28:29], s[2:3], exec
.LBB1483_357:
	s_or_b64 exec, exec, s[30:31]
	v_cndmask_b32_e64 v6, v47, v48, s[28:29]
	v_cndmask_b32_e64 v7, v27, v26, s[28:29]
	v_add_u32_e32 v8, 1, v6
	v_add_u32_e32 v6, -1, v7
	v_min_u32_e32 v6, v8, v6
	v_lshl_add_u32 v6, v6, 3, v35
	ds_read_b64 v[6:7], v6
	v_cndmask_b32_e64 v49, v8, v47, s[28:29]
	v_cndmask_b32_e64 v53, v48, v8, s[28:29]
	v_cmp_lt_u32_e32 vcc, v49, v27
	s_mov_b64 s[30:31], -1
	s_waitcnt lgkmcnt(0)
	v_cndmask_b32_e64 v43, v7, v39, s[28:29]
	v_cndmask_b32_e64 v44, v6, v40, s[28:29]
	;; [unrolled: 1-line block ×4, first 2 shown]
	s_mov_b64 s[40:41], -1
	s_and_saveexec_b64 s[42:43], vcc
	s_cbranch_execz .LBB1483_368
; %bb.358:
	v_cmp_lt_u32_e32 vcc, v53, v26
	s_mov_b64 s[2:3], 0
	s_and_saveexec_b64 s[40:41], vcc
	s_cbranch_execz .LBB1483_367
; %bb.359:
	s_and_b64 vcc, exec, s[0:1]
	s_cbranch_vccnz .LBB1483_365
; %bb.360:
	v_mul_lo_u32 v8, v43, s36
	v_mul_lo_u32 v9, v44, s37
	v_mad_u64_u32 v[6:7], s[2:3], v44, s36, 0
	v_add3_u32 v7, v7, v9, v8
	v_mul_lo_u32 v47, v45, s36
	v_mul_lo_u32 v48, v46, s37
	v_mad_u64_u32 v[8:9], s[2:3], v46, s36, 0
	v_add3_u32 v9, v9, v48, v47
	v_lshl_add_u64 v[6:7], v[6:7], 2, s[38:39]
	v_lshl_add_u64 v[8:9], v[8:9], 2, s[38:39]
	s_mov_b64 s[44:45], 0
	s_mov_b64 s[50:51], s[36:37]
                                        ; implicit-def: $sgpr46_sgpr47
                                        ; implicit-def: $sgpr48_sgpr49
                                        ; implicit-def: $sgpr2_sgpr3
                                        ; implicit-def: $sgpr52_sgpr53
	s_branch .LBB1483_362
.LBB1483_361:                           ;   in Loop: Header=BB1483_362 Depth=1
	s_or_b64 exec, exec, s[56:57]
	s_and_b64 s[4:5], exec, s[48:49]
	s_or_b64 s[44:45], s[4:5], s[44:45]
	s_andn2_b64 s[4:5], s[52:53], exec
	s_and_b64 s[52:53], s[54:55], exec
	s_or_b64 s[52:53], s[4:5], s[52:53]
	s_andn2_b64 s[4:5], s[46:47], exec
	s_and_b64 s[46:47], s[2:3], exec
	s_or_b64 s[46:47], s[4:5], s[46:47]
	s_andn2_b64 exec, exec, s[44:45]
	s_cbranch_execz .LBB1483_364
.LBB1483_362:                           ; =>This Inner Loop Header: Depth=1
	global_load_dword v47, v[6:7], off
	global_load_dword v48, v[8:9], off
	s_andn2_b64 s[56:57], s[2:3], exec
	s_or_b64 s[48:49], s[48:49], exec
	s_waitcnt vmcnt(0)
	v_cmp_le_u32_e64 s[2:3], v47, v48
	v_cmp_lt_u32_e32 vcc, v47, v48
	s_and_b64 s[2:3], s[2:3], s[52:53]
	s_or_b64 s[54:55], vcc, s[2:3]
	s_and_b64 s[2:3], s[54:55], exec
	v_cmp_eq_u32_e64 s[4:5], v47, v48
	s_or_b64 s[2:3], s[56:57], s[2:3]
	s_and_saveexec_b64 s[56:57], s[4:5]
	s_cbranch_execz .LBB1483_361
; %bb.363:                              ;   in Loop: Header=BB1483_362 Depth=1
	s_add_u32 s50, s50, -1
	s_addc_u32 s51, s51, -1
	s_cmp_eq_u64 s[50:51], 0
	s_cselect_b64 s[4:5], -1, 0
	s_andn2_b64 s[48:49], s[48:49], exec
	s_and_b64 s[4:5], s[4:5], exec
	v_lshl_add_u64 v[6:7], v[6:7], 0, 4
	v_lshl_add_u64 v[8:9], v[8:9], 0, 4
	s_andn2_b64 s[2:3], s[2:3], exec
	s_or_b64 s[48:49], s[48:49], s[4:5]
                                        ; implicit-def: $sgpr52_sgpr53
	s_branch .LBB1483_361
.LBB1483_364:
	s_or_b64 exec, exec, s[44:45]
	s_xor_b64 s[2:3], s[46:47], -1
	s_branch .LBB1483_366
.LBB1483_365:
	s_mov_b64 s[2:3], -1
.LBB1483_366:
	s_and_b64 s[2:3], s[2:3], exec
.LBB1483_367:
	s_or_b64 exec, exec, s[40:41]
	s_orn2_b64 s[40:41], s[2:3], exec
.LBB1483_368:
	s_or_b64 exec, exec, s[42:43]
	v_cndmask_b32_e64 v6, v49, v53, s[40:41]
	v_cndmask_b32_e64 v7, v27, v26, s[40:41]
	v_add_u32_e32 v8, 1, v6
	v_add_u32_e32 v6, -1, v7
	v_min_u32_e32 v6, v8, v6
	v_lshl_add_u32 v6, v6, 3, v35
	ds_read_b64 v[6:7], v6
	v_cndmask_b32_e64 v50, v8, v49, s[40:41]
	v_cndmask_b32_e64 v49, v53, v8, s[40:41]
	v_cmp_lt_u32_e32 vcc, v50, v27
	s_waitcnt lgkmcnt(0)
	v_cndmask_b32_e64 v47, v7, v43, s[40:41]
	v_cndmask_b32_e64 v48, v6, v44, s[40:41]
	;; [unrolled: 1-line block ×4, first 2 shown]
	s_and_saveexec_b64 s[42:43], vcc
	s_cbranch_execz .LBB1483_379
; %bb.369:
	v_cmp_lt_u32_e32 vcc, v49, v26
	s_mov_b64 s[2:3], 0
	s_and_saveexec_b64 s[30:31], vcc
	s_cbranch_execz .LBB1483_378
; %bb.370:
	s_and_b64 vcc, exec, s[0:1]
	s_cbranch_vccnz .LBB1483_376
; %bb.371:
	v_mul_lo_u32 v8, v47, s36
	v_mul_lo_u32 v9, v48, s37
	v_mad_u64_u32 v[6:7], s[2:3], v48, s36, 0
	v_add3_u32 v7, v7, v9, v8
	v_mul_lo_u32 v53, v51, s36
	v_mul_lo_u32 v54, v52, s37
	v_mad_u64_u32 v[8:9], s[2:3], v52, s36, 0
	v_add3_u32 v9, v9, v54, v53
	v_lshl_add_u64 v[6:7], v[6:7], 2, s[38:39]
	v_lshl_add_u64 v[8:9], v[8:9], 2, s[38:39]
	s_mov_b64 s[44:45], 0
	s_mov_b64 s[50:51], s[36:37]
                                        ; implicit-def: $sgpr46_sgpr47
                                        ; implicit-def: $sgpr48_sgpr49
                                        ; implicit-def: $sgpr2_sgpr3
                                        ; implicit-def: $sgpr52_sgpr53
	s_branch .LBB1483_373
.LBB1483_372:                           ;   in Loop: Header=BB1483_373 Depth=1
	s_or_b64 exec, exec, s[56:57]
	s_and_b64 s[4:5], exec, s[48:49]
	s_or_b64 s[44:45], s[4:5], s[44:45]
	s_andn2_b64 s[4:5], s[52:53], exec
	s_and_b64 s[52:53], s[54:55], exec
	s_or_b64 s[52:53], s[4:5], s[52:53]
	s_andn2_b64 s[4:5], s[46:47], exec
	s_and_b64 s[46:47], s[2:3], exec
	s_or_b64 s[46:47], s[4:5], s[46:47]
	s_andn2_b64 exec, exec, s[44:45]
	s_cbranch_execz .LBB1483_375
.LBB1483_373:                           ; =>This Inner Loop Header: Depth=1
	global_load_dword v53, v[6:7], off
	global_load_dword v54, v[8:9], off
	s_andn2_b64 s[56:57], s[2:3], exec
	s_or_b64 s[48:49], s[48:49], exec
	s_waitcnt vmcnt(0)
	v_cmp_le_u32_e64 s[2:3], v53, v54
	v_cmp_lt_u32_e32 vcc, v53, v54
	s_and_b64 s[2:3], s[2:3], s[52:53]
	s_or_b64 s[54:55], vcc, s[2:3]
	s_and_b64 s[2:3], s[54:55], exec
	v_cmp_eq_u32_e64 s[4:5], v53, v54
	s_or_b64 s[2:3], s[56:57], s[2:3]
	s_and_saveexec_b64 s[56:57], s[4:5]
	s_cbranch_execz .LBB1483_372
; %bb.374:                              ;   in Loop: Header=BB1483_373 Depth=1
	s_add_u32 s50, s50, -1
	s_addc_u32 s51, s51, -1
	s_cmp_eq_u64 s[50:51], 0
	s_cselect_b64 s[4:5], -1, 0
	s_andn2_b64 s[48:49], s[48:49], exec
	s_and_b64 s[4:5], s[4:5], exec
	v_lshl_add_u64 v[6:7], v[6:7], 0, 4
	v_lshl_add_u64 v[8:9], v[8:9], 0, 4
	s_andn2_b64 s[2:3], s[2:3], exec
	s_or_b64 s[48:49], s[48:49], s[4:5]
                                        ; implicit-def: $sgpr52_sgpr53
	s_branch .LBB1483_372
.LBB1483_375:
	s_or_b64 exec, exec, s[44:45]
	s_xor_b64 s[2:3], s[46:47], -1
	s_branch .LBB1483_377
.LBB1483_376:
	s_mov_b64 s[2:3], -1
.LBB1483_377:
	s_and_b64 s[2:3], s[2:3], exec
.LBB1483_378:
	s_or_b64 exec, exec, s[30:31]
	s_orn2_b64 s[30:31], s[2:3], exec
.LBB1483_379:
	s_or_b64 exec, exec, s[42:43]
	v_cndmask_b32_e64 v11, v10, v11, s[24:25]
	v_cndmask_b32_e64 v10, v17, v23, s[24:25]
	;; [unrolled: 1-line block ×8, first 2 shown]
	v_add_u32_e32 v24, 1, v14
	v_add_u32_e32 v14, -1, v15
	v_min_u32_e32 v14, v24, v14
	v_lshl_add_u32 v14, v14, 3, v35
	ds_read_b64 v[22:23], v14
	v_cndmask_b32_e64 v25, v24, v50, s[30:31]
	v_cndmask_b32_e64 v9, v43, v45, s[40:41]
	;; [unrolled: 1-line block ×9, first 2 shown]
	s_waitcnt lgkmcnt(0)
	v_cndmask_b32_e64 v5, v51, v23, s[30:31]
	v_cndmask_b32_e64 v4, v52, v22, s[30:31]
	v_cmp_lt_u32_e32 vcc, v25, v27
	s_and_saveexec_b64 s[12:13], vcc
	s_cbranch_execz .LBB1483_389
; %bb.380:
	v_cndmask_b32_e64 v24, v49, v24, s[30:31]
	v_cndmask_b32_e64 v23, v23, v47, s[30:31]
	;; [unrolled: 1-line block ×3, first 2 shown]
	v_cmp_lt_u32_e32 vcc, v24, v26
	s_and_saveexec_b64 s[22:23], vcc
	s_cbranch_execz .LBB1483_388
; %bb.381:
	s_and_b64 vcc, exec, s[0:1]
	s_cbranch_vccnz .LBB1483_387
; %bb.382:
	v_mul_lo_u32 v26, v23, s36
	v_mul_lo_u32 v27, v22, s37
	v_mad_u64_u32 v[24:25], s[2:3], v22, s36, 0
	v_add3_u32 v25, v25, v27, v26
	v_mul_lo_u32 v39, v5, s36
	v_mul_lo_u32 v40, v4, s37
	v_mad_u64_u32 v[26:27], s[2:3], v4, s36, 0
	v_add3_u32 v27, v27, v40, v39
	v_lshl_add_u64 v[24:25], v[24:25], 2, s[38:39]
	v_lshl_add_u64 v[26:27], v[26:27], 2, s[38:39]
	s_mov_b64 s[24:25], 0
	s_mov_b64 s[30:31], s[36:37]
                                        ; implicit-def: $sgpr26_sgpr27
                                        ; implicit-def: $sgpr28_sgpr29
                                        ; implicit-def: $sgpr2_sgpr3
                                        ; implicit-def: $sgpr40_sgpr41
	s_branch .LBB1483_384
.LBB1483_383:                           ;   in Loop: Header=BB1483_384 Depth=1
	s_or_b64 exec, exec, s[44:45]
	s_and_b64 s[4:5], exec, s[28:29]
	s_or_b64 s[24:25], s[4:5], s[24:25]
	s_andn2_b64 s[4:5], s[40:41], exec
	s_and_b64 s[40:41], s[42:43], exec
	s_or_b64 s[40:41], s[4:5], s[40:41]
	s_andn2_b64 s[4:5], s[26:27], exec
	s_and_b64 s[26:27], s[2:3], exec
	s_or_b64 s[26:27], s[4:5], s[26:27]
	s_andn2_b64 exec, exec, s[24:25]
	s_cbranch_execz .LBB1483_386
.LBB1483_384:                           ; =>This Inner Loop Header: Depth=1
	global_load_dword v39, v[24:25], off
	global_load_dword v40, v[26:27], off
	s_andn2_b64 s[44:45], s[2:3], exec
	s_or_b64 s[28:29], s[28:29], exec
	s_waitcnt vmcnt(0)
	v_cmp_le_u32_e64 s[2:3], v39, v40
	v_cmp_lt_u32_e32 vcc, v39, v40
	s_and_b64 s[2:3], s[2:3], s[40:41]
	s_or_b64 s[42:43], vcc, s[2:3]
	s_and_b64 s[2:3], s[42:43], exec
	v_cmp_eq_u32_e64 s[4:5], v39, v40
	s_or_b64 s[2:3], s[44:45], s[2:3]
	s_and_saveexec_b64 s[44:45], s[4:5]
	s_cbranch_execz .LBB1483_383
; %bb.385:                              ;   in Loop: Header=BB1483_384 Depth=1
	s_add_u32 s30, s30, -1
	s_addc_u32 s31, s31, -1
	s_cmp_eq_u64 s[30:31], 0
	s_cselect_b64 s[4:5], -1, 0
	s_andn2_b64 s[28:29], s[28:29], exec
	s_and_b64 s[4:5], s[4:5], exec
	v_lshl_add_u64 v[24:25], v[24:25], 0, 4
	v_lshl_add_u64 v[26:27], v[26:27], 0, 4
	s_andn2_b64 s[2:3], s[2:3], exec
	s_or_b64 s[28:29], s[28:29], s[4:5]
                                        ; implicit-def: $sgpr40_sgpr41
	s_branch .LBB1483_383
.LBB1483_386:
	s_or_b64 exec, exec, s[24:25]
	v_cndmask_b32_e64 v5, v5, v23, s[26:27]
	v_cndmask_b32_e64 v4, v4, v22, s[26:27]
.LBB1483_387:
	v_mov_b64_e32 v[22:23], v[4:5]
.LBB1483_388:
	s_or_b64 exec, exec, s[22:23]
	v_mov_b64_e32 v[4:5], v[22:23]
.LBB1483_389:
	s_or_b64 exec, exec, s[12:13]
.LBB1483_390:
	s_or_b64 exec, exec, s[10:11]
	v_and_b32_e32 v41, 0x3c0, v37
	v_or_b32_e32 v22, 32, v41
	v_min_u32_e32 v26, v36, v22
	v_add_u32_e32 v22, 32, v26
	v_min_u32_e32 v27, v36, v22
	v_and_b32_e32 v22, 56, v37
	v_min_u32_e32 v42, v36, v22
	v_sub_u32_e32 v22, v26, v41
	v_sub_u32_e32 v23, v27, v26
	v_sub_u32_e64 v40, v42, v23 clamp
	v_min_u32_e32 v43, v42, v22
	v_lshl_add_u32 v39, v41, 3, v35
	v_cmp_lt_u32_e32 vcc, v40, v43
	; wave barrier
	ds_write_b128 v38, v[14:17]
	ds_write_b128 v38, v[10:13] offset:16
	ds_write_b128 v38, v[6:9] offset:32
	;; [unrolled: 1-line block ×3, first 2 shown]
	; wave barrier
	s_and_saveexec_b64 s[10:11], vcc
	s_cbranch_execz .LBB1483_400
; %bb.391:
	v_lshlrev_b32_e32 v22, 3, v26
	v_lshlrev_b32_e32 v23, 3, v42
	v_add3_u32 v44, v35, v22, v23
	s_lshl_b64 s[22:23], s[36:37], 2
	s_mov_b64 s[12:13], 0
	s_branch .LBB1483_394
.LBB1483_392:                           ;   in Loop: Header=BB1483_394 Depth=1
	s_or_b64 exec, exec, s[26:27]
.LBB1483_393:                           ;   in Loop: Header=BB1483_394 Depth=1
	v_add_u32_e32 v22, 1, v45
	v_cndmask_b32_e64 v43, v43, v45, s[24:25]
	v_cndmask_b32_e64 v40, v22, v40, s[24:25]
	v_cmp_ge_u32_e32 vcc, v40, v43
	s_or_b64 s[12:13], vcc, s[12:13]
	s_andn2_b64 exec, exec, s[12:13]
	s_cbranch_execz .LBB1483_399
.LBB1483_394:                           ; =>This Loop Header: Depth=1
                                        ;     Child Loop BB1483_397 Depth 2
	v_add_u32_e32 v22, v43, v40
	v_lshrrev_b32_e32 v45, 1, v22
	s_and_b64 vcc, exec, s[0:1]
	s_mov_b64 s[24:25], 0
	s_cbranch_vccnz .LBB1483_393
; %bb.395:                              ;   in Loop: Header=BB1483_394 Depth=1
	v_not_b32_e32 v22, v45
	v_lshl_add_u32 v22, v22, 3, v44
	ds_read_b64 v[22:23], v22
	v_lshl_add_u32 v46, v45, 3, v39
	ds_read_b64 v[46:47], v46
	v_mov_b64_e32 v[24:25], s[38:39]
	s_mov_b64 s[26:27], 0
	s_waitcnt lgkmcnt(1)
	v_mul_lo_u32 v48, s22, v23
	v_mul_lo_u32 v49, s23, v22
	v_mad_u64_u32 v[22:23], s[2:3], s22, v22, v[24:25]
	v_add3_u32 v23, v49, v23, v48
	s_waitcnt lgkmcnt(0)
	v_mul_lo_u32 v47, s22, v47
	v_mul_lo_u32 v48, s23, v46
	v_mad_u64_u32 v[24:25], s[2:3], s22, v46, v[24:25]
	v_add3_u32 v25, v48, v25, v47
	s_mov_b64 s[30:31], s[36:37]
                                        ; implicit-def: $sgpr24_sgpr25
                                        ; implicit-def: $sgpr28_sgpr29
                                        ; implicit-def: $sgpr2_sgpr3
                                        ; implicit-def: $sgpr40_sgpr41
	s_branch .LBB1483_397
.LBB1483_396:                           ;   in Loop: Header=BB1483_397 Depth=2
	s_or_b64 exec, exec, s[44:45]
	s_and_b64 s[4:5], exec, s[28:29]
	s_or_b64 s[26:27], s[4:5], s[26:27]
	s_andn2_b64 s[4:5], s[40:41], exec
	s_and_b64 s[40:41], s[42:43], exec
	s_or_b64 s[40:41], s[4:5], s[40:41]
	s_andn2_b64 s[4:5], s[24:25], exec
	s_and_b64 s[24:25], s[2:3], exec
	s_or_b64 s[24:25], s[4:5], s[24:25]
	s_andn2_b64 exec, exec, s[26:27]
	s_cbranch_execz .LBB1483_392
.LBB1483_397:                           ;   Parent Loop BB1483_394 Depth=1
                                        ; =>  This Inner Loop Header: Depth=2
	global_load_dword v46, v[22:23], off
	global_load_dword v47, v[24:25], off
	s_andn2_b64 s[44:45], s[2:3], exec
	s_or_b64 s[28:29], s[28:29], exec
	s_waitcnt vmcnt(0)
	v_cmp_le_u32_e64 s[2:3], v46, v47
	v_cmp_lt_u32_e32 vcc, v46, v47
	s_and_b64 s[2:3], s[2:3], s[40:41]
	s_or_b64 s[42:43], vcc, s[2:3]
	s_and_b64 s[2:3], s[42:43], exec
	v_cmp_eq_u32_e64 s[4:5], v46, v47
	s_or_b64 s[2:3], s[44:45], s[2:3]
	s_and_saveexec_b64 s[44:45], s[4:5]
	s_cbranch_execz .LBB1483_396
; %bb.398:                              ;   in Loop: Header=BB1483_397 Depth=2
	s_add_u32 s30, s30, -1
	s_addc_u32 s31, s31, -1
	s_cmp_eq_u64 s[30:31], 0
	s_cselect_b64 s[4:5], -1, 0
	s_andn2_b64 s[28:29], s[28:29], exec
	s_and_b64 s[4:5], s[4:5], exec
	v_lshl_add_u64 v[22:23], v[22:23], 0, 4
	v_lshl_add_u64 v[24:25], v[24:25], 0, 4
	s_andn2_b64 s[2:3], s[2:3], exec
	s_or_b64 s[28:29], s[28:29], s[4:5]
                                        ; implicit-def: $sgpr40_sgpr41
	s_branch .LBB1483_396
.LBB1483_399:
	s_or_b64 exec, exec, s[12:13]
.LBB1483_400:
	s_or_b64 exec, exec, s[10:11]
	v_add_u32_e32 v22, v26, v42
	v_add_u32_e32 v23, v40, v41
	v_sub_u32_e32 v24, v22, v40
	v_cmp_le_u32_e32 vcc, v23, v26
	v_cmp_le_u32_e64 s[2:3], v24, v27
	s_or_b64 s[2:3], vcc, s[2:3]
	s_and_saveexec_b64 s[10:11], s[2:3]
	s_cbranch_execz .LBB1483_491
; %bb.401:
	v_cmp_ge_u32_e32 vcc, v23, v26
	v_cmp_lt_u32_e64 s[2:3], v23, v26
                                        ; implicit-def: $vgpr2_vgpr3
	s_and_saveexec_b64 s[4:5], s[2:3]
; %bb.402:
	v_lshl_add_u32 v2, v40, 3, v39
	ds_read_b64 v[2:3], v2
; %bb.403:
	s_or_b64 exec, exec, s[4:5]
	v_cmp_ge_u32_e64 s[12:13], v24, v27
	v_cmp_lt_u32_e64 s[2:3], v24, v27
                                        ; implicit-def: $vgpr4_vgpr5
	s_and_saveexec_b64 s[4:5], s[2:3]
; %bb.404:
	v_lshl_add_u32 v4, v24, 3, v35
	ds_read_b64 v[4:5], v4
; %bb.405:
	s_or_b64 exec, exec, s[4:5]
	s_nor_b64 s[2:3], vcc, s[12:13]
	s_and_saveexec_b64 s[22:23], s[2:3]
	s_cbranch_execz .LBB1483_414
; %bb.406:
	s_and_b64 vcc, exec, s[0:1]
	s_cbranch_vccnz .LBB1483_412
; %bb.407:
	s_waitcnt lgkmcnt(0)
	v_mul_lo_u32 v8, v5, s36
	v_mul_lo_u32 v9, v4, s37
	v_mad_u64_u32 v[6:7], s[2:3], v4, s36, 0
	v_add3_u32 v7, v7, v9, v8
	v_mul_lo_u32 v10, v3, s36
	v_mul_lo_u32 v11, v2, s37
	v_mad_u64_u32 v[8:9], s[2:3], v2, s36, 0
	v_add3_u32 v9, v9, v11, v10
	v_lshl_add_u64 v[6:7], v[6:7], 2, s[38:39]
	v_lshl_add_u64 v[8:9], v[8:9], 2, s[38:39]
	s_mov_b64 s[24:25], 0
	s_mov_b64 s[30:31], s[36:37]
                                        ; implicit-def: $sgpr26_sgpr27
                                        ; implicit-def: $sgpr28_sgpr29
                                        ; implicit-def: $sgpr2_sgpr3
                                        ; implicit-def: $sgpr40_sgpr41
	s_branch .LBB1483_409
.LBB1483_408:                           ;   in Loop: Header=BB1483_409 Depth=1
	s_or_b64 exec, exec, s[44:45]
	s_and_b64 s[4:5], exec, s[28:29]
	s_or_b64 s[24:25], s[4:5], s[24:25]
	s_andn2_b64 s[4:5], s[40:41], exec
	s_and_b64 s[40:41], s[42:43], exec
	s_or_b64 s[40:41], s[4:5], s[40:41]
	s_andn2_b64 s[4:5], s[26:27], exec
	s_and_b64 s[26:27], s[2:3], exec
	s_or_b64 s[26:27], s[4:5], s[26:27]
	s_andn2_b64 exec, exec, s[24:25]
	s_cbranch_execz .LBB1483_411
.LBB1483_409:                           ; =>This Inner Loop Header: Depth=1
	global_load_dword v10, v[6:7], off
	global_load_dword v11, v[8:9], off
	s_andn2_b64 s[44:45], s[2:3], exec
	s_or_b64 s[28:29], s[28:29], exec
	s_waitcnt vmcnt(0)
	v_cmp_le_u32_e64 s[2:3], v10, v11
	v_cmp_lt_u32_e32 vcc, v10, v11
	s_and_b64 s[2:3], s[2:3], s[40:41]
	s_or_b64 s[42:43], vcc, s[2:3]
	s_and_b64 s[2:3], s[42:43], exec
	v_cmp_eq_u32_e64 s[4:5], v10, v11
	s_or_b64 s[2:3], s[44:45], s[2:3]
	s_and_saveexec_b64 s[44:45], s[4:5]
	s_cbranch_execz .LBB1483_408
; %bb.410:                              ;   in Loop: Header=BB1483_409 Depth=1
	s_add_u32 s30, s30, -1
	s_addc_u32 s31, s31, -1
	s_cmp_eq_u64 s[30:31], 0
	s_cselect_b64 s[4:5], -1, 0
	s_andn2_b64 s[28:29], s[28:29], exec
	s_and_b64 s[4:5], s[4:5], exec
	v_lshl_add_u64 v[6:7], v[6:7], 0, 4
	v_lshl_add_u64 v[8:9], v[8:9], 0, 4
	s_andn2_b64 s[2:3], s[2:3], exec
	s_or_b64 s[28:29], s[28:29], s[4:5]
                                        ; implicit-def: $sgpr40_sgpr41
	s_branch .LBB1483_408
.LBB1483_411:
	s_or_b64 exec, exec, s[24:25]
	s_xor_b64 s[2:3], s[26:27], -1
	s_branch .LBB1483_413
.LBB1483_412:
	s_mov_b64 s[2:3], -1
.LBB1483_413:
	s_andn2_b64 s[4:5], s[12:13], exec
	s_and_b64 s[2:3], s[2:3], exec
	s_or_b64 s[12:13], s[4:5], s[2:3]
.LBB1483_414:
	s_or_b64 exec, exec, s[22:23]
	v_cndmask_b32_e64 v6, v24, v23, s[12:13]
	v_cndmask_b32_e64 v7, v27, v26, s[12:13]
	v_add_u32_e32 v8, 1, v6
	v_add_u32_e32 v6, -1, v7
	v_min_u32_e32 v6, v8, v6
	v_lshl_add_u32 v6, v6, 3, v35
	ds_read_b64 v[6:7], v6
	v_cndmask_b32_e64 v12, v8, v24, s[12:13]
	v_cndmask_b32_e64 v13, v23, v8, s[12:13]
	v_cmp_lt_u32_e32 vcc, v12, v27
	s_mov_b64 s[24:25], -1
	s_waitcnt lgkmcnt(0)
	v_cndmask_b32_e64 v14, v7, v5, s[12:13]
	v_cndmask_b32_e64 v15, v6, v4, s[12:13]
	;; [unrolled: 1-line block ×4, first 2 shown]
	s_mov_b64 s[22:23], -1
	s_and_saveexec_b64 s[26:27], vcc
	s_cbranch_execz .LBB1483_425
; %bb.415:
	v_cmp_lt_u32_e32 vcc, v13, v26
	s_mov_b64 s[2:3], 0
	s_and_saveexec_b64 s[22:23], vcc
	s_cbranch_execz .LBB1483_424
; %bb.416:
	s_and_b64 vcc, exec, s[0:1]
	s_cbranch_vccnz .LBB1483_422
; %bb.417:
	v_mul_lo_u32 v8, v14, s36
	v_mul_lo_u32 v9, v15, s37
	v_mad_u64_u32 v[6:7], s[2:3], v15, s36, 0
	v_add3_u32 v7, v7, v9, v8
	v_mul_lo_u32 v10, v16, s36
	v_mul_lo_u32 v11, v22, s37
	v_mad_u64_u32 v[8:9], s[2:3], v22, s36, 0
	v_add3_u32 v9, v9, v11, v10
	v_lshl_add_u64 v[6:7], v[6:7], 2, s[38:39]
	v_lshl_add_u64 v[8:9], v[8:9], 2, s[38:39]
	s_mov_b64 s[28:29], 0
	s_mov_b64 s[42:43], s[36:37]
                                        ; implicit-def: $sgpr30_sgpr31
                                        ; implicit-def: $sgpr40_sgpr41
                                        ; implicit-def: $sgpr2_sgpr3
                                        ; implicit-def: $sgpr44_sgpr45
	s_branch .LBB1483_419
.LBB1483_418:                           ;   in Loop: Header=BB1483_419 Depth=1
	s_or_b64 exec, exec, s[48:49]
	s_and_b64 s[4:5], exec, s[40:41]
	s_or_b64 s[28:29], s[4:5], s[28:29]
	s_andn2_b64 s[4:5], s[44:45], exec
	s_and_b64 s[44:45], s[46:47], exec
	s_or_b64 s[44:45], s[4:5], s[44:45]
	s_andn2_b64 s[4:5], s[30:31], exec
	s_and_b64 s[30:31], s[2:3], exec
	s_or_b64 s[30:31], s[4:5], s[30:31]
	s_andn2_b64 exec, exec, s[28:29]
	s_cbranch_execz .LBB1483_421
.LBB1483_419:                           ; =>This Inner Loop Header: Depth=1
	global_load_dword v10, v[6:7], off
	global_load_dword v11, v[8:9], off
	s_andn2_b64 s[48:49], s[2:3], exec
	s_or_b64 s[40:41], s[40:41], exec
	s_waitcnt vmcnt(0)
	v_cmp_le_u32_e64 s[2:3], v10, v11
	v_cmp_lt_u32_e32 vcc, v10, v11
	s_and_b64 s[2:3], s[2:3], s[44:45]
	s_or_b64 s[46:47], vcc, s[2:3]
	s_and_b64 s[2:3], s[46:47], exec
	v_cmp_eq_u32_e64 s[4:5], v10, v11
	s_or_b64 s[2:3], s[48:49], s[2:3]
	s_and_saveexec_b64 s[48:49], s[4:5]
	s_cbranch_execz .LBB1483_418
; %bb.420:                              ;   in Loop: Header=BB1483_419 Depth=1
	s_add_u32 s42, s42, -1
	s_addc_u32 s43, s43, -1
	s_cmp_eq_u64 s[42:43], 0
	s_cselect_b64 s[4:5], -1, 0
	s_andn2_b64 s[40:41], s[40:41], exec
	s_and_b64 s[4:5], s[4:5], exec
	v_lshl_add_u64 v[6:7], v[6:7], 0, 4
	v_lshl_add_u64 v[8:9], v[8:9], 0, 4
	s_andn2_b64 s[2:3], s[2:3], exec
	s_or_b64 s[40:41], s[40:41], s[4:5]
                                        ; implicit-def: $sgpr44_sgpr45
	s_branch .LBB1483_418
.LBB1483_421:
	s_or_b64 exec, exec, s[28:29]
	s_xor_b64 s[2:3], s[30:31], -1
	s_branch .LBB1483_423
.LBB1483_422:
	s_mov_b64 s[2:3], -1
.LBB1483_423:
	s_and_b64 s[2:3], s[2:3], exec
.LBB1483_424:
	s_or_b64 exec, exec, s[22:23]
	s_orn2_b64 s[22:23], s[2:3], exec
.LBB1483_425:
	s_or_b64 exec, exec, s[26:27]
	v_cndmask_b32_e64 v6, v12, v13, s[22:23]
	v_cndmask_b32_e64 v7, v27, v26, s[22:23]
	v_add_u32_e32 v8, 1, v6
	v_add_u32_e32 v6, -1, v7
	v_min_u32_e32 v6, v8, v6
	v_lshl_add_u32 v6, v6, 3, v35
	ds_read_b64 v[6:7], v6
	v_cndmask_b32_e64 v39, v8, v12, s[22:23]
	v_cndmask_b32_e64 v40, v13, v8, s[22:23]
	v_cmp_lt_u32_e32 vcc, v39, v27
	s_waitcnt lgkmcnt(0)
	v_cndmask_b32_e64 v10, v7, v14, s[22:23]
	v_cndmask_b32_e64 v17, v6, v15, s[22:23]
	v_cndmask_b32_e64 v11, v16, v7, s[22:23]
	v_cndmask_b32_e64 v23, v22, v6, s[22:23]
	s_and_saveexec_b64 s[26:27], vcc
	s_cbranch_execz .LBB1483_436
; %bb.426:
	v_cmp_lt_u32_e32 vcc, v40, v26
	s_mov_b64 s[2:3], 0
	s_and_saveexec_b64 s[24:25], vcc
	s_cbranch_execz .LBB1483_435
; %bb.427:
	s_and_b64 vcc, exec, s[0:1]
	s_cbranch_vccnz .LBB1483_433
; %bb.428:
	v_mul_lo_u32 v8, v10, s36
	v_mul_lo_u32 v9, v17, s37
	v_mad_u64_u32 v[6:7], s[2:3], v17, s36, 0
	v_add3_u32 v7, v7, v9, v8
	v_mul_lo_u32 v12, v11, s36
	v_mul_lo_u32 v13, v23, s37
	v_mad_u64_u32 v[8:9], s[2:3], v23, s36, 0
	v_add3_u32 v9, v9, v13, v12
	v_lshl_add_u64 v[6:7], v[6:7], 2, s[38:39]
	v_lshl_add_u64 v[8:9], v[8:9], 2, s[38:39]
	s_mov_b64 s[28:29], 0
	s_mov_b64 s[42:43], s[36:37]
                                        ; implicit-def: $sgpr30_sgpr31
                                        ; implicit-def: $sgpr40_sgpr41
                                        ; implicit-def: $sgpr2_sgpr3
                                        ; implicit-def: $sgpr44_sgpr45
	s_branch .LBB1483_430
.LBB1483_429:                           ;   in Loop: Header=BB1483_430 Depth=1
	s_or_b64 exec, exec, s[48:49]
	s_and_b64 s[4:5], exec, s[40:41]
	s_or_b64 s[28:29], s[4:5], s[28:29]
	s_andn2_b64 s[4:5], s[44:45], exec
	s_and_b64 s[44:45], s[46:47], exec
	s_or_b64 s[44:45], s[4:5], s[44:45]
	s_andn2_b64 s[4:5], s[30:31], exec
	s_and_b64 s[30:31], s[2:3], exec
	s_or_b64 s[30:31], s[4:5], s[30:31]
	s_andn2_b64 exec, exec, s[28:29]
	s_cbranch_execz .LBB1483_432
.LBB1483_430:                           ; =>This Inner Loop Header: Depth=1
	global_load_dword v12, v[6:7], off
	global_load_dword v13, v[8:9], off
	s_andn2_b64 s[48:49], s[2:3], exec
	s_or_b64 s[40:41], s[40:41], exec
	s_waitcnt vmcnt(0)
	v_cmp_le_u32_e64 s[2:3], v12, v13
	v_cmp_lt_u32_e32 vcc, v12, v13
	s_and_b64 s[2:3], s[2:3], s[44:45]
	s_or_b64 s[46:47], vcc, s[2:3]
	s_and_b64 s[2:3], s[46:47], exec
	v_cmp_eq_u32_e64 s[4:5], v12, v13
	s_or_b64 s[2:3], s[48:49], s[2:3]
	s_and_saveexec_b64 s[48:49], s[4:5]
	s_cbranch_execz .LBB1483_429
; %bb.431:                              ;   in Loop: Header=BB1483_430 Depth=1
	s_add_u32 s42, s42, -1
	s_addc_u32 s43, s43, -1
	s_cmp_eq_u64 s[42:43], 0
	s_cselect_b64 s[4:5], -1, 0
	s_andn2_b64 s[40:41], s[40:41], exec
	s_and_b64 s[4:5], s[4:5], exec
	v_lshl_add_u64 v[6:7], v[6:7], 0, 4
	v_lshl_add_u64 v[8:9], v[8:9], 0, 4
	s_andn2_b64 s[2:3], s[2:3], exec
	s_or_b64 s[40:41], s[40:41], s[4:5]
                                        ; implicit-def: $sgpr44_sgpr45
	s_branch .LBB1483_429
.LBB1483_432:
	s_or_b64 exec, exec, s[28:29]
	s_xor_b64 s[2:3], s[30:31], -1
	s_branch .LBB1483_434
.LBB1483_433:
	s_mov_b64 s[2:3], -1
.LBB1483_434:
	s_and_b64 s[2:3], s[2:3], exec
.LBB1483_435:
	s_or_b64 exec, exec, s[24:25]
	s_orn2_b64 s[24:25], s[2:3], exec
.LBB1483_436:
	s_or_b64 exec, exec, s[26:27]
	v_cndmask_b32_e64 v6, v39, v40, s[24:25]
	v_cndmask_b32_e64 v7, v27, v26, s[24:25]
	v_add_u32_e32 v8, 1, v6
	v_add_u32_e32 v6, -1, v7
	v_min_u32_e32 v6, v8, v6
	v_lshl_add_u32 v6, v6, 3, v35
	ds_read_b64 v[6:7], v6
	v_cndmask_b32_e64 v43, v8, v39, s[24:25]
	v_cndmask_b32_e64 v44, v40, v8, s[24:25]
	v_cmp_lt_u32_e32 vcc, v43, v27
	s_mov_b64 s[28:29], -1
	s_waitcnt lgkmcnt(0)
	v_cndmask_b32_e64 v12, v7, v10, s[24:25]
	v_cndmask_b32_e64 v24, v6, v17, s[24:25]
	;; [unrolled: 1-line block ×4, first 2 shown]
	s_mov_b64 s[26:27], -1
	s_and_saveexec_b64 s[30:31], vcc
	s_cbranch_execz .LBB1483_447
; %bb.437:
	v_cmp_lt_u32_e32 vcc, v44, v26
	s_mov_b64 s[2:3], 0
	s_and_saveexec_b64 s[26:27], vcc
	s_cbranch_execz .LBB1483_446
; %bb.438:
	s_and_b64 vcc, exec, s[0:1]
	s_cbranch_vccnz .LBB1483_444
; %bb.439:
	v_mul_lo_u32 v8, v12, s36
	v_mul_lo_u32 v9, v24, s37
	v_mad_u64_u32 v[6:7], s[2:3], v24, s36, 0
	v_add3_u32 v7, v7, v9, v8
	v_mul_lo_u32 v39, v13, s36
	v_mul_lo_u32 v40, v25, s37
	v_mad_u64_u32 v[8:9], s[2:3], v25, s36, 0
	v_add3_u32 v9, v9, v40, v39
	v_lshl_add_u64 v[6:7], v[6:7], 2, s[38:39]
	v_lshl_add_u64 v[8:9], v[8:9], 2, s[38:39]
	s_mov_b64 s[40:41], 0
	s_mov_b64 s[46:47], s[36:37]
                                        ; implicit-def: $sgpr42_sgpr43
                                        ; implicit-def: $sgpr44_sgpr45
                                        ; implicit-def: $sgpr2_sgpr3
                                        ; implicit-def: $sgpr48_sgpr49
	s_branch .LBB1483_441
.LBB1483_440:                           ;   in Loop: Header=BB1483_441 Depth=1
	s_or_b64 exec, exec, s[52:53]
	s_and_b64 s[4:5], exec, s[44:45]
	s_or_b64 s[40:41], s[4:5], s[40:41]
	s_andn2_b64 s[4:5], s[48:49], exec
	s_and_b64 s[48:49], s[50:51], exec
	s_or_b64 s[48:49], s[4:5], s[48:49]
	s_andn2_b64 s[4:5], s[42:43], exec
	s_and_b64 s[42:43], s[2:3], exec
	s_or_b64 s[42:43], s[4:5], s[42:43]
	s_andn2_b64 exec, exec, s[40:41]
	s_cbranch_execz .LBB1483_443
.LBB1483_441:                           ; =>This Inner Loop Header: Depth=1
	global_load_dword v39, v[6:7], off
	global_load_dword v40, v[8:9], off
	s_andn2_b64 s[52:53], s[2:3], exec
	s_or_b64 s[44:45], s[44:45], exec
	s_waitcnt vmcnt(0)
	v_cmp_le_u32_e64 s[2:3], v39, v40
	v_cmp_lt_u32_e32 vcc, v39, v40
	s_and_b64 s[2:3], s[2:3], s[48:49]
	s_or_b64 s[50:51], vcc, s[2:3]
	s_and_b64 s[2:3], s[50:51], exec
	v_cmp_eq_u32_e64 s[4:5], v39, v40
	s_or_b64 s[2:3], s[52:53], s[2:3]
	s_and_saveexec_b64 s[52:53], s[4:5]
	s_cbranch_execz .LBB1483_440
; %bb.442:                              ;   in Loop: Header=BB1483_441 Depth=1
	s_add_u32 s46, s46, -1
	s_addc_u32 s47, s47, -1
	s_cmp_eq_u64 s[46:47], 0
	s_cselect_b64 s[4:5], -1, 0
	s_andn2_b64 s[44:45], s[44:45], exec
	s_and_b64 s[4:5], s[4:5], exec
	v_lshl_add_u64 v[6:7], v[6:7], 0, 4
	v_lshl_add_u64 v[8:9], v[8:9], 0, 4
	s_andn2_b64 s[2:3], s[2:3], exec
	s_or_b64 s[44:45], s[44:45], s[4:5]
                                        ; implicit-def: $sgpr48_sgpr49
	s_branch .LBB1483_440
.LBB1483_443:
	s_or_b64 exec, exec, s[40:41]
	s_xor_b64 s[2:3], s[42:43], -1
	s_branch .LBB1483_445
.LBB1483_444:
	s_mov_b64 s[2:3], -1
.LBB1483_445:
	s_and_b64 s[2:3], s[2:3], exec
.LBB1483_446:
	s_or_b64 exec, exec, s[26:27]
	s_orn2_b64 s[26:27], s[2:3], exec
.LBB1483_447:
	s_or_b64 exec, exec, s[30:31]
	v_cndmask_b32_e64 v6, v43, v44, s[26:27]
	v_cndmask_b32_e64 v7, v27, v26, s[26:27]
	v_add_u32_e32 v8, 1, v6
	v_add_u32_e32 v6, -1, v7
	v_min_u32_e32 v6, v8, v6
	v_lshl_add_u32 v6, v6, 3, v35
	ds_read_b64 v[6:7], v6
	v_cndmask_b32_e64 v47, v8, v43, s[26:27]
	v_cndmask_b32_e64 v48, v44, v8, s[26:27]
	v_cmp_lt_u32_e32 vcc, v47, v27
	s_waitcnt lgkmcnt(0)
	v_cndmask_b32_e64 v39, v7, v12, s[26:27]
	v_cndmask_b32_e64 v40, v6, v24, s[26:27]
	;; [unrolled: 1-line block ×4, first 2 shown]
	s_and_saveexec_b64 s[30:31], vcc
	s_cbranch_execz .LBB1483_458
; %bb.448:
	v_cmp_lt_u32_e32 vcc, v48, v26
	s_mov_b64 s[2:3], 0
	s_and_saveexec_b64 s[28:29], vcc
	s_cbranch_execz .LBB1483_457
; %bb.449:
	s_and_b64 vcc, exec, s[0:1]
	s_cbranch_vccnz .LBB1483_455
; %bb.450:
	v_mul_lo_u32 v8, v39, s36
	v_mul_lo_u32 v9, v40, s37
	v_mad_u64_u32 v[6:7], s[2:3], v40, s36, 0
	v_add3_u32 v7, v7, v9, v8
	v_mul_lo_u32 v43, v41, s36
	v_mul_lo_u32 v44, v42, s37
	v_mad_u64_u32 v[8:9], s[2:3], v42, s36, 0
	v_add3_u32 v9, v9, v44, v43
	v_lshl_add_u64 v[6:7], v[6:7], 2, s[38:39]
	v_lshl_add_u64 v[8:9], v[8:9], 2, s[38:39]
	s_mov_b64 s[40:41], 0
	s_mov_b64 s[46:47], s[36:37]
                                        ; implicit-def: $sgpr42_sgpr43
                                        ; implicit-def: $sgpr44_sgpr45
                                        ; implicit-def: $sgpr2_sgpr3
                                        ; implicit-def: $sgpr48_sgpr49
	s_branch .LBB1483_452
.LBB1483_451:                           ;   in Loop: Header=BB1483_452 Depth=1
	s_or_b64 exec, exec, s[52:53]
	s_and_b64 s[4:5], exec, s[44:45]
	s_or_b64 s[40:41], s[4:5], s[40:41]
	s_andn2_b64 s[4:5], s[48:49], exec
	s_and_b64 s[48:49], s[50:51], exec
	s_or_b64 s[48:49], s[4:5], s[48:49]
	s_andn2_b64 s[4:5], s[42:43], exec
	s_and_b64 s[42:43], s[2:3], exec
	s_or_b64 s[42:43], s[4:5], s[42:43]
	s_andn2_b64 exec, exec, s[40:41]
	s_cbranch_execz .LBB1483_454
.LBB1483_452:                           ; =>This Inner Loop Header: Depth=1
	global_load_dword v43, v[6:7], off
	global_load_dword v44, v[8:9], off
	s_andn2_b64 s[52:53], s[2:3], exec
	s_or_b64 s[44:45], s[44:45], exec
	s_waitcnt vmcnt(0)
	v_cmp_le_u32_e64 s[2:3], v43, v44
	v_cmp_lt_u32_e32 vcc, v43, v44
	s_and_b64 s[2:3], s[2:3], s[48:49]
	s_or_b64 s[50:51], vcc, s[2:3]
	s_and_b64 s[2:3], s[50:51], exec
	v_cmp_eq_u32_e64 s[4:5], v43, v44
	s_or_b64 s[2:3], s[52:53], s[2:3]
	s_and_saveexec_b64 s[52:53], s[4:5]
	s_cbranch_execz .LBB1483_451
; %bb.453:                              ;   in Loop: Header=BB1483_452 Depth=1
	s_add_u32 s46, s46, -1
	s_addc_u32 s47, s47, -1
	s_cmp_eq_u64 s[46:47], 0
	s_cselect_b64 s[4:5], -1, 0
	s_andn2_b64 s[44:45], s[44:45], exec
	s_and_b64 s[4:5], s[4:5], exec
	v_lshl_add_u64 v[6:7], v[6:7], 0, 4
	v_lshl_add_u64 v[8:9], v[8:9], 0, 4
	s_andn2_b64 s[2:3], s[2:3], exec
	s_or_b64 s[44:45], s[44:45], s[4:5]
                                        ; implicit-def: $sgpr48_sgpr49
	s_branch .LBB1483_451
.LBB1483_454:
	s_or_b64 exec, exec, s[40:41]
	s_xor_b64 s[2:3], s[42:43], -1
	s_branch .LBB1483_456
.LBB1483_455:
	s_mov_b64 s[2:3], -1
.LBB1483_456:
	s_and_b64 s[2:3], s[2:3], exec
.LBB1483_457:
	s_or_b64 exec, exec, s[28:29]
	s_orn2_b64 s[28:29], s[2:3], exec
.LBB1483_458:
	s_or_b64 exec, exec, s[30:31]
	v_cndmask_b32_e64 v6, v47, v48, s[28:29]
	v_cndmask_b32_e64 v7, v27, v26, s[28:29]
	v_add_u32_e32 v8, 1, v6
	v_add_u32_e32 v6, -1, v7
	v_min_u32_e32 v6, v8, v6
	v_lshl_add_u32 v6, v6, 3, v35
	ds_read_b64 v[6:7], v6
	v_cndmask_b32_e64 v49, v8, v47, s[28:29]
	v_cndmask_b32_e64 v53, v48, v8, s[28:29]
	v_cmp_lt_u32_e32 vcc, v49, v27
	s_mov_b64 s[30:31], -1
	s_waitcnt lgkmcnt(0)
	v_cndmask_b32_e64 v43, v7, v39, s[28:29]
	v_cndmask_b32_e64 v44, v6, v40, s[28:29]
	;; [unrolled: 1-line block ×4, first 2 shown]
	s_mov_b64 s[40:41], -1
	s_and_saveexec_b64 s[42:43], vcc
	s_cbranch_execz .LBB1483_469
; %bb.459:
	v_cmp_lt_u32_e32 vcc, v53, v26
	s_mov_b64 s[2:3], 0
	s_and_saveexec_b64 s[40:41], vcc
	s_cbranch_execz .LBB1483_468
; %bb.460:
	s_and_b64 vcc, exec, s[0:1]
	s_cbranch_vccnz .LBB1483_466
; %bb.461:
	v_mul_lo_u32 v8, v43, s36
	v_mul_lo_u32 v9, v44, s37
	v_mad_u64_u32 v[6:7], s[2:3], v44, s36, 0
	v_add3_u32 v7, v7, v9, v8
	v_mul_lo_u32 v47, v45, s36
	v_mul_lo_u32 v48, v46, s37
	v_mad_u64_u32 v[8:9], s[2:3], v46, s36, 0
	v_add3_u32 v9, v9, v48, v47
	v_lshl_add_u64 v[6:7], v[6:7], 2, s[38:39]
	v_lshl_add_u64 v[8:9], v[8:9], 2, s[38:39]
	s_mov_b64 s[44:45], 0
	s_mov_b64 s[50:51], s[36:37]
                                        ; implicit-def: $sgpr46_sgpr47
                                        ; implicit-def: $sgpr48_sgpr49
                                        ; implicit-def: $sgpr2_sgpr3
                                        ; implicit-def: $sgpr52_sgpr53
	s_branch .LBB1483_463
.LBB1483_462:                           ;   in Loop: Header=BB1483_463 Depth=1
	s_or_b64 exec, exec, s[56:57]
	s_and_b64 s[4:5], exec, s[48:49]
	s_or_b64 s[44:45], s[4:5], s[44:45]
	s_andn2_b64 s[4:5], s[52:53], exec
	s_and_b64 s[52:53], s[54:55], exec
	s_or_b64 s[52:53], s[4:5], s[52:53]
	s_andn2_b64 s[4:5], s[46:47], exec
	s_and_b64 s[46:47], s[2:3], exec
	s_or_b64 s[46:47], s[4:5], s[46:47]
	s_andn2_b64 exec, exec, s[44:45]
	s_cbranch_execz .LBB1483_465
.LBB1483_463:                           ; =>This Inner Loop Header: Depth=1
	global_load_dword v47, v[6:7], off
	global_load_dword v48, v[8:9], off
	s_andn2_b64 s[56:57], s[2:3], exec
	s_or_b64 s[48:49], s[48:49], exec
	s_waitcnt vmcnt(0)
	v_cmp_le_u32_e64 s[2:3], v47, v48
	v_cmp_lt_u32_e32 vcc, v47, v48
	s_and_b64 s[2:3], s[2:3], s[52:53]
	s_or_b64 s[54:55], vcc, s[2:3]
	s_and_b64 s[2:3], s[54:55], exec
	v_cmp_eq_u32_e64 s[4:5], v47, v48
	s_or_b64 s[2:3], s[56:57], s[2:3]
	s_and_saveexec_b64 s[56:57], s[4:5]
	s_cbranch_execz .LBB1483_462
; %bb.464:                              ;   in Loop: Header=BB1483_463 Depth=1
	s_add_u32 s50, s50, -1
	s_addc_u32 s51, s51, -1
	s_cmp_eq_u64 s[50:51], 0
	s_cselect_b64 s[4:5], -1, 0
	s_andn2_b64 s[48:49], s[48:49], exec
	s_and_b64 s[4:5], s[4:5], exec
	v_lshl_add_u64 v[6:7], v[6:7], 0, 4
	v_lshl_add_u64 v[8:9], v[8:9], 0, 4
	s_andn2_b64 s[2:3], s[2:3], exec
	s_or_b64 s[48:49], s[48:49], s[4:5]
                                        ; implicit-def: $sgpr52_sgpr53
	s_branch .LBB1483_462
.LBB1483_465:
	s_or_b64 exec, exec, s[44:45]
	s_xor_b64 s[2:3], s[46:47], -1
	s_branch .LBB1483_467
.LBB1483_466:
	s_mov_b64 s[2:3], -1
.LBB1483_467:
	s_and_b64 s[2:3], s[2:3], exec
.LBB1483_468:
	s_or_b64 exec, exec, s[40:41]
	s_orn2_b64 s[40:41], s[2:3], exec
.LBB1483_469:
	s_or_b64 exec, exec, s[42:43]
	v_cndmask_b32_e64 v6, v49, v53, s[40:41]
	v_cndmask_b32_e64 v7, v27, v26, s[40:41]
	v_add_u32_e32 v8, 1, v6
	v_add_u32_e32 v6, -1, v7
	v_min_u32_e32 v6, v8, v6
	v_lshl_add_u32 v6, v6, 3, v35
	ds_read_b64 v[6:7], v6
	v_cndmask_b32_e64 v50, v8, v49, s[40:41]
	v_cndmask_b32_e64 v49, v53, v8, s[40:41]
	v_cmp_lt_u32_e32 vcc, v50, v27
	s_waitcnt lgkmcnt(0)
	v_cndmask_b32_e64 v47, v7, v43, s[40:41]
	v_cndmask_b32_e64 v48, v6, v44, s[40:41]
	;; [unrolled: 1-line block ×4, first 2 shown]
	s_and_saveexec_b64 s[42:43], vcc
	s_cbranch_execz .LBB1483_480
; %bb.470:
	v_cmp_lt_u32_e32 vcc, v49, v26
	s_mov_b64 s[2:3], 0
	s_and_saveexec_b64 s[30:31], vcc
	s_cbranch_execz .LBB1483_479
; %bb.471:
	s_and_b64 vcc, exec, s[0:1]
	s_cbranch_vccnz .LBB1483_477
; %bb.472:
	v_mul_lo_u32 v8, v47, s36
	v_mul_lo_u32 v9, v48, s37
	v_mad_u64_u32 v[6:7], s[2:3], v48, s36, 0
	v_add3_u32 v7, v7, v9, v8
	v_mul_lo_u32 v53, v51, s36
	v_mul_lo_u32 v54, v52, s37
	v_mad_u64_u32 v[8:9], s[2:3], v52, s36, 0
	v_add3_u32 v9, v9, v54, v53
	v_lshl_add_u64 v[6:7], v[6:7], 2, s[38:39]
	v_lshl_add_u64 v[8:9], v[8:9], 2, s[38:39]
	s_mov_b64 s[44:45], 0
	s_mov_b64 s[50:51], s[36:37]
                                        ; implicit-def: $sgpr46_sgpr47
                                        ; implicit-def: $sgpr48_sgpr49
                                        ; implicit-def: $sgpr2_sgpr3
                                        ; implicit-def: $sgpr52_sgpr53
	s_branch .LBB1483_474
.LBB1483_473:                           ;   in Loop: Header=BB1483_474 Depth=1
	s_or_b64 exec, exec, s[56:57]
	s_and_b64 s[4:5], exec, s[48:49]
	s_or_b64 s[44:45], s[4:5], s[44:45]
	s_andn2_b64 s[4:5], s[52:53], exec
	s_and_b64 s[52:53], s[54:55], exec
	s_or_b64 s[52:53], s[4:5], s[52:53]
	s_andn2_b64 s[4:5], s[46:47], exec
	s_and_b64 s[46:47], s[2:3], exec
	s_or_b64 s[46:47], s[4:5], s[46:47]
	s_andn2_b64 exec, exec, s[44:45]
	s_cbranch_execz .LBB1483_476
.LBB1483_474:                           ; =>This Inner Loop Header: Depth=1
	global_load_dword v53, v[6:7], off
	global_load_dword v54, v[8:9], off
	s_andn2_b64 s[56:57], s[2:3], exec
	s_or_b64 s[48:49], s[48:49], exec
	s_waitcnt vmcnt(0)
	v_cmp_le_u32_e64 s[2:3], v53, v54
	v_cmp_lt_u32_e32 vcc, v53, v54
	s_and_b64 s[2:3], s[2:3], s[52:53]
	s_or_b64 s[54:55], vcc, s[2:3]
	s_and_b64 s[2:3], s[54:55], exec
	v_cmp_eq_u32_e64 s[4:5], v53, v54
	s_or_b64 s[2:3], s[56:57], s[2:3]
	s_and_saveexec_b64 s[56:57], s[4:5]
	s_cbranch_execz .LBB1483_473
; %bb.475:                              ;   in Loop: Header=BB1483_474 Depth=1
	s_add_u32 s50, s50, -1
	s_addc_u32 s51, s51, -1
	s_cmp_eq_u64 s[50:51], 0
	s_cselect_b64 s[4:5], -1, 0
	s_andn2_b64 s[48:49], s[48:49], exec
	s_and_b64 s[4:5], s[4:5], exec
	v_lshl_add_u64 v[6:7], v[6:7], 0, 4
	v_lshl_add_u64 v[8:9], v[8:9], 0, 4
	s_andn2_b64 s[2:3], s[2:3], exec
	s_or_b64 s[48:49], s[48:49], s[4:5]
                                        ; implicit-def: $sgpr52_sgpr53
	s_branch .LBB1483_473
.LBB1483_476:
	s_or_b64 exec, exec, s[44:45]
	s_xor_b64 s[2:3], s[46:47], -1
	s_branch .LBB1483_478
.LBB1483_477:
	s_mov_b64 s[2:3], -1
.LBB1483_478:
	s_and_b64 s[2:3], s[2:3], exec
.LBB1483_479:
	s_or_b64 exec, exec, s[30:31]
	s_orn2_b64 s[30:31], s[2:3], exec
.LBB1483_480:
	s_or_b64 exec, exec, s[42:43]
	v_cndmask_b32_e64 v11, v10, v11, s[24:25]
	v_cndmask_b32_e64 v10, v17, v23, s[24:25]
	;; [unrolled: 1-line block ×8, first 2 shown]
	v_add_u32_e32 v24, 1, v14
	v_add_u32_e32 v14, -1, v15
	v_min_u32_e32 v14, v24, v14
	v_lshl_add_u32 v14, v14, 3, v35
	ds_read_b64 v[22:23], v14
	v_cndmask_b32_e64 v25, v24, v50, s[30:31]
	v_cndmask_b32_e64 v9, v43, v45, s[40:41]
	;; [unrolled: 1-line block ×9, first 2 shown]
	s_waitcnt lgkmcnt(0)
	v_cndmask_b32_e64 v5, v51, v23, s[30:31]
	v_cndmask_b32_e64 v4, v52, v22, s[30:31]
	v_cmp_lt_u32_e32 vcc, v25, v27
	s_and_saveexec_b64 s[12:13], vcc
	s_cbranch_execz .LBB1483_490
; %bb.481:
	v_cndmask_b32_e64 v24, v49, v24, s[30:31]
	v_cndmask_b32_e64 v23, v23, v47, s[30:31]
	;; [unrolled: 1-line block ×3, first 2 shown]
	v_cmp_lt_u32_e32 vcc, v24, v26
	s_and_saveexec_b64 s[22:23], vcc
	s_cbranch_execz .LBB1483_489
; %bb.482:
	s_and_b64 vcc, exec, s[0:1]
	s_cbranch_vccnz .LBB1483_488
; %bb.483:
	v_mul_lo_u32 v26, v23, s36
	v_mul_lo_u32 v27, v22, s37
	v_mad_u64_u32 v[24:25], s[2:3], v22, s36, 0
	v_add3_u32 v25, v25, v27, v26
	v_mul_lo_u32 v39, v5, s36
	v_mul_lo_u32 v40, v4, s37
	v_mad_u64_u32 v[26:27], s[2:3], v4, s36, 0
	v_add3_u32 v27, v27, v40, v39
	v_lshl_add_u64 v[24:25], v[24:25], 2, s[38:39]
	v_lshl_add_u64 v[26:27], v[26:27], 2, s[38:39]
	s_mov_b64 s[24:25], 0
	s_mov_b64 s[30:31], s[36:37]
                                        ; implicit-def: $sgpr26_sgpr27
                                        ; implicit-def: $sgpr28_sgpr29
                                        ; implicit-def: $sgpr2_sgpr3
                                        ; implicit-def: $sgpr40_sgpr41
	s_branch .LBB1483_485
.LBB1483_484:                           ;   in Loop: Header=BB1483_485 Depth=1
	s_or_b64 exec, exec, s[44:45]
	s_and_b64 s[4:5], exec, s[28:29]
	s_or_b64 s[24:25], s[4:5], s[24:25]
	s_andn2_b64 s[4:5], s[40:41], exec
	s_and_b64 s[40:41], s[42:43], exec
	s_or_b64 s[40:41], s[4:5], s[40:41]
	s_andn2_b64 s[4:5], s[26:27], exec
	s_and_b64 s[26:27], s[2:3], exec
	s_or_b64 s[26:27], s[4:5], s[26:27]
	s_andn2_b64 exec, exec, s[24:25]
	s_cbranch_execz .LBB1483_487
.LBB1483_485:                           ; =>This Inner Loop Header: Depth=1
	global_load_dword v39, v[24:25], off
	global_load_dword v40, v[26:27], off
	s_andn2_b64 s[44:45], s[2:3], exec
	s_or_b64 s[28:29], s[28:29], exec
	s_waitcnt vmcnt(0)
	v_cmp_le_u32_e64 s[2:3], v39, v40
	v_cmp_lt_u32_e32 vcc, v39, v40
	s_and_b64 s[2:3], s[2:3], s[40:41]
	s_or_b64 s[42:43], vcc, s[2:3]
	s_and_b64 s[2:3], s[42:43], exec
	v_cmp_eq_u32_e64 s[4:5], v39, v40
	s_or_b64 s[2:3], s[44:45], s[2:3]
	s_and_saveexec_b64 s[44:45], s[4:5]
	s_cbranch_execz .LBB1483_484
; %bb.486:                              ;   in Loop: Header=BB1483_485 Depth=1
	s_add_u32 s30, s30, -1
	s_addc_u32 s31, s31, -1
	s_cmp_eq_u64 s[30:31], 0
	s_cselect_b64 s[4:5], -1, 0
	s_andn2_b64 s[28:29], s[28:29], exec
	s_and_b64 s[4:5], s[4:5], exec
	v_lshl_add_u64 v[24:25], v[24:25], 0, 4
	v_lshl_add_u64 v[26:27], v[26:27], 0, 4
	s_andn2_b64 s[2:3], s[2:3], exec
	s_or_b64 s[28:29], s[28:29], s[4:5]
                                        ; implicit-def: $sgpr40_sgpr41
	s_branch .LBB1483_484
.LBB1483_487:
	s_or_b64 exec, exec, s[24:25]
	v_cndmask_b32_e64 v5, v5, v23, s[26:27]
	v_cndmask_b32_e64 v4, v4, v22, s[26:27]
.LBB1483_488:
	v_mov_b64_e32 v[22:23], v[4:5]
.LBB1483_489:
	s_or_b64 exec, exec, s[22:23]
	v_mov_b64_e32 v[4:5], v[22:23]
.LBB1483_490:
	s_or_b64 exec, exec, s[12:13]
.LBB1483_491:
	s_or_b64 exec, exec, s[10:11]
	; wave barrier
	ds_write_b128 v38, v[14:17]
	ds_write_b128 v38, v[10:13] offset:16
	ds_write_b128 v38, v[6:9] offset:32
	;; [unrolled: 1-line block ×3, first 2 shown]
	v_and_b32_e32 v38, 0x380, v37
	v_or_b32_e32 v22, 64, v38
	v_min_u32_e32 v26, v36, v22
	v_add_u32_e32 v22, 64, v26
	v_min_u32_e32 v27, v36, v22
	v_and_b32_e32 v22, 0x78, v37
	v_min_u32_e32 v39, v36, v22
	v_sub_u32_e32 v22, v26, v38
	v_sub_u32_e32 v23, v27, v26
	v_sub_u32_e64 v37, v39, v23 clamp
	v_min_u32_e32 v40, v39, v22
	v_lshl_add_u32 v36, v38, 3, v35
	v_cmp_lt_u32_e32 vcc, v37, v40
	; wave barrier
	s_and_saveexec_b64 s[10:11], vcc
	s_cbranch_execz .LBB1483_501
; %bb.492:
	v_lshlrev_b32_e32 v22, 3, v26
	v_lshlrev_b32_e32 v23, 3, v39
	v_add3_u32 v41, v35, v22, v23
	s_lshl_b64 s[22:23], s[36:37], 2
	s_mov_b64 s[12:13], 0
	s_branch .LBB1483_495
.LBB1483_493:                           ;   in Loop: Header=BB1483_495 Depth=1
	s_or_b64 exec, exec, s[26:27]
.LBB1483_494:                           ;   in Loop: Header=BB1483_495 Depth=1
	v_add_u32_e32 v22, 1, v42
	v_cndmask_b32_e64 v40, v40, v42, s[24:25]
	v_cndmask_b32_e64 v37, v22, v37, s[24:25]
	v_cmp_ge_u32_e32 vcc, v37, v40
	s_or_b64 s[12:13], vcc, s[12:13]
	s_andn2_b64 exec, exec, s[12:13]
	s_cbranch_execz .LBB1483_500
.LBB1483_495:                           ; =>This Loop Header: Depth=1
                                        ;     Child Loop BB1483_498 Depth 2
	v_add_u32_e32 v22, v40, v37
	v_lshrrev_b32_e32 v42, 1, v22
	s_and_b64 vcc, exec, s[0:1]
	s_mov_b64 s[24:25], 0
	s_cbranch_vccnz .LBB1483_494
; %bb.496:                              ;   in Loop: Header=BB1483_495 Depth=1
	v_not_b32_e32 v22, v42
	v_lshl_add_u32 v22, v22, 3, v41
	ds_read_b64 v[22:23], v22
	v_lshl_add_u32 v43, v42, 3, v36
	ds_read_b64 v[44:45], v43
	v_mov_b64_e32 v[24:25], s[38:39]
	s_mov_b64 s[26:27], 0
	s_waitcnt lgkmcnt(1)
	v_mul_lo_u32 v43, s22, v23
	v_mul_lo_u32 v46, s23, v22
	v_mad_u64_u32 v[22:23], s[2:3], s22, v22, v[24:25]
	v_add3_u32 v23, v46, v23, v43
	s_waitcnt lgkmcnt(0)
	v_mul_lo_u32 v43, s22, v45
	v_mul_lo_u32 v45, s23, v44
	v_mad_u64_u32 v[24:25], s[2:3], s22, v44, v[24:25]
	v_add3_u32 v25, v45, v25, v43
	s_mov_b64 s[30:31], s[36:37]
                                        ; implicit-def: $sgpr24_sgpr25
                                        ; implicit-def: $sgpr28_sgpr29
                                        ; implicit-def: $sgpr2_sgpr3
                                        ; implicit-def: $sgpr40_sgpr41
	s_branch .LBB1483_498
.LBB1483_497:                           ;   in Loop: Header=BB1483_498 Depth=2
	s_or_b64 exec, exec, s[44:45]
	s_and_b64 s[4:5], exec, s[28:29]
	s_or_b64 s[26:27], s[4:5], s[26:27]
	s_andn2_b64 s[4:5], s[40:41], exec
	s_and_b64 s[40:41], s[42:43], exec
	s_or_b64 s[40:41], s[4:5], s[40:41]
	s_andn2_b64 s[4:5], s[24:25], exec
	s_and_b64 s[24:25], s[2:3], exec
	s_or_b64 s[24:25], s[4:5], s[24:25]
	s_andn2_b64 exec, exec, s[26:27]
	s_cbranch_execz .LBB1483_493
.LBB1483_498:                           ;   Parent Loop BB1483_495 Depth=1
                                        ; =>  This Inner Loop Header: Depth=2
	global_load_dword v43, v[22:23], off
	global_load_dword v44, v[24:25], off
	s_andn2_b64 s[44:45], s[2:3], exec
	s_or_b64 s[28:29], s[28:29], exec
	s_waitcnt vmcnt(0)
	v_cmp_le_u32_e64 s[2:3], v43, v44
	v_cmp_lt_u32_e32 vcc, v43, v44
	s_and_b64 s[2:3], s[2:3], s[40:41]
	s_or_b64 s[42:43], vcc, s[2:3]
	s_and_b64 s[2:3], s[42:43], exec
	v_cmp_eq_u32_e64 s[4:5], v43, v44
	s_or_b64 s[2:3], s[44:45], s[2:3]
	s_and_saveexec_b64 s[44:45], s[4:5]
	s_cbranch_execz .LBB1483_497
; %bb.499:                              ;   in Loop: Header=BB1483_498 Depth=2
	s_add_u32 s30, s30, -1
	s_addc_u32 s31, s31, -1
	s_cmp_eq_u64 s[30:31], 0
	s_cselect_b64 s[4:5], -1, 0
	s_andn2_b64 s[28:29], s[28:29], exec
	s_and_b64 s[4:5], s[4:5], exec
	v_lshl_add_u64 v[22:23], v[22:23], 0, 4
	v_lshl_add_u64 v[24:25], v[24:25], 0, 4
	s_andn2_b64 s[2:3], s[2:3], exec
	s_or_b64 s[28:29], s[28:29], s[4:5]
                                        ; implicit-def: $sgpr40_sgpr41
	s_branch .LBB1483_497
.LBB1483_500:
	s_or_b64 exec, exec, s[12:13]
.LBB1483_501:
	s_or_b64 exec, exec, s[10:11]
	v_add_u32_e32 v22, v26, v39
	v_add_u32_e32 v23, v37, v38
	v_sub_u32_e32 v24, v22, v37
	v_cmp_le_u32_e32 vcc, v23, v26
	v_cmp_le_u32_e64 s[2:3], v24, v27
	s_or_b64 s[2:3], vcc, s[2:3]
	s_and_saveexec_b64 s[10:11], s[2:3]
	s_cbranch_execz .LBB1483_592
; %bb.502:
	v_cmp_ge_u32_e32 vcc, v23, v26
	v_cmp_lt_u32_e64 s[2:3], v23, v26
                                        ; implicit-def: $vgpr2_vgpr3
	s_and_saveexec_b64 s[4:5], s[2:3]
; %bb.503:
	v_lshl_add_u32 v2, v37, 3, v36
	ds_read_b64 v[2:3], v2
; %bb.504:
	s_or_b64 exec, exec, s[4:5]
	v_cmp_ge_u32_e64 s[12:13], v24, v27
	v_cmp_lt_u32_e64 s[2:3], v24, v27
                                        ; implicit-def: $vgpr4_vgpr5
	s_and_saveexec_b64 s[4:5], s[2:3]
; %bb.505:
	v_lshl_add_u32 v4, v24, 3, v35
	ds_read_b64 v[4:5], v4
; %bb.506:
	s_or_b64 exec, exec, s[4:5]
	s_nor_b64 s[2:3], vcc, s[12:13]
	s_and_saveexec_b64 s[22:23], s[2:3]
	s_cbranch_execz .LBB1483_515
; %bb.507:
	s_and_b64 vcc, exec, s[0:1]
	s_cbranch_vccnz .LBB1483_513
; %bb.508:
	s_waitcnt lgkmcnt(0)
	v_mul_lo_u32 v8, v5, s36
	v_mul_lo_u32 v9, v4, s37
	v_mad_u64_u32 v[6:7], s[2:3], v4, s36, 0
	v_add3_u32 v7, v7, v9, v8
	v_mul_lo_u32 v10, v3, s36
	v_mul_lo_u32 v11, v2, s37
	v_mad_u64_u32 v[8:9], s[2:3], v2, s36, 0
	v_add3_u32 v9, v9, v11, v10
	v_lshl_add_u64 v[6:7], v[6:7], 2, s[38:39]
	v_lshl_add_u64 v[8:9], v[8:9], 2, s[38:39]
	s_mov_b64 s[24:25], 0
	s_mov_b64 s[30:31], s[36:37]
                                        ; implicit-def: $sgpr26_sgpr27
                                        ; implicit-def: $sgpr28_sgpr29
                                        ; implicit-def: $sgpr2_sgpr3
                                        ; implicit-def: $sgpr40_sgpr41
	s_branch .LBB1483_510
.LBB1483_509:                           ;   in Loop: Header=BB1483_510 Depth=1
	s_or_b64 exec, exec, s[44:45]
	s_and_b64 s[4:5], exec, s[28:29]
	s_or_b64 s[24:25], s[4:5], s[24:25]
	s_andn2_b64 s[4:5], s[40:41], exec
	s_and_b64 s[40:41], s[42:43], exec
	s_or_b64 s[40:41], s[4:5], s[40:41]
	s_andn2_b64 s[4:5], s[26:27], exec
	s_and_b64 s[26:27], s[2:3], exec
	s_or_b64 s[26:27], s[4:5], s[26:27]
	s_andn2_b64 exec, exec, s[24:25]
	s_cbranch_execz .LBB1483_512
.LBB1483_510:                           ; =>This Inner Loop Header: Depth=1
	global_load_dword v10, v[6:7], off
	global_load_dword v11, v[8:9], off
	s_andn2_b64 s[44:45], s[2:3], exec
	s_or_b64 s[28:29], s[28:29], exec
	s_waitcnt vmcnt(0)
	v_cmp_le_u32_e64 s[2:3], v10, v11
	v_cmp_lt_u32_e32 vcc, v10, v11
	s_and_b64 s[2:3], s[2:3], s[40:41]
	s_or_b64 s[42:43], vcc, s[2:3]
	s_and_b64 s[2:3], s[42:43], exec
	v_cmp_eq_u32_e64 s[4:5], v10, v11
	s_or_b64 s[2:3], s[44:45], s[2:3]
	s_and_saveexec_b64 s[44:45], s[4:5]
	s_cbranch_execz .LBB1483_509
; %bb.511:                              ;   in Loop: Header=BB1483_510 Depth=1
	s_add_u32 s30, s30, -1
	s_addc_u32 s31, s31, -1
	s_cmp_eq_u64 s[30:31], 0
	s_cselect_b64 s[4:5], -1, 0
	s_andn2_b64 s[28:29], s[28:29], exec
	s_and_b64 s[4:5], s[4:5], exec
	v_lshl_add_u64 v[6:7], v[6:7], 0, 4
	v_lshl_add_u64 v[8:9], v[8:9], 0, 4
	s_andn2_b64 s[2:3], s[2:3], exec
	s_or_b64 s[28:29], s[28:29], s[4:5]
                                        ; implicit-def: $sgpr40_sgpr41
	s_branch .LBB1483_509
.LBB1483_512:
	s_or_b64 exec, exec, s[24:25]
	s_xor_b64 s[2:3], s[26:27], -1
	s_branch .LBB1483_514
.LBB1483_513:
	s_mov_b64 s[2:3], -1
.LBB1483_514:
	s_andn2_b64 s[4:5], s[12:13], exec
	s_and_b64 s[2:3], s[2:3], exec
	s_or_b64 s[12:13], s[4:5], s[2:3]
.LBB1483_515:
	s_or_b64 exec, exec, s[22:23]
	v_cndmask_b32_e64 v6, v24, v23, s[12:13]
	v_cndmask_b32_e64 v7, v27, v26, s[12:13]
	v_add_u32_e32 v8, 1, v6
	v_add_u32_e32 v6, -1, v7
	v_min_u32_e32 v6, v8, v6
	v_lshl_add_u32 v6, v6, 3, v35
	ds_read_b64 v[6:7], v6
	v_cndmask_b32_e64 v12, v8, v24, s[12:13]
	v_cndmask_b32_e64 v13, v23, v8, s[12:13]
	v_cmp_lt_u32_e32 vcc, v12, v27
	s_mov_b64 s[24:25], -1
	s_waitcnt lgkmcnt(0)
	v_cndmask_b32_e64 v14, v7, v5, s[12:13]
	v_cndmask_b32_e64 v15, v6, v4, s[12:13]
	;; [unrolled: 1-line block ×4, first 2 shown]
	s_mov_b64 s[22:23], -1
	s_and_saveexec_b64 s[26:27], vcc
	s_cbranch_execz .LBB1483_526
; %bb.516:
	v_cmp_lt_u32_e32 vcc, v13, v26
	s_mov_b64 s[2:3], 0
	s_and_saveexec_b64 s[22:23], vcc
	s_cbranch_execz .LBB1483_525
; %bb.517:
	s_and_b64 vcc, exec, s[0:1]
	s_cbranch_vccnz .LBB1483_523
; %bb.518:
	v_mul_lo_u32 v8, v14, s36
	v_mul_lo_u32 v9, v15, s37
	v_mad_u64_u32 v[6:7], s[2:3], v15, s36, 0
	v_add3_u32 v7, v7, v9, v8
	v_mul_lo_u32 v10, v16, s36
	v_mul_lo_u32 v11, v22, s37
	v_mad_u64_u32 v[8:9], s[2:3], v22, s36, 0
	v_add3_u32 v9, v9, v11, v10
	v_lshl_add_u64 v[6:7], v[6:7], 2, s[38:39]
	v_lshl_add_u64 v[8:9], v[8:9], 2, s[38:39]
	s_mov_b64 s[28:29], 0
	s_mov_b64 s[42:43], s[36:37]
                                        ; implicit-def: $sgpr30_sgpr31
                                        ; implicit-def: $sgpr40_sgpr41
                                        ; implicit-def: $sgpr2_sgpr3
                                        ; implicit-def: $sgpr44_sgpr45
	s_branch .LBB1483_520
.LBB1483_519:                           ;   in Loop: Header=BB1483_520 Depth=1
	s_or_b64 exec, exec, s[48:49]
	s_and_b64 s[4:5], exec, s[40:41]
	s_or_b64 s[28:29], s[4:5], s[28:29]
	s_andn2_b64 s[4:5], s[44:45], exec
	s_and_b64 s[44:45], s[46:47], exec
	s_or_b64 s[44:45], s[4:5], s[44:45]
	s_andn2_b64 s[4:5], s[30:31], exec
	s_and_b64 s[30:31], s[2:3], exec
	s_or_b64 s[30:31], s[4:5], s[30:31]
	s_andn2_b64 exec, exec, s[28:29]
	s_cbranch_execz .LBB1483_522
.LBB1483_520:                           ; =>This Inner Loop Header: Depth=1
	global_load_dword v10, v[6:7], off
	global_load_dword v11, v[8:9], off
	s_andn2_b64 s[48:49], s[2:3], exec
	s_or_b64 s[40:41], s[40:41], exec
	s_waitcnt vmcnt(0)
	v_cmp_le_u32_e64 s[2:3], v10, v11
	v_cmp_lt_u32_e32 vcc, v10, v11
	s_and_b64 s[2:3], s[2:3], s[44:45]
	s_or_b64 s[46:47], vcc, s[2:3]
	s_and_b64 s[2:3], s[46:47], exec
	v_cmp_eq_u32_e64 s[4:5], v10, v11
	s_or_b64 s[2:3], s[48:49], s[2:3]
	s_and_saveexec_b64 s[48:49], s[4:5]
	s_cbranch_execz .LBB1483_519
; %bb.521:                              ;   in Loop: Header=BB1483_520 Depth=1
	s_add_u32 s42, s42, -1
	s_addc_u32 s43, s43, -1
	s_cmp_eq_u64 s[42:43], 0
	s_cselect_b64 s[4:5], -1, 0
	s_andn2_b64 s[40:41], s[40:41], exec
	s_and_b64 s[4:5], s[4:5], exec
	v_lshl_add_u64 v[6:7], v[6:7], 0, 4
	v_lshl_add_u64 v[8:9], v[8:9], 0, 4
	s_andn2_b64 s[2:3], s[2:3], exec
	s_or_b64 s[40:41], s[40:41], s[4:5]
                                        ; implicit-def: $sgpr44_sgpr45
	s_branch .LBB1483_519
.LBB1483_522:
	s_or_b64 exec, exec, s[28:29]
	s_xor_b64 s[2:3], s[30:31], -1
	s_branch .LBB1483_524
.LBB1483_523:
	s_mov_b64 s[2:3], -1
.LBB1483_524:
	s_and_b64 s[2:3], s[2:3], exec
.LBB1483_525:
	s_or_b64 exec, exec, s[22:23]
	s_orn2_b64 s[22:23], s[2:3], exec
.LBB1483_526:
	s_or_b64 exec, exec, s[26:27]
	v_cndmask_b32_e64 v6, v12, v13, s[22:23]
	v_cndmask_b32_e64 v7, v27, v26, s[22:23]
	v_add_u32_e32 v8, 1, v6
	v_add_u32_e32 v6, -1, v7
	v_min_u32_e32 v6, v8, v6
	v_lshl_add_u32 v6, v6, 3, v35
	ds_read_b64 v[6:7], v6
	v_cndmask_b32_e64 v36, v8, v12, s[22:23]
	v_cndmask_b32_e64 v37, v13, v8, s[22:23]
	v_cmp_lt_u32_e32 vcc, v36, v27
	s_waitcnt lgkmcnt(0)
	v_cndmask_b32_e64 v10, v7, v14, s[22:23]
	v_cndmask_b32_e64 v17, v6, v15, s[22:23]
	;; [unrolled: 1-line block ×4, first 2 shown]
	s_and_saveexec_b64 s[26:27], vcc
	s_cbranch_execz .LBB1483_537
; %bb.527:
	v_cmp_lt_u32_e32 vcc, v37, v26
	s_mov_b64 s[2:3], 0
	s_and_saveexec_b64 s[24:25], vcc
	s_cbranch_execz .LBB1483_536
; %bb.528:
	s_and_b64 vcc, exec, s[0:1]
	s_cbranch_vccnz .LBB1483_534
; %bb.529:
	v_mul_lo_u32 v8, v10, s36
	v_mul_lo_u32 v9, v17, s37
	v_mad_u64_u32 v[6:7], s[2:3], v17, s36, 0
	v_add3_u32 v7, v7, v9, v8
	v_mul_lo_u32 v12, v11, s36
	v_mul_lo_u32 v13, v23, s37
	v_mad_u64_u32 v[8:9], s[2:3], v23, s36, 0
	v_add3_u32 v9, v9, v13, v12
	v_lshl_add_u64 v[6:7], v[6:7], 2, s[38:39]
	v_lshl_add_u64 v[8:9], v[8:9], 2, s[38:39]
	s_mov_b64 s[28:29], 0
	s_mov_b64 s[42:43], s[36:37]
                                        ; implicit-def: $sgpr30_sgpr31
                                        ; implicit-def: $sgpr40_sgpr41
                                        ; implicit-def: $sgpr2_sgpr3
                                        ; implicit-def: $sgpr44_sgpr45
	s_branch .LBB1483_531
.LBB1483_530:                           ;   in Loop: Header=BB1483_531 Depth=1
	s_or_b64 exec, exec, s[48:49]
	s_and_b64 s[4:5], exec, s[40:41]
	s_or_b64 s[28:29], s[4:5], s[28:29]
	s_andn2_b64 s[4:5], s[44:45], exec
	s_and_b64 s[44:45], s[46:47], exec
	s_or_b64 s[44:45], s[4:5], s[44:45]
	s_andn2_b64 s[4:5], s[30:31], exec
	s_and_b64 s[30:31], s[2:3], exec
	s_or_b64 s[30:31], s[4:5], s[30:31]
	s_andn2_b64 exec, exec, s[28:29]
	s_cbranch_execz .LBB1483_533
.LBB1483_531:                           ; =>This Inner Loop Header: Depth=1
	global_load_dword v12, v[6:7], off
	global_load_dword v13, v[8:9], off
	s_andn2_b64 s[48:49], s[2:3], exec
	s_or_b64 s[40:41], s[40:41], exec
	s_waitcnt vmcnt(0)
	v_cmp_le_u32_e64 s[2:3], v12, v13
	v_cmp_lt_u32_e32 vcc, v12, v13
	s_and_b64 s[2:3], s[2:3], s[44:45]
	s_or_b64 s[46:47], vcc, s[2:3]
	s_and_b64 s[2:3], s[46:47], exec
	v_cmp_eq_u32_e64 s[4:5], v12, v13
	s_or_b64 s[2:3], s[48:49], s[2:3]
	s_and_saveexec_b64 s[48:49], s[4:5]
	s_cbranch_execz .LBB1483_530
; %bb.532:                              ;   in Loop: Header=BB1483_531 Depth=1
	s_add_u32 s42, s42, -1
	s_addc_u32 s43, s43, -1
	s_cmp_eq_u64 s[42:43], 0
	s_cselect_b64 s[4:5], -1, 0
	s_andn2_b64 s[40:41], s[40:41], exec
	s_and_b64 s[4:5], s[4:5], exec
	v_lshl_add_u64 v[6:7], v[6:7], 0, 4
	v_lshl_add_u64 v[8:9], v[8:9], 0, 4
	s_andn2_b64 s[2:3], s[2:3], exec
	s_or_b64 s[40:41], s[40:41], s[4:5]
                                        ; implicit-def: $sgpr44_sgpr45
	s_branch .LBB1483_530
.LBB1483_533:
	s_or_b64 exec, exec, s[28:29]
	s_xor_b64 s[2:3], s[30:31], -1
	s_branch .LBB1483_535
.LBB1483_534:
	s_mov_b64 s[2:3], -1
.LBB1483_535:
	s_and_b64 s[2:3], s[2:3], exec
.LBB1483_536:
	s_or_b64 exec, exec, s[24:25]
	s_orn2_b64 s[24:25], s[2:3], exec
.LBB1483_537:
	s_or_b64 exec, exec, s[26:27]
	v_cndmask_b32_e64 v6, v36, v37, s[24:25]
	v_cndmask_b32_e64 v7, v27, v26, s[24:25]
	v_add_u32_e32 v8, 1, v6
	v_add_u32_e32 v6, -1, v7
	v_min_u32_e32 v6, v8, v6
	v_lshl_add_u32 v6, v6, 3, v35
	ds_read_b64 v[6:7], v6
	v_cndmask_b32_e64 v40, v8, v36, s[24:25]
	v_cndmask_b32_e64 v41, v37, v8, s[24:25]
	v_cmp_lt_u32_e32 vcc, v40, v27
	s_mov_b64 s[28:29], -1
	s_waitcnt lgkmcnt(0)
	v_cndmask_b32_e64 v12, v7, v10, s[24:25]
	v_cndmask_b32_e64 v24, v6, v17, s[24:25]
	;; [unrolled: 1-line block ×4, first 2 shown]
	s_mov_b64 s[26:27], -1
	s_and_saveexec_b64 s[30:31], vcc
	s_cbranch_execz .LBB1483_548
; %bb.538:
	v_cmp_lt_u32_e32 vcc, v41, v26
	s_mov_b64 s[2:3], 0
	s_and_saveexec_b64 s[26:27], vcc
	s_cbranch_execz .LBB1483_547
; %bb.539:
	s_and_b64 vcc, exec, s[0:1]
	s_cbranch_vccnz .LBB1483_545
; %bb.540:
	v_mul_lo_u32 v8, v12, s36
	v_mul_lo_u32 v9, v24, s37
	v_mad_u64_u32 v[6:7], s[2:3], v24, s36, 0
	v_add3_u32 v7, v7, v9, v8
	v_mul_lo_u32 v36, v13, s36
	v_mul_lo_u32 v37, v25, s37
	v_mad_u64_u32 v[8:9], s[2:3], v25, s36, 0
	v_add3_u32 v9, v9, v37, v36
	v_lshl_add_u64 v[6:7], v[6:7], 2, s[38:39]
	v_lshl_add_u64 v[8:9], v[8:9], 2, s[38:39]
	s_mov_b64 s[40:41], 0
	s_mov_b64 s[46:47], s[36:37]
                                        ; implicit-def: $sgpr42_sgpr43
                                        ; implicit-def: $sgpr44_sgpr45
                                        ; implicit-def: $sgpr2_sgpr3
                                        ; implicit-def: $sgpr48_sgpr49
	s_branch .LBB1483_542
.LBB1483_541:                           ;   in Loop: Header=BB1483_542 Depth=1
	s_or_b64 exec, exec, s[52:53]
	s_and_b64 s[4:5], exec, s[44:45]
	s_or_b64 s[40:41], s[4:5], s[40:41]
	s_andn2_b64 s[4:5], s[48:49], exec
	s_and_b64 s[48:49], s[50:51], exec
	s_or_b64 s[48:49], s[4:5], s[48:49]
	s_andn2_b64 s[4:5], s[42:43], exec
	s_and_b64 s[42:43], s[2:3], exec
	s_or_b64 s[42:43], s[4:5], s[42:43]
	s_andn2_b64 exec, exec, s[40:41]
	s_cbranch_execz .LBB1483_544
.LBB1483_542:                           ; =>This Inner Loop Header: Depth=1
	global_load_dword v36, v[6:7], off
	global_load_dword v37, v[8:9], off
	s_andn2_b64 s[52:53], s[2:3], exec
	s_or_b64 s[44:45], s[44:45], exec
	s_waitcnt vmcnt(0)
	v_cmp_le_u32_e64 s[2:3], v36, v37
	v_cmp_lt_u32_e32 vcc, v36, v37
	s_and_b64 s[2:3], s[2:3], s[48:49]
	s_or_b64 s[50:51], vcc, s[2:3]
	s_and_b64 s[2:3], s[50:51], exec
	v_cmp_eq_u32_e64 s[4:5], v36, v37
	s_or_b64 s[2:3], s[52:53], s[2:3]
	s_and_saveexec_b64 s[52:53], s[4:5]
	s_cbranch_execz .LBB1483_541
; %bb.543:                              ;   in Loop: Header=BB1483_542 Depth=1
	s_add_u32 s46, s46, -1
	s_addc_u32 s47, s47, -1
	s_cmp_eq_u64 s[46:47], 0
	s_cselect_b64 s[4:5], -1, 0
	s_andn2_b64 s[44:45], s[44:45], exec
	s_and_b64 s[4:5], s[4:5], exec
	v_lshl_add_u64 v[6:7], v[6:7], 0, 4
	v_lshl_add_u64 v[8:9], v[8:9], 0, 4
	s_andn2_b64 s[2:3], s[2:3], exec
	s_or_b64 s[44:45], s[44:45], s[4:5]
                                        ; implicit-def: $sgpr48_sgpr49
	s_branch .LBB1483_541
.LBB1483_544:
	s_or_b64 exec, exec, s[40:41]
	s_xor_b64 s[2:3], s[42:43], -1
	s_branch .LBB1483_546
.LBB1483_545:
	s_mov_b64 s[2:3], -1
.LBB1483_546:
	s_and_b64 s[2:3], s[2:3], exec
.LBB1483_547:
	s_or_b64 exec, exec, s[26:27]
	s_orn2_b64 s[26:27], s[2:3], exec
.LBB1483_548:
	s_or_b64 exec, exec, s[30:31]
	v_cndmask_b32_e64 v6, v40, v41, s[26:27]
	v_cndmask_b32_e64 v7, v27, v26, s[26:27]
	v_add_u32_e32 v8, 1, v6
	v_add_u32_e32 v6, -1, v7
	v_min_u32_e32 v6, v8, v6
	v_lshl_add_u32 v6, v6, 3, v35
	ds_read_b64 v[6:7], v6
	v_cndmask_b32_e64 v44, v8, v40, s[26:27]
	v_cndmask_b32_e64 v45, v41, v8, s[26:27]
	v_cmp_lt_u32_e32 vcc, v44, v27
	s_waitcnt lgkmcnt(0)
	v_cndmask_b32_e64 v36, v7, v12, s[26:27]
	v_cndmask_b32_e64 v37, v6, v24, s[26:27]
	;; [unrolled: 1-line block ×4, first 2 shown]
	s_and_saveexec_b64 s[30:31], vcc
	s_cbranch_execz .LBB1483_559
; %bb.549:
	v_cmp_lt_u32_e32 vcc, v45, v26
	s_mov_b64 s[2:3], 0
	s_and_saveexec_b64 s[28:29], vcc
	s_cbranch_execz .LBB1483_558
; %bb.550:
	s_and_b64 vcc, exec, s[0:1]
	s_cbranch_vccnz .LBB1483_556
; %bb.551:
	v_mul_lo_u32 v8, v36, s36
	v_mul_lo_u32 v9, v37, s37
	v_mad_u64_u32 v[6:7], s[2:3], v37, s36, 0
	v_add3_u32 v7, v7, v9, v8
	v_mul_lo_u32 v40, v38, s36
	v_mul_lo_u32 v41, v39, s37
	v_mad_u64_u32 v[8:9], s[2:3], v39, s36, 0
	v_add3_u32 v9, v9, v41, v40
	v_lshl_add_u64 v[6:7], v[6:7], 2, s[38:39]
	v_lshl_add_u64 v[8:9], v[8:9], 2, s[38:39]
	s_mov_b64 s[40:41], 0
	s_mov_b64 s[46:47], s[36:37]
                                        ; implicit-def: $sgpr42_sgpr43
                                        ; implicit-def: $sgpr44_sgpr45
                                        ; implicit-def: $sgpr2_sgpr3
                                        ; implicit-def: $sgpr48_sgpr49
	s_branch .LBB1483_553
.LBB1483_552:                           ;   in Loop: Header=BB1483_553 Depth=1
	s_or_b64 exec, exec, s[52:53]
	s_and_b64 s[4:5], exec, s[44:45]
	s_or_b64 s[40:41], s[4:5], s[40:41]
	s_andn2_b64 s[4:5], s[48:49], exec
	s_and_b64 s[48:49], s[50:51], exec
	s_or_b64 s[48:49], s[4:5], s[48:49]
	s_andn2_b64 s[4:5], s[42:43], exec
	s_and_b64 s[42:43], s[2:3], exec
	s_or_b64 s[42:43], s[4:5], s[42:43]
	s_andn2_b64 exec, exec, s[40:41]
	s_cbranch_execz .LBB1483_555
.LBB1483_553:                           ; =>This Inner Loop Header: Depth=1
	global_load_dword v40, v[6:7], off
	global_load_dword v41, v[8:9], off
	s_andn2_b64 s[52:53], s[2:3], exec
	s_or_b64 s[44:45], s[44:45], exec
	s_waitcnt vmcnt(0)
	v_cmp_le_u32_e64 s[2:3], v40, v41
	v_cmp_lt_u32_e32 vcc, v40, v41
	s_and_b64 s[2:3], s[2:3], s[48:49]
	s_or_b64 s[50:51], vcc, s[2:3]
	s_and_b64 s[2:3], s[50:51], exec
	v_cmp_eq_u32_e64 s[4:5], v40, v41
	s_or_b64 s[2:3], s[52:53], s[2:3]
	s_and_saveexec_b64 s[52:53], s[4:5]
	s_cbranch_execz .LBB1483_552
; %bb.554:                              ;   in Loop: Header=BB1483_553 Depth=1
	s_add_u32 s46, s46, -1
	s_addc_u32 s47, s47, -1
	s_cmp_eq_u64 s[46:47], 0
	s_cselect_b64 s[4:5], -1, 0
	s_andn2_b64 s[44:45], s[44:45], exec
	s_and_b64 s[4:5], s[4:5], exec
	v_lshl_add_u64 v[6:7], v[6:7], 0, 4
	v_lshl_add_u64 v[8:9], v[8:9], 0, 4
	s_andn2_b64 s[2:3], s[2:3], exec
	s_or_b64 s[44:45], s[44:45], s[4:5]
                                        ; implicit-def: $sgpr48_sgpr49
	s_branch .LBB1483_552
.LBB1483_555:
	s_or_b64 exec, exec, s[40:41]
	s_xor_b64 s[2:3], s[42:43], -1
	s_branch .LBB1483_557
.LBB1483_556:
	s_mov_b64 s[2:3], -1
.LBB1483_557:
	s_and_b64 s[2:3], s[2:3], exec
.LBB1483_558:
	s_or_b64 exec, exec, s[28:29]
	s_orn2_b64 s[28:29], s[2:3], exec
.LBB1483_559:
	s_or_b64 exec, exec, s[30:31]
	v_cndmask_b32_e64 v6, v44, v45, s[28:29]
	v_cndmask_b32_e64 v7, v27, v26, s[28:29]
	v_add_u32_e32 v8, 1, v6
	v_add_u32_e32 v6, -1, v7
	v_min_u32_e32 v6, v8, v6
	v_lshl_add_u32 v6, v6, 3, v35
	ds_read_b64 v[6:7], v6
	v_cndmask_b32_e64 v46, v8, v44, s[28:29]
	v_cndmask_b32_e64 v50, v45, v8, s[28:29]
	v_cmp_lt_u32_e32 vcc, v46, v27
	s_mov_b64 s[30:31], -1
	s_waitcnt lgkmcnt(0)
	v_cndmask_b32_e64 v40, v7, v36, s[28:29]
	v_cndmask_b32_e64 v41, v6, v37, s[28:29]
	;; [unrolled: 1-line block ×4, first 2 shown]
	s_mov_b64 s[40:41], -1
	s_and_saveexec_b64 s[42:43], vcc
	s_cbranch_execz .LBB1483_570
; %bb.560:
	v_cmp_lt_u32_e32 vcc, v50, v26
	s_mov_b64 s[2:3], 0
	s_and_saveexec_b64 s[40:41], vcc
	s_cbranch_execz .LBB1483_569
; %bb.561:
	s_and_b64 vcc, exec, s[0:1]
	s_cbranch_vccnz .LBB1483_567
; %bb.562:
	v_mul_lo_u32 v8, v40, s36
	v_mul_lo_u32 v9, v41, s37
	v_mad_u64_u32 v[6:7], s[2:3], v41, s36, 0
	v_add3_u32 v7, v7, v9, v8
	v_mul_lo_u32 v44, v42, s36
	v_mul_lo_u32 v45, v43, s37
	v_mad_u64_u32 v[8:9], s[2:3], v43, s36, 0
	v_add3_u32 v9, v9, v45, v44
	v_lshl_add_u64 v[6:7], v[6:7], 2, s[38:39]
	v_lshl_add_u64 v[8:9], v[8:9], 2, s[38:39]
	s_mov_b64 s[44:45], 0
	s_mov_b64 s[50:51], s[36:37]
                                        ; implicit-def: $sgpr46_sgpr47
                                        ; implicit-def: $sgpr48_sgpr49
                                        ; implicit-def: $sgpr2_sgpr3
                                        ; implicit-def: $sgpr52_sgpr53
	s_branch .LBB1483_564
.LBB1483_563:                           ;   in Loop: Header=BB1483_564 Depth=1
	s_or_b64 exec, exec, s[56:57]
	s_and_b64 s[4:5], exec, s[48:49]
	s_or_b64 s[44:45], s[4:5], s[44:45]
	s_andn2_b64 s[4:5], s[52:53], exec
	s_and_b64 s[52:53], s[54:55], exec
	s_or_b64 s[52:53], s[4:5], s[52:53]
	s_andn2_b64 s[4:5], s[46:47], exec
	s_and_b64 s[46:47], s[2:3], exec
	s_or_b64 s[46:47], s[4:5], s[46:47]
	s_andn2_b64 exec, exec, s[44:45]
	s_cbranch_execz .LBB1483_566
.LBB1483_564:                           ; =>This Inner Loop Header: Depth=1
	global_load_dword v44, v[6:7], off
	global_load_dword v45, v[8:9], off
	s_andn2_b64 s[56:57], s[2:3], exec
	s_or_b64 s[48:49], s[48:49], exec
	s_waitcnt vmcnt(0)
	v_cmp_le_u32_e64 s[2:3], v44, v45
	v_cmp_lt_u32_e32 vcc, v44, v45
	s_and_b64 s[2:3], s[2:3], s[52:53]
	s_or_b64 s[54:55], vcc, s[2:3]
	s_and_b64 s[2:3], s[54:55], exec
	v_cmp_eq_u32_e64 s[4:5], v44, v45
	s_or_b64 s[2:3], s[56:57], s[2:3]
	s_and_saveexec_b64 s[56:57], s[4:5]
	s_cbranch_execz .LBB1483_563
; %bb.565:                              ;   in Loop: Header=BB1483_564 Depth=1
	s_add_u32 s50, s50, -1
	s_addc_u32 s51, s51, -1
	s_cmp_eq_u64 s[50:51], 0
	s_cselect_b64 s[4:5], -1, 0
	s_andn2_b64 s[48:49], s[48:49], exec
	s_and_b64 s[4:5], s[4:5], exec
	v_lshl_add_u64 v[6:7], v[6:7], 0, 4
	v_lshl_add_u64 v[8:9], v[8:9], 0, 4
	s_andn2_b64 s[2:3], s[2:3], exec
	s_or_b64 s[48:49], s[48:49], s[4:5]
                                        ; implicit-def: $sgpr52_sgpr53
	s_branch .LBB1483_563
.LBB1483_566:
	s_or_b64 exec, exec, s[44:45]
	s_xor_b64 s[2:3], s[46:47], -1
	s_branch .LBB1483_568
.LBB1483_567:
	s_mov_b64 s[2:3], -1
.LBB1483_568:
	s_and_b64 s[2:3], s[2:3], exec
.LBB1483_569:
	s_or_b64 exec, exec, s[40:41]
	s_orn2_b64 s[40:41], s[2:3], exec
.LBB1483_570:
	s_or_b64 exec, exec, s[42:43]
	v_cndmask_b32_e64 v6, v46, v50, s[40:41]
	v_cndmask_b32_e64 v7, v27, v26, s[40:41]
	v_add_u32_e32 v8, 1, v6
	v_add_u32_e32 v6, -1, v7
	v_min_u32_e32 v6, v8, v6
	v_lshl_add_u32 v6, v6, 3, v35
	ds_read_b64 v[6:7], v6
	v_cndmask_b32_e64 v47, v8, v46, s[40:41]
	v_cndmask_b32_e64 v46, v50, v8, s[40:41]
	v_cmp_lt_u32_e32 vcc, v47, v27
	s_waitcnt lgkmcnt(0)
	v_cndmask_b32_e64 v44, v7, v40, s[40:41]
	v_cndmask_b32_e64 v45, v6, v41, s[40:41]
	v_cndmask_b32_e64 v48, v42, v7, s[40:41]
	v_cndmask_b32_e64 v49, v43, v6, s[40:41]
	s_and_saveexec_b64 s[42:43], vcc
	s_cbranch_execz .LBB1483_581
; %bb.571:
	v_cmp_lt_u32_e32 vcc, v46, v26
	s_mov_b64 s[2:3], 0
	s_and_saveexec_b64 s[30:31], vcc
	s_cbranch_execz .LBB1483_580
; %bb.572:
	s_and_b64 vcc, exec, s[0:1]
	s_cbranch_vccnz .LBB1483_578
; %bb.573:
	v_mul_lo_u32 v8, v44, s36
	v_mul_lo_u32 v9, v45, s37
	v_mad_u64_u32 v[6:7], s[2:3], v45, s36, 0
	v_add3_u32 v7, v7, v9, v8
	v_mul_lo_u32 v50, v48, s36
	v_mul_lo_u32 v51, v49, s37
	v_mad_u64_u32 v[8:9], s[2:3], v49, s36, 0
	v_add3_u32 v9, v9, v51, v50
	v_lshl_add_u64 v[6:7], v[6:7], 2, s[38:39]
	v_lshl_add_u64 v[8:9], v[8:9], 2, s[38:39]
	s_mov_b64 s[44:45], 0
	s_mov_b64 s[50:51], s[36:37]
                                        ; implicit-def: $sgpr46_sgpr47
                                        ; implicit-def: $sgpr48_sgpr49
                                        ; implicit-def: $sgpr2_sgpr3
                                        ; implicit-def: $sgpr52_sgpr53
	s_branch .LBB1483_575
.LBB1483_574:                           ;   in Loop: Header=BB1483_575 Depth=1
	s_or_b64 exec, exec, s[56:57]
	s_and_b64 s[4:5], exec, s[48:49]
	s_or_b64 s[44:45], s[4:5], s[44:45]
	s_andn2_b64 s[4:5], s[52:53], exec
	s_and_b64 s[52:53], s[54:55], exec
	s_or_b64 s[52:53], s[4:5], s[52:53]
	s_andn2_b64 s[4:5], s[46:47], exec
	s_and_b64 s[46:47], s[2:3], exec
	s_or_b64 s[46:47], s[4:5], s[46:47]
	s_andn2_b64 exec, exec, s[44:45]
	s_cbranch_execz .LBB1483_577
.LBB1483_575:                           ; =>This Inner Loop Header: Depth=1
	global_load_dword v50, v[6:7], off
	global_load_dword v51, v[8:9], off
	s_andn2_b64 s[56:57], s[2:3], exec
	s_or_b64 s[48:49], s[48:49], exec
	s_waitcnt vmcnt(0)
	v_cmp_le_u32_e64 s[2:3], v50, v51
	v_cmp_lt_u32_e32 vcc, v50, v51
	s_and_b64 s[2:3], s[2:3], s[52:53]
	s_or_b64 s[54:55], vcc, s[2:3]
	s_and_b64 s[2:3], s[54:55], exec
	v_cmp_eq_u32_e64 s[4:5], v50, v51
	s_or_b64 s[2:3], s[56:57], s[2:3]
	s_and_saveexec_b64 s[56:57], s[4:5]
	s_cbranch_execz .LBB1483_574
; %bb.576:                              ;   in Loop: Header=BB1483_575 Depth=1
	s_add_u32 s50, s50, -1
	s_addc_u32 s51, s51, -1
	s_cmp_eq_u64 s[50:51], 0
	s_cselect_b64 s[4:5], -1, 0
	s_andn2_b64 s[48:49], s[48:49], exec
	s_and_b64 s[4:5], s[4:5], exec
	v_lshl_add_u64 v[6:7], v[6:7], 0, 4
	v_lshl_add_u64 v[8:9], v[8:9], 0, 4
	s_andn2_b64 s[2:3], s[2:3], exec
	s_or_b64 s[48:49], s[48:49], s[4:5]
                                        ; implicit-def: $sgpr52_sgpr53
	s_branch .LBB1483_574
.LBB1483_577:
	s_or_b64 exec, exec, s[44:45]
	s_xor_b64 s[2:3], s[46:47], -1
	s_branch .LBB1483_579
.LBB1483_578:
	s_mov_b64 s[2:3], -1
.LBB1483_579:
	s_and_b64 s[2:3], s[2:3], exec
.LBB1483_580:
	s_or_b64 exec, exec, s[30:31]
	s_orn2_b64 s[30:31], s[2:3], exec
.LBB1483_581:
	s_or_b64 exec, exec, s[42:43]
	v_cndmask_b32_e64 v11, v10, v11, s[24:25]
	v_cndmask_b32_e64 v10, v17, v23, s[24:25]
	;; [unrolled: 1-line block ×8, first 2 shown]
	v_add_u32_e32 v24, 1, v14
	v_add_u32_e32 v14, -1, v15
	v_min_u32_e32 v14, v24, v14
	v_lshl_add_u32 v14, v14, 3, v35
	ds_read_b64 v[22:23], v14
	v_cndmask_b32_e64 v25, v24, v47, s[30:31]
	v_cndmask_b32_e64 v9, v40, v42, s[40:41]
	;; [unrolled: 1-line block ×9, first 2 shown]
	s_waitcnt lgkmcnt(0)
	v_cndmask_b32_e64 v5, v48, v23, s[30:31]
	v_cndmask_b32_e64 v4, v49, v22, s[30:31]
	v_cmp_lt_u32_e32 vcc, v25, v27
	s_and_saveexec_b64 s[12:13], vcc
	s_cbranch_execz .LBB1483_591
; %bb.582:
	v_cndmask_b32_e64 v24, v46, v24, s[30:31]
	v_cndmask_b32_e64 v23, v23, v44, s[30:31]
	;; [unrolled: 1-line block ×3, first 2 shown]
	v_cmp_lt_u32_e32 vcc, v24, v26
	s_and_saveexec_b64 s[22:23], vcc
	s_cbranch_execz .LBB1483_590
; %bb.583:
	s_and_b64 vcc, exec, s[0:1]
	s_cbranch_vccnz .LBB1483_589
; %bb.584:
	v_mul_lo_u32 v26, v23, s36
	v_mul_lo_u32 v27, v22, s37
	v_mad_u64_u32 v[24:25], s[2:3], v22, s36, 0
	v_add3_u32 v25, v25, v27, v26
	v_mul_lo_u32 v35, v5, s36
	v_mul_lo_u32 v36, v4, s37
	v_mad_u64_u32 v[26:27], s[2:3], v4, s36, 0
	v_add3_u32 v27, v27, v36, v35
	v_lshl_add_u64 v[24:25], v[24:25], 2, s[38:39]
	v_lshl_add_u64 v[26:27], v[26:27], 2, s[38:39]
	s_mov_b64 s[24:25], 0
	s_mov_b64 s[30:31], s[36:37]
                                        ; implicit-def: $sgpr26_sgpr27
                                        ; implicit-def: $sgpr28_sgpr29
                                        ; implicit-def: $sgpr2_sgpr3
                                        ; implicit-def: $sgpr40_sgpr41
	s_branch .LBB1483_586
.LBB1483_585:                           ;   in Loop: Header=BB1483_586 Depth=1
	s_or_b64 exec, exec, s[44:45]
	s_and_b64 s[4:5], exec, s[28:29]
	s_or_b64 s[24:25], s[4:5], s[24:25]
	s_andn2_b64 s[4:5], s[40:41], exec
	s_and_b64 s[40:41], s[42:43], exec
	s_or_b64 s[40:41], s[4:5], s[40:41]
	s_andn2_b64 s[4:5], s[26:27], exec
	s_and_b64 s[26:27], s[2:3], exec
	s_or_b64 s[26:27], s[4:5], s[26:27]
	s_andn2_b64 exec, exec, s[24:25]
	s_cbranch_execz .LBB1483_588
.LBB1483_586:                           ; =>This Inner Loop Header: Depth=1
	global_load_dword v35, v[24:25], off
	global_load_dword v36, v[26:27], off
	s_andn2_b64 s[44:45], s[2:3], exec
	s_or_b64 s[28:29], s[28:29], exec
	s_waitcnt vmcnt(0)
	v_cmp_le_u32_e64 s[2:3], v35, v36
	v_cmp_lt_u32_e32 vcc, v35, v36
	s_and_b64 s[2:3], s[2:3], s[40:41]
	s_or_b64 s[42:43], vcc, s[2:3]
	s_and_b64 s[2:3], s[42:43], exec
	v_cmp_eq_u32_e64 s[4:5], v35, v36
	s_or_b64 s[2:3], s[44:45], s[2:3]
	s_and_saveexec_b64 s[44:45], s[4:5]
	s_cbranch_execz .LBB1483_585
; %bb.587:                              ;   in Loop: Header=BB1483_586 Depth=1
	s_add_u32 s30, s30, -1
	s_addc_u32 s31, s31, -1
	s_cmp_eq_u64 s[30:31], 0
	s_cselect_b64 s[4:5], -1, 0
	s_andn2_b64 s[28:29], s[28:29], exec
	s_and_b64 s[4:5], s[4:5], exec
	v_lshl_add_u64 v[24:25], v[24:25], 0, 4
	v_lshl_add_u64 v[26:27], v[26:27], 0, 4
	s_andn2_b64 s[2:3], s[2:3], exec
	s_or_b64 s[28:29], s[28:29], s[4:5]
                                        ; implicit-def: $sgpr40_sgpr41
	s_branch .LBB1483_585
.LBB1483_588:
	s_or_b64 exec, exec, s[24:25]
	v_cndmask_b32_e64 v5, v5, v23, s[26:27]
	v_cndmask_b32_e64 v4, v4, v22, s[26:27]
.LBB1483_589:
	v_mov_b64_e32 v[22:23], v[4:5]
.LBB1483_590:
	s_or_b64 exec, exec, s[22:23]
	v_mov_b64_e32 v[4:5], v[22:23]
.LBB1483_591:
	s_or_b64 exec, exec, s[12:13]
.LBB1483_592:
	s_or_b64 exec, exec, s[10:11]
	v_lshlrev_b32_e32 v26, 3, v20
	s_lshl_b64 s[10:11], s[36:37], 2
	s_movk_i32 s9, 0x80
	; wave barrier
	s_waitcnt lgkmcnt(0)
	s_barrier
.LBB1483_593:                           ; =>This Loop Header: Depth=1
                                        ;     Child Loop BB1483_597 Depth 2
                                        ;       Child Loop BB1483_600 Depth 3
                                        ;     Child Loop BB1483_612 Depth 2
                                        ;     Child Loop BB1483_622 Depth 2
	;; [unrolled: 1-line block ×8, first 2 shown]
	s_lshl_b32 s15, s9, 1
	s_sub_i32 s3, 0, s15
	v_and_b32_e32 v38, s3, v20
	v_add_u32_e32 v22, s9, v38
	v_min_u32_e32 v27, 0x800, v22
	s_add_i32 s2, s15, -1
	v_add_u32_e32 v22, s9, v27
	v_min_u32_e32 v35, 0x800, v22
	v_and_b32_e32 v22, s2, v20
	v_min_u32_e32 v39, 0x800, v22
	v_sub_u32_e32 v22, v27, v38
	v_sub_u32_e32 v23, v35, v27
	v_sub_u32_e64 v37, v39, v23 clamp
	v_min_u32_e32 v40, v39, v22
	v_lshlrev_b32_e32 v36, 3, v38
	v_cmp_lt_u32_e32 vcc, v37, v40
	ds_write_b128 v26, v[14:17]
	ds_write_b128 v26, v[10:13] offset:16
	ds_write_b128 v26, v[6:9] offset:32
	;; [unrolled: 1-line block ×3, first 2 shown]
	s_waitcnt lgkmcnt(0)
	s_barrier
	s_and_saveexec_b64 s[12:13], vcc
	s_cbranch_execz .LBB1483_603
; %bb.594:                              ;   in Loop: Header=BB1483_593 Depth=1
	v_lshlrev_b32_e32 v22, 3, v39
	v_lshl_add_u32 v41, v27, 3, v22
	s_mov_b64 s[22:23], 0
	s_branch .LBB1483_597
.LBB1483_595:                           ;   in Loop: Header=BB1483_597 Depth=2
	s_or_b64 exec, exec, s[26:27]
.LBB1483_596:                           ;   in Loop: Header=BB1483_597 Depth=2
	v_add_u32_e32 v22, 1, v42
	v_cndmask_b32_e64 v40, v40, v42, s[24:25]
	v_cndmask_b32_e64 v37, v22, v37, s[24:25]
	v_cmp_ge_u32_e32 vcc, v37, v40
	s_or_b64 s[22:23], vcc, s[22:23]
	s_andn2_b64 exec, exec, s[22:23]
	s_cbranch_execz .LBB1483_602
.LBB1483_597:                           ;   Parent Loop BB1483_593 Depth=1
                                        ; =>  This Loop Header: Depth=2
                                        ;       Child Loop BB1483_600 Depth 3
	v_add_u32_e32 v22, v40, v37
	v_lshrrev_b32_e32 v42, 1, v22
	s_and_b64 vcc, exec, s[0:1]
	s_mov_b64 s[24:25], 0
	s_cbranch_vccnz .LBB1483_596
; %bb.598:                              ;   in Loop: Header=BB1483_597 Depth=2
	v_not_b32_e32 v22, v42
	v_lshl_add_u32 v22, v22, 3, v41
	ds_read_b64 v[22:23], v22
	v_lshl_add_u32 v43, v42, 3, v36
	ds_read_b64 v[44:45], v43
	v_mov_b64_e32 v[24:25], s[38:39]
	s_mov_b64 s[26:27], 0
	s_waitcnt lgkmcnt(1)
	v_mul_lo_u32 v43, s10, v23
	v_mul_lo_u32 v46, s11, v22
	v_mad_u64_u32 v[22:23], s[2:3], s10, v22, v[24:25]
	v_add3_u32 v23, v46, v23, v43
	s_waitcnt lgkmcnt(0)
	v_mul_lo_u32 v43, s10, v45
	v_mul_lo_u32 v45, s11, v44
	v_mad_u64_u32 v[24:25], s[2:3], s10, v44, v[24:25]
	v_add3_u32 v25, v45, v25, v43
	s_mov_b64 s[30:31], s[36:37]
                                        ; implicit-def: $sgpr24_sgpr25
                                        ; implicit-def: $sgpr28_sgpr29
                                        ; implicit-def: $sgpr2_sgpr3
                                        ; implicit-def: $sgpr40_sgpr41
	s_branch .LBB1483_600
.LBB1483_599:                           ;   in Loop: Header=BB1483_600 Depth=3
	s_or_b64 exec, exec, s[44:45]
	s_and_b64 s[4:5], exec, s[28:29]
	s_or_b64 s[26:27], s[4:5], s[26:27]
	s_andn2_b64 s[4:5], s[40:41], exec
	s_and_b64 s[40:41], s[42:43], exec
	s_or_b64 s[40:41], s[4:5], s[40:41]
	s_andn2_b64 s[4:5], s[24:25], exec
	s_and_b64 s[24:25], s[2:3], exec
	s_or_b64 s[24:25], s[4:5], s[24:25]
	s_andn2_b64 exec, exec, s[26:27]
	s_cbranch_execz .LBB1483_595
.LBB1483_600:                           ;   Parent Loop BB1483_593 Depth=1
                                        ;     Parent Loop BB1483_597 Depth=2
                                        ; =>    This Inner Loop Header: Depth=3
	global_load_dword v43, v[22:23], off
	global_load_dword v44, v[24:25], off
	s_andn2_b64 s[44:45], s[2:3], exec
	s_or_b64 s[28:29], s[28:29], exec
	s_waitcnt vmcnt(0)
	v_cmp_le_u32_e64 s[2:3], v43, v44
	v_cmp_lt_u32_e32 vcc, v43, v44
	s_and_b64 s[2:3], s[2:3], s[40:41]
	s_or_b64 s[42:43], vcc, s[2:3]
	s_and_b64 s[2:3], s[42:43], exec
	v_cmp_eq_u32_e64 s[4:5], v43, v44
	s_or_b64 s[2:3], s[44:45], s[2:3]
	s_and_saveexec_b64 s[44:45], s[4:5]
	s_cbranch_execz .LBB1483_599
; %bb.601:                              ;   in Loop: Header=BB1483_600 Depth=3
	s_add_u32 s30, s30, -1
	s_addc_u32 s31, s31, -1
	s_cmp_eq_u64 s[30:31], 0
	s_cselect_b64 s[4:5], -1, 0
	s_andn2_b64 s[28:29], s[28:29], exec
	s_and_b64 s[4:5], s[4:5], exec
	v_lshl_add_u64 v[22:23], v[22:23], 0, 4
	v_lshl_add_u64 v[24:25], v[24:25], 0, 4
	s_andn2_b64 s[2:3], s[2:3], exec
	s_or_b64 s[28:29], s[28:29], s[4:5]
                                        ; implicit-def: $sgpr40_sgpr41
	s_branch .LBB1483_599
.LBB1483_602:                           ;   in Loop: Header=BB1483_593 Depth=1
	s_or_b64 exec, exec, s[22:23]
.LBB1483_603:                           ;   in Loop: Header=BB1483_593 Depth=1
	s_or_b64 exec, exec, s[12:13]
	v_sub_u32_e32 v22, v39, v37
	v_add_u32_e32 v24, v37, v38
	v_add_u32_e32 v25, v22, v27
	v_cmp_le_u32_e32 vcc, v24, v27
	v_cmp_le_u32_e64 s[2:3], v25, v35
	s_or_b64 s[2:3], vcc, s[2:3]
	s_and_saveexec_b64 s[12:13], s[2:3]
	s_cbranch_execz .LBB1483_694
; %bb.604:                              ;   in Loop: Header=BB1483_593 Depth=1
	v_cmp_ge_u32_e32 vcc, v24, v27
	v_cmp_lt_u32_e64 s[2:3], v24, v27
                                        ; implicit-def: $vgpr2_vgpr3
	s_and_saveexec_b64 s[4:5], s[2:3]
; %bb.605:                              ;   in Loop: Header=BB1483_593 Depth=1
	v_lshl_add_u32 v2, v37, 3, v36
	ds_read_b64 v[2:3], v2
; %bb.606:                              ;   in Loop: Header=BB1483_593 Depth=1
	s_or_b64 exec, exec, s[4:5]
	v_cmp_ge_u32_e64 s[22:23], v25, v35
	v_cmp_lt_u32_e64 s[2:3], v25, v35
                                        ; implicit-def: $vgpr14_vgpr15
	s_and_saveexec_b64 s[4:5], s[2:3]
; %bb.607:                              ;   in Loop: Header=BB1483_593 Depth=1
	v_lshlrev_b32_e32 v4, 3, v25
	ds_read_b64 v[14:15], v4
; %bb.608:                              ;   in Loop: Header=BB1483_593 Depth=1
	s_or_b64 exec, exec, s[4:5]
	s_nor_b64 s[2:3], vcc, s[22:23]
	s_and_saveexec_b64 s[24:25], s[2:3]
	s_cbranch_execz .LBB1483_617
; %bb.609:                              ;   in Loop: Header=BB1483_593 Depth=1
	s_and_b64 vcc, exec, s[0:1]
	s_cbranch_vccnz .LBB1483_615
; %bb.610:                              ;   in Loop: Header=BB1483_593 Depth=1
	v_mov_b64_e32 v[6:7], s[38:39]
	s_waitcnt lgkmcnt(0)
	v_mad_u64_u32 v[4:5], s[2:3], s10, v14, v[6:7]
	v_mul_lo_u32 v8, s10, v15
	v_mul_lo_u32 v9, s11, v14
	v_add3_u32 v5, v9, v5, v8
	v_mad_u64_u32 v[6:7], s[2:3], s10, v2, v[6:7]
	v_mul_lo_u32 v8, s10, v3
	v_mul_lo_u32 v9, s11, v2
	v_add3_u32 v7, v9, v7, v8
	s_mov_b64 s[26:27], 0
	s_mov_b64 s[40:41], s[36:37]
                                        ; implicit-def: $sgpr28_sgpr29
                                        ; implicit-def: $sgpr30_sgpr31
                                        ; implicit-def: $sgpr2_sgpr3
                                        ; implicit-def: $sgpr42_sgpr43
	s_branch .LBB1483_612
.LBB1483_611:                           ;   in Loop: Header=BB1483_612 Depth=2
	s_or_b64 exec, exec, s[46:47]
	s_and_b64 s[4:5], exec, s[30:31]
	s_or_b64 s[26:27], s[4:5], s[26:27]
	s_andn2_b64 s[4:5], s[42:43], exec
	s_and_b64 s[42:43], s[44:45], exec
	s_or_b64 s[42:43], s[4:5], s[42:43]
	s_andn2_b64 s[4:5], s[28:29], exec
	s_and_b64 s[28:29], s[2:3], exec
	s_or_b64 s[28:29], s[4:5], s[28:29]
	s_andn2_b64 exec, exec, s[26:27]
	s_cbranch_execz .LBB1483_614
.LBB1483_612:                           ;   Parent Loop BB1483_593 Depth=1
                                        ; =>  This Inner Loop Header: Depth=2
	global_load_dword v8, v[4:5], off
	global_load_dword v9, v[6:7], off
	s_andn2_b64 s[46:47], s[2:3], exec
	s_or_b64 s[30:31], s[30:31], exec
	s_waitcnt vmcnt(0)
	v_cmp_le_u32_e64 s[2:3], v8, v9
	v_cmp_lt_u32_e32 vcc, v8, v9
	s_and_b64 s[2:3], s[2:3], s[42:43]
	s_or_b64 s[44:45], vcc, s[2:3]
	s_and_b64 s[2:3], s[44:45], exec
	v_cmp_eq_u32_e64 s[4:5], v8, v9
	s_or_b64 s[2:3], s[46:47], s[2:3]
	s_and_saveexec_b64 s[46:47], s[4:5]
	s_cbranch_execz .LBB1483_611
; %bb.613:                              ;   in Loop: Header=BB1483_612 Depth=2
	s_add_u32 s40, s40, -1
	s_addc_u32 s41, s41, -1
	s_cmp_eq_u64 s[40:41], 0
	s_cselect_b64 s[4:5], -1, 0
	s_andn2_b64 s[30:31], s[30:31], exec
	s_and_b64 s[4:5], s[4:5], exec
	v_lshl_add_u64 v[4:5], v[4:5], 0, 4
	v_lshl_add_u64 v[6:7], v[6:7], 0, 4
	s_andn2_b64 s[2:3], s[2:3], exec
	s_or_b64 s[30:31], s[30:31], s[4:5]
                                        ; implicit-def: $sgpr42_sgpr43
	s_branch .LBB1483_611
.LBB1483_614:                           ;   in Loop: Header=BB1483_593 Depth=1
	s_or_b64 exec, exec, s[26:27]
	s_xor_b64 s[2:3], s[28:29], -1
	s_branch .LBB1483_616
.LBB1483_615:                           ;   in Loop: Header=BB1483_593 Depth=1
	s_mov_b64 s[2:3], -1
.LBB1483_616:                           ;   in Loop: Header=BB1483_593 Depth=1
	s_andn2_b64 s[4:5], s[22:23], exec
	s_and_b64 s[2:3], s[2:3], exec
	s_or_b64 s[22:23], s[4:5], s[2:3]
.LBB1483_617:                           ;   in Loop: Header=BB1483_593 Depth=1
	s_or_b64 exec, exec, s[24:25]
	v_cndmask_b32_e64 v4, v25, v24, s[22:23]
	v_cndmask_b32_e64 v5, v35, v27, s[22:23]
	v_add_u32_e32 v6, 1, v4
	v_add_u32_e32 v4, -1, v5
	v_min_u32_e32 v4, v6, v4
	v_lshlrev_b32_e32 v4, 3, v4
	ds_read_b64 v[4:5], v4
	v_cndmask_b32_e64 v8, v6, v25, s[22:23]
	v_cndmask_b32_e64 v9, v24, v6, s[22:23]
	v_cmp_lt_u32_e32 vcc, v8, v35
	s_mov_b64 s[26:27], -1
	s_waitcnt lgkmcnt(0)
	v_cndmask_b32_e64 v16, v5, v15, s[22:23]
	v_cndmask_b32_e64 v22, v4, v14, s[22:23]
	;; [unrolled: 1-line block ×4, first 2 shown]
	s_mov_b64 s[24:25], -1
	s_and_saveexec_b64 s[28:29], vcc
	s_cbranch_execz .LBB1483_628
; %bb.618:                              ;   in Loop: Header=BB1483_593 Depth=1
	v_cmp_lt_u32_e32 vcc, v9, v27
	s_mov_b64 s[2:3], 0
	s_and_saveexec_b64 s[24:25], vcc
	s_cbranch_execz .LBB1483_627
; %bb.619:                              ;   in Loop: Header=BB1483_593 Depth=1
	s_and_b64 vcc, exec, s[0:1]
	s_cbranch_vccnz .LBB1483_625
; %bb.620:                              ;   in Loop: Header=BB1483_593 Depth=1
	v_mov_b64_e32 v[6:7], s[38:39]
	v_mad_u64_u32 v[4:5], s[2:3], s10, v22, v[6:7]
	v_mul_lo_u32 v10, s10, v16
	v_mul_lo_u32 v11, s11, v22
	v_add3_u32 v5, v11, v5, v10
	v_mad_u64_u32 v[6:7], s[2:3], s10, v23, v[6:7]
	v_mul_lo_u32 v10, s10, v17
	v_mul_lo_u32 v11, s11, v23
	v_add3_u32 v7, v11, v7, v10
	s_mov_b64 s[30:31], 0
	s_mov_b64 s[44:45], s[36:37]
                                        ; implicit-def: $sgpr40_sgpr41
                                        ; implicit-def: $sgpr42_sgpr43
                                        ; implicit-def: $sgpr2_sgpr3
                                        ; implicit-def: $sgpr46_sgpr47
	s_branch .LBB1483_622
.LBB1483_621:                           ;   in Loop: Header=BB1483_622 Depth=2
	s_or_b64 exec, exec, s[50:51]
	s_and_b64 s[4:5], exec, s[42:43]
	s_or_b64 s[30:31], s[4:5], s[30:31]
	s_andn2_b64 s[4:5], s[46:47], exec
	s_and_b64 s[46:47], s[48:49], exec
	s_or_b64 s[46:47], s[4:5], s[46:47]
	s_andn2_b64 s[4:5], s[40:41], exec
	s_and_b64 s[40:41], s[2:3], exec
	s_or_b64 s[40:41], s[4:5], s[40:41]
	s_andn2_b64 exec, exec, s[30:31]
	s_cbranch_execz .LBB1483_624
.LBB1483_622:                           ;   Parent Loop BB1483_593 Depth=1
                                        ; =>  This Inner Loop Header: Depth=2
	global_load_dword v10, v[4:5], off
	global_load_dword v11, v[6:7], off
	s_andn2_b64 s[50:51], s[2:3], exec
	s_or_b64 s[42:43], s[42:43], exec
	s_waitcnt vmcnt(0)
	v_cmp_le_u32_e64 s[2:3], v10, v11
	v_cmp_lt_u32_e32 vcc, v10, v11
	s_and_b64 s[2:3], s[2:3], s[46:47]
	s_or_b64 s[48:49], vcc, s[2:3]
	s_and_b64 s[2:3], s[48:49], exec
	v_cmp_eq_u32_e64 s[4:5], v10, v11
	s_or_b64 s[2:3], s[50:51], s[2:3]
	s_and_saveexec_b64 s[50:51], s[4:5]
	s_cbranch_execz .LBB1483_621
; %bb.623:                              ;   in Loop: Header=BB1483_622 Depth=2
	s_add_u32 s44, s44, -1
	s_addc_u32 s45, s45, -1
	s_cmp_eq_u64 s[44:45], 0
	s_cselect_b64 s[4:5], -1, 0
	s_andn2_b64 s[42:43], s[42:43], exec
	s_and_b64 s[4:5], s[4:5], exec
	v_lshl_add_u64 v[4:5], v[4:5], 0, 4
	v_lshl_add_u64 v[6:7], v[6:7], 0, 4
	s_andn2_b64 s[2:3], s[2:3], exec
	s_or_b64 s[42:43], s[42:43], s[4:5]
                                        ; implicit-def: $sgpr46_sgpr47
	s_branch .LBB1483_621
.LBB1483_624:                           ;   in Loop: Header=BB1483_593 Depth=1
	s_or_b64 exec, exec, s[30:31]
	s_xor_b64 s[2:3], s[40:41], -1
	s_branch .LBB1483_626
.LBB1483_625:                           ;   in Loop: Header=BB1483_593 Depth=1
	s_mov_b64 s[2:3], -1
.LBB1483_626:                           ;   in Loop: Header=BB1483_593 Depth=1
	s_and_b64 s[2:3], s[2:3], exec
.LBB1483_627:                           ;   in Loop: Header=BB1483_593 Depth=1
	s_or_b64 exec, exec, s[24:25]
	s_orn2_b64 s[24:25], s[2:3], exec
.LBB1483_628:                           ;   in Loop: Header=BB1483_593 Depth=1
	s_or_b64 exec, exec, s[28:29]
	v_cndmask_b32_e64 v4, v8, v9, s[24:25]
	v_cndmask_b32_e64 v5, v35, v27, s[24:25]
	v_add_u32_e32 v6, 1, v4
	v_add_u32_e32 v4, -1, v5
	v_min_u32_e32 v4, v6, v4
	v_lshlrev_b32_e32 v4, 3, v4
	ds_read_b64 v[4:5], v4
	v_cndmask_b32_e64 v8, v6, v8, s[24:25]
	v_cndmask_b32_e64 v9, v9, v6, s[24:25]
	v_cmp_lt_u32_e32 vcc, v8, v35
	s_waitcnt lgkmcnt(0)
	v_cndmask_b32_e64 v24, v5, v16, s[24:25]
	v_cndmask_b32_e64 v25, v4, v22, s[24:25]
	;; [unrolled: 1-line block ×4, first 2 shown]
	s_and_saveexec_b64 s[28:29], vcc
	s_cbranch_execz .LBB1483_639
; %bb.629:                              ;   in Loop: Header=BB1483_593 Depth=1
	v_cmp_lt_u32_e32 vcc, v9, v27
	s_mov_b64 s[2:3], 0
	s_and_saveexec_b64 s[26:27], vcc
	s_cbranch_execz .LBB1483_638
; %bb.630:                              ;   in Loop: Header=BB1483_593 Depth=1
	s_and_b64 vcc, exec, s[0:1]
	s_cbranch_vccnz .LBB1483_636
; %bb.631:                              ;   in Loop: Header=BB1483_593 Depth=1
	v_mov_b64_e32 v[6:7], s[38:39]
	v_mad_u64_u32 v[4:5], s[2:3], s10, v25, v[6:7]
	v_mul_lo_u32 v10, s10, v24
	v_mul_lo_u32 v11, s11, v25
	v_add3_u32 v5, v11, v5, v10
	v_mad_u64_u32 v[6:7], s[2:3], s10, v37, v[6:7]
	v_mul_lo_u32 v10, s10, v36
	v_mul_lo_u32 v11, s11, v37
	v_add3_u32 v7, v11, v7, v10
	s_mov_b64 s[30:31], 0
	s_mov_b64 s[44:45], s[36:37]
                                        ; implicit-def: $sgpr40_sgpr41
                                        ; implicit-def: $sgpr42_sgpr43
                                        ; implicit-def: $sgpr2_sgpr3
                                        ; implicit-def: $sgpr46_sgpr47
	s_branch .LBB1483_633
.LBB1483_632:                           ;   in Loop: Header=BB1483_633 Depth=2
	s_or_b64 exec, exec, s[50:51]
	s_and_b64 s[4:5], exec, s[42:43]
	s_or_b64 s[30:31], s[4:5], s[30:31]
	s_andn2_b64 s[4:5], s[46:47], exec
	s_and_b64 s[46:47], s[48:49], exec
	s_or_b64 s[46:47], s[4:5], s[46:47]
	s_andn2_b64 s[4:5], s[40:41], exec
	s_and_b64 s[40:41], s[2:3], exec
	s_or_b64 s[40:41], s[4:5], s[40:41]
	s_andn2_b64 exec, exec, s[30:31]
	s_cbranch_execz .LBB1483_635
.LBB1483_633:                           ;   Parent Loop BB1483_593 Depth=1
                                        ; =>  This Inner Loop Header: Depth=2
	global_load_dword v10, v[4:5], off
	global_load_dword v11, v[6:7], off
	s_andn2_b64 s[50:51], s[2:3], exec
	s_or_b64 s[42:43], s[42:43], exec
	s_waitcnt vmcnt(0)
	v_cmp_le_u32_e64 s[2:3], v10, v11
	v_cmp_lt_u32_e32 vcc, v10, v11
	s_and_b64 s[2:3], s[2:3], s[46:47]
	s_or_b64 s[48:49], vcc, s[2:3]
	s_and_b64 s[2:3], s[48:49], exec
	v_cmp_eq_u32_e64 s[4:5], v10, v11
	s_or_b64 s[2:3], s[50:51], s[2:3]
	s_and_saveexec_b64 s[50:51], s[4:5]
	s_cbranch_execz .LBB1483_632
; %bb.634:                              ;   in Loop: Header=BB1483_633 Depth=2
	s_add_u32 s44, s44, -1
	s_addc_u32 s45, s45, -1
	s_cmp_eq_u64 s[44:45], 0
	s_cselect_b64 s[4:5], -1, 0
	s_andn2_b64 s[42:43], s[42:43], exec
	s_and_b64 s[4:5], s[4:5], exec
	v_lshl_add_u64 v[4:5], v[4:5], 0, 4
	v_lshl_add_u64 v[6:7], v[6:7], 0, 4
	s_andn2_b64 s[2:3], s[2:3], exec
	s_or_b64 s[42:43], s[42:43], s[4:5]
                                        ; implicit-def: $sgpr46_sgpr47
	s_branch .LBB1483_632
.LBB1483_635:                           ;   in Loop: Header=BB1483_593 Depth=1
	s_or_b64 exec, exec, s[30:31]
	s_xor_b64 s[2:3], s[40:41], -1
	s_branch .LBB1483_637
.LBB1483_636:                           ;   in Loop: Header=BB1483_593 Depth=1
	s_mov_b64 s[2:3], -1
.LBB1483_637:                           ;   in Loop: Header=BB1483_593 Depth=1
	s_and_b64 s[2:3], s[2:3], exec
.LBB1483_638:                           ;   in Loop: Header=BB1483_593 Depth=1
	s_or_b64 exec, exec, s[26:27]
	s_orn2_b64 s[26:27], s[2:3], exec
.LBB1483_639:                           ;   in Loop: Header=BB1483_593 Depth=1
	s_or_b64 exec, exec, s[28:29]
	v_cndmask_b32_e64 v4, v8, v9, s[26:27]
	v_cndmask_b32_e64 v5, v35, v27, s[26:27]
	v_add_u32_e32 v6, 1, v4
	v_add_u32_e32 v4, -1, v5
	v_min_u32_e32 v4, v6, v4
	v_lshlrev_b32_e32 v4, 3, v4
	ds_read_b64 v[4:5], v4
	v_cndmask_b32_e64 v8, v6, v8, s[26:27]
	v_cndmask_b32_e64 v9, v9, v6, s[26:27]
	v_cmp_lt_u32_e32 vcc, v8, v35
	s_mov_b64 s[30:31], -1
	s_waitcnt lgkmcnt(0)
	v_cndmask_b32_e64 v12, v5, v24, s[26:27]
	v_cndmask_b32_e64 v38, v4, v25, s[26:27]
	;; [unrolled: 1-line block ×4, first 2 shown]
	s_mov_b64 s[28:29], -1
	s_and_saveexec_b64 s[40:41], vcc
	s_cbranch_execz .LBB1483_650
; %bb.640:                              ;   in Loop: Header=BB1483_593 Depth=1
	v_cmp_lt_u32_e32 vcc, v9, v27
	s_mov_b64 s[2:3], 0
	s_and_saveexec_b64 s[28:29], vcc
	s_cbranch_execz .LBB1483_649
; %bb.641:                              ;   in Loop: Header=BB1483_593 Depth=1
	s_and_b64 vcc, exec, s[0:1]
	s_cbranch_vccnz .LBB1483_647
; %bb.642:                              ;   in Loop: Header=BB1483_593 Depth=1
	v_mov_b64_e32 v[6:7], s[38:39]
	v_mad_u64_u32 v[4:5], s[2:3], s10, v38, v[6:7]
	v_mul_lo_u32 v10, s10, v12
	v_mul_lo_u32 v11, s11, v38
	v_add3_u32 v5, v11, v5, v10
	v_mad_u64_u32 v[6:7], s[2:3], s10, v39, v[6:7]
	v_mul_lo_u32 v10, s10, v13
	v_mul_lo_u32 v11, s11, v39
	v_add3_u32 v7, v11, v7, v10
	s_mov_b64 s[42:43], 0
	s_mov_b64 s[48:49], s[36:37]
                                        ; implicit-def: $sgpr44_sgpr45
                                        ; implicit-def: $sgpr46_sgpr47
                                        ; implicit-def: $sgpr2_sgpr3
                                        ; implicit-def: $sgpr50_sgpr51
	s_branch .LBB1483_644
.LBB1483_643:                           ;   in Loop: Header=BB1483_644 Depth=2
	s_or_b64 exec, exec, s[54:55]
	s_and_b64 s[4:5], exec, s[46:47]
	s_or_b64 s[42:43], s[4:5], s[42:43]
	s_andn2_b64 s[4:5], s[50:51], exec
	s_and_b64 s[50:51], s[52:53], exec
	s_or_b64 s[50:51], s[4:5], s[50:51]
	s_andn2_b64 s[4:5], s[44:45], exec
	s_and_b64 s[44:45], s[2:3], exec
	s_or_b64 s[44:45], s[4:5], s[44:45]
	s_andn2_b64 exec, exec, s[42:43]
	s_cbranch_execz .LBB1483_646
.LBB1483_644:                           ;   Parent Loop BB1483_593 Depth=1
                                        ; =>  This Inner Loop Header: Depth=2
	global_load_dword v10, v[4:5], off
	global_load_dword v11, v[6:7], off
	s_andn2_b64 s[54:55], s[2:3], exec
	s_or_b64 s[46:47], s[46:47], exec
	s_waitcnt vmcnt(0)
	v_cmp_le_u32_e64 s[2:3], v10, v11
	v_cmp_lt_u32_e32 vcc, v10, v11
	s_and_b64 s[2:3], s[2:3], s[50:51]
	s_or_b64 s[52:53], vcc, s[2:3]
	s_and_b64 s[2:3], s[52:53], exec
	v_cmp_eq_u32_e64 s[4:5], v10, v11
	s_or_b64 s[2:3], s[54:55], s[2:3]
	s_and_saveexec_b64 s[54:55], s[4:5]
	s_cbranch_execz .LBB1483_643
; %bb.645:                              ;   in Loop: Header=BB1483_644 Depth=2
	s_add_u32 s48, s48, -1
	s_addc_u32 s49, s49, -1
	s_cmp_eq_u64 s[48:49], 0
	s_cselect_b64 s[4:5], -1, 0
	s_andn2_b64 s[46:47], s[46:47], exec
	s_and_b64 s[4:5], s[4:5], exec
	v_lshl_add_u64 v[4:5], v[4:5], 0, 4
	v_lshl_add_u64 v[6:7], v[6:7], 0, 4
	s_andn2_b64 s[2:3], s[2:3], exec
	s_or_b64 s[46:47], s[46:47], s[4:5]
                                        ; implicit-def: $sgpr50_sgpr51
	s_branch .LBB1483_643
.LBB1483_646:                           ;   in Loop: Header=BB1483_593 Depth=1
	s_or_b64 exec, exec, s[42:43]
	s_xor_b64 s[2:3], s[44:45], -1
	s_branch .LBB1483_648
.LBB1483_647:                           ;   in Loop: Header=BB1483_593 Depth=1
	s_mov_b64 s[2:3], -1
.LBB1483_648:                           ;   in Loop: Header=BB1483_593 Depth=1
	s_and_b64 s[2:3], s[2:3], exec
.LBB1483_649:                           ;   in Loop: Header=BB1483_593 Depth=1
	s_or_b64 exec, exec, s[28:29]
	s_orn2_b64 s[28:29], s[2:3], exec
.LBB1483_650:                           ;   in Loop: Header=BB1483_593 Depth=1
	s_or_b64 exec, exec, s[40:41]
	v_cndmask_b32_e64 v4, v8, v9, s[28:29]
	v_cndmask_b32_e64 v5, v35, v27, s[28:29]
	v_add_u32_e32 v6, 1, v4
	v_add_u32_e32 v4, -1, v5
	v_min_u32_e32 v4, v6, v4
	v_lshlrev_b32_e32 v4, 3, v4
	ds_read_b64 v[4:5], v4
	v_cndmask_b32_e64 v8, v6, v8, s[28:29]
	v_cndmask_b32_e64 v9, v9, v6, s[28:29]
	v_cmp_lt_u32_e32 vcc, v8, v35
	s_waitcnt lgkmcnt(0)
	v_cndmask_b32_e64 v40, v5, v12, s[28:29]
	v_cndmask_b32_e64 v41, v4, v38, s[28:29]
	v_cndmask_b32_e64 v42, v13, v5, s[28:29]
	v_cndmask_b32_e64 v43, v39, v4, s[28:29]
	s_and_saveexec_b64 s[40:41], vcc
	s_cbranch_execz .LBB1483_661
; %bb.651:                              ;   in Loop: Header=BB1483_593 Depth=1
	v_cmp_lt_u32_e32 vcc, v9, v27
	s_mov_b64 s[2:3], 0
	s_and_saveexec_b64 s[30:31], vcc
	s_cbranch_execz .LBB1483_660
; %bb.652:                              ;   in Loop: Header=BB1483_593 Depth=1
	s_and_b64 vcc, exec, s[0:1]
	s_cbranch_vccnz .LBB1483_658
; %bb.653:                              ;   in Loop: Header=BB1483_593 Depth=1
	v_mov_b64_e32 v[6:7], s[38:39]
	v_mad_u64_u32 v[4:5], s[2:3], s10, v41, v[6:7]
	v_mul_lo_u32 v10, s10, v40
	v_mul_lo_u32 v11, s11, v41
	v_add3_u32 v5, v11, v5, v10
	v_mad_u64_u32 v[6:7], s[2:3], s10, v43, v[6:7]
	v_mul_lo_u32 v10, s10, v42
	v_mul_lo_u32 v11, s11, v43
	v_add3_u32 v7, v11, v7, v10
	s_mov_b64 s[42:43], 0
	s_mov_b64 s[48:49], s[36:37]
                                        ; implicit-def: $sgpr44_sgpr45
                                        ; implicit-def: $sgpr46_sgpr47
                                        ; implicit-def: $sgpr2_sgpr3
                                        ; implicit-def: $sgpr50_sgpr51
	s_branch .LBB1483_655
.LBB1483_654:                           ;   in Loop: Header=BB1483_655 Depth=2
	s_or_b64 exec, exec, s[54:55]
	s_and_b64 s[4:5], exec, s[46:47]
	s_or_b64 s[42:43], s[4:5], s[42:43]
	s_andn2_b64 s[4:5], s[50:51], exec
	s_and_b64 s[50:51], s[52:53], exec
	s_or_b64 s[50:51], s[4:5], s[50:51]
	s_andn2_b64 s[4:5], s[44:45], exec
	s_and_b64 s[44:45], s[2:3], exec
	s_or_b64 s[44:45], s[4:5], s[44:45]
	s_andn2_b64 exec, exec, s[42:43]
	s_cbranch_execz .LBB1483_657
.LBB1483_655:                           ;   Parent Loop BB1483_593 Depth=1
                                        ; =>  This Inner Loop Header: Depth=2
	global_load_dword v10, v[4:5], off
	global_load_dword v11, v[6:7], off
	s_andn2_b64 s[54:55], s[2:3], exec
	s_or_b64 s[46:47], s[46:47], exec
	s_waitcnt vmcnt(0)
	v_cmp_le_u32_e64 s[2:3], v10, v11
	v_cmp_lt_u32_e32 vcc, v10, v11
	s_and_b64 s[2:3], s[2:3], s[50:51]
	s_or_b64 s[52:53], vcc, s[2:3]
	s_and_b64 s[2:3], s[52:53], exec
	v_cmp_eq_u32_e64 s[4:5], v10, v11
	s_or_b64 s[2:3], s[54:55], s[2:3]
	s_and_saveexec_b64 s[54:55], s[4:5]
	s_cbranch_execz .LBB1483_654
; %bb.656:                              ;   in Loop: Header=BB1483_655 Depth=2
	s_add_u32 s48, s48, -1
	s_addc_u32 s49, s49, -1
	s_cmp_eq_u64 s[48:49], 0
	s_cselect_b64 s[4:5], -1, 0
	s_andn2_b64 s[46:47], s[46:47], exec
	s_and_b64 s[4:5], s[4:5], exec
	v_lshl_add_u64 v[4:5], v[4:5], 0, 4
	v_lshl_add_u64 v[6:7], v[6:7], 0, 4
	s_andn2_b64 s[2:3], s[2:3], exec
	s_or_b64 s[46:47], s[46:47], s[4:5]
                                        ; implicit-def: $sgpr50_sgpr51
	s_branch .LBB1483_654
.LBB1483_657:                           ;   in Loop: Header=BB1483_593 Depth=1
	s_or_b64 exec, exec, s[42:43]
	s_xor_b64 s[2:3], s[44:45], -1
	s_branch .LBB1483_659
.LBB1483_658:                           ;   in Loop: Header=BB1483_593 Depth=1
	s_mov_b64 s[2:3], -1
.LBB1483_659:                           ;   in Loop: Header=BB1483_593 Depth=1
	s_and_b64 s[2:3], s[2:3], exec
.LBB1483_660:                           ;   in Loop: Header=BB1483_593 Depth=1
	s_or_b64 exec, exec, s[30:31]
	s_orn2_b64 s[30:31], s[2:3], exec
.LBB1483_661:                           ;   in Loop: Header=BB1483_593 Depth=1
	s_or_b64 exec, exec, s[40:41]
	v_cndmask_b32_e64 v4, v8, v9, s[30:31]
	v_cndmask_b32_e64 v5, v35, v27, s[30:31]
	v_add_u32_e32 v6, 1, v4
	v_add_u32_e32 v4, -1, v5
	v_min_u32_e32 v4, v6, v4
	v_lshlrev_b32_e32 v4, 3, v4
	ds_read_b64 v[4:5], v4
	v_cndmask_b32_e64 v8, v6, v8, s[30:31]
	v_cndmask_b32_e64 v9, v9, v6, s[30:31]
	v_cmp_lt_u32_e32 vcc, v8, v35
	s_mov_b64 s[40:41], -1
	s_waitcnt lgkmcnt(0)
	v_cndmask_b32_e64 v44, v5, v40, s[30:31]
	v_cndmask_b32_e64 v45, v4, v41, s[30:31]
	v_cndmask_b32_e64 v46, v42, v5, s[30:31]
	v_cndmask_b32_e64 v47, v43, v4, s[30:31]
	s_mov_b64 s[42:43], -1
	s_and_saveexec_b64 s[44:45], vcc
	s_cbranch_execz .LBB1483_672
; %bb.662:                              ;   in Loop: Header=BB1483_593 Depth=1
	v_cmp_lt_u32_e32 vcc, v9, v27
	s_mov_b64 s[2:3], 0
	s_and_saveexec_b64 s[42:43], vcc
	s_cbranch_execz .LBB1483_671
; %bb.663:                              ;   in Loop: Header=BB1483_593 Depth=1
	s_and_b64 vcc, exec, s[0:1]
	s_cbranch_vccnz .LBB1483_669
; %bb.664:                              ;   in Loop: Header=BB1483_593 Depth=1
	v_mov_b64_e32 v[6:7], s[38:39]
	v_mad_u64_u32 v[4:5], s[2:3], s10, v45, v[6:7]
	v_mul_lo_u32 v10, s10, v44
	v_mul_lo_u32 v11, s11, v45
	v_add3_u32 v5, v11, v5, v10
	v_mad_u64_u32 v[6:7], s[2:3], s10, v47, v[6:7]
	v_mul_lo_u32 v10, s10, v46
	v_mul_lo_u32 v11, s11, v47
	v_add3_u32 v7, v11, v7, v10
	s_mov_b64 s[46:47], 0
	s_mov_b64 s[52:53], s[36:37]
                                        ; implicit-def: $sgpr48_sgpr49
                                        ; implicit-def: $sgpr50_sgpr51
                                        ; implicit-def: $sgpr2_sgpr3
                                        ; implicit-def: $sgpr54_sgpr55
	s_branch .LBB1483_666
.LBB1483_665:                           ;   in Loop: Header=BB1483_666 Depth=2
	s_or_b64 exec, exec, s[58:59]
	s_and_b64 s[4:5], exec, s[50:51]
	s_or_b64 s[46:47], s[4:5], s[46:47]
	s_andn2_b64 s[4:5], s[54:55], exec
	s_and_b64 s[54:55], s[56:57], exec
	s_or_b64 s[54:55], s[4:5], s[54:55]
	s_andn2_b64 s[4:5], s[48:49], exec
	s_and_b64 s[48:49], s[2:3], exec
	s_or_b64 s[48:49], s[4:5], s[48:49]
	s_andn2_b64 exec, exec, s[46:47]
	s_cbranch_execz .LBB1483_668
.LBB1483_666:                           ;   Parent Loop BB1483_593 Depth=1
                                        ; =>  This Inner Loop Header: Depth=2
	global_load_dword v10, v[4:5], off
	global_load_dword v11, v[6:7], off
	s_andn2_b64 s[58:59], s[2:3], exec
	s_or_b64 s[50:51], s[50:51], exec
	s_waitcnt vmcnt(0)
	v_cmp_le_u32_e64 s[2:3], v10, v11
	v_cmp_lt_u32_e32 vcc, v10, v11
	s_and_b64 s[2:3], s[2:3], s[54:55]
	s_or_b64 s[56:57], vcc, s[2:3]
	s_and_b64 s[2:3], s[56:57], exec
	v_cmp_eq_u32_e64 s[4:5], v10, v11
	s_or_b64 s[2:3], s[58:59], s[2:3]
	s_and_saveexec_b64 s[58:59], s[4:5]
	s_cbranch_execz .LBB1483_665
; %bb.667:                              ;   in Loop: Header=BB1483_666 Depth=2
	s_add_u32 s52, s52, -1
	s_addc_u32 s53, s53, -1
	s_cmp_eq_u64 s[52:53], 0
	s_cselect_b64 s[4:5], -1, 0
	s_andn2_b64 s[50:51], s[50:51], exec
	s_and_b64 s[4:5], s[4:5], exec
	v_lshl_add_u64 v[4:5], v[4:5], 0, 4
	v_lshl_add_u64 v[6:7], v[6:7], 0, 4
	s_andn2_b64 s[2:3], s[2:3], exec
	s_or_b64 s[50:51], s[50:51], s[4:5]
                                        ; implicit-def: $sgpr54_sgpr55
	s_branch .LBB1483_665
.LBB1483_668:                           ;   in Loop: Header=BB1483_593 Depth=1
	s_or_b64 exec, exec, s[46:47]
	s_xor_b64 s[2:3], s[48:49], -1
	s_branch .LBB1483_670
.LBB1483_669:                           ;   in Loop: Header=BB1483_593 Depth=1
	s_mov_b64 s[2:3], -1
.LBB1483_670:                           ;   in Loop: Header=BB1483_593 Depth=1
	s_and_b64 s[2:3], s[2:3], exec
.LBB1483_671:                           ;   in Loop: Header=BB1483_593 Depth=1
	s_or_b64 exec, exec, s[42:43]
	s_orn2_b64 s[42:43], s[2:3], exec
.LBB1483_672:                           ;   in Loop: Header=BB1483_593 Depth=1
	s_or_b64 exec, exec, s[44:45]
	v_cndmask_b32_e64 v4, v8, v9, s[42:43]
	v_cndmask_b32_e64 v5, v35, v27, s[42:43]
	v_add_u32_e32 v6, 1, v4
	v_add_u32_e32 v4, -1, v5
	v_min_u32_e32 v4, v6, v4
	v_lshlrev_b32_e32 v4, 3, v4
	ds_read_b64 v[4:5], v4
	v_cndmask_b32_e64 v10, v6, v8, s[42:43]
	v_cndmask_b32_e64 v8, v9, v6, s[42:43]
	v_cmp_lt_u32_e32 vcc, v10, v35
	s_waitcnt lgkmcnt(0)
	v_cndmask_b32_e64 v48, v5, v44, s[42:43]
	v_cndmask_b32_e64 v49, v4, v45, s[42:43]
	;; [unrolled: 1-line block ×4, first 2 shown]
	s_and_saveexec_b64 s[44:45], vcc
	s_cbranch_execz .LBB1483_683
; %bb.673:                              ;   in Loop: Header=BB1483_593 Depth=1
	v_cmp_lt_u32_e32 vcc, v8, v27
	s_mov_b64 s[2:3], 0
	s_and_saveexec_b64 s[40:41], vcc
	s_cbranch_execz .LBB1483_682
; %bb.674:                              ;   in Loop: Header=BB1483_593 Depth=1
	s_and_b64 vcc, exec, s[0:1]
	s_cbranch_vccnz .LBB1483_680
; %bb.675:                              ;   in Loop: Header=BB1483_593 Depth=1
	v_mov_b64_e32 v[6:7], s[38:39]
	v_mad_u64_u32 v[4:5], s[2:3], s10, v49, v[6:7]
	v_mul_lo_u32 v9, s10, v48
	v_mul_lo_u32 v11, s11, v49
	v_add3_u32 v5, v11, v5, v9
	v_mad_u64_u32 v[6:7], s[2:3], s10, v51, v[6:7]
	v_mul_lo_u32 v9, s10, v50
	v_mul_lo_u32 v11, s11, v51
	v_add3_u32 v7, v11, v7, v9
	s_mov_b64 s[46:47], 0
	s_mov_b64 s[52:53], s[36:37]
                                        ; implicit-def: $sgpr48_sgpr49
                                        ; implicit-def: $sgpr50_sgpr51
                                        ; implicit-def: $sgpr2_sgpr3
                                        ; implicit-def: $sgpr54_sgpr55
	s_branch .LBB1483_677
.LBB1483_676:                           ;   in Loop: Header=BB1483_677 Depth=2
	s_or_b64 exec, exec, s[58:59]
	s_and_b64 s[4:5], exec, s[50:51]
	s_or_b64 s[46:47], s[4:5], s[46:47]
	s_andn2_b64 s[4:5], s[54:55], exec
	s_and_b64 s[54:55], s[56:57], exec
	s_or_b64 s[54:55], s[4:5], s[54:55]
	s_andn2_b64 s[4:5], s[48:49], exec
	s_and_b64 s[48:49], s[2:3], exec
	s_or_b64 s[48:49], s[4:5], s[48:49]
	s_andn2_b64 exec, exec, s[46:47]
	s_cbranch_execz .LBB1483_679
.LBB1483_677:                           ;   Parent Loop BB1483_593 Depth=1
                                        ; =>  This Inner Loop Header: Depth=2
	global_load_dword v9, v[4:5], off
	global_load_dword v11, v[6:7], off
	s_andn2_b64 s[58:59], s[2:3], exec
	s_or_b64 s[50:51], s[50:51], exec
	s_waitcnt vmcnt(0)
	v_cmp_le_u32_e64 s[2:3], v9, v11
	v_cmp_lt_u32_e32 vcc, v9, v11
	s_and_b64 s[2:3], s[2:3], s[54:55]
	s_or_b64 s[56:57], vcc, s[2:3]
	s_and_b64 s[2:3], s[56:57], exec
	v_cmp_eq_u32_e64 s[4:5], v9, v11
	s_or_b64 s[2:3], s[58:59], s[2:3]
	s_and_saveexec_b64 s[58:59], s[4:5]
	s_cbranch_execz .LBB1483_676
; %bb.678:                              ;   in Loop: Header=BB1483_677 Depth=2
	s_add_u32 s52, s52, -1
	s_addc_u32 s53, s53, -1
	s_cmp_eq_u64 s[52:53], 0
	s_cselect_b64 s[4:5], -1, 0
	s_andn2_b64 s[50:51], s[50:51], exec
	s_and_b64 s[4:5], s[4:5], exec
	v_lshl_add_u64 v[4:5], v[4:5], 0, 4
	v_lshl_add_u64 v[6:7], v[6:7], 0, 4
	s_andn2_b64 s[2:3], s[2:3], exec
	s_or_b64 s[50:51], s[50:51], s[4:5]
                                        ; implicit-def: $sgpr54_sgpr55
	s_branch .LBB1483_676
.LBB1483_679:                           ;   in Loop: Header=BB1483_593 Depth=1
	s_or_b64 exec, exec, s[46:47]
	s_xor_b64 s[2:3], s[48:49], -1
	s_branch .LBB1483_681
.LBB1483_680:                           ;   in Loop: Header=BB1483_593 Depth=1
	s_mov_b64 s[2:3], -1
.LBB1483_681:                           ;   in Loop: Header=BB1483_593 Depth=1
	s_and_b64 s[2:3], s[2:3], exec
.LBB1483_682:                           ;   in Loop: Header=BB1483_593 Depth=1
	s_or_b64 exec, exec, s[40:41]
	s_orn2_b64 s[40:41], s[2:3], exec
.LBB1483_683:                           ;   in Loop: Header=BB1483_593 Depth=1
	s_or_b64 exec, exec, s[44:45]
	v_cndmask_b32_e64 v4, v10, v8, s[40:41]
	v_cndmask_b32_e64 v5, v35, v27, s[40:41]
	v_add_u32_e32 v9, 1, v4
	v_add_u32_e32 v4, -1, v5
	v_min_u32_e32 v4, v9, v4
	v_lshlrev_b32_e32 v4, 3, v4
	ds_read_b64 v[6:7], v4
	v_cndmask_b32_e64 v10, v9, v10, s[40:41]
	v_cmp_lt_u32_e32 vcc, v10, v35
	s_waitcnt lgkmcnt(0)
	v_cndmask_b32_e64 v5, v50, v7, s[40:41]
	v_cndmask_b32_e64 v4, v51, v6, s[40:41]
	s_and_saveexec_b64 s[44:45], vcc
	s_cbranch_execz .LBB1483_693
; %bb.684:                              ;   in Loop: Header=BB1483_593 Depth=1
	v_cndmask_b32_e64 v8, v8, v9, s[40:41]
	v_cndmask_b32_e64 v7, v7, v48, s[40:41]
	;; [unrolled: 1-line block ×3, first 2 shown]
	v_cmp_lt_u32_e32 vcc, v8, v27
	s_and_saveexec_b64 s[46:47], vcc
	s_cbranch_execz .LBB1483_692
; %bb.685:                              ;   in Loop: Header=BB1483_593 Depth=1
	s_and_b64 vcc, exec, s[0:1]
	s_cbranch_vccnz .LBB1483_691
; %bb.686:                              ;   in Loop: Header=BB1483_593 Depth=1
	v_mov_b64_e32 v[10:11], s[38:39]
	v_mad_u64_u32 v[8:9], s[2:3], s10, v6, v[10:11]
	v_mul_lo_u32 v27, s10, v7
	v_mul_lo_u32 v35, s11, v6
	v_add3_u32 v9, v35, v9, v27
	v_mad_u64_u32 v[10:11], s[2:3], s10, v4, v[10:11]
	v_mul_lo_u32 v27, s10, v5
	v_mul_lo_u32 v35, s11, v4
	v_add3_u32 v11, v35, v11, v27
	s_mov_b64 s[48:49], 0
	s_mov_b64 s[54:55], s[36:37]
                                        ; implicit-def: $sgpr50_sgpr51
                                        ; implicit-def: $sgpr52_sgpr53
                                        ; implicit-def: $sgpr2_sgpr3
                                        ; implicit-def: $sgpr56_sgpr57
	s_branch .LBB1483_688
.LBB1483_687:                           ;   in Loop: Header=BB1483_688 Depth=2
	s_or_b64 exec, exec, s[60:61]
	s_and_b64 s[4:5], exec, s[52:53]
	s_or_b64 s[48:49], s[4:5], s[48:49]
	s_andn2_b64 s[4:5], s[56:57], exec
	s_and_b64 s[56:57], s[58:59], exec
	s_or_b64 s[56:57], s[4:5], s[56:57]
	s_andn2_b64 s[4:5], s[50:51], exec
	s_and_b64 s[50:51], s[2:3], exec
	s_or_b64 s[50:51], s[4:5], s[50:51]
	s_andn2_b64 exec, exec, s[48:49]
	s_cbranch_execz .LBB1483_690
.LBB1483_688:                           ;   Parent Loop BB1483_593 Depth=1
                                        ; =>  This Inner Loop Header: Depth=2
	global_load_dword v27, v[8:9], off
	global_load_dword v35, v[10:11], off
	s_andn2_b64 s[60:61], s[2:3], exec
	s_or_b64 s[52:53], s[52:53], exec
	s_waitcnt vmcnt(0)
	v_cmp_le_u32_e64 s[2:3], v27, v35
	v_cmp_lt_u32_e32 vcc, v27, v35
	s_and_b64 s[2:3], s[2:3], s[56:57]
	s_or_b64 s[58:59], vcc, s[2:3]
	s_and_b64 s[2:3], s[58:59], exec
	v_cmp_eq_u32_e64 s[4:5], v27, v35
	s_or_b64 s[2:3], s[60:61], s[2:3]
	s_and_saveexec_b64 s[60:61], s[4:5]
	s_cbranch_execz .LBB1483_687
; %bb.689:                              ;   in Loop: Header=BB1483_688 Depth=2
	s_add_u32 s54, s54, -1
	s_addc_u32 s55, s55, -1
	s_cmp_eq_u64 s[54:55], 0
	s_cselect_b64 s[4:5], -1, 0
	s_andn2_b64 s[52:53], s[52:53], exec
	s_and_b64 s[4:5], s[4:5], exec
	v_lshl_add_u64 v[8:9], v[8:9], 0, 4
	v_lshl_add_u64 v[10:11], v[10:11], 0, 4
	s_andn2_b64 s[2:3], s[2:3], exec
	s_or_b64 s[52:53], s[52:53], s[4:5]
                                        ; implicit-def: $sgpr56_sgpr57
	s_branch .LBB1483_687
.LBB1483_690:                           ;   in Loop: Header=BB1483_593 Depth=1
	s_or_b64 exec, exec, s[48:49]
	v_cndmask_b32_e64 v5, v5, v7, s[50:51]
	v_cndmask_b32_e64 v4, v4, v6, s[50:51]
.LBB1483_691:                           ;   in Loop: Header=BB1483_593 Depth=1
	v_mov_b64_e32 v[6:7], v[4:5]
.LBB1483_692:                           ;   in Loop: Header=BB1483_593 Depth=1
	s_or_b64 exec, exec, s[46:47]
	v_mov_b64_e32 v[4:5], v[6:7]
.LBB1483_693:                           ;   in Loop: Header=BB1483_593 Depth=1
	s_or_b64 exec, exec, s[44:45]
	v_cndmask_b32_e64 v9, v44, v46, s[42:43]
	v_cndmask_b32_e64 v8, v45, v47, s[42:43]
	;; [unrolled: 1-line block ×14, first 2 shown]
.LBB1483_694:                           ;   in Loop: Header=BB1483_593 Depth=1
	s_or_b64 exec, exec, s[12:13]
	s_cmpk_lt_u32 s9, 0x400
	s_barrier
	s_cbranch_scc0 .LBB1483_696
; %bb.695:                              ;   in Loop: Header=BB1483_593 Depth=1
	s_mov_b32 s9, s15
	s_branch .LBB1483_593
.LBB1483_696:
	s_barrier
	ds_write2_b64 v34, v[14:15], v[16:17] offset1:1
	ds_write2_b64 v34, v[10:11], v[12:13] offset0:2 offset1:3
	ds_write2_b64 v34, v[6:7], v[8:9] offset0:4 offset1:5
	;; [unrolled: 1-line block ×3, first 2 shown]
	s_waitcnt lgkmcnt(0)
	s_barrier
	ds_read_b64 v[2:3], v1
	ds_read_b64 v[4:5], v21 offset:2048
	ds_read_b64 v[6:7], v28 offset:4096
	;; [unrolled: 1-line block ×7, first 2 shown]
	v_mov_b32_e32 v21, 0
	v_lshl_add_u64 v[22:23], s[34:35], 0, v[20:21]
	s_movk_i32 s0, 0x1000
	s_waitcnt lgkmcnt(7)
	global_store_dwordx2 v20, v[2:3], s[34:35]
	s_waitcnt lgkmcnt(6)
	global_store_dwordx2 v20, v[4:5], s[34:35] offset:2048
	v_add_co_u32_e32 v2, vcc, s0, v22
	s_nop 1
	v_addc_co_u32_e32 v3, vcc, 0, v23, vcc
	s_waitcnt lgkmcnt(5)
	global_store_dwordx2 v[2:3], v[6:7], off
	s_waitcnt lgkmcnt(4)
	global_store_dwordx2 v[2:3], v[8:9], off offset:2048
	v_add_co_u32_e32 v2, vcc, 0x2000, v22
	s_mov_b64 s[40:41], -1
	s_nop 0
	v_addc_co_u32_e32 v3, vcc, 0, v23, vcc
	s_waitcnt lgkmcnt(3)
	global_store_dwordx2 v[2:3], v[10:11], off
	s_waitcnt lgkmcnt(2)
	global_store_dwordx2 v[2:3], v[12:13], off offset:2048
	v_add_co_u32_e32 v2, vcc, 0x3000, v22
	s_nop 1
	v_addc_co_u32_e32 v3, vcc, 0, v23, vcc
	s_waitcnt lgkmcnt(1)
	global_store_dwordx2 v[2:3], v[16:17], off
	s_branch .LBB1483_1482
.LBB1483_697:
	s_lshl_b64 s[0:1], s[6:7], 11
	s_sub_i32 s33, s8, s0
	v_cmp_gt_u32_e64 s[0:1], s33, v18
	v_lshlrev_b32_e32 v20, 3, v18
                                        ; implicit-def: $vgpr8_vgpr9
	s_and_saveexec_b64 s[2:3], s[0:1]
	s_cbranch_execz .LBB1483_699
; %bb.698:
	global_load_dwordx2 v[8:9], v20, s[20:21]
.LBB1483_699:
	s_or_b64 exec, exec, s[2:3]
	v_add_u32_e32 v1, 0x100, v18
	v_cmp_gt_u32_e64 s[2:3], s33, v1
                                        ; implicit-def: $vgpr10_vgpr11
	s_and_saveexec_b64 s[4:5], s[2:3]
	s_cbranch_execz .LBB1483_701
; %bb.700:
	global_load_dwordx2 v[10:11], v20, s[20:21] offset:2048
.LBB1483_701:
	s_or_b64 exec, exec, s[4:5]
	v_add_u32_e32 v2, 0x200, v18
	v_cmp_gt_u32_e64 s[4:5], s33, v2
                                        ; implicit-def: $vgpr12_vgpr13
	s_and_saveexec_b64 s[6:7], s[4:5]
	s_cbranch_execz .LBB1483_703
; %bb.702:
	v_lshlrev_b32_e32 v3, 3, v2
	global_load_dwordx2 v[12:13], v3, s[20:21]
.LBB1483_703:
	s_or_b64 exec, exec, s[6:7]
	v_add_u32_e32 v3, 0x300, v18
	v_cmp_gt_u32_e64 s[6:7], s33, v3
                                        ; implicit-def: $vgpr14_vgpr15
	s_and_saveexec_b64 s[8:9], s[6:7]
	s_cbranch_execz .LBB1483_705
; %bb.704:
	v_lshlrev_b32_e32 v4, 3, v3
	s_waitcnt lgkmcnt(0)
	global_load_dwordx2 v[14:15], v4, s[20:21]
.LBB1483_705:
	s_or_b64 exec, exec, s[8:9]
	v_or_b32_e32 v4, 0x400, v18
	v_cmp_gt_u32_e64 s[8:9], s33, v4
                                        ; implicit-def: $vgpr16_vgpr17
	s_and_saveexec_b64 s[10:11], s[8:9]
	s_cbranch_execz .LBB1483_707
; %bb.706:
	v_lshlrev_b32_e32 v5, 3, v4
	global_load_dwordx2 v[16:17], v5, s[20:21]
.LBB1483_707:
	s_or_b64 exec, exec, s[10:11]
	v_add_u32_e32 v5, 0x500, v18
	v_cmp_gt_u32_e64 s[10:11], s33, v5
                                        ; implicit-def: $vgpr22_vgpr23
	s_and_saveexec_b64 s[12:13], s[10:11]
	s_cbranch_execz .LBB1483_709
; %bb.708:
	v_lshlrev_b32_e32 v6, 3, v5
	global_load_dwordx2 v[22:23], v6, s[20:21]
.LBB1483_709:
	s_or_b64 exec, exec, s[12:13]
	v_add_u32_e32 v6, 0x600, v18
	v_cmp_gt_u32_e64 s[12:13], s33, v6
                                        ; implicit-def: $vgpr24_vgpr25
	s_and_saveexec_b64 s[22:23], s[12:13]
	s_cbranch_execz .LBB1483_711
; %bb.710:
	v_lshlrev_b32_e32 v7, 3, v6
	global_load_dwordx2 v[24:25], v7, s[20:21]
.LBB1483_711:
	s_or_b64 exec, exec, s[22:23]
	v_add_u32_e32 v7, 0x700, v18
	v_cmp_gt_u32_e64 s[40:41], s33, v7
                                        ; implicit-def: $vgpr32_vgpr33
	s_and_saveexec_b64 s[22:23], s[40:41]
	s_cbranch_execz .LBB1483_713
; %bb.712:
	v_lshlrev_b32_e32 v19, 3, v7
	global_load_dwordx2 v[32:33], v19, s[20:21]
.LBB1483_713:
	s_or_b64 exec, exec, s[22:23]
	v_lshrrev_b32_e32 v1, 2, v1
	v_and_b32_e32 v1, 0x1f8, v1
	v_add_u32_e32 v21, v1, v20
	v_lshrrev_b32_e32 v1, 2, v2
	v_and_b32_e32 v1, 0x1f8, v1
	v_add_u32_e32 v26, v1, v20
	;; [unrolled: 3-line block ×6, first 2 shown]
	v_lshrrev_b32_e32 v1, 2, v7
	v_and_b32_e32 v1, 0x3f8, v1
	v_lshrrev_b32_e32 v19, 2, v18
	v_add_u32_e32 v31, v1, v20
	v_lshlrev_b32_e32 v1, 1, v18
	v_and_b32_e32 v19, 0xf8, v19
	v_and_b32_e32 v1, 0x7f8, v1
	v_add_u32_e32 v19, v19, v20
	s_waitcnt vmcnt(0)
	ds_write_b64 v31, v[32:33] offset:14336
	v_lshl_add_u32 v32, v18, 6, v1
	ds_write_b64 v19, v[8:9]
	ds_write_b64 v21, v[10:11] offset:2048
	ds_write_b64 v26, v[12:13] offset:4096
	s_waitcnt lgkmcnt(4)
	ds_write_b64 v27, v[14:15] offset:6144
	ds_write_b64 v28, v[16:17] offset:8192
	;; [unrolled: 1-line block ×4, first 2 shown]
	s_waitcnt lgkmcnt(0)
	s_barrier
	ds_read2_b64 v[14:17], v32 offset1:1
	ds_read2_b64 v[10:13], v32 offset0:2 offset1:3
	ds_read2_b64 v[6:9], v32 offset0:4 offset1:5
	;; [unrolled: 1-line block ×3, first 2 shown]
	s_waitcnt lgkmcnt(0)
	s_barrier
	s_load_dword s15, s[16:17], 0xc
	v_mov_b32_e32 v1, 0
	v_bfe_u32 v22, v0, 10, 10
	v_bfe_u32 v0, v0, 20, 10
	v_cmp_gt_i64_e64 s[42:43], s[36:37], 0
	s_waitcnt lgkmcnt(0)
	s_lshr_b32 s19, s15, 16
	s_cmp_lt_u32 s14, s18
	s_cselect_b32 s14, 12, 18
	s_add_u32 s14, s16, s14
	s_addc_u32 s15, s17, 0
	global_load_ushort v1, v1, s[14:15]
	v_mad_u32_u24 v0, v0, s19, v22
	s_waitcnt vmcnt(0)
	v_mul_lo_u32 v0, v0, v1
	v_add_lshl_u32 v24, v0, v18, 3
	v_sub_u32_e64 v25, s33, v24 clamp
	v_cmp_lt_u32_e64 s[14:15], 1, v25
	s_and_saveexec_b64 s[20:21], s[14:15]
	s_cbranch_execz .LBB1483_722
; %bb.714:
	s_andn2_b64 vcc, exec, s[42:43]
	s_cbranch_vccnz .LBB1483_722
; %bb.715:
	v_mul_lo_u32 v22, v17, s36
	v_mul_lo_u32 v23, v16, s37
	v_mad_u64_u32 v[0:1], s[16:17], v16, s36, 0
	v_add3_u32 v1, v1, v23, v22
	v_mul_lo_u32 v33, v15, s36
	v_mul_lo_u32 v34, v14, s37
	v_mad_u64_u32 v[22:23], s[16:17], v14, s36, 0
	v_add3_u32 v23, v23, v34, v33
	v_lshl_add_u64 v[0:1], v[0:1], 2, s[38:39]
	v_lshl_add_u64 v[22:23], v[22:23], 2, s[38:39]
	s_mov_b64 s[24:25], 0
	s_mov_b64 s[46:47], s[36:37]
                                        ; implicit-def: $sgpr22_sgpr23
                                        ; implicit-def: $sgpr26_sgpr27
                                        ; implicit-def: $sgpr30_sgpr31
                                        ; implicit-def: $sgpr28_sgpr29
                                        ; implicit-def: $sgpr44_sgpr45
	s_branch .LBB1483_717
.LBB1483_716:                           ;   in Loop: Header=BB1483_717 Depth=1
	s_or_b64 exec, exec, s[48:49]
	s_and_b64 s[16:17], s[16:17], s[44:45]
	s_or_b64 s[16:17], vcc, s[16:17]
	s_and_b64 s[18:19], exec, s[30:31]
	s_or_b64 s[24:25], s[18:19], s[24:25]
	s_andn2_b64 s[18:19], s[44:45], exec
	s_and_b64 s[16:17], s[16:17], exec
	s_or_b64 s[44:45], s[18:19], s[16:17]
	s_andn2_b64 s[18:19], s[26:27], exec
	s_and_b64 s[26:27], s[28:29], exec
	s_or_b64 s[26:27], s[18:19], s[26:27]
	s_andn2_b64 s[18:19], s[22:23], exec
	s_or_b64 s[22:23], s[18:19], s[16:17]
	s_andn2_b64 exec, exec, s[24:25]
	s_cbranch_execz .LBB1483_719
.LBB1483_717:                           ; =>This Inner Loop Header: Depth=1
	global_load_dword v33, v[0:1], off
	global_load_dword v34, v[22:23], off
	s_or_b64 s[28:29], s[28:29], exec
	s_or_b64 s[30:31], s[30:31], exec
	s_waitcnt vmcnt(0)
	v_cmp_lt_u32_e32 vcc, v33, v34
	v_cmp_le_u32_e64 s[16:17], v33, v34
	v_cmp_eq_u32_e64 s[18:19], v33, v34
	s_and_saveexec_b64 s[48:49], s[18:19]
	s_cbranch_execz .LBB1483_716
; %bb.718:                              ;   in Loop: Header=BB1483_717 Depth=1
	s_add_u32 s46, s46, -1
	s_addc_u32 s47, s47, -1
	s_cmp_eq_u64 s[46:47], 0
	s_cselect_b64 s[18:19], -1, 0
	s_andn2_b64 s[30:31], s[30:31], exec
	s_and_b64 s[18:19], s[18:19], exec
	v_lshl_add_u64 v[0:1], v[0:1], 0, 4
	v_lshl_add_u64 v[22:23], v[22:23], 0, 4
	s_andn2_b64 s[28:29], s[28:29], exec
	s_or_b64 s[30:31], s[30:31], s[18:19]
	s_branch .LBB1483_716
.LBB1483_719:
	s_or_b64 exec, exec, s[24:25]
	s_and_saveexec_b64 s[16:17], s[26:27]
	s_xor_b64 s[16:17], exec, s[16:17]
; %bb.720:
	v_cndmask_b32_e64 v1, v17, v15, s[22:23]
	v_cndmask_b32_e64 v0, v16, v14, s[22:23]
	;; [unrolled: 1-line block ×4, first 2 shown]
	v_mov_b64_e32 v[16:17], v[0:1]
; %bb.721:
	s_or_b64 exec, exec, s[16:17]
.LBB1483_722:
	s_or_b64 exec, exec, s[20:21]
	v_cmp_lt_u32_e64 s[16:17], 3, v25
	s_and_saveexec_b64 s[22:23], s[16:17]
	s_cbranch_execz .LBB1483_731
; %bb.723:
	s_andn2_b64 vcc, exec, s[42:43]
	s_cbranch_vccnz .LBB1483_731
; %bb.724:
	v_mul_lo_u32 v22, v13, s36
	v_mul_lo_u32 v23, v12, s37
	v_mad_u64_u32 v[0:1], s[18:19], v12, s36, 0
	v_add3_u32 v1, v1, v23, v22
	v_mul_lo_u32 v33, v11, s36
	v_mul_lo_u32 v34, v10, s37
	v_mad_u64_u32 v[22:23], s[18:19], v10, s36, 0
	v_add3_u32 v23, v23, v34, v33
	v_lshl_add_u64 v[0:1], v[0:1], 2, s[38:39]
	v_lshl_add_u64 v[22:23], v[22:23], 2, s[38:39]
	s_mov_b64 s[26:27], 0
	s_mov_b64 s[48:49], s[36:37]
                                        ; implicit-def: $sgpr24_sgpr25
                                        ; implicit-def: $sgpr28_sgpr29
                                        ; implicit-def: $sgpr44_sgpr45
                                        ; implicit-def: $sgpr30_sgpr31
                                        ; implicit-def: $sgpr46_sgpr47
	s_branch .LBB1483_726
.LBB1483_725:                           ;   in Loop: Header=BB1483_726 Depth=1
	s_or_b64 exec, exec, s[50:51]
	s_and_b64 s[18:19], s[18:19], s[46:47]
	s_or_b64 s[18:19], vcc, s[18:19]
	s_and_b64 s[20:21], exec, s[44:45]
	s_or_b64 s[26:27], s[20:21], s[26:27]
	s_andn2_b64 s[20:21], s[46:47], exec
	s_and_b64 s[18:19], s[18:19], exec
	s_or_b64 s[46:47], s[20:21], s[18:19]
	s_andn2_b64 s[20:21], s[28:29], exec
	s_and_b64 s[28:29], s[30:31], exec
	s_or_b64 s[28:29], s[20:21], s[28:29]
	s_andn2_b64 s[20:21], s[24:25], exec
	s_or_b64 s[24:25], s[20:21], s[18:19]
	s_andn2_b64 exec, exec, s[26:27]
	s_cbranch_execz .LBB1483_728
.LBB1483_726:                           ; =>This Inner Loop Header: Depth=1
	global_load_dword v33, v[0:1], off
	global_load_dword v34, v[22:23], off
	s_or_b64 s[30:31], s[30:31], exec
	s_or_b64 s[44:45], s[44:45], exec
	s_waitcnt vmcnt(0)
	v_cmp_lt_u32_e32 vcc, v33, v34
	v_cmp_le_u32_e64 s[18:19], v33, v34
	v_cmp_eq_u32_e64 s[20:21], v33, v34
	s_and_saveexec_b64 s[50:51], s[20:21]
	s_cbranch_execz .LBB1483_725
; %bb.727:                              ;   in Loop: Header=BB1483_726 Depth=1
	s_add_u32 s48, s48, -1
	s_addc_u32 s49, s49, -1
	s_cmp_eq_u64 s[48:49], 0
	s_cselect_b64 s[20:21], -1, 0
	s_andn2_b64 s[44:45], s[44:45], exec
	s_and_b64 s[20:21], s[20:21], exec
	v_lshl_add_u64 v[0:1], v[0:1], 0, 4
	v_lshl_add_u64 v[22:23], v[22:23], 0, 4
	s_andn2_b64 s[30:31], s[30:31], exec
	s_or_b64 s[44:45], s[44:45], s[20:21]
	s_branch .LBB1483_725
.LBB1483_728:
	s_or_b64 exec, exec, s[26:27]
	s_and_saveexec_b64 s[18:19], s[28:29]
	s_xor_b64 s[18:19], exec, s[18:19]
; %bb.729:
	v_cndmask_b32_e64 v1, v11, v13, s[24:25]
	v_cndmask_b32_e64 v0, v10, v12, s[24:25]
	;; [unrolled: 1-line block ×4, first 2 shown]
	v_mov_b64_e32 v[10:11], v[0:1]
; %bb.730:
	s_or_b64 exec, exec, s[18:19]
.LBB1483_731:
	s_or_b64 exec, exec, s[22:23]
	v_cmp_lt_u32_e64 s[18:19], 5, v25
	s_and_saveexec_b64 s[24:25], s[18:19]
	s_cbranch_execz .LBB1483_740
; %bb.732:
	s_andn2_b64 vcc, exec, s[42:43]
	s_cbranch_vccnz .LBB1483_740
; %bb.733:
	v_mul_lo_u32 v22, v9, s36
	v_mul_lo_u32 v23, v8, s37
	v_mad_u64_u32 v[0:1], s[20:21], v8, s36, 0
	v_add3_u32 v1, v1, v23, v22
	v_mul_lo_u32 v33, v7, s36
	v_mul_lo_u32 v34, v6, s37
	v_mad_u64_u32 v[22:23], s[20:21], v6, s36, 0
	v_add3_u32 v23, v23, v34, v33
	v_lshl_add_u64 v[0:1], v[0:1], 2, s[38:39]
	v_lshl_add_u64 v[22:23], v[22:23], 2, s[38:39]
	s_mov_b64 s[28:29], 0
	s_mov_b64 s[50:51], s[36:37]
                                        ; implicit-def: $sgpr26_sgpr27
                                        ; implicit-def: $sgpr30_sgpr31
                                        ; implicit-def: $sgpr46_sgpr47
                                        ; implicit-def: $sgpr44_sgpr45
                                        ; implicit-def: $sgpr48_sgpr49
	s_branch .LBB1483_735
.LBB1483_734:                           ;   in Loop: Header=BB1483_735 Depth=1
	s_or_b64 exec, exec, s[52:53]
	s_and_b64 s[20:21], s[20:21], s[48:49]
	s_or_b64 s[20:21], vcc, s[20:21]
	s_and_b64 s[22:23], exec, s[46:47]
	s_or_b64 s[28:29], s[22:23], s[28:29]
	s_andn2_b64 s[22:23], s[48:49], exec
	s_and_b64 s[20:21], s[20:21], exec
	s_or_b64 s[48:49], s[22:23], s[20:21]
	s_andn2_b64 s[22:23], s[30:31], exec
	s_and_b64 s[30:31], s[44:45], exec
	s_or_b64 s[30:31], s[22:23], s[30:31]
	s_andn2_b64 s[22:23], s[26:27], exec
	s_or_b64 s[26:27], s[22:23], s[20:21]
	s_andn2_b64 exec, exec, s[28:29]
	s_cbranch_execz .LBB1483_737
.LBB1483_735:                           ; =>This Inner Loop Header: Depth=1
	global_load_dword v33, v[0:1], off
	global_load_dword v34, v[22:23], off
	s_or_b64 s[44:45], s[44:45], exec
	s_or_b64 s[46:47], s[46:47], exec
	s_waitcnt vmcnt(0)
	v_cmp_lt_u32_e32 vcc, v33, v34
	v_cmp_le_u32_e64 s[20:21], v33, v34
	v_cmp_eq_u32_e64 s[22:23], v33, v34
	s_and_saveexec_b64 s[52:53], s[22:23]
	s_cbranch_execz .LBB1483_734
; %bb.736:                              ;   in Loop: Header=BB1483_735 Depth=1
	s_add_u32 s50, s50, -1
	s_addc_u32 s51, s51, -1
	s_cmp_eq_u64 s[50:51], 0
	s_cselect_b64 s[22:23], -1, 0
	s_andn2_b64 s[46:47], s[46:47], exec
	s_and_b64 s[22:23], s[22:23], exec
	v_lshl_add_u64 v[0:1], v[0:1], 0, 4
	v_lshl_add_u64 v[22:23], v[22:23], 0, 4
	s_andn2_b64 s[44:45], s[44:45], exec
	s_or_b64 s[46:47], s[46:47], s[22:23]
	s_branch .LBB1483_734
.LBB1483_737:
	s_or_b64 exec, exec, s[28:29]
	s_and_saveexec_b64 s[20:21], s[30:31]
	s_xor_b64 s[20:21], exec, s[20:21]
; %bb.738:
	v_cndmask_b32_e64 v1, v7, v9, s[26:27]
	v_cndmask_b32_e64 v0, v6, v8, s[26:27]
	;; [unrolled: 1-line block ×4, first 2 shown]
	v_mov_b64_e32 v[6:7], v[0:1]
; %bb.739:
	s_or_b64 exec, exec, s[20:21]
.LBB1483_740:
	s_or_b64 exec, exec, s[24:25]
	v_cmp_lt_u32_e64 s[20:21], 7, v25
	s_and_saveexec_b64 s[26:27], s[20:21]
	s_cbranch_execz .LBB1483_749
; %bb.741:
	s_andn2_b64 vcc, exec, s[42:43]
	s_cbranch_vccnz .LBB1483_749
; %bb.742:
	v_mul_lo_u32 v22, v5, s36
	v_mul_lo_u32 v23, v4, s37
	v_mad_u64_u32 v[0:1], s[22:23], v4, s36, 0
	v_add3_u32 v1, v1, v23, v22
	v_mul_lo_u32 v33, v3, s36
	v_mul_lo_u32 v34, v2, s37
	v_mad_u64_u32 v[22:23], s[22:23], v2, s36, 0
	v_add3_u32 v23, v23, v34, v33
	v_lshl_add_u64 v[0:1], v[0:1], 2, s[38:39]
	v_lshl_add_u64 v[22:23], v[22:23], 2, s[38:39]
	s_mov_b64 s[30:31], 0
	s_mov_b64 s[52:53], s[36:37]
                                        ; implicit-def: $sgpr28_sgpr29
                                        ; implicit-def: $sgpr44_sgpr45
                                        ; implicit-def: $sgpr48_sgpr49
                                        ; implicit-def: $sgpr46_sgpr47
                                        ; implicit-def: $sgpr50_sgpr51
	s_branch .LBB1483_744
.LBB1483_743:                           ;   in Loop: Header=BB1483_744 Depth=1
	s_or_b64 exec, exec, s[54:55]
	s_and_b64 s[22:23], s[22:23], s[50:51]
	s_or_b64 s[22:23], vcc, s[22:23]
	s_and_b64 s[24:25], exec, s[48:49]
	s_or_b64 s[30:31], s[24:25], s[30:31]
	s_andn2_b64 s[24:25], s[50:51], exec
	s_and_b64 s[22:23], s[22:23], exec
	s_or_b64 s[50:51], s[24:25], s[22:23]
	s_andn2_b64 s[24:25], s[44:45], exec
	s_and_b64 s[44:45], s[46:47], exec
	s_or_b64 s[44:45], s[24:25], s[44:45]
	s_andn2_b64 s[24:25], s[28:29], exec
	s_or_b64 s[28:29], s[24:25], s[22:23]
	s_andn2_b64 exec, exec, s[30:31]
	s_cbranch_execz .LBB1483_746
.LBB1483_744:                           ; =>This Inner Loop Header: Depth=1
	global_load_dword v33, v[0:1], off
	global_load_dword v34, v[22:23], off
	s_or_b64 s[46:47], s[46:47], exec
	s_or_b64 s[48:49], s[48:49], exec
	s_waitcnt vmcnt(0)
	v_cmp_lt_u32_e32 vcc, v33, v34
	v_cmp_le_u32_e64 s[22:23], v33, v34
	v_cmp_eq_u32_e64 s[24:25], v33, v34
	s_and_saveexec_b64 s[54:55], s[24:25]
	s_cbranch_execz .LBB1483_743
; %bb.745:                              ;   in Loop: Header=BB1483_744 Depth=1
	s_add_u32 s52, s52, -1
	s_addc_u32 s53, s53, -1
	s_cmp_eq_u64 s[52:53], 0
	s_cselect_b64 s[24:25], -1, 0
	s_andn2_b64 s[48:49], s[48:49], exec
	s_and_b64 s[24:25], s[24:25], exec
	v_lshl_add_u64 v[0:1], v[0:1], 0, 4
	v_lshl_add_u64 v[22:23], v[22:23], 0, 4
	s_andn2_b64 s[46:47], s[46:47], exec
	s_or_b64 s[48:49], s[48:49], s[24:25]
	s_branch .LBB1483_743
.LBB1483_746:
	s_or_b64 exec, exec, s[30:31]
	s_and_saveexec_b64 s[22:23], s[44:45]
	s_xor_b64 s[22:23], exec, s[22:23]
; %bb.747:
	v_cndmask_b32_e64 v1, v3, v5, s[28:29]
	v_cndmask_b32_e64 v0, v2, v4, s[28:29]
	;; [unrolled: 1-line block ×4, first 2 shown]
	v_mov_b64_e32 v[2:3], v[0:1]
; %bb.748:
	s_or_b64 exec, exec, s[22:23]
.LBB1483_749:
	s_or_b64 exec, exec, s[26:27]
	v_cmp_lt_u32_e64 s[22:23], 2, v25
	s_and_saveexec_b64 s[24:25], s[22:23]
	s_xor_b64 s[28:29], exec, s[24:25]
	s_cbranch_execz .LBB1483_758
; %bb.750:
	s_andn2_b64 vcc, exec, s[42:43]
	s_cbranch_vccnz .LBB1483_758
; %bb.751:
	v_mul_lo_u32 v22, v11, s36
	v_mul_lo_u32 v23, v10, s37
	v_mad_u64_u32 v[0:1], s[24:25], v10, s36, 0
	v_add3_u32 v1, v1, v23, v22
	v_mul_lo_u32 v33, v17, s36
	v_mul_lo_u32 v34, v16, s37
	v_mad_u64_u32 v[22:23], s[24:25], v16, s36, 0
	v_add3_u32 v23, v23, v34, v33
	v_lshl_add_u64 v[0:1], v[0:1], 2, s[38:39]
	v_lshl_add_u64 v[22:23], v[22:23], 2, s[38:39]
	s_mov_b64 s[44:45], 0
	s_mov_b64 s[54:55], s[36:37]
                                        ; implicit-def: $sgpr30_sgpr31
                                        ; implicit-def: $sgpr46_sgpr47
                                        ; implicit-def: $sgpr50_sgpr51
                                        ; implicit-def: $sgpr48_sgpr49
                                        ; implicit-def: $sgpr52_sgpr53
	s_branch .LBB1483_753
.LBB1483_752:                           ;   in Loop: Header=BB1483_753 Depth=1
	s_or_b64 exec, exec, s[56:57]
	s_and_b64 s[24:25], s[24:25], s[52:53]
	s_or_b64 s[24:25], vcc, s[24:25]
	s_and_b64 s[26:27], exec, s[50:51]
	s_or_b64 s[44:45], s[26:27], s[44:45]
	s_andn2_b64 s[26:27], s[52:53], exec
	s_and_b64 s[24:25], s[24:25], exec
	s_or_b64 s[52:53], s[26:27], s[24:25]
	s_andn2_b64 s[26:27], s[46:47], exec
	s_and_b64 s[46:47], s[48:49], exec
	s_or_b64 s[46:47], s[26:27], s[46:47]
	s_andn2_b64 s[26:27], s[30:31], exec
	s_or_b64 s[30:31], s[26:27], s[24:25]
	s_andn2_b64 exec, exec, s[44:45]
	s_cbranch_execz .LBB1483_755
.LBB1483_753:                           ; =>This Inner Loop Header: Depth=1
	global_load_dword v33, v[0:1], off
	global_load_dword v34, v[22:23], off
	s_or_b64 s[48:49], s[48:49], exec
	s_or_b64 s[50:51], s[50:51], exec
	s_waitcnt vmcnt(0)
	v_cmp_lt_u32_e32 vcc, v33, v34
	v_cmp_le_u32_e64 s[24:25], v33, v34
	v_cmp_eq_u32_e64 s[26:27], v33, v34
	s_and_saveexec_b64 s[56:57], s[26:27]
	s_cbranch_execz .LBB1483_752
; %bb.754:                              ;   in Loop: Header=BB1483_753 Depth=1
	s_add_u32 s54, s54, -1
	s_addc_u32 s55, s55, -1
	s_cmp_eq_u64 s[54:55], 0
	s_cselect_b64 s[26:27], -1, 0
	s_andn2_b64 s[50:51], s[50:51], exec
	s_and_b64 s[26:27], s[26:27], exec
	v_lshl_add_u64 v[0:1], v[0:1], 0, 4
	v_lshl_add_u64 v[22:23], v[22:23], 0, 4
	s_andn2_b64 s[48:49], s[48:49], exec
	s_or_b64 s[50:51], s[50:51], s[26:27]
	s_branch .LBB1483_752
.LBB1483_755:
	s_or_b64 exec, exec, s[44:45]
	s_and_saveexec_b64 s[24:25], s[46:47]
	s_xor_b64 s[24:25], exec, s[24:25]
; %bb.756:
	v_cndmask_b32_e64 v1, v17, v11, s[30:31]
	v_cndmask_b32_e64 v0, v16, v10, s[30:31]
	;; [unrolled: 1-line block ×4, first 2 shown]
	v_mov_b64_e32 v[16:17], v[0:1]
; %bb.757:
	s_or_b64 exec, exec, s[24:25]
.LBB1483_758:
	s_or_b64 exec, exec, s[28:29]
	v_cmp_lt_u32_e64 s[24:25], 4, v25
	s_and_saveexec_b64 s[30:31], s[24:25]
	s_cbranch_execz .LBB1483_767
; %bb.759:
	s_andn2_b64 vcc, exec, s[42:43]
	s_cbranch_vccnz .LBB1483_767
; %bb.760:
	v_mul_lo_u32 v22, v7, s36
	v_mul_lo_u32 v23, v6, s37
	v_mad_u64_u32 v[0:1], s[26:27], v6, s36, 0
	v_add3_u32 v1, v1, v23, v22
	v_mul_lo_u32 v33, v13, s36
	v_mul_lo_u32 v34, v12, s37
	v_mad_u64_u32 v[22:23], s[26:27], v12, s36, 0
	v_add3_u32 v23, v23, v34, v33
	v_lshl_add_u64 v[0:1], v[0:1], 2, s[38:39]
	v_lshl_add_u64 v[22:23], v[22:23], 2, s[38:39]
	s_mov_b64 s[46:47], 0
	s_mov_b64 s[56:57], s[36:37]
                                        ; implicit-def: $sgpr44_sgpr45
                                        ; implicit-def: $sgpr48_sgpr49
                                        ; implicit-def: $sgpr52_sgpr53
                                        ; implicit-def: $sgpr50_sgpr51
                                        ; implicit-def: $sgpr54_sgpr55
	s_branch .LBB1483_762
.LBB1483_761:                           ;   in Loop: Header=BB1483_762 Depth=1
	s_or_b64 exec, exec, s[58:59]
	s_and_b64 s[26:27], s[26:27], s[54:55]
	s_or_b64 s[26:27], vcc, s[26:27]
	s_and_b64 s[28:29], exec, s[52:53]
	s_or_b64 s[46:47], s[28:29], s[46:47]
	s_andn2_b64 s[28:29], s[54:55], exec
	s_and_b64 s[26:27], s[26:27], exec
	s_or_b64 s[54:55], s[28:29], s[26:27]
	s_andn2_b64 s[28:29], s[48:49], exec
	s_and_b64 s[48:49], s[50:51], exec
	s_or_b64 s[48:49], s[28:29], s[48:49]
	s_andn2_b64 s[28:29], s[44:45], exec
	s_or_b64 s[44:45], s[28:29], s[26:27]
	s_andn2_b64 exec, exec, s[46:47]
	s_cbranch_execz .LBB1483_764
.LBB1483_762:                           ; =>This Inner Loop Header: Depth=1
	global_load_dword v33, v[0:1], off
	global_load_dword v34, v[22:23], off
	s_or_b64 s[50:51], s[50:51], exec
	s_or_b64 s[52:53], s[52:53], exec
	s_waitcnt vmcnt(0)
	v_cmp_lt_u32_e32 vcc, v33, v34
	v_cmp_le_u32_e64 s[26:27], v33, v34
	v_cmp_eq_u32_e64 s[28:29], v33, v34
	s_and_saveexec_b64 s[58:59], s[28:29]
	s_cbranch_execz .LBB1483_761
; %bb.763:                              ;   in Loop: Header=BB1483_762 Depth=1
	s_add_u32 s56, s56, -1
	s_addc_u32 s57, s57, -1
	s_cmp_eq_u64 s[56:57], 0
	s_cselect_b64 s[28:29], -1, 0
	s_andn2_b64 s[52:53], s[52:53], exec
	s_and_b64 s[28:29], s[28:29], exec
	v_lshl_add_u64 v[0:1], v[0:1], 0, 4
	v_lshl_add_u64 v[22:23], v[22:23], 0, 4
	s_andn2_b64 s[50:51], s[50:51], exec
	s_or_b64 s[52:53], s[52:53], s[28:29]
	s_branch .LBB1483_761
.LBB1483_764:
	s_or_b64 exec, exec, s[46:47]
	s_and_saveexec_b64 s[26:27], s[48:49]
	s_xor_b64 s[26:27], exec, s[26:27]
; %bb.765:
	v_cndmask_b32_e64 v1, v13, v7, s[44:45]
	v_cndmask_b32_e64 v0, v12, v6, s[44:45]
	v_cndmask_b32_e64 v7, v7, v13, s[44:45]
	v_cndmask_b32_e64 v6, v6, v12, s[44:45]
	v_mov_b64_e32 v[12:13], v[0:1]
; %bb.766:
	s_or_b64 exec, exec, s[26:27]
.LBB1483_767:
	s_or_b64 exec, exec, s[30:31]
	v_cmp_lt_u32_e64 s[26:27], 6, v25
	s_and_saveexec_b64 s[44:45], s[26:27]
	s_cbranch_execz .LBB1483_776
; %bb.768:
	s_andn2_b64 vcc, exec, s[42:43]
	s_cbranch_vccnz .LBB1483_776
; %bb.769:
	v_mul_lo_u32 v22, v3, s36
	v_mul_lo_u32 v23, v2, s37
	v_mad_u64_u32 v[0:1], s[28:29], v2, s36, 0
	v_add3_u32 v1, v1, v23, v22
	v_mul_lo_u32 v25, v9, s36
	v_mul_lo_u32 v33, v8, s37
	v_mad_u64_u32 v[22:23], s[28:29], v8, s36, 0
	v_add3_u32 v23, v23, v33, v25
	v_lshl_add_u64 v[0:1], v[0:1], 2, s[38:39]
	v_lshl_add_u64 v[22:23], v[22:23], 2, s[38:39]
	s_mov_b64 s[48:49], 0
	s_mov_b64 s[58:59], s[36:37]
                                        ; implicit-def: $sgpr46_sgpr47
                                        ; implicit-def: $sgpr50_sgpr51
                                        ; implicit-def: $sgpr54_sgpr55
                                        ; implicit-def: $sgpr52_sgpr53
                                        ; implicit-def: $sgpr56_sgpr57
	s_branch .LBB1483_771
.LBB1483_770:                           ;   in Loop: Header=BB1483_771 Depth=1
	s_or_b64 exec, exec, s[60:61]
	s_and_b64 s[28:29], s[28:29], s[56:57]
	s_or_b64 s[28:29], vcc, s[28:29]
	s_and_b64 s[30:31], exec, s[54:55]
	s_or_b64 s[48:49], s[30:31], s[48:49]
	s_andn2_b64 s[30:31], s[56:57], exec
	s_and_b64 s[28:29], s[28:29], exec
	s_or_b64 s[56:57], s[30:31], s[28:29]
	s_andn2_b64 s[30:31], s[50:51], exec
	s_and_b64 s[50:51], s[52:53], exec
	s_or_b64 s[50:51], s[30:31], s[50:51]
	s_andn2_b64 s[30:31], s[46:47], exec
	s_or_b64 s[46:47], s[30:31], s[28:29]
	s_andn2_b64 exec, exec, s[48:49]
	s_cbranch_execz .LBB1483_773
.LBB1483_771:                           ; =>This Inner Loop Header: Depth=1
	global_load_dword v25, v[0:1], off
	global_load_dword v33, v[22:23], off
	s_or_b64 s[52:53], s[52:53], exec
	s_or_b64 s[54:55], s[54:55], exec
	s_waitcnt vmcnt(0)
	v_cmp_lt_u32_e32 vcc, v25, v33
	v_cmp_le_u32_e64 s[28:29], v25, v33
	v_cmp_eq_u32_e64 s[30:31], v25, v33
	s_and_saveexec_b64 s[60:61], s[30:31]
	s_cbranch_execz .LBB1483_770
; %bb.772:                              ;   in Loop: Header=BB1483_771 Depth=1
	s_add_u32 s58, s58, -1
	s_addc_u32 s59, s59, -1
	s_cmp_eq_u64 s[58:59], 0
	s_cselect_b64 s[30:31], -1, 0
	s_andn2_b64 s[54:55], s[54:55], exec
	s_and_b64 s[30:31], s[30:31], exec
	v_lshl_add_u64 v[0:1], v[0:1], 0, 4
	v_lshl_add_u64 v[22:23], v[22:23], 0, 4
	s_andn2_b64 s[52:53], s[52:53], exec
	s_or_b64 s[54:55], s[54:55], s[30:31]
	s_branch .LBB1483_770
.LBB1483_773:
	s_or_b64 exec, exec, s[48:49]
	s_and_saveexec_b64 s[28:29], s[50:51]
	s_xor_b64 s[28:29], exec, s[28:29]
; %bb.774:
	v_cndmask_b32_e64 v1, v9, v3, s[46:47]
	v_cndmask_b32_e64 v0, v8, v2, s[46:47]
	v_cndmask_b32_e64 v3, v3, v9, s[46:47]
	v_cndmask_b32_e64 v2, v2, v8, s[46:47]
	v_mov_b64_e32 v[8:9], v[0:1]
; %bb.775:
	s_or_b64 exec, exec, s[28:29]
.LBB1483_776:
	s_or_b64 exec, exec, s[44:45]
	s_and_saveexec_b64 s[44:45], s[14:15]
	s_cbranch_execz .LBB1483_785
; %bb.777:
	s_andn2_b64 vcc, exec, s[42:43]
	s_cbranch_vccnz .LBB1483_785
; %bb.778:
	v_mul_lo_u32 v22, v17, s36
	v_mul_lo_u32 v23, v16, s37
	v_mad_u64_u32 v[0:1], s[28:29], v16, s36, 0
	v_add3_u32 v1, v1, v23, v22
	v_mul_lo_u32 v25, v15, s36
	v_mul_lo_u32 v33, v14, s37
	v_mad_u64_u32 v[22:23], s[28:29], v14, s36, 0
	v_add3_u32 v23, v23, v33, v25
	v_lshl_add_u64 v[0:1], v[0:1], 2, s[38:39]
	v_lshl_add_u64 v[22:23], v[22:23], 2, s[38:39]
	s_mov_b64 s[48:49], 0
	s_mov_b64 s[58:59], s[36:37]
                                        ; implicit-def: $sgpr46_sgpr47
                                        ; implicit-def: $sgpr50_sgpr51
                                        ; implicit-def: $sgpr54_sgpr55
                                        ; implicit-def: $sgpr52_sgpr53
                                        ; implicit-def: $sgpr56_sgpr57
	s_branch .LBB1483_780
.LBB1483_779:                           ;   in Loop: Header=BB1483_780 Depth=1
	s_or_b64 exec, exec, s[60:61]
	s_and_b64 s[28:29], s[28:29], s[56:57]
	s_or_b64 s[28:29], vcc, s[28:29]
	s_and_b64 s[30:31], exec, s[54:55]
	s_or_b64 s[48:49], s[30:31], s[48:49]
	s_andn2_b64 s[30:31], s[56:57], exec
	s_and_b64 s[28:29], s[28:29], exec
	s_or_b64 s[56:57], s[30:31], s[28:29]
	s_andn2_b64 s[30:31], s[50:51], exec
	s_and_b64 s[50:51], s[52:53], exec
	s_or_b64 s[50:51], s[30:31], s[50:51]
	s_andn2_b64 s[30:31], s[46:47], exec
	s_or_b64 s[46:47], s[30:31], s[28:29]
	s_andn2_b64 exec, exec, s[48:49]
	s_cbranch_execz .LBB1483_782
.LBB1483_780:                           ; =>This Inner Loop Header: Depth=1
	global_load_dword v25, v[0:1], off
	global_load_dword v33, v[22:23], off
	s_or_b64 s[52:53], s[52:53], exec
	s_or_b64 s[54:55], s[54:55], exec
	s_waitcnt vmcnt(0)
	v_cmp_lt_u32_e32 vcc, v25, v33
	v_cmp_le_u32_e64 s[28:29], v25, v33
	v_cmp_eq_u32_e64 s[30:31], v25, v33
	s_and_saveexec_b64 s[60:61], s[30:31]
	s_cbranch_execz .LBB1483_779
; %bb.781:                              ;   in Loop: Header=BB1483_780 Depth=1
	s_add_u32 s58, s58, -1
	s_addc_u32 s59, s59, -1
	s_cmp_eq_u64 s[58:59], 0
	s_cselect_b64 s[30:31], -1, 0
	s_andn2_b64 s[54:55], s[54:55], exec
	s_and_b64 s[30:31], s[30:31], exec
	v_lshl_add_u64 v[0:1], v[0:1], 0, 4
	v_lshl_add_u64 v[22:23], v[22:23], 0, 4
	s_andn2_b64 s[52:53], s[52:53], exec
	s_or_b64 s[54:55], s[54:55], s[30:31]
	s_branch .LBB1483_779
.LBB1483_782:
	s_or_b64 exec, exec, s[48:49]
	s_and_saveexec_b64 s[28:29], s[50:51]
	s_xor_b64 s[28:29], exec, s[28:29]
; %bb.783:
	v_cndmask_b32_e64 v1, v17, v15, s[46:47]
	v_cndmask_b32_e64 v0, v16, v14, s[46:47]
	;; [unrolled: 1-line block ×4, first 2 shown]
	v_mov_b64_e32 v[16:17], v[0:1]
; %bb.784:
	s_or_b64 exec, exec, s[28:29]
.LBB1483_785:
	s_or_b64 exec, exec, s[44:45]
	s_and_saveexec_b64 s[44:45], s[16:17]
	s_cbranch_execz .LBB1483_794
; %bb.786:
	s_andn2_b64 vcc, exec, s[42:43]
	s_cbranch_vccnz .LBB1483_794
; %bb.787:
	v_mul_lo_u32 v22, v13, s36
	v_mul_lo_u32 v23, v12, s37
	v_mad_u64_u32 v[0:1], s[28:29], v12, s36, 0
	v_add3_u32 v1, v1, v23, v22
	v_mul_lo_u32 v25, v11, s36
	v_mul_lo_u32 v33, v10, s37
	v_mad_u64_u32 v[22:23], s[28:29], v10, s36, 0
	v_add3_u32 v23, v23, v33, v25
	v_lshl_add_u64 v[0:1], v[0:1], 2, s[38:39]
	v_lshl_add_u64 v[22:23], v[22:23], 2, s[38:39]
	s_mov_b64 s[48:49], 0
	s_mov_b64 s[58:59], s[36:37]
                                        ; implicit-def: $sgpr46_sgpr47
                                        ; implicit-def: $sgpr50_sgpr51
                                        ; implicit-def: $sgpr54_sgpr55
                                        ; implicit-def: $sgpr52_sgpr53
                                        ; implicit-def: $sgpr56_sgpr57
	s_branch .LBB1483_789
.LBB1483_788:                           ;   in Loop: Header=BB1483_789 Depth=1
	s_or_b64 exec, exec, s[60:61]
	s_and_b64 s[28:29], s[28:29], s[56:57]
	s_or_b64 s[28:29], vcc, s[28:29]
	s_and_b64 s[30:31], exec, s[54:55]
	s_or_b64 s[48:49], s[30:31], s[48:49]
	s_andn2_b64 s[30:31], s[56:57], exec
	s_and_b64 s[28:29], s[28:29], exec
	s_or_b64 s[56:57], s[30:31], s[28:29]
	s_andn2_b64 s[30:31], s[50:51], exec
	s_and_b64 s[50:51], s[52:53], exec
	s_or_b64 s[50:51], s[30:31], s[50:51]
	s_andn2_b64 s[30:31], s[46:47], exec
	s_or_b64 s[46:47], s[30:31], s[28:29]
	s_andn2_b64 exec, exec, s[48:49]
	s_cbranch_execz .LBB1483_791
.LBB1483_789:                           ; =>This Inner Loop Header: Depth=1
	global_load_dword v25, v[0:1], off
	global_load_dword v33, v[22:23], off
	s_or_b64 s[52:53], s[52:53], exec
	s_or_b64 s[54:55], s[54:55], exec
	s_waitcnt vmcnt(0)
	v_cmp_lt_u32_e32 vcc, v25, v33
	v_cmp_le_u32_e64 s[28:29], v25, v33
	v_cmp_eq_u32_e64 s[30:31], v25, v33
	s_and_saveexec_b64 s[60:61], s[30:31]
	s_cbranch_execz .LBB1483_788
; %bb.790:                              ;   in Loop: Header=BB1483_789 Depth=1
	s_add_u32 s58, s58, -1
	s_addc_u32 s59, s59, -1
	s_cmp_eq_u64 s[58:59], 0
	s_cselect_b64 s[30:31], -1, 0
	s_andn2_b64 s[54:55], s[54:55], exec
	s_and_b64 s[30:31], s[30:31], exec
	v_lshl_add_u64 v[0:1], v[0:1], 0, 4
	v_lshl_add_u64 v[22:23], v[22:23], 0, 4
	s_andn2_b64 s[52:53], s[52:53], exec
	s_or_b64 s[54:55], s[54:55], s[30:31]
	s_branch .LBB1483_788
.LBB1483_791:
	s_or_b64 exec, exec, s[48:49]
	s_and_saveexec_b64 s[28:29], s[50:51]
	s_xor_b64 s[28:29], exec, s[28:29]
; %bb.792:
	v_cndmask_b32_e64 v1, v11, v13, s[46:47]
	v_cndmask_b32_e64 v0, v10, v12, s[46:47]
	;; [unrolled: 1-line block ×4, first 2 shown]
	v_mov_b64_e32 v[10:11], v[0:1]
; %bb.793:
	s_or_b64 exec, exec, s[28:29]
.LBB1483_794:
	s_or_b64 exec, exec, s[44:45]
	s_and_saveexec_b64 s[44:45], s[18:19]
	s_cbranch_execz .LBB1483_803
; %bb.795:
	s_andn2_b64 vcc, exec, s[42:43]
	s_cbranch_vccnz .LBB1483_803
; %bb.796:
	v_mul_lo_u32 v22, v9, s36
	v_mul_lo_u32 v23, v8, s37
	v_mad_u64_u32 v[0:1], s[28:29], v8, s36, 0
	v_add3_u32 v1, v1, v23, v22
	v_mul_lo_u32 v25, v7, s36
	v_mul_lo_u32 v33, v6, s37
	v_mad_u64_u32 v[22:23], s[28:29], v6, s36, 0
	v_add3_u32 v23, v23, v33, v25
	v_lshl_add_u64 v[0:1], v[0:1], 2, s[38:39]
	v_lshl_add_u64 v[22:23], v[22:23], 2, s[38:39]
	s_mov_b64 s[48:49], 0
	s_mov_b64 s[58:59], s[36:37]
                                        ; implicit-def: $sgpr46_sgpr47
                                        ; implicit-def: $sgpr50_sgpr51
                                        ; implicit-def: $sgpr54_sgpr55
                                        ; implicit-def: $sgpr52_sgpr53
                                        ; implicit-def: $sgpr56_sgpr57
	s_branch .LBB1483_798
.LBB1483_797:                           ;   in Loop: Header=BB1483_798 Depth=1
	s_or_b64 exec, exec, s[60:61]
	s_and_b64 s[28:29], s[28:29], s[56:57]
	s_or_b64 s[28:29], vcc, s[28:29]
	s_and_b64 s[30:31], exec, s[54:55]
	s_or_b64 s[48:49], s[30:31], s[48:49]
	s_andn2_b64 s[30:31], s[56:57], exec
	s_and_b64 s[28:29], s[28:29], exec
	s_or_b64 s[56:57], s[30:31], s[28:29]
	s_andn2_b64 s[30:31], s[50:51], exec
	s_and_b64 s[50:51], s[52:53], exec
	s_or_b64 s[50:51], s[30:31], s[50:51]
	s_andn2_b64 s[30:31], s[46:47], exec
	s_or_b64 s[46:47], s[30:31], s[28:29]
	s_andn2_b64 exec, exec, s[48:49]
	s_cbranch_execz .LBB1483_800
.LBB1483_798:                           ; =>This Inner Loop Header: Depth=1
	global_load_dword v25, v[0:1], off
	global_load_dword v33, v[22:23], off
	s_or_b64 s[52:53], s[52:53], exec
	s_or_b64 s[54:55], s[54:55], exec
	s_waitcnt vmcnt(0)
	v_cmp_lt_u32_e32 vcc, v25, v33
	v_cmp_le_u32_e64 s[28:29], v25, v33
	v_cmp_eq_u32_e64 s[30:31], v25, v33
	s_and_saveexec_b64 s[60:61], s[30:31]
	s_cbranch_execz .LBB1483_797
; %bb.799:                              ;   in Loop: Header=BB1483_798 Depth=1
	s_add_u32 s58, s58, -1
	s_addc_u32 s59, s59, -1
	s_cmp_eq_u64 s[58:59], 0
	s_cselect_b64 s[30:31], -1, 0
	s_andn2_b64 s[54:55], s[54:55], exec
	s_and_b64 s[30:31], s[30:31], exec
	v_lshl_add_u64 v[0:1], v[0:1], 0, 4
	v_lshl_add_u64 v[22:23], v[22:23], 0, 4
	s_andn2_b64 s[52:53], s[52:53], exec
	s_or_b64 s[54:55], s[54:55], s[30:31]
	s_branch .LBB1483_797
.LBB1483_800:
	s_or_b64 exec, exec, s[48:49]
	s_and_saveexec_b64 s[28:29], s[50:51]
	s_xor_b64 s[28:29], exec, s[28:29]
; %bb.801:
	v_cndmask_b32_e64 v1, v7, v9, s[46:47]
	v_cndmask_b32_e64 v0, v6, v8, s[46:47]
	;; [unrolled: 1-line block ×4, first 2 shown]
	v_mov_b64_e32 v[6:7], v[0:1]
; %bb.802:
	s_or_b64 exec, exec, s[28:29]
.LBB1483_803:
	s_or_b64 exec, exec, s[44:45]
	s_and_saveexec_b64 s[44:45], s[20:21]
	s_cbranch_execz .LBB1483_812
; %bb.804:
	s_andn2_b64 vcc, exec, s[42:43]
	s_cbranch_vccnz .LBB1483_812
; %bb.805:
	v_mul_lo_u32 v22, v5, s36
	v_mul_lo_u32 v23, v4, s37
	v_mad_u64_u32 v[0:1], s[28:29], v4, s36, 0
	v_add3_u32 v1, v1, v23, v22
	v_mul_lo_u32 v25, v3, s36
	v_mul_lo_u32 v33, v2, s37
	v_mad_u64_u32 v[22:23], s[28:29], v2, s36, 0
	v_add3_u32 v23, v23, v33, v25
	v_lshl_add_u64 v[0:1], v[0:1], 2, s[38:39]
	v_lshl_add_u64 v[22:23], v[22:23], 2, s[38:39]
	s_mov_b64 s[48:49], 0
	s_mov_b64 s[58:59], s[36:37]
                                        ; implicit-def: $sgpr46_sgpr47
                                        ; implicit-def: $sgpr50_sgpr51
                                        ; implicit-def: $sgpr54_sgpr55
                                        ; implicit-def: $sgpr52_sgpr53
                                        ; implicit-def: $sgpr56_sgpr57
	s_branch .LBB1483_807
.LBB1483_806:                           ;   in Loop: Header=BB1483_807 Depth=1
	s_or_b64 exec, exec, s[60:61]
	s_and_b64 s[28:29], s[28:29], s[56:57]
	s_or_b64 s[28:29], vcc, s[28:29]
	s_and_b64 s[30:31], exec, s[54:55]
	s_or_b64 s[48:49], s[30:31], s[48:49]
	s_andn2_b64 s[30:31], s[56:57], exec
	s_and_b64 s[28:29], s[28:29], exec
	s_or_b64 s[56:57], s[30:31], s[28:29]
	s_andn2_b64 s[30:31], s[50:51], exec
	s_and_b64 s[50:51], s[52:53], exec
	s_or_b64 s[50:51], s[30:31], s[50:51]
	s_andn2_b64 s[30:31], s[46:47], exec
	s_or_b64 s[46:47], s[30:31], s[28:29]
	s_andn2_b64 exec, exec, s[48:49]
	s_cbranch_execz .LBB1483_809
.LBB1483_807:                           ; =>This Inner Loop Header: Depth=1
	global_load_dword v25, v[0:1], off
	global_load_dword v33, v[22:23], off
	s_or_b64 s[52:53], s[52:53], exec
	s_or_b64 s[54:55], s[54:55], exec
	s_waitcnt vmcnt(0)
	v_cmp_lt_u32_e32 vcc, v25, v33
	v_cmp_le_u32_e64 s[28:29], v25, v33
	v_cmp_eq_u32_e64 s[30:31], v25, v33
	s_and_saveexec_b64 s[60:61], s[30:31]
	s_cbranch_execz .LBB1483_806
; %bb.808:                              ;   in Loop: Header=BB1483_807 Depth=1
	s_add_u32 s58, s58, -1
	s_addc_u32 s59, s59, -1
	s_cmp_eq_u64 s[58:59], 0
	s_cselect_b64 s[30:31], -1, 0
	s_andn2_b64 s[54:55], s[54:55], exec
	s_and_b64 s[30:31], s[30:31], exec
	v_lshl_add_u64 v[0:1], v[0:1], 0, 4
	v_lshl_add_u64 v[22:23], v[22:23], 0, 4
	s_andn2_b64 s[52:53], s[52:53], exec
	s_or_b64 s[54:55], s[54:55], s[30:31]
	s_branch .LBB1483_806
.LBB1483_809:
	s_or_b64 exec, exec, s[48:49]
	s_and_saveexec_b64 s[28:29], s[50:51]
	s_xor_b64 s[28:29], exec, s[28:29]
; %bb.810:
	v_cndmask_b32_e64 v1, v3, v5, s[46:47]
	v_cndmask_b32_e64 v0, v2, v4, s[46:47]
	;; [unrolled: 1-line block ×4, first 2 shown]
	v_mov_b64_e32 v[2:3], v[0:1]
; %bb.811:
	s_or_b64 exec, exec, s[28:29]
.LBB1483_812:
	s_or_b64 exec, exec, s[44:45]
	s_and_saveexec_b64 s[44:45], s[22:23]
	s_cbranch_execz .LBB1483_821
; %bb.813:
	s_andn2_b64 vcc, exec, s[42:43]
	s_cbranch_vccnz .LBB1483_821
; %bb.814:
	v_mul_lo_u32 v22, v11, s36
	v_mul_lo_u32 v23, v10, s37
	v_mad_u64_u32 v[0:1], s[28:29], v10, s36, 0
	v_add3_u32 v1, v1, v23, v22
	v_mul_lo_u32 v25, v17, s36
	v_mul_lo_u32 v33, v16, s37
	v_mad_u64_u32 v[22:23], s[28:29], v16, s36, 0
	v_add3_u32 v23, v23, v33, v25
	v_lshl_add_u64 v[0:1], v[0:1], 2, s[38:39]
	v_lshl_add_u64 v[22:23], v[22:23], 2, s[38:39]
	s_mov_b64 s[48:49], 0
	s_mov_b64 s[58:59], s[36:37]
                                        ; implicit-def: $sgpr46_sgpr47
                                        ; implicit-def: $sgpr50_sgpr51
                                        ; implicit-def: $sgpr54_sgpr55
                                        ; implicit-def: $sgpr52_sgpr53
                                        ; implicit-def: $sgpr56_sgpr57
	s_branch .LBB1483_816
.LBB1483_815:                           ;   in Loop: Header=BB1483_816 Depth=1
	s_or_b64 exec, exec, s[60:61]
	s_and_b64 s[28:29], s[28:29], s[56:57]
	s_or_b64 s[28:29], vcc, s[28:29]
	s_and_b64 s[30:31], exec, s[54:55]
	s_or_b64 s[48:49], s[30:31], s[48:49]
	s_andn2_b64 s[30:31], s[56:57], exec
	s_and_b64 s[28:29], s[28:29], exec
	s_or_b64 s[56:57], s[30:31], s[28:29]
	s_andn2_b64 s[30:31], s[50:51], exec
	s_and_b64 s[50:51], s[52:53], exec
	s_or_b64 s[50:51], s[30:31], s[50:51]
	s_andn2_b64 s[30:31], s[46:47], exec
	s_or_b64 s[46:47], s[30:31], s[28:29]
	s_andn2_b64 exec, exec, s[48:49]
	s_cbranch_execz .LBB1483_818
.LBB1483_816:                           ; =>This Inner Loop Header: Depth=1
	global_load_dword v25, v[0:1], off
	global_load_dword v33, v[22:23], off
	s_or_b64 s[52:53], s[52:53], exec
	s_or_b64 s[54:55], s[54:55], exec
	s_waitcnt vmcnt(0)
	v_cmp_lt_u32_e32 vcc, v25, v33
	v_cmp_le_u32_e64 s[28:29], v25, v33
	v_cmp_eq_u32_e64 s[30:31], v25, v33
	s_and_saveexec_b64 s[60:61], s[30:31]
	s_cbranch_execz .LBB1483_815
; %bb.817:                              ;   in Loop: Header=BB1483_816 Depth=1
	s_add_u32 s58, s58, -1
	s_addc_u32 s59, s59, -1
	s_cmp_eq_u64 s[58:59], 0
	s_cselect_b64 s[30:31], -1, 0
	s_andn2_b64 s[54:55], s[54:55], exec
	s_and_b64 s[30:31], s[30:31], exec
	v_lshl_add_u64 v[0:1], v[0:1], 0, 4
	v_lshl_add_u64 v[22:23], v[22:23], 0, 4
	s_andn2_b64 s[52:53], s[52:53], exec
	s_or_b64 s[54:55], s[54:55], s[30:31]
	s_branch .LBB1483_815
.LBB1483_818:
	s_or_b64 exec, exec, s[48:49]
	s_and_saveexec_b64 s[28:29], s[50:51]
	s_xor_b64 s[28:29], exec, s[28:29]
; %bb.819:
	v_cndmask_b32_e64 v1, v17, v11, s[46:47]
	v_cndmask_b32_e64 v0, v16, v10, s[46:47]
	;; [unrolled: 1-line block ×4, first 2 shown]
	v_mov_b64_e32 v[16:17], v[0:1]
; %bb.820:
	s_or_b64 exec, exec, s[28:29]
.LBB1483_821:
	s_or_b64 exec, exec, s[44:45]
	s_and_saveexec_b64 s[44:45], s[24:25]
	s_cbranch_execz .LBB1483_830
; %bb.822:
	s_andn2_b64 vcc, exec, s[42:43]
	s_cbranch_vccnz .LBB1483_830
; %bb.823:
	v_mul_lo_u32 v22, v7, s36
	v_mul_lo_u32 v23, v6, s37
	v_mad_u64_u32 v[0:1], s[28:29], v6, s36, 0
	v_add3_u32 v1, v1, v23, v22
	v_mul_lo_u32 v25, v13, s36
	v_mul_lo_u32 v33, v12, s37
	v_mad_u64_u32 v[22:23], s[28:29], v12, s36, 0
	v_add3_u32 v23, v23, v33, v25
	v_lshl_add_u64 v[0:1], v[0:1], 2, s[38:39]
	v_lshl_add_u64 v[22:23], v[22:23], 2, s[38:39]
	s_mov_b64 s[48:49], 0
	s_mov_b64 s[58:59], s[36:37]
                                        ; implicit-def: $sgpr46_sgpr47
                                        ; implicit-def: $sgpr50_sgpr51
                                        ; implicit-def: $sgpr54_sgpr55
                                        ; implicit-def: $sgpr52_sgpr53
                                        ; implicit-def: $sgpr56_sgpr57
	s_branch .LBB1483_825
.LBB1483_824:                           ;   in Loop: Header=BB1483_825 Depth=1
	s_or_b64 exec, exec, s[60:61]
	s_and_b64 s[28:29], s[28:29], s[56:57]
	s_or_b64 s[28:29], vcc, s[28:29]
	s_and_b64 s[30:31], exec, s[54:55]
	s_or_b64 s[48:49], s[30:31], s[48:49]
	s_andn2_b64 s[30:31], s[56:57], exec
	s_and_b64 s[28:29], s[28:29], exec
	s_or_b64 s[56:57], s[30:31], s[28:29]
	s_andn2_b64 s[30:31], s[50:51], exec
	s_and_b64 s[50:51], s[52:53], exec
	s_or_b64 s[50:51], s[30:31], s[50:51]
	s_andn2_b64 s[30:31], s[46:47], exec
	s_or_b64 s[46:47], s[30:31], s[28:29]
	s_andn2_b64 exec, exec, s[48:49]
	s_cbranch_execz .LBB1483_827
.LBB1483_825:                           ; =>This Inner Loop Header: Depth=1
	global_load_dword v25, v[0:1], off
	global_load_dword v33, v[22:23], off
	s_or_b64 s[52:53], s[52:53], exec
	s_or_b64 s[54:55], s[54:55], exec
	s_waitcnt vmcnt(0)
	v_cmp_lt_u32_e32 vcc, v25, v33
	v_cmp_le_u32_e64 s[28:29], v25, v33
	v_cmp_eq_u32_e64 s[30:31], v25, v33
	s_and_saveexec_b64 s[60:61], s[30:31]
	s_cbranch_execz .LBB1483_824
; %bb.826:                              ;   in Loop: Header=BB1483_825 Depth=1
	s_add_u32 s58, s58, -1
	s_addc_u32 s59, s59, -1
	s_cmp_eq_u64 s[58:59], 0
	s_cselect_b64 s[30:31], -1, 0
	s_andn2_b64 s[54:55], s[54:55], exec
	s_and_b64 s[30:31], s[30:31], exec
	v_lshl_add_u64 v[0:1], v[0:1], 0, 4
	v_lshl_add_u64 v[22:23], v[22:23], 0, 4
	s_andn2_b64 s[52:53], s[52:53], exec
	s_or_b64 s[54:55], s[54:55], s[30:31]
	s_branch .LBB1483_824
.LBB1483_827:
	s_or_b64 exec, exec, s[48:49]
	s_and_saveexec_b64 s[28:29], s[50:51]
	s_xor_b64 s[28:29], exec, s[28:29]
; %bb.828:
	v_cndmask_b32_e64 v1, v13, v7, s[46:47]
	v_cndmask_b32_e64 v0, v12, v6, s[46:47]
	;; [unrolled: 1-line block ×4, first 2 shown]
	v_mov_b64_e32 v[12:13], v[0:1]
; %bb.829:
	s_or_b64 exec, exec, s[28:29]
.LBB1483_830:
	s_or_b64 exec, exec, s[44:45]
	s_and_saveexec_b64 s[44:45], s[26:27]
	s_cbranch_execz .LBB1483_839
; %bb.831:
	s_andn2_b64 vcc, exec, s[42:43]
	s_cbranch_vccnz .LBB1483_839
; %bb.832:
	v_mul_lo_u32 v22, v3, s36
	v_mul_lo_u32 v23, v2, s37
	v_mad_u64_u32 v[0:1], s[28:29], v2, s36, 0
	v_add3_u32 v1, v1, v23, v22
	v_mul_lo_u32 v25, v9, s36
	v_mul_lo_u32 v33, v8, s37
	v_mad_u64_u32 v[22:23], s[28:29], v8, s36, 0
	v_add3_u32 v23, v23, v33, v25
	v_lshl_add_u64 v[0:1], v[0:1], 2, s[38:39]
	v_lshl_add_u64 v[22:23], v[22:23], 2, s[38:39]
	s_mov_b64 s[48:49], 0
	s_mov_b64 s[58:59], s[36:37]
                                        ; implicit-def: $sgpr46_sgpr47
                                        ; implicit-def: $sgpr50_sgpr51
                                        ; implicit-def: $sgpr54_sgpr55
                                        ; implicit-def: $sgpr52_sgpr53
                                        ; implicit-def: $sgpr56_sgpr57
	s_branch .LBB1483_834
.LBB1483_833:                           ;   in Loop: Header=BB1483_834 Depth=1
	s_or_b64 exec, exec, s[60:61]
	s_and_b64 s[28:29], s[28:29], s[56:57]
	s_or_b64 s[28:29], vcc, s[28:29]
	s_and_b64 s[30:31], exec, s[54:55]
	s_or_b64 s[48:49], s[30:31], s[48:49]
	s_andn2_b64 s[30:31], s[56:57], exec
	s_and_b64 s[28:29], s[28:29], exec
	s_or_b64 s[56:57], s[30:31], s[28:29]
	s_andn2_b64 s[30:31], s[50:51], exec
	s_and_b64 s[50:51], s[52:53], exec
	s_or_b64 s[50:51], s[30:31], s[50:51]
	s_andn2_b64 s[30:31], s[46:47], exec
	s_or_b64 s[46:47], s[30:31], s[28:29]
	s_andn2_b64 exec, exec, s[48:49]
	s_cbranch_execz .LBB1483_836
.LBB1483_834:                           ; =>This Inner Loop Header: Depth=1
	global_load_dword v25, v[0:1], off
	global_load_dword v33, v[22:23], off
	s_or_b64 s[52:53], s[52:53], exec
	s_or_b64 s[54:55], s[54:55], exec
	s_waitcnt vmcnt(0)
	v_cmp_lt_u32_e32 vcc, v25, v33
	v_cmp_le_u32_e64 s[28:29], v25, v33
	v_cmp_eq_u32_e64 s[30:31], v25, v33
	s_and_saveexec_b64 s[60:61], s[30:31]
	s_cbranch_execz .LBB1483_833
; %bb.835:                              ;   in Loop: Header=BB1483_834 Depth=1
	s_add_u32 s58, s58, -1
	s_addc_u32 s59, s59, -1
	s_cmp_eq_u64 s[58:59], 0
	s_cselect_b64 s[30:31], -1, 0
	s_andn2_b64 s[54:55], s[54:55], exec
	s_and_b64 s[30:31], s[30:31], exec
	v_lshl_add_u64 v[0:1], v[0:1], 0, 4
	v_lshl_add_u64 v[22:23], v[22:23], 0, 4
	s_andn2_b64 s[52:53], s[52:53], exec
	s_or_b64 s[54:55], s[54:55], s[30:31]
	s_branch .LBB1483_833
.LBB1483_836:
	s_or_b64 exec, exec, s[48:49]
	s_and_saveexec_b64 s[28:29], s[50:51]
	s_xor_b64 s[28:29], exec, s[28:29]
; %bb.837:
	v_cndmask_b32_e64 v1, v9, v3, s[46:47]
	v_cndmask_b32_e64 v0, v8, v2, s[46:47]
	;; [unrolled: 1-line block ×4, first 2 shown]
	v_mov_b64_e32 v[8:9], v[0:1]
; %bb.838:
	s_or_b64 exec, exec, s[28:29]
.LBB1483_839:
	s_or_b64 exec, exec, s[44:45]
	s_and_saveexec_b64 s[44:45], s[14:15]
	s_cbranch_execz .LBB1483_848
; %bb.840:
	s_andn2_b64 vcc, exec, s[42:43]
	s_cbranch_vccnz .LBB1483_848
; %bb.841:
	v_mul_lo_u32 v22, v17, s36
	v_mul_lo_u32 v23, v16, s37
	v_mad_u64_u32 v[0:1], s[28:29], v16, s36, 0
	v_add3_u32 v1, v1, v23, v22
	v_mul_lo_u32 v25, v15, s36
	v_mul_lo_u32 v33, v14, s37
	v_mad_u64_u32 v[22:23], s[28:29], v14, s36, 0
	v_add3_u32 v23, v23, v33, v25
	v_lshl_add_u64 v[0:1], v[0:1], 2, s[38:39]
	v_lshl_add_u64 v[22:23], v[22:23], 2, s[38:39]
	s_mov_b64 s[48:49], 0
	s_mov_b64 s[58:59], s[36:37]
                                        ; implicit-def: $sgpr46_sgpr47
                                        ; implicit-def: $sgpr50_sgpr51
                                        ; implicit-def: $sgpr54_sgpr55
                                        ; implicit-def: $sgpr52_sgpr53
                                        ; implicit-def: $sgpr56_sgpr57
	s_branch .LBB1483_843
.LBB1483_842:                           ;   in Loop: Header=BB1483_843 Depth=1
	s_or_b64 exec, exec, s[60:61]
	s_and_b64 s[28:29], s[28:29], s[56:57]
	s_or_b64 s[28:29], vcc, s[28:29]
	s_and_b64 s[30:31], exec, s[54:55]
	s_or_b64 s[48:49], s[30:31], s[48:49]
	s_andn2_b64 s[30:31], s[56:57], exec
	s_and_b64 s[28:29], s[28:29], exec
	s_or_b64 s[56:57], s[30:31], s[28:29]
	s_andn2_b64 s[30:31], s[50:51], exec
	s_and_b64 s[50:51], s[52:53], exec
	s_or_b64 s[50:51], s[30:31], s[50:51]
	s_andn2_b64 s[30:31], s[46:47], exec
	s_or_b64 s[46:47], s[30:31], s[28:29]
	s_andn2_b64 exec, exec, s[48:49]
	s_cbranch_execz .LBB1483_845
.LBB1483_843:                           ; =>This Inner Loop Header: Depth=1
	global_load_dword v25, v[0:1], off
	global_load_dword v33, v[22:23], off
	s_or_b64 s[52:53], s[52:53], exec
	s_or_b64 s[54:55], s[54:55], exec
	s_waitcnt vmcnt(0)
	v_cmp_lt_u32_e32 vcc, v25, v33
	v_cmp_le_u32_e64 s[28:29], v25, v33
	v_cmp_eq_u32_e64 s[30:31], v25, v33
	s_and_saveexec_b64 s[60:61], s[30:31]
	s_cbranch_execz .LBB1483_842
; %bb.844:                              ;   in Loop: Header=BB1483_843 Depth=1
	s_add_u32 s58, s58, -1
	s_addc_u32 s59, s59, -1
	s_cmp_eq_u64 s[58:59], 0
	s_cselect_b64 s[30:31], -1, 0
	s_andn2_b64 s[54:55], s[54:55], exec
	s_and_b64 s[30:31], s[30:31], exec
	v_lshl_add_u64 v[0:1], v[0:1], 0, 4
	v_lshl_add_u64 v[22:23], v[22:23], 0, 4
	s_andn2_b64 s[52:53], s[52:53], exec
	s_or_b64 s[54:55], s[54:55], s[30:31]
	s_branch .LBB1483_842
.LBB1483_845:
	s_or_b64 exec, exec, s[48:49]
	s_and_saveexec_b64 s[28:29], s[50:51]
	s_xor_b64 s[28:29], exec, s[28:29]
; %bb.846:
	v_cndmask_b32_e64 v1, v17, v15, s[46:47]
	v_cndmask_b32_e64 v0, v16, v14, s[46:47]
	;; [unrolled: 1-line block ×4, first 2 shown]
	v_mov_b64_e32 v[16:17], v[0:1]
; %bb.847:
	s_or_b64 exec, exec, s[28:29]
.LBB1483_848:
	s_or_b64 exec, exec, s[44:45]
	s_and_saveexec_b64 s[44:45], s[16:17]
	s_cbranch_execz .LBB1483_857
; %bb.849:
	s_andn2_b64 vcc, exec, s[42:43]
	s_cbranch_vccnz .LBB1483_857
; %bb.850:
	v_mul_lo_u32 v22, v13, s36
	v_mul_lo_u32 v23, v12, s37
	v_mad_u64_u32 v[0:1], s[28:29], v12, s36, 0
	v_add3_u32 v1, v1, v23, v22
	v_mul_lo_u32 v25, v11, s36
	v_mul_lo_u32 v33, v10, s37
	v_mad_u64_u32 v[22:23], s[28:29], v10, s36, 0
	v_add3_u32 v23, v23, v33, v25
	v_lshl_add_u64 v[0:1], v[0:1], 2, s[38:39]
	v_lshl_add_u64 v[22:23], v[22:23], 2, s[38:39]
	s_mov_b64 s[48:49], 0
	s_mov_b64 s[58:59], s[36:37]
                                        ; implicit-def: $sgpr46_sgpr47
                                        ; implicit-def: $sgpr50_sgpr51
                                        ; implicit-def: $sgpr54_sgpr55
                                        ; implicit-def: $sgpr52_sgpr53
                                        ; implicit-def: $sgpr56_sgpr57
	s_branch .LBB1483_852
.LBB1483_851:                           ;   in Loop: Header=BB1483_852 Depth=1
	s_or_b64 exec, exec, s[60:61]
	s_and_b64 s[28:29], s[28:29], s[56:57]
	s_or_b64 s[28:29], vcc, s[28:29]
	s_and_b64 s[30:31], exec, s[54:55]
	s_or_b64 s[48:49], s[30:31], s[48:49]
	s_andn2_b64 s[30:31], s[56:57], exec
	s_and_b64 s[28:29], s[28:29], exec
	s_or_b64 s[56:57], s[30:31], s[28:29]
	s_andn2_b64 s[30:31], s[50:51], exec
	s_and_b64 s[50:51], s[52:53], exec
	s_or_b64 s[50:51], s[30:31], s[50:51]
	s_andn2_b64 s[30:31], s[46:47], exec
	s_or_b64 s[46:47], s[30:31], s[28:29]
	s_andn2_b64 exec, exec, s[48:49]
	s_cbranch_execz .LBB1483_854
.LBB1483_852:                           ; =>This Inner Loop Header: Depth=1
	global_load_dword v25, v[0:1], off
	global_load_dword v33, v[22:23], off
	s_or_b64 s[52:53], s[52:53], exec
	s_or_b64 s[54:55], s[54:55], exec
	s_waitcnt vmcnt(0)
	v_cmp_lt_u32_e32 vcc, v25, v33
	v_cmp_le_u32_e64 s[28:29], v25, v33
	v_cmp_eq_u32_e64 s[30:31], v25, v33
	s_and_saveexec_b64 s[60:61], s[30:31]
	s_cbranch_execz .LBB1483_851
; %bb.853:                              ;   in Loop: Header=BB1483_852 Depth=1
	s_add_u32 s58, s58, -1
	s_addc_u32 s59, s59, -1
	s_cmp_eq_u64 s[58:59], 0
	s_cselect_b64 s[30:31], -1, 0
	s_andn2_b64 s[54:55], s[54:55], exec
	s_and_b64 s[30:31], s[30:31], exec
	v_lshl_add_u64 v[0:1], v[0:1], 0, 4
	v_lshl_add_u64 v[22:23], v[22:23], 0, 4
	s_andn2_b64 s[52:53], s[52:53], exec
	s_or_b64 s[54:55], s[54:55], s[30:31]
	s_branch .LBB1483_851
.LBB1483_854:
	s_or_b64 exec, exec, s[48:49]
	s_and_saveexec_b64 s[28:29], s[50:51]
	s_xor_b64 s[28:29], exec, s[28:29]
; %bb.855:
	v_cndmask_b32_e64 v1, v11, v13, s[46:47]
	v_cndmask_b32_e64 v0, v10, v12, s[46:47]
	;; [unrolled: 1-line block ×4, first 2 shown]
	v_mov_b64_e32 v[10:11], v[0:1]
; %bb.856:
	s_or_b64 exec, exec, s[28:29]
.LBB1483_857:
	s_or_b64 exec, exec, s[44:45]
	s_and_saveexec_b64 s[44:45], s[18:19]
	s_cbranch_execz .LBB1483_866
; %bb.858:
	s_andn2_b64 vcc, exec, s[42:43]
	s_cbranch_vccnz .LBB1483_866
; %bb.859:
	v_mul_lo_u32 v22, v9, s36
	v_mul_lo_u32 v23, v8, s37
	v_mad_u64_u32 v[0:1], s[28:29], v8, s36, 0
	v_add3_u32 v1, v1, v23, v22
	v_mul_lo_u32 v25, v7, s36
	v_mul_lo_u32 v33, v6, s37
	v_mad_u64_u32 v[22:23], s[28:29], v6, s36, 0
	v_add3_u32 v23, v23, v33, v25
	v_lshl_add_u64 v[0:1], v[0:1], 2, s[38:39]
	v_lshl_add_u64 v[22:23], v[22:23], 2, s[38:39]
	s_mov_b64 s[48:49], 0
	s_mov_b64 s[58:59], s[36:37]
                                        ; implicit-def: $sgpr46_sgpr47
                                        ; implicit-def: $sgpr50_sgpr51
                                        ; implicit-def: $sgpr54_sgpr55
                                        ; implicit-def: $sgpr52_sgpr53
                                        ; implicit-def: $sgpr56_sgpr57
	s_branch .LBB1483_861
.LBB1483_860:                           ;   in Loop: Header=BB1483_861 Depth=1
	s_or_b64 exec, exec, s[60:61]
	s_and_b64 s[28:29], s[28:29], s[56:57]
	s_or_b64 s[28:29], vcc, s[28:29]
	s_and_b64 s[30:31], exec, s[54:55]
	s_or_b64 s[48:49], s[30:31], s[48:49]
	s_andn2_b64 s[30:31], s[56:57], exec
	s_and_b64 s[28:29], s[28:29], exec
	s_or_b64 s[56:57], s[30:31], s[28:29]
	s_andn2_b64 s[30:31], s[50:51], exec
	s_and_b64 s[50:51], s[52:53], exec
	s_or_b64 s[50:51], s[30:31], s[50:51]
	s_andn2_b64 s[30:31], s[46:47], exec
	s_or_b64 s[46:47], s[30:31], s[28:29]
	s_andn2_b64 exec, exec, s[48:49]
	s_cbranch_execz .LBB1483_863
.LBB1483_861:                           ; =>This Inner Loop Header: Depth=1
	global_load_dword v25, v[0:1], off
	global_load_dword v33, v[22:23], off
	s_or_b64 s[52:53], s[52:53], exec
	s_or_b64 s[54:55], s[54:55], exec
	s_waitcnt vmcnt(0)
	v_cmp_lt_u32_e32 vcc, v25, v33
	v_cmp_le_u32_e64 s[28:29], v25, v33
	v_cmp_eq_u32_e64 s[30:31], v25, v33
	s_and_saveexec_b64 s[60:61], s[30:31]
	s_cbranch_execz .LBB1483_860
; %bb.862:                              ;   in Loop: Header=BB1483_861 Depth=1
	s_add_u32 s58, s58, -1
	s_addc_u32 s59, s59, -1
	s_cmp_eq_u64 s[58:59], 0
	s_cselect_b64 s[30:31], -1, 0
	s_andn2_b64 s[54:55], s[54:55], exec
	s_and_b64 s[30:31], s[30:31], exec
	v_lshl_add_u64 v[0:1], v[0:1], 0, 4
	v_lshl_add_u64 v[22:23], v[22:23], 0, 4
	s_andn2_b64 s[52:53], s[52:53], exec
	s_or_b64 s[54:55], s[54:55], s[30:31]
	s_branch .LBB1483_860
.LBB1483_863:
	s_or_b64 exec, exec, s[48:49]
	s_and_saveexec_b64 s[28:29], s[50:51]
	s_xor_b64 s[28:29], exec, s[28:29]
; %bb.864:
	v_cndmask_b32_e64 v1, v7, v9, s[46:47]
	v_cndmask_b32_e64 v0, v6, v8, s[46:47]
	v_cndmask_b32_e64 v9, v9, v7, s[46:47]
	v_cndmask_b32_e64 v8, v8, v6, s[46:47]
	v_mov_b64_e32 v[6:7], v[0:1]
; %bb.865:
	s_or_b64 exec, exec, s[28:29]
.LBB1483_866:
	s_or_b64 exec, exec, s[44:45]
	s_and_saveexec_b64 s[44:45], s[20:21]
	s_cbranch_execz .LBB1483_875
; %bb.867:
	s_andn2_b64 vcc, exec, s[42:43]
	s_cbranch_vccnz .LBB1483_875
; %bb.868:
	v_mul_lo_u32 v22, v5, s36
	v_mul_lo_u32 v23, v4, s37
	v_mad_u64_u32 v[0:1], s[28:29], v4, s36, 0
	v_add3_u32 v1, v1, v23, v22
	v_mul_lo_u32 v25, v3, s36
	v_mul_lo_u32 v33, v2, s37
	v_mad_u64_u32 v[22:23], s[28:29], v2, s36, 0
	v_add3_u32 v23, v23, v33, v25
	v_lshl_add_u64 v[0:1], v[0:1], 2, s[38:39]
	v_lshl_add_u64 v[22:23], v[22:23], 2, s[38:39]
	s_mov_b64 s[48:49], 0
	s_mov_b64 s[58:59], s[36:37]
                                        ; implicit-def: $sgpr46_sgpr47
                                        ; implicit-def: $sgpr50_sgpr51
                                        ; implicit-def: $sgpr54_sgpr55
                                        ; implicit-def: $sgpr52_sgpr53
                                        ; implicit-def: $sgpr56_sgpr57
	s_branch .LBB1483_870
.LBB1483_869:                           ;   in Loop: Header=BB1483_870 Depth=1
	s_or_b64 exec, exec, s[60:61]
	s_and_b64 s[28:29], s[28:29], s[56:57]
	s_or_b64 s[28:29], vcc, s[28:29]
	s_and_b64 s[30:31], exec, s[54:55]
	s_or_b64 s[48:49], s[30:31], s[48:49]
	s_andn2_b64 s[30:31], s[56:57], exec
	s_and_b64 s[28:29], s[28:29], exec
	s_or_b64 s[56:57], s[30:31], s[28:29]
	s_andn2_b64 s[30:31], s[50:51], exec
	s_and_b64 s[50:51], s[52:53], exec
	s_or_b64 s[50:51], s[30:31], s[50:51]
	s_andn2_b64 s[30:31], s[46:47], exec
	s_or_b64 s[46:47], s[30:31], s[28:29]
	s_andn2_b64 exec, exec, s[48:49]
	s_cbranch_execz .LBB1483_872
.LBB1483_870:                           ; =>This Inner Loop Header: Depth=1
	global_load_dword v25, v[0:1], off
	global_load_dword v33, v[22:23], off
	s_or_b64 s[52:53], s[52:53], exec
	s_or_b64 s[54:55], s[54:55], exec
	s_waitcnt vmcnt(0)
	v_cmp_lt_u32_e32 vcc, v25, v33
	v_cmp_le_u32_e64 s[28:29], v25, v33
	v_cmp_eq_u32_e64 s[30:31], v25, v33
	s_and_saveexec_b64 s[60:61], s[30:31]
	s_cbranch_execz .LBB1483_869
; %bb.871:                              ;   in Loop: Header=BB1483_870 Depth=1
	s_add_u32 s58, s58, -1
	s_addc_u32 s59, s59, -1
	s_cmp_eq_u64 s[58:59], 0
	s_cselect_b64 s[30:31], -1, 0
	s_andn2_b64 s[54:55], s[54:55], exec
	s_and_b64 s[30:31], s[30:31], exec
	v_lshl_add_u64 v[0:1], v[0:1], 0, 4
	v_lshl_add_u64 v[22:23], v[22:23], 0, 4
	s_andn2_b64 s[52:53], s[52:53], exec
	s_or_b64 s[54:55], s[54:55], s[30:31]
	s_branch .LBB1483_869
.LBB1483_872:
	s_or_b64 exec, exec, s[48:49]
	s_and_saveexec_b64 s[28:29], s[50:51]
	s_xor_b64 s[28:29], exec, s[28:29]
; %bb.873:
	v_cndmask_b32_e64 v1, v3, v5, s[46:47]
	v_cndmask_b32_e64 v0, v2, v4, s[46:47]
	;; [unrolled: 1-line block ×4, first 2 shown]
	v_mov_b64_e32 v[2:3], v[0:1]
; %bb.874:
	s_or_b64 exec, exec, s[28:29]
.LBB1483_875:
	s_or_b64 exec, exec, s[44:45]
	s_and_saveexec_b64 s[44:45], s[22:23]
	s_cbranch_execz .LBB1483_884
; %bb.876:
	s_andn2_b64 vcc, exec, s[42:43]
	s_cbranch_vccnz .LBB1483_884
; %bb.877:
	v_mul_lo_u32 v22, v11, s36
	v_mul_lo_u32 v23, v10, s37
	v_mad_u64_u32 v[0:1], s[28:29], v10, s36, 0
	v_add3_u32 v1, v1, v23, v22
	v_mul_lo_u32 v25, v17, s36
	v_mul_lo_u32 v33, v16, s37
	v_mad_u64_u32 v[22:23], s[28:29], v16, s36, 0
	v_add3_u32 v23, v23, v33, v25
	v_lshl_add_u64 v[0:1], v[0:1], 2, s[38:39]
	v_lshl_add_u64 v[22:23], v[22:23], 2, s[38:39]
	s_mov_b64 s[48:49], 0
	s_mov_b64 s[58:59], s[36:37]
                                        ; implicit-def: $sgpr46_sgpr47
                                        ; implicit-def: $sgpr50_sgpr51
                                        ; implicit-def: $sgpr54_sgpr55
                                        ; implicit-def: $sgpr52_sgpr53
                                        ; implicit-def: $sgpr56_sgpr57
	s_branch .LBB1483_879
.LBB1483_878:                           ;   in Loop: Header=BB1483_879 Depth=1
	s_or_b64 exec, exec, s[60:61]
	s_and_b64 s[28:29], s[28:29], s[56:57]
	s_or_b64 s[28:29], vcc, s[28:29]
	s_and_b64 s[30:31], exec, s[54:55]
	s_or_b64 s[48:49], s[30:31], s[48:49]
	s_andn2_b64 s[30:31], s[56:57], exec
	s_and_b64 s[28:29], s[28:29], exec
	s_or_b64 s[56:57], s[30:31], s[28:29]
	s_andn2_b64 s[30:31], s[50:51], exec
	s_and_b64 s[50:51], s[52:53], exec
	s_or_b64 s[50:51], s[30:31], s[50:51]
	s_andn2_b64 s[30:31], s[46:47], exec
	s_or_b64 s[46:47], s[30:31], s[28:29]
	s_andn2_b64 exec, exec, s[48:49]
	s_cbranch_execz .LBB1483_881
.LBB1483_879:                           ; =>This Inner Loop Header: Depth=1
	global_load_dword v25, v[0:1], off
	global_load_dword v33, v[22:23], off
	s_or_b64 s[52:53], s[52:53], exec
	s_or_b64 s[54:55], s[54:55], exec
	s_waitcnt vmcnt(0)
	v_cmp_lt_u32_e32 vcc, v25, v33
	v_cmp_le_u32_e64 s[28:29], v25, v33
	v_cmp_eq_u32_e64 s[30:31], v25, v33
	s_and_saveexec_b64 s[60:61], s[30:31]
	s_cbranch_execz .LBB1483_878
; %bb.880:                              ;   in Loop: Header=BB1483_879 Depth=1
	s_add_u32 s58, s58, -1
	s_addc_u32 s59, s59, -1
	s_cmp_eq_u64 s[58:59], 0
	s_cselect_b64 s[30:31], -1, 0
	s_andn2_b64 s[54:55], s[54:55], exec
	s_and_b64 s[30:31], s[30:31], exec
	v_lshl_add_u64 v[0:1], v[0:1], 0, 4
	v_lshl_add_u64 v[22:23], v[22:23], 0, 4
	s_andn2_b64 s[52:53], s[52:53], exec
	s_or_b64 s[54:55], s[54:55], s[30:31]
	s_branch .LBB1483_878
.LBB1483_881:
	s_or_b64 exec, exec, s[48:49]
	s_and_saveexec_b64 s[28:29], s[50:51]
	s_xor_b64 s[28:29], exec, s[28:29]
; %bb.882:
	v_cndmask_b32_e64 v1, v17, v11, s[46:47]
	v_cndmask_b32_e64 v0, v16, v10, s[46:47]
	;; [unrolled: 1-line block ×4, first 2 shown]
	v_mov_b64_e32 v[16:17], v[0:1]
; %bb.883:
	s_or_b64 exec, exec, s[28:29]
.LBB1483_884:
	s_or_b64 exec, exec, s[44:45]
	s_and_saveexec_b64 s[44:45], s[24:25]
	s_cbranch_execz .LBB1483_893
; %bb.885:
	s_andn2_b64 vcc, exec, s[42:43]
	s_cbranch_vccnz .LBB1483_893
; %bb.886:
	v_mul_lo_u32 v22, v7, s36
	v_mul_lo_u32 v23, v6, s37
	v_mad_u64_u32 v[0:1], s[28:29], v6, s36, 0
	v_add3_u32 v1, v1, v23, v22
	v_mul_lo_u32 v25, v13, s36
	v_mul_lo_u32 v33, v12, s37
	v_mad_u64_u32 v[22:23], s[28:29], v12, s36, 0
	v_add3_u32 v23, v23, v33, v25
	v_lshl_add_u64 v[0:1], v[0:1], 2, s[38:39]
	v_lshl_add_u64 v[22:23], v[22:23], 2, s[38:39]
	s_mov_b64 s[48:49], 0
	s_mov_b64 s[58:59], s[36:37]
                                        ; implicit-def: $sgpr46_sgpr47
                                        ; implicit-def: $sgpr50_sgpr51
                                        ; implicit-def: $sgpr54_sgpr55
                                        ; implicit-def: $sgpr52_sgpr53
                                        ; implicit-def: $sgpr56_sgpr57
	s_branch .LBB1483_888
.LBB1483_887:                           ;   in Loop: Header=BB1483_888 Depth=1
	s_or_b64 exec, exec, s[60:61]
	s_and_b64 s[28:29], s[28:29], s[56:57]
	s_or_b64 s[28:29], vcc, s[28:29]
	s_and_b64 s[30:31], exec, s[54:55]
	s_or_b64 s[48:49], s[30:31], s[48:49]
	s_andn2_b64 s[30:31], s[56:57], exec
	s_and_b64 s[28:29], s[28:29], exec
	s_or_b64 s[56:57], s[30:31], s[28:29]
	s_andn2_b64 s[30:31], s[50:51], exec
	s_and_b64 s[50:51], s[52:53], exec
	s_or_b64 s[50:51], s[30:31], s[50:51]
	s_andn2_b64 s[30:31], s[46:47], exec
	s_or_b64 s[46:47], s[30:31], s[28:29]
	s_andn2_b64 exec, exec, s[48:49]
	s_cbranch_execz .LBB1483_890
.LBB1483_888:                           ; =>This Inner Loop Header: Depth=1
	global_load_dword v25, v[0:1], off
	global_load_dword v33, v[22:23], off
	s_or_b64 s[52:53], s[52:53], exec
	s_or_b64 s[54:55], s[54:55], exec
	s_waitcnt vmcnt(0)
	v_cmp_lt_u32_e32 vcc, v25, v33
	v_cmp_le_u32_e64 s[28:29], v25, v33
	v_cmp_eq_u32_e64 s[30:31], v25, v33
	s_and_saveexec_b64 s[60:61], s[30:31]
	s_cbranch_execz .LBB1483_887
; %bb.889:                              ;   in Loop: Header=BB1483_888 Depth=1
	s_add_u32 s58, s58, -1
	s_addc_u32 s59, s59, -1
	s_cmp_eq_u64 s[58:59], 0
	s_cselect_b64 s[30:31], -1, 0
	s_andn2_b64 s[54:55], s[54:55], exec
	s_and_b64 s[30:31], s[30:31], exec
	v_lshl_add_u64 v[0:1], v[0:1], 0, 4
	v_lshl_add_u64 v[22:23], v[22:23], 0, 4
	s_andn2_b64 s[52:53], s[52:53], exec
	s_or_b64 s[54:55], s[54:55], s[30:31]
	s_branch .LBB1483_887
.LBB1483_890:
	s_or_b64 exec, exec, s[48:49]
	s_and_saveexec_b64 s[28:29], s[50:51]
	s_xor_b64 s[28:29], exec, s[28:29]
; %bb.891:
	v_cndmask_b32_e64 v1, v13, v7, s[46:47]
	v_cndmask_b32_e64 v0, v12, v6, s[46:47]
	;; [unrolled: 1-line block ×4, first 2 shown]
	v_mov_b64_e32 v[12:13], v[0:1]
; %bb.892:
	s_or_b64 exec, exec, s[28:29]
.LBB1483_893:
	s_or_b64 exec, exec, s[44:45]
	s_and_saveexec_b64 s[44:45], s[26:27]
	s_cbranch_execz .LBB1483_902
; %bb.894:
	s_andn2_b64 vcc, exec, s[42:43]
	s_cbranch_vccnz .LBB1483_902
; %bb.895:
	v_mul_lo_u32 v22, v3, s36
	v_mul_lo_u32 v23, v2, s37
	v_mad_u64_u32 v[0:1], s[28:29], v2, s36, 0
	v_add3_u32 v1, v1, v23, v22
	v_mul_lo_u32 v25, v9, s36
	v_mul_lo_u32 v33, v8, s37
	v_mad_u64_u32 v[22:23], s[28:29], v8, s36, 0
	v_add3_u32 v23, v23, v33, v25
	v_lshl_add_u64 v[0:1], v[0:1], 2, s[38:39]
	v_lshl_add_u64 v[22:23], v[22:23], 2, s[38:39]
	s_mov_b64 s[48:49], 0
	s_mov_b64 s[58:59], s[36:37]
                                        ; implicit-def: $sgpr46_sgpr47
                                        ; implicit-def: $sgpr50_sgpr51
                                        ; implicit-def: $sgpr54_sgpr55
                                        ; implicit-def: $sgpr52_sgpr53
                                        ; implicit-def: $sgpr56_sgpr57
	s_branch .LBB1483_897
.LBB1483_896:                           ;   in Loop: Header=BB1483_897 Depth=1
	s_or_b64 exec, exec, s[60:61]
	s_and_b64 s[28:29], s[28:29], s[56:57]
	s_or_b64 s[28:29], vcc, s[28:29]
	s_and_b64 s[30:31], exec, s[54:55]
	s_or_b64 s[48:49], s[30:31], s[48:49]
	s_andn2_b64 s[30:31], s[56:57], exec
	s_and_b64 s[28:29], s[28:29], exec
	s_or_b64 s[56:57], s[30:31], s[28:29]
	s_andn2_b64 s[30:31], s[50:51], exec
	s_and_b64 s[50:51], s[52:53], exec
	s_or_b64 s[50:51], s[30:31], s[50:51]
	s_andn2_b64 s[30:31], s[46:47], exec
	s_or_b64 s[46:47], s[30:31], s[28:29]
	s_andn2_b64 exec, exec, s[48:49]
	s_cbranch_execz .LBB1483_899
.LBB1483_897:                           ; =>This Inner Loop Header: Depth=1
	global_load_dword v25, v[0:1], off
	global_load_dword v33, v[22:23], off
	s_or_b64 s[52:53], s[52:53], exec
	s_or_b64 s[54:55], s[54:55], exec
	s_waitcnt vmcnt(0)
	v_cmp_lt_u32_e32 vcc, v25, v33
	v_cmp_le_u32_e64 s[28:29], v25, v33
	v_cmp_eq_u32_e64 s[30:31], v25, v33
	s_and_saveexec_b64 s[60:61], s[30:31]
	s_cbranch_execz .LBB1483_896
; %bb.898:                              ;   in Loop: Header=BB1483_897 Depth=1
	s_add_u32 s58, s58, -1
	s_addc_u32 s59, s59, -1
	s_cmp_eq_u64 s[58:59], 0
	s_cselect_b64 s[30:31], -1, 0
	s_andn2_b64 s[54:55], s[54:55], exec
	s_and_b64 s[30:31], s[30:31], exec
	v_lshl_add_u64 v[0:1], v[0:1], 0, 4
	v_lshl_add_u64 v[22:23], v[22:23], 0, 4
	s_andn2_b64 s[52:53], s[52:53], exec
	s_or_b64 s[54:55], s[54:55], s[30:31]
	s_branch .LBB1483_896
.LBB1483_899:
	s_or_b64 exec, exec, s[48:49]
	s_and_saveexec_b64 s[28:29], s[50:51]
	s_xor_b64 s[28:29], exec, s[28:29]
; %bb.900:
	v_cndmask_b32_e64 v1, v9, v3, s[46:47]
	v_cndmask_b32_e64 v0, v8, v2, s[46:47]
	v_cndmask_b32_e64 v3, v3, v9, s[46:47]
	v_cndmask_b32_e64 v2, v2, v8, s[46:47]
	v_mov_b64_e32 v[8:9], v[0:1]
; %bb.901:
	s_or_b64 exec, exec, s[28:29]
.LBB1483_902:
	s_or_b64 exec, exec, s[44:45]
	s_and_saveexec_b64 s[30:31], s[14:15]
	s_cbranch_execz .LBB1483_911
; %bb.903:
	s_andn2_b64 vcc, exec, s[42:43]
	s_cbranch_vccnz .LBB1483_911
; %bb.904:
	v_mul_lo_u32 v22, v17, s36
	v_mul_lo_u32 v23, v16, s37
	v_mad_u64_u32 v[0:1], s[14:15], v16, s36, 0
	v_add3_u32 v1, v1, v23, v22
	v_mul_lo_u32 v25, v15, s36
	v_mul_lo_u32 v33, v14, s37
	v_mad_u64_u32 v[22:23], s[14:15], v14, s36, 0
	v_add3_u32 v23, v23, v33, v25
	v_lshl_add_u64 v[0:1], v[0:1], 2, s[38:39]
	v_lshl_add_u64 v[22:23], v[22:23], 2, s[38:39]
	s_mov_b64 s[46:47], 0
	s_mov_b64 s[56:57], s[36:37]
                                        ; implicit-def: $sgpr44_sgpr45
                                        ; implicit-def: $sgpr48_sgpr49
                                        ; implicit-def: $sgpr52_sgpr53
                                        ; implicit-def: $sgpr50_sgpr51
                                        ; implicit-def: $sgpr54_sgpr55
	s_branch .LBB1483_906
.LBB1483_905:                           ;   in Loop: Header=BB1483_906 Depth=1
	s_or_b64 exec, exec, s[58:59]
	s_and_b64 s[14:15], s[14:15], s[54:55]
	s_or_b64 s[14:15], vcc, s[14:15]
	s_and_b64 s[28:29], exec, s[52:53]
	s_or_b64 s[46:47], s[28:29], s[46:47]
	s_andn2_b64 s[28:29], s[54:55], exec
	s_and_b64 s[14:15], s[14:15], exec
	s_or_b64 s[54:55], s[28:29], s[14:15]
	s_andn2_b64 s[28:29], s[48:49], exec
	s_and_b64 s[48:49], s[50:51], exec
	s_or_b64 s[48:49], s[28:29], s[48:49]
	s_andn2_b64 s[28:29], s[44:45], exec
	s_or_b64 s[44:45], s[28:29], s[14:15]
	s_andn2_b64 exec, exec, s[46:47]
	s_cbranch_execz .LBB1483_908
.LBB1483_906:                           ; =>This Inner Loop Header: Depth=1
	global_load_dword v25, v[0:1], off
	global_load_dword v33, v[22:23], off
	s_or_b64 s[50:51], s[50:51], exec
	s_or_b64 s[52:53], s[52:53], exec
	s_waitcnt vmcnt(0)
	v_cmp_lt_u32_e32 vcc, v25, v33
	v_cmp_le_u32_e64 s[14:15], v25, v33
	v_cmp_eq_u32_e64 s[28:29], v25, v33
	s_and_saveexec_b64 s[58:59], s[28:29]
	s_cbranch_execz .LBB1483_905
; %bb.907:                              ;   in Loop: Header=BB1483_906 Depth=1
	s_add_u32 s56, s56, -1
	s_addc_u32 s57, s57, -1
	s_cmp_eq_u64 s[56:57], 0
	s_cselect_b64 s[28:29], -1, 0
	s_andn2_b64 s[52:53], s[52:53], exec
	s_and_b64 s[28:29], s[28:29], exec
	v_lshl_add_u64 v[0:1], v[0:1], 0, 4
	v_lshl_add_u64 v[22:23], v[22:23], 0, 4
	s_andn2_b64 s[50:51], s[50:51], exec
	s_or_b64 s[52:53], s[52:53], s[28:29]
	s_branch .LBB1483_905
.LBB1483_908:
	s_or_b64 exec, exec, s[46:47]
	s_and_saveexec_b64 s[14:15], s[48:49]
	s_xor_b64 s[14:15], exec, s[14:15]
; %bb.909:
	v_cndmask_b32_e64 v1, v17, v15, s[44:45]
	v_cndmask_b32_e64 v0, v16, v14, s[44:45]
	;; [unrolled: 1-line block ×4, first 2 shown]
	v_mov_b64_e32 v[16:17], v[0:1]
; %bb.910:
	s_or_b64 exec, exec, s[14:15]
.LBB1483_911:
	s_or_b64 exec, exec, s[30:31]
	s_and_saveexec_b64 s[28:29], s[16:17]
	s_cbranch_execz .LBB1483_920
; %bb.912:
	s_andn2_b64 vcc, exec, s[42:43]
	s_cbranch_vccnz .LBB1483_920
; %bb.913:
	v_mul_lo_u32 v22, v13, s36
	v_mul_lo_u32 v23, v12, s37
	v_mad_u64_u32 v[0:1], s[14:15], v12, s36, 0
	v_add3_u32 v1, v1, v23, v22
	v_mul_lo_u32 v25, v11, s36
	v_mul_lo_u32 v33, v10, s37
	v_mad_u64_u32 v[22:23], s[14:15], v10, s36, 0
	v_add3_u32 v23, v23, v33, v25
	v_lshl_add_u64 v[0:1], v[0:1], 2, s[38:39]
	v_lshl_add_u64 v[22:23], v[22:23], 2, s[38:39]
	s_mov_b64 s[44:45], 0
	s_mov_b64 s[54:55], s[36:37]
                                        ; implicit-def: $sgpr30_sgpr31
                                        ; implicit-def: $sgpr46_sgpr47
                                        ; implicit-def: $sgpr50_sgpr51
                                        ; implicit-def: $sgpr48_sgpr49
                                        ; implicit-def: $sgpr52_sgpr53
	s_branch .LBB1483_915
.LBB1483_914:                           ;   in Loop: Header=BB1483_915 Depth=1
	s_or_b64 exec, exec, s[56:57]
	s_and_b64 s[14:15], s[14:15], s[52:53]
	s_or_b64 s[14:15], vcc, s[14:15]
	s_and_b64 s[16:17], exec, s[50:51]
	s_or_b64 s[44:45], s[16:17], s[44:45]
	s_andn2_b64 s[16:17], s[52:53], exec
	s_and_b64 s[14:15], s[14:15], exec
	s_or_b64 s[52:53], s[16:17], s[14:15]
	s_andn2_b64 s[16:17], s[46:47], exec
	s_and_b64 s[46:47], s[48:49], exec
	s_or_b64 s[46:47], s[16:17], s[46:47]
	s_andn2_b64 s[16:17], s[30:31], exec
	s_or_b64 s[30:31], s[16:17], s[14:15]
	s_andn2_b64 exec, exec, s[44:45]
	s_cbranch_execz .LBB1483_917
.LBB1483_915:                           ; =>This Inner Loop Header: Depth=1
	global_load_dword v25, v[0:1], off
	global_load_dword v33, v[22:23], off
	s_or_b64 s[48:49], s[48:49], exec
	s_or_b64 s[50:51], s[50:51], exec
	s_waitcnt vmcnt(0)
	v_cmp_lt_u32_e32 vcc, v25, v33
	v_cmp_le_u32_e64 s[14:15], v25, v33
	v_cmp_eq_u32_e64 s[16:17], v25, v33
	s_and_saveexec_b64 s[56:57], s[16:17]
	s_cbranch_execz .LBB1483_914
; %bb.916:                              ;   in Loop: Header=BB1483_915 Depth=1
	s_add_u32 s54, s54, -1
	s_addc_u32 s55, s55, -1
	s_cmp_eq_u64 s[54:55], 0
	s_cselect_b64 s[16:17], -1, 0
	s_andn2_b64 s[50:51], s[50:51], exec
	s_and_b64 s[16:17], s[16:17], exec
	v_lshl_add_u64 v[0:1], v[0:1], 0, 4
	v_lshl_add_u64 v[22:23], v[22:23], 0, 4
	s_andn2_b64 s[48:49], s[48:49], exec
	s_or_b64 s[50:51], s[50:51], s[16:17]
	s_branch .LBB1483_914
.LBB1483_917:
	s_or_b64 exec, exec, s[44:45]
	s_and_saveexec_b64 s[14:15], s[46:47]
	s_xor_b64 s[14:15], exec, s[14:15]
; %bb.918:
	v_cndmask_b32_e64 v1, v11, v13, s[30:31]
	v_cndmask_b32_e64 v0, v10, v12, s[30:31]
	;; [unrolled: 1-line block ×4, first 2 shown]
	v_mov_b64_e32 v[10:11], v[0:1]
; %bb.919:
	s_or_b64 exec, exec, s[14:15]
.LBB1483_920:
	s_or_b64 exec, exec, s[28:29]
	s_and_saveexec_b64 s[28:29], s[18:19]
	s_cbranch_execz .LBB1483_929
; %bb.921:
	s_andn2_b64 vcc, exec, s[42:43]
	s_cbranch_vccnz .LBB1483_929
; %bb.922:
	v_mul_lo_u32 v22, v9, s36
	v_mul_lo_u32 v23, v8, s37
	v_mad_u64_u32 v[0:1], s[14:15], v8, s36, 0
	v_add3_u32 v1, v1, v23, v22
	v_mul_lo_u32 v25, v7, s36
	v_mul_lo_u32 v33, v6, s37
	v_mad_u64_u32 v[22:23], s[14:15], v6, s36, 0
	v_add3_u32 v23, v23, v33, v25
	v_lshl_add_u64 v[0:1], v[0:1], 2, s[38:39]
	v_lshl_add_u64 v[22:23], v[22:23], 2, s[38:39]
	s_mov_b64 s[30:31], 0
	s_mov_b64 s[52:53], s[36:37]
                                        ; implicit-def: $sgpr18_sgpr19
                                        ; implicit-def: $sgpr44_sgpr45
                                        ; implicit-def: $sgpr48_sgpr49
                                        ; implicit-def: $sgpr46_sgpr47
                                        ; implicit-def: $sgpr50_sgpr51
	s_branch .LBB1483_924
.LBB1483_923:                           ;   in Loop: Header=BB1483_924 Depth=1
	s_or_b64 exec, exec, s[54:55]
	s_and_b64 s[14:15], s[14:15], s[50:51]
	s_or_b64 s[14:15], vcc, s[14:15]
	s_and_b64 s[16:17], exec, s[48:49]
	s_or_b64 s[30:31], s[16:17], s[30:31]
	s_andn2_b64 s[16:17], s[50:51], exec
	s_and_b64 s[14:15], s[14:15], exec
	s_or_b64 s[50:51], s[16:17], s[14:15]
	s_andn2_b64 s[16:17], s[44:45], exec
	s_and_b64 s[44:45], s[46:47], exec
	s_or_b64 s[44:45], s[16:17], s[44:45]
	s_andn2_b64 s[16:17], s[18:19], exec
	s_or_b64 s[18:19], s[16:17], s[14:15]
	s_andn2_b64 exec, exec, s[30:31]
	s_cbranch_execz .LBB1483_926
.LBB1483_924:                           ; =>This Inner Loop Header: Depth=1
	global_load_dword v25, v[0:1], off
	global_load_dword v33, v[22:23], off
	s_or_b64 s[46:47], s[46:47], exec
	s_or_b64 s[48:49], s[48:49], exec
	s_waitcnt vmcnt(0)
	v_cmp_lt_u32_e32 vcc, v25, v33
	v_cmp_le_u32_e64 s[14:15], v25, v33
	v_cmp_eq_u32_e64 s[16:17], v25, v33
	s_and_saveexec_b64 s[54:55], s[16:17]
	s_cbranch_execz .LBB1483_923
; %bb.925:                              ;   in Loop: Header=BB1483_924 Depth=1
	s_add_u32 s52, s52, -1
	s_addc_u32 s53, s53, -1
	s_cmp_eq_u64 s[52:53], 0
	s_cselect_b64 s[16:17], -1, 0
	s_andn2_b64 s[48:49], s[48:49], exec
	s_and_b64 s[16:17], s[16:17], exec
	v_lshl_add_u64 v[0:1], v[0:1], 0, 4
	v_lshl_add_u64 v[22:23], v[22:23], 0, 4
	s_andn2_b64 s[46:47], s[46:47], exec
	s_or_b64 s[48:49], s[48:49], s[16:17]
	s_branch .LBB1483_923
.LBB1483_926:
	s_or_b64 exec, exec, s[30:31]
	s_and_saveexec_b64 s[14:15], s[44:45]
	s_xor_b64 s[14:15], exec, s[14:15]
; %bb.927:
	v_cndmask_b32_e64 v1, v7, v9, s[18:19]
	v_cndmask_b32_e64 v0, v6, v8, s[18:19]
	;; [unrolled: 1-line block ×4, first 2 shown]
	v_mov_b64_e32 v[6:7], v[0:1]
; %bb.928:
	s_or_b64 exec, exec, s[14:15]
.LBB1483_929:
	s_or_b64 exec, exec, s[28:29]
	s_and_saveexec_b64 s[18:19], s[20:21]
	s_cbranch_execz .LBB1483_938
; %bb.930:
	s_andn2_b64 vcc, exec, s[42:43]
	s_cbranch_vccnz .LBB1483_938
; %bb.931:
	v_mul_lo_u32 v22, v5, s36
	v_mul_lo_u32 v23, v4, s37
	v_mad_u64_u32 v[0:1], s[14:15], v4, s36, 0
	v_add3_u32 v1, v1, v23, v22
	v_mul_lo_u32 v25, v3, s36
	v_mul_lo_u32 v33, v2, s37
	v_mad_u64_u32 v[22:23], s[14:15], v2, s36, 0
	v_add3_u32 v23, v23, v33, v25
	v_lshl_add_u64 v[0:1], v[0:1], 2, s[38:39]
	v_lshl_add_u64 v[22:23], v[22:23], 2, s[38:39]
	s_mov_b64 s[28:29], 0
	s_mov_b64 s[50:51], s[36:37]
                                        ; implicit-def: $sgpr20_sgpr21
                                        ; implicit-def: $sgpr30_sgpr31
                                        ; implicit-def: $sgpr46_sgpr47
                                        ; implicit-def: $sgpr44_sgpr45
                                        ; implicit-def: $sgpr48_sgpr49
	s_branch .LBB1483_933
.LBB1483_932:                           ;   in Loop: Header=BB1483_933 Depth=1
	s_or_b64 exec, exec, s[52:53]
	s_and_b64 s[14:15], s[14:15], s[48:49]
	s_or_b64 s[14:15], vcc, s[14:15]
	s_and_b64 s[16:17], exec, s[46:47]
	s_or_b64 s[28:29], s[16:17], s[28:29]
	s_andn2_b64 s[16:17], s[48:49], exec
	s_and_b64 s[14:15], s[14:15], exec
	s_or_b64 s[48:49], s[16:17], s[14:15]
	s_andn2_b64 s[16:17], s[30:31], exec
	s_and_b64 s[30:31], s[44:45], exec
	s_or_b64 s[30:31], s[16:17], s[30:31]
	s_andn2_b64 s[16:17], s[20:21], exec
	s_or_b64 s[20:21], s[16:17], s[14:15]
	s_andn2_b64 exec, exec, s[28:29]
	s_cbranch_execz .LBB1483_935
.LBB1483_933:                           ; =>This Inner Loop Header: Depth=1
	global_load_dword v25, v[0:1], off
	global_load_dword v33, v[22:23], off
	s_or_b64 s[44:45], s[44:45], exec
	s_or_b64 s[46:47], s[46:47], exec
	s_waitcnt vmcnt(0)
	v_cmp_lt_u32_e32 vcc, v25, v33
	v_cmp_le_u32_e64 s[14:15], v25, v33
	v_cmp_eq_u32_e64 s[16:17], v25, v33
	s_and_saveexec_b64 s[52:53], s[16:17]
	s_cbranch_execz .LBB1483_932
; %bb.934:                              ;   in Loop: Header=BB1483_933 Depth=1
	s_add_u32 s50, s50, -1
	s_addc_u32 s51, s51, -1
	s_cmp_eq_u64 s[50:51], 0
	s_cselect_b64 s[16:17], -1, 0
	s_andn2_b64 s[46:47], s[46:47], exec
	s_and_b64 s[16:17], s[16:17], exec
	v_lshl_add_u64 v[0:1], v[0:1], 0, 4
	v_lshl_add_u64 v[22:23], v[22:23], 0, 4
	s_andn2_b64 s[44:45], s[44:45], exec
	s_or_b64 s[46:47], s[46:47], s[16:17]
	s_branch .LBB1483_932
.LBB1483_935:
	s_or_b64 exec, exec, s[28:29]
	s_and_saveexec_b64 s[14:15], s[30:31]
	s_xor_b64 s[14:15], exec, s[14:15]
; %bb.936:
	v_cndmask_b32_e64 v1, v3, v5, s[20:21]
	v_cndmask_b32_e64 v0, v2, v4, s[20:21]
	;; [unrolled: 1-line block ×4, first 2 shown]
	v_mov_b64_e32 v[2:3], v[0:1]
; %bb.937:
	s_or_b64 exec, exec, s[14:15]
.LBB1483_938:
	s_or_b64 exec, exec, s[18:19]
	s_and_saveexec_b64 s[18:19], s[22:23]
	s_cbranch_execz .LBB1483_947
; %bb.939:
	s_andn2_b64 vcc, exec, s[42:43]
	s_cbranch_vccnz .LBB1483_947
; %bb.940:
	v_mul_lo_u32 v22, v11, s36
	v_mul_lo_u32 v23, v10, s37
	v_mad_u64_u32 v[0:1], s[14:15], v10, s36, 0
	v_add3_u32 v1, v1, v23, v22
	v_mul_lo_u32 v25, v17, s36
	v_mul_lo_u32 v33, v16, s37
	v_mad_u64_u32 v[22:23], s[14:15], v16, s36, 0
	v_add3_u32 v23, v23, v33, v25
	v_lshl_add_u64 v[0:1], v[0:1], 2, s[38:39]
	v_lshl_add_u64 v[22:23], v[22:23], 2, s[38:39]
	s_mov_b64 s[22:23], 0
	s_mov_b64 s[48:49], s[36:37]
                                        ; implicit-def: $sgpr20_sgpr21
                                        ; implicit-def: $sgpr28_sgpr29
                                        ; implicit-def: $sgpr44_sgpr45
                                        ; implicit-def: $sgpr30_sgpr31
                                        ; implicit-def: $sgpr46_sgpr47
	s_branch .LBB1483_942
.LBB1483_941:                           ;   in Loop: Header=BB1483_942 Depth=1
	s_or_b64 exec, exec, s[50:51]
	s_and_b64 s[14:15], s[14:15], s[46:47]
	s_or_b64 s[14:15], vcc, s[14:15]
	s_and_b64 s[16:17], exec, s[44:45]
	s_or_b64 s[22:23], s[16:17], s[22:23]
	s_andn2_b64 s[16:17], s[46:47], exec
	s_and_b64 s[14:15], s[14:15], exec
	s_or_b64 s[46:47], s[16:17], s[14:15]
	s_andn2_b64 s[16:17], s[28:29], exec
	s_and_b64 s[28:29], s[30:31], exec
	s_or_b64 s[28:29], s[16:17], s[28:29]
	s_andn2_b64 s[16:17], s[20:21], exec
	s_or_b64 s[20:21], s[16:17], s[14:15]
	s_andn2_b64 exec, exec, s[22:23]
	s_cbranch_execz .LBB1483_944
.LBB1483_942:                           ; =>This Inner Loop Header: Depth=1
	global_load_dword v25, v[0:1], off
	global_load_dword v33, v[22:23], off
	s_or_b64 s[30:31], s[30:31], exec
	s_or_b64 s[44:45], s[44:45], exec
	s_waitcnt vmcnt(0)
	v_cmp_lt_u32_e32 vcc, v25, v33
	v_cmp_le_u32_e64 s[14:15], v25, v33
	v_cmp_eq_u32_e64 s[16:17], v25, v33
	s_and_saveexec_b64 s[50:51], s[16:17]
	s_cbranch_execz .LBB1483_941
; %bb.943:                              ;   in Loop: Header=BB1483_942 Depth=1
	s_add_u32 s48, s48, -1
	s_addc_u32 s49, s49, -1
	s_cmp_eq_u64 s[48:49], 0
	s_cselect_b64 s[16:17], -1, 0
	s_andn2_b64 s[44:45], s[44:45], exec
	s_and_b64 s[16:17], s[16:17], exec
	v_lshl_add_u64 v[0:1], v[0:1], 0, 4
	v_lshl_add_u64 v[22:23], v[22:23], 0, 4
	s_andn2_b64 s[30:31], s[30:31], exec
	s_or_b64 s[44:45], s[44:45], s[16:17]
	s_branch .LBB1483_941
.LBB1483_944:
	s_or_b64 exec, exec, s[22:23]
	s_and_saveexec_b64 s[14:15], s[28:29]
	s_xor_b64 s[14:15], exec, s[14:15]
; %bb.945:
	v_cndmask_b32_e64 v1, v17, v11, s[20:21]
	v_cndmask_b32_e64 v0, v16, v10, s[20:21]
	;; [unrolled: 1-line block ×4, first 2 shown]
	v_mov_b64_e32 v[16:17], v[0:1]
; %bb.946:
	s_or_b64 exec, exec, s[14:15]
.LBB1483_947:
	s_or_b64 exec, exec, s[18:19]
	s_and_saveexec_b64 s[18:19], s[24:25]
	s_cbranch_execz .LBB1483_956
; %bb.948:
	s_andn2_b64 vcc, exec, s[42:43]
	s_cbranch_vccnz .LBB1483_956
; %bb.949:
	v_mul_lo_u32 v22, v7, s36
	v_mul_lo_u32 v23, v6, s37
	v_mad_u64_u32 v[0:1], s[14:15], v6, s36, 0
	v_add3_u32 v1, v1, v23, v22
	v_mul_lo_u32 v25, v13, s36
	v_mul_lo_u32 v33, v12, s37
	v_mad_u64_u32 v[22:23], s[14:15], v12, s36, 0
	v_add3_u32 v23, v23, v33, v25
	v_lshl_add_u64 v[0:1], v[0:1], 2, s[38:39]
	v_lshl_add_u64 v[22:23], v[22:23], 2, s[38:39]
	s_mov_b64 s[22:23], 0
	s_mov_b64 s[46:47], s[36:37]
                                        ; implicit-def: $sgpr20_sgpr21
                                        ; implicit-def: $sgpr24_sgpr25
                                        ; implicit-def: $sgpr30_sgpr31
                                        ; implicit-def: $sgpr28_sgpr29
                                        ; implicit-def: $sgpr44_sgpr45
	s_branch .LBB1483_951
.LBB1483_950:                           ;   in Loop: Header=BB1483_951 Depth=1
	s_or_b64 exec, exec, s[48:49]
	s_and_b64 s[14:15], s[14:15], s[44:45]
	s_or_b64 s[14:15], vcc, s[14:15]
	s_and_b64 s[16:17], exec, s[30:31]
	s_or_b64 s[22:23], s[16:17], s[22:23]
	s_andn2_b64 s[16:17], s[44:45], exec
	s_and_b64 s[14:15], s[14:15], exec
	s_or_b64 s[44:45], s[16:17], s[14:15]
	s_andn2_b64 s[16:17], s[24:25], exec
	s_and_b64 s[24:25], s[28:29], exec
	s_or_b64 s[24:25], s[16:17], s[24:25]
	s_andn2_b64 s[16:17], s[20:21], exec
	s_or_b64 s[20:21], s[16:17], s[14:15]
	s_andn2_b64 exec, exec, s[22:23]
	s_cbranch_execz .LBB1483_953
.LBB1483_951:                           ; =>This Inner Loop Header: Depth=1
	global_load_dword v25, v[0:1], off
	global_load_dword v33, v[22:23], off
	s_or_b64 s[28:29], s[28:29], exec
	s_or_b64 s[30:31], s[30:31], exec
	s_waitcnt vmcnt(0)
	v_cmp_lt_u32_e32 vcc, v25, v33
	v_cmp_le_u32_e64 s[14:15], v25, v33
	v_cmp_eq_u32_e64 s[16:17], v25, v33
	s_and_saveexec_b64 s[48:49], s[16:17]
	s_cbranch_execz .LBB1483_950
; %bb.952:                              ;   in Loop: Header=BB1483_951 Depth=1
	s_add_u32 s46, s46, -1
	s_addc_u32 s47, s47, -1
	s_cmp_eq_u64 s[46:47], 0
	s_cselect_b64 s[16:17], -1, 0
	s_andn2_b64 s[30:31], s[30:31], exec
	s_and_b64 s[16:17], s[16:17], exec
	v_lshl_add_u64 v[0:1], v[0:1], 0, 4
	v_lshl_add_u64 v[22:23], v[22:23], 0, 4
	s_andn2_b64 s[28:29], s[28:29], exec
	s_or_b64 s[30:31], s[30:31], s[16:17]
	s_branch .LBB1483_950
.LBB1483_953:
	s_or_b64 exec, exec, s[22:23]
	s_and_saveexec_b64 s[14:15], s[24:25]
	s_xor_b64 s[14:15], exec, s[14:15]
; %bb.954:
	v_cndmask_b32_e64 v1, v13, v7, s[20:21]
	v_cndmask_b32_e64 v0, v12, v6, s[20:21]
	v_cndmask_b32_e64 v7, v7, v13, s[20:21]
	v_cndmask_b32_e64 v6, v6, v12, s[20:21]
	v_mov_b64_e32 v[12:13], v[0:1]
; %bb.955:
	s_or_b64 exec, exec, s[14:15]
.LBB1483_956:
	s_or_b64 exec, exec, s[18:19]
	s_and_saveexec_b64 s[18:19], s[26:27]
	s_cbranch_execz .LBB1483_965
; %bb.957:
	s_andn2_b64 vcc, exec, s[42:43]
	s_cbranch_vccnz .LBB1483_965
; %bb.958:
	v_mul_lo_u32 v22, v3, s36
	v_mul_lo_u32 v23, v2, s37
	v_mad_u64_u32 v[0:1], s[14:15], v2, s36, 0
	v_add3_u32 v1, v1, v23, v22
	v_mul_lo_u32 v25, v9, s36
	v_mul_lo_u32 v33, v8, s37
	v_mad_u64_u32 v[22:23], s[14:15], v8, s36, 0
	v_add3_u32 v23, v23, v33, v25
	v_lshl_add_u64 v[0:1], v[0:1], 2, s[38:39]
	v_lshl_add_u64 v[22:23], v[22:23], 2, s[38:39]
	s_mov_b64 s[22:23], 0
	s_mov_b64 s[44:45], s[36:37]
                                        ; implicit-def: $sgpr20_sgpr21
                                        ; implicit-def: $sgpr24_sgpr25
                                        ; implicit-def: $sgpr28_sgpr29
                                        ; implicit-def: $sgpr26_sgpr27
                                        ; implicit-def: $sgpr30_sgpr31
	s_branch .LBB1483_960
.LBB1483_959:                           ;   in Loop: Header=BB1483_960 Depth=1
	s_or_b64 exec, exec, s[46:47]
	s_and_b64 s[14:15], s[14:15], s[30:31]
	s_or_b64 s[14:15], vcc, s[14:15]
	s_and_b64 s[16:17], exec, s[28:29]
	s_or_b64 s[22:23], s[16:17], s[22:23]
	s_andn2_b64 s[16:17], s[30:31], exec
	s_and_b64 s[14:15], s[14:15], exec
	s_or_b64 s[30:31], s[16:17], s[14:15]
	s_andn2_b64 s[16:17], s[24:25], exec
	s_and_b64 s[24:25], s[26:27], exec
	s_or_b64 s[24:25], s[16:17], s[24:25]
	s_andn2_b64 s[16:17], s[20:21], exec
	s_or_b64 s[20:21], s[16:17], s[14:15]
	s_andn2_b64 exec, exec, s[22:23]
	s_cbranch_execz .LBB1483_962
.LBB1483_960:                           ; =>This Inner Loop Header: Depth=1
	global_load_dword v25, v[0:1], off
	global_load_dword v33, v[22:23], off
	s_or_b64 s[26:27], s[26:27], exec
	s_or_b64 s[28:29], s[28:29], exec
	s_waitcnt vmcnt(0)
	v_cmp_lt_u32_e32 vcc, v25, v33
	v_cmp_le_u32_e64 s[14:15], v25, v33
	v_cmp_eq_u32_e64 s[16:17], v25, v33
	s_and_saveexec_b64 s[46:47], s[16:17]
	s_cbranch_execz .LBB1483_959
; %bb.961:                              ;   in Loop: Header=BB1483_960 Depth=1
	s_add_u32 s44, s44, -1
	s_addc_u32 s45, s45, -1
	s_cmp_eq_u64 s[44:45], 0
	s_cselect_b64 s[16:17], -1, 0
	s_andn2_b64 s[28:29], s[28:29], exec
	s_and_b64 s[16:17], s[16:17], exec
	v_lshl_add_u64 v[0:1], v[0:1], 0, 4
	v_lshl_add_u64 v[22:23], v[22:23], 0, 4
	s_andn2_b64 s[26:27], s[26:27], exec
	s_or_b64 s[28:29], s[28:29], s[16:17]
	s_branch .LBB1483_959
.LBB1483_962:
	s_or_b64 exec, exec, s[22:23]
	s_and_saveexec_b64 s[14:15], s[24:25]
	s_xor_b64 s[14:15], exec, s[14:15]
; %bb.963:
	v_cndmask_b32_e64 v1, v9, v3, s[20:21]
	v_cndmask_b32_e64 v0, v8, v2, s[20:21]
	;; [unrolled: 1-line block ×4, first 2 shown]
	v_mov_b64_e32 v[8:9], v[0:1]
; %bb.964:
	s_or_b64 exec, exec, s[14:15]
.LBB1483_965:
	s_or_b64 exec, exec, s[18:19]
	v_mbcnt_lo_u32_b32 v0, -1, 0
	v_mbcnt_hi_u32_b32 v0, -1, v0
	v_and_b32_e32 v1, 0xfffffe00, v24
	v_lshlrev_b32_e32 v33, 3, v1
	v_lshlrev_b32_e32 v35, 3, v0
	v_sub_u32_e64 v34, s33, v1 clamp
	v_lshl_add_u32 v36, v0, 6, v33
	v_or_b32_e32 v0, 8, v35
	v_min_u32_e32 v24, v34, v0
	v_add_u32_e32 v0, 8, v24
	v_and_b32_e32 v39, 0x3f0, v35
	v_min_u32_e32 v25, v34, v0
	v_and_b32_e32 v0, 8, v35
	v_min_u32_e32 v40, v34, v0
	v_sub_u32_e32 v0, v24, v39
	v_sub_u32_e32 v1, v25, v24
	v_sub_u32_e64 v38, v40, v1 clamp
	v_min_u32_e32 v41, v40, v0
	v_lshl_add_u32 v37, v39, 3, v33
	v_cmp_lt_u32_e32 vcc, v38, v41
	ds_write_b128 v36, v[14:17]
	ds_write_b128 v36, v[10:13] offset:16
	ds_write_b128 v36, v[6:9] offset:32
	;; [unrolled: 1-line block ×3, first 2 shown]
	; wave barrier
	s_and_saveexec_b64 s[20:21], vcc
	s_cbranch_execz .LBB1483_975
; %bb.966:
	v_lshlrev_b32_e32 v0, 3, v24
	v_lshlrev_b32_e32 v1, 3, v40
	v_add3_u32 v42, v33, v0, v1
	v_cndmask_b32_e64 v0, 0, 1, s[42:43]
	s_lshl_b64 s[24:25], s[36:37], 2
	s_mov_b64 s[22:23], 0
	v_cmp_ne_u32_e64 s[14:15], 1, v0
	s_branch .LBB1483_969
.LBB1483_967:                           ;   in Loop: Header=BB1483_969 Depth=1
	s_or_b64 exec, exec, s[28:29]
.LBB1483_968:                           ;   in Loop: Header=BB1483_969 Depth=1
	v_add_u32_e32 v0, 1, v43
	v_cndmask_b32_e64 v41, v41, v43, s[26:27]
	v_cndmask_b32_e64 v38, v0, v38, s[26:27]
	v_cmp_ge_u32_e32 vcc, v38, v41
	s_or_b64 s[22:23], vcc, s[22:23]
	s_andn2_b64 exec, exec, s[22:23]
	s_cbranch_execz .LBB1483_974
.LBB1483_969:                           ; =>This Loop Header: Depth=1
                                        ;     Child Loop BB1483_972 Depth 2
	v_add_u32_e32 v0, v41, v38
	v_lshrrev_b32_e32 v43, 1, v0
	s_and_b64 vcc, exec, s[14:15]
	s_mov_b64 s[26:27], 0
	s_cbranch_vccnz .LBB1483_968
; %bb.970:                              ;   in Loop: Header=BB1483_969 Depth=1
	v_not_b32_e32 v0, v43
	v_lshl_add_u32 v0, v0, 3, v42
	ds_read_b64 v[0:1], v0
	v_lshl_add_u32 v44, v43, 3, v37
	ds_read_b64 v[44:45], v44
	v_mov_b64_e32 v[22:23], s[38:39]
	s_mov_b64 s[28:29], 0
	s_waitcnt lgkmcnt(1)
	v_mul_lo_u32 v46, s24, v1
	v_mul_lo_u32 v47, s25, v0
	v_mad_u64_u32 v[0:1], s[16:17], s24, v0, v[22:23]
	v_add3_u32 v1, v47, v1, v46
	s_waitcnt lgkmcnt(0)
	v_mul_lo_u32 v45, s24, v45
	v_mul_lo_u32 v46, s25, v44
	v_mad_u64_u32 v[22:23], s[16:17], s24, v44, v[22:23]
	v_add3_u32 v23, v46, v23, v45
	s_mov_b64 s[44:45], s[36:37]
                                        ; implicit-def: $sgpr26_sgpr27
                                        ; implicit-def: $sgpr30_sgpr31
                                        ; implicit-def: $sgpr16_sgpr17
                                        ; implicit-def: $sgpr46_sgpr47
	s_branch .LBB1483_972
.LBB1483_971:                           ;   in Loop: Header=BB1483_972 Depth=2
	s_or_b64 exec, exec, s[50:51]
	s_and_b64 s[18:19], exec, s[30:31]
	s_or_b64 s[28:29], s[18:19], s[28:29]
	s_andn2_b64 s[18:19], s[46:47], exec
	s_and_b64 s[46:47], s[48:49], exec
	s_or_b64 s[46:47], s[18:19], s[46:47]
	s_andn2_b64 s[18:19], s[26:27], exec
	s_and_b64 s[26:27], s[16:17], exec
	s_or_b64 s[26:27], s[18:19], s[26:27]
	s_andn2_b64 exec, exec, s[28:29]
	s_cbranch_execz .LBB1483_967
.LBB1483_972:                           ;   Parent Loop BB1483_969 Depth=1
                                        ; =>  This Inner Loop Header: Depth=2
	global_load_dword v44, v[0:1], off
	global_load_dword v45, v[22:23], off
	s_andn2_b64 s[50:51], s[16:17], exec
	s_or_b64 s[30:31], s[30:31], exec
	s_waitcnt vmcnt(0)
	v_cmp_le_u32_e64 s[16:17], v44, v45
	v_cmp_lt_u32_e32 vcc, v44, v45
	s_and_b64 s[16:17], s[16:17], s[46:47]
	s_or_b64 s[48:49], vcc, s[16:17]
	s_and_b64 s[16:17], s[48:49], exec
	v_cmp_eq_u32_e64 s[18:19], v44, v45
	s_or_b64 s[16:17], s[50:51], s[16:17]
	s_and_saveexec_b64 s[50:51], s[18:19]
	s_cbranch_execz .LBB1483_971
; %bb.973:                              ;   in Loop: Header=BB1483_972 Depth=2
	s_add_u32 s44, s44, -1
	s_addc_u32 s45, s45, -1
	s_cmp_eq_u64 s[44:45], 0
	s_cselect_b64 s[18:19], -1, 0
	s_andn2_b64 s[30:31], s[30:31], exec
	s_and_b64 s[18:19], s[18:19], exec
	v_lshl_add_u64 v[0:1], v[0:1], 0, 4
	v_lshl_add_u64 v[22:23], v[22:23], 0, 4
	s_andn2_b64 s[16:17], s[16:17], exec
	s_or_b64 s[30:31], s[30:31], s[18:19]
                                        ; implicit-def: $sgpr46_sgpr47
	s_branch .LBB1483_971
.LBB1483_974:
	s_or_b64 exec, exec, s[22:23]
.LBB1483_975:
	s_or_b64 exec, exec, s[20:21]
	v_add_u32_e32 v0, v24, v40
	v_add_u32_e32 v23, v38, v39
	v_sub_u32_e32 v39, v0, v38
	v_cmp_le_u32_e32 vcc, v23, v24
	v_cmp_le_u32_e64 s[14:15], v39, v25
	s_or_b64 s[14:15], vcc, s[14:15]
	s_and_saveexec_b64 s[18:19], s[14:15]
	s_cbranch_execz .LBB1483_1066
; %bb.976:
	v_cmp_ge_u32_e32 vcc, v23, v24
	v_cmp_lt_u32_e64 s[14:15], v23, v24
                                        ; implicit-def: $vgpr0_vgpr1
	s_and_saveexec_b64 s[16:17], s[14:15]
; %bb.977:
	v_lshl_add_u32 v0, v38, 3, v37
	ds_read_b64 v[0:1], v0
; %bb.978:
	s_or_b64 exec, exec, s[16:17]
	v_cmp_ge_u32_e64 s[20:21], v39, v25
	v_cmp_lt_u32_e64 s[14:15], v39, v25
                                        ; implicit-def: $vgpr2_vgpr3
	s_and_saveexec_b64 s[16:17], s[14:15]
; %bb.979:
	v_lshl_add_u32 v2, v39, 3, v33
	ds_read_b64 v[2:3], v2
; %bb.980:
	s_or_b64 exec, exec, s[16:17]
	s_nor_b64 s[14:15], vcc, s[20:21]
	s_and_saveexec_b64 s[22:23], s[14:15]
	s_cbranch_execz .LBB1483_989
; %bb.981:
	s_andn2_b64 vcc, exec, s[42:43]
	s_cbranch_vccnz .LBB1483_987
; %bb.982:
	s_waitcnt lgkmcnt(0)
	v_mul_lo_u32 v6, v3, s36
	v_mul_lo_u32 v7, v2, s37
	v_mad_u64_u32 v[4:5], s[14:15], v2, s36, 0
	v_add3_u32 v5, v5, v7, v6
	v_mul_lo_u32 v8, v1, s36
	v_mul_lo_u32 v9, v0, s37
	v_mad_u64_u32 v[6:7], s[14:15], v0, s36, 0
	v_add3_u32 v7, v7, v9, v8
	v_lshl_add_u64 v[4:5], v[4:5], 2, s[38:39]
	v_lshl_add_u64 v[6:7], v[6:7], 2, s[38:39]
	s_mov_b64 s[24:25], 0
	s_mov_b64 s[30:31], s[36:37]
                                        ; implicit-def: $sgpr26_sgpr27
                                        ; implicit-def: $sgpr28_sgpr29
                                        ; implicit-def: $sgpr14_sgpr15
                                        ; implicit-def: $sgpr44_sgpr45
	s_branch .LBB1483_984
.LBB1483_983:                           ;   in Loop: Header=BB1483_984 Depth=1
	s_or_b64 exec, exec, s[48:49]
	s_and_b64 s[16:17], exec, s[28:29]
	s_or_b64 s[24:25], s[16:17], s[24:25]
	s_andn2_b64 s[16:17], s[44:45], exec
	s_and_b64 s[44:45], s[46:47], exec
	s_or_b64 s[44:45], s[16:17], s[44:45]
	s_andn2_b64 s[16:17], s[26:27], exec
	s_and_b64 s[26:27], s[14:15], exec
	s_or_b64 s[26:27], s[16:17], s[26:27]
	s_andn2_b64 exec, exec, s[24:25]
	s_cbranch_execz .LBB1483_986
.LBB1483_984:                           ; =>This Inner Loop Header: Depth=1
	global_load_dword v8, v[4:5], off
	global_load_dword v9, v[6:7], off
	s_andn2_b64 s[48:49], s[14:15], exec
	s_or_b64 s[28:29], s[28:29], exec
	s_waitcnt vmcnt(0)
	v_cmp_le_u32_e64 s[14:15], v8, v9
	v_cmp_lt_u32_e32 vcc, v8, v9
	s_and_b64 s[14:15], s[14:15], s[44:45]
	s_or_b64 s[46:47], vcc, s[14:15]
	s_and_b64 s[14:15], s[46:47], exec
	v_cmp_eq_u32_e64 s[16:17], v8, v9
	s_or_b64 s[14:15], s[48:49], s[14:15]
	s_and_saveexec_b64 s[48:49], s[16:17]
	s_cbranch_execz .LBB1483_983
; %bb.985:                              ;   in Loop: Header=BB1483_984 Depth=1
	s_add_u32 s30, s30, -1
	s_addc_u32 s31, s31, -1
	s_cmp_eq_u64 s[30:31], 0
	s_cselect_b64 s[16:17], -1, 0
	s_andn2_b64 s[28:29], s[28:29], exec
	s_and_b64 s[16:17], s[16:17], exec
	v_lshl_add_u64 v[4:5], v[4:5], 0, 4
	v_lshl_add_u64 v[6:7], v[6:7], 0, 4
	s_andn2_b64 s[14:15], s[14:15], exec
	s_or_b64 s[28:29], s[28:29], s[16:17]
                                        ; implicit-def: $sgpr44_sgpr45
	s_branch .LBB1483_983
.LBB1483_986:
	s_or_b64 exec, exec, s[24:25]
	s_xor_b64 s[14:15], s[26:27], -1
	s_branch .LBB1483_988
.LBB1483_987:
	s_mov_b64 s[14:15], -1
.LBB1483_988:
	s_andn2_b64 s[16:17], s[20:21], exec
	s_and_b64 s[14:15], s[14:15], exec
	s_or_b64 s[20:21], s[16:17], s[14:15]
.LBB1483_989:
	s_or_b64 exec, exec, s[22:23]
	v_cndmask_b32_e64 v4, v39, v23, s[20:21]
	v_cndmask_b32_e64 v5, v25, v24, s[20:21]
	v_add_u32_e32 v6, 1, v4
	v_add_u32_e32 v4, -1, v5
	v_min_u32_e32 v4, v6, v4
	v_lshl_add_u32 v4, v4, 3, v33
	ds_read_b64 v[4:5], v4
	v_cndmask_b32_e64 v8, v6, v39, s[20:21]
	v_cndmask_b32_e64 v9, v23, v6, s[20:21]
	v_cmp_lt_u32_e32 vcc, v8, v25
	s_mov_b64 s[24:25], -1
	s_waitcnt lgkmcnt(0)
	v_cndmask_b32_e64 v14, v5, v3, s[20:21]
	v_cndmask_b32_e64 v15, v4, v2, s[20:21]
	;; [unrolled: 1-line block ×4, first 2 shown]
	s_mov_b64 s[22:23], -1
	s_and_saveexec_b64 s[26:27], vcc
	s_cbranch_execz .LBB1483_1000
; %bb.990:
	v_cmp_lt_u32_e32 vcc, v9, v24
	s_mov_b64 s[14:15], 0
	s_and_saveexec_b64 s[22:23], vcc
	s_cbranch_execz .LBB1483_999
; %bb.991:
	s_andn2_b64 vcc, exec, s[42:43]
	s_cbranch_vccnz .LBB1483_997
; %bb.992:
	v_mul_lo_u32 v6, v14, s36
	v_mul_lo_u32 v7, v15, s37
	v_mad_u64_u32 v[4:5], s[14:15], v15, s36, 0
	v_add3_u32 v5, v5, v7, v6
	v_mul_lo_u32 v10, v16, s36
	v_mul_lo_u32 v11, v22, s37
	v_mad_u64_u32 v[6:7], s[14:15], v22, s36, 0
	v_add3_u32 v7, v7, v11, v10
	v_lshl_add_u64 v[4:5], v[4:5], 2, s[38:39]
	v_lshl_add_u64 v[6:7], v[6:7], 2, s[38:39]
	s_mov_b64 s[28:29], 0
	s_mov_b64 s[46:47], s[36:37]
                                        ; implicit-def: $sgpr30_sgpr31
                                        ; implicit-def: $sgpr44_sgpr45
                                        ; implicit-def: $sgpr14_sgpr15
                                        ; implicit-def: $sgpr48_sgpr49
	s_branch .LBB1483_994
.LBB1483_993:                           ;   in Loop: Header=BB1483_994 Depth=1
	s_or_b64 exec, exec, s[52:53]
	s_and_b64 s[16:17], exec, s[44:45]
	s_or_b64 s[28:29], s[16:17], s[28:29]
	s_andn2_b64 s[16:17], s[48:49], exec
	s_and_b64 s[48:49], s[50:51], exec
	s_or_b64 s[48:49], s[16:17], s[48:49]
	s_andn2_b64 s[16:17], s[30:31], exec
	s_and_b64 s[30:31], s[14:15], exec
	s_or_b64 s[30:31], s[16:17], s[30:31]
	s_andn2_b64 exec, exec, s[28:29]
	s_cbranch_execz .LBB1483_996
.LBB1483_994:                           ; =>This Inner Loop Header: Depth=1
	global_load_dword v10, v[4:5], off
	global_load_dword v11, v[6:7], off
	s_andn2_b64 s[52:53], s[14:15], exec
	s_or_b64 s[44:45], s[44:45], exec
	s_waitcnt vmcnt(0)
	v_cmp_le_u32_e64 s[14:15], v10, v11
	v_cmp_lt_u32_e32 vcc, v10, v11
	s_and_b64 s[14:15], s[14:15], s[48:49]
	s_or_b64 s[50:51], vcc, s[14:15]
	s_and_b64 s[14:15], s[50:51], exec
	v_cmp_eq_u32_e64 s[16:17], v10, v11
	s_or_b64 s[14:15], s[52:53], s[14:15]
	s_and_saveexec_b64 s[52:53], s[16:17]
	s_cbranch_execz .LBB1483_993
; %bb.995:                              ;   in Loop: Header=BB1483_994 Depth=1
	s_add_u32 s46, s46, -1
	s_addc_u32 s47, s47, -1
	s_cmp_eq_u64 s[46:47], 0
	s_cselect_b64 s[16:17], -1, 0
	s_andn2_b64 s[44:45], s[44:45], exec
	s_and_b64 s[16:17], s[16:17], exec
	v_lshl_add_u64 v[4:5], v[4:5], 0, 4
	v_lshl_add_u64 v[6:7], v[6:7], 0, 4
	s_andn2_b64 s[14:15], s[14:15], exec
	s_or_b64 s[44:45], s[44:45], s[16:17]
                                        ; implicit-def: $sgpr48_sgpr49
	s_branch .LBB1483_993
.LBB1483_996:
	s_or_b64 exec, exec, s[28:29]
	s_xor_b64 s[14:15], s[30:31], -1
	s_branch .LBB1483_998
.LBB1483_997:
	s_mov_b64 s[14:15], -1
.LBB1483_998:
	s_and_b64 s[14:15], s[14:15], exec
.LBB1483_999:
	s_or_b64 exec, exec, s[22:23]
	s_orn2_b64 s[22:23], s[14:15], exec
.LBB1483_1000:
	s_or_b64 exec, exec, s[26:27]
	v_cndmask_b32_e64 v4, v8, v9, s[22:23]
	v_cndmask_b32_e64 v5, v25, v24, s[22:23]
	v_add_u32_e32 v6, 1, v4
	v_add_u32_e32 v4, -1, v5
	v_min_u32_e32 v4, v6, v4
	v_lshl_add_u32 v4, v4, 3, v33
	ds_read_b64 v[4:5], v4
	v_cndmask_b32_e64 v8, v6, v8, s[22:23]
	v_cndmask_b32_e64 v9, v9, v6, s[22:23]
	v_cmp_lt_u32_e32 vcc, v8, v25
	s_waitcnt lgkmcnt(0)
	v_cndmask_b32_e64 v10, v5, v14, s[22:23]
	v_cndmask_b32_e64 v17, v4, v15, s[22:23]
	;; [unrolled: 1-line block ×4, first 2 shown]
	s_and_saveexec_b64 s[26:27], vcc
	s_cbranch_execz .LBB1483_1011
; %bb.1001:
	v_cmp_lt_u32_e32 vcc, v9, v24
	s_mov_b64 s[14:15], 0
	s_and_saveexec_b64 s[24:25], vcc
	s_cbranch_execz .LBB1483_1010
; %bb.1002:
	s_andn2_b64 vcc, exec, s[42:43]
	s_cbranch_vccnz .LBB1483_1008
; %bb.1003:
	v_mul_lo_u32 v6, v10, s36
	v_mul_lo_u32 v7, v17, s37
	v_mad_u64_u32 v[4:5], s[14:15], v17, s36, 0
	v_add3_u32 v5, v5, v7, v6
	v_mul_lo_u32 v12, v11, s36
	v_mul_lo_u32 v13, v23, s37
	v_mad_u64_u32 v[6:7], s[14:15], v23, s36, 0
	v_add3_u32 v7, v7, v13, v12
	v_lshl_add_u64 v[4:5], v[4:5], 2, s[38:39]
	v_lshl_add_u64 v[6:7], v[6:7], 2, s[38:39]
	s_mov_b64 s[28:29], 0
	s_mov_b64 s[46:47], s[36:37]
                                        ; implicit-def: $sgpr30_sgpr31
                                        ; implicit-def: $sgpr44_sgpr45
                                        ; implicit-def: $sgpr14_sgpr15
                                        ; implicit-def: $sgpr48_sgpr49
	s_branch .LBB1483_1005
.LBB1483_1004:                          ;   in Loop: Header=BB1483_1005 Depth=1
	s_or_b64 exec, exec, s[52:53]
	s_and_b64 s[16:17], exec, s[44:45]
	s_or_b64 s[28:29], s[16:17], s[28:29]
	s_andn2_b64 s[16:17], s[48:49], exec
	s_and_b64 s[48:49], s[50:51], exec
	s_or_b64 s[48:49], s[16:17], s[48:49]
	s_andn2_b64 s[16:17], s[30:31], exec
	s_and_b64 s[30:31], s[14:15], exec
	s_or_b64 s[30:31], s[16:17], s[30:31]
	s_andn2_b64 exec, exec, s[28:29]
	s_cbranch_execz .LBB1483_1007
.LBB1483_1005:                          ; =>This Inner Loop Header: Depth=1
	global_load_dword v12, v[4:5], off
	global_load_dword v13, v[6:7], off
	s_andn2_b64 s[52:53], s[14:15], exec
	s_or_b64 s[44:45], s[44:45], exec
	s_waitcnt vmcnt(0)
	v_cmp_le_u32_e64 s[14:15], v12, v13
	v_cmp_lt_u32_e32 vcc, v12, v13
	s_and_b64 s[14:15], s[14:15], s[48:49]
	s_or_b64 s[50:51], vcc, s[14:15]
	s_and_b64 s[14:15], s[50:51], exec
	v_cmp_eq_u32_e64 s[16:17], v12, v13
	s_or_b64 s[14:15], s[52:53], s[14:15]
	s_and_saveexec_b64 s[52:53], s[16:17]
	s_cbranch_execz .LBB1483_1004
; %bb.1006:                             ;   in Loop: Header=BB1483_1005 Depth=1
	s_add_u32 s46, s46, -1
	s_addc_u32 s47, s47, -1
	s_cmp_eq_u64 s[46:47], 0
	s_cselect_b64 s[16:17], -1, 0
	s_andn2_b64 s[44:45], s[44:45], exec
	s_and_b64 s[16:17], s[16:17], exec
	v_lshl_add_u64 v[4:5], v[4:5], 0, 4
	v_lshl_add_u64 v[6:7], v[6:7], 0, 4
	s_andn2_b64 s[14:15], s[14:15], exec
	s_or_b64 s[44:45], s[44:45], s[16:17]
                                        ; implicit-def: $sgpr48_sgpr49
	s_branch .LBB1483_1004
.LBB1483_1007:
	s_or_b64 exec, exec, s[28:29]
	s_xor_b64 s[14:15], s[30:31], -1
	s_branch .LBB1483_1009
.LBB1483_1008:
	s_mov_b64 s[14:15], -1
.LBB1483_1009:
	s_and_b64 s[14:15], s[14:15], exec
.LBB1483_1010:
	s_or_b64 exec, exec, s[24:25]
	s_orn2_b64 s[24:25], s[14:15], exec
.LBB1483_1011:
	s_or_b64 exec, exec, s[26:27]
	v_cndmask_b32_e64 v4, v8, v9, s[24:25]
	v_cndmask_b32_e64 v5, v25, v24, s[24:25]
	v_add_u32_e32 v6, 1, v4
	v_add_u32_e32 v4, -1, v5
	v_min_u32_e32 v4, v6, v4
	v_lshl_add_u32 v4, v4, 3, v33
	ds_read_b64 v[4:5], v4
	v_cndmask_b32_e64 v8, v6, v8, s[24:25]
	v_cndmask_b32_e64 v9, v9, v6, s[24:25]
	v_cmp_lt_u32_e32 vcc, v8, v25
	s_mov_b64 s[28:29], -1
	s_waitcnt lgkmcnt(0)
	v_cndmask_b32_e64 v12, v5, v10, s[24:25]
	v_cndmask_b32_e64 v37, v4, v17, s[24:25]
	;; [unrolled: 1-line block ×4, first 2 shown]
	s_mov_b64 s[26:27], -1
	s_and_saveexec_b64 s[30:31], vcc
	s_cbranch_execz .LBB1483_1022
; %bb.1012:
	v_cmp_lt_u32_e32 vcc, v9, v24
	s_mov_b64 s[14:15], 0
	s_and_saveexec_b64 s[26:27], vcc
	s_cbranch_execz .LBB1483_1021
; %bb.1013:
	s_andn2_b64 vcc, exec, s[42:43]
	s_cbranch_vccnz .LBB1483_1019
; %bb.1014:
	v_mul_lo_u32 v6, v12, s36
	v_mul_lo_u32 v7, v37, s37
	v_mad_u64_u32 v[4:5], s[14:15], v37, s36, 0
	v_add3_u32 v5, v5, v7, v6
	v_mul_lo_u32 v39, v13, s36
	v_mul_lo_u32 v40, v38, s37
	v_mad_u64_u32 v[6:7], s[14:15], v38, s36, 0
	v_add3_u32 v7, v7, v40, v39
	v_lshl_add_u64 v[4:5], v[4:5], 2, s[38:39]
	v_lshl_add_u64 v[6:7], v[6:7], 2, s[38:39]
	s_mov_b64 s[44:45], 0
	s_mov_b64 s[50:51], s[36:37]
                                        ; implicit-def: $sgpr46_sgpr47
                                        ; implicit-def: $sgpr48_sgpr49
                                        ; implicit-def: $sgpr14_sgpr15
                                        ; implicit-def: $sgpr52_sgpr53
	s_branch .LBB1483_1016
.LBB1483_1015:                          ;   in Loop: Header=BB1483_1016 Depth=1
	s_or_b64 exec, exec, s[56:57]
	s_and_b64 s[16:17], exec, s[48:49]
	s_or_b64 s[44:45], s[16:17], s[44:45]
	s_andn2_b64 s[16:17], s[52:53], exec
	s_and_b64 s[52:53], s[54:55], exec
	s_or_b64 s[52:53], s[16:17], s[52:53]
	s_andn2_b64 s[16:17], s[46:47], exec
	s_and_b64 s[46:47], s[14:15], exec
	s_or_b64 s[46:47], s[16:17], s[46:47]
	s_andn2_b64 exec, exec, s[44:45]
	s_cbranch_execz .LBB1483_1018
.LBB1483_1016:                          ; =>This Inner Loop Header: Depth=1
	global_load_dword v39, v[4:5], off
	global_load_dword v40, v[6:7], off
	s_andn2_b64 s[56:57], s[14:15], exec
	s_or_b64 s[48:49], s[48:49], exec
	s_waitcnt vmcnt(0)
	v_cmp_le_u32_e64 s[14:15], v39, v40
	v_cmp_lt_u32_e32 vcc, v39, v40
	s_and_b64 s[14:15], s[14:15], s[52:53]
	s_or_b64 s[54:55], vcc, s[14:15]
	s_and_b64 s[14:15], s[54:55], exec
	v_cmp_eq_u32_e64 s[16:17], v39, v40
	s_or_b64 s[14:15], s[56:57], s[14:15]
	s_and_saveexec_b64 s[56:57], s[16:17]
	s_cbranch_execz .LBB1483_1015
; %bb.1017:                             ;   in Loop: Header=BB1483_1016 Depth=1
	s_add_u32 s50, s50, -1
	s_addc_u32 s51, s51, -1
	s_cmp_eq_u64 s[50:51], 0
	s_cselect_b64 s[16:17], -1, 0
	s_andn2_b64 s[48:49], s[48:49], exec
	s_and_b64 s[16:17], s[16:17], exec
	v_lshl_add_u64 v[4:5], v[4:5], 0, 4
	v_lshl_add_u64 v[6:7], v[6:7], 0, 4
	s_andn2_b64 s[14:15], s[14:15], exec
	s_or_b64 s[48:49], s[48:49], s[16:17]
                                        ; implicit-def: $sgpr52_sgpr53
	s_branch .LBB1483_1015
.LBB1483_1018:
	s_or_b64 exec, exec, s[44:45]
	s_xor_b64 s[14:15], s[46:47], -1
	s_branch .LBB1483_1020
.LBB1483_1019:
	s_mov_b64 s[14:15], -1
.LBB1483_1020:
	s_and_b64 s[14:15], s[14:15], exec
.LBB1483_1021:
	s_or_b64 exec, exec, s[26:27]
	s_orn2_b64 s[26:27], s[14:15], exec
.LBB1483_1022:
	s_or_b64 exec, exec, s[30:31]
	v_cndmask_b32_e64 v4, v8, v9, s[26:27]
	v_cndmask_b32_e64 v5, v25, v24, s[26:27]
	v_add_u32_e32 v6, 1, v4
	v_add_u32_e32 v4, -1, v5
	v_min_u32_e32 v4, v6, v4
	v_lshl_add_u32 v4, v4, 3, v33
	ds_read_b64 v[4:5], v4
	v_cndmask_b32_e64 v45, v6, v8, s[26:27]
	v_cndmask_b32_e64 v46, v9, v6, s[26:27]
	v_cmp_lt_u32_e32 vcc, v45, v25
	s_waitcnt lgkmcnt(0)
	v_cndmask_b32_e64 v39, v5, v12, s[26:27]
	v_cndmask_b32_e64 v40, v4, v37, s[26:27]
	;; [unrolled: 1-line block ×4, first 2 shown]
	s_and_saveexec_b64 s[30:31], vcc
	s_cbranch_execz .LBB1483_1033
; %bb.1023:
	v_cmp_lt_u32_e32 vcc, v46, v24
	s_mov_b64 s[14:15], 0
	s_and_saveexec_b64 s[28:29], vcc
	s_cbranch_execz .LBB1483_1032
; %bb.1024:
	s_andn2_b64 vcc, exec, s[42:43]
	s_cbranch_vccnz .LBB1483_1030
; %bb.1025:
	v_mul_lo_u32 v6, v39, s36
	v_mul_lo_u32 v7, v40, s37
	v_mad_u64_u32 v[4:5], s[14:15], v40, s36, 0
	v_add3_u32 v5, v5, v7, v6
	v_mul_lo_u32 v8, v41, s36
	v_mul_lo_u32 v9, v42, s37
	v_mad_u64_u32 v[6:7], s[14:15], v42, s36, 0
	v_add3_u32 v7, v7, v9, v8
	v_lshl_add_u64 v[4:5], v[4:5], 2, s[38:39]
	v_lshl_add_u64 v[6:7], v[6:7], 2, s[38:39]
	s_mov_b64 s[44:45], 0
	s_mov_b64 s[50:51], s[36:37]
                                        ; implicit-def: $sgpr46_sgpr47
                                        ; implicit-def: $sgpr48_sgpr49
                                        ; implicit-def: $sgpr14_sgpr15
                                        ; implicit-def: $sgpr52_sgpr53
	s_branch .LBB1483_1027
.LBB1483_1026:                          ;   in Loop: Header=BB1483_1027 Depth=1
	s_or_b64 exec, exec, s[56:57]
	s_and_b64 s[16:17], exec, s[48:49]
	s_or_b64 s[44:45], s[16:17], s[44:45]
	s_andn2_b64 s[16:17], s[52:53], exec
	s_and_b64 s[52:53], s[54:55], exec
	s_or_b64 s[52:53], s[16:17], s[52:53]
	s_andn2_b64 s[16:17], s[46:47], exec
	s_and_b64 s[46:47], s[14:15], exec
	s_or_b64 s[46:47], s[16:17], s[46:47]
	s_andn2_b64 exec, exec, s[44:45]
	s_cbranch_execz .LBB1483_1029
.LBB1483_1027:                          ; =>This Inner Loop Header: Depth=1
	global_load_dword v8, v[4:5], off
	global_load_dword v9, v[6:7], off
	s_andn2_b64 s[56:57], s[14:15], exec
	s_or_b64 s[48:49], s[48:49], exec
	s_waitcnt vmcnt(0)
	v_cmp_le_u32_e64 s[14:15], v8, v9
	v_cmp_lt_u32_e32 vcc, v8, v9
	s_and_b64 s[14:15], s[14:15], s[52:53]
	s_or_b64 s[54:55], vcc, s[14:15]
	s_and_b64 s[14:15], s[54:55], exec
	v_cmp_eq_u32_e64 s[16:17], v8, v9
	s_or_b64 s[14:15], s[56:57], s[14:15]
	s_and_saveexec_b64 s[56:57], s[16:17]
	s_cbranch_execz .LBB1483_1026
; %bb.1028:                             ;   in Loop: Header=BB1483_1027 Depth=1
	s_add_u32 s50, s50, -1
	s_addc_u32 s51, s51, -1
	s_cmp_eq_u64 s[50:51], 0
	s_cselect_b64 s[16:17], -1, 0
	s_andn2_b64 s[48:49], s[48:49], exec
	s_and_b64 s[16:17], s[16:17], exec
	v_lshl_add_u64 v[4:5], v[4:5], 0, 4
	v_lshl_add_u64 v[6:7], v[6:7], 0, 4
	s_andn2_b64 s[14:15], s[14:15], exec
	s_or_b64 s[48:49], s[48:49], s[16:17]
                                        ; implicit-def: $sgpr52_sgpr53
	s_branch .LBB1483_1026
.LBB1483_1029:
	s_or_b64 exec, exec, s[44:45]
	s_xor_b64 s[14:15], s[46:47], -1
	s_branch .LBB1483_1031
.LBB1483_1030:
	s_mov_b64 s[14:15], -1
.LBB1483_1031:
	s_and_b64 s[14:15], s[14:15], exec
.LBB1483_1032:
	s_or_b64 exec, exec, s[28:29]
	s_orn2_b64 s[28:29], s[14:15], exec
.LBB1483_1033:
	s_or_b64 exec, exec, s[30:31]
	v_cndmask_b32_e64 v4, v45, v46, s[28:29]
	v_cndmask_b32_e64 v5, v25, v24, s[28:29]
	v_add_u32_e32 v6, 1, v4
	v_add_u32_e32 v4, -1, v5
	v_min_u32_e32 v4, v6, v4
	v_lshl_add_u32 v4, v4, 3, v33
	ds_read_b64 v[4:5], v4
	v_cndmask_b32_e64 v47, v6, v45, s[28:29]
	v_cndmask_b32_e64 v51, v46, v6, s[28:29]
	v_cmp_lt_u32_e32 vcc, v47, v25
	s_mov_b64 s[30:31], -1
	s_waitcnt lgkmcnt(0)
	v_cndmask_b32_e64 v8, v5, v39, s[28:29]
	v_cndmask_b32_e64 v43, v4, v40, s[28:29]
	;; [unrolled: 1-line block ×4, first 2 shown]
	s_mov_b64 s[44:45], -1
	s_and_saveexec_b64 s[46:47], vcc
	s_cbranch_execz .LBB1483_1044
; %bb.1034:
	v_cmp_lt_u32_e32 vcc, v51, v24
	s_mov_b64 s[14:15], 0
	s_and_saveexec_b64 s[44:45], vcc
	s_cbranch_execz .LBB1483_1043
; %bb.1035:
	s_andn2_b64 vcc, exec, s[42:43]
	s_cbranch_vccnz .LBB1483_1041
; %bb.1036:
	v_mul_lo_u32 v6, v8, s36
	v_mul_lo_u32 v7, v43, s37
	v_mad_u64_u32 v[4:5], s[14:15], v43, s36, 0
	v_add3_u32 v5, v5, v7, v6
	v_mul_lo_u32 v45, v9, s36
	v_mul_lo_u32 v46, v44, s37
	v_mad_u64_u32 v[6:7], s[14:15], v44, s36, 0
	v_add3_u32 v7, v7, v46, v45
	v_lshl_add_u64 v[4:5], v[4:5], 2, s[38:39]
	v_lshl_add_u64 v[6:7], v[6:7], 2, s[38:39]
	s_mov_b64 s[48:49], 0
	s_mov_b64 s[54:55], s[36:37]
                                        ; implicit-def: $sgpr50_sgpr51
                                        ; implicit-def: $sgpr52_sgpr53
                                        ; implicit-def: $sgpr14_sgpr15
                                        ; implicit-def: $sgpr56_sgpr57
	s_branch .LBB1483_1038
.LBB1483_1037:                          ;   in Loop: Header=BB1483_1038 Depth=1
	s_or_b64 exec, exec, s[60:61]
	s_and_b64 s[16:17], exec, s[52:53]
	s_or_b64 s[48:49], s[16:17], s[48:49]
	s_andn2_b64 s[16:17], s[56:57], exec
	s_and_b64 s[56:57], s[58:59], exec
	s_or_b64 s[56:57], s[16:17], s[56:57]
	s_andn2_b64 s[16:17], s[50:51], exec
	s_and_b64 s[50:51], s[14:15], exec
	s_or_b64 s[50:51], s[16:17], s[50:51]
	s_andn2_b64 exec, exec, s[48:49]
	s_cbranch_execz .LBB1483_1040
.LBB1483_1038:                          ; =>This Inner Loop Header: Depth=1
	global_load_dword v45, v[4:5], off
	global_load_dword v46, v[6:7], off
	s_andn2_b64 s[60:61], s[14:15], exec
	s_or_b64 s[52:53], s[52:53], exec
	s_waitcnt vmcnt(0)
	v_cmp_le_u32_e64 s[14:15], v45, v46
	v_cmp_lt_u32_e32 vcc, v45, v46
	s_and_b64 s[14:15], s[14:15], s[56:57]
	s_or_b64 s[58:59], vcc, s[14:15]
	s_and_b64 s[14:15], s[58:59], exec
	v_cmp_eq_u32_e64 s[16:17], v45, v46
	s_or_b64 s[14:15], s[60:61], s[14:15]
	s_and_saveexec_b64 s[60:61], s[16:17]
	s_cbranch_execz .LBB1483_1037
; %bb.1039:                             ;   in Loop: Header=BB1483_1038 Depth=1
	s_add_u32 s54, s54, -1
	s_addc_u32 s55, s55, -1
	s_cmp_eq_u64 s[54:55], 0
	s_cselect_b64 s[16:17], -1, 0
	s_andn2_b64 s[52:53], s[52:53], exec
	s_and_b64 s[16:17], s[16:17], exec
	v_lshl_add_u64 v[4:5], v[4:5], 0, 4
	v_lshl_add_u64 v[6:7], v[6:7], 0, 4
	s_andn2_b64 s[14:15], s[14:15], exec
	s_or_b64 s[52:53], s[52:53], s[16:17]
                                        ; implicit-def: $sgpr56_sgpr57
	s_branch .LBB1483_1037
.LBB1483_1040:
	s_or_b64 exec, exec, s[48:49]
	s_xor_b64 s[14:15], s[50:51], -1
	s_branch .LBB1483_1042
.LBB1483_1041:
	s_mov_b64 s[14:15], -1
.LBB1483_1042:
	s_and_b64 s[14:15], s[14:15], exec
.LBB1483_1043:
	s_or_b64 exec, exec, s[44:45]
	s_orn2_b64 s[44:45], s[14:15], exec
.LBB1483_1044:
	s_or_b64 exec, exec, s[46:47]
	v_cndmask_b32_e64 v4, v47, v51, s[44:45]
	v_cndmask_b32_e64 v5, v25, v24, s[44:45]
	v_add_u32_e32 v6, 1, v4
	v_add_u32_e32 v4, -1, v5
	v_min_u32_e32 v4, v6, v4
	v_lshl_add_u32 v4, v4, 3, v33
	ds_read_b64 v[4:5], v4
	v_cndmask_b32_e64 v48, v6, v47, s[44:45]
	v_cndmask_b32_e64 v47, v51, v6, s[44:45]
	v_cmp_lt_u32_e32 vcc, v48, v25
	s_waitcnt lgkmcnt(0)
	v_cndmask_b32_e64 v45, v5, v8, s[44:45]
	v_cndmask_b32_e64 v46, v4, v43, s[44:45]
	;; [unrolled: 1-line block ×4, first 2 shown]
	s_and_saveexec_b64 s[46:47], vcc
	s_cbranch_execz .LBB1483_1055
; %bb.1045:
	v_cmp_lt_u32_e32 vcc, v47, v24
	s_mov_b64 s[14:15], 0
	s_and_saveexec_b64 s[30:31], vcc
	s_cbranch_execz .LBB1483_1054
; %bb.1046:
	s_andn2_b64 vcc, exec, s[42:43]
	s_cbranch_vccnz .LBB1483_1052
; %bb.1047:
	v_mul_lo_u32 v6, v45, s36
	v_mul_lo_u32 v7, v46, s37
	v_mad_u64_u32 v[4:5], s[14:15], v46, s36, 0
	v_add3_u32 v5, v5, v7, v6
	v_mul_lo_u32 v51, v49, s36
	v_mul_lo_u32 v52, v50, s37
	v_mad_u64_u32 v[6:7], s[14:15], v50, s36, 0
	v_add3_u32 v7, v7, v52, v51
	v_lshl_add_u64 v[4:5], v[4:5], 2, s[38:39]
	v_lshl_add_u64 v[6:7], v[6:7], 2, s[38:39]
	s_mov_b64 s[48:49], 0
	s_mov_b64 s[54:55], s[36:37]
                                        ; implicit-def: $sgpr50_sgpr51
                                        ; implicit-def: $sgpr52_sgpr53
                                        ; implicit-def: $sgpr14_sgpr15
                                        ; implicit-def: $sgpr56_sgpr57
	s_branch .LBB1483_1049
.LBB1483_1048:                          ;   in Loop: Header=BB1483_1049 Depth=1
	s_or_b64 exec, exec, s[60:61]
	s_and_b64 s[16:17], exec, s[52:53]
	s_or_b64 s[48:49], s[16:17], s[48:49]
	s_andn2_b64 s[16:17], s[56:57], exec
	s_and_b64 s[56:57], s[58:59], exec
	s_or_b64 s[56:57], s[16:17], s[56:57]
	s_andn2_b64 s[16:17], s[50:51], exec
	s_and_b64 s[50:51], s[14:15], exec
	s_or_b64 s[50:51], s[16:17], s[50:51]
	s_andn2_b64 exec, exec, s[48:49]
	s_cbranch_execz .LBB1483_1051
.LBB1483_1049:                          ; =>This Inner Loop Header: Depth=1
	global_load_dword v51, v[4:5], off
	global_load_dword v52, v[6:7], off
	s_andn2_b64 s[60:61], s[14:15], exec
	s_or_b64 s[52:53], s[52:53], exec
	s_waitcnt vmcnt(0)
	v_cmp_le_u32_e64 s[14:15], v51, v52
	v_cmp_lt_u32_e32 vcc, v51, v52
	s_and_b64 s[14:15], s[14:15], s[56:57]
	s_or_b64 s[58:59], vcc, s[14:15]
	s_and_b64 s[14:15], s[58:59], exec
	v_cmp_eq_u32_e64 s[16:17], v51, v52
	s_or_b64 s[14:15], s[60:61], s[14:15]
	s_and_saveexec_b64 s[60:61], s[16:17]
	s_cbranch_execz .LBB1483_1048
; %bb.1050:                             ;   in Loop: Header=BB1483_1049 Depth=1
	s_add_u32 s54, s54, -1
	s_addc_u32 s55, s55, -1
	s_cmp_eq_u64 s[54:55], 0
	s_cselect_b64 s[16:17], -1, 0
	s_andn2_b64 s[52:53], s[52:53], exec
	s_and_b64 s[16:17], s[16:17], exec
	v_lshl_add_u64 v[4:5], v[4:5], 0, 4
	v_lshl_add_u64 v[6:7], v[6:7], 0, 4
	s_andn2_b64 s[14:15], s[14:15], exec
	s_or_b64 s[52:53], s[52:53], s[16:17]
                                        ; implicit-def: $sgpr56_sgpr57
	s_branch .LBB1483_1048
.LBB1483_1051:
	s_or_b64 exec, exec, s[48:49]
	s_xor_b64 s[14:15], s[50:51], -1
	s_branch .LBB1483_1053
.LBB1483_1052:
	s_mov_b64 s[14:15], -1
.LBB1483_1053:
	s_and_b64 s[14:15], s[14:15], exec
.LBB1483_1054:
	s_or_b64 exec, exec, s[30:31]
	s_orn2_b64 s[30:31], s[14:15], exec
.LBB1483_1055:
	s_or_b64 exec, exec, s[46:47]
	v_cndmask_b32_e64 v4, v48, v47, s[30:31]
	v_cndmask_b32_e64 v5, v25, v24, s[30:31]
	;; [unrolled: 1-line block ×4, first 2 shown]
	v_add_u32_e32 v37, 1, v4
	v_add_u32_e32 v4, -1, v5
	v_min_u32_e32 v4, v37, v4
	v_lshl_add_u32 v4, v4, 3, v33
	v_cndmask_b32_e64 v11, v10, v11, s[24:25]
	v_cndmask_b32_e64 v10, v17, v23, s[24:25]
	;; [unrolled: 1-line block ×4, first 2 shown]
	ds_read_b64 v[22:23], v4
	v_cndmask_b32_e64 v14, v2, v0, s[20:21]
	v_cndmask_b32_e64 v0, v37, v48, s[30:31]
	;; [unrolled: 1-line block ×9, first 2 shown]
	s_waitcnt lgkmcnt(0)
	v_cndmask_b32_e64 v5, v49, v23, s[30:31]
	v_cndmask_b32_e64 v4, v50, v22, s[30:31]
	v_cmp_lt_u32_e32 vcc, v0, v25
	s_and_saveexec_b64 s[20:21], vcc
	s_cbranch_execz .LBB1483_1065
; %bb.1056:
	v_cndmask_b32_e64 v0, v22, v46, s[30:31]
	v_cndmask_b32_e64 v22, v47, v37, s[30:31]
	v_cndmask_b32_e64 v1, v23, v45, s[30:31]
	v_cmp_lt_u32_e32 vcc, v22, v24
	s_and_saveexec_b64 s[22:23], vcc
	s_cbranch_execz .LBB1483_1064
; %bb.1057:
	s_andn2_b64 vcc, exec, s[42:43]
	s_cbranch_vccnz .LBB1483_1063
; %bb.1058:
	v_mul_lo_u32 v24, v1, s36
	v_mul_lo_u32 v25, v0, s37
	v_mad_u64_u32 v[22:23], s[14:15], v0, s36, 0
	v_add3_u32 v23, v23, v25, v24
	v_mul_lo_u32 v37, v5, s36
	v_mul_lo_u32 v38, v4, s37
	v_mad_u64_u32 v[24:25], s[14:15], v4, s36, 0
	v_add3_u32 v25, v25, v38, v37
	v_lshl_add_u64 v[22:23], v[22:23], 2, s[38:39]
	v_lshl_add_u64 v[24:25], v[24:25], 2, s[38:39]
	s_mov_b64 s[24:25], 0
	s_mov_b64 s[30:31], s[36:37]
                                        ; implicit-def: $sgpr26_sgpr27
                                        ; implicit-def: $sgpr28_sgpr29
                                        ; implicit-def: $sgpr14_sgpr15
                                        ; implicit-def: $sgpr44_sgpr45
	s_branch .LBB1483_1060
.LBB1483_1059:                          ;   in Loop: Header=BB1483_1060 Depth=1
	s_or_b64 exec, exec, s[48:49]
	s_and_b64 s[16:17], exec, s[28:29]
	s_or_b64 s[24:25], s[16:17], s[24:25]
	s_andn2_b64 s[16:17], s[44:45], exec
	s_and_b64 s[44:45], s[46:47], exec
	s_or_b64 s[44:45], s[16:17], s[44:45]
	s_andn2_b64 s[16:17], s[26:27], exec
	s_and_b64 s[26:27], s[14:15], exec
	s_or_b64 s[26:27], s[16:17], s[26:27]
	s_andn2_b64 exec, exec, s[24:25]
	s_cbranch_execz .LBB1483_1062
.LBB1483_1060:                          ; =>This Inner Loop Header: Depth=1
	global_load_dword v37, v[22:23], off
	global_load_dword v38, v[24:25], off
	s_andn2_b64 s[48:49], s[14:15], exec
	s_or_b64 s[28:29], s[28:29], exec
	s_waitcnt vmcnt(0)
	v_cmp_le_u32_e64 s[14:15], v37, v38
	v_cmp_lt_u32_e32 vcc, v37, v38
	s_and_b64 s[14:15], s[14:15], s[44:45]
	s_or_b64 s[46:47], vcc, s[14:15]
	s_and_b64 s[14:15], s[46:47], exec
	v_cmp_eq_u32_e64 s[16:17], v37, v38
	s_or_b64 s[14:15], s[48:49], s[14:15]
	s_and_saveexec_b64 s[48:49], s[16:17]
	s_cbranch_execz .LBB1483_1059
; %bb.1061:                             ;   in Loop: Header=BB1483_1060 Depth=1
	s_add_u32 s30, s30, -1
	s_addc_u32 s31, s31, -1
	s_cmp_eq_u64 s[30:31], 0
	s_cselect_b64 s[16:17], -1, 0
	s_andn2_b64 s[28:29], s[28:29], exec
	s_and_b64 s[16:17], s[16:17], exec
	v_lshl_add_u64 v[22:23], v[22:23], 0, 4
	v_lshl_add_u64 v[24:25], v[24:25], 0, 4
	s_andn2_b64 s[14:15], s[14:15], exec
	s_or_b64 s[28:29], s[28:29], s[16:17]
                                        ; implicit-def: $sgpr44_sgpr45
	s_branch .LBB1483_1059
.LBB1483_1062:
	s_or_b64 exec, exec, s[24:25]
	v_cndmask_b32_e64 v5, v5, v1, s[26:27]
	v_cndmask_b32_e64 v4, v4, v0, s[26:27]
.LBB1483_1063:
	v_mov_b64_e32 v[0:1], v[4:5]
.LBB1483_1064:
	s_or_b64 exec, exec, s[22:23]
	v_mov_b64_e32 v[4:5], v[0:1]
.LBB1483_1065:
	s_or_b64 exec, exec, s[20:21]
.LBB1483_1066:
	s_or_b64 exec, exec, s[18:19]
	v_and_b32_e32 v39, 0x3e0, v35
	v_or_b32_e32 v0, 16, v39
	v_min_u32_e32 v24, v34, v0
	v_add_u32_e32 v0, 16, v24
	v_min_u32_e32 v25, v34, v0
	v_and_b32_e32 v0, 24, v35
	v_min_u32_e32 v40, v34, v0
	v_sub_u32_e32 v0, v24, v39
	v_sub_u32_e32 v1, v25, v24
	v_sub_u32_e64 v38, v40, v1 clamp
	v_min_u32_e32 v41, v40, v0
	v_lshl_add_u32 v37, v39, 3, v33
	v_cmp_lt_u32_e32 vcc, v38, v41
	; wave barrier
	ds_write_b128 v36, v[14:17]
	ds_write_b128 v36, v[10:13] offset:16
	ds_write_b128 v36, v[6:9] offset:32
	;; [unrolled: 1-line block ×3, first 2 shown]
	; wave barrier
	s_and_saveexec_b64 s[20:21], vcc
	s_cbranch_execz .LBB1483_1076
; %bb.1067:
	v_lshlrev_b32_e32 v0, 3, v24
	v_lshlrev_b32_e32 v1, 3, v40
	v_add3_u32 v42, v33, v0, v1
	v_cndmask_b32_e64 v0, 0, 1, s[42:43]
	s_lshl_b64 s[24:25], s[36:37], 2
	s_mov_b64 s[22:23], 0
	v_cmp_ne_u32_e64 s[14:15], 1, v0
	s_branch .LBB1483_1070
.LBB1483_1068:                          ;   in Loop: Header=BB1483_1070 Depth=1
	s_or_b64 exec, exec, s[28:29]
.LBB1483_1069:                          ;   in Loop: Header=BB1483_1070 Depth=1
	v_add_u32_e32 v0, 1, v43
	v_cndmask_b32_e64 v41, v41, v43, s[26:27]
	v_cndmask_b32_e64 v38, v0, v38, s[26:27]
	v_cmp_ge_u32_e32 vcc, v38, v41
	s_or_b64 s[22:23], vcc, s[22:23]
	s_andn2_b64 exec, exec, s[22:23]
	s_cbranch_execz .LBB1483_1075
.LBB1483_1070:                          ; =>This Loop Header: Depth=1
                                        ;     Child Loop BB1483_1073 Depth 2
	v_add_u32_e32 v0, v41, v38
	v_lshrrev_b32_e32 v43, 1, v0
	s_and_b64 vcc, exec, s[14:15]
	s_mov_b64 s[26:27], 0
	s_cbranch_vccnz .LBB1483_1069
; %bb.1071:                             ;   in Loop: Header=BB1483_1070 Depth=1
	v_not_b32_e32 v0, v43
	v_lshl_add_u32 v0, v0, 3, v42
	ds_read_b64 v[0:1], v0
	v_lshl_add_u32 v44, v43, 3, v37
	ds_read_b64 v[44:45], v44
	v_mov_b64_e32 v[22:23], s[38:39]
	s_mov_b64 s[28:29], 0
	s_waitcnt lgkmcnt(1)
	v_mul_lo_u32 v46, s24, v1
	v_mul_lo_u32 v47, s25, v0
	v_mad_u64_u32 v[0:1], s[16:17], s24, v0, v[22:23]
	v_add3_u32 v1, v47, v1, v46
	s_waitcnt lgkmcnt(0)
	v_mul_lo_u32 v45, s24, v45
	v_mul_lo_u32 v46, s25, v44
	v_mad_u64_u32 v[22:23], s[16:17], s24, v44, v[22:23]
	v_add3_u32 v23, v46, v23, v45
	s_mov_b64 s[44:45], s[36:37]
                                        ; implicit-def: $sgpr26_sgpr27
                                        ; implicit-def: $sgpr30_sgpr31
                                        ; implicit-def: $sgpr16_sgpr17
                                        ; implicit-def: $sgpr46_sgpr47
	s_branch .LBB1483_1073
.LBB1483_1072:                          ;   in Loop: Header=BB1483_1073 Depth=2
	s_or_b64 exec, exec, s[50:51]
	s_and_b64 s[18:19], exec, s[30:31]
	s_or_b64 s[28:29], s[18:19], s[28:29]
	s_andn2_b64 s[18:19], s[46:47], exec
	s_and_b64 s[46:47], s[48:49], exec
	s_or_b64 s[46:47], s[18:19], s[46:47]
	s_andn2_b64 s[18:19], s[26:27], exec
	s_and_b64 s[26:27], s[16:17], exec
	s_or_b64 s[26:27], s[18:19], s[26:27]
	s_andn2_b64 exec, exec, s[28:29]
	s_cbranch_execz .LBB1483_1068
.LBB1483_1073:                          ;   Parent Loop BB1483_1070 Depth=1
                                        ; =>  This Inner Loop Header: Depth=2
	global_load_dword v44, v[0:1], off
	global_load_dword v45, v[22:23], off
	s_andn2_b64 s[50:51], s[16:17], exec
	s_or_b64 s[30:31], s[30:31], exec
	s_waitcnt vmcnt(0)
	v_cmp_le_u32_e64 s[16:17], v44, v45
	v_cmp_lt_u32_e32 vcc, v44, v45
	s_and_b64 s[16:17], s[16:17], s[46:47]
	s_or_b64 s[48:49], vcc, s[16:17]
	s_and_b64 s[16:17], s[48:49], exec
	v_cmp_eq_u32_e64 s[18:19], v44, v45
	s_or_b64 s[16:17], s[50:51], s[16:17]
	s_and_saveexec_b64 s[50:51], s[18:19]
	s_cbranch_execz .LBB1483_1072
; %bb.1074:                             ;   in Loop: Header=BB1483_1073 Depth=2
	s_add_u32 s44, s44, -1
	s_addc_u32 s45, s45, -1
	s_cmp_eq_u64 s[44:45], 0
	s_cselect_b64 s[18:19], -1, 0
	s_andn2_b64 s[30:31], s[30:31], exec
	s_and_b64 s[18:19], s[18:19], exec
	v_lshl_add_u64 v[0:1], v[0:1], 0, 4
	v_lshl_add_u64 v[22:23], v[22:23], 0, 4
	s_andn2_b64 s[16:17], s[16:17], exec
	s_or_b64 s[30:31], s[30:31], s[18:19]
                                        ; implicit-def: $sgpr46_sgpr47
	s_branch .LBB1483_1072
.LBB1483_1075:
	s_or_b64 exec, exec, s[22:23]
.LBB1483_1076:
	s_or_b64 exec, exec, s[20:21]
	v_add_u32_e32 v0, v24, v40
	v_add_u32_e32 v23, v38, v39
	v_sub_u32_e32 v39, v0, v38
	v_cmp_le_u32_e32 vcc, v23, v24
	v_cmp_le_u32_e64 s[14:15], v39, v25
	s_or_b64 s[14:15], vcc, s[14:15]
	s_and_saveexec_b64 s[18:19], s[14:15]
	s_cbranch_execz .LBB1483_1167
; %bb.1077:
	v_cmp_ge_u32_e32 vcc, v23, v24
	v_cmp_lt_u32_e64 s[14:15], v23, v24
                                        ; implicit-def: $vgpr0_vgpr1
	s_and_saveexec_b64 s[16:17], s[14:15]
; %bb.1078:
	v_lshl_add_u32 v0, v38, 3, v37
	ds_read_b64 v[0:1], v0
; %bb.1079:
	s_or_b64 exec, exec, s[16:17]
	v_cmp_ge_u32_e64 s[20:21], v39, v25
	v_cmp_lt_u32_e64 s[14:15], v39, v25
                                        ; implicit-def: $vgpr2_vgpr3
	s_and_saveexec_b64 s[16:17], s[14:15]
; %bb.1080:
	v_lshl_add_u32 v2, v39, 3, v33
	ds_read_b64 v[2:3], v2
; %bb.1081:
	s_or_b64 exec, exec, s[16:17]
	s_nor_b64 s[14:15], vcc, s[20:21]
	s_and_saveexec_b64 s[22:23], s[14:15]
	s_cbranch_execz .LBB1483_1090
; %bb.1082:
	s_andn2_b64 vcc, exec, s[42:43]
	s_cbranch_vccnz .LBB1483_1088
; %bb.1083:
	s_waitcnt lgkmcnt(0)
	v_mul_lo_u32 v6, v3, s36
	v_mul_lo_u32 v7, v2, s37
	v_mad_u64_u32 v[4:5], s[14:15], v2, s36, 0
	v_add3_u32 v5, v5, v7, v6
	v_mul_lo_u32 v8, v1, s36
	v_mul_lo_u32 v9, v0, s37
	v_mad_u64_u32 v[6:7], s[14:15], v0, s36, 0
	v_add3_u32 v7, v7, v9, v8
	v_lshl_add_u64 v[4:5], v[4:5], 2, s[38:39]
	v_lshl_add_u64 v[6:7], v[6:7], 2, s[38:39]
	s_mov_b64 s[24:25], 0
	s_mov_b64 s[30:31], s[36:37]
                                        ; implicit-def: $sgpr26_sgpr27
                                        ; implicit-def: $sgpr28_sgpr29
                                        ; implicit-def: $sgpr14_sgpr15
                                        ; implicit-def: $sgpr44_sgpr45
	s_branch .LBB1483_1085
.LBB1483_1084:                          ;   in Loop: Header=BB1483_1085 Depth=1
	s_or_b64 exec, exec, s[48:49]
	s_and_b64 s[16:17], exec, s[28:29]
	s_or_b64 s[24:25], s[16:17], s[24:25]
	s_andn2_b64 s[16:17], s[44:45], exec
	s_and_b64 s[44:45], s[46:47], exec
	s_or_b64 s[44:45], s[16:17], s[44:45]
	s_andn2_b64 s[16:17], s[26:27], exec
	s_and_b64 s[26:27], s[14:15], exec
	s_or_b64 s[26:27], s[16:17], s[26:27]
	s_andn2_b64 exec, exec, s[24:25]
	s_cbranch_execz .LBB1483_1087
.LBB1483_1085:                          ; =>This Inner Loop Header: Depth=1
	global_load_dword v8, v[4:5], off
	global_load_dword v9, v[6:7], off
	s_andn2_b64 s[48:49], s[14:15], exec
	s_or_b64 s[28:29], s[28:29], exec
	s_waitcnt vmcnt(0)
	v_cmp_le_u32_e64 s[14:15], v8, v9
	v_cmp_lt_u32_e32 vcc, v8, v9
	s_and_b64 s[14:15], s[14:15], s[44:45]
	s_or_b64 s[46:47], vcc, s[14:15]
	s_and_b64 s[14:15], s[46:47], exec
	v_cmp_eq_u32_e64 s[16:17], v8, v9
	s_or_b64 s[14:15], s[48:49], s[14:15]
	s_and_saveexec_b64 s[48:49], s[16:17]
	s_cbranch_execz .LBB1483_1084
; %bb.1086:                             ;   in Loop: Header=BB1483_1085 Depth=1
	s_add_u32 s30, s30, -1
	s_addc_u32 s31, s31, -1
	s_cmp_eq_u64 s[30:31], 0
	s_cselect_b64 s[16:17], -1, 0
	s_andn2_b64 s[28:29], s[28:29], exec
	s_and_b64 s[16:17], s[16:17], exec
	v_lshl_add_u64 v[4:5], v[4:5], 0, 4
	v_lshl_add_u64 v[6:7], v[6:7], 0, 4
	s_andn2_b64 s[14:15], s[14:15], exec
	s_or_b64 s[28:29], s[28:29], s[16:17]
                                        ; implicit-def: $sgpr44_sgpr45
	s_branch .LBB1483_1084
.LBB1483_1087:
	s_or_b64 exec, exec, s[24:25]
	s_xor_b64 s[14:15], s[26:27], -1
	s_branch .LBB1483_1089
.LBB1483_1088:
	s_mov_b64 s[14:15], -1
.LBB1483_1089:
	s_andn2_b64 s[16:17], s[20:21], exec
	s_and_b64 s[14:15], s[14:15], exec
	s_or_b64 s[20:21], s[16:17], s[14:15]
.LBB1483_1090:
	s_or_b64 exec, exec, s[22:23]
	v_cndmask_b32_e64 v4, v39, v23, s[20:21]
	v_cndmask_b32_e64 v5, v25, v24, s[20:21]
	v_add_u32_e32 v6, 1, v4
	v_add_u32_e32 v4, -1, v5
	v_min_u32_e32 v4, v6, v4
	v_lshl_add_u32 v4, v4, 3, v33
	ds_read_b64 v[4:5], v4
	v_cndmask_b32_e64 v8, v6, v39, s[20:21]
	v_cndmask_b32_e64 v9, v23, v6, s[20:21]
	v_cmp_lt_u32_e32 vcc, v8, v25
	s_mov_b64 s[24:25], -1
	s_waitcnt lgkmcnt(0)
	v_cndmask_b32_e64 v14, v5, v3, s[20:21]
	v_cndmask_b32_e64 v15, v4, v2, s[20:21]
	;; [unrolled: 1-line block ×4, first 2 shown]
	s_mov_b64 s[22:23], -1
	s_and_saveexec_b64 s[26:27], vcc
	s_cbranch_execz .LBB1483_1101
; %bb.1091:
	v_cmp_lt_u32_e32 vcc, v9, v24
	s_mov_b64 s[14:15], 0
	s_and_saveexec_b64 s[22:23], vcc
	s_cbranch_execz .LBB1483_1100
; %bb.1092:
	s_andn2_b64 vcc, exec, s[42:43]
	s_cbranch_vccnz .LBB1483_1098
; %bb.1093:
	v_mul_lo_u32 v6, v14, s36
	v_mul_lo_u32 v7, v15, s37
	v_mad_u64_u32 v[4:5], s[14:15], v15, s36, 0
	v_add3_u32 v5, v5, v7, v6
	v_mul_lo_u32 v10, v16, s36
	v_mul_lo_u32 v11, v22, s37
	v_mad_u64_u32 v[6:7], s[14:15], v22, s36, 0
	v_add3_u32 v7, v7, v11, v10
	v_lshl_add_u64 v[4:5], v[4:5], 2, s[38:39]
	v_lshl_add_u64 v[6:7], v[6:7], 2, s[38:39]
	s_mov_b64 s[28:29], 0
	s_mov_b64 s[46:47], s[36:37]
                                        ; implicit-def: $sgpr30_sgpr31
                                        ; implicit-def: $sgpr44_sgpr45
                                        ; implicit-def: $sgpr14_sgpr15
                                        ; implicit-def: $sgpr48_sgpr49
	s_branch .LBB1483_1095
.LBB1483_1094:                          ;   in Loop: Header=BB1483_1095 Depth=1
	s_or_b64 exec, exec, s[52:53]
	s_and_b64 s[16:17], exec, s[44:45]
	s_or_b64 s[28:29], s[16:17], s[28:29]
	s_andn2_b64 s[16:17], s[48:49], exec
	s_and_b64 s[48:49], s[50:51], exec
	s_or_b64 s[48:49], s[16:17], s[48:49]
	s_andn2_b64 s[16:17], s[30:31], exec
	s_and_b64 s[30:31], s[14:15], exec
	s_or_b64 s[30:31], s[16:17], s[30:31]
	s_andn2_b64 exec, exec, s[28:29]
	s_cbranch_execz .LBB1483_1097
.LBB1483_1095:                          ; =>This Inner Loop Header: Depth=1
	global_load_dword v10, v[4:5], off
	global_load_dword v11, v[6:7], off
	s_andn2_b64 s[52:53], s[14:15], exec
	s_or_b64 s[44:45], s[44:45], exec
	s_waitcnt vmcnt(0)
	v_cmp_le_u32_e64 s[14:15], v10, v11
	v_cmp_lt_u32_e32 vcc, v10, v11
	s_and_b64 s[14:15], s[14:15], s[48:49]
	s_or_b64 s[50:51], vcc, s[14:15]
	s_and_b64 s[14:15], s[50:51], exec
	v_cmp_eq_u32_e64 s[16:17], v10, v11
	s_or_b64 s[14:15], s[52:53], s[14:15]
	s_and_saveexec_b64 s[52:53], s[16:17]
	s_cbranch_execz .LBB1483_1094
; %bb.1096:                             ;   in Loop: Header=BB1483_1095 Depth=1
	s_add_u32 s46, s46, -1
	s_addc_u32 s47, s47, -1
	s_cmp_eq_u64 s[46:47], 0
	s_cselect_b64 s[16:17], -1, 0
	s_andn2_b64 s[44:45], s[44:45], exec
	s_and_b64 s[16:17], s[16:17], exec
	v_lshl_add_u64 v[4:5], v[4:5], 0, 4
	v_lshl_add_u64 v[6:7], v[6:7], 0, 4
	s_andn2_b64 s[14:15], s[14:15], exec
	s_or_b64 s[44:45], s[44:45], s[16:17]
                                        ; implicit-def: $sgpr48_sgpr49
	s_branch .LBB1483_1094
.LBB1483_1097:
	s_or_b64 exec, exec, s[28:29]
	s_xor_b64 s[14:15], s[30:31], -1
	s_branch .LBB1483_1099
.LBB1483_1098:
	s_mov_b64 s[14:15], -1
.LBB1483_1099:
	s_and_b64 s[14:15], s[14:15], exec
.LBB1483_1100:
	s_or_b64 exec, exec, s[22:23]
	s_orn2_b64 s[22:23], s[14:15], exec
.LBB1483_1101:
	s_or_b64 exec, exec, s[26:27]
	v_cndmask_b32_e64 v4, v8, v9, s[22:23]
	v_cndmask_b32_e64 v5, v25, v24, s[22:23]
	v_add_u32_e32 v6, 1, v4
	v_add_u32_e32 v4, -1, v5
	v_min_u32_e32 v4, v6, v4
	v_lshl_add_u32 v4, v4, 3, v33
	ds_read_b64 v[4:5], v4
	v_cndmask_b32_e64 v8, v6, v8, s[22:23]
	v_cndmask_b32_e64 v9, v9, v6, s[22:23]
	v_cmp_lt_u32_e32 vcc, v8, v25
	s_waitcnt lgkmcnt(0)
	v_cndmask_b32_e64 v10, v5, v14, s[22:23]
	v_cndmask_b32_e64 v17, v4, v15, s[22:23]
	;; [unrolled: 1-line block ×4, first 2 shown]
	s_and_saveexec_b64 s[26:27], vcc
	s_cbranch_execz .LBB1483_1112
; %bb.1102:
	v_cmp_lt_u32_e32 vcc, v9, v24
	s_mov_b64 s[14:15], 0
	s_and_saveexec_b64 s[24:25], vcc
	s_cbranch_execz .LBB1483_1111
; %bb.1103:
	s_andn2_b64 vcc, exec, s[42:43]
	s_cbranch_vccnz .LBB1483_1109
; %bb.1104:
	v_mul_lo_u32 v6, v10, s36
	v_mul_lo_u32 v7, v17, s37
	v_mad_u64_u32 v[4:5], s[14:15], v17, s36, 0
	v_add3_u32 v5, v5, v7, v6
	v_mul_lo_u32 v12, v11, s36
	v_mul_lo_u32 v13, v23, s37
	v_mad_u64_u32 v[6:7], s[14:15], v23, s36, 0
	v_add3_u32 v7, v7, v13, v12
	v_lshl_add_u64 v[4:5], v[4:5], 2, s[38:39]
	v_lshl_add_u64 v[6:7], v[6:7], 2, s[38:39]
	s_mov_b64 s[28:29], 0
	s_mov_b64 s[46:47], s[36:37]
                                        ; implicit-def: $sgpr30_sgpr31
                                        ; implicit-def: $sgpr44_sgpr45
                                        ; implicit-def: $sgpr14_sgpr15
                                        ; implicit-def: $sgpr48_sgpr49
	s_branch .LBB1483_1106
.LBB1483_1105:                          ;   in Loop: Header=BB1483_1106 Depth=1
	s_or_b64 exec, exec, s[52:53]
	s_and_b64 s[16:17], exec, s[44:45]
	s_or_b64 s[28:29], s[16:17], s[28:29]
	s_andn2_b64 s[16:17], s[48:49], exec
	s_and_b64 s[48:49], s[50:51], exec
	s_or_b64 s[48:49], s[16:17], s[48:49]
	s_andn2_b64 s[16:17], s[30:31], exec
	s_and_b64 s[30:31], s[14:15], exec
	s_or_b64 s[30:31], s[16:17], s[30:31]
	s_andn2_b64 exec, exec, s[28:29]
	s_cbranch_execz .LBB1483_1108
.LBB1483_1106:                          ; =>This Inner Loop Header: Depth=1
	global_load_dword v12, v[4:5], off
	global_load_dword v13, v[6:7], off
	s_andn2_b64 s[52:53], s[14:15], exec
	s_or_b64 s[44:45], s[44:45], exec
	s_waitcnt vmcnt(0)
	v_cmp_le_u32_e64 s[14:15], v12, v13
	v_cmp_lt_u32_e32 vcc, v12, v13
	s_and_b64 s[14:15], s[14:15], s[48:49]
	s_or_b64 s[50:51], vcc, s[14:15]
	s_and_b64 s[14:15], s[50:51], exec
	v_cmp_eq_u32_e64 s[16:17], v12, v13
	s_or_b64 s[14:15], s[52:53], s[14:15]
	s_and_saveexec_b64 s[52:53], s[16:17]
	s_cbranch_execz .LBB1483_1105
; %bb.1107:                             ;   in Loop: Header=BB1483_1106 Depth=1
	s_add_u32 s46, s46, -1
	s_addc_u32 s47, s47, -1
	s_cmp_eq_u64 s[46:47], 0
	s_cselect_b64 s[16:17], -1, 0
	s_andn2_b64 s[44:45], s[44:45], exec
	s_and_b64 s[16:17], s[16:17], exec
	v_lshl_add_u64 v[4:5], v[4:5], 0, 4
	v_lshl_add_u64 v[6:7], v[6:7], 0, 4
	s_andn2_b64 s[14:15], s[14:15], exec
	s_or_b64 s[44:45], s[44:45], s[16:17]
                                        ; implicit-def: $sgpr48_sgpr49
	s_branch .LBB1483_1105
.LBB1483_1108:
	s_or_b64 exec, exec, s[28:29]
	s_xor_b64 s[14:15], s[30:31], -1
	s_branch .LBB1483_1110
.LBB1483_1109:
	s_mov_b64 s[14:15], -1
.LBB1483_1110:
	s_and_b64 s[14:15], s[14:15], exec
.LBB1483_1111:
	s_or_b64 exec, exec, s[24:25]
	s_orn2_b64 s[24:25], s[14:15], exec
.LBB1483_1112:
	s_or_b64 exec, exec, s[26:27]
	v_cndmask_b32_e64 v4, v8, v9, s[24:25]
	v_cndmask_b32_e64 v5, v25, v24, s[24:25]
	v_add_u32_e32 v6, 1, v4
	v_add_u32_e32 v4, -1, v5
	v_min_u32_e32 v4, v6, v4
	v_lshl_add_u32 v4, v4, 3, v33
	ds_read_b64 v[4:5], v4
	v_cndmask_b32_e64 v8, v6, v8, s[24:25]
	v_cndmask_b32_e64 v9, v9, v6, s[24:25]
	v_cmp_lt_u32_e32 vcc, v8, v25
	s_mov_b64 s[28:29], -1
	s_waitcnt lgkmcnt(0)
	v_cndmask_b32_e64 v12, v5, v10, s[24:25]
	v_cndmask_b32_e64 v37, v4, v17, s[24:25]
	;; [unrolled: 1-line block ×4, first 2 shown]
	s_mov_b64 s[26:27], -1
	s_and_saveexec_b64 s[30:31], vcc
	s_cbranch_execz .LBB1483_1123
; %bb.1113:
	v_cmp_lt_u32_e32 vcc, v9, v24
	s_mov_b64 s[14:15], 0
	s_and_saveexec_b64 s[26:27], vcc
	s_cbranch_execz .LBB1483_1122
; %bb.1114:
	s_andn2_b64 vcc, exec, s[42:43]
	s_cbranch_vccnz .LBB1483_1120
; %bb.1115:
	v_mul_lo_u32 v6, v12, s36
	v_mul_lo_u32 v7, v37, s37
	v_mad_u64_u32 v[4:5], s[14:15], v37, s36, 0
	v_add3_u32 v5, v5, v7, v6
	v_mul_lo_u32 v39, v13, s36
	v_mul_lo_u32 v40, v38, s37
	v_mad_u64_u32 v[6:7], s[14:15], v38, s36, 0
	v_add3_u32 v7, v7, v40, v39
	v_lshl_add_u64 v[4:5], v[4:5], 2, s[38:39]
	v_lshl_add_u64 v[6:7], v[6:7], 2, s[38:39]
	s_mov_b64 s[44:45], 0
	s_mov_b64 s[50:51], s[36:37]
                                        ; implicit-def: $sgpr46_sgpr47
                                        ; implicit-def: $sgpr48_sgpr49
                                        ; implicit-def: $sgpr14_sgpr15
                                        ; implicit-def: $sgpr52_sgpr53
	s_branch .LBB1483_1117
.LBB1483_1116:                          ;   in Loop: Header=BB1483_1117 Depth=1
	s_or_b64 exec, exec, s[56:57]
	s_and_b64 s[16:17], exec, s[48:49]
	s_or_b64 s[44:45], s[16:17], s[44:45]
	s_andn2_b64 s[16:17], s[52:53], exec
	s_and_b64 s[52:53], s[54:55], exec
	s_or_b64 s[52:53], s[16:17], s[52:53]
	s_andn2_b64 s[16:17], s[46:47], exec
	s_and_b64 s[46:47], s[14:15], exec
	s_or_b64 s[46:47], s[16:17], s[46:47]
	s_andn2_b64 exec, exec, s[44:45]
	s_cbranch_execz .LBB1483_1119
.LBB1483_1117:                          ; =>This Inner Loop Header: Depth=1
	global_load_dword v39, v[4:5], off
	global_load_dword v40, v[6:7], off
	s_andn2_b64 s[56:57], s[14:15], exec
	s_or_b64 s[48:49], s[48:49], exec
	s_waitcnt vmcnt(0)
	v_cmp_le_u32_e64 s[14:15], v39, v40
	v_cmp_lt_u32_e32 vcc, v39, v40
	s_and_b64 s[14:15], s[14:15], s[52:53]
	s_or_b64 s[54:55], vcc, s[14:15]
	s_and_b64 s[14:15], s[54:55], exec
	v_cmp_eq_u32_e64 s[16:17], v39, v40
	s_or_b64 s[14:15], s[56:57], s[14:15]
	s_and_saveexec_b64 s[56:57], s[16:17]
	s_cbranch_execz .LBB1483_1116
; %bb.1118:                             ;   in Loop: Header=BB1483_1117 Depth=1
	s_add_u32 s50, s50, -1
	s_addc_u32 s51, s51, -1
	s_cmp_eq_u64 s[50:51], 0
	s_cselect_b64 s[16:17], -1, 0
	s_andn2_b64 s[48:49], s[48:49], exec
	s_and_b64 s[16:17], s[16:17], exec
	v_lshl_add_u64 v[4:5], v[4:5], 0, 4
	v_lshl_add_u64 v[6:7], v[6:7], 0, 4
	s_andn2_b64 s[14:15], s[14:15], exec
	s_or_b64 s[48:49], s[48:49], s[16:17]
                                        ; implicit-def: $sgpr52_sgpr53
	s_branch .LBB1483_1116
.LBB1483_1119:
	s_or_b64 exec, exec, s[44:45]
	s_xor_b64 s[14:15], s[46:47], -1
	s_branch .LBB1483_1121
.LBB1483_1120:
	s_mov_b64 s[14:15], -1
.LBB1483_1121:
	s_and_b64 s[14:15], s[14:15], exec
.LBB1483_1122:
	s_or_b64 exec, exec, s[26:27]
	s_orn2_b64 s[26:27], s[14:15], exec
.LBB1483_1123:
	s_or_b64 exec, exec, s[30:31]
	v_cndmask_b32_e64 v4, v8, v9, s[26:27]
	v_cndmask_b32_e64 v5, v25, v24, s[26:27]
	v_add_u32_e32 v6, 1, v4
	v_add_u32_e32 v4, -1, v5
	v_min_u32_e32 v4, v6, v4
	v_lshl_add_u32 v4, v4, 3, v33
	ds_read_b64 v[4:5], v4
	v_cndmask_b32_e64 v45, v6, v8, s[26:27]
	v_cndmask_b32_e64 v46, v9, v6, s[26:27]
	v_cmp_lt_u32_e32 vcc, v45, v25
	s_waitcnt lgkmcnt(0)
	v_cndmask_b32_e64 v39, v5, v12, s[26:27]
	v_cndmask_b32_e64 v40, v4, v37, s[26:27]
	;; [unrolled: 1-line block ×4, first 2 shown]
	s_and_saveexec_b64 s[30:31], vcc
	s_cbranch_execz .LBB1483_1134
; %bb.1124:
	v_cmp_lt_u32_e32 vcc, v46, v24
	s_mov_b64 s[14:15], 0
	s_and_saveexec_b64 s[28:29], vcc
	s_cbranch_execz .LBB1483_1133
; %bb.1125:
	s_andn2_b64 vcc, exec, s[42:43]
	s_cbranch_vccnz .LBB1483_1131
; %bb.1126:
	v_mul_lo_u32 v6, v39, s36
	v_mul_lo_u32 v7, v40, s37
	v_mad_u64_u32 v[4:5], s[14:15], v40, s36, 0
	v_add3_u32 v5, v5, v7, v6
	v_mul_lo_u32 v8, v41, s36
	v_mul_lo_u32 v9, v42, s37
	v_mad_u64_u32 v[6:7], s[14:15], v42, s36, 0
	v_add3_u32 v7, v7, v9, v8
	v_lshl_add_u64 v[4:5], v[4:5], 2, s[38:39]
	v_lshl_add_u64 v[6:7], v[6:7], 2, s[38:39]
	s_mov_b64 s[44:45], 0
	s_mov_b64 s[50:51], s[36:37]
                                        ; implicit-def: $sgpr46_sgpr47
                                        ; implicit-def: $sgpr48_sgpr49
                                        ; implicit-def: $sgpr14_sgpr15
                                        ; implicit-def: $sgpr52_sgpr53
	s_branch .LBB1483_1128
.LBB1483_1127:                          ;   in Loop: Header=BB1483_1128 Depth=1
	s_or_b64 exec, exec, s[56:57]
	s_and_b64 s[16:17], exec, s[48:49]
	s_or_b64 s[44:45], s[16:17], s[44:45]
	s_andn2_b64 s[16:17], s[52:53], exec
	s_and_b64 s[52:53], s[54:55], exec
	s_or_b64 s[52:53], s[16:17], s[52:53]
	s_andn2_b64 s[16:17], s[46:47], exec
	s_and_b64 s[46:47], s[14:15], exec
	s_or_b64 s[46:47], s[16:17], s[46:47]
	s_andn2_b64 exec, exec, s[44:45]
	s_cbranch_execz .LBB1483_1130
.LBB1483_1128:                          ; =>This Inner Loop Header: Depth=1
	global_load_dword v8, v[4:5], off
	global_load_dword v9, v[6:7], off
	s_andn2_b64 s[56:57], s[14:15], exec
	s_or_b64 s[48:49], s[48:49], exec
	s_waitcnt vmcnt(0)
	v_cmp_le_u32_e64 s[14:15], v8, v9
	v_cmp_lt_u32_e32 vcc, v8, v9
	s_and_b64 s[14:15], s[14:15], s[52:53]
	s_or_b64 s[54:55], vcc, s[14:15]
	s_and_b64 s[14:15], s[54:55], exec
	v_cmp_eq_u32_e64 s[16:17], v8, v9
	s_or_b64 s[14:15], s[56:57], s[14:15]
	s_and_saveexec_b64 s[56:57], s[16:17]
	s_cbranch_execz .LBB1483_1127
; %bb.1129:                             ;   in Loop: Header=BB1483_1128 Depth=1
	s_add_u32 s50, s50, -1
	s_addc_u32 s51, s51, -1
	s_cmp_eq_u64 s[50:51], 0
	s_cselect_b64 s[16:17], -1, 0
	s_andn2_b64 s[48:49], s[48:49], exec
	s_and_b64 s[16:17], s[16:17], exec
	v_lshl_add_u64 v[4:5], v[4:5], 0, 4
	v_lshl_add_u64 v[6:7], v[6:7], 0, 4
	s_andn2_b64 s[14:15], s[14:15], exec
	s_or_b64 s[48:49], s[48:49], s[16:17]
                                        ; implicit-def: $sgpr52_sgpr53
	s_branch .LBB1483_1127
.LBB1483_1130:
	s_or_b64 exec, exec, s[44:45]
	s_xor_b64 s[14:15], s[46:47], -1
	s_branch .LBB1483_1132
.LBB1483_1131:
	s_mov_b64 s[14:15], -1
.LBB1483_1132:
	s_and_b64 s[14:15], s[14:15], exec
.LBB1483_1133:
	s_or_b64 exec, exec, s[28:29]
	s_orn2_b64 s[28:29], s[14:15], exec
.LBB1483_1134:
	s_or_b64 exec, exec, s[30:31]
	v_cndmask_b32_e64 v4, v45, v46, s[28:29]
	v_cndmask_b32_e64 v5, v25, v24, s[28:29]
	v_add_u32_e32 v6, 1, v4
	v_add_u32_e32 v4, -1, v5
	v_min_u32_e32 v4, v6, v4
	v_lshl_add_u32 v4, v4, 3, v33
	ds_read_b64 v[4:5], v4
	v_cndmask_b32_e64 v47, v6, v45, s[28:29]
	v_cndmask_b32_e64 v51, v46, v6, s[28:29]
	v_cmp_lt_u32_e32 vcc, v47, v25
	s_mov_b64 s[30:31], -1
	s_waitcnt lgkmcnt(0)
	v_cndmask_b32_e64 v8, v5, v39, s[28:29]
	v_cndmask_b32_e64 v43, v4, v40, s[28:29]
	;; [unrolled: 1-line block ×4, first 2 shown]
	s_mov_b64 s[44:45], -1
	s_and_saveexec_b64 s[46:47], vcc
	s_cbranch_execz .LBB1483_1145
; %bb.1135:
	v_cmp_lt_u32_e32 vcc, v51, v24
	s_mov_b64 s[14:15], 0
	s_and_saveexec_b64 s[44:45], vcc
	s_cbranch_execz .LBB1483_1144
; %bb.1136:
	s_andn2_b64 vcc, exec, s[42:43]
	s_cbranch_vccnz .LBB1483_1142
; %bb.1137:
	v_mul_lo_u32 v6, v8, s36
	v_mul_lo_u32 v7, v43, s37
	v_mad_u64_u32 v[4:5], s[14:15], v43, s36, 0
	v_add3_u32 v5, v5, v7, v6
	v_mul_lo_u32 v45, v9, s36
	v_mul_lo_u32 v46, v44, s37
	v_mad_u64_u32 v[6:7], s[14:15], v44, s36, 0
	v_add3_u32 v7, v7, v46, v45
	v_lshl_add_u64 v[4:5], v[4:5], 2, s[38:39]
	v_lshl_add_u64 v[6:7], v[6:7], 2, s[38:39]
	s_mov_b64 s[48:49], 0
	s_mov_b64 s[54:55], s[36:37]
                                        ; implicit-def: $sgpr50_sgpr51
                                        ; implicit-def: $sgpr52_sgpr53
                                        ; implicit-def: $sgpr14_sgpr15
                                        ; implicit-def: $sgpr56_sgpr57
	s_branch .LBB1483_1139
.LBB1483_1138:                          ;   in Loop: Header=BB1483_1139 Depth=1
	s_or_b64 exec, exec, s[60:61]
	s_and_b64 s[16:17], exec, s[52:53]
	s_or_b64 s[48:49], s[16:17], s[48:49]
	s_andn2_b64 s[16:17], s[56:57], exec
	s_and_b64 s[56:57], s[58:59], exec
	s_or_b64 s[56:57], s[16:17], s[56:57]
	s_andn2_b64 s[16:17], s[50:51], exec
	s_and_b64 s[50:51], s[14:15], exec
	s_or_b64 s[50:51], s[16:17], s[50:51]
	s_andn2_b64 exec, exec, s[48:49]
	s_cbranch_execz .LBB1483_1141
.LBB1483_1139:                          ; =>This Inner Loop Header: Depth=1
	global_load_dword v45, v[4:5], off
	global_load_dword v46, v[6:7], off
	s_andn2_b64 s[60:61], s[14:15], exec
	s_or_b64 s[52:53], s[52:53], exec
	s_waitcnt vmcnt(0)
	v_cmp_le_u32_e64 s[14:15], v45, v46
	v_cmp_lt_u32_e32 vcc, v45, v46
	s_and_b64 s[14:15], s[14:15], s[56:57]
	s_or_b64 s[58:59], vcc, s[14:15]
	s_and_b64 s[14:15], s[58:59], exec
	v_cmp_eq_u32_e64 s[16:17], v45, v46
	s_or_b64 s[14:15], s[60:61], s[14:15]
	s_and_saveexec_b64 s[60:61], s[16:17]
	s_cbranch_execz .LBB1483_1138
; %bb.1140:                             ;   in Loop: Header=BB1483_1139 Depth=1
	s_add_u32 s54, s54, -1
	s_addc_u32 s55, s55, -1
	s_cmp_eq_u64 s[54:55], 0
	s_cselect_b64 s[16:17], -1, 0
	s_andn2_b64 s[52:53], s[52:53], exec
	s_and_b64 s[16:17], s[16:17], exec
	v_lshl_add_u64 v[4:5], v[4:5], 0, 4
	v_lshl_add_u64 v[6:7], v[6:7], 0, 4
	s_andn2_b64 s[14:15], s[14:15], exec
	s_or_b64 s[52:53], s[52:53], s[16:17]
                                        ; implicit-def: $sgpr56_sgpr57
	s_branch .LBB1483_1138
.LBB1483_1141:
	s_or_b64 exec, exec, s[48:49]
	s_xor_b64 s[14:15], s[50:51], -1
	s_branch .LBB1483_1143
.LBB1483_1142:
	s_mov_b64 s[14:15], -1
.LBB1483_1143:
	s_and_b64 s[14:15], s[14:15], exec
.LBB1483_1144:
	s_or_b64 exec, exec, s[44:45]
	s_orn2_b64 s[44:45], s[14:15], exec
.LBB1483_1145:
	s_or_b64 exec, exec, s[46:47]
	v_cndmask_b32_e64 v4, v47, v51, s[44:45]
	v_cndmask_b32_e64 v5, v25, v24, s[44:45]
	v_add_u32_e32 v6, 1, v4
	v_add_u32_e32 v4, -1, v5
	v_min_u32_e32 v4, v6, v4
	v_lshl_add_u32 v4, v4, 3, v33
	ds_read_b64 v[4:5], v4
	v_cndmask_b32_e64 v48, v6, v47, s[44:45]
	v_cndmask_b32_e64 v47, v51, v6, s[44:45]
	v_cmp_lt_u32_e32 vcc, v48, v25
	s_waitcnt lgkmcnt(0)
	v_cndmask_b32_e64 v45, v5, v8, s[44:45]
	v_cndmask_b32_e64 v46, v4, v43, s[44:45]
	;; [unrolled: 1-line block ×4, first 2 shown]
	s_and_saveexec_b64 s[46:47], vcc
	s_cbranch_execz .LBB1483_1156
; %bb.1146:
	v_cmp_lt_u32_e32 vcc, v47, v24
	s_mov_b64 s[14:15], 0
	s_and_saveexec_b64 s[30:31], vcc
	s_cbranch_execz .LBB1483_1155
; %bb.1147:
	s_andn2_b64 vcc, exec, s[42:43]
	s_cbranch_vccnz .LBB1483_1153
; %bb.1148:
	v_mul_lo_u32 v6, v45, s36
	v_mul_lo_u32 v7, v46, s37
	v_mad_u64_u32 v[4:5], s[14:15], v46, s36, 0
	v_add3_u32 v5, v5, v7, v6
	v_mul_lo_u32 v51, v49, s36
	v_mul_lo_u32 v52, v50, s37
	v_mad_u64_u32 v[6:7], s[14:15], v50, s36, 0
	v_add3_u32 v7, v7, v52, v51
	v_lshl_add_u64 v[4:5], v[4:5], 2, s[38:39]
	v_lshl_add_u64 v[6:7], v[6:7], 2, s[38:39]
	s_mov_b64 s[48:49], 0
	s_mov_b64 s[54:55], s[36:37]
                                        ; implicit-def: $sgpr50_sgpr51
                                        ; implicit-def: $sgpr52_sgpr53
                                        ; implicit-def: $sgpr14_sgpr15
                                        ; implicit-def: $sgpr56_sgpr57
	s_branch .LBB1483_1150
.LBB1483_1149:                          ;   in Loop: Header=BB1483_1150 Depth=1
	s_or_b64 exec, exec, s[60:61]
	s_and_b64 s[16:17], exec, s[52:53]
	s_or_b64 s[48:49], s[16:17], s[48:49]
	s_andn2_b64 s[16:17], s[56:57], exec
	s_and_b64 s[56:57], s[58:59], exec
	s_or_b64 s[56:57], s[16:17], s[56:57]
	s_andn2_b64 s[16:17], s[50:51], exec
	s_and_b64 s[50:51], s[14:15], exec
	s_or_b64 s[50:51], s[16:17], s[50:51]
	s_andn2_b64 exec, exec, s[48:49]
	s_cbranch_execz .LBB1483_1152
.LBB1483_1150:                          ; =>This Inner Loop Header: Depth=1
	global_load_dword v51, v[4:5], off
	global_load_dword v52, v[6:7], off
	s_andn2_b64 s[60:61], s[14:15], exec
	s_or_b64 s[52:53], s[52:53], exec
	s_waitcnt vmcnt(0)
	v_cmp_le_u32_e64 s[14:15], v51, v52
	v_cmp_lt_u32_e32 vcc, v51, v52
	s_and_b64 s[14:15], s[14:15], s[56:57]
	s_or_b64 s[58:59], vcc, s[14:15]
	s_and_b64 s[14:15], s[58:59], exec
	v_cmp_eq_u32_e64 s[16:17], v51, v52
	s_or_b64 s[14:15], s[60:61], s[14:15]
	s_and_saveexec_b64 s[60:61], s[16:17]
	s_cbranch_execz .LBB1483_1149
; %bb.1151:                             ;   in Loop: Header=BB1483_1150 Depth=1
	s_add_u32 s54, s54, -1
	s_addc_u32 s55, s55, -1
	s_cmp_eq_u64 s[54:55], 0
	s_cselect_b64 s[16:17], -1, 0
	s_andn2_b64 s[52:53], s[52:53], exec
	s_and_b64 s[16:17], s[16:17], exec
	v_lshl_add_u64 v[4:5], v[4:5], 0, 4
	v_lshl_add_u64 v[6:7], v[6:7], 0, 4
	s_andn2_b64 s[14:15], s[14:15], exec
	s_or_b64 s[52:53], s[52:53], s[16:17]
                                        ; implicit-def: $sgpr56_sgpr57
	s_branch .LBB1483_1149
.LBB1483_1152:
	s_or_b64 exec, exec, s[48:49]
	s_xor_b64 s[14:15], s[50:51], -1
	s_branch .LBB1483_1154
.LBB1483_1153:
	s_mov_b64 s[14:15], -1
.LBB1483_1154:
	s_and_b64 s[14:15], s[14:15], exec
.LBB1483_1155:
	s_or_b64 exec, exec, s[30:31]
	s_orn2_b64 s[30:31], s[14:15], exec
.LBB1483_1156:
	s_or_b64 exec, exec, s[46:47]
	v_cndmask_b32_e64 v4, v48, v47, s[30:31]
	v_cndmask_b32_e64 v5, v25, v24, s[30:31]
	v_cndmask_b32_e64 v13, v12, v13, s[26:27]
	v_cndmask_b32_e64 v12, v37, v38, s[26:27]
	v_add_u32_e32 v37, 1, v4
	v_add_u32_e32 v4, -1, v5
	v_min_u32_e32 v4, v37, v4
	v_lshl_add_u32 v4, v4, 3, v33
	v_cndmask_b32_e64 v11, v10, v11, s[24:25]
	v_cndmask_b32_e64 v10, v17, v23, s[24:25]
	;; [unrolled: 1-line block ×4, first 2 shown]
	ds_read_b64 v[22:23], v4
	v_cndmask_b32_e64 v14, v2, v0, s[20:21]
	v_cndmask_b32_e64 v0, v37, v48, s[30:31]
	;; [unrolled: 1-line block ×9, first 2 shown]
	s_waitcnt lgkmcnt(0)
	v_cndmask_b32_e64 v5, v49, v23, s[30:31]
	v_cndmask_b32_e64 v4, v50, v22, s[30:31]
	v_cmp_lt_u32_e32 vcc, v0, v25
	s_and_saveexec_b64 s[20:21], vcc
	s_cbranch_execz .LBB1483_1166
; %bb.1157:
	v_cndmask_b32_e64 v0, v22, v46, s[30:31]
	v_cndmask_b32_e64 v22, v47, v37, s[30:31]
	;; [unrolled: 1-line block ×3, first 2 shown]
	v_cmp_lt_u32_e32 vcc, v22, v24
	s_and_saveexec_b64 s[22:23], vcc
	s_cbranch_execz .LBB1483_1165
; %bb.1158:
	s_andn2_b64 vcc, exec, s[42:43]
	s_cbranch_vccnz .LBB1483_1164
; %bb.1159:
	v_mul_lo_u32 v24, v1, s36
	v_mul_lo_u32 v25, v0, s37
	v_mad_u64_u32 v[22:23], s[14:15], v0, s36, 0
	v_add3_u32 v23, v23, v25, v24
	v_mul_lo_u32 v37, v5, s36
	v_mul_lo_u32 v38, v4, s37
	v_mad_u64_u32 v[24:25], s[14:15], v4, s36, 0
	v_add3_u32 v25, v25, v38, v37
	v_lshl_add_u64 v[22:23], v[22:23], 2, s[38:39]
	v_lshl_add_u64 v[24:25], v[24:25], 2, s[38:39]
	s_mov_b64 s[24:25], 0
	s_mov_b64 s[30:31], s[36:37]
                                        ; implicit-def: $sgpr26_sgpr27
                                        ; implicit-def: $sgpr28_sgpr29
                                        ; implicit-def: $sgpr14_sgpr15
                                        ; implicit-def: $sgpr44_sgpr45
	s_branch .LBB1483_1161
.LBB1483_1160:                          ;   in Loop: Header=BB1483_1161 Depth=1
	s_or_b64 exec, exec, s[48:49]
	s_and_b64 s[16:17], exec, s[28:29]
	s_or_b64 s[24:25], s[16:17], s[24:25]
	s_andn2_b64 s[16:17], s[44:45], exec
	s_and_b64 s[44:45], s[46:47], exec
	s_or_b64 s[44:45], s[16:17], s[44:45]
	s_andn2_b64 s[16:17], s[26:27], exec
	s_and_b64 s[26:27], s[14:15], exec
	s_or_b64 s[26:27], s[16:17], s[26:27]
	s_andn2_b64 exec, exec, s[24:25]
	s_cbranch_execz .LBB1483_1163
.LBB1483_1161:                          ; =>This Inner Loop Header: Depth=1
	global_load_dword v37, v[22:23], off
	global_load_dword v38, v[24:25], off
	s_andn2_b64 s[48:49], s[14:15], exec
	s_or_b64 s[28:29], s[28:29], exec
	s_waitcnt vmcnt(0)
	v_cmp_le_u32_e64 s[14:15], v37, v38
	v_cmp_lt_u32_e32 vcc, v37, v38
	s_and_b64 s[14:15], s[14:15], s[44:45]
	s_or_b64 s[46:47], vcc, s[14:15]
	s_and_b64 s[14:15], s[46:47], exec
	v_cmp_eq_u32_e64 s[16:17], v37, v38
	s_or_b64 s[14:15], s[48:49], s[14:15]
	s_and_saveexec_b64 s[48:49], s[16:17]
	s_cbranch_execz .LBB1483_1160
; %bb.1162:                             ;   in Loop: Header=BB1483_1161 Depth=1
	s_add_u32 s30, s30, -1
	s_addc_u32 s31, s31, -1
	s_cmp_eq_u64 s[30:31], 0
	s_cselect_b64 s[16:17], -1, 0
	s_andn2_b64 s[28:29], s[28:29], exec
	s_and_b64 s[16:17], s[16:17], exec
	v_lshl_add_u64 v[22:23], v[22:23], 0, 4
	v_lshl_add_u64 v[24:25], v[24:25], 0, 4
	s_andn2_b64 s[14:15], s[14:15], exec
	s_or_b64 s[28:29], s[28:29], s[16:17]
                                        ; implicit-def: $sgpr44_sgpr45
	s_branch .LBB1483_1160
.LBB1483_1163:
	s_or_b64 exec, exec, s[24:25]
	v_cndmask_b32_e64 v5, v5, v1, s[26:27]
	v_cndmask_b32_e64 v4, v4, v0, s[26:27]
.LBB1483_1164:
	v_mov_b64_e32 v[0:1], v[4:5]
.LBB1483_1165:
	s_or_b64 exec, exec, s[22:23]
	v_mov_b64_e32 v[4:5], v[0:1]
.LBB1483_1166:
	s_or_b64 exec, exec, s[20:21]
.LBB1483_1167:
	s_or_b64 exec, exec, s[18:19]
	v_and_b32_e32 v39, 0x3c0, v35
	v_or_b32_e32 v0, 32, v39
	v_min_u32_e32 v24, v34, v0
	v_add_u32_e32 v0, 32, v24
	v_min_u32_e32 v25, v34, v0
	v_and_b32_e32 v0, 56, v35
	v_min_u32_e32 v40, v34, v0
	v_sub_u32_e32 v0, v24, v39
	v_sub_u32_e32 v1, v25, v24
	v_sub_u32_e64 v38, v40, v1 clamp
	v_min_u32_e32 v41, v40, v0
	v_lshl_add_u32 v37, v39, 3, v33
	v_cmp_lt_u32_e32 vcc, v38, v41
	; wave barrier
	ds_write_b128 v36, v[14:17]
	ds_write_b128 v36, v[10:13] offset:16
	ds_write_b128 v36, v[6:9] offset:32
	;; [unrolled: 1-line block ×3, first 2 shown]
	; wave barrier
	s_and_saveexec_b64 s[20:21], vcc
	s_cbranch_execz .LBB1483_1177
; %bb.1168:
	v_lshlrev_b32_e32 v0, 3, v24
	v_lshlrev_b32_e32 v1, 3, v40
	v_add3_u32 v42, v33, v0, v1
	v_cndmask_b32_e64 v0, 0, 1, s[42:43]
	s_lshl_b64 s[24:25], s[36:37], 2
	s_mov_b64 s[22:23], 0
	v_cmp_ne_u32_e64 s[14:15], 1, v0
	s_branch .LBB1483_1171
.LBB1483_1169:                          ;   in Loop: Header=BB1483_1171 Depth=1
	s_or_b64 exec, exec, s[28:29]
.LBB1483_1170:                          ;   in Loop: Header=BB1483_1171 Depth=1
	v_add_u32_e32 v0, 1, v43
	v_cndmask_b32_e64 v41, v41, v43, s[26:27]
	v_cndmask_b32_e64 v38, v0, v38, s[26:27]
	v_cmp_ge_u32_e32 vcc, v38, v41
	s_or_b64 s[22:23], vcc, s[22:23]
	s_andn2_b64 exec, exec, s[22:23]
	s_cbranch_execz .LBB1483_1176
.LBB1483_1171:                          ; =>This Loop Header: Depth=1
                                        ;     Child Loop BB1483_1174 Depth 2
	v_add_u32_e32 v0, v41, v38
	v_lshrrev_b32_e32 v43, 1, v0
	s_and_b64 vcc, exec, s[14:15]
	s_mov_b64 s[26:27], 0
	s_cbranch_vccnz .LBB1483_1170
; %bb.1172:                             ;   in Loop: Header=BB1483_1171 Depth=1
	v_not_b32_e32 v0, v43
	v_lshl_add_u32 v0, v0, 3, v42
	ds_read_b64 v[0:1], v0
	v_lshl_add_u32 v44, v43, 3, v37
	ds_read_b64 v[44:45], v44
	v_mov_b64_e32 v[22:23], s[38:39]
	s_mov_b64 s[28:29], 0
	s_waitcnt lgkmcnt(1)
	v_mul_lo_u32 v46, s24, v1
	v_mul_lo_u32 v47, s25, v0
	v_mad_u64_u32 v[0:1], s[16:17], s24, v0, v[22:23]
	v_add3_u32 v1, v47, v1, v46
	s_waitcnt lgkmcnt(0)
	v_mul_lo_u32 v45, s24, v45
	v_mul_lo_u32 v46, s25, v44
	v_mad_u64_u32 v[22:23], s[16:17], s24, v44, v[22:23]
	v_add3_u32 v23, v46, v23, v45
	s_mov_b64 s[44:45], s[36:37]
                                        ; implicit-def: $sgpr26_sgpr27
                                        ; implicit-def: $sgpr30_sgpr31
                                        ; implicit-def: $sgpr16_sgpr17
                                        ; implicit-def: $sgpr46_sgpr47
	s_branch .LBB1483_1174
.LBB1483_1173:                          ;   in Loop: Header=BB1483_1174 Depth=2
	s_or_b64 exec, exec, s[50:51]
	s_and_b64 s[18:19], exec, s[30:31]
	s_or_b64 s[28:29], s[18:19], s[28:29]
	s_andn2_b64 s[18:19], s[46:47], exec
	s_and_b64 s[46:47], s[48:49], exec
	s_or_b64 s[46:47], s[18:19], s[46:47]
	s_andn2_b64 s[18:19], s[26:27], exec
	s_and_b64 s[26:27], s[16:17], exec
	s_or_b64 s[26:27], s[18:19], s[26:27]
	s_andn2_b64 exec, exec, s[28:29]
	s_cbranch_execz .LBB1483_1169
.LBB1483_1174:                          ;   Parent Loop BB1483_1171 Depth=1
                                        ; =>  This Inner Loop Header: Depth=2
	global_load_dword v44, v[0:1], off
	global_load_dword v45, v[22:23], off
	s_andn2_b64 s[50:51], s[16:17], exec
	s_or_b64 s[30:31], s[30:31], exec
	s_waitcnt vmcnt(0)
	v_cmp_le_u32_e64 s[16:17], v44, v45
	v_cmp_lt_u32_e32 vcc, v44, v45
	s_and_b64 s[16:17], s[16:17], s[46:47]
	s_or_b64 s[48:49], vcc, s[16:17]
	s_and_b64 s[16:17], s[48:49], exec
	v_cmp_eq_u32_e64 s[18:19], v44, v45
	s_or_b64 s[16:17], s[50:51], s[16:17]
	s_and_saveexec_b64 s[50:51], s[18:19]
	s_cbranch_execz .LBB1483_1173
; %bb.1175:                             ;   in Loop: Header=BB1483_1174 Depth=2
	s_add_u32 s44, s44, -1
	s_addc_u32 s45, s45, -1
	s_cmp_eq_u64 s[44:45], 0
	s_cselect_b64 s[18:19], -1, 0
	s_andn2_b64 s[30:31], s[30:31], exec
	s_and_b64 s[18:19], s[18:19], exec
	v_lshl_add_u64 v[0:1], v[0:1], 0, 4
	v_lshl_add_u64 v[22:23], v[22:23], 0, 4
	s_andn2_b64 s[16:17], s[16:17], exec
	s_or_b64 s[30:31], s[30:31], s[18:19]
                                        ; implicit-def: $sgpr46_sgpr47
	s_branch .LBB1483_1173
.LBB1483_1176:
	s_or_b64 exec, exec, s[22:23]
.LBB1483_1177:
	s_or_b64 exec, exec, s[20:21]
	v_add_u32_e32 v0, v24, v40
	v_add_u32_e32 v23, v38, v39
	v_sub_u32_e32 v39, v0, v38
	v_cmp_le_u32_e32 vcc, v23, v24
	v_cmp_le_u32_e64 s[14:15], v39, v25
	s_or_b64 s[14:15], vcc, s[14:15]
	s_and_saveexec_b64 s[18:19], s[14:15]
	s_cbranch_execz .LBB1483_1268
; %bb.1178:
	v_cmp_ge_u32_e32 vcc, v23, v24
	v_cmp_lt_u32_e64 s[14:15], v23, v24
                                        ; implicit-def: $vgpr0_vgpr1
	s_and_saveexec_b64 s[16:17], s[14:15]
; %bb.1179:
	v_lshl_add_u32 v0, v38, 3, v37
	ds_read_b64 v[0:1], v0
; %bb.1180:
	s_or_b64 exec, exec, s[16:17]
	v_cmp_ge_u32_e64 s[20:21], v39, v25
	v_cmp_lt_u32_e64 s[14:15], v39, v25
                                        ; implicit-def: $vgpr2_vgpr3
	s_and_saveexec_b64 s[16:17], s[14:15]
; %bb.1181:
	v_lshl_add_u32 v2, v39, 3, v33
	ds_read_b64 v[2:3], v2
; %bb.1182:
	s_or_b64 exec, exec, s[16:17]
	s_nor_b64 s[14:15], vcc, s[20:21]
	s_and_saveexec_b64 s[22:23], s[14:15]
	s_cbranch_execz .LBB1483_1191
; %bb.1183:
	s_andn2_b64 vcc, exec, s[42:43]
	s_cbranch_vccnz .LBB1483_1189
; %bb.1184:
	s_waitcnt lgkmcnt(0)
	v_mul_lo_u32 v6, v3, s36
	v_mul_lo_u32 v7, v2, s37
	v_mad_u64_u32 v[4:5], s[14:15], v2, s36, 0
	v_add3_u32 v5, v5, v7, v6
	v_mul_lo_u32 v8, v1, s36
	v_mul_lo_u32 v9, v0, s37
	v_mad_u64_u32 v[6:7], s[14:15], v0, s36, 0
	v_add3_u32 v7, v7, v9, v8
	v_lshl_add_u64 v[4:5], v[4:5], 2, s[38:39]
	v_lshl_add_u64 v[6:7], v[6:7], 2, s[38:39]
	s_mov_b64 s[24:25], 0
	s_mov_b64 s[30:31], s[36:37]
                                        ; implicit-def: $sgpr26_sgpr27
                                        ; implicit-def: $sgpr28_sgpr29
                                        ; implicit-def: $sgpr14_sgpr15
                                        ; implicit-def: $sgpr44_sgpr45
	s_branch .LBB1483_1186
.LBB1483_1185:                          ;   in Loop: Header=BB1483_1186 Depth=1
	s_or_b64 exec, exec, s[48:49]
	s_and_b64 s[16:17], exec, s[28:29]
	s_or_b64 s[24:25], s[16:17], s[24:25]
	s_andn2_b64 s[16:17], s[44:45], exec
	s_and_b64 s[44:45], s[46:47], exec
	s_or_b64 s[44:45], s[16:17], s[44:45]
	s_andn2_b64 s[16:17], s[26:27], exec
	s_and_b64 s[26:27], s[14:15], exec
	s_or_b64 s[26:27], s[16:17], s[26:27]
	s_andn2_b64 exec, exec, s[24:25]
	s_cbranch_execz .LBB1483_1188
.LBB1483_1186:                          ; =>This Inner Loop Header: Depth=1
	global_load_dword v8, v[4:5], off
	global_load_dword v9, v[6:7], off
	s_andn2_b64 s[48:49], s[14:15], exec
	s_or_b64 s[28:29], s[28:29], exec
	s_waitcnt vmcnt(0)
	v_cmp_le_u32_e64 s[14:15], v8, v9
	v_cmp_lt_u32_e32 vcc, v8, v9
	s_and_b64 s[14:15], s[14:15], s[44:45]
	s_or_b64 s[46:47], vcc, s[14:15]
	s_and_b64 s[14:15], s[46:47], exec
	v_cmp_eq_u32_e64 s[16:17], v8, v9
	s_or_b64 s[14:15], s[48:49], s[14:15]
	s_and_saveexec_b64 s[48:49], s[16:17]
	s_cbranch_execz .LBB1483_1185
; %bb.1187:                             ;   in Loop: Header=BB1483_1186 Depth=1
	s_add_u32 s30, s30, -1
	s_addc_u32 s31, s31, -1
	s_cmp_eq_u64 s[30:31], 0
	s_cselect_b64 s[16:17], -1, 0
	s_andn2_b64 s[28:29], s[28:29], exec
	s_and_b64 s[16:17], s[16:17], exec
	v_lshl_add_u64 v[4:5], v[4:5], 0, 4
	v_lshl_add_u64 v[6:7], v[6:7], 0, 4
	s_andn2_b64 s[14:15], s[14:15], exec
	s_or_b64 s[28:29], s[28:29], s[16:17]
                                        ; implicit-def: $sgpr44_sgpr45
	s_branch .LBB1483_1185
.LBB1483_1188:
	s_or_b64 exec, exec, s[24:25]
	s_xor_b64 s[14:15], s[26:27], -1
	s_branch .LBB1483_1190
.LBB1483_1189:
	s_mov_b64 s[14:15], -1
.LBB1483_1190:
	s_andn2_b64 s[16:17], s[20:21], exec
	s_and_b64 s[14:15], s[14:15], exec
	s_or_b64 s[20:21], s[16:17], s[14:15]
.LBB1483_1191:
	s_or_b64 exec, exec, s[22:23]
	v_cndmask_b32_e64 v4, v39, v23, s[20:21]
	v_cndmask_b32_e64 v5, v25, v24, s[20:21]
	v_add_u32_e32 v6, 1, v4
	v_add_u32_e32 v4, -1, v5
	v_min_u32_e32 v4, v6, v4
	v_lshl_add_u32 v4, v4, 3, v33
	ds_read_b64 v[4:5], v4
	v_cndmask_b32_e64 v8, v6, v39, s[20:21]
	v_cndmask_b32_e64 v9, v23, v6, s[20:21]
	v_cmp_lt_u32_e32 vcc, v8, v25
	s_mov_b64 s[24:25], -1
	s_waitcnt lgkmcnt(0)
	v_cndmask_b32_e64 v14, v5, v3, s[20:21]
	v_cndmask_b32_e64 v15, v4, v2, s[20:21]
	;; [unrolled: 1-line block ×4, first 2 shown]
	s_mov_b64 s[22:23], -1
	s_and_saveexec_b64 s[26:27], vcc
	s_cbranch_execz .LBB1483_1202
; %bb.1192:
	v_cmp_lt_u32_e32 vcc, v9, v24
	s_mov_b64 s[14:15], 0
	s_and_saveexec_b64 s[22:23], vcc
	s_cbranch_execz .LBB1483_1201
; %bb.1193:
	s_andn2_b64 vcc, exec, s[42:43]
	s_cbranch_vccnz .LBB1483_1199
; %bb.1194:
	v_mul_lo_u32 v6, v14, s36
	v_mul_lo_u32 v7, v15, s37
	v_mad_u64_u32 v[4:5], s[14:15], v15, s36, 0
	v_add3_u32 v5, v5, v7, v6
	v_mul_lo_u32 v10, v16, s36
	v_mul_lo_u32 v11, v22, s37
	v_mad_u64_u32 v[6:7], s[14:15], v22, s36, 0
	v_add3_u32 v7, v7, v11, v10
	v_lshl_add_u64 v[4:5], v[4:5], 2, s[38:39]
	v_lshl_add_u64 v[6:7], v[6:7], 2, s[38:39]
	s_mov_b64 s[28:29], 0
	s_mov_b64 s[46:47], s[36:37]
                                        ; implicit-def: $sgpr30_sgpr31
                                        ; implicit-def: $sgpr44_sgpr45
                                        ; implicit-def: $sgpr14_sgpr15
                                        ; implicit-def: $sgpr48_sgpr49
	s_branch .LBB1483_1196
.LBB1483_1195:                          ;   in Loop: Header=BB1483_1196 Depth=1
	s_or_b64 exec, exec, s[52:53]
	s_and_b64 s[16:17], exec, s[44:45]
	s_or_b64 s[28:29], s[16:17], s[28:29]
	s_andn2_b64 s[16:17], s[48:49], exec
	s_and_b64 s[48:49], s[50:51], exec
	s_or_b64 s[48:49], s[16:17], s[48:49]
	s_andn2_b64 s[16:17], s[30:31], exec
	s_and_b64 s[30:31], s[14:15], exec
	s_or_b64 s[30:31], s[16:17], s[30:31]
	s_andn2_b64 exec, exec, s[28:29]
	s_cbranch_execz .LBB1483_1198
.LBB1483_1196:                          ; =>This Inner Loop Header: Depth=1
	global_load_dword v10, v[4:5], off
	global_load_dword v11, v[6:7], off
	s_andn2_b64 s[52:53], s[14:15], exec
	s_or_b64 s[44:45], s[44:45], exec
	s_waitcnt vmcnt(0)
	v_cmp_le_u32_e64 s[14:15], v10, v11
	v_cmp_lt_u32_e32 vcc, v10, v11
	s_and_b64 s[14:15], s[14:15], s[48:49]
	s_or_b64 s[50:51], vcc, s[14:15]
	s_and_b64 s[14:15], s[50:51], exec
	v_cmp_eq_u32_e64 s[16:17], v10, v11
	s_or_b64 s[14:15], s[52:53], s[14:15]
	s_and_saveexec_b64 s[52:53], s[16:17]
	s_cbranch_execz .LBB1483_1195
; %bb.1197:                             ;   in Loop: Header=BB1483_1196 Depth=1
	s_add_u32 s46, s46, -1
	s_addc_u32 s47, s47, -1
	s_cmp_eq_u64 s[46:47], 0
	s_cselect_b64 s[16:17], -1, 0
	s_andn2_b64 s[44:45], s[44:45], exec
	s_and_b64 s[16:17], s[16:17], exec
	v_lshl_add_u64 v[4:5], v[4:5], 0, 4
	v_lshl_add_u64 v[6:7], v[6:7], 0, 4
	s_andn2_b64 s[14:15], s[14:15], exec
	s_or_b64 s[44:45], s[44:45], s[16:17]
                                        ; implicit-def: $sgpr48_sgpr49
	s_branch .LBB1483_1195
.LBB1483_1198:
	s_or_b64 exec, exec, s[28:29]
	s_xor_b64 s[14:15], s[30:31], -1
	s_branch .LBB1483_1200
.LBB1483_1199:
	s_mov_b64 s[14:15], -1
.LBB1483_1200:
	s_and_b64 s[14:15], s[14:15], exec
.LBB1483_1201:
	s_or_b64 exec, exec, s[22:23]
	s_orn2_b64 s[22:23], s[14:15], exec
.LBB1483_1202:
	s_or_b64 exec, exec, s[26:27]
	v_cndmask_b32_e64 v4, v8, v9, s[22:23]
	v_cndmask_b32_e64 v5, v25, v24, s[22:23]
	v_add_u32_e32 v6, 1, v4
	v_add_u32_e32 v4, -1, v5
	v_min_u32_e32 v4, v6, v4
	v_lshl_add_u32 v4, v4, 3, v33
	ds_read_b64 v[4:5], v4
	v_cndmask_b32_e64 v8, v6, v8, s[22:23]
	v_cndmask_b32_e64 v9, v9, v6, s[22:23]
	v_cmp_lt_u32_e32 vcc, v8, v25
	s_waitcnt lgkmcnt(0)
	v_cndmask_b32_e64 v10, v5, v14, s[22:23]
	v_cndmask_b32_e64 v17, v4, v15, s[22:23]
	;; [unrolled: 1-line block ×4, first 2 shown]
	s_and_saveexec_b64 s[26:27], vcc
	s_cbranch_execz .LBB1483_1213
; %bb.1203:
	v_cmp_lt_u32_e32 vcc, v9, v24
	s_mov_b64 s[14:15], 0
	s_and_saveexec_b64 s[24:25], vcc
	s_cbranch_execz .LBB1483_1212
; %bb.1204:
	s_andn2_b64 vcc, exec, s[42:43]
	s_cbranch_vccnz .LBB1483_1210
; %bb.1205:
	v_mul_lo_u32 v6, v10, s36
	v_mul_lo_u32 v7, v17, s37
	v_mad_u64_u32 v[4:5], s[14:15], v17, s36, 0
	v_add3_u32 v5, v5, v7, v6
	v_mul_lo_u32 v12, v11, s36
	v_mul_lo_u32 v13, v23, s37
	v_mad_u64_u32 v[6:7], s[14:15], v23, s36, 0
	v_add3_u32 v7, v7, v13, v12
	v_lshl_add_u64 v[4:5], v[4:5], 2, s[38:39]
	v_lshl_add_u64 v[6:7], v[6:7], 2, s[38:39]
	s_mov_b64 s[28:29], 0
	s_mov_b64 s[46:47], s[36:37]
                                        ; implicit-def: $sgpr30_sgpr31
                                        ; implicit-def: $sgpr44_sgpr45
                                        ; implicit-def: $sgpr14_sgpr15
                                        ; implicit-def: $sgpr48_sgpr49
	s_branch .LBB1483_1207
.LBB1483_1206:                          ;   in Loop: Header=BB1483_1207 Depth=1
	s_or_b64 exec, exec, s[52:53]
	s_and_b64 s[16:17], exec, s[44:45]
	s_or_b64 s[28:29], s[16:17], s[28:29]
	s_andn2_b64 s[16:17], s[48:49], exec
	s_and_b64 s[48:49], s[50:51], exec
	s_or_b64 s[48:49], s[16:17], s[48:49]
	s_andn2_b64 s[16:17], s[30:31], exec
	s_and_b64 s[30:31], s[14:15], exec
	s_or_b64 s[30:31], s[16:17], s[30:31]
	s_andn2_b64 exec, exec, s[28:29]
	s_cbranch_execz .LBB1483_1209
.LBB1483_1207:                          ; =>This Inner Loop Header: Depth=1
	global_load_dword v12, v[4:5], off
	global_load_dword v13, v[6:7], off
	s_andn2_b64 s[52:53], s[14:15], exec
	s_or_b64 s[44:45], s[44:45], exec
	s_waitcnt vmcnt(0)
	v_cmp_le_u32_e64 s[14:15], v12, v13
	v_cmp_lt_u32_e32 vcc, v12, v13
	s_and_b64 s[14:15], s[14:15], s[48:49]
	s_or_b64 s[50:51], vcc, s[14:15]
	s_and_b64 s[14:15], s[50:51], exec
	v_cmp_eq_u32_e64 s[16:17], v12, v13
	s_or_b64 s[14:15], s[52:53], s[14:15]
	s_and_saveexec_b64 s[52:53], s[16:17]
	s_cbranch_execz .LBB1483_1206
; %bb.1208:                             ;   in Loop: Header=BB1483_1207 Depth=1
	s_add_u32 s46, s46, -1
	s_addc_u32 s47, s47, -1
	s_cmp_eq_u64 s[46:47], 0
	s_cselect_b64 s[16:17], -1, 0
	s_andn2_b64 s[44:45], s[44:45], exec
	s_and_b64 s[16:17], s[16:17], exec
	v_lshl_add_u64 v[4:5], v[4:5], 0, 4
	v_lshl_add_u64 v[6:7], v[6:7], 0, 4
	s_andn2_b64 s[14:15], s[14:15], exec
	s_or_b64 s[44:45], s[44:45], s[16:17]
                                        ; implicit-def: $sgpr48_sgpr49
	s_branch .LBB1483_1206
.LBB1483_1209:
	s_or_b64 exec, exec, s[28:29]
	s_xor_b64 s[14:15], s[30:31], -1
	s_branch .LBB1483_1211
.LBB1483_1210:
	s_mov_b64 s[14:15], -1
.LBB1483_1211:
	s_and_b64 s[14:15], s[14:15], exec
.LBB1483_1212:
	s_or_b64 exec, exec, s[24:25]
	s_orn2_b64 s[24:25], s[14:15], exec
.LBB1483_1213:
	s_or_b64 exec, exec, s[26:27]
	v_cndmask_b32_e64 v4, v8, v9, s[24:25]
	v_cndmask_b32_e64 v5, v25, v24, s[24:25]
	v_add_u32_e32 v6, 1, v4
	v_add_u32_e32 v4, -1, v5
	v_min_u32_e32 v4, v6, v4
	v_lshl_add_u32 v4, v4, 3, v33
	ds_read_b64 v[4:5], v4
	v_cndmask_b32_e64 v8, v6, v8, s[24:25]
	v_cndmask_b32_e64 v9, v9, v6, s[24:25]
	v_cmp_lt_u32_e32 vcc, v8, v25
	s_mov_b64 s[28:29], -1
	s_waitcnt lgkmcnt(0)
	v_cndmask_b32_e64 v12, v5, v10, s[24:25]
	v_cndmask_b32_e64 v37, v4, v17, s[24:25]
	;; [unrolled: 1-line block ×4, first 2 shown]
	s_mov_b64 s[26:27], -1
	s_and_saveexec_b64 s[30:31], vcc
	s_cbranch_execz .LBB1483_1224
; %bb.1214:
	v_cmp_lt_u32_e32 vcc, v9, v24
	s_mov_b64 s[14:15], 0
	s_and_saveexec_b64 s[26:27], vcc
	s_cbranch_execz .LBB1483_1223
; %bb.1215:
	s_andn2_b64 vcc, exec, s[42:43]
	s_cbranch_vccnz .LBB1483_1221
; %bb.1216:
	v_mul_lo_u32 v6, v12, s36
	v_mul_lo_u32 v7, v37, s37
	v_mad_u64_u32 v[4:5], s[14:15], v37, s36, 0
	v_add3_u32 v5, v5, v7, v6
	v_mul_lo_u32 v39, v13, s36
	v_mul_lo_u32 v40, v38, s37
	v_mad_u64_u32 v[6:7], s[14:15], v38, s36, 0
	v_add3_u32 v7, v7, v40, v39
	v_lshl_add_u64 v[4:5], v[4:5], 2, s[38:39]
	v_lshl_add_u64 v[6:7], v[6:7], 2, s[38:39]
	s_mov_b64 s[44:45], 0
	s_mov_b64 s[50:51], s[36:37]
                                        ; implicit-def: $sgpr46_sgpr47
                                        ; implicit-def: $sgpr48_sgpr49
                                        ; implicit-def: $sgpr14_sgpr15
                                        ; implicit-def: $sgpr52_sgpr53
	s_branch .LBB1483_1218
.LBB1483_1217:                          ;   in Loop: Header=BB1483_1218 Depth=1
	s_or_b64 exec, exec, s[56:57]
	s_and_b64 s[16:17], exec, s[48:49]
	s_or_b64 s[44:45], s[16:17], s[44:45]
	s_andn2_b64 s[16:17], s[52:53], exec
	s_and_b64 s[52:53], s[54:55], exec
	s_or_b64 s[52:53], s[16:17], s[52:53]
	s_andn2_b64 s[16:17], s[46:47], exec
	s_and_b64 s[46:47], s[14:15], exec
	s_or_b64 s[46:47], s[16:17], s[46:47]
	s_andn2_b64 exec, exec, s[44:45]
	s_cbranch_execz .LBB1483_1220
.LBB1483_1218:                          ; =>This Inner Loop Header: Depth=1
	global_load_dword v39, v[4:5], off
	global_load_dword v40, v[6:7], off
	s_andn2_b64 s[56:57], s[14:15], exec
	s_or_b64 s[48:49], s[48:49], exec
	s_waitcnt vmcnt(0)
	v_cmp_le_u32_e64 s[14:15], v39, v40
	v_cmp_lt_u32_e32 vcc, v39, v40
	s_and_b64 s[14:15], s[14:15], s[52:53]
	s_or_b64 s[54:55], vcc, s[14:15]
	s_and_b64 s[14:15], s[54:55], exec
	v_cmp_eq_u32_e64 s[16:17], v39, v40
	s_or_b64 s[14:15], s[56:57], s[14:15]
	s_and_saveexec_b64 s[56:57], s[16:17]
	s_cbranch_execz .LBB1483_1217
; %bb.1219:                             ;   in Loop: Header=BB1483_1218 Depth=1
	s_add_u32 s50, s50, -1
	s_addc_u32 s51, s51, -1
	s_cmp_eq_u64 s[50:51], 0
	s_cselect_b64 s[16:17], -1, 0
	s_andn2_b64 s[48:49], s[48:49], exec
	s_and_b64 s[16:17], s[16:17], exec
	v_lshl_add_u64 v[4:5], v[4:5], 0, 4
	v_lshl_add_u64 v[6:7], v[6:7], 0, 4
	s_andn2_b64 s[14:15], s[14:15], exec
	s_or_b64 s[48:49], s[48:49], s[16:17]
                                        ; implicit-def: $sgpr52_sgpr53
	s_branch .LBB1483_1217
.LBB1483_1220:
	s_or_b64 exec, exec, s[44:45]
	s_xor_b64 s[14:15], s[46:47], -1
	s_branch .LBB1483_1222
.LBB1483_1221:
	s_mov_b64 s[14:15], -1
.LBB1483_1222:
	s_and_b64 s[14:15], s[14:15], exec
.LBB1483_1223:
	s_or_b64 exec, exec, s[26:27]
	s_orn2_b64 s[26:27], s[14:15], exec
.LBB1483_1224:
	s_or_b64 exec, exec, s[30:31]
	v_cndmask_b32_e64 v4, v8, v9, s[26:27]
	v_cndmask_b32_e64 v5, v25, v24, s[26:27]
	v_add_u32_e32 v6, 1, v4
	v_add_u32_e32 v4, -1, v5
	v_min_u32_e32 v4, v6, v4
	v_lshl_add_u32 v4, v4, 3, v33
	ds_read_b64 v[4:5], v4
	v_cndmask_b32_e64 v45, v6, v8, s[26:27]
	v_cndmask_b32_e64 v46, v9, v6, s[26:27]
	v_cmp_lt_u32_e32 vcc, v45, v25
	s_waitcnt lgkmcnt(0)
	v_cndmask_b32_e64 v39, v5, v12, s[26:27]
	v_cndmask_b32_e64 v40, v4, v37, s[26:27]
	;; [unrolled: 1-line block ×4, first 2 shown]
	s_and_saveexec_b64 s[30:31], vcc
	s_cbranch_execz .LBB1483_1235
; %bb.1225:
	v_cmp_lt_u32_e32 vcc, v46, v24
	s_mov_b64 s[14:15], 0
	s_and_saveexec_b64 s[28:29], vcc
	s_cbranch_execz .LBB1483_1234
; %bb.1226:
	s_andn2_b64 vcc, exec, s[42:43]
	s_cbranch_vccnz .LBB1483_1232
; %bb.1227:
	v_mul_lo_u32 v6, v39, s36
	v_mul_lo_u32 v7, v40, s37
	v_mad_u64_u32 v[4:5], s[14:15], v40, s36, 0
	v_add3_u32 v5, v5, v7, v6
	v_mul_lo_u32 v8, v41, s36
	v_mul_lo_u32 v9, v42, s37
	v_mad_u64_u32 v[6:7], s[14:15], v42, s36, 0
	v_add3_u32 v7, v7, v9, v8
	v_lshl_add_u64 v[4:5], v[4:5], 2, s[38:39]
	v_lshl_add_u64 v[6:7], v[6:7], 2, s[38:39]
	s_mov_b64 s[44:45], 0
	s_mov_b64 s[50:51], s[36:37]
                                        ; implicit-def: $sgpr46_sgpr47
                                        ; implicit-def: $sgpr48_sgpr49
                                        ; implicit-def: $sgpr14_sgpr15
                                        ; implicit-def: $sgpr52_sgpr53
	s_branch .LBB1483_1229
.LBB1483_1228:                          ;   in Loop: Header=BB1483_1229 Depth=1
	s_or_b64 exec, exec, s[56:57]
	s_and_b64 s[16:17], exec, s[48:49]
	s_or_b64 s[44:45], s[16:17], s[44:45]
	s_andn2_b64 s[16:17], s[52:53], exec
	s_and_b64 s[52:53], s[54:55], exec
	s_or_b64 s[52:53], s[16:17], s[52:53]
	s_andn2_b64 s[16:17], s[46:47], exec
	s_and_b64 s[46:47], s[14:15], exec
	s_or_b64 s[46:47], s[16:17], s[46:47]
	s_andn2_b64 exec, exec, s[44:45]
	s_cbranch_execz .LBB1483_1231
.LBB1483_1229:                          ; =>This Inner Loop Header: Depth=1
	global_load_dword v8, v[4:5], off
	global_load_dword v9, v[6:7], off
	s_andn2_b64 s[56:57], s[14:15], exec
	s_or_b64 s[48:49], s[48:49], exec
	s_waitcnt vmcnt(0)
	v_cmp_le_u32_e64 s[14:15], v8, v9
	v_cmp_lt_u32_e32 vcc, v8, v9
	s_and_b64 s[14:15], s[14:15], s[52:53]
	s_or_b64 s[54:55], vcc, s[14:15]
	s_and_b64 s[14:15], s[54:55], exec
	v_cmp_eq_u32_e64 s[16:17], v8, v9
	s_or_b64 s[14:15], s[56:57], s[14:15]
	s_and_saveexec_b64 s[56:57], s[16:17]
	s_cbranch_execz .LBB1483_1228
; %bb.1230:                             ;   in Loop: Header=BB1483_1229 Depth=1
	s_add_u32 s50, s50, -1
	s_addc_u32 s51, s51, -1
	s_cmp_eq_u64 s[50:51], 0
	s_cselect_b64 s[16:17], -1, 0
	s_andn2_b64 s[48:49], s[48:49], exec
	s_and_b64 s[16:17], s[16:17], exec
	v_lshl_add_u64 v[4:5], v[4:5], 0, 4
	v_lshl_add_u64 v[6:7], v[6:7], 0, 4
	s_andn2_b64 s[14:15], s[14:15], exec
	s_or_b64 s[48:49], s[48:49], s[16:17]
                                        ; implicit-def: $sgpr52_sgpr53
	s_branch .LBB1483_1228
.LBB1483_1231:
	s_or_b64 exec, exec, s[44:45]
	s_xor_b64 s[14:15], s[46:47], -1
	s_branch .LBB1483_1233
.LBB1483_1232:
	s_mov_b64 s[14:15], -1
.LBB1483_1233:
	s_and_b64 s[14:15], s[14:15], exec
.LBB1483_1234:
	s_or_b64 exec, exec, s[28:29]
	s_orn2_b64 s[28:29], s[14:15], exec
.LBB1483_1235:
	s_or_b64 exec, exec, s[30:31]
	v_cndmask_b32_e64 v4, v45, v46, s[28:29]
	v_cndmask_b32_e64 v5, v25, v24, s[28:29]
	v_add_u32_e32 v6, 1, v4
	v_add_u32_e32 v4, -1, v5
	v_min_u32_e32 v4, v6, v4
	v_lshl_add_u32 v4, v4, 3, v33
	ds_read_b64 v[4:5], v4
	v_cndmask_b32_e64 v47, v6, v45, s[28:29]
	v_cndmask_b32_e64 v51, v46, v6, s[28:29]
	v_cmp_lt_u32_e32 vcc, v47, v25
	s_mov_b64 s[30:31], -1
	s_waitcnt lgkmcnt(0)
	v_cndmask_b32_e64 v8, v5, v39, s[28:29]
	v_cndmask_b32_e64 v43, v4, v40, s[28:29]
	;; [unrolled: 1-line block ×4, first 2 shown]
	s_mov_b64 s[44:45], -1
	s_and_saveexec_b64 s[46:47], vcc
	s_cbranch_execz .LBB1483_1246
; %bb.1236:
	v_cmp_lt_u32_e32 vcc, v51, v24
	s_mov_b64 s[14:15], 0
	s_and_saveexec_b64 s[44:45], vcc
	s_cbranch_execz .LBB1483_1245
; %bb.1237:
	s_andn2_b64 vcc, exec, s[42:43]
	s_cbranch_vccnz .LBB1483_1243
; %bb.1238:
	v_mul_lo_u32 v6, v8, s36
	v_mul_lo_u32 v7, v43, s37
	v_mad_u64_u32 v[4:5], s[14:15], v43, s36, 0
	v_add3_u32 v5, v5, v7, v6
	v_mul_lo_u32 v45, v9, s36
	v_mul_lo_u32 v46, v44, s37
	v_mad_u64_u32 v[6:7], s[14:15], v44, s36, 0
	v_add3_u32 v7, v7, v46, v45
	v_lshl_add_u64 v[4:5], v[4:5], 2, s[38:39]
	v_lshl_add_u64 v[6:7], v[6:7], 2, s[38:39]
	s_mov_b64 s[48:49], 0
	s_mov_b64 s[54:55], s[36:37]
                                        ; implicit-def: $sgpr50_sgpr51
                                        ; implicit-def: $sgpr52_sgpr53
                                        ; implicit-def: $sgpr14_sgpr15
                                        ; implicit-def: $sgpr56_sgpr57
	s_branch .LBB1483_1240
.LBB1483_1239:                          ;   in Loop: Header=BB1483_1240 Depth=1
	s_or_b64 exec, exec, s[60:61]
	s_and_b64 s[16:17], exec, s[52:53]
	s_or_b64 s[48:49], s[16:17], s[48:49]
	s_andn2_b64 s[16:17], s[56:57], exec
	s_and_b64 s[56:57], s[58:59], exec
	s_or_b64 s[56:57], s[16:17], s[56:57]
	s_andn2_b64 s[16:17], s[50:51], exec
	s_and_b64 s[50:51], s[14:15], exec
	s_or_b64 s[50:51], s[16:17], s[50:51]
	s_andn2_b64 exec, exec, s[48:49]
	s_cbranch_execz .LBB1483_1242
.LBB1483_1240:                          ; =>This Inner Loop Header: Depth=1
	global_load_dword v45, v[4:5], off
	global_load_dword v46, v[6:7], off
	s_andn2_b64 s[60:61], s[14:15], exec
	s_or_b64 s[52:53], s[52:53], exec
	s_waitcnt vmcnt(0)
	v_cmp_le_u32_e64 s[14:15], v45, v46
	v_cmp_lt_u32_e32 vcc, v45, v46
	s_and_b64 s[14:15], s[14:15], s[56:57]
	s_or_b64 s[58:59], vcc, s[14:15]
	s_and_b64 s[14:15], s[58:59], exec
	v_cmp_eq_u32_e64 s[16:17], v45, v46
	s_or_b64 s[14:15], s[60:61], s[14:15]
	s_and_saveexec_b64 s[60:61], s[16:17]
	s_cbranch_execz .LBB1483_1239
; %bb.1241:                             ;   in Loop: Header=BB1483_1240 Depth=1
	s_add_u32 s54, s54, -1
	s_addc_u32 s55, s55, -1
	s_cmp_eq_u64 s[54:55], 0
	s_cselect_b64 s[16:17], -1, 0
	s_andn2_b64 s[52:53], s[52:53], exec
	s_and_b64 s[16:17], s[16:17], exec
	v_lshl_add_u64 v[4:5], v[4:5], 0, 4
	v_lshl_add_u64 v[6:7], v[6:7], 0, 4
	s_andn2_b64 s[14:15], s[14:15], exec
	s_or_b64 s[52:53], s[52:53], s[16:17]
                                        ; implicit-def: $sgpr56_sgpr57
	s_branch .LBB1483_1239
.LBB1483_1242:
	s_or_b64 exec, exec, s[48:49]
	s_xor_b64 s[14:15], s[50:51], -1
	s_branch .LBB1483_1244
.LBB1483_1243:
	s_mov_b64 s[14:15], -1
.LBB1483_1244:
	s_and_b64 s[14:15], s[14:15], exec
.LBB1483_1245:
	s_or_b64 exec, exec, s[44:45]
	s_orn2_b64 s[44:45], s[14:15], exec
.LBB1483_1246:
	s_or_b64 exec, exec, s[46:47]
	v_cndmask_b32_e64 v4, v47, v51, s[44:45]
	v_cndmask_b32_e64 v5, v25, v24, s[44:45]
	v_add_u32_e32 v6, 1, v4
	v_add_u32_e32 v4, -1, v5
	v_min_u32_e32 v4, v6, v4
	v_lshl_add_u32 v4, v4, 3, v33
	ds_read_b64 v[4:5], v4
	v_cndmask_b32_e64 v48, v6, v47, s[44:45]
	v_cndmask_b32_e64 v47, v51, v6, s[44:45]
	v_cmp_lt_u32_e32 vcc, v48, v25
	s_waitcnt lgkmcnt(0)
	v_cndmask_b32_e64 v45, v5, v8, s[44:45]
	v_cndmask_b32_e64 v46, v4, v43, s[44:45]
	;; [unrolled: 1-line block ×4, first 2 shown]
	s_and_saveexec_b64 s[46:47], vcc
	s_cbranch_execz .LBB1483_1257
; %bb.1247:
	v_cmp_lt_u32_e32 vcc, v47, v24
	s_mov_b64 s[14:15], 0
	s_and_saveexec_b64 s[30:31], vcc
	s_cbranch_execz .LBB1483_1256
; %bb.1248:
	s_andn2_b64 vcc, exec, s[42:43]
	s_cbranch_vccnz .LBB1483_1254
; %bb.1249:
	v_mul_lo_u32 v6, v45, s36
	v_mul_lo_u32 v7, v46, s37
	v_mad_u64_u32 v[4:5], s[14:15], v46, s36, 0
	v_add3_u32 v5, v5, v7, v6
	v_mul_lo_u32 v51, v49, s36
	v_mul_lo_u32 v52, v50, s37
	v_mad_u64_u32 v[6:7], s[14:15], v50, s36, 0
	v_add3_u32 v7, v7, v52, v51
	v_lshl_add_u64 v[4:5], v[4:5], 2, s[38:39]
	v_lshl_add_u64 v[6:7], v[6:7], 2, s[38:39]
	s_mov_b64 s[48:49], 0
	s_mov_b64 s[54:55], s[36:37]
                                        ; implicit-def: $sgpr50_sgpr51
                                        ; implicit-def: $sgpr52_sgpr53
                                        ; implicit-def: $sgpr14_sgpr15
                                        ; implicit-def: $sgpr56_sgpr57
	s_branch .LBB1483_1251
.LBB1483_1250:                          ;   in Loop: Header=BB1483_1251 Depth=1
	s_or_b64 exec, exec, s[60:61]
	s_and_b64 s[16:17], exec, s[52:53]
	s_or_b64 s[48:49], s[16:17], s[48:49]
	s_andn2_b64 s[16:17], s[56:57], exec
	s_and_b64 s[56:57], s[58:59], exec
	s_or_b64 s[56:57], s[16:17], s[56:57]
	s_andn2_b64 s[16:17], s[50:51], exec
	s_and_b64 s[50:51], s[14:15], exec
	s_or_b64 s[50:51], s[16:17], s[50:51]
	s_andn2_b64 exec, exec, s[48:49]
	s_cbranch_execz .LBB1483_1253
.LBB1483_1251:                          ; =>This Inner Loop Header: Depth=1
	global_load_dword v51, v[4:5], off
	global_load_dword v52, v[6:7], off
	s_andn2_b64 s[60:61], s[14:15], exec
	s_or_b64 s[52:53], s[52:53], exec
	s_waitcnt vmcnt(0)
	v_cmp_le_u32_e64 s[14:15], v51, v52
	v_cmp_lt_u32_e32 vcc, v51, v52
	s_and_b64 s[14:15], s[14:15], s[56:57]
	s_or_b64 s[58:59], vcc, s[14:15]
	s_and_b64 s[14:15], s[58:59], exec
	v_cmp_eq_u32_e64 s[16:17], v51, v52
	s_or_b64 s[14:15], s[60:61], s[14:15]
	s_and_saveexec_b64 s[60:61], s[16:17]
	s_cbranch_execz .LBB1483_1250
; %bb.1252:                             ;   in Loop: Header=BB1483_1251 Depth=1
	s_add_u32 s54, s54, -1
	s_addc_u32 s55, s55, -1
	s_cmp_eq_u64 s[54:55], 0
	s_cselect_b64 s[16:17], -1, 0
	s_andn2_b64 s[52:53], s[52:53], exec
	s_and_b64 s[16:17], s[16:17], exec
	v_lshl_add_u64 v[4:5], v[4:5], 0, 4
	v_lshl_add_u64 v[6:7], v[6:7], 0, 4
	s_andn2_b64 s[14:15], s[14:15], exec
	s_or_b64 s[52:53], s[52:53], s[16:17]
                                        ; implicit-def: $sgpr56_sgpr57
	s_branch .LBB1483_1250
.LBB1483_1253:
	s_or_b64 exec, exec, s[48:49]
	s_xor_b64 s[14:15], s[50:51], -1
	s_branch .LBB1483_1255
.LBB1483_1254:
	s_mov_b64 s[14:15], -1
.LBB1483_1255:
	s_and_b64 s[14:15], s[14:15], exec
.LBB1483_1256:
	s_or_b64 exec, exec, s[30:31]
	s_orn2_b64 s[30:31], s[14:15], exec
.LBB1483_1257:
	s_or_b64 exec, exec, s[46:47]
	v_cndmask_b32_e64 v4, v48, v47, s[30:31]
	v_cndmask_b32_e64 v5, v25, v24, s[30:31]
	;; [unrolled: 1-line block ×4, first 2 shown]
	v_add_u32_e32 v37, 1, v4
	v_add_u32_e32 v4, -1, v5
	v_min_u32_e32 v4, v37, v4
	v_lshl_add_u32 v4, v4, 3, v33
	v_cndmask_b32_e64 v11, v10, v11, s[24:25]
	v_cndmask_b32_e64 v10, v17, v23, s[24:25]
	v_cndmask_b32_e64 v17, v14, v16, s[22:23]
	v_cndmask_b32_e64 v16, v15, v22, s[22:23]
	ds_read_b64 v[22:23], v4
	v_cndmask_b32_e64 v14, v2, v0, s[20:21]
	v_cndmask_b32_e64 v0, v37, v48, s[30:31]
	;; [unrolled: 1-line block ×9, first 2 shown]
	s_waitcnt lgkmcnt(0)
	v_cndmask_b32_e64 v5, v49, v23, s[30:31]
	v_cndmask_b32_e64 v4, v50, v22, s[30:31]
	v_cmp_lt_u32_e32 vcc, v0, v25
	s_and_saveexec_b64 s[20:21], vcc
	s_cbranch_execz .LBB1483_1267
; %bb.1258:
	v_cndmask_b32_e64 v0, v22, v46, s[30:31]
	v_cndmask_b32_e64 v22, v47, v37, s[30:31]
	;; [unrolled: 1-line block ×3, first 2 shown]
	v_cmp_lt_u32_e32 vcc, v22, v24
	s_and_saveexec_b64 s[22:23], vcc
	s_cbranch_execz .LBB1483_1266
; %bb.1259:
	s_andn2_b64 vcc, exec, s[42:43]
	s_cbranch_vccnz .LBB1483_1265
; %bb.1260:
	v_mul_lo_u32 v24, v1, s36
	v_mul_lo_u32 v25, v0, s37
	v_mad_u64_u32 v[22:23], s[14:15], v0, s36, 0
	v_add3_u32 v23, v23, v25, v24
	v_mul_lo_u32 v37, v5, s36
	v_mul_lo_u32 v38, v4, s37
	v_mad_u64_u32 v[24:25], s[14:15], v4, s36, 0
	v_add3_u32 v25, v25, v38, v37
	v_lshl_add_u64 v[22:23], v[22:23], 2, s[38:39]
	v_lshl_add_u64 v[24:25], v[24:25], 2, s[38:39]
	s_mov_b64 s[24:25], 0
	s_mov_b64 s[30:31], s[36:37]
                                        ; implicit-def: $sgpr26_sgpr27
                                        ; implicit-def: $sgpr28_sgpr29
                                        ; implicit-def: $sgpr14_sgpr15
                                        ; implicit-def: $sgpr44_sgpr45
	s_branch .LBB1483_1262
.LBB1483_1261:                          ;   in Loop: Header=BB1483_1262 Depth=1
	s_or_b64 exec, exec, s[48:49]
	s_and_b64 s[16:17], exec, s[28:29]
	s_or_b64 s[24:25], s[16:17], s[24:25]
	s_andn2_b64 s[16:17], s[44:45], exec
	s_and_b64 s[44:45], s[46:47], exec
	s_or_b64 s[44:45], s[16:17], s[44:45]
	s_andn2_b64 s[16:17], s[26:27], exec
	s_and_b64 s[26:27], s[14:15], exec
	s_or_b64 s[26:27], s[16:17], s[26:27]
	s_andn2_b64 exec, exec, s[24:25]
	s_cbranch_execz .LBB1483_1264
.LBB1483_1262:                          ; =>This Inner Loop Header: Depth=1
	global_load_dword v37, v[22:23], off
	global_load_dword v38, v[24:25], off
	s_andn2_b64 s[48:49], s[14:15], exec
	s_or_b64 s[28:29], s[28:29], exec
	s_waitcnt vmcnt(0)
	v_cmp_le_u32_e64 s[14:15], v37, v38
	v_cmp_lt_u32_e32 vcc, v37, v38
	s_and_b64 s[14:15], s[14:15], s[44:45]
	s_or_b64 s[46:47], vcc, s[14:15]
	s_and_b64 s[14:15], s[46:47], exec
	v_cmp_eq_u32_e64 s[16:17], v37, v38
	s_or_b64 s[14:15], s[48:49], s[14:15]
	s_and_saveexec_b64 s[48:49], s[16:17]
	s_cbranch_execz .LBB1483_1261
; %bb.1263:                             ;   in Loop: Header=BB1483_1262 Depth=1
	s_add_u32 s30, s30, -1
	s_addc_u32 s31, s31, -1
	s_cmp_eq_u64 s[30:31], 0
	s_cselect_b64 s[16:17], -1, 0
	s_andn2_b64 s[28:29], s[28:29], exec
	s_and_b64 s[16:17], s[16:17], exec
	v_lshl_add_u64 v[22:23], v[22:23], 0, 4
	v_lshl_add_u64 v[24:25], v[24:25], 0, 4
	s_andn2_b64 s[14:15], s[14:15], exec
	s_or_b64 s[28:29], s[28:29], s[16:17]
                                        ; implicit-def: $sgpr44_sgpr45
	s_branch .LBB1483_1261
.LBB1483_1264:
	s_or_b64 exec, exec, s[24:25]
	v_cndmask_b32_e64 v5, v5, v1, s[26:27]
	v_cndmask_b32_e64 v4, v4, v0, s[26:27]
.LBB1483_1265:
	v_mov_b64_e32 v[0:1], v[4:5]
.LBB1483_1266:
	s_or_b64 exec, exec, s[22:23]
	v_mov_b64_e32 v[4:5], v[0:1]
.LBB1483_1267:
	s_or_b64 exec, exec, s[20:21]
.LBB1483_1268:
	s_or_b64 exec, exec, s[18:19]
	; wave barrier
	ds_write_b128 v36, v[14:17]
	ds_write_b128 v36, v[10:13] offset:16
	ds_write_b128 v36, v[6:9] offset:32
	;; [unrolled: 1-line block ×3, first 2 shown]
	v_and_b32_e32 v36, 0x380, v35
	v_or_b32_e32 v0, 64, v36
	v_min_u32_e32 v24, v34, v0
	v_add_u32_e32 v0, 64, v24
	v_min_u32_e32 v25, v34, v0
	v_and_b32_e32 v0, 0x78, v35
	v_min_u32_e32 v37, v34, v0
	v_sub_u32_e32 v0, v24, v36
	v_sub_u32_e32 v1, v25, v24
	v_sub_u32_e64 v35, v37, v1 clamp
	v_min_u32_e32 v38, v37, v0
	v_lshl_add_u32 v34, v36, 3, v33
	v_cmp_lt_u32_e32 vcc, v35, v38
	; wave barrier
	s_and_saveexec_b64 s[20:21], vcc
	s_cbranch_execz .LBB1483_1278
; %bb.1269:
	v_lshlrev_b32_e32 v0, 3, v24
	v_lshlrev_b32_e32 v1, 3, v37
	v_add3_u32 v39, v33, v0, v1
	v_cndmask_b32_e64 v0, 0, 1, s[42:43]
	s_lshl_b64 s[24:25], s[36:37], 2
	s_mov_b64 s[22:23], 0
	v_cmp_ne_u32_e64 s[14:15], 1, v0
	s_branch .LBB1483_1272
.LBB1483_1270:                          ;   in Loop: Header=BB1483_1272 Depth=1
	s_or_b64 exec, exec, s[28:29]
.LBB1483_1271:                          ;   in Loop: Header=BB1483_1272 Depth=1
	v_add_u32_e32 v0, 1, v40
	v_cndmask_b32_e64 v38, v38, v40, s[26:27]
	v_cndmask_b32_e64 v35, v0, v35, s[26:27]
	v_cmp_ge_u32_e32 vcc, v35, v38
	s_or_b64 s[22:23], vcc, s[22:23]
	s_andn2_b64 exec, exec, s[22:23]
	s_cbranch_execz .LBB1483_1277
.LBB1483_1272:                          ; =>This Loop Header: Depth=1
                                        ;     Child Loop BB1483_1275 Depth 2
	v_add_u32_e32 v0, v38, v35
	v_lshrrev_b32_e32 v40, 1, v0
	s_and_b64 vcc, exec, s[14:15]
	s_mov_b64 s[26:27], 0
	s_cbranch_vccnz .LBB1483_1271
; %bb.1273:                             ;   in Loop: Header=BB1483_1272 Depth=1
	v_not_b32_e32 v0, v40
	v_lshl_add_u32 v0, v0, 3, v39
	ds_read_b64 v[0:1], v0
	v_lshl_add_u32 v41, v40, 3, v34
	ds_read_b64 v[42:43], v41
	v_mov_b64_e32 v[22:23], s[38:39]
	s_mov_b64 s[28:29], 0
	s_waitcnt lgkmcnt(1)
	v_mul_lo_u32 v41, s24, v1
	v_mul_lo_u32 v44, s25, v0
	v_mad_u64_u32 v[0:1], s[16:17], s24, v0, v[22:23]
	v_add3_u32 v1, v44, v1, v41
	s_waitcnt lgkmcnt(0)
	v_mul_lo_u32 v41, s24, v43
	v_mul_lo_u32 v43, s25, v42
	v_mad_u64_u32 v[22:23], s[16:17], s24, v42, v[22:23]
	v_add3_u32 v23, v43, v23, v41
	s_mov_b64 s[44:45], s[36:37]
                                        ; implicit-def: $sgpr26_sgpr27
                                        ; implicit-def: $sgpr30_sgpr31
                                        ; implicit-def: $sgpr16_sgpr17
                                        ; implicit-def: $sgpr46_sgpr47
	s_branch .LBB1483_1275
.LBB1483_1274:                          ;   in Loop: Header=BB1483_1275 Depth=2
	s_or_b64 exec, exec, s[50:51]
	s_and_b64 s[18:19], exec, s[30:31]
	s_or_b64 s[28:29], s[18:19], s[28:29]
	s_andn2_b64 s[18:19], s[46:47], exec
	s_and_b64 s[46:47], s[48:49], exec
	s_or_b64 s[46:47], s[18:19], s[46:47]
	s_andn2_b64 s[18:19], s[26:27], exec
	s_and_b64 s[26:27], s[16:17], exec
	s_or_b64 s[26:27], s[18:19], s[26:27]
	s_andn2_b64 exec, exec, s[28:29]
	s_cbranch_execz .LBB1483_1270
.LBB1483_1275:                          ;   Parent Loop BB1483_1272 Depth=1
                                        ; =>  This Inner Loop Header: Depth=2
	global_load_dword v41, v[0:1], off
	global_load_dword v42, v[22:23], off
	s_andn2_b64 s[50:51], s[16:17], exec
	s_or_b64 s[30:31], s[30:31], exec
	s_waitcnt vmcnt(0)
	v_cmp_le_u32_e64 s[16:17], v41, v42
	v_cmp_lt_u32_e32 vcc, v41, v42
	s_and_b64 s[16:17], s[16:17], s[46:47]
	s_or_b64 s[48:49], vcc, s[16:17]
	s_and_b64 s[16:17], s[48:49], exec
	v_cmp_eq_u32_e64 s[18:19], v41, v42
	s_or_b64 s[16:17], s[50:51], s[16:17]
	s_and_saveexec_b64 s[50:51], s[18:19]
	s_cbranch_execz .LBB1483_1274
; %bb.1276:                             ;   in Loop: Header=BB1483_1275 Depth=2
	s_add_u32 s44, s44, -1
	s_addc_u32 s45, s45, -1
	s_cmp_eq_u64 s[44:45], 0
	s_cselect_b64 s[18:19], -1, 0
	s_andn2_b64 s[30:31], s[30:31], exec
	s_and_b64 s[18:19], s[18:19], exec
	v_lshl_add_u64 v[0:1], v[0:1], 0, 4
	v_lshl_add_u64 v[22:23], v[22:23], 0, 4
	s_andn2_b64 s[16:17], s[16:17], exec
	s_or_b64 s[30:31], s[30:31], s[18:19]
                                        ; implicit-def: $sgpr46_sgpr47
	s_branch .LBB1483_1274
.LBB1483_1277:
	s_or_b64 exec, exec, s[22:23]
.LBB1483_1278:
	s_or_b64 exec, exec, s[20:21]
	v_add_u32_e32 v0, v24, v37
	v_add_u32_e32 v23, v35, v36
	v_sub_u32_e32 v36, v0, v35
	v_cmp_le_u32_e32 vcc, v23, v24
	v_cmp_le_u32_e64 s[14:15], v36, v25
	s_or_b64 s[14:15], vcc, s[14:15]
	s_and_saveexec_b64 s[18:19], s[14:15]
	s_cbranch_execz .LBB1483_1369
; %bb.1279:
	v_cmp_ge_u32_e32 vcc, v23, v24
	v_cmp_lt_u32_e64 s[14:15], v23, v24
                                        ; implicit-def: $vgpr0_vgpr1
	s_and_saveexec_b64 s[16:17], s[14:15]
; %bb.1280:
	v_lshl_add_u32 v0, v35, 3, v34
	ds_read_b64 v[0:1], v0
; %bb.1281:
	s_or_b64 exec, exec, s[16:17]
	v_cmp_ge_u32_e64 s[20:21], v36, v25
	v_cmp_lt_u32_e64 s[14:15], v36, v25
                                        ; implicit-def: $vgpr2_vgpr3
	s_and_saveexec_b64 s[16:17], s[14:15]
; %bb.1282:
	v_lshl_add_u32 v2, v36, 3, v33
	ds_read_b64 v[2:3], v2
; %bb.1283:
	s_or_b64 exec, exec, s[16:17]
	s_nor_b64 s[14:15], vcc, s[20:21]
	s_and_saveexec_b64 s[22:23], s[14:15]
	s_cbranch_execz .LBB1483_1292
; %bb.1284:
	s_andn2_b64 vcc, exec, s[42:43]
	s_cbranch_vccnz .LBB1483_1290
; %bb.1285:
	s_waitcnt lgkmcnt(0)
	v_mul_lo_u32 v6, v3, s36
	v_mul_lo_u32 v7, v2, s37
	v_mad_u64_u32 v[4:5], s[14:15], v2, s36, 0
	v_add3_u32 v5, v5, v7, v6
	v_mul_lo_u32 v8, v1, s36
	v_mul_lo_u32 v9, v0, s37
	v_mad_u64_u32 v[6:7], s[14:15], v0, s36, 0
	v_add3_u32 v7, v7, v9, v8
	v_lshl_add_u64 v[4:5], v[4:5], 2, s[38:39]
	v_lshl_add_u64 v[6:7], v[6:7], 2, s[38:39]
	s_mov_b64 s[24:25], 0
	s_mov_b64 s[30:31], s[36:37]
                                        ; implicit-def: $sgpr26_sgpr27
                                        ; implicit-def: $sgpr28_sgpr29
                                        ; implicit-def: $sgpr14_sgpr15
                                        ; implicit-def: $sgpr44_sgpr45
	s_branch .LBB1483_1287
.LBB1483_1286:                          ;   in Loop: Header=BB1483_1287 Depth=1
	s_or_b64 exec, exec, s[48:49]
	s_and_b64 s[16:17], exec, s[28:29]
	s_or_b64 s[24:25], s[16:17], s[24:25]
	s_andn2_b64 s[16:17], s[44:45], exec
	s_and_b64 s[44:45], s[46:47], exec
	s_or_b64 s[44:45], s[16:17], s[44:45]
	s_andn2_b64 s[16:17], s[26:27], exec
	s_and_b64 s[26:27], s[14:15], exec
	s_or_b64 s[26:27], s[16:17], s[26:27]
	s_andn2_b64 exec, exec, s[24:25]
	s_cbranch_execz .LBB1483_1289
.LBB1483_1287:                          ; =>This Inner Loop Header: Depth=1
	global_load_dword v8, v[4:5], off
	global_load_dword v9, v[6:7], off
	s_andn2_b64 s[48:49], s[14:15], exec
	s_or_b64 s[28:29], s[28:29], exec
	s_waitcnt vmcnt(0)
	v_cmp_le_u32_e64 s[14:15], v8, v9
	v_cmp_lt_u32_e32 vcc, v8, v9
	s_and_b64 s[14:15], s[14:15], s[44:45]
	s_or_b64 s[46:47], vcc, s[14:15]
	s_and_b64 s[14:15], s[46:47], exec
	v_cmp_eq_u32_e64 s[16:17], v8, v9
	s_or_b64 s[14:15], s[48:49], s[14:15]
	s_and_saveexec_b64 s[48:49], s[16:17]
	s_cbranch_execz .LBB1483_1286
; %bb.1288:                             ;   in Loop: Header=BB1483_1287 Depth=1
	s_add_u32 s30, s30, -1
	s_addc_u32 s31, s31, -1
	s_cmp_eq_u64 s[30:31], 0
	s_cselect_b64 s[16:17], -1, 0
	s_andn2_b64 s[28:29], s[28:29], exec
	s_and_b64 s[16:17], s[16:17], exec
	v_lshl_add_u64 v[4:5], v[4:5], 0, 4
	v_lshl_add_u64 v[6:7], v[6:7], 0, 4
	s_andn2_b64 s[14:15], s[14:15], exec
	s_or_b64 s[28:29], s[28:29], s[16:17]
                                        ; implicit-def: $sgpr44_sgpr45
	s_branch .LBB1483_1286
.LBB1483_1289:
	s_or_b64 exec, exec, s[24:25]
	s_xor_b64 s[14:15], s[26:27], -1
	s_branch .LBB1483_1291
.LBB1483_1290:
	s_mov_b64 s[14:15], -1
.LBB1483_1291:
	s_andn2_b64 s[16:17], s[20:21], exec
	s_and_b64 s[14:15], s[14:15], exec
	s_or_b64 s[20:21], s[16:17], s[14:15]
.LBB1483_1292:
	s_or_b64 exec, exec, s[22:23]
	v_cndmask_b32_e64 v4, v36, v23, s[20:21]
	v_cndmask_b32_e64 v5, v25, v24, s[20:21]
	v_add_u32_e32 v6, 1, v4
	v_add_u32_e32 v4, -1, v5
	v_min_u32_e32 v4, v6, v4
	v_lshl_add_u32 v4, v4, 3, v33
	ds_read_b64 v[4:5], v4
	v_cndmask_b32_e64 v8, v6, v36, s[20:21]
	v_cndmask_b32_e64 v9, v23, v6, s[20:21]
	v_cmp_lt_u32_e32 vcc, v8, v25
	s_mov_b64 s[24:25], -1
	s_waitcnt lgkmcnt(0)
	v_cndmask_b32_e64 v14, v5, v3, s[20:21]
	v_cndmask_b32_e64 v15, v4, v2, s[20:21]
	;; [unrolled: 1-line block ×4, first 2 shown]
	s_mov_b64 s[22:23], -1
	s_and_saveexec_b64 s[26:27], vcc
	s_cbranch_execz .LBB1483_1303
; %bb.1293:
	v_cmp_lt_u32_e32 vcc, v9, v24
	s_mov_b64 s[14:15], 0
	s_and_saveexec_b64 s[22:23], vcc
	s_cbranch_execz .LBB1483_1302
; %bb.1294:
	s_andn2_b64 vcc, exec, s[42:43]
	s_cbranch_vccnz .LBB1483_1300
; %bb.1295:
	v_mul_lo_u32 v6, v14, s36
	v_mul_lo_u32 v7, v15, s37
	v_mad_u64_u32 v[4:5], s[14:15], v15, s36, 0
	v_add3_u32 v5, v5, v7, v6
	v_mul_lo_u32 v10, v16, s36
	v_mul_lo_u32 v11, v22, s37
	v_mad_u64_u32 v[6:7], s[14:15], v22, s36, 0
	v_add3_u32 v7, v7, v11, v10
	v_lshl_add_u64 v[4:5], v[4:5], 2, s[38:39]
	v_lshl_add_u64 v[6:7], v[6:7], 2, s[38:39]
	s_mov_b64 s[28:29], 0
	s_mov_b64 s[46:47], s[36:37]
                                        ; implicit-def: $sgpr30_sgpr31
                                        ; implicit-def: $sgpr44_sgpr45
                                        ; implicit-def: $sgpr14_sgpr15
                                        ; implicit-def: $sgpr48_sgpr49
	s_branch .LBB1483_1297
.LBB1483_1296:                          ;   in Loop: Header=BB1483_1297 Depth=1
	s_or_b64 exec, exec, s[52:53]
	s_and_b64 s[16:17], exec, s[44:45]
	s_or_b64 s[28:29], s[16:17], s[28:29]
	s_andn2_b64 s[16:17], s[48:49], exec
	s_and_b64 s[48:49], s[50:51], exec
	s_or_b64 s[48:49], s[16:17], s[48:49]
	s_andn2_b64 s[16:17], s[30:31], exec
	s_and_b64 s[30:31], s[14:15], exec
	s_or_b64 s[30:31], s[16:17], s[30:31]
	s_andn2_b64 exec, exec, s[28:29]
	s_cbranch_execz .LBB1483_1299
.LBB1483_1297:                          ; =>This Inner Loop Header: Depth=1
	global_load_dword v10, v[4:5], off
	global_load_dword v11, v[6:7], off
	s_andn2_b64 s[52:53], s[14:15], exec
	s_or_b64 s[44:45], s[44:45], exec
	s_waitcnt vmcnt(0)
	v_cmp_le_u32_e64 s[14:15], v10, v11
	v_cmp_lt_u32_e32 vcc, v10, v11
	s_and_b64 s[14:15], s[14:15], s[48:49]
	s_or_b64 s[50:51], vcc, s[14:15]
	s_and_b64 s[14:15], s[50:51], exec
	v_cmp_eq_u32_e64 s[16:17], v10, v11
	s_or_b64 s[14:15], s[52:53], s[14:15]
	s_and_saveexec_b64 s[52:53], s[16:17]
	s_cbranch_execz .LBB1483_1296
; %bb.1298:                             ;   in Loop: Header=BB1483_1297 Depth=1
	s_add_u32 s46, s46, -1
	s_addc_u32 s47, s47, -1
	s_cmp_eq_u64 s[46:47], 0
	s_cselect_b64 s[16:17], -1, 0
	s_andn2_b64 s[44:45], s[44:45], exec
	s_and_b64 s[16:17], s[16:17], exec
	v_lshl_add_u64 v[4:5], v[4:5], 0, 4
	v_lshl_add_u64 v[6:7], v[6:7], 0, 4
	s_andn2_b64 s[14:15], s[14:15], exec
	s_or_b64 s[44:45], s[44:45], s[16:17]
                                        ; implicit-def: $sgpr48_sgpr49
	s_branch .LBB1483_1296
.LBB1483_1299:
	s_or_b64 exec, exec, s[28:29]
	s_xor_b64 s[14:15], s[30:31], -1
	s_branch .LBB1483_1301
.LBB1483_1300:
	s_mov_b64 s[14:15], -1
.LBB1483_1301:
	s_and_b64 s[14:15], s[14:15], exec
.LBB1483_1302:
	s_or_b64 exec, exec, s[22:23]
	s_orn2_b64 s[22:23], s[14:15], exec
.LBB1483_1303:
	s_or_b64 exec, exec, s[26:27]
	v_cndmask_b32_e64 v4, v8, v9, s[22:23]
	v_cndmask_b32_e64 v5, v25, v24, s[22:23]
	v_add_u32_e32 v6, 1, v4
	v_add_u32_e32 v4, -1, v5
	v_min_u32_e32 v4, v6, v4
	v_lshl_add_u32 v4, v4, 3, v33
	ds_read_b64 v[4:5], v4
	v_cndmask_b32_e64 v8, v6, v8, s[22:23]
	v_cndmask_b32_e64 v9, v9, v6, s[22:23]
	v_cmp_lt_u32_e32 vcc, v8, v25
	s_waitcnt lgkmcnt(0)
	v_cndmask_b32_e64 v10, v5, v14, s[22:23]
	v_cndmask_b32_e64 v17, v4, v15, s[22:23]
	;; [unrolled: 1-line block ×4, first 2 shown]
	s_and_saveexec_b64 s[26:27], vcc
	s_cbranch_execz .LBB1483_1314
; %bb.1304:
	v_cmp_lt_u32_e32 vcc, v9, v24
	s_mov_b64 s[14:15], 0
	s_and_saveexec_b64 s[24:25], vcc
	s_cbranch_execz .LBB1483_1313
; %bb.1305:
	s_andn2_b64 vcc, exec, s[42:43]
	s_cbranch_vccnz .LBB1483_1311
; %bb.1306:
	v_mul_lo_u32 v6, v10, s36
	v_mul_lo_u32 v7, v17, s37
	v_mad_u64_u32 v[4:5], s[14:15], v17, s36, 0
	v_add3_u32 v5, v5, v7, v6
	v_mul_lo_u32 v12, v11, s36
	v_mul_lo_u32 v13, v23, s37
	v_mad_u64_u32 v[6:7], s[14:15], v23, s36, 0
	v_add3_u32 v7, v7, v13, v12
	v_lshl_add_u64 v[4:5], v[4:5], 2, s[38:39]
	v_lshl_add_u64 v[6:7], v[6:7], 2, s[38:39]
	s_mov_b64 s[28:29], 0
	s_mov_b64 s[46:47], s[36:37]
                                        ; implicit-def: $sgpr30_sgpr31
                                        ; implicit-def: $sgpr44_sgpr45
                                        ; implicit-def: $sgpr14_sgpr15
                                        ; implicit-def: $sgpr48_sgpr49
	s_branch .LBB1483_1308
.LBB1483_1307:                          ;   in Loop: Header=BB1483_1308 Depth=1
	s_or_b64 exec, exec, s[52:53]
	s_and_b64 s[16:17], exec, s[44:45]
	s_or_b64 s[28:29], s[16:17], s[28:29]
	s_andn2_b64 s[16:17], s[48:49], exec
	s_and_b64 s[48:49], s[50:51], exec
	s_or_b64 s[48:49], s[16:17], s[48:49]
	s_andn2_b64 s[16:17], s[30:31], exec
	s_and_b64 s[30:31], s[14:15], exec
	s_or_b64 s[30:31], s[16:17], s[30:31]
	s_andn2_b64 exec, exec, s[28:29]
	s_cbranch_execz .LBB1483_1310
.LBB1483_1308:                          ; =>This Inner Loop Header: Depth=1
	global_load_dword v12, v[4:5], off
	global_load_dword v13, v[6:7], off
	s_andn2_b64 s[52:53], s[14:15], exec
	s_or_b64 s[44:45], s[44:45], exec
	s_waitcnt vmcnt(0)
	v_cmp_le_u32_e64 s[14:15], v12, v13
	v_cmp_lt_u32_e32 vcc, v12, v13
	s_and_b64 s[14:15], s[14:15], s[48:49]
	s_or_b64 s[50:51], vcc, s[14:15]
	s_and_b64 s[14:15], s[50:51], exec
	v_cmp_eq_u32_e64 s[16:17], v12, v13
	s_or_b64 s[14:15], s[52:53], s[14:15]
	s_and_saveexec_b64 s[52:53], s[16:17]
	s_cbranch_execz .LBB1483_1307
; %bb.1309:                             ;   in Loop: Header=BB1483_1308 Depth=1
	s_add_u32 s46, s46, -1
	s_addc_u32 s47, s47, -1
	s_cmp_eq_u64 s[46:47], 0
	s_cselect_b64 s[16:17], -1, 0
	s_andn2_b64 s[44:45], s[44:45], exec
	s_and_b64 s[16:17], s[16:17], exec
	v_lshl_add_u64 v[4:5], v[4:5], 0, 4
	v_lshl_add_u64 v[6:7], v[6:7], 0, 4
	s_andn2_b64 s[14:15], s[14:15], exec
	s_or_b64 s[44:45], s[44:45], s[16:17]
                                        ; implicit-def: $sgpr48_sgpr49
	s_branch .LBB1483_1307
.LBB1483_1310:
	s_or_b64 exec, exec, s[28:29]
	s_xor_b64 s[14:15], s[30:31], -1
	s_branch .LBB1483_1312
.LBB1483_1311:
	s_mov_b64 s[14:15], -1
.LBB1483_1312:
	s_and_b64 s[14:15], s[14:15], exec
.LBB1483_1313:
	s_or_b64 exec, exec, s[24:25]
	s_orn2_b64 s[24:25], s[14:15], exec
.LBB1483_1314:
	s_or_b64 exec, exec, s[26:27]
	v_cndmask_b32_e64 v4, v8, v9, s[24:25]
	v_cndmask_b32_e64 v5, v25, v24, s[24:25]
	v_add_u32_e32 v6, 1, v4
	v_add_u32_e32 v4, -1, v5
	v_min_u32_e32 v4, v6, v4
	v_lshl_add_u32 v4, v4, 3, v33
	ds_read_b64 v[4:5], v4
	v_cndmask_b32_e64 v8, v6, v8, s[24:25]
	v_cndmask_b32_e64 v9, v9, v6, s[24:25]
	v_cmp_lt_u32_e32 vcc, v8, v25
	s_mov_b64 s[28:29], -1
	s_waitcnt lgkmcnt(0)
	v_cndmask_b32_e64 v12, v5, v10, s[24:25]
	v_cndmask_b32_e64 v34, v4, v17, s[24:25]
	;; [unrolled: 1-line block ×4, first 2 shown]
	s_mov_b64 s[26:27], -1
	s_and_saveexec_b64 s[30:31], vcc
	s_cbranch_execz .LBB1483_1325
; %bb.1315:
	v_cmp_lt_u32_e32 vcc, v9, v24
	s_mov_b64 s[14:15], 0
	s_and_saveexec_b64 s[26:27], vcc
	s_cbranch_execz .LBB1483_1324
; %bb.1316:
	s_andn2_b64 vcc, exec, s[42:43]
	s_cbranch_vccnz .LBB1483_1322
; %bb.1317:
	v_mul_lo_u32 v6, v12, s36
	v_mul_lo_u32 v7, v34, s37
	v_mad_u64_u32 v[4:5], s[14:15], v34, s36, 0
	v_add3_u32 v5, v5, v7, v6
	v_mul_lo_u32 v36, v13, s36
	v_mul_lo_u32 v37, v35, s37
	v_mad_u64_u32 v[6:7], s[14:15], v35, s36, 0
	v_add3_u32 v7, v7, v37, v36
	v_lshl_add_u64 v[4:5], v[4:5], 2, s[38:39]
	v_lshl_add_u64 v[6:7], v[6:7], 2, s[38:39]
	s_mov_b64 s[44:45], 0
	s_mov_b64 s[50:51], s[36:37]
                                        ; implicit-def: $sgpr46_sgpr47
                                        ; implicit-def: $sgpr48_sgpr49
                                        ; implicit-def: $sgpr14_sgpr15
                                        ; implicit-def: $sgpr52_sgpr53
	s_branch .LBB1483_1319
.LBB1483_1318:                          ;   in Loop: Header=BB1483_1319 Depth=1
	s_or_b64 exec, exec, s[56:57]
	s_and_b64 s[16:17], exec, s[48:49]
	s_or_b64 s[44:45], s[16:17], s[44:45]
	s_andn2_b64 s[16:17], s[52:53], exec
	s_and_b64 s[52:53], s[54:55], exec
	s_or_b64 s[52:53], s[16:17], s[52:53]
	s_andn2_b64 s[16:17], s[46:47], exec
	s_and_b64 s[46:47], s[14:15], exec
	s_or_b64 s[46:47], s[16:17], s[46:47]
	s_andn2_b64 exec, exec, s[44:45]
	s_cbranch_execz .LBB1483_1321
.LBB1483_1319:                          ; =>This Inner Loop Header: Depth=1
	global_load_dword v36, v[4:5], off
	global_load_dword v37, v[6:7], off
	s_andn2_b64 s[56:57], s[14:15], exec
	s_or_b64 s[48:49], s[48:49], exec
	s_waitcnt vmcnt(0)
	v_cmp_le_u32_e64 s[14:15], v36, v37
	v_cmp_lt_u32_e32 vcc, v36, v37
	s_and_b64 s[14:15], s[14:15], s[52:53]
	s_or_b64 s[54:55], vcc, s[14:15]
	s_and_b64 s[14:15], s[54:55], exec
	v_cmp_eq_u32_e64 s[16:17], v36, v37
	s_or_b64 s[14:15], s[56:57], s[14:15]
	s_and_saveexec_b64 s[56:57], s[16:17]
	s_cbranch_execz .LBB1483_1318
; %bb.1320:                             ;   in Loop: Header=BB1483_1319 Depth=1
	s_add_u32 s50, s50, -1
	s_addc_u32 s51, s51, -1
	s_cmp_eq_u64 s[50:51], 0
	s_cselect_b64 s[16:17], -1, 0
	s_andn2_b64 s[48:49], s[48:49], exec
	s_and_b64 s[16:17], s[16:17], exec
	v_lshl_add_u64 v[4:5], v[4:5], 0, 4
	v_lshl_add_u64 v[6:7], v[6:7], 0, 4
	s_andn2_b64 s[14:15], s[14:15], exec
	s_or_b64 s[48:49], s[48:49], s[16:17]
                                        ; implicit-def: $sgpr52_sgpr53
	s_branch .LBB1483_1318
.LBB1483_1321:
	s_or_b64 exec, exec, s[44:45]
	s_xor_b64 s[14:15], s[46:47], -1
	s_branch .LBB1483_1323
.LBB1483_1322:
	s_mov_b64 s[14:15], -1
.LBB1483_1323:
	s_and_b64 s[14:15], s[14:15], exec
.LBB1483_1324:
	s_or_b64 exec, exec, s[26:27]
	s_orn2_b64 s[26:27], s[14:15], exec
.LBB1483_1325:
	s_or_b64 exec, exec, s[30:31]
	v_cndmask_b32_e64 v4, v8, v9, s[26:27]
	v_cndmask_b32_e64 v5, v25, v24, s[26:27]
	v_add_u32_e32 v6, 1, v4
	v_add_u32_e32 v4, -1, v5
	v_min_u32_e32 v4, v6, v4
	v_lshl_add_u32 v4, v4, 3, v33
	ds_read_b64 v[4:5], v4
	v_cndmask_b32_e64 v42, v6, v8, s[26:27]
	v_cndmask_b32_e64 v43, v9, v6, s[26:27]
	v_cmp_lt_u32_e32 vcc, v42, v25
	s_waitcnt lgkmcnt(0)
	v_cndmask_b32_e64 v36, v5, v12, s[26:27]
	v_cndmask_b32_e64 v37, v4, v34, s[26:27]
	;; [unrolled: 1-line block ×4, first 2 shown]
	s_and_saveexec_b64 s[30:31], vcc
	s_cbranch_execz .LBB1483_1336
; %bb.1326:
	v_cmp_lt_u32_e32 vcc, v43, v24
	s_mov_b64 s[14:15], 0
	s_and_saveexec_b64 s[28:29], vcc
	s_cbranch_execz .LBB1483_1335
; %bb.1327:
	s_andn2_b64 vcc, exec, s[42:43]
	s_cbranch_vccnz .LBB1483_1333
; %bb.1328:
	v_mul_lo_u32 v6, v36, s36
	v_mul_lo_u32 v7, v37, s37
	v_mad_u64_u32 v[4:5], s[14:15], v37, s36, 0
	v_add3_u32 v5, v5, v7, v6
	v_mul_lo_u32 v8, v38, s36
	v_mul_lo_u32 v9, v39, s37
	v_mad_u64_u32 v[6:7], s[14:15], v39, s36, 0
	v_add3_u32 v7, v7, v9, v8
	v_lshl_add_u64 v[4:5], v[4:5], 2, s[38:39]
	v_lshl_add_u64 v[6:7], v[6:7], 2, s[38:39]
	s_mov_b64 s[44:45], 0
	s_mov_b64 s[50:51], s[36:37]
                                        ; implicit-def: $sgpr46_sgpr47
                                        ; implicit-def: $sgpr48_sgpr49
                                        ; implicit-def: $sgpr14_sgpr15
                                        ; implicit-def: $sgpr52_sgpr53
	s_branch .LBB1483_1330
.LBB1483_1329:                          ;   in Loop: Header=BB1483_1330 Depth=1
	s_or_b64 exec, exec, s[56:57]
	s_and_b64 s[16:17], exec, s[48:49]
	s_or_b64 s[44:45], s[16:17], s[44:45]
	s_andn2_b64 s[16:17], s[52:53], exec
	s_and_b64 s[52:53], s[54:55], exec
	s_or_b64 s[52:53], s[16:17], s[52:53]
	s_andn2_b64 s[16:17], s[46:47], exec
	s_and_b64 s[46:47], s[14:15], exec
	s_or_b64 s[46:47], s[16:17], s[46:47]
	s_andn2_b64 exec, exec, s[44:45]
	s_cbranch_execz .LBB1483_1332
.LBB1483_1330:                          ; =>This Inner Loop Header: Depth=1
	global_load_dword v8, v[4:5], off
	global_load_dword v9, v[6:7], off
	s_andn2_b64 s[56:57], s[14:15], exec
	s_or_b64 s[48:49], s[48:49], exec
	s_waitcnt vmcnt(0)
	v_cmp_le_u32_e64 s[14:15], v8, v9
	v_cmp_lt_u32_e32 vcc, v8, v9
	s_and_b64 s[14:15], s[14:15], s[52:53]
	s_or_b64 s[54:55], vcc, s[14:15]
	s_and_b64 s[14:15], s[54:55], exec
	v_cmp_eq_u32_e64 s[16:17], v8, v9
	s_or_b64 s[14:15], s[56:57], s[14:15]
	s_and_saveexec_b64 s[56:57], s[16:17]
	s_cbranch_execz .LBB1483_1329
; %bb.1331:                             ;   in Loop: Header=BB1483_1330 Depth=1
	s_add_u32 s50, s50, -1
	s_addc_u32 s51, s51, -1
	s_cmp_eq_u64 s[50:51], 0
	s_cselect_b64 s[16:17], -1, 0
	s_andn2_b64 s[48:49], s[48:49], exec
	s_and_b64 s[16:17], s[16:17], exec
	v_lshl_add_u64 v[4:5], v[4:5], 0, 4
	v_lshl_add_u64 v[6:7], v[6:7], 0, 4
	s_andn2_b64 s[14:15], s[14:15], exec
	s_or_b64 s[48:49], s[48:49], s[16:17]
                                        ; implicit-def: $sgpr52_sgpr53
	s_branch .LBB1483_1329
.LBB1483_1332:
	s_or_b64 exec, exec, s[44:45]
	s_xor_b64 s[14:15], s[46:47], -1
	s_branch .LBB1483_1334
.LBB1483_1333:
	s_mov_b64 s[14:15], -1
.LBB1483_1334:
	s_and_b64 s[14:15], s[14:15], exec
.LBB1483_1335:
	s_or_b64 exec, exec, s[28:29]
	s_orn2_b64 s[28:29], s[14:15], exec
.LBB1483_1336:
	s_or_b64 exec, exec, s[30:31]
	v_cndmask_b32_e64 v4, v42, v43, s[28:29]
	v_cndmask_b32_e64 v5, v25, v24, s[28:29]
	v_add_u32_e32 v6, 1, v4
	v_add_u32_e32 v4, -1, v5
	v_min_u32_e32 v4, v6, v4
	v_lshl_add_u32 v4, v4, 3, v33
	ds_read_b64 v[4:5], v4
	v_cndmask_b32_e64 v44, v6, v42, s[28:29]
	v_cndmask_b32_e64 v48, v43, v6, s[28:29]
	v_cmp_lt_u32_e32 vcc, v44, v25
	s_mov_b64 s[30:31], -1
	s_waitcnt lgkmcnt(0)
	v_cndmask_b32_e64 v8, v5, v36, s[28:29]
	v_cndmask_b32_e64 v40, v4, v37, s[28:29]
	;; [unrolled: 1-line block ×4, first 2 shown]
	s_mov_b64 s[44:45], -1
	s_and_saveexec_b64 s[46:47], vcc
	s_cbranch_execz .LBB1483_1347
; %bb.1337:
	v_cmp_lt_u32_e32 vcc, v48, v24
	s_mov_b64 s[14:15], 0
	s_and_saveexec_b64 s[44:45], vcc
	s_cbranch_execz .LBB1483_1346
; %bb.1338:
	s_andn2_b64 vcc, exec, s[42:43]
	s_cbranch_vccnz .LBB1483_1344
; %bb.1339:
	v_mul_lo_u32 v6, v8, s36
	v_mul_lo_u32 v7, v40, s37
	v_mad_u64_u32 v[4:5], s[14:15], v40, s36, 0
	v_add3_u32 v5, v5, v7, v6
	v_mul_lo_u32 v42, v9, s36
	v_mul_lo_u32 v43, v41, s37
	v_mad_u64_u32 v[6:7], s[14:15], v41, s36, 0
	v_add3_u32 v7, v7, v43, v42
	v_lshl_add_u64 v[4:5], v[4:5], 2, s[38:39]
	v_lshl_add_u64 v[6:7], v[6:7], 2, s[38:39]
	s_mov_b64 s[48:49], 0
	s_mov_b64 s[54:55], s[36:37]
                                        ; implicit-def: $sgpr50_sgpr51
                                        ; implicit-def: $sgpr52_sgpr53
                                        ; implicit-def: $sgpr14_sgpr15
                                        ; implicit-def: $sgpr56_sgpr57
	s_branch .LBB1483_1341
.LBB1483_1340:                          ;   in Loop: Header=BB1483_1341 Depth=1
	s_or_b64 exec, exec, s[60:61]
	s_and_b64 s[16:17], exec, s[52:53]
	s_or_b64 s[48:49], s[16:17], s[48:49]
	s_andn2_b64 s[16:17], s[56:57], exec
	s_and_b64 s[56:57], s[58:59], exec
	s_or_b64 s[56:57], s[16:17], s[56:57]
	s_andn2_b64 s[16:17], s[50:51], exec
	s_and_b64 s[50:51], s[14:15], exec
	s_or_b64 s[50:51], s[16:17], s[50:51]
	s_andn2_b64 exec, exec, s[48:49]
	s_cbranch_execz .LBB1483_1343
.LBB1483_1341:                          ; =>This Inner Loop Header: Depth=1
	global_load_dword v42, v[4:5], off
	global_load_dword v43, v[6:7], off
	s_andn2_b64 s[60:61], s[14:15], exec
	s_or_b64 s[52:53], s[52:53], exec
	s_waitcnt vmcnt(0)
	v_cmp_le_u32_e64 s[14:15], v42, v43
	v_cmp_lt_u32_e32 vcc, v42, v43
	s_and_b64 s[14:15], s[14:15], s[56:57]
	s_or_b64 s[58:59], vcc, s[14:15]
	s_and_b64 s[14:15], s[58:59], exec
	v_cmp_eq_u32_e64 s[16:17], v42, v43
	s_or_b64 s[14:15], s[60:61], s[14:15]
	s_and_saveexec_b64 s[60:61], s[16:17]
	s_cbranch_execz .LBB1483_1340
; %bb.1342:                             ;   in Loop: Header=BB1483_1341 Depth=1
	s_add_u32 s54, s54, -1
	s_addc_u32 s55, s55, -1
	s_cmp_eq_u64 s[54:55], 0
	s_cselect_b64 s[16:17], -1, 0
	s_andn2_b64 s[52:53], s[52:53], exec
	s_and_b64 s[16:17], s[16:17], exec
	v_lshl_add_u64 v[4:5], v[4:5], 0, 4
	v_lshl_add_u64 v[6:7], v[6:7], 0, 4
	s_andn2_b64 s[14:15], s[14:15], exec
	s_or_b64 s[52:53], s[52:53], s[16:17]
                                        ; implicit-def: $sgpr56_sgpr57
	s_branch .LBB1483_1340
.LBB1483_1343:
	s_or_b64 exec, exec, s[48:49]
	s_xor_b64 s[14:15], s[50:51], -1
	s_branch .LBB1483_1345
.LBB1483_1344:
	s_mov_b64 s[14:15], -1
.LBB1483_1345:
	s_and_b64 s[14:15], s[14:15], exec
.LBB1483_1346:
	s_or_b64 exec, exec, s[44:45]
	s_orn2_b64 s[44:45], s[14:15], exec
.LBB1483_1347:
	s_or_b64 exec, exec, s[46:47]
	v_cndmask_b32_e64 v4, v44, v48, s[44:45]
	v_cndmask_b32_e64 v5, v25, v24, s[44:45]
	v_add_u32_e32 v6, 1, v4
	v_add_u32_e32 v4, -1, v5
	v_min_u32_e32 v4, v6, v4
	v_lshl_add_u32 v4, v4, 3, v33
	ds_read_b64 v[4:5], v4
	v_cndmask_b32_e64 v45, v6, v44, s[44:45]
	v_cndmask_b32_e64 v44, v48, v6, s[44:45]
	v_cmp_lt_u32_e32 vcc, v45, v25
	s_waitcnt lgkmcnt(0)
	v_cndmask_b32_e64 v42, v5, v8, s[44:45]
	v_cndmask_b32_e64 v43, v4, v40, s[44:45]
	;; [unrolled: 1-line block ×4, first 2 shown]
	s_and_saveexec_b64 s[46:47], vcc
	s_cbranch_execz .LBB1483_1358
; %bb.1348:
	v_cmp_lt_u32_e32 vcc, v44, v24
	s_mov_b64 s[14:15], 0
	s_and_saveexec_b64 s[30:31], vcc
	s_cbranch_execz .LBB1483_1357
; %bb.1349:
	s_andn2_b64 vcc, exec, s[42:43]
	s_cbranch_vccnz .LBB1483_1355
; %bb.1350:
	v_mul_lo_u32 v6, v42, s36
	v_mul_lo_u32 v7, v43, s37
	v_mad_u64_u32 v[4:5], s[14:15], v43, s36, 0
	v_add3_u32 v5, v5, v7, v6
	v_mul_lo_u32 v48, v46, s36
	v_mul_lo_u32 v49, v47, s37
	v_mad_u64_u32 v[6:7], s[14:15], v47, s36, 0
	v_add3_u32 v7, v7, v49, v48
	v_lshl_add_u64 v[4:5], v[4:5], 2, s[38:39]
	v_lshl_add_u64 v[6:7], v[6:7], 2, s[38:39]
	s_mov_b64 s[48:49], 0
	s_mov_b64 s[54:55], s[36:37]
                                        ; implicit-def: $sgpr50_sgpr51
                                        ; implicit-def: $sgpr52_sgpr53
                                        ; implicit-def: $sgpr14_sgpr15
                                        ; implicit-def: $sgpr56_sgpr57
	s_branch .LBB1483_1352
.LBB1483_1351:                          ;   in Loop: Header=BB1483_1352 Depth=1
	s_or_b64 exec, exec, s[60:61]
	s_and_b64 s[16:17], exec, s[52:53]
	s_or_b64 s[48:49], s[16:17], s[48:49]
	s_andn2_b64 s[16:17], s[56:57], exec
	s_and_b64 s[56:57], s[58:59], exec
	s_or_b64 s[56:57], s[16:17], s[56:57]
	s_andn2_b64 s[16:17], s[50:51], exec
	s_and_b64 s[50:51], s[14:15], exec
	s_or_b64 s[50:51], s[16:17], s[50:51]
	s_andn2_b64 exec, exec, s[48:49]
	s_cbranch_execz .LBB1483_1354
.LBB1483_1352:                          ; =>This Inner Loop Header: Depth=1
	global_load_dword v48, v[4:5], off
	global_load_dword v49, v[6:7], off
	s_andn2_b64 s[60:61], s[14:15], exec
	s_or_b64 s[52:53], s[52:53], exec
	s_waitcnt vmcnt(0)
	v_cmp_le_u32_e64 s[14:15], v48, v49
	v_cmp_lt_u32_e32 vcc, v48, v49
	s_and_b64 s[14:15], s[14:15], s[56:57]
	s_or_b64 s[58:59], vcc, s[14:15]
	s_and_b64 s[14:15], s[58:59], exec
	v_cmp_eq_u32_e64 s[16:17], v48, v49
	s_or_b64 s[14:15], s[60:61], s[14:15]
	s_and_saveexec_b64 s[60:61], s[16:17]
	s_cbranch_execz .LBB1483_1351
; %bb.1353:                             ;   in Loop: Header=BB1483_1352 Depth=1
	s_add_u32 s54, s54, -1
	s_addc_u32 s55, s55, -1
	s_cmp_eq_u64 s[54:55], 0
	s_cselect_b64 s[16:17], -1, 0
	s_andn2_b64 s[52:53], s[52:53], exec
	s_and_b64 s[16:17], s[16:17], exec
	v_lshl_add_u64 v[4:5], v[4:5], 0, 4
	v_lshl_add_u64 v[6:7], v[6:7], 0, 4
	s_andn2_b64 s[14:15], s[14:15], exec
	s_or_b64 s[52:53], s[52:53], s[16:17]
                                        ; implicit-def: $sgpr56_sgpr57
	s_branch .LBB1483_1351
.LBB1483_1354:
	s_or_b64 exec, exec, s[48:49]
	s_xor_b64 s[14:15], s[50:51], -1
	s_branch .LBB1483_1356
.LBB1483_1355:
	s_mov_b64 s[14:15], -1
.LBB1483_1356:
	s_and_b64 s[14:15], s[14:15], exec
.LBB1483_1357:
	s_or_b64 exec, exec, s[30:31]
	s_orn2_b64 s[30:31], s[14:15], exec
.LBB1483_1358:
	s_or_b64 exec, exec, s[46:47]
	v_cndmask_b32_e64 v4, v45, v44, s[30:31]
	v_cndmask_b32_e64 v5, v25, v24, s[30:31]
	;; [unrolled: 1-line block ×4, first 2 shown]
	v_add_u32_e32 v34, 1, v4
	v_add_u32_e32 v4, -1, v5
	v_min_u32_e32 v4, v34, v4
	v_lshl_add_u32 v4, v4, 3, v33
	v_cndmask_b32_e64 v11, v10, v11, s[24:25]
	v_cndmask_b32_e64 v10, v17, v23, s[24:25]
	;; [unrolled: 1-line block ×4, first 2 shown]
	ds_read_b64 v[22:23], v4
	v_cndmask_b32_e64 v14, v2, v0, s[20:21]
	v_cndmask_b32_e64 v0, v34, v45, s[30:31]
	;; [unrolled: 1-line block ×9, first 2 shown]
	s_waitcnt lgkmcnt(0)
	v_cndmask_b32_e64 v5, v46, v23, s[30:31]
	v_cndmask_b32_e64 v4, v47, v22, s[30:31]
	v_cmp_lt_u32_e32 vcc, v0, v25
	s_and_saveexec_b64 s[20:21], vcc
	s_cbranch_execz .LBB1483_1368
; %bb.1359:
	v_cndmask_b32_e64 v0, v22, v43, s[30:31]
	v_cndmask_b32_e64 v22, v44, v34, s[30:31]
	;; [unrolled: 1-line block ×3, first 2 shown]
	v_cmp_lt_u32_e32 vcc, v22, v24
	s_and_saveexec_b64 s[22:23], vcc
	s_cbranch_execz .LBB1483_1367
; %bb.1360:
	s_andn2_b64 vcc, exec, s[42:43]
	s_cbranch_vccnz .LBB1483_1366
; %bb.1361:
	v_mul_lo_u32 v24, v1, s36
	v_mul_lo_u32 v25, v0, s37
	v_mad_u64_u32 v[22:23], s[14:15], v0, s36, 0
	v_add3_u32 v23, v23, v25, v24
	v_mul_lo_u32 v33, v5, s36
	v_mul_lo_u32 v34, v4, s37
	v_mad_u64_u32 v[24:25], s[14:15], v4, s36, 0
	v_add3_u32 v25, v25, v34, v33
	v_lshl_add_u64 v[22:23], v[22:23], 2, s[38:39]
	v_lshl_add_u64 v[24:25], v[24:25], 2, s[38:39]
	s_mov_b64 s[24:25], 0
	s_mov_b64 s[30:31], s[36:37]
                                        ; implicit-def: $sgpr26_sgpr27
                                        ; implicit-def: $sgpr28_sgpr29
                                        ; implicit-def: $sgpr14_sgpr15
                                        ; implicit-def: $sgpr44_sgpr45
	s_branch .LBB1483_1363
.LBB1483_1362:                          ;   in Loop: Header=BB1483_1363 Depth=1
	s_or_b64 exec, exec, s[48:49]
	s_and_b64 s[16:17], exec, s[28:29]
	s_or_b64 s[24:25], s[16:17], s[24:25]
	s_andn2_b64 s[16:17], s[44:45], exec
	s_and_b64 s[44:45], s[46:47], exec
	s_or_b64 s[44:45], s[16:17], s[44:45]
	s_andn2_b64 s[16:17], s[26:27], exec
	s_and_b64 s[26:27], s[14:15], exec
	s_or_b64 s[26:27], s[16:17], s[26:27]
	s_andn2_b64 exec, exec, s[24:25]
	s_cbranch_execz .LBB1483_1365
.LBB1483_1363:                          ; =>This Inner Loop Header: Depth=1
	global_load_dword v33, v[22:23], off
	global_load_dword v34, v[24:25], off
	s_andn2_b64 s[48:49], s[14:15], exec
	s_or_b64 s[28:29], s[28:29], exec
	s_waitcnt vmcnt(0)
	v_cmp_le_u32_e64 s[14:15], v33, v34
	v_cmp_lt_u32_e32 vcc, v33, v34
	s_and_b64 s[14:15], s[14:15], s[44:45]
	s_or_b64 s[46:47], vcc, s[14:15]
	s_and_b64 s[14:15], s[46:47], exec
	v_cmp_eq_u32_e64 s[16:17], v33, v34
	s_or_b64 s[14:15], s[48:49], s[14:15]
	s_and_saveexec_b64 s[48:49], s[16:17]
	s_cbranch_execz .LBB1483_1362
; %bb.1364:                             ;   in Loop: Header=BB1483_1363 Depth=1
	s_add_u32 s30, s30, -1
	s_addc_u32 s31, s31, -1
	s_cmp_eq_u64 s[30:31], 0
	s_cselect_b64 s[16:17], -1, 0
	s_andn2_b64 s[28:29], s[28:29], exec
	s_and_b64 s[16:17], s[16:17], exec
	v_lshl_add_u64 v[22:23], v[22:23], 0, 4
	v_lshl_add_u64 v[24:25], v[24:25], 0, 4
	s_andn2_b64 s[14:15], s[14:15], exec
	s_or_b64 s[28:29], s[28:29], s[16:17]
                                        ; implicit-def: $sgpr44_sgpr45
	s_branch .LBB1483_1362
.LBB1483_1365:
	s_or_b64 exec, exec, s[24:25]
	v_cndmask_b32_e64 v5, v5, v1, s[26:27]
	v_cndmask_b32_e64 v4, v4, v0, s[26:27]
.LBB1483_1366:
	v_mov_b64_e32 v[0:1], v[4:5]
.LBB1483_1367:
	s_or_b64 exec, exec, s[22:23]
	v_mov_b64_e32 v[4:5], v[0:1]
.LBB1483_1368:
	s_or_b64 exec, exec, s[20:21]
.LBB1483_1369:
	s_or_b64 exec, exec, s[18:19]
	s_cmpk_lt_u32 s33, 0x81
	; wave barrier
	s_waitcnt lgkmcnt(0)
	s_barrier
	s_cbranch_scc1 .LBB1483_1473
; %bb.1370:
	v_cndmask_b32_e64 v0, 0, 1, s[42:43]
	v_lshlrev_b32_e32 v24, 3, v20
	s_lshl_b64 s[20:21], s[36:37], 2
	s_movk_i32 s66, 0x80
	v_cmp_ne_u32_e64 s[14:15], 1, v0
	s_branch .LBB1483_1376
.LBB1483_1371:                          ;   in Loop: Header=BB1483_1376 Depth=1
	s_or_b64 exec, exec, s[52:53]
	v_cndmask_b32_e64 v5, v5, v7, s[54:55]
	v_cndmask_b32_e64 v4, v4, v6, s[54:55]
.LBB1483_1372:                          ;   in Loop: Header=BB1483_1376 Depth=1
	v_mov_b64_e32 v[6:7], v[4:5]
.LBB1483_1373:                          ;   in Loop: Header=BB1483_1376 Depth=1
	s_or_b64 exec, exec, s[50:51]
	v_mov_b64_e32 v[4:5], v[6:7]
.LBB1483_1374:                          ;   in Loop: Header=BB1483_1376 Depth=1
	s_or_b64 exec, exec, s[48:49]
	v_cndmask_b32_e64 v9, v42, v44, s[46:47]
	v_cndmask_b32_e64 v8, v43, v45, s[46:47]
	;; [unrolled: 1-line block ×14, first 2 shown]
.LBB1483_1375:                          ;   in Loop: Header=BB1483_1376 Depth=1
	s_or_b64 exec, exec, s[22:23]
	s_cmp_lt_u32 s66, s33
	s_barrier
	s_cbranch_scc0 .LBB1483_1473
.LBB1483_1376:                          ; =>This Loop Header: Depth=1
                                        ;     Child Loop BB1483_1380 Depth 2
                                        ;       Child Loop BB1483_1383 Depth 3
                                        ;     Child Loop BB1483_1395 Depth 2
                                        ;     Child Loop BB1483_1405 Depth 2
	;; [unrolled: 1-line block ×8, first 2 shown]
	s_mov_b32 s16, s66
	s_lshl_b32 s66, s66, 1
	s_sub_i32 s18, 0, s66
	v_and_b32_e32 v36, s18, v20
	v_add_u32_e32 v0, s16, v36
	v_min_u32_e32 v25, s33, v0
	s_add_i32 s17, s66, -1
	v_add_u32_e32 v0, s16, v25
	v_min_u32_e32 v33, s33, v0
	v_and_b32_e32 v0, s17, v20
	v_min_u32_e32 v37, s33, v0
	v_sub_u32_e32 v0, v25, v36
	v_sub_u32_e32 v1, v33, v25
	v_sub_u32_e64 v35, v37, v1 clamp
	v_min_u32_e32 v38, v37, v0
	v_lshlrev_b32_e32 v34, 3, v36
	v_cmp_lt_u32_e32 vcc, v35, v38
	ds_write_b128 v24, v[14:17]
	ds_write_b128 v24, v[10:13] offset:16
	ds_write_b128 v24, v[6:9] offset:32
	;; [unrolled: 1-line block ×3, first 2 shown]
	s_waitcnt lgkmcnt(0)
	s_barrier
	s_and_saveexec_b64 s[22:23], vcc
	s_cbranch_execz .LBB1483_1386
; %bb.1377:                             ;   in Loop: Header=BB1483_1376 Depth=1
	v_lshlrev_b32_e32 v0, 3, v37
	v_lshl_add_u32 v39, v25, 3, v0
	s_mov_b64 s[24:25], 0
	s_branch .LBB1483_1380
.LBB1483_1378:                          ;   in Loop: Header=BB1483_1380 Depth=2
	s_or_b64 exec, exec, s[28:29]
.LBB1483_1379:                          ;   in Loop: Header=BB1483_1380 Depth=2
	v_add_u32_e32 v0, 1, v40
	v_cndmask_b32_e64 v38, v38, v40, s[26:27]
	v_cndmask_b32_e64 v35, v0, v35, s[26:27]
	v_cmp_ge_u32_e32 vcc, v35, v38
	s_or_b64 s[24:25], vcc, s[24:25]
	s_andn2_b64 exec, exec, s[24:25]
	s_cbranch_execz .LBB1483_1385
.LBB1483_1380:                          ;   Parent Loop BB1483_1376 Depth=1
                                        ; =>  This Loop Header: Depth=2
                                        ;       Child Loop BB1483_1383 Depth 3
	v_add_u32_e32 v0, v38, v35
	v_lshrrev_b32_e32 v40, 1, v0
	s_and_b64 vcc, exec, s[14:15]
	s_mov_b64 s[26:27], 0
	s_cbranch_vccnz .LBB1483_1379
; %bb.1381:                             ;   in Loop: Header=BB1483_1380 Depth=2
	v_not_b32_e32 v0, v40
	v_lshl_add_u32 v0, v0, 3, v39
	ds_read_b64 v[0:1], v0
	v_lshl_add_u32 v41, v40, 3, v34
	ds_read_b64 v[42:43], v41
	v_mov_b64_e32 v[22:23], s[38:39]
	s_mov_b64 s[28:29], 0
	s_waitcnt lgkmcnt(1)
	v_mul_lo_u32 v41, s20, v1
	v_mul_lo_u32 v44, s21, v0
	v_mad_u64_u32 v[0:1], s[16:17], s20, v0, v[22:23]
	v_add3_u32 v1, v44, v1, v41
	s_waitcnt lgkmcnt(0)
	v_mul_lo_u32 v41, s20, v43
	v_mul_lo_u32 v43, s21, v42
	v_mad_u64_u32 v[22:23], s[16:17], s20, v42, v[22:23]
	v_add3_u32 v23, v43, v23, v41
	s_mov_b64 s[42:43], s[36:37]
                                        ; implicit-def: $sgpr26_sgpr27
                                        ; implicit-def: $sgpr30_sgpr31
                                        ; implicit-def: $sgpr16_sgpr17
                                        ; implicit-def: $sgpr44_sgpr45
	s_branch .LBB1483_1383
.LBB1483_1382:                          ;   in Loop: Header=BB1483_1383 Depth=3
	s_or_b64 exec, exec, s[48:49]
	s_and_b64 s[18:19], exec, s[30:31]
	s_or_b64 s[28:29], s[18:19], s[28:29]
	s_andn2_b64 s[18:19], s[44:45], exec
	s_and_b64 s[44:45], s[46:47], exec
	s_or_b64 s[44:45], s[18:19], s[44:45]
	s_andn2_b64 s[18:19], s[26:27], exec
	s_and_b64 s[26:27], s[16:17], exec
	s_or_b64 s[26:27], s[18:19], s[26:27]
	s_andn2_b64 exec, exec, s[28:29]
	s_cbranch_execz .LBB1483_1378
.LBB1483_1383:                          ;   Parent Loop BB1483_1376 Depth=1
                                        ;     Parent Loop BB1483_1380 Depth=2
                                        ; =>    This Inner Loop Header: Depth=3
	global_load_dword v41, v[0:1], off
	global_load_dword v42, v[22:23], off
	s_andn2_b64 s[48:49], s[16:17], exec
	s_or_b64 s[30:31], s[30:31], exec
	s_waitcnt vmcnt(0)
	v_cmp_le_u32_e64 s[16:17], v41, v42
	v_cmp_lt_u32_e32 vcc, v41, v42
	s_and_b64 s[16:17], s[16:17], s[44:45]
	s_or_b64 s[46:47], vcc, s[16:17]
	s_and_b64 s[16:17], s[46:47], exec
	v_cmp_eq_u32_e64 s[18:19], v41, v42
	s_or_b64 s[16:17], s[48:49], s[16:17]
	s_and_saveexec_b64 s[48:49], s[18:19]
	s_cbranch_execz .LBB1483_1382
; %bb.1384:                             ;   in Loop: Header=BB1483_1383 Depth=3
	s_add_u32 s42, s42, -1
	s_addc_u32 s43, s43, -1
	s_cmp_eq_u64 s[42:43], 0
	s_cselect_b64 s[18:19], -1, 0
	s_andn2_b64 s[30:31], s[30:31], exec
	s_and_b64 s[18:19], s[18:19], exec
	v_lshl_add_u64 v[0:1], v[0:1], 0, 4
	v_lshl_add_u64 v[22:23], v[22:23], 0, 4
	s_andn2_b64 s[16:17], s[16:17], exec
	s_or_b64 s[30:31], s[30:31], s[18:19]
                                        ; implicit-def: $sgpr44_sgpr45
	s_branch .LBB1483_1382
.LBB1483_1385:                          ;   in Loop: Header=BB1483_1376 Depth=1
	s_or_b64 exec, exec, s[24:25]
.LBB1483_1386:                          ;   in Loop: Header=BB1483_1376 Depth=1
	s_or_b64 exec, exec, s[22:23]
	v_sub_u32_e32 v0, v37, v35
	v_add_u32_e32 v23, v35, v36
	v_add_u32_e32 v36, v0, v25
	v_cmp_le_u32_e32 vcc, v23, v25
	v_cmp_le_u32_e64 s[16:17], v36, v33
	s_or_b64 s[16:17], vcc, s[16:17]
	s_and_saveexec_b64 s[22:23], s[16:17]
	s_cbranch_execz .LBB1483_1375
; %bb.1387:                             ;   in Loop: Header=BB1483_1376 Depth=1
	v_cmp_ge_u32_e32 vcc, v23, v25
	v_cmp_lt_u32_e64 s[16:17], v23, v25
                                        ; implicit-def: $vgpr0_vgpr1
	s_and_saveexec_b64 s[18:19], s[16:17]
; %bb.1388:                             ;   in Loop: Header=BB1483_1376 Depth=1
	v_lshl_add_u32 v0, v35, 3, v34
	ds_read_b64 v[0:1], v0
; %bb.1389:                             ;   in Loop: Header=BB1483_1376 Depth=1
	s_or_b64 exec, exec, s[18:19]
	v_cmp_ge_u32_e64 s[24:25], v36, v33
	v_cmp_lt_u32_e64 s[16:17], v36, v33
                                        ; implicit-def: $vgpr2_vgpr3
	s_and_saveexec_b64 s[18:19], s[16:17]
; %bb.1390:                             ;   in Loop: Header=BB1483_1376 Depth=1
	v_lshlrev_b32_e32 v2, 3, v36
	ds_read_b64 v[2:3], v2
; %bb.1391:                             ;   in Loop: Header=BB1483_1376 Depth=1
	s_or_b64 exec, exec, s[18:19]
	s_nor_b64 s[16:17], vcc, s[24:25]
	s_and_saveexec_b64 s[26:27], s[16:17]
	s_cbranch_execz .LBB1483_1400
; %bb.1392:                             ;   in Loop: Header=BB1483_1376 Depth=1
	s_and_b64 vcc, exec, s[14:15]
	s_cbranch_vccnz .LBB1483_1398
; %bb.1393:                             ;   in Loop: Header=BB1483_1376 Depth=1
	v_mov_b64_e32 v[6:7], s[38:39]
	s_waitcnt lgkmcnt(0)
	v_mad_u64_u32 v[4:5], s[16:17], s20, v2, v[6:7]
	v_mul_lo_u32 v8, s20, v3
	v_mul_lo_u32 v9, s21, v2
	v_add3_u32 v5, v9, v5, v8
	v_mad_u64_u32 v[6:7], s[16:17], s20, v0, v[6:7]
	v_mul_lo_u32 v8, s20, v1
	v_mul_lo_u32 v9, s21, v0
	v_add3_u32 v7, v9, v7, v8
	s_mov_b64 s[28:29], 0
	s_mov_b64 s[44:45], s[36:37]
                                        ; implicit-def: $sgpr30_sgpr31
                                        ; implicit-def: $sgpr42_sgpr43
                                        ; implicit-def: $sgpr16_sgpr17
                                        ; implicit-def: $sgpr46_sgpr47
	s_branch .LBB1483_1395
.LBB1483_1394:                          ;   in Loop: Header=BB1483_1395 Depth=2
	s_or_b64 exec, exec, s[50:51]
	s_and_b64 s[18:19], exec, s[42:43]
	s_or_b64 s[28:29], s[18:19], s[28:29]
	s_andn2_b64 s[18:19], s[46:47], exec
	s_and_b64 s[46:47], s[48:49], exec
	s_or_b64 s[46:47], s[18:19], s[46:47]
	s_andn2_b64 s[18:19], s[30:31], exec
	s_and_b64 s[30:31], s[16:17], exec
	s_or_b64 s[30:31], s[18:19], s[30:31]
	s_andn2_b64 exec, exec, s[28:29]
	s_cbranch_execz .LBB1483_1397
.LBB1483_1395:                          ;   Parent Loop BB1483_1376 Depth=1
                                        ; =>  This Inner Loop Header: Depth=2
	global_load_dword v8, v[4:5], off
	global_load_dword v9, v[6:7], off
	s_andn2_b64 s[50:51], s[16:17], exec
	s_or_b64 s[42:43], s[42:43], exec
	s_waitcnt vmcnt(0)
	v_cmp_le_u32_e64 s[16:17], v8, v9
	v_cmp_lt_u32_e32 vcc, v8, v9
	s_and_b64 s[16:17], s[16:17], s[46:47]
	s_or_b64 s[48:49], vcc, s[16:17]
	s_and_b64 s[16:17], s[48:49], exec
	v_cmp_eq_u32_e64 s[18:19], v8, v9
	s_or_b64 s[16:17], s[50:51], s[16:17]
	s_and_saveexec_b64 s[50:51], s[18:19]
	s_cbranch_execz .LBB1483_1394
; %bb.1396:                             ;   in Loop: Header=BB1483_1395 Depth=2
	s_add_u32 s44, s44, -1
	s_addc_u32 s45, s45, -1
	s_cmp_eq_u64 s[44:45], 0
	s_cselect_b64 s[18:19], -1, 0
	s_andn2_b64 s[42:43], s[42:43], exec
	s_and_b64 s[18:19], s[18:19], exec
	v_lshl_add_u64 v[4:5], v[4:5], 0, 4
	v_lshl_add_u64 v[6:7], v[6:7], 0, 4
	s_andn2_b64 s[16:17], s[16:17], exec
	s_or_b64 s[42:43], s[42:43], s[18:19]
                                        ; implicit-def: $sgpr46_sgpr47
	s_branch .LBB1483_1394
.LBB1483_1397:                          ;   in Loop: Header=BB1483_1376 Depth=1
	s_or_b64 exec, exec, s[28:29]
	s_xor_b64 s[16:17], s[30:31], -1
	s_branch .LBB1483_1399
.LBB1483_1398:                          ;   in Loop: Header=BB1483_1376 Depth=1
	s_mov_b64 s[16:17], -1
.LBB1483_1399:                          ;   in Loop: Header=BB1483_1376 Depth=1
	s_andn2_b64 s[18:19], s[24:25], exec
	s_and_b64 s[16:17], s[16:17], exec
	s_or_b64 s[24:25], s[18:19], s[16:17]
.LBB1483_1400:                          ;   in Loop: Header=BB1483_1376 Depth=1
	s_or_b64 exec, exec, s[26:27]
	v_cndmask_b32_e64 v4, v36, v23, s[24:25]
	v_cndmask_b32_e64 v5, v33, v25, s[24:25]
	v_add_u32_e32 v6, 1, v4
	v_add_u32_e32 v4, -1, v5
	v_min_u32_e32 v4, v6, v4
	v_lshlrev_b32_e32 v4, 3, v4
	ds_read_b64 v[4:5], v4
	v_cndmask_b32_e64 v8, v6, v36, s[24:25]
	v_cndmask_b32_e64 v9, v23, v6, s[24:25]
	v_cmp_lt_u32_e32 vcc, v8, v33
	s_mov_b64 s[28:29], -1
	s_waitcnt lgkmcnt(0)
	v_cndmask_b32_e64 v14, v5, v3, s[24:25]
	v_cndmask_b32_e64 v15, v4, v2, s[24:25]
	;; [unrolled: 1-line block ×4, first 2 shown]
	s_mov_b64 s[26:27], -1
	s_and_saveexec_b64 s[30:31], vcc
	s_cbranch_execz .LBB1483_1411
; %bb.1401:                             ;   in Loop: Header=BB1483_1376 Depth=1
	v_cmp_lt_u32_e32 vcc, v9, v25
	s_mov_b64 s[16:17], 0
	s_and_saveexec_b64 s[26:27], vcc
	s_cbranch_execz .LBB1483_1410
; %bb.1402:                             ;   in Loop: Header=BB1483_1376 Depth=1
	s_and_b64 vcc, exec, s[14:15]
	s_cbranch_vccnz .LBB1483_1408
; %bb.1403:                             ;   in Loop: Header=BB1483_1376 Depth=1
	v_mov_b64_e32 v[6:7], s[38:39]
	v_mad_u64_u32 v[4:5], s[16:17], s20, v15, v[6:7]
	v_mul_lo_u32 v10, s20, v14
	v_mul_lo_u32 v11, s21, v15
	v_add3_u32 v5, v11, v5, v10
	v_mad_u64_u32 v[6:7], s[16:17], s20, v22, v[6:7]
	v_mul_lo_u32 v10, s20, v16
	v_mul_lo_u32 v11, s21, v22
	v_add3_u32 v7, v11, v7, v10
	s_mov_b64 s[42:43], 0
	s_mov_b64 s[48:49], s[36:37]
                                        ; implicit-def: $sgpr44_sgpr45
                                        ; implicit-def: $sgpr46_sgpr47
                                        ; implicit-def: $sgpr16_sgpr17
                                        ; implicit-def: $sgpr50_sgpr51
	s_branch .LBB1483_1405
.LBB1483_1404:                          ;   in Loop: Header=BB1483_1405 Depth=2
	s_or_b64 exec, exec, s[54:55]
	s_and_b64 s[18:19], exec, s[46:47]
	s_or_b64 s[42:43], s[18:19], s[42:43]
	s_andn2_b64 s[18:19], s[50:51], exec
	s_and_b64 s[50:51], s[52:53], exec
	s_or_b64 s[50:51], s[18:19], s[50:51]
	s_andn2_b64 s[18:19], s[44:45], exec
	s_and_b64 s[44:45], s[16:17], exec
	s_or_b64 s[44:45], s[18:19], s[44:45]
	s_andn2_b64 exec, exec, s[42:43]
	s_cbranch_execz .LBB1483_1407
.LBB1483_1405:                          ;   Parent Loop BB1483_1376 Depth=1
                                        ; =>  This Inner Loop Header: Depth=2
	global_load_dword v10, v[4:5], off
	global_load_dword v11, v[6:7], off
	s_andn2_b64 s[54:55], s[16:17], exec
	s_or_b64 s[46:47], s[46:47], exec
	s_waitcnt vmcnt(0)
	v_cmp_le_u32_e64 s[16:17], v10, v11
	v_cmp_lt_u32_e32 vcc, v10, v11
	s_and_b64 s[16:17], s[16:17], s[50:51]
	s_or_b64 s[52:53], vcc, s[16:17]
	s_and_b64 s[16:17], s[52:53], exec
	v_cmp_eq_u32_e64 s[18:19], v10, v11
	s_or_b64 s[16:17], s[54:55], s[16:17]
	s_and_saveexec_b64 s[54:55], s[18:19]
	s_cbranch_execz .LBB1483_1404
; %bb.1406:                             ;   in Loop: Header=BB1483_1405 Depth=2
	s_add_u32 s48, s48, -1
	s_addc_u32 s49, s49, -1
	s_cmp_eq_u64 s[48:49], 0
	s_cselect_b64 s[18:19], -1, 0
	s_andn2_b64 s[46:47], s[46:47], exec
	s_and_b64 s[18:19], s[18:19], exec
	v_lshl_add_u64 v[4:5], v[4:5], 0, 4
	v_lshl_add_u64 v[6:7], v[6:7], 0, 4
	s_andn2_b64 s[16:17], s[16:17], exec
	s_or_b64 s[46:47], s[46:47], s[18:19]
                                        ; implicit-def: $sgpr50_sgpr51
	s_branch .LBB1483_1404
.LBB1483_1407:                          ;   in Loop: Header=BB1483_1376 Depth=1
	s_or_b64 exec, exec, s[42:43]
	s_xor_b64 s[16:17], s[44:45], -1
	s_branch .LBB1483_1409
.LBB1483_1408:                          ;   in Loop: Header=BB1483_1376 Depth=1
	s_mov_b64 s[16:17], -1
.LBB1483_1409:                          ;   in Loop: Header=BB1483_1376 Depth=1
	s_and_b64 s[16:17], s[16:17], exec
.LBB1483_1410:                          ;   in Loop: Header=BB1483_1376 Depth=1
	s_or_b64 exec, exec, s[26:27]
	s_orn2_b64 s[26:27], s[16:17], exec
.LBB1483_1411:                          ;   in Loop: Header=BB1483_1376 Depth=1
	s_or_b64 exec, exec, s[30:31]
	v_cndmask_b32_e64 v4, v8, v9, s[26:27]
	v_cndmask_b32_e64 v5, v33, v25, s[26:27]
	v_add_u32_e32 v6, 1, v4
	v_add_u32_e32 v4, -1, v5
	v_min_u32_e32 v4, v6, v4
	v_lshlrev_b32_e32 v4, 3, v4
	ds_read_b64 v[4:5], v4
	v_cndmask_b32_e64 v8, v6, v8, s[26:27]
	v_cndmask_b32_e64 v9, v9, v6, s[26:27]
	v_cmp_lt_u32_e32 vcc, v8, v33
	s_waitcnt lgkmcnt(0)
	v_cndmask_b32_e64 v17, v5, v14, s[26:27]
	v_cndmask_b32_e64 v23, v4, v15, s[26:27]
	;; [unrolled: 1-line block ×4, first 2 shown]
	s_and_saveexec_b64 s[30:31], vcc
	s_cbranch_execz .LBB1483_1422
; %bb.1412:                             ;   in Loop: Header=BB1483_1376 Depth=1
	v_cmp_lt_u32_e32 vcc, v9, v25
	s_mov_b64 s[16:17], 0
	s_and_saveexec_b64 s[28:29], vcc
	s_cbranch_execz .LBB1483_1421
; %bb.1413:                             ;   in Loop: Header=BB1483_1376 Depth=1
	s_and_b64 vcc, exec, s[14:15]
	s_cbranch_vccnz .LBB1483_1419
; %bb.1414:                             ;   in Loop: Header=BB1483_1376 Depth=1
	v_mov_b64_e32 v[6:7], s[38:39]
	v_mad_u64_u32 v[4:5], s[16:17], s20, v23, v[6:7]
	v_mul_lo_u32 v10, s20, v17
	v_mul_lo_u32 v11, s21, v23
	v_add3_u32 v5, v11, v5, v10
	v_mad_u64_u32 v[6:7], s[16:17], s20, v35, v[6:7]
	v_mul_lo_u32 v10, s20, v34
	v_mul_lo_u32 v11, s21, v35
	v_add3_u32 v7, v11, v7, v10
	s_mov_b64 s[42:43], 0
	s_mov_b64 s[48:49], s[36:37]
                                        ; implicit-def: $sgpr44_sgpr45
                                        ; implicit-def: $sgpr46_sgpr47
                                        ; implicit-def: $sgpr16_sgpr17
                                        ; implicit-def: $sgpr50_sgpr51
	s_branch .LBB1483_1416
.LBB1483_1415:                          ;   in Loop: Header=BB1483_1416 Depth=2
	s_or_b64 exec, exec, s[54:55]
	s_and_b64 s[18:19], exec, s[46:47]
	s_or_b64 s[42:43], s[18:19], s[42:43]
	s_andn2_b64 s[18:19], s[50:51], exec
	s_and_b64 s[50:51], s[52:53], exec
	s_or_b64 s[50:51], s[18:19], s[50:51]
	s_andn2_b64 s[18:19], s[44:45], exec
	s_and_b64 s[44:45], s[16:17], exec
	s_or_b64 s[44:45], s[18:19], s[44:45]
	s_andn2_b64 exec, exec, s[42:43]
	s_cbranch_execz .LBB1483_1418
.LBB1483_1416:                          ;   Parent Loop BB1483_1376 Depth=1
                                        ; =>  This Inner Loop Header: Depth=2
	global_load_dword v10, v[4:5], off
	global_load_dword v11, v[6:7], off
	s_andn2_b64 s[54:55], s[16:17], exec
	s_or_b64 s[46:47], s[46:47], exec
	s_waitcnt vmcnt(0)
	v_cmp_le_u32_e64 s[16:17], v10, v11
	v_cmp_lt_u32_e32 vcc, v10, v11
	s_and_b64 s[16:17], s[16:17], s[50:51]
	s_or_b64 s[52:53], vcc, s[16:17]
	s_and_b64 s[16:17], s[52:53], exec
	v_cmp_eq_u32_e64 s[18:19], v10, v11
	s_or_b64 s[16:17], s[54:55], s[16:17]
	s_and_saveexec_b64 s[54:55], s[18:19]
	s_cbranch_execz .LBB1483_1415
; %bb.1417:                             ;   in Loop: Header=BB1483_1416 Depth=2
	s_add_u32 s48, s48, -1
	s_addc_u32 s49, s49, -1
	s_cmp_eq_u64 s[48:49], 0
	s_cselect_b64 s[18:19], -1, 0
	s_andn2_b64 s[46:47], s[46:47], exec
	s_and_b64 s[18:19], s[18:19], exec
	v_lshl_add_u64 v[4:5], v[4:5], 0, 4
	v_lshl_add_u64 v[6:7], v[6:7], 0, 4
	s_andn2_b64 s[16:17], s[16:17], exec
	s_or_b64 s[46:47], s[46:47], s[18:19]
                                        ; implicit-def: $sgpr50_sgpr51
	s_branch .LBB1483_1415
.LBB1483_1418:                          ;   in Loop: Header=BB1483_1376 Depth=1
	s_or_b64 exec, exec, s[42:43]
	s_xor_b64 s[16:17], s[44:45], -1
	s_branch .LBB1483_1420
.LBB1483_1419:                          ;   in Loop: Header=BB1483_1376 Depth=1
	s_mov_b64 s[16:17], -1
.LBB1483_1420:                          ;   in Loop: Header=BB1483_1376 Depth=1
	s_and_b64 s[16:17], s[16:17], exec
.LBB1483_1421:                          ;   in Loop: Header=BB1483_1376 Depth=1
	s_or_b64 exec, exec, s[28:29]
	s_orn2_b64 s[28:29], s[16:17], exec
.LBB1483_1422:                          ;   in Loop: Header=BB1483_1376 Depth=1
	s_or_b64 exec, exec, s[30:31]
	v_cndmask_b32_e64 v4, v8, v9, s[28:29]
	v_cndmask_b32_e64 v5, v33, v25, s[28:29]
	v_add_u32_e32 v6, 1, v4
	v_add_u32_e32 v4, -1, v5
	v_min_u32_e32 v4, v6, v4
	v_lshlrev_b32_e32 v4, 3, v4
	ds_read_b64 v[4:5], v4
	v_cndmask_b32_e64 v8, v6, v8, s[28:29]
	v_cndmask_b32_e64 v9, v9, v6, s[28:29]
	v_cmp_lt_u32_e32 vcc, v8, v33
	s_mov_b64 s[42:43], -1
	s_waitcnt lgkmcnt(0)
	v_cndmask_b32_e64 v12, v5, v17, s[28:29]
	v_cndmask_b32_e64 v36, v4, v23, s[28:29]
	;; [unrolled: 1-line block ×4, first 2 shown]
	s_mov_b64 s[30:31], -1
	s_and_saveexec_b64 s[44:45], vcc
	s_cbranch_execz .LBB1483_1433
; %bb.1423:                             ;   in Loop: Header=BB1483_1376 Depth=1
	v_cmp_lt_u32_e32 vcc, v9, v25
	s_mov_b64 s[16:17], 0
	s_and_saveexec_b64 s[30:31], vcc
	s_cbranch_execz .LBB1483_1432
; %bb.1424:                             ;   in Loop: Header=BB1483_1376 Depth=1
	s_and_b64 vcc, exec, s[14:15]
	s_cbranch_vccnz .LBB1483_1430
; %bb.1425:                             ;   in Loop: Header=BB1483_1376 Depth=1
	v_mov_b64_e32 v[6:7], s[38:39]
	v_mad_u64_u32 v[4:5], s[16:17], s20, v36, v[6:7]
	v_mul_lo_u32 v10, s20, v12
	v_mul_lo_u32 v11, s21, v36
	v_add3_u32 v5, v11, v5, v10
	v_mad_u64_u32 v[6:7], s[16:17], s20, v37, v[6:7]
	v_mul_lo_u32 v10, s20, v13
	v_mul_lo_u32 v11, s21, v37
	v_add3_u32 v7, v11, v7, v10
	s_mov_b64 s[46:47], 0
	s_mov_b64 s[52:53], s[36:37]
                                        ; implicit-def: $sgpr48_sgpr49
                                        ; implicit-def: $sgpr50_sgpr51
                                        ; implicit-def: $sgpr16_sgpr17
                                        ; implicit-def: $sgpr54_sgpr55
	s_branch .LBB1483_1427
.LBB1483_1426:                          ;   in Loop: Header=BB1483_1427 Depth=2
	s_or_b64 exec, exec, s[58:59]
	s_and_b64 s[18:19], exec, s[50:51]
	s_or_b64 s[46:47], s[18:19], s[46:47]
	s_andn2_b64 s[18:19], s[54:55], exec
	s_and_b64 s[54:55], s[56:57], exec
	s_or_b64 s[54:55], s[18:19], s[54:55]
	s_andn2_b64 s[18:19], s[48:49], exec
	s_and_b64 s[48:49], s[16:17], exec
	s_or_b64 s[48:49], s[18:19], s[48:49]
	s_andn2_b64 exec, exec, s[46:47]
	s_cbranch_execz .LBB1483_1429
.LBB1483_1427:                          ;   Parent Loop BB1483_1376 Depth=1
                                        ; =>  This Inner Loop Header: Depth=2
	global_load_dword v10, v[4:5], off
	global_load_dword v11, v[6:7], off
	s_andn2_b64 s[58:59], s[16:17], exec
	s_or_b64 s[50:51], s[50:51], exec
	s_waitcnt vmcnt(0)
	v_cmp_le_u32_e64 s[16:17], v10, v11
	v_cmp_lt_u32_e32 vcc, v10, v11
	s_and_b64 s[16:17], s[16:17], s[54:55]
	s_or_b64 s[56:57], vcc, s[16:17]
	s_and_b64 s[16:17], s[56:57], exec
	v_cmp_eq_u32_e64 s[18:19], v10, v11
	s_or_b64 s[16:17], s[58:59], s[16:17]
	s_and_saveexec_b64 s[58:59], s[18:19]
	s_cbranch_execz .LBB1483_1426
; %bb.1428:                             ;   in Loop: Header=BB1483_1427 Depth=2
	s_add_u32 s52, s52, -1
	s_addc_u32 s53, s53, -1
	s_cmp_eq_u64 s[52:53], 0
	s_cselect_b64 s[18:19], -1, 0
	s_andn2_b64 s[50:51], s[50:51], exec
	s_and_b64 s[18:19], s[18:19], exec
	v_lshl_add_u64 v[4:5], v[4:5], 0, 4
	v_lshl_add_u64 v[6:7], v[6:7], 0, 4
	s_andn2_b64 s[16:17], s[16:17], exec
	s_or_b64 s[50:51], s[50:51], s[18:19]
                                        ; implicit-def: $sgpr54_sgpr55
	s_branch .LBB1483_1426
.LBB1483_1429:                          ;   in Loop: Header=BB1483_1376 Depth=1
	s_or_b64 exec, exec, s[46:47]
	s_xor_b64 s[16:17], s[48:49], -1
	s_branch .LBB1483_1431
.LBB1483_1430:                          ;   in Loop: Header=BB1483_1376 Depth=1
	s_mov_b64 s[16:17], -1
.LBB1483_1431:                          ;   in Loop: Header=BB1483_1376 Depth=1
	s_and_b64 s[16:17], s[16:17], exec
.LBB1483_1432:                          ;   in Loop: Header=BB1483_1376 Depth=1
	s_or_b64 exec, exec, s[30:31]
	s_orn2_b64 s[30:31], s[16:17], exec
.LBB1483_1433:                          ;   in Loop: Header=BB1483_1376 Depth=1
	s_or_b64 exec, exec, s[44:45]
	v_cndmask_b32_e64 v4, v8, v9, s[30:31]
	v_cndmask_b32_e64 v5, v33, v25, s[30:31]
	v_add_u32_e32 v6, 1, v4
	v_add_u32_e32 v4, -1, v5
	v_min_u32_e32 v4, v6, v4
	v_lshlrev_b32_e32 v4, 3, v4
	ds_read_b64 v[4:5], v4
	v_cndmask_b32_e64 v8, v6, v8, s[30:31]
	v_cndmask_b32_e64 v9, v9, v6, s[30:31]
	v_cmp_lt_u32_e32 vcc, v8, v33
	s_waitcnt lgkmcnt(0)
	v_cndmask_b32_e64 v38, v5, v12, s[30:31]
	v_cndmask_b32_e64 v39, v4, v36, s[30:31]
	;; [unrolled: 1-line block ×4, first 2 shown]
	s_and_saveexec_b64 s[44:45], vcc
	s_cbranch_execz .LBB1483_1444
; %bb.1434:                             ;   in Loop: Header=BB1483_1376 Depth=1
	v_cmp_lt_u32_e32 vcc, v9, v25
	s_mov_b64 s[16:17], 0
	s_and_saveexec_b64 s[42:43], vcc
	s_cbranch_execz .LBB1483_1443
; %bb.1435:                             ;   in Loop: Header=BB1483_1376 Depth=1
	s_and_b64 vcc, exec, s[14:15]
	s_cbranch_vccnz .LBB1483_1441
; %bb.1436:                             ;   in Loop: Header=BB1483_1376 Depth=1
	v_mov_b64_e32 v[6:7], s[38:39]
	v_mad_u64_u32 v[4:5], s[16:17], s20, v39, v[6:7]
	v_mul_lo_u32 v10, s20, v38
	v_mul_lo_u32 v11, s21, v39
	v_add3_u32 v5, v11, v5, v10
	v_mad_u64_u32 v[6:7], s[16:17], s20, v41, v[6:7]
	v_mul_lo_u32 v10, s20, v40
	v_mul_lo_u32 v11, s21, v41
	v_add3_u32 v7, v11, v7, v10
	s_mov_b64 s[46:47], 0
	s_mov_b64 s[52:53], s[36:37]
                                        ; implicit-def: $sgpr48_sgpr49
                                        ; implicit-def: $sgpr50_sgpr51
                                        ; implicit-def: $sgpr16_sgpr17
                                        ; implicit-def: $sgpr54_sgpr55
	s_branch .LBB1483_1438
.LBB1483_1437:                          ;   in Loop: Header=BB1483_1438 Depth=2
	s_or_b64 exec, exec, s[58:59]
	s_and_b64 s[18:19], exec, s[50:51]
	s_or_b64 s[46:47], s[18:19], s[46:47]
	s_andn2_b64 s[18:19], s[54:55], exec
	s_and_b64 s[54:55], s[56:57], exec
	s_or_b64 s[54:55], s[18:19], s[54:55]
	s_andn2_b64 s[18:19], s[48:49], exec
	s_and_b64 s[48:49], s[16:17], exec
	s_or_b64 s[48:49], s[18:19], s[48:49]
	s_andn2_b64 exec, exec, s[46:47]
	s_cbranch_execz .LBB1483_1440
.LBB1483_1438:                          ;   Parent Loop BB1483_1376 Depth=1
                                        ; =>  This Inner Loop Header: Depth=2
	global_load_dword v10, v[4:5], off
	global_load_dword v11, v[6:7], off
	s_andn2_b64 s[58:59], s[16:17], exec
	s_or_b64 s[50:51], s[50:51], exec
	s_waitcnt vmcnt(0)
	v_cmp_le_u32_e64 s[16:17], v10, v11
	v_cmp_lt_u32_e32 vcc, v10, v11
	s_and_b64 s[16:17], s[16:17], s[54:55]
	s_or_b64 s[56:57], vcc, s[16:17]
	s_and_b64 s[16:17], s[56:57], exec
	v_cmp_eq_u32_e64 s[18:19], v10, v11
	s_or_b64 s[16:17], s[58:59], s[16:17]
	s_and_saveexec_b64 s[58:59], s[18:19]
	s_cbranch_execz .LBB1483_1437
; %bb.1439:                             ;   in Loop: Header=BB1483_1438 Depth=2
	s_add_u32 s52, s52, -1
	s_addc_u32 s53, s53, -1
	s_cmp_eq_u64 s[52:53], 0
	s_cselect_b64 s[18:19], -1, 0
	s_andn2_b64 s[50:51], s[50:51], exec
	s_and_b64 s[18:19], s[18:19], exec
	v_lshl_add_u64 v[4:5], v[4:5], 0, 4
	v_lshl_add_u64 v[6:7], v[6:7], 0, 4
	s_andn2_b64 s[16:17], s[16:17], exec
	s_or_b64 s[50:51], s[50:51], s[18:19]
                                        ; implicit-def: $sgpr54_sgpr55
	s_branch .LBB1483_1437
.LBB1483_1440:                          ;   in Loop: Header=BB1483_1376 Depth=1
	s_or_b64 exec, exec, s[46:47]
	s_xor_b64 s[16:17], s[48:49], -1
	s_branch .LBB1483_1442
.LBB1483_1441:                          ;   in Loop: Header=BB1483_1376 Depth=1
	s_mov_b64 s[16:17], -1
.LBB1483_1442:                          ;   in Loop: Header=BB1483_1376 Depth=1
	s_and_b64 s[16:17], s[16:17], exec
.LBB1483_1443:                          ;   in Loop: Header=BB1483_1376 Depth=1
	s_or_b64 exec, exec, s[42:43]
	s_orn2_b64 s[42:43], s[16:17], exec
.LBB1483_1444:                          ;   in Loop: Header=BB1483_1376 Depth=1
	s_or_b64 exec, exec, s[44:45]
	v_cndmask_b32_e64 v4, v8, v9, s[42:43]
	v_cndmask_b32_e64 v5, v33, v25, s[42:43]
	v_add_u32_e32 v6, 1, v4
	v_add_u32_e32 v4, -1, v5
	v_min_u32_e32 v4, v6, v4
	v_lshlrev_b32_e32 v4, 3, v4
	ds_read_b64 v[4:5], v4
	v_cndmask_b32_e64 v8, v6, v8, s[42:43]
	v_cndmask_b32_e64 v9, v9, v6, s[42:43]
	v_cmp_lt_u32_e32 vcc, v8, v33
	s_mov_b64 s[44:45], -1
	s_waitcnt lgkmcnt(0)
	v_cndmask_b32_e64 v42, v5, v38, s[42:43]
	v_cndmask_b32_e64 v43, v4, v39, s[42:43]
	;; [unrolled: 1-line block ×4, first 2 shown]
	s_mov_b64 s[46:47], -1
	s_and_saveexec_b64 s[48:49], vcc
	s_cbranch_execz .LBB1483_1455
; %bb.1445:                             ;   in Loop: Header=BB1483_1376 Depth=1
	v_cmp_lt_u32_e32 vcc, v9, v25
	s_mov_b64 s[16:17], 0
	s_and_saveexec_b64 s[46:47], vcc
	s_cbranch_execz .LBB1483_1454
; %bb.1446:                             ;   in Loop: Header=BB1483_1376 Depth=1
	s_and_b64 vcc, exec, s[14:15]
	s_cbranch_vccnz .LBB1483_1452
; %bb.1447:                             ;   in Loop: Header=BB1483_1376 Depth=1
	v_mov_b64_e32 v[6:7], s[38:39]
	v_mad_u64_u32 v[4:5], s[16:17], s20, v43, v[6:7]
	v_mul_lo_u32 v10, s20, v42
	v_mul_lo_u32 v11, s21, v43
	v_add3_u32 v5, v11, v5, v10
	v_mad_u64_u32 v[6:7], s[16:17], s20, v45, v[6:7]
	v_mul_lo_u32 v10, s20, v44
	v_mul_lo_u32 v11, s21, v45
	v_add3_u32 v7, v11, v7, v10
	s_mov_b64 s[50:51], 0
	s_mov_b64 s[56:57], s[36:37]
                                        ; implicit-def: $sgpr52_sgpr53
                                        ; implicit-def: $sgpr54_sgpr55
                                        ; implicit-def: $sgpr16_sgpr17
                                        ; implicit-def: $sgpr58_sgpr59
	s_branch .LBB1483_1449
.LBB1483_1448:                          ;   in Loop: Header=BB1483_1449 Depth=2
	s_or_b64 exec, exec, s[62:63]
	s_and_b64 s[18:19], exec, s[54:55]
	s_or_b64 s[50:51], s[18:19], s[50:51]
	s_andn2_b64 s[18:19], s[58:59], exec
	s_and_b64 s[58:59], s[60:61], exec
	s_or_b64 s[58:59], s[18:19], s[58:59]
	s_andn2_b64 s[18:19], s[52:53], exec
	s_and_b64 s[52:53], s[16:17], exec
	s_or_b64 s[52:53], s[18:19], s[52:53]
	s_andn2_b64 exec, exec, s[50:51]
	s_cbranch_execz .LBB1483_1451
.LBB1483_1449:                          ;   Parent Loop BB1483_1376 Depth=1
                                        ; =>  This Inner Loop Header: Depth=2
	global_load_dword v10, v[4:5], off
	global_load_dword v11, v[6:7], off
	s_andn2_b64 s[62:63], s[16:17], exec
	s_or_b64 s[54:55], s[54:55], exec
	s_waitcnt vmcnt(0)
	v_cmp_le_u32_e64 s[16:17], v10, v11
	v_cmp_lt_u32_e32 vcc, v10, v11
	s_and_b64 s[16:17], s[16:17], s[58:59]
	s_or_b64 s[60:61], vcc, s[16:17]
	s_and_b64 s[16:17], s[60:61], exec
	v_cmp_eq_u32_e64 s[18:19], v10, v11
	s_or_b64 s[16:17], s[62:63], s[16:17]
	s_and_saveexec_b64 s[62:63], s[18:19]
	s_cbranch_execz .LBB1483_1448
; %bb.1450:                             ;   in Loop: Header=BB1483_1449 Depth=2
	s_add_u32 s56, s56, -1
	s_addc_u32 s57, s57, -1
	s_cmp_eq_u64 s[56:57], 0
	s_cselect_b64 s[18:19], -1, 0
	s_andn2_b64 s[54:55], s[54:55], exec
	s_and_b64 s[18:19], s[18:19], exec
	v_lshl_add_u64 v[4:5], v[4:5], 0, 4
	v_lshl_add_u64 v[6:7], v[6:7], 0, 4
	s_andn2_b64 s[16:17], s[16:17], exec
	s_or_b64 s[54:55], s[54:55], s[18:19]
                                        ; implicit-def: $sgpr58_sgpr59
	s_branch .LBB1483_1448
.LBB1483_1451:                          ;   in Loop: Header=BB1483_1376 Depth=1
	s_or_b64 exec, exec, s[50:51]
	s_xor_b64 s[16:17], s[52:53], -1
	s_branch .LBB1483_1453
.LBB1483_1452:                          ;   in Loop: Header=BB1483_1376 Depth=1
	s_mov_b64 s[16:17], -1
.LBB1483_1453:                          ;   in Loop: Header=BB1483_1376 Depth=1
	s_and_b64 s[16:17], s[16:17], exec
.LBB1483_1454:                          ;   in Loop: Header=BB1483_1376 Depth=1
	s_or_b64 exec, exec, s[46:47]
	s_orn2_b64 s[46:47], s[16:17], exec
.LBB1483_1455:                          ;   in Loop: Header=BB1483_1376 Depth=1
	s_or_b64 exec, exec, s[48:49]
	v_cndmask_b32_e64 v4, v8, v9, s[46:47]
	v_cndmask_b32_e64 v5, v33, v25, s[46:47]
	v_add_u32_e32 v6, 1, v4
	v_add_u32_e32 v4, -1, v5
	v_min_u32_e32 v4, v6, v4
	v_lshlrev_b32_e32 v4, 3, v4
	ds_read_b64 v[4:5], v4
	v_cndmask_b32_e64 v10, v6, v8, s[46:47]
	v_cndmask_b32_e64 v8, v9, v6, s[46:47]
	v_cmp_lt_u32_e32 vcc, v10, v33
	s_waitcnt lgkmcnt(0)
	v_cndmask_b32_e64 v46, v5, v42, s[46:47]
	v_cndmask_b32_e64 v47, v4, v43, s[46:47]
	;; [unrolled: 1-line block ×4, first 2 shown]
	s_and_saveexec_b64 s[48:49], vcc
	s_cbranch_execz .LBB1483_1466
; %bb.1456:                             ;   in Loop: Header=BB1483_1376 Depth=1
	v_cmp_lt_u32_e32 vcc, v8, v25
	s_mov_b64 s[16:17], 0
	s_and_saveexec_b64 s[44:45], vcc
	s_cbranch_execz .LBB1483_1465
; %bb.1457:                             ;   in Loop: Header=BB1483_1376 Depth=1
	s_and_b64 vcc, exec, s[14:15]
	s_cbranch_vccnz .LBB1483_1463
; %bb.1458:                             ;   in Loop: Header=BB1483_1376 Depth=1
	v_mov_b64_e32 v[6:7], s[38:39]
	v_mad_u64_u32 v[4:5], s[16:17], s20, v47, v[6:7]
	v_mul_lo_u32 v9, s20, v46
	v_mul_lo_u32 v11, s21, v47
	v_add3_u32 v5, v11, v5, v9
	v_mad_u64_u32 v[6:7], s[16:17], s20, v49, v[6:7]
	v_mul_lo_u32 v9, s20, v48
	v_mul_lo_u32 v11, s21, v49
	v_add3_u32 v7, v11, v7, v9
	s_mov_b64 s[50:51], 0
	s_mov_b64 s[56:57], s[36:37]
                                        ; implicit-def: $sgpr52_sgpr53
                                        ; implicit-def: $sgpr54_sgpr55
                                        ; implicit-def: $sgpr16_sgpr17
                                        ; implicit-def: $sgpr58_sgpr59
	s_branch .LBB1483_1460
.LBB1483_1459:                          ;   in Loop: Header=BB1483_1460 Depth=2
	s_or_b64 exec, exec, s[62:63]
	s_and_b64 s[18:19], exec, s[54:55]
	s_or_b64 s[50:51], s[18:19], s[50:51]
	s_andn2_b64 s[18:19], s[58:59], exec
	s_and_b64 s[58:59], s[60:61], exec
	s_or_b64 s[58:59], s[18:19], s[58:59]
	s_andn2_b64 s[18:19], s[52:53], exec
	s_and_b64 s[52:53], s[16:17], exec
	s_or_b64 s[52:53], s[18:19], s[52:53]
	s_andn2_b64 exec, exec, s[50:51]
	s_cbranch_execz .LBB1483_1462
.LBB1483_1460:                          ;   Parent Loop BB1483_1376 Depth=1
                                        ; =>  This Inner Loop Header: Depth=2
	global_load_dword v9, v[4:5], off
	global_load_dword v11, v[6:7], off
	s_andn2_b64 s[62:63], s[16:17], exec
	s_or_b64 s[54:55], s[54:55], exec
	s_waitcnt vmcnt(0)
	v_cmp_le_u32_e64 s[16:17], v9, v11
	v_cmp_lt_u32_e32 vcc, v9, v11
	s_and_b64 s[16:17], s[16:17], s[58:59]
	s_or_b64 s[60:61], vcc, s[16:17]
	s_and_b64 s[16:17], s[60:61], exec
	v_cmp_eq_u32_e64 s[18:19], v9, v11
	s_or_b64 s[16:17], s[62:63], s[16:17]
	s_and_saveexec_b64 s[62:63], s[18:19]
	s_cbranch_execz .LBB1483_1459
; %bb.1461:                             ;   in Loop: Header=BB1483_1460 Depth=2
	s_add_u32 s56, s56, -1
	s_addc_u32 s57, s57, -1
	s_cmp_eq_u64 s[56:57], 0
	s_cselect_b64 s[18:19], -1, 0
	s_andn2_b64 s[54:55], s[54:55], exec
	s_and_b64 s[18:19], s[18:19], exec
	v_lshl_add_u64 v[4:5], v[4:5], 0, 4
	v_lshl_add_u64 v[6:7], v[6:7], 0, 4
	s_andn2_b64 s[16:17], s[16:17], exec
	s_or_b64 s[54:55], s[54:55], s[18:19]
                                        ; implicit-def: $sgpr58_sgpr59
	s_branch .LBB1483_1459
.LBB1483_1462:                          ;   in Loop: Header=BB1483_1376 Depth=1
	s_or_b64 exec, exec, s[50:51]
	s_xor_b64 s[16:17], s[52:53], -1
	s_branch .LBB1483_1464
.LBB1483_1463:                          ;   in Loop: Header=BB1483_1376 Depth=1
	s_mov_b64 s[16:17], -1
.LBB1483_1464:                          ;   in Loop: Header=BB1483_1376 Depth=1
	s_and_b64 s[16:17], s[16:17], exec
.LBB1483_1465:                          ;   in Loop: Header=BB1483_1376 Depth=1
	s_or_b64 exec, exec, s[44:45]
	s_orn2_b64 s[44:45], s[16:17], exec
.LBB1483_1466:                          ;   in Loop: Header=BB1483_1376 Depth=1
	s_or_b64 exec, exec, s[48:49]
	v_cndmask_b32_e64 v4, v10, v8, s[44:45]
	v_cndmask_b32_e64 v5, v33, v25, s[44:45]
	v_add_u32_e32 v9, 1, v4
	v_add_u32_e32 v4, -1, v5
	v_min_u32_e32 v4, v9, v4
	v_lshlrev_b32_e32 v4, 3, v4
	ds_read_b64 v[6:7], v4
	v_cndmask_b32_e64 v10, v9, v10, s[44:45]
	v_cmp_lt_u32_e32 vcc, v10, v33
	s_waitcnt lgkmcnt(0)
	v_cndmask_b32_e64 v5, v48, v7, s[44:45]
	v_cndmask_b32_e64 v4, v49, v6, s[44:45]
	s_and_saveexec_b64 s[48:49], vcc
	s_cbranch_execz .LBB1483_1374
; %bb.1467:                             ;   in Loop: Header=BB1483_1376 Depth=1
	v_cndmask_b32_e64 v8, v8, v9, s[44:45]
	v_cndmask_b32_e64 v7, v7, v46, s[44:45]
	;; [unrolled: 1-line block ×3, first 2 shown]
	v_cmp_lt_u32_e32 vcc, v8, v25
	s_and_saveexec_b64 s[50:51], vcc
	s_cbranch_execz .LBB1483_1373
; %bb.1468:                             ;   in Loop: Header=BB1483_1376 Depth=1
	s_and_b64 vcc, exec, s[14:15]
	s_cbranch_vccnz .LBB1483_1372
; %bb.1469:                             ;   in Loop: Header=BB1483_1376 Depth=1
	v_mov_b64_e32 v[10:11], s[38:39]
	v_mad_u64_u32 v[8:9], s[16:17], s20, v6, v[10:11]
	v_mul_lo_u32 v25, s20, v7
	v_mul_lo_u32 v33, s21, v6
	v_add3_u32 v9, v33, v9, v25
	v_mad_u64_u32 v[10:11], s[16:17], s20, v4, v[10:11]
	v_mul_lo_u32 v25, s20, v5
	v_mul_lo_u32 v33, s21, v4
	v_add3_u32 v11, v33, v11, v25
	s_mov_b64 s[52:53], 0
	s_mov_b64 s[58:59], s[36:37]
                                        ; implicit-def: $sgpr54_sgpr55
                                        ; implicit-def: $sgpr56_sgpr57
                                        ; implicit-def: $sgpr16_sgpr17
                                        ; implicit-def: $sgpr60_sgpr61
	s_branch .LBB1483_1471
.LBB1483_1470:                          ;   in Loop: Header=BB1483_1471 Depth=2
	s_or_b64 exec, exec, s[64:65]
	s_and_b64 s[18:19], exec, s[56:57]
	s_or_b64 s[52:53], s[18:19], s[52:53]
	s_andn2_b64 s[18:19], s[60:61], exec
	s_and_b64 s[60:61], s[62:63], exec
	s_or_b64 s[60:61], s[18:19], s[60:61]
	s_andn2_b64 s[18:19], s[54:55], exec
	s_and_b64 s[54:55], s[16:17], exec
	s_or_b64 s[54:55], s[18:19], s[54:55]
	s_andn2_b64 exec, exec, s[52:53]
	s_cbranch_execz .LBB1483_1371
.LBB1483_1471:                          ;   Parent Loop BB1483_1376 Depth=1
                                        ; =>  This Inner Loop Header: Depth=2
	global_load_dword v25, v[8:9], off
	global_load_dword v33, v[10:11], off
	s_andn2_b64 s[64:65], s[16:17], exec
	s_or_b64 s[56:57], s[56:57], exec
	s_waitcnt vmcnt(0)
	v_cmp_le_u32_e64 s[16:17], v25, v33
	v_cmp_lt_u32_e32 vcc, v25, v33
	s_and_b64 s[16:17], s[16:17], s[60:61]
	s_or_b64 s[62:63], vcc, s[16:17]
	s_and_b64 s[16:17], s[62:63], exec
	v_cmp_eq_u32_e64 s[18:19], v25, v33
	s_or_b64 s[16:17], s[64:65], s[16:17]
	s_and_saveexec_b64 s[64:65], s[18:19]
	s_cbranch_execz .LBB1483_1470
; %bb.1472:                             ;   in Loop: Header=BB1483_1471 Depth=2
	s_add_u32 s58, s58, -1
	s_addc_u32 s59, s59, -1
	s_cmp_eq_u64 s[58:59], 0
	s_cselect_b64 s[18:19], -1, 0
	s_andn2_b64 s[56:57], s[56:57], exec
	s_and_b64 s[18:19], s[18:19], exec
	v_lshl_add_u64 v[8:9], v[8:9], 0, 4
	v_lshl_add_u64 v[10:11], v[10:11], 0, 4
	s_andn2_b64 s[16:17], s[16:17], exec
	s_or_b64 s[56:57], s[56:57], s[18:19]
                                        ; implicit-def: $sgpr60_sgpr61
	s_branch .LBB1483_1470
.LBB1483_1473:
	s_barrier
	ds_write2_b64 v32, v[14:15], v[16:17] offset1:1
	ds_write2_b64 v32, v[10:11], v[12:13] offset0:2 offset1:3
	ds_write2_b64 v32, v[6:7], v[8:9] offset0:4 offset1:5
	;; [unrolled: 1-line block ×3, first 2 shown]
	s_waitcnt lgkmcnt(0)
	s_barrier
	ds_read_b64 v[12:13], v21 offset:2048
	ds_read_b64 v[10:11], v26 offset:4096
	;; [unrolled: 1-line block ×7, first 2 shown]
	v_mov_b32_e32 v21, 0
	v_lshl_add_u64 v[2:3], s[34:35], 0, v[20:21]
	s_and_saveexec_b64 s[14:15], s[0:1]
	s_cbranch_execnz .LBB1483_1485
; %bb.1474:
	s_or_b64 exec, exec, s[14:15]
	s_and_saveexec_b64 s[0:1], s[2:3]
	s_cbranch_execnz .LBB1483_1486
.LBB1483_1475:
	s_or_b64 exec, exec, s[0:1]
	s_and_saveexec_b64 s[0:1], s[4:5]
	s_cbranch_execnz .LBB1483_1487
.LBB1483_1476:
	s_or_b64 exec, exec, s[0:1]
	s_and_saveexec_b64 s[0:1], s[6:7]
	s_cbranch_execnz .LBB1483_1488
.LBB1483_1477:
	s_or_b64 exec, exec, s[0:1]
	s_and_saveexec_b64 s[0:1], s[8:9]
	s_cbranch_execnz .LBB1483_1489
.LBB1483_1478:
	s_or_b64 exec, exec, s[0:1]
	s_and_saveexec_b64 s[0:1], s[10:11]
	s_cbranch_execnz .LBB1483_1490
.LBB1483_1479:
	s_or_b64 exec, exec, s[0:1]
	s_and_saveexec_b64 s[0:1], s[12:13]
	s_cbranch_execz .LBB1483_1481
.LBB1483_1480:
	v_add_co_u32_e32 v2, vcc, 0x3000, v2
	s_nop 1
	v_addc_co_u32_e32 v3, vcc, 0, v3, vcc
	s_waitcnt lgkmcnt(1)
	global_store_dwordx2 v[2:3], v[0:1], off
.LBB1483_1481:
	s_or_b64 exec, exec, s[0:1]
	v_mov_b32_e32 v19, v21
.LBB1483_1482:
	s_and_saveexec_b64 s[0:1], s[40:41]
	s_cbranch_execz .LBB1483_1484
; %bb.1483:
	s_waitcnt lgkmcnt(1)
	v_lshl_add_u64 v[0:1], v[18:19], 3, s[34:35]
	v_add_co_u32_e32 v0, vcc, 0x3000, v0
	s_nop 1
	v_addc_co_u32_e32 v1, vcc, 0, v1, vcc
	s_waitcnt lgkmcnt(0)
	global_store_dwordx2 v[0:1], v[14:15], off offset:2048
.LBB1483_1484:
	s_endpgm
.LBB1483_1485:
	ds_read_b64 v[16:17], v19
	s_waitcnt lgkmcnt(0)
	global_store_dwordx2 v[2:3], v[16:17], off
	s_or_b64 exec, exec, s[14:15]
	s_and_saveexec_b64 s[0:1], s[2:3]
	s_cbranch_execz .LBB1483_1475
.LBB1483_1486:
	s_waitcnt lgkmcnt(6)
	global_store_dwordx2 v[2:3], v[12:13], off offset:2048
	s_or_b64 exec, exec, s[0:1]
	s_and_saveexec_b64 s[0:1], s[4:5]
	s_cbranch_execz .LBB1483_1476
.LBB1483_1487:
	s_waitcnt lgkmcnt(6)
	v_add_co_u32_e32 v12, vcc, 0x1000, v2
	s_nop 1
	v_addc_co_u32_e32 v13, vcc, 0, v3, vcc
	s_waitcnt lgkmcnt(5)
	global_store_dwordx2 v[12:13], v[10:11], off
	s_or_b64 exec, exec, s[0:1]
	s_and_saveexec_b64 s[0:1], s[6:7]
	s_cbranch_execz .LBB1483_1477
.LBB1483_1488:
	s_waitcnt lgkmcnt(5)
	v_add_co_u32_e32 v10, vcc, 0x1000, v2
	s_nop 1
	v_addc_co_u32_e32 v11, vcc, 0, v3, vcc
	s_waitcnt lgkmcnt(4)
	global_store_dwordx2 v[10:11], v[8:9], off offset:2048
	s_or_b64 exec, exec, s[0:1]
	s_and_saveexec_b64 s[0:1], s[8:9]
	s_cbranch_execz .LBB1483_1478
.LBB1483_1489:
	s_waitcnt lgkmcnt(4)
	v_add_co_u32_e32 v8, vcc, 0x2000, v2
	s_nop 1
	v_addc_co_u32_e32 v9, vcc, 0, v3, vcc
	s_waitcnt lgkmcnt(3)
	global_store_dwordx2 v[8:9], v[6:7], off
	s_or_b64 exec, exec, s[0:1]
	s_and_saveexec_b64 s[0:1], s[10:11]
	s_cbranch_execz .LBB1483_1479
.LBB1483_1490:
	s_waitcnt lgkmcnt(3)
	v_add_co_u32_e32 v6, vcc, 0x2000, v2
	s_nop 1
	v_addc_co_u32_e32 v7, vcc, 0, v3, vcc
	s_waitcnt lgkmcnt(2)
	global_store_dwordx2 v[6:7], v[4:5], off offset:2048
	s_or_b64 exec, exec, s[0:1]
	s_and_saveexec_b64 s[0:1], s[12:13]
	s_cbranch_execnz .LBB1483_1480
	s_branch .LBB1483_1481
	.section	.rodata,"a",@progbits
	.p2align	6, 0x0
	.amdhsa_kernel _ZN7rocprim17ROCPRIM_400000_NS6detail17trampoline_kernelINS0_14default_configENS1_37merge_sort_block_sort_config_selectorIlNS0_10empty_typeEEEZNS1_21merge_sort_block_sortIS3_PlS8_PS5_S9_ZN2at6native12_GLOBAL__N_124unique_dim_cuda_templateIjEESt5tupleIJNSA_6TensorESF_SF_EERKSF_lbbbEUlllE_EE10hipError_tT0_T1_T2_T3_mRjT4_P12ihipStream_tbNS1_7vsmem_tEEUlT_E_NS1_11comp_targetILNS1_3genE0ELNS1_11target_archE4294967295ELNS1_3gpuE0ELNS1_3repE0EEENS1_30default_config_static_selectorELNS0_4arch9wavefront6targetE1EEEvSM_
		.amdhsa_group_segment_fixed_size 16896
		.amdhsa_private_segment_fixed_size 0
		.amdhsa_kernarg_size 328
		.amdhsa_user_sgpr_count 2
		.amdhsa_user_sgpr_dispatch_ptr 0
		.amdhsa_user_sgpr_queue_ptr 0
		.amdhsa_user_sgpr_kernarg_segment_ptr 1
		.amdhsa_user_sgpr_dispatch_id 0
		.amdhsa_user_sgpr_kernarg_preload_length 0
		.amdhsa_user_sgpr_kernarg_preload_offset 0
		.amdhsa_user_sgpr_private_segment_size 0
		.amdhsa_uses_dynamic_stack 0
		.amdhsa_enable_private_segment 0
		.amdhsa_system_sgpr_workgroup_id_x 1
		.amdhsa_system_sgpr_workgroup_id_y 1
		.amdhsa_system_sgpr_workgroup_id_z 1
		.amdhsa_system_sgpr_workgroup_info 0
		.amdhsa_system_vgpr_workitem_id 2
		.amdhsa_next_free_vgpr 55
		.amdhsa_next_free_sgpr 67
		.amdhsa_accum_offset 56
		.amdhsa_reserve_vcc 1
		.amdhsa_float_round_mode_32 0
		.amdhsa_float_round_mode_16_64 0
		.amdhsa_float_denorm_mode_32 3
		.amdhsa_float_denorm_mode_16_64 3
		.amdhsa_dx10_clamp 1
		.amdhsa_ieee_mode 1
		.amdhsa_fp16_overflow 0
		.amdhsa_tg_split 0
		.amdhsa_exception_fp_ieee_invalid_op 0
		.amdhsa_exception_fp_denorm_src 0
		.amdhsa_exception_fp_ieee_div_zero 0
		.amdhsa_exception_fp_ieee_overflow 0
		.amdhsa_exception_fp_ieee_underflow 0
		.amdhsa_exception_fp_ieee_inexact 0
		.amdhsa_exception_int_div_zero 0
	.end_amdhsa_kernel
	.section	.text._ZN7rocprim17ROCPRIM_400000_NS6detail17trampoline_kernelINS0_14default_configENS1_37merge_sort_block_sort_config_selectorIlNS0_10empty_typeEEEZNS1_21merge_sort_block_sortIS3_PlS8_PS5_S9_ZN2at6native12_GLOBAL__N_124unique_dim_cuda_templateIjEESt5tupleIJNSA_6TensorESF_SF_EERKSF_lbbbEUlllE_EE10hipError_tT0_T1_T2_T3_mRjT4_P12ihipStream_tbNS1_7vsmem_tEEUlT_E_NS1_11comp_targetILNS1_3genE0ELNS1_11target_archE4294967295ELNS1_3gpuE0ELNS1_3repE0EEENS1_30default_config_static_selectorELNS0_4arch9wavefront6targetE1EEEvSM_,"axG",@progbits,_ZN7rocprim17ROCPRIM_400000_NS6detail17trampoline_kernelINS0_14default_configENS1_37merge_sort_block_sort_config_selectorIlNS0_10empty_typeEEEZNS1_21merge_sort_block_sortIS3_PlS8_PS5_S9_ZN2at6native12_GLOBAL__N_124unique_dim_cuda_templateIjEESt5tupleIJNSA_6TensorESF_SF_EERKSF_lbbbEUlllE_EE10hipError_tT0_T1_T2_T3_mRjT4_P12ihipStream_tbNS1_7vsmem_tEEUlT_E_NS1_11comp_targetILNS1_3genE0ELNS1_11target_archE4294967295ELNS1_3gpuE0ELNS1_3repE0EEENS1_30default_config_static_selectorELNS0_4arch9wavefront6targetE1EEEvSM_,comdat
.Lfunc_end1483:
	.size	_ZN7rocprim17ROCPRIM_400000_NS6detail17trampoline_kernelINS0_14default_configENS1_37merge_sort_block_sort_config_selectorIlNS0_10empty_typeEEEZNS1_21merge_sort_block_sortIS3_PlS8_PS5_S9_ZN2at6native12_GLOBAL__N_124unique_dim_cuda_templateIjEESt5tupleIJNSA_6TensorESF_SF_EERKSF_lbbbEUlllE_EE10hipError_tT0_T1_T2_T3_mRjT4_P12ihipStream_tbNS1_7vsmem_tEEUlT_E_NS1_11comp_targetILNS1_3genE0ELNS1_11target_archE4294967295ELNS1_3gpuE0ELNS1_3repE0EEENS1_30default_config_static_selectorELNS0_4arch9wavefront6targetE1EEEvSM_, .Lfunc_end1483-_ZN7rocprim17ROCPRIM_400000_NS6detail17trampoline_kernelINS0_14default_configENS1_37merge_sort_block_sort_config_selectorIlNS0_10empty_typeEEEZNS1_21merge_sort_block_sortIS3_PlS8_PS5_S9_ZN2at6native12_GLOBAL__N_124unique_dim_cuda_templateIjEESt5tupleIJNSA_6TensorESF_SF_EERKSF_lbbbEUlllE_EE10hipError_tT0_T1_T2_T3_mRjT4_P12ihipStream_tbNS1_7vsmem_tEEUlT_E_NS1_11comp_targetILNS1_3genE0ELNS1_11target_archE4294967295ELNS1_3gpuE0ELNS1_3repE0EEENS1_30default_config_static_selectorELNS0_4arch9wavefront6targetE1EEEvSM_
                                        ; -- End function
	.set _ZN7rocprim17ROCPRIM_400000_NS6detail17trampoline_kernelINS0_14default_configENS1_37merge_sort_block_sort_config_selectorIlNS0_10empty_typeEEEZNS1_21merge_sort_block_sortIS3_PlS8_PS5_S9_ZN2at6native12_GLOBAL__N_124unique_dim_cuda_templateIjEESt5tupleIJNSA_6TensorESF_SF_EERKSF_lbbbEUlllE_EE10hipError_tT0_T1_T2_T3_mRjT4_P12ihipStream_tbNS1_7vsmem_tEEUlT_E_NS1_11comp_targetILNS1_3genE0ELNS1_11target_archE4294967295ELNS1_3gpuE0ELNS1_3repE0EEENS1_30default_config_static_selectorELNS0_4arch9wavefront6targetE1EEEvSM_.num_vgpr, 55
	.set _ZN7rocprim17ROCPRIM_400000_NS6detail17trampoline_kernelINS0_14default_configENS1_37merge_sort_block_sort_config_selectorIlNS0_10empty_typeEEEZNS1_21merge_sort_block_sortIS3_PlS8_PS5_S9_ZN2at6native12_GLOBAL__N_124unique_dim_cuda_templateIjEESt5tupleIJNSA_6TensorESF_SF_EERKSF_lbbbEUlllE_EE10hipError_tT0_T1_T2_T3_mRjT4_P12ihipStream_tbNS1_7vsmem_tEEUlT_E_NS1_11comp_targetILNS1_3genE0ELNS1_11target_archE4294967295ELNS1_3gpuE0ELNS1_3repE0EEENS1_30default_config_static_selectorELNS0_4arch9wavefront6targetE1EEEvSM_.num_agpr, 0
	.set _ZN7rocprim17ROCPRIM_400000_NS6detail17trampoline_kernelINS0_14default_configENS1_37merge_sort_block_sort_config_selectorIlNS0_10empty_typeEEEZNS1_21merge_sort_block_sortIS3_PlS8_PS5_S9_ZN2at6native12_GLOBAL__N_124unique_dim_cuda_templateIjEESt5tupleIJNSA_6TensorESF_SF_EERKSF_lbbbEUlllE_EE10hipError_tT0_T1_T2_T3_mRjT4_P12ihipStream_tbNS1_7vsmem_tEEUlT_E_NS1_11comp_targetILNS1_3genE0ELNS1_11target_archE4294967295ELNS1_3gpuE0ELNS1_3repE0EEENS1_30default_config_static_selectorELNS0_4arch9wavefront6targetE1EEEvSM_.numbered_sgpr, 67
	.set _ZN7rocprim17ROCPRIM_400000_NS6detail17trampoline_kernelINS0_14default_configENS1_37merge_sort_block_sort_config_selectorIlNS0_10empty_typeEEEZNS1_21merge_sort_block_sortIS3_PlS8_PS5_S9_ZN2at6native12_GLOBAL__N_124unique_dim_cuda_templateIjEESt5tupleIJNSA_6TensorESF_SF_EERKSF_lbbbEUlllE_EE10hipError_tT0_T1_T2_T3_mRjT4_P12ihipStream_tbNS1_7vsmem_tEEUlT_E_NS1_11comp_targetILNS1_3genE0ELNS1_11target_archE4294967295ELNS1_3gpuE0ELNS1_3repE0EEENS1_30default_config_static_selectorELNS0_4arch9wavefront6targetE1EEEvSM_.num_named_barrier, 0
	.set _ZN7rocprim17ROCPRIM_400000_NS6detail17trampoline_kernelINS0_14default_configENS1_37merge_sort_block_sort_config_selectorIlNS0_10empty_typeEEEZNS1_21merge_sort_block_sortIS3_PlS8_PS5_S9_ZN2at6native12_GLOBAL__N_124unique_dim_cuda_templateIjEESt5tupleIJNSA_6TensorESF_SF_EERKSF_lbbbEUlllE_EE10hipError_tT0_T1_T2_T3_mRjT4_P12ihipStream_tbNS1_7vsmem_tEEUlT_E_NS1_11comp_targetILNS1_3genE0ELNS1_11target_archE4294967295ELNS1_3gpuE0ELNS1_3repE0EEENS1_30default_config_static_selectorELNS0_4arch9wavefront6targetE1EEEvSM_.private_seg_size, 0
	.set _ZN7rocprim17ROCPRIM_400000_NS6detail17trampoline_kernelINS0_14default_configENS1_37merge_sort_block_sort_config_selectorIlNS0_10empty_typeEEEZNS1_21merge_sort_block_sortIS3_PlS8_PS5_S9_ZN2at6native12_GLOBAL__N_124unique_dim_cuda_templateIjEESt5tupleIJNSA_6TensorESF_SF_EERKSF_lbbbEUlllE_EE10hipError_tT0_T1_T2_T3_mRjT4_P12ihipStream_tbNS1_7vsmem_tEEUlT_E_NS1_11comp_targetILNS1_3genE0ELNS1_11target_archE4294967295ELNS1_3gpuE0ELNS1_3repE0EEENS1_30default_config_static_selectorELNS0_4arch9wavefront6targetE1EEEvSM_.uses_vcc, 1
	.set _ZN7rocprim17ROCPRIM_400000_NS6detail17trampoline_kernelINS0_14default_configENS1_37merge_sort_block_sort_config_selectorIlNS0_10empty_typeEEEZNS1_21merge_sort_block_sortIS3_PlS8_PS5_S9_ZN2at6native12_GLOBAL__N_124unique_dim_cuda_templateIjEESt5tupleIJNSA_6TensorESF_SF_EERKSF_lbbbEUlllE_EE10hipError_tT0_T1_T2_T3_mRjT4_P12ihipStream_tbNS1_7vsmem_tEEUlT_E_NS1_11comp_targetILNS1_3genE0ELNS1_11target_archE4294967295ELNS1_3gpuE0ELNS1_3repE0EEENS1_30default_config_static_selectorELNS0_4arch9wavefront6targetE1EEEvSM_.uses_flat_scratch, 0
	.set _ZN7rocprim17ROCPRIM_400000_NS6detail17trampoline_kernelINS0_14default_configENS1_37merge_sort_block_sort_config_selectorIlNS0_10empty_typeEEEZNS1_21merge_sort_block_sortIS3_PlS8_PS5_S9_ZN2at6native12_GLOBAL__N_124unique_dim_cuda_templateIjEESt5tupleIJNSA_6TensorESF_SF_EERKSF_lbbbEUlllE_EE10hipError_tT0_T1_T2_T3_mRjT4_P12ihipStream_tbNS1_7vsmem_tEEUlT_E_NS1_11comp_targetILNS1_3genE0ELNS1_11target_archE4294967295ELNS1_3gpuE0ELNS1_3repE0EEENS1_30default_config_static_selectorELNS0_4arch9wavefront6targetE1EEEvSM_.has_dyn_sized_stack, 0
	.set _ZN7rocprim17ROCPRIM_400000_NS6detail17trampoline_kernelINS0_14default_configENS1_37merge_sort_block_sort_config_selectorIlNS0_10empty_typeEEEZNS1_21merge_sort_block_sortIS3_PlS8_PS5_S9_ZN2at6native12_GLOBAL__N_124unique_dim_cuda_templateIjEESt5tupleIJNSA_6TensorESF_SF_EERKSF_lbbbEUlllE_EE10hipError_tT0_T1_T2_T3_mRjT4_P12ihipStream_tbNS1_7vsmem_tEEUlT_E_NS1_11comp_targetILNS1_3genE0ELNS1_11target_archE4294967295ELNS1_3gpuE0ELNS1_3repE0EEENS1_30default_config_static_selectorELNS0_4arch9wavefront6targetE1EEEvSM_.has_recursion, 0
	.set _ZN7rocprim17ROCPRIM_400000_NS6detail17trampoline_kernelINS0_14default_configENS1_37merge_sort_block_sort_config_selectorIlNS0_10empty_typeEEEZNS1_21merge_sort_block_sortIS3_PlS8_PS5_S9_ZN2at6native12_GLOBAL__N_124unique_dim_cuda_templateIjEESt5tupleIJNSA_6TensorESF_SF_EERKSF_lbbbEUlllE_EE10hipError_tT0_T1_T2_T3_mRjT4_P12ihipStream_tbNS1_7vsmem_tEEUlT_E_NS1_11comp_targetILNS1_3genE0ELNS1_11target_archE4294967295ELNS1_3gpuE0ELNS1_3repE0EEENS1_30default_config_static_selectorELNS0_4arch9wavefront6targetE1EEEvSM_.has_indirect_call, 0
	.section	.AMDGPU.csdata,"",@progbits
; Kernel info:
; codeLenInByte = 60688
; TotalNumSgprs: 73
; NumVgprs: 55
; NumAgprs: 0
; TotalNumVgprs: 55
; ScratchSize: 0
; MemoryBound: 0
; FloatMode: 240
; IeeeMode: 1
; LDSByteSize: 16896 bytes/workgroup (compile time only)
; SGPRBlocks: 9
; VGPRBlocks: 6
; NumSGPRsForWavesPerEU: 73
; NumVGPRsForWavesPerEU: 55
; AccumOffset: 56
; Occupancy: 8
; WaveLimiterHint : 1
; COMPUTE_PGM_RSRC2:SCRATCH_EN: 0
; COMPUTE_PGM_RSRC2:USER_SGPR: 2
; COMPUTE_PGM_RSRC2:TRAP_HANDLER: 0
; COMPUTE_PGM_RSRC2:TGID_X_EN: 1
; COMPUTE_PGM_RSRC2:TGID_Y_EN: 1
; COMPUTE_PGM_RSRC2:TGID_Z_EN: 1
; COMPUTE_PGM_RSRC2:TIDIG_COMP_CNT: 2
; COMPUTE_PGM_RSRC3_GFX90A:ACCUM_OFFSET: 13
; COMPUTE_PGM_RSRC3_GFX90A:TG_SPLIT: 0
	.section	.text._ZN7rocprim17ROCPRIM_400000_NS6detail17trampoline_kernelINS0_14default_configENS1_37merge_sort_block_sort_config_selectorIlNS0_10empty_typeEEEZNS1_21merge_sort_block_sortIS3_PlS8_PS5_S9_ZN2at6native12_GLOBAL__N_124unique_dim_cuda_templateIjEESt5tupleIJNSA_6TensorESF_SF_EERKSF_lbbbEUlllE_EE10hipError_tT0_T1_T2_T3_mRjT4_P12ihipStream_tbNS1_7vsmem_tEEUlT_E_NS1_11comp_targetILNS1_3genE5ELNS1_11target_archE942ELNS1_3gpuE9ELNS1_3repE0EEENS1_30default_config_static_selectorELNS0_4arch9wavefront6targetE1EEEvSM_,"axG",@progbits,_ZN7rocprim17ROCPRIM_400000_NS6detail17trampoline_kernelINS0_14default_configENS1_37merge_sort_block_sort_config_selectorIlNS0_10empty_typeEEEZNS1_21merge_sort_block_sortIS3_PlS8_PS5_S9_ZN2at6native12_GLOBAL__N_124unique_dim_cuda_templateIjEESt5tupleIJNSA_6TensorESF_SF_EERKSF_lbbbEUlllE_EE10hipError_tT0_T1_T2_T3_mRjT4_P12ihipStream_tbNS1_7vsmem_tEEUlT_E_NS1_11comp_targetILNS1_3genE5ELNS1_11target_archE942ELNS1_3gpuE9ELNS1_3repE0EEENS1_30default_config_static_selectorELNS0_4arch9wavefront6targetE1EEEvSM_,comdat
	.globl	_ZN7rocprim17ROCPRIM_400000_NS6detail17trampoline_kernelINS0_14default_configENS1_37merge_sort_block_sort_config_selectorIlNS0_10empty_typeEEEZNS1_21merge_sort_block_sortIS3_PlS8_PS5_S9_ZN2at6native12_GLOBAL__N_124unique_dim_cuda_templateIjEESt5tupleIJNSA_6TensorESF_SF_EERKSF_lbbbEUlllE_EE10hipError_tT0_T1_T2_T3_mRjT4_P12ihipStream_tbNS1_7vsmem_tEEUlT_E_NS1_11comp_targetILNS1_3genE5ELNS1_11target_archE942ELNS1_3gpuE9ELNS1_3repE0EEENS1_30default_config_static_selectorELNS0_4arch9wavefront6targetE1EEEvSM_ ; -- Begin function _ZN7rocprim17ROCPRIM_400000_NS6detail17trampoline_kernelINS0_14default_configENS1_37merge_sort_block_sort_config_selectorIlNS0_10empty_typeEEEZNS1_21merge_sort_block_sortIS3_PlS8_PS5_S9_ZN2at6native12_GLOBAL__N_124unique_dim_cuda_templateIjEESt5tupleIJNSA_6TensorESF_SF_EERKSF_lbbbEUlllE_EE10hipError_tT0_T1_T2_T3_mRjT4_P12ihipStream_tbNS1_7vsmem_tEEUlT_E_NS1_11comp_targetILNS1_3genE5ELNS1_11target_archE942ELNS1_3gpuE9ELNS1_3repE0EEENS1_30default_config_static_selectorELNS0_4arch9wavefront6targetE1EEEvSM_
	.p2align	8
	.type	_ZN7rocprim17ROCPRIM_400000_NS6detail17trampoline_kernelINS0_14default_configENS1_37merge_sort_block_sort_config_selectorIlNS0_10empty_typeEEEZNS1_21merge_sort_block_sortIS3_PlS8_PS5_S9_ZN2at6native12_GLOBAL__N_124unique_dim_cuda_templateIjEESt5tupleIJNSA_6TensorESF_SF_EERKSF_lbbbEUlllE_EE10hipError_tT0_T1_T2_T3_mRjT4_P12ihipStream_tbNS1_7vsmem_tEEUlT_E_NS1_11comp_targetILNS1_3genE5ELNS1_11target_archE942ELNS1_3gpuE9ELNS1_3repE0EEENS1_30default_config_static_selectorELNS0_4arch9wavefront6targetE1EEEvSM_,@function
_ZN7rocprim17ROCPRIM_400000_NS6detail17trampoline_kernelINS0_14default_configENS1_37merge_sort_block_sort_config_selectorIlNS0_10empty_typeEEEZNS1_21merge_sort_block_sortIS3_PlS8_PS5_S9_ZN2at6native12_GLOBAL__N_124unique_dim_cuda_templateIjEESt5tupleIJNSA_6TensorESF_SF_EERKSF_lbbbEUlllE_EE10hipError_tT0_T1_T2_T3_mRjT4_P12ihipStream_tbNS1_7vsmem_tEEUlT_E_NS1_11comp_targetILNS1_3genE5ELNS1_11target_archE942ELNS1_3gpuE9ELNS1_3repE0EEENS1_30default_config_static_selectorELNS0_4arch9wavefront6targetE1EEEvSM_: ; @_ZN7rocprim17ROCPRIM_400000_NS6detail17trampoline_kernelINS0_14default_configENS1_37merge_sort_block_sort_config_selectorIlNS0_10empty_typeEEEZNS1_21merge_sort_block_sortIS3_PlS8_PS5_S9_ZN2at6native12_GLOBAL__N_124unique_dim_cuda_templateIjEESt5tupleIJNSA_6TensorESF_SF_EERKSF_lbbbEUlllE_EE10hipError_tT0_T1_T2_T3_mRjT4_P12ihipStream_tbNS1_7vsmem_tEEUlT_E_NS1_11comp_targetILNS1_3genE5ELNS1_11target_archE942ELNS1_3gpuE9ELNS1_3repE0EEENS1_30default_config_static_selectorELNS0_4arch9wavefront6targetE1EEEvSM_
; %bb.0:
	.section	.rodata,"a",@progbits
	.p2align	6, 0x0
	.amdhsa_kernel _ZN7rocprim17ROCPRIM_400000_NS6detail17trampoline_kernelINS0_14default_configENS1_37merge_sort_block_sort_config_selectorIlNS0_10empty_typeEEEZNS1_21merge_sort_block_sortIS3_PlS8_PS5_S9_ZN2at6native12_GLOBAL__N_124unique_dim_cuda_templateIjEESt5tupleIJNSA_6TensorESF_SF_EERKSF_lbbbEUlllE_EE10hipError_tT0_T1_T2_T3_mRjT4_P12ihipStream_tbNS1_7vsmem_tEEUlT_E_NS1_11comp_targetILNS1_3genE5ELNS1_11target_archE942ELNS1_3gpuE9ELNS1_3repE0EEENS1_30default_config_static_selectorELNS0_4arch9wavefront6targetE1EEEvSM_
		.amdhsa_group_segment_fixed_size 0
		.amdhsa_private_segment_fixed_size 0
		.amdhsa_kernarg_size 72
		.amdhsa_user_sgpr_count 2
		.amdhsa_user_sgpr_dispatch_ptr 0
		.amdhsa_user_sgpr_queue_ptr 0
		.amdhsa_user_sgpr_kernarg_segment_ptr 1
		.amdhsa_user_sgpr_dispatch_id 0
		.amdhsa_user_sgpr_kernarg_preload_length 0
		.amdhsa_user_sgpr_kernarg_preload_offset 0
		.amdhsa_user_sgpr_private_segment_size 0
		.amdhsa_uses_dynamic_stack 0
		.amdhsa_enable_private_segment 0
		.amdhsa_system_sgpr_workgroup_id_x 1
		.amdhsa_system_sgpr_workgroup_id_y 0
		.amdhsa_system_sgpr_workgroup_id_z 0
		.amdhsa_system_sgpr_workgroup_info 0
		.amdhsa_system_vgpr_workitem_id 0
		.amdhsa_next_free_vgpr 1
		.amdhsa_next_free_sgpr 0
		.amdhsa_accum_offset 4
		.amdhsa_reserve_vcc 0
		.amdhsa_float_round_mode_32 0
		.amdhsa_float_round_mode_16_64 0
		.amdhsa_float_denorm_mode_32 3
		.amdhsa_float_denorm_mode_16_64 3
		.amdhsa_dx10_clamp 1
		.amdhsa_ieee_mode 1
		.amdhsa_fp16_overflow 0
		.amdhsa_tg_split 0
		.amdhsa_exception_fp_ieee_invalid_op 0
		.amdhsa_exception_fp_denorm_src 0
		.amdhsa_exception_fp_ieee_div_zero 0
		.amdhsa_exception_fp_ieee_overflow 0
		.amdhsa_exception_fp_ieee_underflow 0
		.amdhsa_exception_fp_ieee_inexact 0
		.amdhsa_exception_int_div_zero 0
	.end_amdhsa_kernel
	.section	.text._ZN7rocprim17ROCPRIM_400000_NS6detail17trampoline_kernelINS0_14default_configENS1_37merge_sort_block_sort_config_selectorIlNS0_10empty_typeEEEZNS1_21merge_sort_block_sortIS3_PlS8_PS5_S9_ZN2at6native12_GLOBAL__N_124unique_dim_cuda_templateIjEESt5tupleIJNSA_6TensorESF_SF_EERKSF_lbbbEUlllE_EE10hipError_tT0_T1_T2_T3_mRjT4_P12ihipStream_tbNS1_7vsmem_tEEUlT_E_NS1_11comp_targetILNS1_3genE5ELNS1_11target_archE942ELNS1_3gpuE9ELNS1_3repE0EEENS1_30default_config_static_selectorELNS0_4arch9wavefront6targetE1EEEvSM_,"axG",@progbits,_ZN7rocprim17ROCPRIM_400000_NS6detail17trampoline_kernelINS0_14default_configENS1_37merge_sort_block_sort_config_selectorIlNS0_10empty_typeEEEZNS1_21merge_sort_block_sortIS3_PlS8_PS5_S9_ZN2at6native12_GLOBAL__N_124unique_dim_cuda_templateIjEESt5tupleIJNSA_6TensorESF_SF_EERKSF_lbbbEUlllE_EE10hipError_tT0_T1_T2_T3_mRjT4_P12ihipStream_tbNS1_7vsmem_tEEUlT_E_NS1_11comp_targetILNS1_3genE5ELNS1_11target_archE942ELNS1_3gpuE9ELNS1_3repE0EEENS1_30default_config_static_selectorELNS0_4arch9wavefront6targetE1EEEvSM_,comdat
.Lfunc_end1484:
	.size	_ZN7rocprim17ROCPRIM_400000_NS6detail17trampoline_kernelINS0_14default_configENS1_37merge_sort_block_sort_config_selectorIlNS0_10empty_typeEEEZNS1_21merge_sort_block_sortIS3_PlS8_PS5_S9_ZN2at6native12_GLOBAL__N_124unique_dim_cuda_templateIjEESt5tupleIJNSA_6TensorESF_SF_EERKSF_lbbbEUlllE_EE10hipError_tT0_T1_T2_T3_mRjT4_P12ihipStream_tbNS1_7vsmem_tEEUlT_E_NS1_11comp_targetILNS1_3genE5ELNS1_11target_archE942ELNS1_3gpuE9ELNS1_3repE0EEENS1_30default_config_static_selectorELNS0_4arch9wavefront6targetE1EEEvSM_, .Lfunc_end1484-_ZN7rocprim17ROCPRIM_400000_NS6detail17trampoline_kernelINS0_14default_configENS1_37merge_sort_block_sort_config_selectorIlNS0_10empty_typeEEEZNS1_21merge_sort_block_sortIS3_PlS8_PS5_S9_ZN2at6native12_GLOBAL__N_124unique_dim_cuda_templateIjEESt5tupleIJNSA_6TensorESF_SF_EERKSF_lbbbEUlllE_EE10hipError_tT0_T1_T2_T3_mRjT4_P12ihipStream_tbNS1_7vsmem_tEEUlT_E_NS1_11comp_targetILNS1_3genE5ELNS1_11target_archE942ELNS1_3gpuE9ELNS1_3repE0EEENS1_30default_config_static_selectorELNS0_4arch9wavefront6targetE1EEEvSM_
                                        ; -- End function
	.set _ZN7rocprim17ROCPRIM_400000_NS6detail17trampoline_kernelINS0_14default_configENS1_37merge_sort_block_sort_config_selectorIlNS0_10empty_typeEEEZNS1_21merge_sort_block_sortIS3_PlS8_PS5_S9_ZN2at6native12_GLOBAL__N_124unique_dim_cuda_templateIjEESt5tupleIJNSA_6TensorESF_SF_EERKSF_lbbbEUlllE_EE10hipError_tT0_T1_T2_T3_mRjT4_P12ihipStream_tbNS1_7vsmem_tEEUlT_E_NS1_11comp_targetILNS1_3genE5ELNS1_11target_archE942ELNS1_3gpuE9ELNS1_3repE0EEENS1_30default_config_static_selectorELNS0_4arch9wavefront6targetE1EEEvSM_.num_vgpr, 0
	.set _ZN7rocprim17ROCPRIM_400000_NS6detail17trampoline_kernelINS0_14default_configENS1_37merge_sort_block_sort_config_selectorIlNS0_10empty_typeEEEZNS1_21merge_sort_block_sortIS3_PlS8_PS5_S9_ZN2at6native12_GLOBAL__N_124unique_dim_cuda_templateIjEESt5tupleIJNSA_6TensorESF_SF_EERKSF_lbbbEUlllE_EE10hipError_tT0_T1_T2_T3_mRjT4_P12ihipStream_tbNS1_7vsmem_tEEUlT_E_NS1_11comp_targetILNS1_3genE5ELNS1_11target_archE942ELNS1_3gpuE9ELNS1_3repE0EEENS1_30default_config_static_selectorELNS0_4arch9wavefront6targetE1EEEvSM_.num_agpr, 0
	.set _ZN7rocprim17ROCPRIM_400000_NS6detail17trampoline_kernelINS0_14default_configENS1_37merge_sort_block_sort_config_selectorIlNS0_10empty_typeEEEZNS1_21merge_sort_block_sortIS3_PlS8_PS5_S9_ZN2at6native12_GLOBAL__N_124unique_dim_cuda_templateIjEESt5tupleIJNSA_6TensorESF_SF_EERKSF_lbbbEUlllE_EE10hipError_tT0_T1_T2_T3_mRjT4_P12ihipStream_tbNS1_7vsmem_tEEUlT_E_NS1_11comp_targetILNS1_3genE5ELNS1_11target_archE942ELNS1_3gpuE9ELNS1_3repE0EEENS1_30default_config_static_selectorELNS0_4arch9wavefront6targetE1EEEvSM_.numbered_sgpr, 0
	.set _ZN7rocprim17ROCPRIM_400000_NS6detail17trampoline_kernelINS0_14default_configENS1_37merge_sort_block_sort_config_selectorIlNS0_10empty_typeEEEZNS1_21merge_sort_block_sortIS3_PlS8_PS5_S9_ZN2at6native12_GLOBAL__N_124unique_dim_cuda_templateIjEESt5tupleIJNSA_6TensorESF_SF_EERKSF_lbbbEUlllE_EE10hipError_tT0_T1_T2_T3_mRjT4_P12ihipStream_tbNS1_7vsmem_tEEUlT_E_NS1_11comp_targetILNS1_3genE5ELNS1_11target_archE942ELNS1_3gpuE9ELNS1_3repE0EEENS1_30default_config_static_selectorELNS0_4arch9wavefront6targetE1EEEvSM_.num_named_barrier, 0
	.set _ZN7rocprim17ROCPRIM_400000_NS6detail17trampoline_kernelINS0_14default_configENS1_37merge_sort_block_sort_config_selectorIlNS0_10empty_typeEEEZNS1_21merge_sort_block_sortIS3_PlS8_PS5_S9_ZN2at6native12_GLOBAL__N_124unique_dim_cuda_templateIjEESt5tupleIJNSA_6TensorESF_SF_EERKSF_lbbbEUlllE_EE10hipError_tT0_T1_T2_T3_mRjT4_P12ihipStream_tbNS1_7vsmem_tEEUlT_E_NS1_11comp_targetILNS1_3genE5ELNS1_11target_archE942ELNS1_3gpuE9ELNS1_3repE0EEENS1_30default_config_static_selectorELNS0_4arch9wavefront6targetE1EEEvSM_.private_seg_size, 0
	.set _ZN7rocprim17ROCPRIM_400000_NS6detail17trampoline_kernelINS0_14default_configENS1_37merge_sort_block_sort_config_selectorIlNS0_10empty_typeEEEZNS1_21merge_sort_block_sortIS3_PlS8_PS5_S9_ZN2at6native12_GLOBAL__N_124unique_dim_cuda_templateIjEESt5tupleIJNSA_6TensorESF_SF_EERKSF_lbbbEUlllE_EE10hipError_tT0_T1_T2_T3_mRjT4_P12ihipStream_tbNS1_7vsmem_tEEUlT_E_NS1_11comp_targetILNS1_3genE5ELNS1_11target_archE942ELNS1_3gpuE9ELNS1_3repE0EEENS1_30default_config_static_selectorELNS0_4arch9wavefront6targetE1EEEvSM_.uses_vcc, 0
	.set _ZN7rocprim17ROCPRIM_400000_NS6detail17trampoline_kernelINS0_14default_configENS1_37merge_sort_block_sort_config_selectorIlNS0_10empty_typeEEEZNS1_21merge_sort_block_sortIS3_PlS8_PS5_S9_ZN2at6native12_GLOBAL__N_124unique_dim_cuda_templateIjEESt5tupleIJNSA_6TensorESF_SF_EERKSF_lbbbEUlllE_EE10hipError_tT0_T1_T2_T3_mRjT4_P12ihipStream_tbNS1_7vsmem_tEEUlT_E_NS1_11comp_targetILNS1_3genE5ELNS1_11target_archE942ELNS1_3gpuE9ELNS1_3repE0EEENS1_30default_config_static_selectorELNS0_4arch9wavefront6targetE1EEEvSM_.uses_flat_scratch, 0
	.set _ZN7rocprim17ROCPRIM_400000_NS6detail17trampoline_kernelINS0_14default_configENS1_37merge_sort_block_sort_config_selectorIlNS0_10empty_typeEEEZNS1_21merge_sort_block_sortIS3_PlS8_PS5_S9_ZN2at6native12_GLOBAL__N_124unique_dim_cuda_templateIjEESt5tupleIJNSA_6TensorESF_SF_EERKSF_lbbbEUlllE_EE10hipError_tT0_T1_T2_T3_mRjT4_P12ihipStream_tbNS1_7vsmem_tEEUlT_E_NS1_11comp_targetILNS1_3genE5ELNS1_11target_archE942ELNS1_3gpuE9ELNS1_3repE0EEENS1_30default_config_static_selectorELNS0_4arch9wavefront6targetE1EEEvSM_.has_dyn_sized_stack, 0
	.set _ZN7rocprim17ROCPRIM_400000_NS6detail17trampoline_kernelINS0_14default_configENS1_37merge_sort_block_sort_config_selectorIlNS0_10empty_typeEEEZNS1_21merge_sort_block_sortIS3_PlS8_PS5_S9_ZN2at6native12_GLOBAL__N_124unique_dim_cuda_templateIjEESt5tupleIJNSA_6TensorESF_SF_EERKSF_lbbbEUlllE_EE10hipError_tT0_T1_T2_T3_mRjT4_P12ihipStream_tbNS1_7vsmem_tEEUlT_E_NS1_11comp_targetILNS1_3genE5ELNS1_11target_archE942ELNS1_3gpuE9ELNS1_3repE0EEENS1_30default_config_static_selectorELNS0_4arch9wavefront6targetE1EEEvSM_.has_recursion, 0
	.set _ZN7rocprim17ROCPRIM_400000_NS6detail17trampoline_kernelINS0_14default_configENS1_37merge_sort_block_sort_config_selectorIlNS0_10empty_typeEEEZNS1_21merge_sort_block_sortIS3_PlS8_PS5_S9_ZN2at6native12_GLOBAL__N_124unique_dim_cuda_templateIjEESt5tupleIJNSA_6TensorESF_SF_EERKSF_lbbbEUlllE_EE10hipError_tT0_T1_T2_T3_mRjT4_P12ihipStream_tbNS1_7vsmem_tEEUlT_E_NS1_11comp_targetILNS1_3genE5ELNS1_11target_archE942ELNS1_3gpuE9ELNS1_3repE0EEENS1_30default_config_static_selectorELNS0_4arch9wavefront6targetE1EEEvSM_.has_indirect_call, 0
	.section	.AMDGPU.csdata,"",@progbits
; Kernel info:
; codeLenInByte = 0
; TotalNumSgprs: 6
; NumVgprs: 0
; NumAgprs: 0
; TotalNumVgprs: 0
; ScratchSize: 0
; MemoryBound: 0
; FloatMode: 240
; IeeeMode: 1
; LDSByteSize: 0 bytes/workgroup (compile time only)
; SGPRBlocks: 0
; VGPRBlocks: 0
; NumSGPRsForWavesPerEU: 6
; NumVGPRsForWavesPerEU: 1
; AccumOffset: 4
; Occupancy: 8
; WaveLimiterHint : 0
; COMPUTE_PGM_RSRC2:SCRATCH_EN: 0
; COMPUTE_PGM_RSRC2:USER_SGPR: 2
; COMPUTE_PGM_RSRC2:TRAP_HANDLER: 0
; COMPUTE_PGM_RSRC2:TGID_X_EN: 1
; COMPUTE_PGM_RSRC2:TGID_Y_EN: 0
; COMPUTE_PGM_RSRC2:TGID_Z_EN: 0
; COMPUTE_PGM_RSRC2:TIDIG_COMP_CNT: 0
; COMPUTE_PGM_RSRC3_GFX90A:ACCUM_OFFSET: 0
; COMPUTE_PGM_RSRC3_GFX90A:TG_SPLIT: 0
	.section	.text._ZN7rocprim17ROCPRIM_400000_NS6detail17trampoline_kernelINS0_14default_configENS1_37merge_sort_block_sort_config_selectorIlNS0_10empty_typeEEEZNS1_21merge_sort_block_sortIS3_PlS8_PS5_S9_ZN2at6native12_GLOBAL__N_124unique_dim_cuda_templateIjEESt5tupleIJNSA_6TensorESF_SF_EERKSF_lbbbEUlllE_EE10hipError_tT0_T1_T2_T3_mRjT4_P12ihipStream_tbNS1_7vsmem_tEEUlT_E_NS1_11comp_targetILNS1_3genE4ELNS1_11target_archE910ELNS1_3gpuE8ELNS1_3repE0EEENS1_30default_config_static_selectorELNS0_4arch9wavefront6targetE1EEEvSM_,"axG",@progbits,_ZN7rocprim17ROCPRIM_400000_NS6detail17trampoline_kernelINS0_14default_configENS1_37merge_sort_block_sort_config_selectorIlNS0_10empty_typeEEEZNS1_21merge_sort_block_sortIS3_PlS8_PS5_S9_ZN2at6native12_GLOBAL__N_124unique_dim_cuda_templateIjEESt5tupleIJNSA_6TensorESF_SF_EERKSF_lbbbEUlllE_EE10hipError_tT0_T1_T2_T3_mRjT4_P12ihipStream_tbNS1_7vsmem_tEEUlT_E_NS1_11comp_targetILNS1_3genE4ELNS1_11target_archE910ELNS1_3gpuE8ELNS1_3repE0EEENS1_30default_config_static_selectorELNS0_4arch9wavefront6targetE1EEEvSM_,comdat
	.globl	_ZN7rocprim17ROCPRIM_400000_NS6detail17trampoline_kernelINS0_14default_configENS1_37merge_sort_block_sort_config_selectorIlNS0_10empty_typeEEEZNS1_21merge_sort_block_sortIS3_PlS8_PS5_S9_ZN2at6native12_GLOBAL__N_124unique_dim_cuda_templateIjEESt5tupleIJNSA_6TensorESF_SF_EERKSF_lbbbEUlllE_EE10hipError_tT0_T1_T2_T3_mRjT4_P12ihipStream_tbNS1_7vsmem_tEEUlT_E_NS1_11comp_targetILNS1_3genE4ELNS1_11target_archE910ELNS1_3gpuE8ELNS1_3repE0EEENS1_30default_config_static_selectorELNS0_4arch9wavefront6targetE1EEEvSM_ ; -- Begin function _ZN7rocprim17ROCPRIM_400000_NS6detail17trampoline_kernelINS0_14default_configENS1_37merge_sort_block_sort_config_selectorIlNS0_10empty_typeEEEZNS1_21merge_sort_block_sortIS3_PlS8_PS5_S9_ZN2at6native12_GLOBAL__N_124unique_dim_cuda_templateIjEESt5tupleIJNSA_6TensorESF_SF_EERKSF_lbbbEUlllE_EE10hipError_tT0_T1_T2_T3_mRjT4_P12ihipStream_tbNS1_7vsmem_tEEUlT_E_NS1_11comp_targetILNS1_3genE4ELNS1_11target_archE910ELNS1_3gpuE8ELNS1_3repE0EEENS1_30default_config_static_selectorELNS0_4arch9wavefront6targetE1EEEvSM_
	.p2align	8
	.type	_ZN7rocprim17ROCPRIM_400000_NS6detail17trampoline_kernelINS0_14default_configENS1_37merge_sort_block_sort_config_selectorIlNS0_10empty_typeEEEZNS1_21merge_sort_block_sortIS3_PlS8_PS5_S9_ZN2at6native12_GLOBAL__N_124unique_dim_cuda_templateIjEESt5tupleIJNSA_6TensorESF_SF_EERKSF_lbbbEUlllE_EE10hipError_tT0_T1_T2_T3_mRjT4_P12ihipStream_tbNS1_7vsmem_tEEUlT_E_NS1_11comp_targetILNS1_3genE4ELNS1_11target_archE910ELNS1_3gpuE8ELNS1_3repE0EEENS1_30default_config_static_selectorELNS0_4arch9wavefront6targetE1EEEvSM_,@function
_ZN7rocprim17ROCPRIM_400000_NS6detail17trampoline_kernelINS0_14default_configENS1_37merge_sort_block_sort_config_selectorIlNS0_10empty_typeEEEZNS1_21merge_sort_block_sortIS3_PlS8_PS5_S9_ZN2at6native12_GLOBAL__N_124unique_dim_cuda_templateIjEESt5tupleIJNSA_6TensorESF_SF_EERKSF_lbbbEUlllE_EE10hipError_tT0_T1_T2_T3_mRjT4_P12ihipStream_tbNS1_7vsmem_tEEUlT_E_NS1_11comp_targetILNS1_3genE4ELNS1_11target_archE910ELNS1_3gpuE8ELNS1_3repE0EEENS1_30default_config_static_selectorELNS0_4arch9wavefront6targetE1EEEvSM_: ; @_ZN7rocprim17ROCPRIM_400000_NS6detail17trampoline_kernelINS0_14default_configENS1_37merge_sort_block_sort_config_selectorIlNS0_10empty_typeEEEZNS1_21merge_sort_block_sortIS3_PlS8_PS5_S9_ZN2at6native12_GLOBAL__N_124unique_dim_cuda_templateIjEESt5tupleIJNSA_6TensorESF_SF_EERKSF_lbbbEUlllE_EE10hipError_tT0_T1_T2_T3_mRjT4_P12ihipStream_tbNS1_7vsmem_tEEUlT_E_NS1_11comp_targetILNS1_3genE4ELNS1_11target_archE910ELNS1_3gpuE8ELNS1_3repE0EEENS1_30default_config_static_selectorELNS0_4arch9wavefront6targetE1EEEvSM_
; %bb.0:
	.section	.rodata,"a",@progbits
	.p2align	6, 0x0
	.amdhsa_kernel _ZN7rocprim17ROCPRIM_400000_NS6detail17trampoline_kernelINS0_14default_configENS1_37merge_sort_block_sort_config_selectorIlNS0_10empty_typeEEEZNS1_21merge_sort_block_sortIS3_PlS8_PS5_S9_ZN2at6native12_GLOBAL__N_124unique_dim_cuda_templateIjEESt5tupleIJNSA_6TensorESF_SF_EERKSF_lbbbEUlllE_EE10hipError_tT0_T1_T2_T3_mRjT4_P12ihipStream_tbNS1_7vsmem_tEEUlT_E_NS1_11comp_targetILNS1_3genE4ELNS1_11target_archE910ELNS1_3gpuE8ELNS1_3repE0EEENS1_30default_config_static_selectorELNS0_4arch9wavefront6targetE1EEEvSM_
		.amdhsa_group_segment_fixed_size 0
		.amdhsa_private_segment_fixed_size 0
		.amdhsa_kernarg_size 72
		.amdhsa_user_sgpr_count 2
		.amdhsa_user_sgpr_dispatch_ptr 0
		.amdhsa_user_sgpr_queue_ptr 0
		.amdhsa_user_sgpr_kernarg_segment_ptr 1
		.amdhsa_user_sgpr_dispatch_id 0
		.amdhsa_user_sgpr_kernarg_preload_length 0
		.amdhsa_user_sgpr_kernarg_preload_offset 0
		.amdhsa_user_sgpr_private_segment_size 0
		.amdhsa_uses_dynamic_stack 0
		.amdhsa_enable_private_segment 0
		.amdhsa_system_sgpr_workgroup_id_x 1
		.amdhsa_system_sgpr_workgroup_id_y 0
		.amdhsa_system_sgpr_workgroup_id_z 0
		.amdhsa_system_sgpr_workgroup_info 0
		.amdhsa_system_vgpr_workitem_id 0
		.amdhsa_next_free_vgpr 1
		.amdhsa_next_free_sgpr 0
		.amdhsa_accum_offset 4
		.amdhsa_reserve_vcc 0
		.amdhsa_float_round_mode_32 0
		.amdhsa_float_round_mode_16_64 0
		.amdhsa_float_denorm_mode_32 3
		.amdhsa_float_denorm_mode_16_64 3
		.amdhsa_dx10_clamp 1
		.amdhsa_ieee_mode 1
		.amdhsa_fp16_overflow 0
		.amdhsa_tg_split 0
		.amdhsa_exception_fp_ieee_invalid_op 0
		.amdhsa_exception_fp_denorm_src 0
		.amdhsa_exception_fp_ieee_div_zero 0
		.amdhsa_exception_fp_ieee_overflow 0
		.amdhsa_exception_fp_ieee_underflow 0
		.amdhsa_exception_fp_ieee_inexact 0
		.amdhsa_exception_int_div_zero 0
	.end_amdhsa_kernel
	.section	.text._ZN7rocprim17ROCPRIM_400000_NS6detail17trampoline_kernelINS0_14default_configENS1_37merge_sort_block_sort_config_selectorIlNS0_10empty_typeEEEZNS1_21merge_sort_block_sortIS3_PlS8_PS5_S9_ZN2at6native12_GLOBAL__N_124unique_dim_cuda_templateIjEESt5tupleIJNSA_6TensorESF_SF_EERKSF_lbbbEUlllE_EE10hipError_tT0_T1_T2_T3_mRjT4_P12ihipStream_tbNS1_7vsmem_tEEUlT_E_NS1_11comp_targetILNS1_3genE4ELNS1_11target_archE910ELNS1_3gpuE8ELNS1_3repE0EEENS1_30default_config_static_selectorELNS0_4arch9wavefront6targetE1EEEvSM_,"axG",@progbits,_ZN7rocprim17ROCPRIM_400000_NS6detail17trampoline_kernelINS0_14default_configENS1_37merge_sort_block_sort_config_selectorIlNS0_10empty_typeEEEZNS1_21merge_sort_block_sortIS3_PlS8_PS5_S9_ZN2at6native12_GLOBAL__N_124unique_dim_cuda_templateIjEESt5tupleIJNSA_6TensorESF_SF_EERKSF_lbbbEUlllE_EE10hipError_tT0_T1_T2_T3_mRjT4_P12ihipStream_tbNS1_7vsmem_tEEUlT_E_NS1_11comp_targetILNS1_3genE4ELNS1_11target_archE910ELNS1_3gpuE8ELNS1_3repE0EEENS1_30default_config_static_selectorELNS0_4arch9wavefront6targetE1EEEvSM_,comdat
.Lfunc_end1485:
	.size	_ZN7rocprim17ROCPRIM_400000_NS6detail17trampoline_kernelINS0_14default_configENS1_37merge_sort_block_sort_config_selectorIlNS0_10empty_typeEEEZNS1_21merge_sort_block_sortIS3_PlS8_PS5_S9_ZN2at6native12_GLOBAL__N_124unique_dim_cuda_templateIjEESt5tupleIJNSA_6TensorESF_SF_EERKSF_lbbbEUlllE_EE10hipError_tT0_T1_T2_T3_mRjT4_P12ihipStream_tbNS1_7vsmem_tEEUlT_E_NS1_11comp_targetILNS1_3genE4ELNS1_11target_archE910ELNS1_3gpuE8ELNS1_3repE0EEENS1_30default_config_static_selectorELNS0_4arch9wavefront6targetE1EEEvSM_, .Lfunc_end1485-_ZN7rocprim17ROCPRIM_400000_NS6detail17trampoline_kernelINS0_14default_configENS1_37merge_sort_block_sort_config_selectorIlNS0_10empty_typeEEEZNS1_21merge_sort_block_sortIS3_PlS8_PS5_S9_ZN2at6native12_GLOBAL__N_124unique_dim_cuda_templateIjEESt5tupleIJNSA_6TensorESF_SF_EERKSF_lbbbEUlllE_EE10hipError_tT0_T1_T2_T3_mRjT4_P12ihipStream_tbNS1_7vsmem_tEEUlT_E_NS1_11comp_targetILNS1_3genE4ELNS1_11target_archE910ELNS1_3gpuE8ELNS1_3repE0EEENS1_30default_config_static_selectorELNS0_4arch9wavefront6targetE1EEEvSM_
                                        ; -- End function
	.set _ZN7rocprim17ROCPRIM_400000_NS6detail17trampoline_kernelINS0_14default_configENS1_37merge_sort_block_sort_config_selectorIlNS0_10empty_typeEEEZNS1_21merge_sort_block_sortIS3_PlS8_PS5_S9_ZN2at6native12_GLOBAL__N_124unique_dim_cuda_templateIjEESt5tupleIJNSA_6TensorESF_SF_EERKSF_lbbbEUlllE_EE10hipError_tT0_T1_T2_T3_mRjT4_P12ihipStream_tbNS1_7vsmem_tEEUlT_E_NS1_11comp_targetILNS1_3genE4ELNS1_11target_archE910ELNS1_3gpuE8ELNS1_3repE0EEENS1_30default_config_static_selectorELNS0_4arch9wavefront6targetE1EEEvSM_.num_vgpr, 0
	.set _ZN7rocprim17ROCPRIM_400000_NS6detail17trampoline_kernelINS0_14default_configENS1_37merge_sort_block_sort_config_selectorIlNS0_10empty_typeEEEZNS1_21merge_sort_block_sortIS3_PlS8_PS5_S9_ZN2at6native12_GLOBAL__N_124unique_dim_cuda_templateIjEESt5tupleIJNSA_6TensorESF_SF_EERKSF_lbbbEUlllE_EE10hipError_tT0_T1_T2_T3_mRjT4_P12ihipStream_tbNS1_7vsmem_tEEUlT_E_NS1_11comp_targetILNS1_3genE4ELNS1_11target_archE910ELNS1_3gpuE8ELNS1_3repE0EEENS1_30default_config_static_selectorELNS0_4arch9wavefront6targetE1EEEvSM_.num_agpr, 0
	.set _ZN7rocprim17ROCPRIM_400000_NS6detail17trampoline_kernelINS0_14default_configENS1_37merge_sort_block_sort_config_selectorIlNS0_10empty_typeEEEZNS1_21merge_sort_block_sortIS3_PlS8_PS5_S9_ZN2at6native12_GLOBAL__N_124unique_dim_cuda_templateIjEESt5tupleIJNSA_6TensorESF_SF_EERKSF_lbbbEUlllE_EE10hipError_tT0_T1_T2_T3_mRjT4_P12ihipStream_tbNS1_7vsmem_tEEUlT_E_NS1_11comp_targetILNS1_3genE4ELNS1_11target_archE910ELNS1_3gpuE8ELNS1_3repE0EEENS1_30default_config_static_selectorELNS0_4arch9wavefront6targetE1EEEvSM_.numbered_sgpr, 0
	.set _ZN7rocprim17ROCPRIM_400000_NS6detail17trampoline_kernelINS0_14default_configENS1_37merge_sort_block_sort_config_selectorIlNS0_10empty_typeEEEZNS1_21merge_sort_block_sortIS3_PlS8_PS5_S9_ZN2at6native12_GLOBAL__N_124unique_dim_cuda_templateIjEESt5tupleIJNSA_6TensorESF_SF_EERKSF_lbbbEUlllE_EE10hipError_tT0_T1_T2_T3_mRjT4_P12ihipStream_tbNS1_7vsmem_tEEUlT_E_NS1_11comp_targetILNS1_3genE4ELNS1_11target_archE910ELNS1_3gpuE8ELNS1_3repE0EEENS1_30default_config_static_selectorELNS0_4arch9wavefront6targetE1EEEvSM_.num_named_barrier, 0
	.set _ZN7rocprim17ROCPRIM_400000_NS6detail17trampoline_kernelINS0_14default_configENS1_37merge_sort_block_sort_config_selectorIlNS0_10empty_typeEEEZNS1_21merge_sort_block_sortIS3_PlS8_PS5_S9_ZN2at6native12_GLOBAL__N_124unique_dim_cuda_templateIjEESt5tupleIJNSA_6TensorESF_SF_EERKSF_lbbbEUlllE_EE10hipError_tT0_T1_T2_T3_mRjT4_P12ihipStream_tbNS1_7vsmem_tEEUlT_E_NS1_11comp_targetILNS1_3genE4ELNS1_11target_archE910ELNS1_3gpuE8ELNS1_3repE0EEENS1_30default_config_static_selectorELNS0_4arch9wavefront6targetE1EEEvSM_.private_seg_size, 0
	.set _ZN7rocprim17ROCPRIM_400000_NS6detail17trampoline_kernelINS0_14default_configENS1_37merge_sort_block_sort_config_selectorIlNS0_10empty_typeEEEZNS1_21merge_sort_block_sortIS3_PlS8_PS5_S9_ZN2at6native12_GLOBAL__N_124unique_dim_cuda_templateIjEESt5tupleIJNSA_6TensorESF_SF_EERKSF_lbbbEUlllE_EE10hipError_tT0_T1_T2_T3_mRjT4_P12ihipStream_tbNS1_7vsmem_tEEUlT_E_NS1_11comp_targetILNS1_3genE4ELNS1_11target_archE910ELNS1_3gpuE8ELNS1_3repE0EEENS1_30default_config_static_selectorELNS0_4arch9wavefront6targetE1EEEvSM_.uses_vcc, 0
	.set _ZN7rocprim17ROCPRIM_400000_NS6detail17trampoline_kernelINS0_14default_configENS1_37merge_sort_block_sort_config_selectorIlNS0_10empty_typeEEEZNS1_21merge_sort_block_sortIS3_PlS8_PS5_S9_ZN2at6native12_GLOBAL__N_124unique_dim_cuda_templateIjEESt5tupleIJNSA_6TensorESF_SF_EERKSF_lbbbEUlllE_EE10hipError_tT0_T1_T2_T3_mRjT4_P12ihipStream_tbNS1_7vsmem_tEEUlT_E_NS1_11comp_targetILNS1_3genE4ELNS1_11target_archE910ELNS1_3gpuE8ELNS1_3repE0EEENS1_30default_config_static_selectorELNS0_4arch9wavefront6targetE1EEEvSM_.uses_flat_scratch, 0
	.set _ZN7rocprim17ROCPRIM_400000_NS6detail17trampoline_kernelINS0_14default_configENS1_37merge_sort_block_sort_config_selectorIlNS0_10empty_typeEEEZNS1_21merge_sort_block_sortIS3_PlS8_PS5_S9_ZN2at6native12_GLOBAL__N_124unique_dim_cuda_templateIjEESt5tupleIJNSA_6TensorESF_SF_EERKSF_lbbbEUlllE_EE10hipError_tT0_T1_T2_T3_mRjT4_P12ihipStream_tbNS1_7vsmem_tEEUlT_E_NS1_11comp_targetILNS1_3genE4ELNS1_11target_archE910ELNS1_3gpuE8ELNS1_3repE0EEENS1_30default_config_static_selectorELNS0_4arch9wavefront6targetE1EEEvSM_.has_dyn_sized_stack, 0
	.set _ZN7rocprim17ROCPRIM_400000_NS6detail17trampoline_kernelINS0_14default_configENS1_37merge_sort_block_sort_config_selectorIlNS0_10empty_typeEEEZNS1_21merge_sort_block_sortIS3_PlS8_PS5_S9_ZN2at6native12_GLOBAL__N_124unique_dim_cuda_templateIjEESt5tupleIJNSA_6TensorESF_SF_EERKSF_lbbbEUlllE_EE10hipError_tT0_T1_T2_T3_mRjT4_P12ihipStream_tbNS1_7vsmem_tEEUlT_E_NS1_11comp_targetILNS1_3genE4ELNS1_11target_archE910ELNS1_3gpuE8ELNS1_3repE0EEENS1_30default_config_static_selectorELNS0_4arch9wavefront6targetE1EEEvSM_.has_recursion, 0
	.set _ZN7rocprim17ROCPRIM_400000_NS6detail17trampoline_kernelINS0_14default_configENS1_37merge_sort_block_sort_config_selectorIlNS0_10empty_typeEEEZNS1_21merge_sort_block_sortIS3_PlS8_PS5_S9_ZN2at6native12_GLOBAL__N_124unique_dim_cuda_templateIjEESt5tupleIJNSA_6TensorESF_SF_EERKSF_lbbbEUlllE_EE10hipError_tT0_T1_T2_T3_mRjT4_P12ihipStream_tbNS1_7vsmem_tEEUlT_E_NS1_11comp_targetILNS1_3genE4ELNS1_11target_archE910ELNS1_3gpuE8ELNS1_3repE0EEENS1_30default_config_static_selectorELNS0_4arch9wavefront6targetE1EEEvSM_.has_indirect_call, 0
	.section	.AMDGPU.csdata,"",@progbits
; Kernel info:
; codeLenInByte = 0
; TotalNumSgprs: 6
; NumVgprs: 0
; NumAgprs: 0
; TotalNumVgprs: 0
; ScratchSize: 0
; MemoryBound: 0
; FloatMode: 240
; IeeeMode: 1
; LDSByteSize: 0 bytes/workgroup (compile time only)
; SGPRBlocks: 0
; VGPRBlocks: 0
; NumSGPRsForWavesPerEU: 6
; NumVGPRsForWavesPerEU: 1
; AccumOffset: 4
; Occupancy: 8
; WaveLimiterHint : 0
; COMPUTE_PGM_RSRC2:SCRATCH_EN: 0
; COMPUTE_PGM_RSRC2:USER_SGPR: 2
; COMPUTE_PGM_RSRC2:TRAP_HANDLER: 0
; COMPUTE_PGM_RSRC2:TGID_X_EN: 1
; COMPUTE_PGM_RSRC2:TGID_Y_EN: 0
; COMPUTE_PGM_RSRC2:TGID_Z_EN: 0
; COMPUTE_PGM_RSRC2:TIDIG_COMP_CNT: 0
; COMPUTE_PGM_RSRC3_GFX90A:ACCUM_OFFSET: 0
; COMPUTE_PGM_RSRC3_GFX90A:TG_SPLIT: 0
	.section	.text._ZN7rocprim17ROCPRIM_400000_NS6detail17trampoline_kernelINS0_14default_configENS1_37merge_sort_block_sort_config_selectorIlNS0_10empty_typeEEEZNS1_21merge_sort_block_sortIS3_PlS8_PS5_S9_ZN2at6native12_GLOBAL__N_124unique_dim_cuda_templateIjEESt5tupleIJNSA_6TensorESF_SF_EERKSF_lbbbEUlllE_EE10hipError_tT0_T1_T2_T3_mRjT4_P12ihipStream_tbNS1_7vsmem_tEEUlT_E_NS1_11comp_targetILNS1_3genE3ELNS1_11target_archE908ELNS1_3gpuE7ELNS1_3repE0EEENS1_30default_config_static_selectorELNS0_4arch9wavefront6targetE1EEEvSM_,"axG",@progbits,_ZN7rocprim17ROCPRIM_400000_NS6detail17trampoline_kernelINS0_14default_configENS1_37merge_sort_block_sort_config_selectorIlNS0_10empty_typeEEEZNS1_21merge_sort_block_sortIS3_PlS8_PS5_S9_ZN2at6native12_GLOBAL__N_124unique_dim_cuda_templateIjEESt5tupleIJNSA_6TensorESF_SF_EERKSF_lbbbEUlllE_EE10hipError_tT0_T1_T2_T3_mRjT4_P12ihipStream_tbNS1_7vsmem_tEEUlT_E_NS1_11comp_targetILNS1_3genE3ELNS1_11target_archE908ELNS1_3gpuE7ELNS1_3repE0EEENS1_30default_config_static_selectorELNS0_4arch9wavefront6targetE1EEEvSM_,comdat
	.globl	_ZN7rocprim17ROCPRIM_400000_NS6detail17trampoline_kernelINS0_14default_configENS1_37merge_sort_block_sort_config_selectorIlNS0_10empty_typeEEEZNS1_21merge_sort_block_sortIS3_PlS8_PS5_S9_ZN2at6native12_GLOBAL__N_124unique_dim_cuda_templateIjEESt5tupleIJNSA_6TensorESF_SF_EERKSF_lbbbEUlllE_EE10hipError_tT0_T1_T2_T3_mRjT4_P12ihipStream_tbNS1_7vsmem_tEEUlT_E_NS1_11comp_targetILNS1_3genE3ELNS1_11target_archE908ELNS1_3gpuE7ELNS1_3repE0EEENS1_30default_config_static_selectorELNS0_4arch9wavefront6targetE1EEEvSM_ ; -- Begin function _ZN7rocprim17ROCPRIM_400000_NS6detail17trampoline_kernelINS0_14default_configENS1_37merge_sort_block_sort_config_selectorIlNS0_10empty_typeEEEZNS1_21merge_sort_block_sortIS3_PlS8_PS5_S9_ZN2at6native12_GLOBAL__N_124unique_dim_cuda_templateIjEESt5tupleIJNSA_6TensorESF_SF_EERKSF_lbbbEUlllE_EE10hipError_tT0_T1_T2_T3_mRjT4_P12ihipStream_tbNS1_7vsmem_tEEUlT_E_NS1_11comp_targetILNS1_3genE3ELNS1_11target_archE908ELNS1_3gpuE7ELNS1_3repE0EEENS1_30default_config_static_selectorELNS0_4arch9wavefront6targetE1EEEvSM_
	.p2align	8
	.type	_ZN7rocprim17ROCPRIM_400000_NS6detail17trampoline_kernelINS0_14default_configENS1_37merge_sort_block_sort_config_selectorIlNS0_10empty_typeEEEZNS1_21merge_sort_block_sortIS3_PlS8_PS5_S9_ZN2at6native12_GLOBAL__N_124unique_dim_cuda_templateIjEESt5tupleIJNSA_6TensorESF_SF_EERKSF_lbbbEUlllE_EE10hipError_tT0_T1_T2_T3_mRjT4_P12ihipStream_tbNS1_7vsmem_tEEUlT_E_NS1_11comp_targetILNS1_3genE3ELNS1_11target_archE908ELNS1_3gpuE7ELNS1_3repE0EEENS1_30default_config_static_selectorELNS0_4arch9wavefront6targetE1EEEvSM_,@function
_ZN7rocprim17ROCPRIM_400000_NS6detail17trampoline_kernelINS0_14default_configENS1_37merge_sort_block_sort_config_selectorIlNS0_10empty_typeEEEZNS1_21merge_sort_block_sortIS3_PlS8_PS5_S9_ZN2at6native12_GLOBAL__N_124unique_dim_cuda_templateIjEESt5tupleIJNSA_6TensorESF_SF_EERKSF_lbbbEUlllE_EE10hipError_tT0_T1_T2_T3_mRjT4_P12ihipStream_tbNS1_7vsmem_tEEUlT_E_NS1_11comp_targetILNS1_3genE3ELNS1_11target_archE908ELNS1_3gpuE7ELNS1_3repE0EEENS1_30default_config_static_selectorELNS0_4arch9wavefront6targetE1EEEvSM_: ; @_ZN7rocprim17ROCPRIM_400000_NS6detail17trampoline_kernelINS0_14default_configENS1_37merge_sort_block_sort_config_selectorIlNS0_10empty_typeEEEZNS1_21merge_sort_block_sortIS3_PlS8_PS5_S9_ZN2at6native12_GLOBAL__N_124unique_dim_cuda_templateIjEESt5tupleIJNSA_6TensorESF_SF_EERKSF_lbbbEUlllE_EE10hipError_tT0_T1_T2_T3_mRjT4_P12ihipStream_tbNS1_7vsmem_tEEUlT_E_NS1_11comp_targetILNS1_3genE3ELNS1_11target_archE908ELNS1_3gpuE7ELNS1_3repE0EEENS1_30default_config_static_selectorELNS0_4arch9wavefront6targetE1EEEvSM_
; %bb.0:
	.section	.rodata,"a",@progbits
	.p2align	6, 0x0
	.amdhsa_kernel _ZN7rocprim17ROCPRIM_400000_NS6detail17trampoline_kernelINS0_14default_configENS1_37merge_sort_block_sort_config_selectorIlNS0_10empty_typeEEEZNS1_21merge_sort_block_sortIS3_PlS8_PS5_S9_ZN2at6native12_GLOBAL__N_124unique_dim_cuda_templateIjEESt5tupleIJNSA_6TensorESF_SF_EERKSF_lbbbEUlllE_EE10hipError_tT0_T1_T2_T3_mRjT4_P12ihipStream_tbNS1_7vsmem_tEEUlT_E_NS1_11comp_targetILNS1_3genE3ELNS1_11target_archE908ELNS1_3gpuE7ELNS1_3repE0EEENS1_30default_config_static_selectorELNS0_4arch9wavefront6targetE1EEEvSM_
		.amdhsa_group_segment_fixed_size 0
		.amdhsa_private_segment_fixed_size 0
		.amdhsa_kernarg_size 72
		.amdhsa_user_sgpr_count 2
		.amdhsa_user_sgpr_dispatch_ptr 0
		.amdhsa_user_sgpr_queue_ptr 0
		.amdhsa_user_sgpr_kernarg_segment_ptr 1
		.amdhsa_user_sgpr_dispatch_id 0
		.amdhsa_user_sgpr_kernarg_preload_length 0
		.amdhsa_user_sgpr_kernarg_preload_offset 0
		.amdhsa_user_sgpr_private_segment_size 0
		.amdhsa_uses_dynamic_stack 0
		.amdhsa_enable_private_segment 0
		.amdhsa_system_sgpr_workgroup_id_x 1
		.amdhsa_system_sgpr_workgroup_id_y 0
		.amdhsa_system_sgpr_workgroup_id_z 0
		.amdhsa_system_sgpr_workgroup_info 0
		.amdhsa_system_vgpr_workitem_id 0
		.amdhsa_next_free_vgpr 1
		.amdhsa_next_free_sgpr 0
		.amdhsa_accum_offset 4
		.amdhsa_reserve_vcc 0
		.amdhsa_float_round_mode_32 0
		.amdhsa_float_round_mode_16_64 0
		.amdhsa_float_denorm_mode_32 3
		.amdhsa_float_denorm_mode_16_64 3
		.amdhsa_dx10_clamp 1
		.amdhsa_ieee_mode 1
		.amdhsa_fp16_overflow 0
		.amdhsa_tg_split 0
		.amdhsa_exception_fp_ieee_invalid_op 0
		.amdhsa_exception_fp_denorm_src 0
		.amdhsa_exception_fp_ieee_div_zero 0
		.amdhsa_exception_fp_ieee_overflow 0
		.amdhsa_exception_fp_ieee_underflow 0
		.amdhsa_exception_fp_ieee_inexact 0
		.amdhsa_exception_int_div_zero 0
	.end_amdhsa_kernel
	.section	.text._ZN7rocprim17ROCPRIM_400000_NS6detail17trampoline_kernelINS0_14default_configENS1_37merge_sort_block_sort_config_selectorIlNS0_10empty_typeEEEZNS1_21merge_sort_block_sortIS3_PlS8_PS5_S9_ZN2at6native12_GLOBAL__N_124unique_dim_cuda_templateIjEESt5tupleIJNSA_6TensorESF_SF_EERKSF_lbbbEUlllE_EE10hipError_tT0_T1_T2_T3_mRjT4_P12ihipStream_tbNS1_7vsmem_tEEUlT_E_NS1_11comp_targetILNS1_3genE3ELNS1_11target_archE908ELNS1_3gpuE7ELNS1_3repE0EEENS1_30default_config_static_selectorELNS0_4arch9wavefront6targetE1EEEvSM_,"axG",@progbits,_ZN7rocprim17ROCPRIM_400000_NS6detail17trampoline_kernelINS0_14default_configENS1_37merge_sort_block_sort_config_selectorIlNS0_10empty_typeEEEZNS1_21merge_sort_block_sortIS3_PlS8_PS5_S9_ZN2at6native12_GLOBAL__N_124unique_dim_cuda_templateIjEESt5tupleIJNSA_6TensorESF_SF_EERKSF_lbbbEUlllE_EE10hipError_tT0_T1_T2_T3_mRjT4_P12ihipStream_tbNS1_7vsmem_tEEUlT_E_NS1_11comp_targetILNS1_3genE3ELNS1_11target_archE908ELNS1_3gpuE7ELNS1_3repE0EEENS1_30default_config_static_selectorELNS0_4arch9wavefront6targetE1EEEvSM_,comdat
.Lfunc_end1486:
	.size	_ZN7rocprim17ROCPRIM_400000_NS6detail17trampoline_kernelINS0_14default_configENS1_37merge_sort_block_sort_config_selectorIlNS0_10empty_typeEEEZNS1_21merge_sort_block_sortIS3_PlS8_PS5_S9_ZN2at6native12_GLOBAL__N_124unique_dim_cuda_templateIjEESt5tupleIJNSA_6TensorESF_SF_EERKSF_lbbbEUlllE_EE10hipError_tT0_T1_T2_T3_mRjT4_P12ihipStream_tbNS1_7vsmem_tEEUlT_E_NS1_11comp_targetILNS1_3genE3ELNS1_11target_archE908ELNS1_3gpuE7ELNS1_3repE0EEENS1_30default_config_static_selectorELNS0_4arch9wavefront6targetE1EEEvSM_, .Lfunc_end1486-_ZN7rocprim17ROCPRIM_400000_NS6detail17trampoline_kernelINS0_14default_configENS1_37merge_sort_block_sort_config_selectorIlNS0_10empty_typeEEEZNS1_21merge_sort_block_sortIS3_PlS8_PS5_S9_ZN2at6native12_GLOBAL__N_124unique_dim_cuda_templateIjEESt5tupleIJNSA_6TensorESF_SF_EERKSF_lbbbEUlllE_EE10hipError_tT0_T1_T2_T3_mRjT4_P12ihipStream_tbNS1_7vsmem_tEEUlT_E_NS1_11comp_targetILNS1_3genE3ELNS1_11target_archE908ELNS1_3gpuE7ELNS1_3repE0EEENS1_30default_config_static_selectorELNS0_4arch9wavefront6targetE1EEEvSM_
                                        ; -- End function
	.set _ZN7rocprim17ROCPRIM_400000_NS6detail17trampoline_kernelINS0_14default_configENS1_37merge_sort_block_sort_config_selectorIlNS0_10empty_typeEEEZNS1_21merge_sort_block_sortIS3_PlS8_PS5_S9_ZN2at6native12_GLOBAL__N_124unique_dim_cuda_templateIjEESt5tupleIJNSA_6TensorESF_SF_EERKSF_lbbbEUlllE_EE10hipError_tT0_T1_T2_T3_mRjT4_P12ihipStream_tbNS1_7vsmem_tEEUlT_E_NS1_11comp_targetILNS1_3genE3ELNS1_11target_archE908ELNS1_3gpuE7ELNS1_3repE0EEENS1_30default_config_static_selectorELNS0_4arch9wavefront6targetE1EEEvSM_.num_vgpr, 0
	.set _ZN7rocprim17ROCPRIM_400000_NS6detail17trampoline_kernelINS0_14default_configENS1_37merge_sort_block_sort_config_selectorIlNS0_10empty_typeEEEZNS1_21merge_sort_block_sortIS3_PlS8_PS5_S9_ZN2at6native12_GLOBAL__N_124unique_dim_cuda_templateIjEESt5tupleIJNSA_6TensorESF_SF_EERKSF_lbbbEUlllE_EE10hipError_tT0_T1_T2_T3_mRjT4_P12ihipStream_tbNS1_7vsmem_tEEUlT_E_NS1_11comp_targetILNS1_3genE3ELNS1_11target_archE908ELNS1_3gpuE7ELNS1_3repE0EEENS1_30default_config_static_selectorELNS0_4arch9wavefront6targetE1EEEvSM_.num_agpr, 0
	.set _ZN7rocprim17ROCPRIM_400000_NS6detail17trampoline_kernelINS0_14default_configENS1_37merge_sort_block_sort_config_selectorIlNS0_10empty_typeEEEZNS1_21merge_sort_block_sortIS3_PlS8_PS5_S9_ZN2at6native12_GLOBAL__N_124unique_dim_cuda_templateIjEESt5tupleIJNSA_6TensorESF_SF_EERKSF_lbbbEUlllE_EE10hipError_tT0_T1_T2_T3_mRjT4_P12ihipStream_tbNS1_7vsmem_tEEUlT_E_NS1_11comp_targetILNS1_3genE3ELNS1_11target_archE908ELNS1_3gpuE7ELNS1_3repE0EEENS1_30default_config_static_selectorELNS0_4arch9wavefront6targetE1EEEvSM_.numbered_sgpr, 0
	.set _ZN7rocprim17ROCPRIM_400000_NS6detail17trampoline_kernelINS0_14default_configENS1_37merge_sort_block_sort_config_selectorIlNS0_10empty_typeEEEZNS1_21merge_sort_block_sortIS3_PlS8_PS5_S9_ZN2at6native12_GLOBAL__N_124unique_dim_cuda_templateIjEESt5tupleIJNSA_6TensorESF_SF_EERKSF_lbbbEUlllE_EE10hipError_tT0_T1_T2_T3_mRjT4_P12ihipStream_tbNS1_7vsmem_tEEUlT_E_NS1_11comp_targetILNS1_3genE3ELNS1_11target_archE908ELNS1_3gpuE7ELNS1_3repE0EEENS1_30default_config_static_selectorELNS0_4arch9wavefront6targetE1EEEvSM_.num_named_barrier, 0
	.set _ZN7rocprim17ROCPRIM_400000_NS6detail17trampoline_kernelINS0_14default_configENS1_37merge_sort_block_sort_config_selectorIlNS0_10empty_typeEEEZNS1_21merge_sort_block_sortIS3_PlS8_PS5_S9_ZN2at6native12_GLOBAL__N_124unique_dim_cuda_templateIjEESt5tupleIJNSA_6TensorESF_SF_EERKSF_lbbbEUlllE_EE10hipError_tT0_T1_T2_T3_mRjT4_P12ihipStream_tbNS1_7vsmem_tEEUlT_E_NS1_11comp_targetILNS1_3genE3ELNS1_11target_archE908ELNS1_3gpuE7ELNS1_3repE0EEENS1_30default_config_static_selectorELNS0_4arch9wavefront6targetE1EEEvSM_.private_seg_size, 0
	.set _ZN7rocprim17ROCPRIM_400000_NS6detail17trampoline_kernelINS0_14default_configENS1_37merge_sort_block_sort_config_selectorIlNS0_10empty_typeEEEZNS1_21merge_sort_block_sortIS3_PlS8_PS5_S9_ZN2at6native12_GLOBAL__N_124unique_dim_cuda_templateIjEESt5tupleIJNSA_6TensorESF_SF_EERKSF_lbbbEUlllE_EE10hipError_tT0_T1_T2_T3_mRjT4_P12ihipStream_tbNS1_7vsmem_tEEUlT_E_NS1_11comp_targetILNS1_3genE3ELNS1_11target_archE908ELNS1_3gpuE7ELNS1_3repE0EEENS1_30default_config_static_selectorELNS0_4arch9wavefront6targetE1EEEvSM_.uses_vcc, 0
	.set _ZN7rocprim17ROCPRIM_400000_NS6detail17trampoline_kernelINS0_14default_configENS1_37merge_sort_block_sort_config_selectorIlNS0_10empty_typeEEEZNS1_21merge_sort_block_sortIS3_PlS8_PS5_S9_ZN2at6native12_GLOBAL__N_124unique_dim_cuda_templateIjEESt5tupleIJNSA_6TensorESF_SF_EERKSF_lbbbEUlllE_EE10hipError_tT0_T1_T2_T3_mRjT4_P12ihipStream_tbNS1_7vsmem_tEEUlT_E_NS1_11comp_targetILNS1_3genE3ELNS1_11target_archE908ELNS1_3gpuE7ELNS1_3repE0EEENS1_30default_config_static_selectorELNS0_4arch9wavefront6targetE1EEEvSM_.uses_flat_scratch, 0
	.set _ZN7rocprim17ROCPRIM_400000_NS6detail17trampoline_kernelINS0_14default_configENS1_37merge_sort_block_sort_config_selectorIlNS0_10empty_typeEEEZNS1_21merge_sort_block_sortIS3_PlS8_PS5_S9_ZN2at6native12_GLOBAL__N_124unique_dim_cuda_templateIjEESt5tupleIJNSA_6TensorESF_SF_EERKSF_lbbbEUlllE_EE10hipError_tT0_T1_T2_T3_mRjT4_P12ihipStream_tbNS1_7vsmem_tEEUlT_E_NS1_11comp_targetILNS1_3genE3ELNS1_11target_archE908ELNS1_3gpuE7ELNS1_3repE0EEENS1_30default_config_static_selectorELNS0_4arch9wavefront6targetE1EEEvSM_.has_dyn_sized_stack, 0
	.set _ZN7rocprim17ROCPRIM_400000_NS6detail17trampoline_kernelINS0_14default_configENS1_37merge_sort_block_sort_config_selectorIlNS0_10empty_typeEEEZNS1_21merge_sort_block_sortIS3_PlS8_PS5_S9_ZN2at6native12_GLOBAL__N_124unique_dim_cuda_templateIjEESt5tupleIJNSA_6TensorESF_SF_EERKSF_lbbbEUlllE_EE10hipError_tT0_T1_T2_T3_mRjT4_P12ihipStream_tbNS1_7vsmem_tEEUlT_E_NS1_11comp_targetILNS1_3genE3ELNS1_11target_archE908ELNS1_3gpuE7ELNS1_3repE0EEENS1_30default_config_static_selectorELNS0_4arch9wavefront6targetE1EEEvSM_.has_recursion, 0
	.set _ZN7rocprim17ROCPRIM_400000_NS6detail17trampoline_kernelINS0_14default_configENS1_37merge_sort_block_sort_config_selectorIlNS0_10empty_typeEEEZNS1_21merge_sort_block_sortIS3_PlS8_PS5_S9_ZN2at6native12_GLOBAL__N_124unique_dim_cuda_templateIjEESt5tupleIJNSA_6TensorESF_SF_EERKSF_lbbbEUlllE_EE10hipError_tT0_T1_T2_T3_mRjT4_P12ihipStream_tbNS1_7vsmem_tEEUlT_E_NS1_11comp_targetILNS1_3genE3ELNS1_11target_archE908ELNS1_3gpuE7ELNS1_3repE0EEENS1_30default_config_static_selectorELNS0_4arch9wavefront6targetE1EEEvSM_.has_indirect_call, 0
	.section	.AMDGPU.csdata,"",@progbits
; Kernel info:
; codeLenInByte = 0
; TotalNumSgprs: 6
; NumVgprs: 0
; NumAgprs: 0
; TotalNumVgprs: 0
; ScratchSize: 0
; MemoryBound: 0
; FloatMode: 240
; IeeeMode: 1
; LDSByteSize: 0 bytes/workgroup (compile time only)
; SGPRBlocks: 0
; VGPRBlocks: 0
; NumSGPRsForWavesPerEU: 6
; NumVGPRsForWavesPerEU: 1
; AccumOffset: 4
; Occupancy: 8
; WaveLimiterHint : 0
; COMPUTE_PGM_RSRC2:SCRATCH_EN: 0
; COMPUTE_PGM_RSRC2:USER_SGPR: 2
; COMPUTE_PGM_RSRC2:TRAP_HANDLER: 0
; COMPUTE_PGM_RSRC2:TGID_X_EN: 1
; COMPUTE_PGM_RSRC2:TGID_Y_EN: 0
; COMPUTE_PGM_RSRC2:TGID_Z_EN: 0
; COMPUTE_PGM_RSRC2:TIDIG_COMP_CNT: 0
; COMPUTE_PGM_RSRC3_GFX90A:ACCUM_OFFSET: 0
; COMPUTE_PGM_RSRC3_GFX90A:TG_SPLIT: 0
	.section	.text._ZN7rocprim17ROCPRIM_400000_NS6detail17trampoline_kernelINS0_14default_configENS1_37merge_sort_block_sort_config_selectorIlNS0_10empty_typeEEEZNS1_21merge_sort_block_sortIS3_PlS8_PS5_S9_ZN2at6native12_GLOBAL__N_124unique_dim_cuda_templateIjEESt5tupleIJNSA_6TensorESF_SF_EERKSF_lbbbEUlllE_EE10hipError_tT0_T1_T2_T3_mRjT4_P12ihipStream_tbNS1_7vsmem_tEEUlT_E_NS1_11comp_targetILNS1_3genE2ELNS1_11target_archE906ELNS1_3gpuE6ELNS1_3repE0EEENS1_30default_config_static_selectorELNS0_4arch9wavefront6targetE1EEEvSM_,"axG",@progbits,_ZN7rocprim17ROCPRIM_400000_NS6detail17trampoline_kernelINS0_14default_configENS1_37merge_sort_block_sort_config_selectorIlNS0_10empty_typeEEEZNS1_21merge_sort_block_sortIS3_PlS8_PS5_S9_ZN2at6native12_GLOBAL__N_124unique_dim_cuda_templateIjEESt5tupleIJNSA_6TensorESF_SF_EERKSF_lbbbEUlllE_EE10hipError_tT0_T1_T2_T3_mRjT4_P12ihipStream_tbNS1_7vsmem_tEEUlT_E_NS1_11comp_targetILNS1_3genE2ELNS1_11target_archE906ELNS1_3gpuE6ELNS1_3repE0EEENS1_30default_config_static_selectorELNS0_4arch9wavefront6targetE1EEEvSM_,comdat
	.globl	_ZN7rocprim17ROCPRIM_400000_NS6detail17trampoline_kernelINS0_14default_configENS1_37merge_sort_block_sort_config_selectorIlNS0_10empty_typeEEEZNS1_21merge_sort_block_sortIS3_PlS8_PS5_S9_ZN2at6native12_GLOBAL__N_124unique_dim_cuda_templateIjEESt5tupleIJNSA_6TensorESF_SF_EERKSF_lbbbEUlllE_EE10hipError_tT0_T1_T2_T3_mRjT4_P12ihipStream_tbNS1_7vsmem_tEEUlT_E_NS1_11comp_targetILNS1_3genE2ELNS1_11target_archE906ELNS1_3gpuE6ELNS1_3repE0EEENS1_30default_config_static_selectorELNS0_4arch9wavefront6targetE1EEEvSM_ ; -- Begin function _ZN7rocprim17ROCPRIM_400000_NS6detail17trampoline_kernelINS0_14default_configENS1_37merge_sort_block_sort_config_selectorIlNS0_10empty_typeEEEZNS1_21merge_sort_block_sortIS3_PlS8_PS5_S9_ZN2at6native12_GLOBAL__N_124unique_dim_cuda_templateIjEESt5tupleIJNSA_6TensorESF_SF_EERKSF_lbbbEUlllE_EE10hipError_tT0_T1_T2_T3_mRjT4_P12ihipStream_tbNS1_7vsmem_tEEUlT_E_NS1_11comp_targetILNS1_3genE2ELNS1_11target_archE906ELNS1_3gpuE6ELNS1_3repE0EEENS1_30default_config_static_selectorELNS0_4arch9wavefront6targetE1EEEvSM_
	.p2align	8
	.type	_ZN7rocprim17ROCPRIM_400000_NS6detail17trampoline_kernelINS0_14default_configENS1_37merge_sort_block_sort_config_selectorIlNS0_10empty_typeEEEZNS1_21merge_sort_block_sortIS3_PlS8_PS5_S9_ZN2at6native12_GLOBAL__N_124unique_dim_cuda_templateIjEESt5tupleIJNSA_6TensorESF_SF_EERKSF_lbbbEUlllE_EE10hipError_tT0_T1_T2_T3_mRjT4_P12ihipStream_tbNS1_7vsmem_tEEUlT_E_NS1_11comp_targetILNS1_3genE2ELNS1_11target_archE906ELNS1_3gpuE6ELNS1_3repE0EEENS1_30default_config_static_selectorELNS0_4arch9wavefront6targetE1EEEvSM_,@function
_ZN7rocprim17ROCPRIM_400000_NS6detail17trampoline_kernelINS0_14default_configENS1_37merge_sort_block_sort_config_selectorIlNS0_10empty_typeEEEZNS1_21merge_sort_block_sortIS3_PlS8_PS5_S9_ZN2at6native12_GLOBAL__N_124unique_dim_cuda_templateIjEESt5tupleIJNSA_6TensorESF_SF_EERKSF_lbbbEUlllE_EE10hipError_tT0_T1_T2_T3_mRjT4_P12ihipStream_tbNS1_7vsmem_tEEUlT_E_NS1_11comp_targetILNS1_3genE2ELNS1_11target_archE906ELNS1_3gpuE6ELNS1_3repE0EEENS1_30default_config_static_selectorELNS0_4arch9wavefront6targetE1EEEvSM_: ; @_ZN7rocprim17ROCPRIM_400000_NS6detail17trampoline_kernelINS0_14default_configENS1_37merge_sort_block_sort_config_selectorIlNS0_10empty_typeEEEZNS1_21merge_sort_block_sortIS3_PlS8_PS5_S9_ZN2at6native12_GLOBAL__N_124unique_dim_cuda_templateIjEESt5tupleIJNSA_6TensorESF_SF_EERKSF_lbbbEUlllE_EE10hipError_tT0_T1_T2_T3_mRjT4_P12ihipStream_tbNS1_7vsmem_tEEUlT_E_NS1_11comp_targetILNS1_3genE2ELNS1_11target_archE906ELNS1_3gpuE6ELNS1_3repE0EEENS1_30default_config_static_selectorELNS0_4arch9wavefront6targetE1EEEvSM_
; %bb.0:
	.section	.rodata,"a",@progbits
	.p2align	6, 0x0
	.amdhsa_kernel _ZN7rocprim17ROCPRIM_400000_NS6detail17trampoline_kernelINS0_14default_configENS1_37merge_sort_block_sort_config_selectorIlNS0_10empty_typeEEEZNS1_21merge_sort_block_sortIS3_PlS8_PS5_S9_ZN2at6native12_GLOBAL__N_124unique_dim_cuda_templateIjEESt5tupleIJNSA_6TensorESF_SF_EERKSF_lbbbEUlllE_EE10hipError_tT0_T1_T2_T3_mRjT4_P12ihipStream_tbNS1_7vsmem_tEEUlT_E_NS1_11comp_targetILNS1_3genE2ELNS1_11target_archE906ELNS1_3gpuE6ELNS1_3repE0EEENS1_30default_config_static_selectorELNS0_4arch9wavefront6targetE1EEEvSM_
		.amdhsa_group_segment_fixed_size 0
		.amdhsa_private_segment_fixed_size 0
		.amdhsa_kernarg_size 72
		.amdhsa_user_sgpr_count 2
		.amdhsa_user_sgpr_dispatch_ptr 0
		.amdhsa_user_sgpr_queue_ptr 0
		.amdhsa_user_sgpr_kernarg_segment_ptr 1
		.amdhsa_user_sgpr_dispatch_id 0
		.amdhsa_user_sgpr_kernarg_preload_length 0
		.amdhsa_user_sgpr_kernarg_preload_offset 0
		.amdhsa_user_sgpr_private_segment_size 0
		.amdhsa_uses_dynamic_stack 0
		.amdhsa_enable_private_segment 0
		.amdhsa_system_sgpr_workgroup_id_x 1
		.amdhsa_system_sgpr_workgroup_id_y 0
		.amdhsa_system_sgpr_workgroup_id_z 0
		.amdhsa_system_sgpr_workgroup_info 0
		.amdhsa_system_vgpr_workitem_id 0
		.amdhsa_next_free_vgpr 1
		.amdhsa_next_free_sgpr 0
		.amdhsa_accum_offset 4
		.amdhsa_reserve_vcc 0
		.amdhsa_float_round_mode_32 0
		.amdhsa_float_round_mode_16_64 0
		.amdhsa_float_denorm_mode_32 3
		.amdhsa_float_denorm_mode_16_64 3
		.amdhsa_dx10_clamp 1
		.amdhsa_ieee_mode 1
		.amdhsa_fp16_overflow 0
		.amdhsa_tg_split 0
		.amdhsa_exception_fp_ieee_invalid_op 0
		.amdhsa_exception_fp_denorm_src 0
		.amdhsa_exception_fp_ieee_div_zero 0
		.amdhsa_exception_fp_ieee_overflow 0
		.amdhsa_exception_fp_ieee_underflow 0
		.amdhsa_exception_fp_ieee_inexact 0
		.amdhsa_exception_int_div_zero 0
	.end_amdhsa_kernel
	.section	.text._ZN7rocprim17ROCPRIM_400000_NS6detail17trampoline_kernelINS0_14default_configENS1_37merge_sort_block_sort_config_selectorIlNS0_10empty_typeEEEZNS1_21merge_sort_block_sortIS3_PlS8_PS5_S9_ZN2at6native12_GLOBAL__N_124unique_dim_cuda_templateIjEESt5tupleIJNSA_6TensorESF_SF_EERKSF_lbbbEUlllE_EE10hipError_tT0_T1_T2_T3_mRjT4_P12ihipStream_tbNS1_7vsmem_tEEUlT_E_NS1_11comp_targetILNS1_3genE2ELNS1_11target_archE906ELNS1_3gpuE6ELNS1_3repE0EEENS1_30default_config_static_selectorELNS0_4arch9wavefront6targetE1EEEvSM_,"axG",@progbits,_ZN7rocprim17ROCPRIM_400000_NS6detail17trampoline_kernelINS0_14default_configENS1_37merge_sort_block_sort_config_selectorIlNS0_10empty_typeEEEZNS1_21merge_sort_block_sortIS3_PlS8_PS5_S9_ZN2at6native12_GLOBAL__N_124unique_dim_cuda_templateIjEESt5tupleIJNSA_6TensorESF_SF_EERKSF_lbbbEUlllE_EE10hipError_tT0_T1_T2_T3_mRjT4_P12ihipStream_tbNS1_7vsmem_tEEUlT_E_NS1_11comp_targetILNS1_3genE2ELNS1_11target_archE906ELNS1_3gpuE6ELNS1_3repE0EEENS1_30default_config_static_selectorELNS0_4arch9wavefront6targetE1EEEvSM_,comdat
.Lfunc_end1487:
	.size	_ZN7rocprim17ROCPRIM_400000_NS6detail17trampoline_kernelINS0_14default_configENS1_37merge_sort_block_sort_config_selectorIlNS0_10empty_typeEEEZNS1_21merge_sort_block_sortIS3_PlS8_PS5_S9_ZN2at6native12_GLOBAL__N_124unique_dim_cuda_templateIjEESt5tupleIJNSA_6TensorESF_SF_EERKSF_lbbbEUlllE_EE10hipError_tT0_T1_T2_T3_mRjT4_P12ihipStream_tbNS1_7vsmem_tEEUlT_E_NS1_11comp_targetILNS1_3genE2ELNS1_11target_archE906ELNS1_3gpuE6ELNS1_3repE0EEENS1_30default_config_static_selectorELNS0_4arch9wavefront6targetE1EEEvSM_, .Lfunc_end1487-_ZN7rocprim17ROCPRIM_400000_NS6detail17trampoline_kernelINS0_14default_configENS1_37merge_sort_block_sort_config_selectorIlNS0_10empty_typeEEEZNS1_21merge_sort_block_sortIS3_PlS8_PS5_S9_ZN2at6native12_GLOBAL__N_124unique_dim_cuda_templateIjEESt5tupleIJNSA_6TensorESF_SF_EERKSF_lbbbEUlllE_EE10hipError_tT0_T1_T2_T3_mRjT4_P12ihipStream_tbNS1_7vsmem_tEEUlT_E_NS1_11comp_targetILNS1_3genE2ELNS1_11target_archE906ELNS1_3gpuE6ELNS1_3repE0EEENS1_30default_config_static_selectorELNS0_4arch9wavefront6targetE1EEEvSM_
                                        ; -- End function
	.set _ZN7rocprim17ROCPRIM_400000_NS6detail17trampoline_kernelINS0_14default_configENS1_37merge_sort_block_sort_config_selectorIlNS0_10empty_typeEEEZNS1_21merge_sort_block_sortIS3_PlS8_PS5_S9_ZN2at6native12_GLOBAL__N_124unique_dim_cuda_templateIjEESt5tupleIJNSA_6TensorESF_SF_EERKSF_lbbbEUlllE_EE10hipError_tT0_T1_T2_T3_mRjT4_P12ihipStream_tbNS1_7vsmem_tEEUlT_E_NS1_11comp_targetILNS1_3genE2ELNS1_11target_archE906ELNS1_3gpuE6ELNS1_3repE0EEENS1_30default_config_static_selectorELNS0_4arch9wavefront6targetE1EEEvSM_.num_vgpr, 0
	.set _ZN7rocprim17ROCPRIM_400000_NS6detail17trampoline_kernelINS0_14default_configENS1_37merge_sort_block_sort_config_selectorIlNS0_10empty_typeEEEZNS1_21merge_sort_block_sortIS3_PlS8_PS5_S9_ZN2at6native12_GLOBAL__N_124unique_dim_cuda_templateIjEESt5tupleIJNSA_6TensorESF_SF_EERKSF_lbbbEUlllE_EE10hipError_tT0_T1_T2_T3_mRjT4_P12ihipStream_tbNS1_7vsmem_tEEUlT_E_NS1_11comp_targetILNS1_3genE2ELNS1_11target_archE906ELNS1_3gpuE6ELNS1_3repE0EEENS1_30default_config_static_selectorELNS0_4arch9wavefront6targetE1EEEvSM_.num_agpr, 0
	.set _ZN7rocprim17ROCPRIM_400000_NS6detail17trampoline_kernelINS0_14default_configENS1_37merge_sort_block_sort_config_selectorIlNS0_10empty_typeEEEZNS1_21merge_sort_block_sortIS3_PlS8_PS5_S9_ZN2at6native12_GLOBAL__N_124unique_dim_cuda_templateIjEESt5tupleIJNSA_6TensorESF_SF_EERKSF_lbbbEUlllE_EE10hipError_tT0_T1_T2_T3_mRjT4_P12ihipStream_tbNS1_7vsmem_tEEUlT_E_NS1_11comp_targetILNS1_3genE2ELNS1_11target_archE906ELNS1_3gpuE6ELNS1_3repE0EEENS1_30default_config_static_selectorELNS0_4arch9wavefront6targetE1EEEvSM_.numbered_sgpr, 0
	.set _ZN7rocprim17ROCPRIM_400000_NS6detail17trampoline_kernelINS0_14default_configENS1_37merge_sort_block_sort_config_selectorIlNS0_10empty_typeEEEZNS1_21merge_sort_block_sortIS3_PlS8_PS5_S9_ZN2at6native12_GLOBAL__N_124unique_dim_cuda_templateIjEESt5tupleIJNSA_6TensorESF_SF_EERKSF_lbbbEUlllE_EE10hipError_tT0_T1_T2_T3_mRjT4_P12ihipStream_tbNS1_7vsmem_tEEUlT_E_NS1_11comp_targetILNS1_3genE2ELNS1_11target_archE906ELNS1_3gpuE6ELNS1_3repE0EEENS1_30default_config_static_selectorELNS0_4arch9wavefront6targetE1EEEvSM_.num_named_barrier, 0
	.set _ZN7rocprim17ROCPRIM_400000_NS6detail17trampoline_kernelINS0_14default_configENS1_37merge_sort_block_sort_config_selectorIlNS0_10empty_typeEEEZNS1_21merge_sort_block_sortIS3_PlS8_PS5_S9_ZN2at6native12_GLOBAL__N_124unique_dim_cuda_templateIjEESt5tupleIJNSA_6TensorESF_SF_EERKSF_lbbbEUlllE_EE10hipError_tT0_T1_T2_T3_mRjT4_P12ihipStream_tbNS1_7vsmem_tEEUlT_E_NS1_11comp_targetILNS1_3genE2ELNS1_11target_archE906ELNS1_3gpuE6ELNS1_3repE0EEENS1_30default_config_static_selectorELNS0_4arch9wavefront6targetE1EEEvSM_.private_seg_size, 0
	.set _ZN7rocprim17ROCPRIM_400000_NS6detail17trampoline_kernelINS0_14default_configENS1_37merge_sort_block_sort_config_selectorIlNS0_10empty_typeEEEZNS1_21merge_sort_block_sortIS3_PlS8_PS5_S9_ZN2at6native12_GLOBAL__N_124unique_dim_cuda_templateIjEESt5tupleIJNSA_6TensorESF_SF_EERKSF_lbbbEUlllE_EE10hipError_tT0_T1_T2_T3_mRjT4_P12ihipStream_tbNS1_7vsmem_tEEUlT_E_NS1_11comp_targetILNS1_3genE2ELNS1_11target_archE906ELNS1_3gpuE6ELNS1_3repE0EEENS1_30default_config_static_selectorELNS0_4arch9wavefront6targetE1EEEvSM_.uses_vcc, 0
	.set _ZN7rocprim17ROCPRIM_400000_NS6detail17trampoline_kernelINS0_14default_configENS1_37merge_sort_block_sort_config_selectorIlNS0_10empty_typeEEEZNS1_21merge_sort_block_sortIS3_PlS8_PS5_S9_ZN2at6native12_GLOBAL__N_124unique_dim_cuda_templateIjEESt5tupleIJNSA_6TensorESF_SF_EERKSF_lbbbEUlllE_EE10hipError_tT0_T1_T2_T3_mRjT4_P12ihipStream_tbNS1_7vsmem_tEEUlT_E_NS1_11comp_targetILNS1_3genE2ELNS1_11target_archE906ELNS1_3gpuE6ELNS1_3repE0EEENS1_30default_config_static_selectorELNS0_4arch9wavefront6targetE1EEEvSM_.uses_flat_scratch, 0
	.set _ZN7rocprim17ROCPRIM_400000_NS6detail17trampoline_kernelINS0_14default_configENS1_37merge_sort_block_sort_config_selectorIlNS0_10empty_typeEEEZNS1_21merge_sort_block_sortIS3_PlS8_PS5_S9_ZN2at6native12_GLOBAL__N_124unique_dim_cuda_templateIjEESt5tupleIJNSA_6TensorESF_SF_EERKSF_lbbbEUlllE_EE10hipError_tT0_T1_T2_T3_mRjT4_P12ihipStream_tbNS1_7vsmem_tEEUlT_E_NS1_11comp_targetILNS1_3genE2ELNS1_11target_archE906ELNS1_3gpuE6ELNS1_3repE0EEENS1_30default_config_static_selectorELNS0_4arch9wavefront6targetE1EEEvSM_.has_dyn_sized_stack, 0
	.set _ZN7rocprim17ROCPRIM_400000_NS6detail17trampoline_kernelINS0_14default_configENS1_37merge_sort_block_sort_config_selectorIlNS0_10empty_typeEEEZNS1_21merge_sort_block_sortIS3_PlS8_PS5_S9_ZN2at6native12_GLOBAL__N_124unique_dim_cuda_templateIjEESt5tupleIJNSA_6TensorESF_SF_EERKSF_lbbbEUlllE_EE10hipError_tT0_T1_T2_T3_mRjT4_P12ihipStream_tbNS1_7vsmem_tEEUlT_E_NS1_11comp_targetILNS1_3genE2ELNS1_11target_archE906ELNS1_3gpuE6ELNS1_3repE0EEENS1_30default_config_static_selectorELNS0_4arch9wavefront6targetE1EEEvSM_.has_recursion, 0
	.set _ZN7rocprim17ROCPRIM_400000_NS6detail17trampoline_kernelINS0_14default_configENS1_37merge_sort_block_sort_config_selectorIlNS0_10empty_typeEEEZNS1_21merge_sort_block_sortIS3_PlS8_PS5_S9_ZN2at6native12_GLOBAL__N_124unique_dim_cuda_templateIjEESt5tupleIJNSA_6TensorESF_SF_EERKSF_lbbbEUlllE_EE10hipError_tT0_T1_T2_T3_mRjT4_P12ihipStream_tbNS1_7vsmem_tEEUlT_E_NS1_11comp_targetILNS1_3genE2ELNS1_11target_archE906ELNS1_3gpuE6ELNS1_3repE0EEENS1_30default_config_static_selectorELNS0_4arch9wavefront6targetE1EEEvSM_.has_indirect_call, 0
	.section	.AMDGPU.csdata,"",@progbits
; Kernel info:
; codeLenInByte = 0
; TotalNumSgprs: 6
; NumVgprs: 0
; NumAgprs: 0
; TotalNumVgprs: 0
; ScratchSize: 0
; MemoryBound: 0
; FloatMode: 240
; IeeeMode: 1
; LDSByteSize: 0 bytes/workgroup (compile time only)
; SGPRBlocks: 0
; VGPRBlocks: 0
; NumSGPRsForWavesPerEU: 6
; NumVGPRsForWavesPerEU: 1
; AccumOffset: 4
; Occupancy: 8
; WaveLimiterHint : 0
; COMPUTE_PGM_RSRC2:SCRATCH_EN: 0
; COMPUTE_PGM_RSRC2:USER_SGPR: 2
; COMPUTE_PGM_RSRC2:TRAP_HANDLER: 0
; COMPUTE_PGM_RSRC2:TGID_X_EN: 1
; COMPUTE_PGM_RSRC2:TGID_Y_EN: 0
; COMPUTE_PGM_RSRC2:TGID_Z_EN: 0
; COMPUTE_PGM_RSRC2:TIDIG_COMP_CNT: 0
; COMPUTE_PGM_RSRC3_GFX90A:ACCUM_OFFSET: 0
; COMPUTE_PGM_RSRC3_GFX90A:TG_SPLIT: 0
	.section	.text._ZN7rocprim17ROCPRIM_400000_NS6detail17trampoline_kernelINS0_14default_configENS1_37merge_sort_block_sort_config_selectorIlNS0_10empty_typeEEEZNS1_21merge_sort_block_sortIS3_PlS8_PS5_S9_ZN2at6native12_GLOBAL__N_124unique_dim_cuda_templateIjEESt5tupleIJNSA_6TensorESF_SF_EERKSF_lbbbEUlllE_EE10hipError_tT0_T1_T2_T3_mRjT4_P12ihipStream_tbNS1_7vsmem_tEEUlT_E_NS1_11comp_targetILNS1_3genE10ELNS1_11target_archE1201ELNS1_3gpuE5ELNS1_3repE0EEENS1_30default_config_static_selectorELNS0_4arch9wavefront6targetE1EEEvSM_,"axG",@progbits,_ZN7rocprim17ROCPRIM_400000_NS6detail17trampoline_kernelINS0_14default_configENS1_37merge_sort_block_sort_config_selectorIlNS0_10empty_typeEEEZNS1_21merge_sort_block_sortIS3_PlS8_PS5_S9_ZN2at6native12_GLOBAL__N_124unique_dim_cuda_templateIjEESt5tupleIJNSA_6TensorESF_SF_EERKSF_lbbbEUlllE_EE10hipError_tT0_T1_T2_T3_mRjT4_P12ihipStream_tbNS1_7vsmem_tEEUlT_E_NS1_11comp_targetILNS1_3genE10ELNS1_11target_archE1201ELNS1_3gpuE5ELNS1_3repE0EEENS1_30default_config_static_selectorELNS0_4arch9wavefront6targetE1EEEvSM_,comdat
	.globl	_ZN7rocprim17ROCPRIM_400000_NS6detail17trampoline_kernelINS0_14default_configENS1_37merge_sort_block_sort_config_selectorIlNS0_10empty_typeEEEZNS1_21merge_sort_block_sortIS3_PlS8_PS5_S9_ZN2at6native12_GLOBAL__N_124unique_dim_cuda_templateIjEESt5tupleIJNSA_6TensorESF_SF_EERKSF_lbbbEUlllE_EE10hipError_tT0_T1_T2_T3_mRjT4_P12ihipStream_tbNS1_7vsmem_tEEUlT_E_NS1_11comp_targetILNS1_3genE10ELNS1_11target_archE1201ELNS1_3gpuE5ELNS1_3repE0EEENS1_30default_config_static_selectorELNS0_4arch9wavefront6targetE1EEEvSM_ ; -- Begin function _ZN7rocprim17ROCPRIM_400000_NS6detail17trampoline_kernelINS0_14default_configENS1_37merge_sort_block_sort_config_selectorIlNS0_10empty_typeEEEZNS1_21merge_sort_block_sortIS3_PlS8_PS5_S9_ZN2at6native12_GLOBAL__N_124unique_dim_cuda_templateIjEESt5tupleIJNSA_6TensorESF_SF_EERKSF_lbbbEUlllE_EE10hipError_tT0_T1_T2_T3_mRjT4_P12ihipStream_tbNS1_7vsmem_tEEUlT_E_NS1_11comp_targetILNS1_3genE10ELNS1_11target_archE1201ELNS1_3gpuE5ELNS1_3repE0EEENS1_30default_config_static_selectorELNS0_4arch9wavefront6targetE1EEEvSM_
	.p2align	8
	.type	_ZN7rocprim17ROCPRIM_400000_NS6detail17trampoline_kernelINS0_14default_configENS1_37merge_sort_block_sort_config_selectorIlNS0_10empty_typeEEEZNS1_21merge_sort_block_sortIS3_PlS8_PS5_S9_ZN2at6native12_GLOBAL__N_124unique_dim_cuda_templateIjEESt5tupleIJNSA_6TensorESF_SF_EERKSF_lbbbEUlllE_EE10hipError_tT0_T1_T2_T3_mRjT4_P12ihipStream_tbNS1_7vsmem_tEEUlT_E_NS1_11comp_targetILNS1_3genE10ELNS1_11target_archE1201ELNS1_3gpuE5ELNS1_3repE0EEENS1_30default_config_static_selectorELNS0_4arch9wavefront6targetE1EEEvSM_,@function
_ZN7rocprim17ROCPRIM_400000_NS6detail17trampoline_kernelINS0_14default_configENS1_37merge_sort_block_sort_config_selectorIlNS0_10empty_typeEEEZNS1_21merge_sort_block_sortIS3_PlS8_PS5_S9_ZN2at6native12_GLOBAL__N_124unique_dim_cuda_templateIjEESt5tupleIJNSA_6TensorESF_SF_EERKSF_lbbbEUlllE_EE10hipError_tT0_T1_T2_T3_mRjT4_P12ihipStream_tbNS1_7vsmem_tEEUlT_E_NS1_11comp_targetILNS1_3genE10ELNS1_11target_archE1201ELNS1_3gpuE5ELNS1_3repE0EEENS1_30default_config_static_selectorELNS0_4arch9wavefront6targetE1EEEvSM_: ; @_ZN7rocprim17ROCPRIM_400000_NS6detail17trampoline_kernelINS0_14default_configENS1_37merge_sort_block_sort_config_selectorIlNS0_10empty_typeEEEZNS1_21merge_sort_block_sortIS3_PlS8_PS5_S9_ZN2at6native12_GLOBAL__N_124unique_dim_cuda_templateIjEESt5tupleIJNSA_6TensorESF_SF_EERKSF_lbbbEUlllE_EE10hipError_tT0_T1_T2_T3_mRjT4_P12ihipStream_tbNS1_7vsmem_tEEUlT_E_NS1_11comp_targetILNS1_3genE10ELNS1_11target_archE1201ELNS1_3gpuE5ELNS1_3repE0EEENS1_30default_config_static_selectorELNS0_4arch9wavefront6targetE1EEEvSM_
; %bb.0:
	.section	.rodata,"a",@progbits
	.p2align	6, 0x0
	.amdhsa_kernel _ZN7rocprim17ROCPRIM_400000_NS6detail17trampoline_kernelINS0_14default_configENS1_37merge_sort_block_sort_config_selectorIlNS0_10empty_typeEEEZNS1_21merge_sort_block_sortIS3_PlS8_PS5_S9_ZN2at6native12_GLOBAL__N_124unique_dim_cuda_templateIjEESt5tupleIJNSA_6TensorESF_SF_EERKSF_lbbbEUlllE_EE10hipError_tT0_T1_T2_T3_mRjT4_P12ihipStream_tbNS1_7vsmem_tEEUlT_E_NS1_11comp_targetILNS1_3genE10ELNS1_11target_archE1201ELNS1_3gpuE5ELNS1_3repE0EEENS1_30default_config_static_selectorELNS0_4arch9wavefront6targetE1EEEvSM_
		.amdhsa_group_segment_fixed_size 0
		.amdhsa_private_segment_fixed_size 0
		.amdhsa_kernarg_size 72
		.amdhsa_user_sgpr_count 2
		.amdhsa_user_sgpr_dispatch_ptr 0
		.amdhsa_user_sgpr_queue_ptr 0
		.amdhsa_user_sgpr_kernarg_segment_ptr 1
		.amdhsa_user_sgpr_dispatch_id 0
		.amdhsa_user_sgpr_kernarg_preload_length 0
		.amdhsa_user_sgpr_kernarg_preload_offset 0
		.amdhsa_user_sgpr_private_segment_size 0
		.amdhsa_uses_dynamic_stack 0
		.amdhsa_enable_private_segment 0
		.amdhsa_system_sgpr_workgroup_id_x 1
		.amdhsa_system_sgpr_workgroup_id_y 0
		.amdhsa_system_sgpr_workgroup_id_z 0
		.amdhsa_system_sgpr_workgroup_info 0
		.amdhsa_system_vgpr_workitem_id 0
		.amdhsa_next_free_vgpr 1
		.amdhsa_next_free_sgpr 0
		.amdhsa_accum_offset 4
		.amdhsa_reserve_vcc 0
		.amdhsa_float_round_mode_32 0
		.amdhsa_float_round_mode_16_64 0
		.amdhsa_float_denorm_mode_32 3
		.amdhsa_float_denorm_mode_16_64 3
		.amdhsa_dx10_clamp 1
		.amdhsa_ieee_mode 1
		.amdhsa_fp16_overflow 0
		.amdhsa_tg_split 0
		.amdhsa_exception_fp_ieee_invalid_op 0
		.amdhsa_exception_fp_denorm_src 0
		.amdhsa_exception_fp_ieee_div_zero 0
		.amdhsa_exception_fp_ieee_overflow 0
		.amdhsa_exception_fp_ieee_underflow 0
		.amdhsa_exception_fp_ieee_inexact 0
		.amdhsa_exception_int_div_zero 0
	.end_amdhsa_kernel
	.section	.text._ZN7rocprim17ROCPRIM_400000_NS6detail17trampoline_kernelINS0_14default_configENS1_37merge_sort_block_sort_config_selectorIlNS0_10empty_typeEEEZNS1_21merge_sort_block_sortIS3_PlS8_PS5_S9_ZN2at6native12_GLOBAL__N_124unique_dim_cuda_templateIjEESt5tupleIJNSA_6TensorESF_SF_EERKSF_lbbbEUlllE_EE10hipError_tT0_T1_T2_T3_mRjT4_P12ihipStream_tbNS1_7vsmem_tEEUlT_E_NS1_11comp_targetILNS1_3genE10ELNS1_11target_archE1201ELNS1_3gpuE5ELNS1_3repE0EEENS1_30default_config_static_selectorELNS0_4arch9wavefront6targetE1EEEvSM_,"axG",@progbits,_ZN7rocprim17ROCPRIM_400000_NS6detail17trampoline_kernelINS0_14default_configENS1_37merge_sort_block_sort_config_selectorIlNS0_10empty_typeEEEZNS1_21merge_sort_block_sortIS3_PlS8_PS5_S9_ZN2at6native12_GLOBAL__N_124unique_dim_cuda_templateIjEESt5tupleIJNSA_6TensorESF_SF_EERKSF_lbbbEUlllE_EE10hipError_tT0_T1_T2_T3_mRjT4_P12ihipStream_tbNS1_7vsmem_tEEUlT_E_NS1_11comp_targetILNS1_3genE10ELNS1_11target_archE1201ELNS1_3gpuE5ELNS1_3repE0EEENS1_30default_config_static_selectorELNS0_4arch9wavefront6targetE1EEEvSM_,comdat
.Lfunc_end1488:
	.size	_ZN7rocprim17ROCPRIM_400000_NS6detail17trampoline_kernelINS0_14default_configENS1_37merge_sort_block_sort_config_selectorIlNS0_10empty_typeEEEZNS1_21merge_sort_block_sortIS3_PlS8_PS5_S9_ZN2at6native12_GLOBAL__N_124unique_dim_cuda_templateIjEESt5tupleIJNSA_6TensorESF_SF_EERKSF_lbbbEUlllE_EE10hipError_tT0_T1_T2_T3_mRjT4_P12ihipStream_tbNS1_7vsmem_tEEUlT_E_NS1_11comp_targetILNS1_3genE10ELNS1_11target_archE1201ELNS1_3gpuE5ELNS1_3repE0EEENS1_30default_config_static_selectorELNS0_4arch9wavefront6targetE1EEEvSM_, .Lfunc_end1488-_ZN7rocprim17ROCPRIM_400000_NS6detail17trampoline_kernelINS0_14default_configENS1_37merge_sort_block_sort_config_selectorIlNS0_10empty_typeEEEZNS1_21merge_sort_block_sortIS3_PlS8_PS5_S9_ZN2at6native12_GLOBAL__N_124unique_dim_cuda_templateIjEESt5tupleIJNSA_6TensorESF_SF_EERKSF_lbbbEUlllE_EE10hipError_tT0_T1_T2_T3_mRjT4_P12ihipStream_tbNS1_7vsmem_tEEUlT_E_NS1_11comp_targetILNS1_3genE10ELNS1_11target_archE1201ELNS1_3gpuE5ELNS1_3repE0EEENS1_30default_config_static_selectorELNS0_4arch9wavefront6targetE1EEEvSM_
                                        ; -- End function
	.set _ZN7rocprim17ROCPRIM_400000_NS6detail17trampoline_kernelINS0_14default_configENS1_37merge_sort_block_sort_config_selectorIlNS0_10empty_typeEEEZNS1_21merge_sort_block_sortIS3_PlS8_PS5_S9_ZN2at6native12_GLOBAL__N_124unique_dim_cuda_templateIjEESt5tupleIJNSA_6TensorESF_SF_EERKSF_lbbbEUlllE_EE10hipError_tT0_T1_T2_T3_mRjT4_P12ihipStream_tbNS1_7vsmem_tEEUlT_E_NS1_11comp_targetILNS1_3genE10ELNS1_11target_archE1201ELNS1_3gpuE5ELNS1_3repE0EEENS1_30default_config_static_selectorELNS0_4arch9wavefront6targetE1EEEvSM_.num_vgpr, 0
	.set _ZN7rocprim17ROCPRIM_400000_NS6detail17trampoline_kernelINS0_14default_configENS1_37merge_sort_block_sort_config_selectorIlNS0_10empty_typeEEEZNS1_21merge_sort_block_sortIS3_PlS8_PS5_S9_ZN2at6native12_GLOBAL__N_124unique_dim_cuda_templateIjEESt5tupleIJNSA_6TensorESF_SF_EERKSF_lbbbEUlllE_EE10hipError_tT0_T1_T2_T3_mRjT4_P12ihipStream_tbNS1_7vsmem_tEEUlT_E_NS1_11comp_targetILNS1_3genE10ELNS1_11target_archE1201ELNS1_3gpuE5ELNS1_3repE0EEENS1_30default_config_static_selectorELNS0_4arch9wavefront6targetE1EEEvSM_.num_agpr, 0
	.set _ZN7rocprim17ROCPRIM_400000_NS6detail17trampoline_kernelINS0_14default_configENS1_37merge_sort_block_sort_config_selectorIlNS0_10empty_typeEEEZNS1_21merge_sort_block_sortIS3_PlS8_PS5_S9_ZN2at6native12_GLOBAL__N_124unique_dim_cuda_templateIjEESt5tupleIJNSA_6TensorESF_SF_EERKSF_lbbbEUlllE_EE10hipError_tT0_T1_T2_T3_mRjT4_P12ihipStream_tbNS1_7vsmem_tEEUlT_E_NS1_11comp_targetILNS1_3genE10ELNS1_11target_archE1201ELNS1_3gpuE5ELNS1_3repE0EEENS1_30default_config_static_selectorELNS0_4arch9wavefront6targetE1EEEvSM_.numbered_sgpr, 0
	.set _ZN7rocprim17ROCPRIM_400000_NS6detail17trampoline_kernelINS0_14default_configENS1_37merge_sort_block_sort_config_selectorIlNS0_10empty_typeEEEZNS1_21merge_sort_block_sortIS3_PlS8_PS5_S9_ZN2at6native12_GLOBAL__N_124unique_dim_cuda_templateIjEESt5tupleIJNSA_6TensorESF_SF_EERKSF_lbbbEUlllE_EE10hipError_tT0_T1_T2_T3_mRjT4_P12ihipStream_tbNS1_7vsmem_tEEUlT_E_NS1_11comp_targetILNS1_3genE10ELNS1_11target_archE1201ELNS1_3gpuE5ELNS1_3repE0EEENS1_30default_config_static_selectorELNS0_4arch9wavefront6targetE1EEEvSM_.num_named_barrier, 0
	.set _ZN7rocprim17ROCPRIM_400000_NS6detail17trampoline_kernelINS0_14default_configENS1_37merge_sort_block_sort_config_selectorIlNS0_10empty_typeEEEZNS1_21merge_sort_block_sortIS3_PlS8_PS5_S9_ZN2at6native12_GLOBAL__N_124unique_dim_cuda_templateIjEESt5tupleIJNSA_6TensorESF_SF_EERKSF_lbbbEUlllE_EE10hipError_tT0_T1_T2_T3_mRjT4_P12ihipStream_tbNS1_7vsmem_tEEUlT_E_NS1_11comp_targetILNS1_3genE10ELNS1_11target_archE1201ELNS1_3gpuE5ELNS1_3repE0EEENS1_30default_config_static_selectorELNS0_4arch9wavefront6targetE1EEEvSM_.private_seg_size, 0
	.set _ZN7rocprim17ROCPRIM_400000_NS6detail17trampoline_kernelINS0_14default_configENS1_37merge_sort_block_sort_config_selectorIlNS0_10empty_typeEEEZNS1_21merge_sort_block_sortIS3_PlS8_PS5_S9_ZN2at6native12_GLOBAL__N_124unique_dim_cuda_templateIjEESt5tupleIJNSA_6TensorESF_SF_EERKSF_lbbbEUlllE_EE10hipError_tT0_T1_T2_T3_mRjT4_P12ihipStream_tbNS1_7vsmem_tEEUlT_E_NS1_11comp_targetILNS1_3genE10ELNS1_11target_archE1201ELNS1_3gpuE5ELNS1_3repE0EEENS1_30default_config_static_selectorELNS0_4arch9wavefront6targetE1EEEvSM_.uses_vcc, 0
	.set _ZN7rocprim17ROCPRIM_400000_NS6detail17trampoline_kernelINS0_14default_configENS1_37merge_sort_block_sort_config_selectorIlNS0_10empty_typeEEEZNS1_21merge_sort_block_sortIS3_PlS8_PS5_S9_ZN2at6native12_GLOBAL__N_124unique_dim_cuda_templateIjEESt5tupleIJNSA_6TensorESF_SF_EERKSF_lbbbEUlllE_EE10hipError_tT0_T1_T2_T3_mRjT4_P12ihipStream_tbNS1_7vsmem_tEEUlT_E_NS1_11comp_targetILNS1_3genE10ELNS1_11target_archE1201ELNS1_3gpuE5ELNS1_3repE0EEENS1_30default_config_static_selectorELNS0_4arch9wavefront6targetE1EEEvSM_.uses_flat_scratch, 0
	.set _ZN7rocprim17ROCPRIM_400000_NS6detail17trampoline_kernelINS0_14default_configENS1_37merge_sort_block_sort_config_selectorIlNS0_10empty_typeEEEZNS1_21merge_sort_block_sortIS3_PlS8_PS5_S9_ZN2at6native12_GLOBAL__N_124unique_dim_cuda_templateIjEESt5tupleIJNSA_6TensorESF_SF_EERKSF_lbbbEUlllE_EE10hipError_tT0_T1_T2_T3_mRjT4_P12ihipStream_tbNS1_7vsmem_tEEUlT_E_NS1_11comp_targetILNS1_3genE10ELNS1_11target_archE1201ELNS1_3gpuE5ELNS1_3repE0EEENS1_30default_config_static_selectorELNS0_4arch9wavefront6targetE1EEEvSM_.has_dyn_sized_stack, 0
	.set _ZN7rocprim17ROCPRIM_400000_NS6detail17trampoline_kernelINS0_14default_configENS1_37merge_sort_block_sort_config_selectorIlNS0_10empty_typeEEEZNS1_21merge_sort_block_sortIS3_PlS8_PS5_S9_ZN2at6native12_GLOBAL__N_124unique_dim_cuda_templateIjEESt5tupleIJNSA_6TensorESF_SF_EERKSF_lbbbEUlllE_EE10hipError_tT0_T1_T2_T3_mRjT4_P12ihipStream_tbNS1_7vsmem_tEEUlT_E_NS1_11comp_targetILNS1_3genE10ELNS1_11target_archE1201ELNS1_3gpuE5ELNS1_3repE0EEENS1_30default_config_static_selectorELNS0_4arch9wavefront6targetE1EEEvSM_.has_recursion, 0
	.set _ZN7rocprim17ROCPRIM_400000_NS6detail17trampoline_kernelINS0_14default_configENS1_37merge_sort_block_sort_config_selectorIlNS0_10empty_typeEEEZNS1_21merge_sort_block_sortIS3_PlS8_PS5_S9_ZN2at6native12_GLOBAL__N_124unique_dim_cuda_templateIjEESt5tupleIJNSA_6TensorESF_SF_EERKSF_lbbbEUlllE_EE10hipError_tT0_T1_T2_T3_mRjT4_P12ihipStream_tbNS1_7vsmem_tEEUlT_E_NS1_11comp_targetILNS1_3genE10ELNS1_11target_archE1201ELNS1_3gpuE5ELNS1_3repE0EEENS1_30default_config_static_selectorELNS0_4arch9wavefront6targetE1EEEvSM_.has_indirect_call, 0
	.section	.AMDGPU.csdata,"",@progbits
; Kernel info:
; codeLenInByte = 0
; TotalNumSgprs: 6
; NumVgprs: 0
; NumAgprs: 0
; TotalNumVgprs: 0
; ScratchSize: 0
; MemoryBound: 0
; FloatMode: 240
; IeeeMode: 1
; LDSByteSize: 0 bytes/workgroup (compile time only)
; SGPRBlocks: 0
; VGPRBlocks: 0
; NumSGPRsForWavesPerEU: 6
; NumVGPRsForWavesPerEU: 1
; AccumOffset: 4
; Occupancy: 8
; WaveLimiterHint : 0
; COMPUTE_PGM_RSRC2:SCRATCH_EN: 0
; COMPUTE_PGM_RSRC2:USER_SGPR: 2
; COMPUTE_PGM_RSRC2:TRAP_HANDLER: 0
; COMPUTE_PGM_RSRC2:TGID_X_EN: 1
; COMPUTE_PGM_RSRC2:TGID_Y_EN: 0
; COMPUTE_PGM_RSRC2:TGID_Z_EN: 0
; COMPUTE_PGM_RSRC2:TIDIG_COMP_CNT: 0
; COMPUTE_PGM_RSRC3_GFX90A:ACCUM_OFFSET: 0
; COMPUTE_PGM_RSRC3_GFX90A:TG_SPLIT: 0
	.section	.text._ZN7rocprim17ROCPRIM_400000_NS6detail17trampoline_kernelINS0_14default_configENS1_37merge_sort_block_sort_config_selectorIlNS0_10empty_typeEEEZNS1_21merge_sort_block_sortIS3_PlS8_PS5_S9_ZN2at6native12_GLOBAL__N_124unique_dim_cuda_templateIjEESt5tupleIJNSA_6TensorESF_SF_EERKSF_lbbbEUlllE_EE10hipError_tT0_T1_T2_T3_mRjT4_P12ihipStream_tbNS1_7vsmem_tEEUlT_E_NS1_11comp_targetILNS1_3genE10ELNS1_11target_archE1200ELNS1_3gpuE4ELNS1_3repE0EEENS1_30default_config_static_selectorELNS0_4arch9wavefront6targetE1EEEvSM_,"axG",@progbits,_ZN7rocprim17ROCPRIM_400000_NS6detail17trampoline_kernelINS0_14default_configENS1_37merge_sort_block_sort_config_selectorIlNS0_10empty_typeEEEZNS1_21merge_sort_block_sortIS3_PlS8_PS5_S9_ZN2at6native12_GLOBAL__N_124unique_dim_cuda_templateIjEESt5tupleIJNSA_6TensorESF_SF_EERKSF_lbbbEUlllE_EE10hipError_tT0_T1_T2_T3_mRjT4_P12ihipStream_tbNS1_7vsmem_tEEUlT_E_NS1_11comp_targetILNS1_3genE10ELNS1_11target_archE1200ELNS1_3gpuE4ELNS1_3repE0EEENS1_30default_config_static_selectorELNS0_4arch9wavefront6targetE1EEEvSM_,comdat
	.globl	_ZN7rocprim17ROCPRIM_400000_NS6detail17trampoline_kernelINS0_14default_configENS1_37merge_sort_block_sort_config_selectorIlNS0_10empty_typeEEEZNS1_21merge_sort_block_sortIS3_PlS8_PS5_S9_ZN2at6native12_GLOBAL__N_124unique_dim_cuda_templateIjEESt5tupleIJNSA_6TensorESF_SF_EERKSF_lbbbEUlllE_EE10hipError_tT0_T1_T2_T3_mRjT4_P12ihipStream_tbNS1_7vsmem_tEEUlT_E_NS1_11comp_targetILNS1_3genE10ELNS1_11target_archE1200ELNS1_3gpuE4ELNS1_3repE0EEENS1_30default_config_static_selectorELNS0_4arch9wavefront6targetE1EEEvSM_ ; -- Begin function _ZN7rocprim17ROCPRIM_400000_NS6detail17trampoline_kernelINS0_14default_configENS1_37merge_sort_block_sort_config_selectorIlNS0_10empty_typeEEEZNS1_21merge_sort_block_sortIS3_PlS8_PS5_S9_ZN2at6native12_GLOBAL__N_124unique_dim_cuda_templateIjEESt5tupleIJNSA_6TensorESF_SF_EERKSF_lbbbEUlllE_EE10hipError_tT0_T1_T2_T3_mRjT4_P12ihipStream_tbNS1_7vsmem_tEEUlT_E_NS1_11comp_targetILNS1_3genE10ELNS1_11target_archE1200ELNS1_3gpuE4ELNS1_3repE0EEENS1_30default_config_static_selectorELNS0_4arch9wavefront6targetE1EEEvSM_
	.p2align	8
	.type	_ZN7rocprim17ROCPRIM_400000_NS6detail17trampoline_kernelINS0_14default_configENS1_37merge_sort_block_sort_config_selectorIlNS0_10empty_typeEEEZNS1_21merge_sort_block_sortIS3_PlS8_PS5_S9_ZN2at6native12_GLOBAL__N_124unique_dim_cuda_templateIjEESt5tupleIJNSA_6TensorESF_SF_EERKSF_lbbbEUlllE_EE10hipError_tT0_T1_T2_T3_mRjT4_P12ihipStream_tbNS1_7vsmem_tEEUlT_E_NS1_11comp_targetILNS1_3genE10ELNS1_11target_archE1200ELNS1_3gpuE4ELNS1_3repE0EEENS1_30default_config_static_selectorELNS0_4arch9wavefront6targetE1EEEvSM_,@function
_ZN7rocprim17ROCPRIM_400000_NS6detail17trampoline_kernelINS0_14default_configENS1_37merge_sort_block_sort_config_selectorIlNS0_10empty_typeEEEZNS1_21merge_sort_block_sortIS3_PlS8_PS5_S9_ZN2at6native12_GLOBAL__N_124unique_dim_cuda_templateIjEESt5tupleIJNSA_6TensorESF_SF_EERKSF_lbbbEUlllE_EE10hipError_tT0_T1_T2_T3_mRjT4_P12ihipStream_tbNS1_7vsmem_tEEUlT_E_NS1_11comp_targetILNS1_3genE10ELNS1_11target_archE1200ELNS1_3gpuE4ELNS1_3repE0EEENS1_30default_config_static_selectorELNS0_4arch9wavefront6targetE1EEEvSM_: ; @_ZN7rocprim17ROCPRIM_400000_NS6detail17trampoline_kernelINS0_14default_configENS1_37merge_sort_block_sort_config_selectorIlNS0_10empty_typeEEEZNS1_21merge_sort_block_sortIS3_PlS8_PS5_S9_ZN2at6native12_GLOBAL__N_124unique_dim_cuda_templateIjEESt5tupleIJNSA_6TensorESF_SF_EERKSF_lbbbEUlllE_EE10hipError_tT0_T1_T2_T3_mRjT4_P12ihipStream_tbNS1_7vsmem_tEEUlT_E_NS1_11comp_targetILNS1_3genE10ELNS1_11target_archE1200ELNS1_3gpuE4ELNS1_3repE0EEENS1_30default_config_static_selectorELNS0_4arch9wavefront6targetE1EEEvSM_
; %bb.0:
	.section	.rodata,"a",@progbits
	.p2align	6, 0x0
	.amdhsa_kernel _ZN7rocprim17ROCPRIM_400000_NS6detail17trampoline_kernelINS0_14default_configENS1_37merge_sort_block_sort_config_selectorIlNS0_10empty_typeEEEZNS1_21merge_sort_block_sortIS3_PlS8_PS5_S9_ZN2at6native12_GLOBAL__N_124unique_dim_cuda_templateIjEESt5tupleIJNSA_6TensorESF_SF_EERKSF_lbbbEUlllE_EE10hipError_tT0_T1_T2_T3_mRjT4_P12ihipStream_tbNS1_7vsmem_tEEUlT_E_NS1_11comp_targetILNS1_3genE10ELNS1_11target_archE1200ELNS1_3gpuE4ELNS1_3repE0EEENS1_30default_config_static_selectorELNS0_4arch9wavefront6targetE1EEEvSM_
		.amdhsa_group_segment_fixed_size 0
		.amdhsa_private_segment_fixed_size 0
		.amdhsa_kernarg_size 72
		.amdhsa_user_sgpr_count 2
		.amdhsa_user_sgpr_dispatch_ptr 0
		.amdhsa_user_sgpr_queue_ptr 0
		.amdhsa_user_sgpr_kernarg_segment_ptr 1
		.amdhsa_user_sgpr_dispatch_id 0
		.amdhsa_user_sgpr_kernarg_preload_length 0
		.amdhsa_user_sgpr_kernarg_preload_offset 0
		.amdhsa_user_sgpr_private_segment_size 0
		.amdhsa_uses_dynamic_stack 0
		.amdhsa_enable_private_segment 0
		.amdhsa_system_sgpr_workgroup_id_x 1
		.amdhsa_system_sgpr_workgroup_id_y 0
		.amdhsa_system_sgpr_workgroup_id_z 0
		.amdhsa_system_sgpr_workgroup_info 0
		.amdhsa_system_vgpr_workitem_id 0
		.amdhsa_next_free_vgpr 1
		.amdhsa_next_free_sgpr 0
		.amdhsa_accum_offset 4
		.amdhsa_reserve_vcc 0
		.amdhsa_float_round_mode_32 0
		.amdhsa_float_round_mode_16_64 0
		.amdhsa_float_denorm_mode_32 3
		.amdhsa_float_denorm_mode_16_64 3
		.amdhsa_dx10_clamp 1
		.amdhsa_ieee_mode 1
		.amdhsa_fp16_overflow 0
		.amdhsa_tg_split 0
		.amdhsa_exception_fp_ieee_invalid_op 0
		.amdhsa_exception_fp_denorm_src 0
		.amdhsa_exception_fp_ieee_div_zero 0
		.amdhsa_exception_fp_ieee_overflow 0
		.amdhsa_exception_fp_ieee_underflow 0
		.amdhsa_exception_fp_ieee_inexact 0
		.amdhsa_exception_int_div_zero 0
	.end_amdhsa_kernel
	.section	.text._ZN7rocprim17ROCPRIM_400000_NS6detail17trampoline_kernelINS0_14default_configENS1_37merge_sort_block_sort_config_selectorIlNS0_10empty_typeEEEZNS1_21merge_sort_block_sortIS3_PlS8_PS5_S9_ZN2at6native12_GLOBAL__N_124unique_dim_cuda_templateIjEESt5tupleIJNSA_6TensorESF_SF_EERKSF_lbbbEUlllE_EE10hipError_tT0_T1_T2_T3_mRjT4_P12ihipStream_tbNS1_7vsmem_tEEUlT_E_NS1_11comp_targetILNS1_3genE10ELNS1_11target_archE1200ELNS1_3gpuE4ELNS1_3repE0EEENS1_30default_config_static_selectorELNS0_4arch9wavefront6targetE1EEEvSM_,"axG",@progbits,_ZN7rocprim17ROCPRIM_400000_NS6detail17trampoline_kernelINS0_14default_configENS1_37merge_sort_block_sort_config_selectorIlNS0_10empty_typeEEEZNS1_21merge_sort_block_sortIS3_PlS8_PS5_S9_ZN2at6native12_GLOBAL__N_124unique_dim_cuda_templateIjEESt5tupleIJNSA_6TensorESF_SF_EERKSF_lbbbEUlllE_EE10hipError_tT0_T1_T2_T3_mRjT4_P12ihipStream_tbNS1_7vsmem_tEEUlT_E_NS1_11comp_targetILNS1_3genE10ELNS1_11target_archE1200ELNS1_3gpuE4ELNS1_3repE0EEENS1_30default_config_static_selectorELNS0_4arch9wavefront6targetE1EEEvSM_,comdat
.Lfunc_end1489:
	.size	_ZN7rocprim17ROCPRIM_400000_NS6detail17trampoline_kernelINS0_14default_configENS1_37merge_sort_block_sort_config_selectorIlNS0_10empty_typeEEEZNS1_21merge_sort_block_sortIS3_PlS8_PS5_S9_ZN2at6native12_GLOBAL__N_124unique_dim_cuda_templateIjEESt5tupleIJNSA_6TensorESF_SF_EERKSF_lbbbEUlllE_EE10hipError_tT0_T1_T2_T3_mRjT4_P12ihipStream_tbNS1_7vsmem_tEEUlT_E_NS1_11comp_targetILNS1_3genE10ELNS1_11target_archE1200ELNS1_3gpuE4ELNS1_3repE0EEENS1_30default_config_static_selectorELNS0_4arch9wavefront6targetE1EEEvSM_, .Lfunc_end1489-_ZN7rocprim17ROCPRIM_400000_NS6detail17trampoline_kernelINS0_14default_configENS1_37merge_sort_block_sort_config_selectorIlNS0_10empty_typeEEEZNS1_21merge_sort_block_sortIS3_PlS8_PS5_S9_ZN2at6native12_GLOBAL__N_124unique_dim_cuda_templateIjEESt5tupleIJNSA_6TensorESF_SF_EERKSF_lbbbEUlllE_EE10hipError_tT0_T1_T2_T3_mRjT4_P12ihipStream_tbNS1_7vsmem_tEEUlT_E_NS1_11comp_targetILNS1_3genE10ELNS1_11target_archE1200ELNS1_3gpuE4ELNS1_3repE0EEENS1_30default_config_static_selectorELNS0_4arch9wavefront6targetE1EEEvSM_
                                        ; -- End function
	.set _ZN7rocprim17ROCPRIM_400000_NS6detail17trampoline_kernelINS0_14default_configENS1_37merge_sort_block_sort_config_selectorIlNS0_10empty_typeEEEZNS1_21merge_sort_block_sortIS3_PlS8_PS5_S9_ZN2at6native12_GLOBAL__N_124unique_dim_cuda_templateIjEESt5tupleIJNSA_6TensorESF_SF_EERKSF_lbbbEUlllE_EE10hipError_tT0_T1_T2_T3_mRjT4_P12ihipStream_tbNS1_7vsmem_tEEUlT_E_NS1_11comp_targetILNS1_3genE10ELNS1_11target_archE1200ELNS1_3gpuE4ELNS1_3repE0EEENS1_30default_config_static_selectorELNS0_4arch9wavefront6targetE1EEEvSM_.num_vgpr, 0
	.set _ZN7rocprim17ROCPRIM_400000_NS6detail17trampoline_kernelINS0_14default_configENS1_37merge_sort_block_sort_config_selectorIlNS0_10empty_typeEEEZNS1_21merge_sort_block_sortIS3_PlS8_PS5_S9_ZN2at6native12_GLOBAL__N_124unique_dim_cuda_templateIjEESt5tupleIJNSA_6TensorESF_SF_EERKSF_lbbbEUlllE_EE10hipError_tT0_T1_T2_T3_mRjT4_P12ihipStream_tbNS1_7vsmem_tEEUlT_E_NS1_11comp_targetILNS1_3genE10ELNS1_11target_archE1200ELNS1_3gpuE4ELNS1_3repE0EEENS1_30default_config_static_selectorELNS0_4arch9wavefront6targetE1EEEvSM_.num_agpr, 0
	.set _ZN7rocprim17ROCPRIM_400000_NS6detail17trampoline_kernelINS0_14default_configENS1_37merge_sort_block_sort_config_selectorIlNS0_10empty_typeEEEZNS1_21merge_sort_block_sortIS3_PlS8_PS5_S9_ZN2at6native12_GLOBAL__N_124unique_dim_cuda_templateIjEESt5tupleIJNSA_6TensorESF_SF_EERKSF_lbbbEUlllE_EE10hipError_tT0_T1_T2_T3_mRjT4_P12ihipStream_tbNS1_7vsmem_tEEUlT_E_NS1_11comp_targetILNS1_3genE10ELNS1_11target_archE1200ELNS1_3gpuE4ELNS1_3repE0EEENS1_30default_config_static_selectorELNS0_4arch9wavefront6targetE1EEEvSM_.numbered_sgpr, 0
	.set _ZN7rocprim17ROCPRIM_400000_NS6detail17trampoline_kernelINS0_14default_configENS1_37merge_sort_block_sort_config_selectorIlNS0_10empty_typeEEEZNS1_21merge_sort_block_sortIS3_PlS8_PS5_S9_ZN2at6native12_GLOBAL__N_124unique_dim_cuda_templateIjEESt5tupleIJNSA_6TensorESF_SF_EERKSF_lbbbEUlllE_EE10hipError_tT0_T1_T2_T3_mRjT4_P12ihipStream_tbNS1_7vsmem_tEEUlT_E_NS1_11comp_targetILNS1_3genE10ELNS1_11target_archE1200ELNS1_3gpuE4ELNS1_3repE0EEENS1_30default_config_static_selectorELNS0_4arch9wavefront6targetE1EEEvSM_.num_named_barrier, 0
	.set _ZN7rocprim17ROCPRIM_400000_NS6detail17trampoline_kernelINS0_14default_configENS1_37merge_sort_block_sort_config_selectorIlNS0_10empty_typeEEEZNS1_21merge_sort_block_sortIS3_PlS8_PS5_S9_ZN2at6native12_GLOBAL__N_124unique_dim_cuda_templateIjEESt5tupleIJNSA_6TensorESF_SF_EERKSF_lbbbEUlllE_EE10hipError_tT0_T1_T2_T3_mRjT4_P12ihipStream_tbNS1_7vsmem_tEEUlT_E_NS1_11comp_targetILNS1_3genE10ELNS1_11target_archE1200ELNS1_3gpuE4ELNS1_3repE0EEENS1_30default_config_static_selectorELNS0_4arch9wavefront6targetE1EEEvSM_.private_seg_size, 0
	.set _ZN7rocprim17ROCPRIM_400000_NS6detail17trampoline_kernelINS0_14default_configENS1_37merge_sort_block_sort_config_selectorIlNS0_10empty_typeEEEZNS1_21merge_sort_block_sortIS3_PlS8_PS5_S9_ZN2at6native12_GLOBAL__N_124unique_dim_cuda_templateIjEESt5tupleIJNSA_6TensorESF_SF_EERKSF_lbbbEUlllE_EE10hipError_tT0_T1_T2_T3_mRjT4_P12ihipStream_tbNS1_7vsmem_tEEUlT_E_NS1_11comp_targetILNS1_3genE10ELNS1_11target_archE1200ELNS1_3gpuE4ELNS1_3repE0EEENS1_30default_config_static_selectorELNS0_4arch9wavefront6targetE1EEEvSM_.uses_vcc, 0
	.set _ZN7rocprim17ROCPRIM_400000_NS6detail17trampoline_kernelINS0_14default_configENS1_37merge_sort_block_sort_config_selectorIlNS0_10empty_typeEEEZNS1_21merge_sort_block_sortIS3_PlS8_PS5_S9_ZN2at6native12_GLOBAL__N_124unique_dim_cuda_templateIjEESt5tupleIJNSA_6TensorESF_SF_EERKSF_lbbbEUlllE_EE10hipError_tT0_T1_T2_T3_mRjT4_P12ihipStream_tbNS1_7vsmem_tEEUlT_E_NS1_11comp_targetILNS1_3genE10ELNS1_11target_archE1200ELNS1_3gpuE4ELNS1_3repE0EEENS1_30default_config_static_selectorELNS0_4arch9wavefront6targetE1EEEvSM_.uses_flat_scratch, 0
	.set _ZN7rocprim17ROCPRIM_400000_NS6detail17trampoline_kernelINS0_14default_configENS1_37merge_sort_block_sort_config_selectorIlNS0_10empty_typeEEEZNS1_21merge_sort_block_sortIS3_PlS8_PS5_S9_ZN2at6native12_GLOBAL__N_124unique_dim_cuda_templateIjEESt5tupleIJNSA_6TensorESF_SF_EERKSF_lbbbEUlllE_EE10hipError_tT0_T1_T2_T3_mRjT4_P12ihipStream_tbNS1_7vsmem_tEEUlT_E_NS1_11comp_targetILNS1_3genE10ELNS1_11target_archE1200ELNS1_3gpuE4ELNS1_3repE0EEENS1_30default_config_static_selectorELNS0_4arch9wavefront6targetE1EEEvSM_.has_dyn_sized_stack, 0
	.set _ZN7rocprim17ROCPRIM_400000_NS6detail17trampoline_kernelINS0_14default_configENS1_37merge_sort_block_sort_config_selectorIlNS0_10empty_typeEEEZNS1_21merge_sort_block_sortIS3_PlS8_PS5_S9_ZN2at6native12_GLOBAL__N_124unique_dim_cuda_templateIjEESt5tupleIJNSA_6TensorESF_SF_EERKSF_lbbbEUlllE_EE10hipError_tT0_T1_T2_T3_mRjT4_P12ihipStream_tbNS1_7vsmem_tEEUlT_E_NS1_11comp_targetILNS1_3genE10ELNS1_11target_archE1200ELNS1_3gpuE4ELNS1_3repE0EEENS1_30default_config_static_selectorELNS0_4arch9wavefront6targetE1EEEvSM_.has_recursion, 0
	.set _ZN7rocprim17ROCPRIM_400000_NS6detail17trampoline_kernelINS0_14default_configENS1_37merge_sort_block_sort_config_selectorIlNS0_10empty_typeEEEZNS1_21merge_sort_block_sortIS3_PlS8_PS5_S9_ZN2at6native12_GLOBAL__N_124unique_dim_cuda_templateIjEESt5tupleIJNSA_6TensorESF_SF_EERKSF_lbbbEUlllE_EE10hipError_tT0_T1_T2_T3_mRjT4_P12ihipStream_tbNS1_7vsmem_tEEUlT_E_NS1_11comp_targetILNS1_3genE10ELNS1_11target_archE1200ELNS1_3gpuE4ELNS1_3repE0EEENS1_30default_config_static_selectorELNS0_4arch9wavefront6targetE1EEEvSM_.has_indirect_call, 0
	.section	.AMDGPU.csdata,"",@progbits
; Kernel info:
; codeLenInByte = 0
; TotalNumSgprs: 6
; NumVgprs: 0
; NumAgprs: 0
; TotalNumVgprs: 0
; ScratchSize: 0
; MemoryBound: 0
; FloatMode: 240
; IeeeMode: 1
; LDSByteSize: 0 bytes/workgroup (compile time only)
; SGPRBlocks: 0
; VGPRBlocks: 0
; NumSGPRsForWavesPerEU: 6
; NumVGPRsForWavesPerEU: 1
; AccumOffset: 4
; Occupancy: 8
; WaveLimiterHint : 0
; COMPUTE_PGM_RSRC2:SCRATCH_EN: 0
; COMPUTE_PGM_RSRC2:USER_SGPR: 2
; COMPUTE_PGM_RSRC2:TRAP_HANDLER: 0
; COMPUTE_PGM_RSRC2:TGID_X_EN: 1
; COMPUTE_PGM_RSRC2:TGID_Y_EN: 0
; COMPUTE_PGM_RSRC2:TGID_Z_EN: 0
; COMPUTE_PGM_RSRC2:TIDIG_COMP_CNT: 0
; COMPUTE_PGM_RSRC3_GFX90A:ACCUM_OFFSET: 0
; COMPUTE_PGM_RSRC3_GFX90A:TG_SPLIT: 0
	.section	.text._ZN7rocprim17ROCPRIM_400000_NS6detail17trampoline_kernelINS0_14default_configENS1_37merge_sort_block_sort_config_selectorIlNS0_10empty_typeEEEZNS1_21merge_sort_block_sortIS3_PlS8_PS5_S9_ZN2at6native12_GLOBAL__N_124unique_dim_cuda_templateIjEESt5tupleIJNSA_6TensorESF_SF_EERKSF_lbbbEUlllE_EE10hipError_tT0_T1_T2_T3_mRjT4_P12ihipStream_tbNS1_7vsmem_tEEUlT_E_NS1_11comp_targetILNS1_3genE9ELNS1_11target_archE1100ELNS1_3gpuE3ELNS1_3repE0EEENS1_30default_config_static_selectorELNS0_4arch9wavefront6targetE1EEEvSM_,"axG",@progbits,_ZN7rocprim17ROCPRIM_400000_NS6detail17trampoline_kernelINS0_14default_configENS1_37merge_sort_block_sort_config_selectorIlNS0_10empty_typeEEEZNS1_21merge_sort_block_sortIS3_PlS8_PS5_S9_ZN2at6native12_GLOBAL__N_124unique_dim_cuda_templateIjEESt5tupleIJNSA_6TensorESF_SF_EERKSF_lbbbEUlllE_EE10hipError_tT0_T1_T2_T3_mRjT4_P12ihipStream_tbNS1_7vsmem_tEEUlT_E_NS1_11comp_targetILNS1_3genE9ELNS1_11target_archE1100ELNS1_3gpuE3ELNS1_3repE0EEENS1_30default_config_static_selectorELNS0_4arch9wavefront6targetE1EEEvSM_,comdat
	.globl	_ZN7rocprim17ROCPRIM_400000_NS6detail17trampoline_kernelINS0_14default_configENS1_37merge_sort_block_sort_config_selectorIlNS0_10empty_typeEEEZNS1_21merge_sort_block_sortIS3_PlS8_PS5_S9_ZN2at6native12_GLOBAL__N_124unique_dim_cuda_templateIjEESt5tupleIJNSA_6TensorESF_SF_EERKSF_lbbbEUlllE_EE10hipError_tT0_T1_T2_T3_mRjT4_P12ihipStream_tbNS1_7vsmem_tEEUlT_E_NS1_11comp_targetILNS1_3genE9ELNS1_11target_archE1100ELNS1_3gpuE3ELNS1_3repE0EEENS1_30default_config_static_selectorELNS0_4arch9wavefront6targetE1EEEvSM_ ; -- Begin function _ZN7rocprim17ROCPRIM_400000_NS6detail17trampoline_kernelINS0_14default_configENS1_37merge_sort_block_sort_config_selectorIlNS0_10empty_typeEEEZNS1_21merge_sort_block_sortIS3_PlS8_PS5_S9_ZN2at6native12_GLOBAL__N_124unique_dim_cuda_templateIjEESt5tupleIJNSA_6TensorESF_SF_EERKSF_lbbbEUlllE_EE10hipError_tT0_T1_T2_T3_mRjT4_P12ihipStream_tbNS1_7vsmem_tEEUlT_E_NS1_11comp_targetILNS1_3genE9ELNS1_11target_archE1100ELNS1_3gpuE3ELNS1_3repE0EEENS1_30default_config_static_selectorELNS0_4arch9wavefront6targetE1EEEvSM_
	.p2align	8
	.type	_ZN7rocprim17ROCPRIM_400000_NS6detail17trampoline_kernelINS0_14default_configENS1_37merge_sort_block_sort_config_selectorIlNS0_10empty_typeEEEZNS1_21merge_sort_block_sortIS3_PlS8_PS5_S9_ZN2at6native12_GLOBAL__N_124unique_dim_cuda_templateIjEESt5tupleIJNSA_6TensorESF_SF_EERKSF_lbbbEUlllE_EE10hipError_tT0_T1_T2_T3_mRjT4_P12ihipStream_tbNS1_7vsmem_tEEUlT_E_NS1_11comp_targetILNS1_3genE9ELNS1_11target_archE1100ELNS1_3gpuE3ELNS1_3repE0EEENS1_30default_config_static_selectorELNS0_4arch9wavefront6targetE1EEEvSM_,@function
_ZN7rocprim17ROCPRIM_400000_NS6detail17trampoline_kernelINS0_14default_configENS1_37merge_sort_block_sort_config_selectorIlNS0_10empty_typeEEEZNS1_21merge_sort_block_sortIS3_PlS8_PS5_S9_ZN2at6native12_GLOBAL__N_124unique_dim_cuda_templateIjEESt5tupleIJNSA_6TensorESF_SF_EERKSF_lbbbEUlllE_EE10hipError_tT0_T1_T2_T3_mRjT4_P12ihipStream_tbNS1_7vsmem_tEEUlT_E_NS1_11comp_targetILNS1_3genE9ELNS1_11target_archE1100ELNS1_3gpuE3ELNS1_3repE0EEENS1_30default_config_static_selectorELNS0_4arch9wavefront6targetE1EEEvSM_: ; @_ZN7rocprim17ROCPRIM_400000_NS6detail17trampoline_kernelINS0_14default_configENS1_37merge_sort_block_sort_config_selectorIlNS0_10empty_typeEEEZNS1_21merge_sort_block_sortIS3_PlS8_PS5_S9_ZN2at6native12_GLOBAL__N_124unique_dim_cuda_templateIjEESt5tupleIJNSA_6TensorESF_SF_EERKSF_lbbbEUlllE_EE10hipError_tT0_T1_T2_T3_mRjT4_P12ihipStream_tbNS1_7vsmem_tEEUlT_E_NS1_11comp_targetILNS1_3genE9ELNS1_11target_archE1100ELNS1_3gpuE3ELNS1_3repE0EEENS1_30default_config_static_selectorELNS0_4arch9wavefront6targetE1EEEvSM_
; %bb.0:
	.section	.rodata,"a",@progbits
	.p2align	6, 0x0
	.amdhsa_kernel _ZN7rocprim17ROCPRIM_400000_NS6detail17trampoline_kernelINS0_14default_configENS1_37merge_sort_block_sort_config_selectorIlNS0_10empty_typeEEEZNS1_21merge_sort_block_sortIS3_PlS8_PS5_S9_ZN2at6native12_GLOBAL__N_124unique_dim_cuda_templateIjEESt5tupleIJNSA_6TensorESF_SF_EERKSF_lbbbEUlllE_EE10hipError_tT0_T1_T2_T3_mRjT4_P12ihipStream_tbNS1_7vsmem_tEEUlT_E_NS1_11comp_targetILNS1_3genE9ELNS1_11target_archE1100ELNS1_3gpuE3ELNS1_3repE0EEENS1_30default_config_static_selectorELNS0_4arch9wavefront6targetE1EEEvSM_
		.amdhsa_group_segment_fixed_size 0
		.amdhsa_private_segment_fixed_size 0
		.amdhsa_kernarg_size 72
		.amdhsa_user_sgpr_count 2
		.amdhsa_user_sgpr_dispatch_ptr 0
		.amdhsa_user_sgpr_queue_ptr 0
		.amdhsa_user_sgpr_kernarg_segment_ptr 1
		.amdhsa_user_sgpr_dispatch_id 0
		.amdhsa_user_sgpr_kernarg_preload_length 0
		.amdhsa_user_sgpr_kernarg_preload_offset 0
		.amdhsa_user_sgpr_private_segment_size 0
		.amdhsa_uses_dynamic_stack 0
		.amdhsa_enable_private_segment 0
		.amdhsa_system_sgpr_workgroup_id_x 1
		.amdhsa_system_sgpr_workgroup_id_y 0
		.amdhsa_system_sgpr_workgroup_id_z 0
		.amdhsa_system_sgpr_workgroup_info 0
		.amdhsa_system_vgpr_workitem_id 0
		.amdhsa_next_free_vgpr 1
		.amdhsa_next_free_sgpr 0
		.amdhsa_accum_offset 4
		.amdhsa_reserve_vcc 0
		.amdhsa_float_round_mode_32 0
		.amdhsa_float_round_mode_16_64 0
		.amdhsa_float_denorm_mode_32 3
		.amdhsa_float_denorm_mode_16_64 3
		.amdhsa_dx10_clamp 1
		.amdhsa_ieee_mode 1
		.amdhsa_fp16_overflow 0
		.amdhsa_tg_split 0
		.amdhsa_exception_fp_ieee_invalid_op 0
		.amdhsa_exception_fp_denorm_src 0
		.amdhsa_exception_fp_ieee_div_zero 0
		.amdhsa_exception_fp_ieee_overflow 0
		.amdhsa_exception_fp_ieee_underflow 0
		.amdhsa_exception_fp_ieee_inexact 0
		.amdhsa_exception_int_div_zero 0
	.end_amdhsa_kernel
	.section	.text._ZN7rocprim17ROCPRIM_400000_NS6detail17trampoline_kernelINS0_14default_configENS1_37merge_sort_block_sort_config_selectorIlNS0_10empty_typeEEEZNS1_21merge_sort_block_sortIS3_PlS8_PS5_S9_ZN2at6native12_GLOBAL__N_124unique_dim_cuda_templateIjEESt5tupleIJNSA_6TensorESF_SF_EERKSF_lbbbEUlllE_EE10hipError_tT0_T1_T2_T3_mRjT4_P12ihipStream_tbNS1_7vsmem_tEEUlT_E_NS1_11comp_targetILNS1_3genE9ELNS1_11target_archE1100ELNS1_3gpuE3ELNS1_3repE0EEENS1_30default_config_static_selectorELNS0_4arch9wavefront6targetE1EEEvSM_,"axG",@progbits,_ZN7rocprim17ROCPRIM_400000_NS6detail17trampoline_kernelINS0_14default_configENS1_37merge_sort_block_sort_config_selectorIlNS0_10empty_typeEEEZNS1_21merge_sort_block_sortIS3_PlS8_PS5_S9_ZN2at6native12_GLOBAL__N_124unique_dim_cuda_templateIjEESt5tupleIJNSA_6TensorESF_SF_EERKSF_lbbbEUlllE_EE10hipError_tT0_T1_T2_T3_mRjT4_P12ihipStream_tbNS1_7vsmem_tEEUlT_E_NS1_11comp_targetILNS1_3genE9ELNS1_11target_archE1100ELNS1_3gpuE3ELNS1_3repE0EEENS1_30default_config_static_selectorELNS0_4arch9wavefront6targetE1EEEvSM_,comdat
.Lfunc_end1490:
	.size	_ZN7rocprim17ROCPRIM_400000_NS6detail17trampoline_kernelINS0_14default_configENS1_37merge_sort_block_sort_config_selectorIlNS0_10empty_typeEEEZNS1_21merge_sort_block_sortIS3_PlS8_PS5_S9_ZN2at6native12_GLOBAL__N_124unique_dim_cuda_templateIjEESt5tupleIJNSA_6TensorESF_SF_EERKSF_lbbbEUlllE_EE10hipError_tT0_T1_T2_T3_mRjT4_P12ihipStream_tbNS1_7vsmem_tEEUlT_E_NS1_11comp_targetILNS1_3genE9ELNS1_11target_archE1100ELNS1_3gpuE3ELNS1_3repE0EEENS1_30default_config_static_selectorELNS0_4arch9wavefront6targetE1EEEvSM_, .Lfunc_end1490-_ZN7rocprim17ROCPRIM_400000_NS6detail17trampoline_kernelINS0_14default_configENS1_37merge_sort_block_sort_config_selectorIlNS0_10empty_typeEEEZNS1_21merge_sort_block_sortIS3_PlS8_PS5_S9_ZN2at6native12_GLOBAL__N_124unique_dim_cuda_templateIjEESt5tupleIJNSA_6TensorESF_SF_EERKSF_lbbbEUlllE_EE10hipError_tT0_T1_T2_T3_mRjT4_P12ihipStream_tbNS1_7vsmem_tEEUlT_E_NS1_11comp_targetILNS1_3genE9ELNS1_11target_archE1100ELNS1_3gpuE3ELNS1_3repE0EEENS1_30default_config_static_selectorELNS0_4arch9wavefront6targetE1EEEvSM_
                                        ; -- End function
	.set _ZN7rocprim17ROCPRIM_400000_NS6detail17trampoline_kernelINS0_14default_configENS1_37merge_sort_block_sort_config_selectorIlNS0_10empty_typeEEEZNS1_21merge_sort_block_sortIS3_PlS8_PS5_S9_ZN2at6native12_GLOBAL__N_124unique_dim_cuda_templateIjEESt5tupleIJNSA_6TensorESF_SF_EERKSF_lbbbEUlllE_EE10hipError_tT0_T1_T2_T3_mRjT4_P12ihipStream_tbNS1_7vsmem_tEEUlT_E_NS1_11comp_targetILNS1_3genE9ELNS1_11target_archE1100ELNS1_3gpuE3ELNS1_3repE0EEENS1_30default_config_static_selectorELNS0_4arch9wavefront6targetE1EEEvSM_.num_vgpr, 0
	.set _ZN7rocprim17ROCPRIM_400000_NS6detail17trampoline_kernelINS0_14default_configENS1_37merge_sort_block_sort_config_selectorIlNS0_10empty_typeEEEZNS1_21merge_sort_block_sortIS3_PlS8_PS5_S9_ZN2at6native12_GLOBAL__N_124unique_dim_cuda_templateIjEESt5tupleIJNSA_6TensorESF_SF_EERKSF_lbbbEUlllE_EE10hipError_tT0_T1_T2_T3_mRjT4_P12ihipStream_tbNS1_7vsmem_tEEUlT_E_NS1_11comp_targetILNS1_3genE9ELNS1_11target_archE1100ELNS1_3gpuE3ELNS1_3repE0EEENS1_30default_config_static_selectorELNS0_4arch9wavefront6targetE1EEEvSM_.num_agpr, 0
	.set _ZN7rocprim17ROCPRIM_400000_NS6detail17trampoline_kernelINS0_14default_configENS1_37merge_sort_block_sort_config_selectorIlNS0_10empty_typeEEEZNS1_21merge_sort_block_sortIS3_PlS8_PS5_S9_ZN2at6native12_GLOBAL__N_124unique_dim_cuda_templateIjEESt5tupleIJNSA_6TensorESF_SF_EERKSF_lbbbEUlllE_EE10hipError_tT0_T1_T2_T3_mRjT4_P12ihipStream_tbNS1_7vsmem_tEEUlT_E_NS1_11comp_targetILNS1_3genE9ELNS1_11target_archE1100ELNS1_3gpuE3ELNS1_3repE0EEENS1_30default_config_static_selectorELNS0_4arch9wavefront6targetE1EEEvSM_.numbered_sgpr, 0
	.set _ZN7rocprim17ROCPRIM_400000_NS6detail17trampoline_kernelINS0_14default_configENS1_37merge_sort_block_sort_config_selectorIlNS0_10empty_typeEEEZNS1_21merge_sort_block_sortIS3_PlS8_PS5_S9_ZN2at6native12_GLOBAL__N_124unique_dim_cuda_templateIjEESt5tupleIJNSA_6TensorESF_SF_EERKSF_lbbbEUlllE_EE10hipError_tT0_T1_T2_T3_mRjT4_P12ihipStream_tbNS1_7vsmem_tEEUlT_E_NS1_11comp_targetILNS1_3genE9ELNS1_11target_archE1100ELNS1_3gpuE3ELNS1_3repE0EEENS1_30default_config_static_selectorELNS0_4arch9wavefront6targetE1EEEvSM_.num_named_barrier, 0
	.set _ZN7rocprim17ROCPRIM_400000_NS6detail17trampoline_kernelINS0_14default_configENS1_37merge_sort_block_sort_config_selectorIlNS0_10empty_typeEEEZNS1_21merge_sort_block_sortIS3_PlS8_PS5_S9_ZN2at6native12_GLOBAL__N_124unique_dim_cuda_templateIjEESt5tupleIJNSA_6TensorESF_SF_EERKSF_lbbbEUlllE_EE10hipError_tT0_T1_T2_T3_mRjT4_P12ihipStream_tbNS1_7vsmem_tEEUlT_E_NS1_11comp_targetILNS1_3genE9ELNS1_11target_archE1100ELNS1_3gpuE3ELNS1_3repE0EEENS1_30default_config_static_selectorELNS0_4arch9wavefront6targetE1EEEvSM_.private_seg_size, 0
	.set _ZN7rocprim17ROCPRIM_400000_NS6detail17trampoline_kernelINS0_14default_configENS1_37merge_sort_block_sort_config_selectorIlNS0_10empty_typeEEEZNS1_21merge_sort_block_sortIS3_PlS8_PS5_S9_ZN2at6native12_GLOBAL__N_124unique_dim_cuda_templateIjEESt5tupleIJNSA_6TensorESF_SF_EERKSF_lbbbEUlllE_EE10hipError_tT0_T1_T2_T3_mRjT4_P12ihipStream_tbNS1_7vsmem_tEEUlT_E_NS1_11comp_targetILNS1_3genE9ELNS1_11target_archE1100ELNS1_3gpuE3ELNS1_3repE0EEENS1_30default_config_static_selectorELNS0_4arch9wavefront6targetE1EEEvSM_.uses_vcc, 0
	.set _ZN7rocprim17ROCPRIM_400000_NS6detail17trampoline_kernelINS0_14default_configENS1_37merge_sort_block_sort_config_selectorIlNS0_10empty_typeEEEZNS1_21merge_sort_block_sortIS3_PlS8_PS5_S9_ZN2at6native12_GLOBAL__N_124unique_dim_cuda_templateIjEESt5tupleIJNSA_6TensorESF_SF_EERKSF_lbbbEUlllE_EE10hipError_tT0_T1_T2_T3_mRjT4_P12ihipStream_tbNS1_7vsmem_tEEUlT_E_NS1_11comp_targetILNS1_3genE9ELNS1_11target_archE1100ELNS1_3gpuE3ELNS1_3repE0EEENS1_30default_config_static_selectorELNS0_4arch9wavefront6targetE1EEEvSM_.uses_flat_scratch, 0
	.set _ZN7rocprim17ROCPRIM_400000_NS6detail17trampoline_kernelINS0_14default_configENS1_37merge_sort_block_sort_config_selectorIlNS0_10empty_typeEEEZNS1_21merge_sort_block_sortIS3_PlS8_PS5_S9_ZN2at6native12_GLOBAL__N_124unique_dim_cuda_templateIjEESt5tupleIJNSA_6TensorESF_SF_EERKSF_lbbbEUlllE_EE10hipError_tT0_T1_T2_T3_mRjT4_P12ihipStream_tbNS1_7vsmem_tEEUlT_E_NS1_11comp_targetILNS1_3genE9ELNS1_11target_archE1100ELNS1_3gpuE3ELNS1_3repE0EEENS1_30default_config_static_selectorELNS0_4arch9wavefront6targetE1EEEvSM_.has_dyn_sized_stack, 0
	.set _ZN7rocprim17ROCPRIM_400000_NS6detail17trampoline_kernelINS0_14default_configENS1_37merge_sort_block_sort_config_selectorIlNS0_10empty_typeEEEZNS1_21merge_sort_block_sortIS3_PlS8_PS5_S9_ZN2at6native12_GLOBAL__N_124unique_dim_cuda_templateIjEESt5tupleIJNSA_6TensorESF_SF_EERKSF_lbbbEUlllE_EE10hipError_tT0_T1_T2_T3_mRjT4_P12ihipStream_tbNS1_7vsmem_tEEUlT_E_NS1_11comp_targetILNS1_3genE9ELNS1_11target_archE1100ELNS1_3gpuE3ELNS1_3repE0EEENS1_30default_config_static_selectorELNS0_4arch9wavefront6targetE1EEEvSM_.has_recursion, 0
	.set _ZN7rocprim17ROCPRIM_400000_NS6detail17trampoline_kernelINS0_14default_configENS1_37merge_sort_block_sort_config_selectorIlNS0_10empty_typeEEEZNS1_21merge_sort_block_sortIS3_PlS8_PS5_S9_ZN2at6native12_GLOBAL__N_124unique_dim_cuda_templateIjEESt5tupleIJNSA_6TensorESF_SF_EERKSF_lbbbEUlllE_EE10hipError_tT0_T1_T2_T3_mRjT4_P12ihipStream_tbNS1_7vsmem_tEEUlT_E_NS1_11comp_targetILNS1_3genE9ELNS1_11target_archE1100ELNS1_3gpuE3ELNS1_3repE0EEENS1_30default_config_static_selectorELNS0_4arch9wavefront6targetE1EEEvSM_.has_indirect_call, 0
	.section	.AMDGPU.csdata,"",@progbits
; Kernel info:
; codeLenInByte = 0
; TotalNumSgprs: 6
; NumVgprs: 0
; NumAgprs: 0
; TotalNumVgprs: 0
; ScratchSize: 0
; MemoryBound: 0
; FloatMode: 240
; IeeeMode: 1
; LDSByteSize: 0 bytes/workgroup (compile time only)
; SGPRBlocks: 0
; VGPRBlocks: 0
; NumSGPRsForWavesPerEU: 6
; NumVGPRsForWavesPerEU: 1
; AccumOffset: 4
; Occupancy: 8
; WaveLimiterHint : 0
; COMPUTE_PGM_RSRC2:SCRATCH_EN: 0
; COMPUTE_PGM_RSRC2:USER_SGPR: 2
; COMPUTE_PGM_RSRC2:TRAP_HANDLER: 0
; COMPUTE_PGM_RSRC2:TGID_X_EN: 1
; COMPUTE_PGM_RSRC2:TGID_Y_EN: 0
; COMPUTE_PGM_RSRC2:TGID_Z_EN: 0
; COMPUTE_PGM_RSRC2:TIDIG_COMP_CNT: 0
; COMPUTE_PGM_RSRC3_GFX90A:ACCUM_OFFSET: 0
; COMPUTE_PGM_RSRC3_GFX90A:TG_SPLIT: 0
	.section	.text._ZN7rocprim17ROCPRIM_400000_NS6detail17trampoline_kernelINS0_14default_configENS1_37merge_sort_block_sort_config_selectorIlNS0_10empty_typeEEEZNS1_21merge_sort_block_sortIS3_PlS8_PS5_S9_ZN2at6native12_GLOBAL__N_124unique_dim_cuda_templateIjEESt5tupleIJNSA_6TensorESF_SF_EERKSF_lbbbEUlllE_EE10hipError_tT0_T1_T2_T3_mRjT4_P12ihipStream_tbNS1_7vsmem_tEEUlT_E_NS1_11comp_targetILNS1_3genE8ELNS1_11target_archE1030ELNS1_3gpuE2ELNS1_3repE0EEENS1_30default_config_static_selectorELNS0_4arch9wavefront6targetE1EEEvSM_,"axG",@progbits,_ZN7rocprim17ROCPRIM_400000_NS6detail17trampoline_kernelINS0_14default_configENS1_37merge_sort_block_sort_config_selectorIlNS0_10empty_typeEEEZNS1_21merge_sort_block_sortIS3_PlS8_PS5_S9_ZN2at6native12_GLOBAL__N_124unique_dim_cuda_templateIjEESt5tupleIJNSA_6TensorESF_SF_EERKSF_lbbbEUlllE_EE10hipError_tT0_T1_T2_T3_mRjT4_P12ihipStream_tbNS1_7vsmem_tEEUlT_E_NS1_11comp_targetILNS1_3genE8ELNS1_11target_archE1030ELNS1_3gpuE2ELNS1_3repE0EEENS1_30default_config_static_selectorELNS0_4arch9wavefront6targetE1EEEvSM_,comdat
	.globl	_ZN7rocprim17ROCPRIM_400000_NS6detail17trampoline_kernelINS0_14default_configENS1_37merge_sort_block_sort_config_selectorIlNS0_10empty_typeEEEZNS1_21merge_sort_block_sortIS3_PlS8_PS5_S9_ZN2at6native12_GLOBAL__N_124unique_dim_cuda_templateIjEESt5tupleIJNSA_6TensorESF_SF_EERKSF_lbbbEUlllE_EE10hipError_tT0_T1_T2_T3_mRjT4_P12ihipStream_tbNS1_7vsmem_tEEUlT_E_NS1_11comp_targetILNS1_3genE8ELNS1_11target_archE1030ELNS1_3gpuE2ELNS1_3repE0EEENS1_30default_config_static_selectorELNS0_4arch9wavefront6targetE1EEEvSM_ ; -- Begin function _ZN7rocprim17ROCPRIM_400000_NS6detail17trampoline_kernelINS0_14default_configENS1_37merge_sort_block_sort_config_selectorIlNS0_10empty_typeEEEZNS1_21merge_sort_block_sortIS3_PlS8_PS5_S9_ZN2at6native12_GLOBAL__N_124unique_dim_cuda_templateIjEESt5tupleIJNSA_6TensorESF_SF_EERKSF_lbbbEUlllE_EE10hipError_tT0_T1_T2_T3_mRjT4_P12ihipStream_tbNS1_7vsmem_tEEUlT_E_NS1_11comp_targetILNS1_3genE8ELNS1_11target_archE1030ELNS1_3gpuE2ELNS1_3repE0EEENS1_30default_config_static_selectorELNS0_4arch9wavefront6targetE1EEEvSM_
	.p2align	8
	.type	_ZN7rocprim17ROCPRIM_400000_NS6detail17trampoline_kernelINS0_14default_configENS1_37merge_sort_block_sort_config_selectorIlNS0_10empty_typeEEEZNS1_21merge_sort_block_sortIS3_PlS8_PS5_S9_ZN2at6native12_GLOBAL__N_124unique_dim_cuda_templateIjEESt5tupleIJNSA_6TensorESF_SF_EERKSF_lbbbEUlllE_EE10hipError_tT0_T1_T2_T3_mRjT4_P12ihipStream_tbNS1_7vsmem_tEEUlT_E_NS1_11comp_targetILNS1_3genE8ELNS1_11target_archE1030ELNS1_3gpuE2ELNS1_3repE0EEENS1_30default_config_static_selectorELNS0_4arch9wavefront6targetE1EEEvSM_,@function
_ZN7rocprim17ROCPRIM_400000_NS6detail17trampoline_kernelINS0_14default_configENS1_37merge_sort_block_sort_config_selectorIlNS0_10empty_typeEEEZNS1_21merge_sort_block_sortIS3_PlS8_PS5_S9_ZN2at6native12_GLOBAL__N_124unique_dim_cuda_templateIjEESt5tupleIJNSA_6TensorESF_SF_EERKSF_lbbbEUlllE_EE10hipError_tT0_T1_T2_T3_mRjT4_P12ihipStream_tbNS1_7vsmem_tEEUlT_E_NS1_11comp_targetILNS1_3genE8ELNS1_11target_archE1030ELNS1_3gpuE2ELNS1_3repE0EEENS1_30default_config_static_selectorELNS0_4arch9wavefront6targetE1EEEvSM_: ; @_ZN7rocprim17ROCPRIM_400000_NS6detail17trampoline_kernelINS0_14default_configENS1_37merge_sort_block_sort_config_selectorIlNS0_10empty_typeEEEZNS1_21merge_sort_block_sortIS3_PlS8_PS5_S9_ZN2at6native12_GLOBAL__N_124unique_dim_cuda_templateIjEESt5tupleIJNSA_6TensorESF_SF_EERKSF_lbbbEUlllE_EE10hipError_tT0_T1_T2_T3_mRjT4_P12ihipStream_tbNS1_7vsmem_tEEUlT_E_NS1_11comp_targetILNS1_3genE8ELNS1_11target_archE1030ELNS1_3gpuE2ELNS1_3repE0EEENS1_30default_config_static_selectorELNS0_4arch9wavefront6targetE1EEEvSM_
; %bb.0:
	.section	.rodata,"a",@progbits
	.p2align	6, 0x0
	.amdhsa_kernel _ZN7rocprim17ROCPRIM_400000_NS6detail17trampoline_kernelINS0_14default_configENS1_37merge_sort_block_sort_config_selectorIlNS0_10empty_typeEEEZNS1_21merge_sort_block_sortIS3_PlS8_PS5_S9_ZN2at6native12_GLOBAL__N_124unique_dim_cuda_templateIjEESt5tupleIJNSA_6TensorESF_SF_EERKSF_lbbbEUlllE_EE10hipError_tT0_T1_T2_T3_mRjT4_P12ihipStream_tbNS1_7vsmem_tEEUlT_E_NS1_11comp_targetILNS1_3genE8ELNS1_11target_archE1030ELNS1_3gpuE2ELNS1_3repE0EEENS1_30default_config_static_selectorELNS0_4arch9wavefront6targetE1EEEvSM_
		.amdhsa_group_segment_fixed_size 0
		.amdhsa_private_segment_fixed_size 0
		.amdhsa_kernarg_size 72
		.amdhsa_user_sgpr_count 2
		.amdhsa_user_sgpr_dispatch_ptr 0
		.amdhsa_user_sgpr_queue_ptr 0
		.amdhsa_user_sgpr_kernarg_segment_ptr 1
		.amdhsa_user_sgpr_dispatch_id 0
		.amdhsa_user_sgpr_kernarg_preload_length 0
		.amdhsa_user_sgpr_kernarg_preload_offset 0
		.amdhsa_user_sgpr_private_segment_size 0
		.amdhsa_uses_dynamic_stack 0
		.amdhsa_enable_private_segment 0
		.amdhsa_system_sgpr_workgroup_id_x 1
		.amdhsa_system_sgpr_workgroup_id_y 0
		.amdhsa_system_sgpr_workgroup_id_z 0
		.amdhsa_system_sgpr_workgroup_info 0
		.amdhsa_system_vgpr_workitem_id 0
		.amdhsa_next_free_vgpr 1
		.amdhsa_next_free_sgpr 0
		.amdhsa_accum_offset 4
		.amdhsa_reserve_vcc 0
		.amdhsa_float_round_mode_32 0
		.amdhsa_float_round_mode_16_64 0
		.amdhsa_float_denorm_mode_32 3
		.amdhsa_float_denorm_mode_16_64 3
		.amdhsa_dx10_clamp 1
		.amdhsa_ieee_mode 1
		.amdhsa_fp16_overflow 0
		.amdhsa_tg_split 0
		.amdhsa_exception_fp_ieee_invalid_op 0
		.amdhsa_exception_fp_denorm_src 0
		.amdhsa_exception_fp_ieee_div_zero 0
		.amdhsa_exception_fp_ieee_overflow 0
		.amdhsa_exception_fp_ieee_underflow 0
		.amdhsa_exception_fp_ieee_inexact 0
		.amdhsa_exception_int_div_zero 0
	.end_amdhsa_kernel
	.section	.text._ZN7rocprim17ROCPRIM_400000_NS6detail17trampoline_kernelINS0_14default_configENS1_37merge_sort_block_sort_config_selectorIlNS0_10empty_typeEEEZNS1_21merge_sort_block_sortIS3_PlS8_PS5_S9_ZN2at6native12_GLOBAL__N_124unique_dim_cuda_templateIjEESt5tupleIJNSA_6TensorESF_SF_EERKSF_lbbbEUlllE_EE10hipError_tT0_T1_T2_T3_mRjT4_P12ihipStream_tbNS1_7vsmem_tEEUlT_E_NS1_11comp_targetILNS1_3genE8ELNS1_11target_archE1030ELNS1_3gpuE2ELNS1_3repE0EEENS1_30default_config_static_selectorELNS0_4arch9wavefront6targetE1EEEvSM_,"axG",@progbits,_ZN7rocprim17ROCPRIM_400000_NS6detail17trampoline_kernelINS0_14default_configENS1_37merge_sort_block_sort_config_selectorIlNS0_10empty_typeEEEZNS1_21merge_sort_block_sortIS3_PlS8_PS5_S9_ZN2at6native12_GLOBAL__N_124unique_dim_cuda_templateIjEESt5tupleIJNSA_6TensorESF_SF_EERKSF_lbbbEUlllE_EE10hipError_tT0_T1_T2_T3_mRjT4_P12ihipStream_tbNS1_7vsmem_tEEUlT_E_NS1_11comp_targetILNS1_3genE8ELNS1_11target_archE1030ELNS1_3gpuE2ELNS1_3repE0EEENS1_30default_config_static_selectorELNS0_4arch9wavefront6targetE1EEEvSM_,comdat
.Lfunc_end1491:
	.size	_ZN7rocprim17ROCPRIM_400000_NS6detail17trampoline_kernelINS0_14default_configENS1_37merge_sort_block_sort_config_selectorIlNS0_10empty_typeEEEZNS1_21merge_sort_block_sortIS3_PlS8_PS5_S9_ZN2at6native12_GLOBAL__N_124unique_dim_cuda_templateIjEESt5tupleIJNSA_6TensorESF_SF_EERKSF_lbbbEUlllE_EE10hipError_tT0_T1_T2_T3_mRjT4_P12ihipStream_tbNS1_7vsmem_tEEUlT_E_NS1_11comp_targetILNS1_3genE8ELNS1_11target_archE1030ELNS1_3gpuE2ELNS1_3repE0EEENS1_30default_config_static_selectorELNS0_4arch9wavefront6targetE1EEEvSM_, .Lfunc_end1491-_ZN7rocprim17ROCPRIM_400000_NS6detail17trampoline_kernelINS0_14default_configENS1_37merge_sort_block_sort_config_selectorIlNS0_10empty_typeEEEZNS1_21merge_sort_block_sortIS3_PlS8_PS5_S9_ZN2at6native12_GLOBAL__N_124unique_dim_cuda_templateIjEESt5tupleIJNSA_6TensorESF_SF_EERKSF_lbbbEUlllE_EE10hipError_tT0_T1_T2_T3_mRjT4_P12ihipStream_tbNS1_7vsmem_tEEUlT_E_NS1_11comp_targetILNS1_3genE8ELNS1_11target_archE1030ELNS1_3gpuE2ELNS1_3repE0EEENS1_30default_config_static_selectorELNS0_4arch9wavefront6targetE1EEEvSM_
                                        ; -- End function
	.set _ZN7rocprim17ROCPRIM_400000_NS6detail17trampoline_kernelINS0_14default_configENS1_37merge_sort_block_sort_config_selectorIlNS0_10empty_typeEEEZNS1_21merge_sort_block_sortIS3_PlS8_PS5_S9_ZN2at6native12_GLOBAL__N_124unique_dim_cuda_templateIjEESt5tupleIJNSA_6TensorESF_SF_EERKSF_lbbbEUlllE_EE10hipError_tT0_T1_T2_T3_mRjT4_P12ihipStream_tbNS1_7vsmem_tEEUlT_E_NS1_11comp_targetILNS1_3genE8ELNS1_11target_archE1030ELNS1_3gpuE2ELNS1_3repE0EEENS1_30default_config_static_selectorELNS0_4arch9wavefront6targetE1EEEvSM_.num_vgpr, 0
	.set _ZN7rocprim17ROCPRIM_400000_NS6detail17trampoline_kernelINS0_14default_configENS1_37merge_sort_block_sort_config_selectorIlNS0_10empty_typeEEEZNS1_21merge_sort_block_sortIS3_PlS8_PS5_S9_ZN2at6native12_GLOBAL__N_124unique_dim_cuda_templateIjEESt5tupleIJNSA_6TensorESF_SF_EERKSF_lbbbEUlllE_EE10hipError_tT0_T1_T2_T3_mRjT4_P12ihipStream_tbNS1_7vsmem_tEEUlT_E_NS1_11comp_targetILNS1_3genE8ELNS1_11target_archE1030ELNS1_3gpuE2ELNS1_3repE0EEENS1_30default_config_static_selectorELNS0_4arch9wavefront6targetE1EEEvSM_.num_agpr, 0
	.set _ZN7rocprim17ROCPRIM_400000_NS6detail17trampoline_kernelINS0_14default_configENS1_37merge_sort_block_sort_config_selectorIlNS0_10empty_typeEEEZNS1_21merge_sort_block_sortIS3_PlS8_PS5_S9_ZN2at6native12_GLOBAL__N_124unique_dim_cuda_templateIjEESt5tupleIJNSA_6TensorESF_SF_EERKSF_lbbbEUlllE_EE10hipError_tT0_T1_T2_T3_mRjT4_P12ihipStream_tbNS1_7vsmem_tEEUlT_E_NS1_11comp_targetILNS1_3genE8ELNS1_11target_archE1030ELNS1_3gpuE2ELNS1_3repE0EEENS1_30default_config_static_selectorELNS0_4arch9wavefront6targetE1EEEvSM_.numbered_sgpr, 0
	.set _ZN7rocprim17ROCPRIM_400000_NS6detail17trampoline_kernelINS0_14default_configENS1_37merge_sort_block_sort_config_selectorIlNS0_10empty_typeEEEZNS1_21merge_sort_block_sortIS3_PlS8_PS5_S9_ZN2at6native12_GLOBAL__N_124unique_dim_cuda_templateIjEESt5tupleIJNSA_6TensorESF_SF_EERKSF_lbbbEUlllE_EE10hipError_tT0_T1_T2_T3_mRjT4_P12ihipStream_tbNS1_7vsmem_tEEUlT_E_NS1_11comp_targetILNS1_3genE8ELNS1_11target_archE1030ELNS1_3gpuE2ELNS1_3repE0EEENS1_30default_config_static_selectorELNS0_4arch9wavefront6targetE1EEEvSM_.num_named_barrier, 0
	.set _ZN7rocprim17ROCPRIM_400000_NS6detail17trampoline_kernelINS0_14default_configENS1_37merge_sort_block_sort_config_selectorIlNS0_10empty_typeEEEZNS1_21merge_sort_block_sortIS3_PlS8_PS5_S9_ZN2at6native12_GLOBAL__N_124unique_dim_cuda_templateIjEESt5tupleIJNSA_6TensorESF_SF_EERKSF_lbbbEUlllE_EE10hipError_tT0_T1_T2_T3_mRjT4_P12ihipStream_tbNS1_7vsmem_tEEUlT_E_NS1_11comp_targetILNS1_3genE8ELNS1_11target_archE1030ELNS1_3gpuE2ELNS1_3repE0EEENS1_30default_config_static_selectorELNS0_4arch9wavefront6targetE1EEEvSM_.private_seg_size, 0
	.set _ZN7rocprim17ROCPRIM_400000_NS6detail17trampoline_kernelINS0_14default_configENS1_37merge_sort_block_sort_config_selectorIlNS0_10empty_typeEEEZNS1_21merge_sort_block_sortIS3_PlS8_PS5_S9_ZN2at6native12_GLOBAL__N_124unique_dim_cuda_templateIjEESt5tupleIJNSA_6TensorESF_SF_EERKSF_lbbbEUlllE_EE10hipError_tT0_T1_T2_T3_mRjT4_P12ihipStream_tbNS1_7vsmem_tEEUlT_E_NS1_11comp_targetILNS1_3genE8ELNS1_11target_archE1030ELNS1_3gpuE2ELNS1_3repE0EEENS1_30default_config_static_selectorELNS0_4arch9wavefront6targetE1EEEvSM_.uses_vcc, 0
	.set _ZN7rocprim17ROCPRIM_400000_NS6detail17trampoline_kernelINS0_14default_configENS1_37merge_sort_block_sort_config_selectorIlNS0_10empty_typeEEEZNS1_21merge_sort_block_sortIS3_PlS8_PS5_S9_ZN2at6native12_GLOBAL__N_124unique_dim_cuda_templateIjEESt5tupleIJNSA_6TensorESF_SF_EERKSF_lbbbEUlllE_EE10hipError_tT0_T1_T2_T3_mRjT4_P12ihipStream_tbNS1_7vsmem_tEEUlT_E_NS1_11comp_targetILNS1_3genE8ELNS1_11target_archE1030ELNS1_3gpuE2ELNS1_3repE0EEENS1_30default_config_static_selectorELNS0_4arch9wavefront6targetE1EEEvSM_.uses_flat_scratch, 0
	.set _ZN7rocprim17ROCPRIM_400000_NS6detail17trampoline_kernelINS0_14default_configENS1_37merge_sort_block_sort_config_selectorIlNS0_10empty_typeEEEZNS1_21merge_sort_block_sortIS3_PlS8_PS5_S9_ZN2at6native12_GLOBAL__N_124unique_dim_cuda_templateIjEESt5tupleIJNSA_6TensorESF_SF_EERKSF_lbbbEUlllE_EE10hipError_tT0_T1_T2_T3_mRjT4_P12ihipStream_tbNS1_7vsmem_tEEUlT_E_NS1_11comp_targetILNS1_3genE8ELNS1_11target_archE1030ELNS1_3gpuE2ELNS1_3repE0EEENS1_30default_config_static_selectorELNS0_4arch9wavefront6targetE1EEEvSM_.has_dyn_sized_stack, 0
	.set _ZN7rocprim17ROCPRIM_400000_NS6detail17trampoline_kernelINS0_14default_configENS1_37merge_sort_block_sort_config_selectorIlNS0_10empty_typeEEEZNS1_21merge_sort_block_sortIS3_PlS8_PS5_S9_ZN2at6native12_GLOBAL__N_124unique_dim_cuda_templateIjEESt5tupleIJNSA_6TensorESF_SF_EERKSF_lbbbEUlllE_EE10hipError_tT0_T1_T2_T3_mRjT4_P12ihipStream_tbNS1_7vsmem_tEEUlT_E_NS1_11comp_targetILNS1_3genE8ELNS1_11target_archE1030ELNS1_3gpuE2ELNS1_3repE0EEENS1_30default_config_static_selectorELNS0_4arch9wavefront6targetE1EEEvSM_.has_recursion, 0
	.set _ZN7rocprim17ROCPRIM_400000_NS6detail17trampoline_kernelINS0_14default_configENS1_37merge_sort_block_sort_config_selectorIlNS0_10empty_typeEEEZNS1_21merge_sort_block_sortIS3_PlS8_PS5_S9_ZN2at6native12_GLOBAL__N_124unique_dim_cuda_templateIjEESt5tupleIJNSA_6TensorESF_SF_EERKSF_lbbbEUlllE_EE10hipError_tT0_T1_T2_T3_mRjT4_P12ihipStream_tbNS1_7vsmem_tEEUlT_E_NS1_11comp_targetILNS1_3genE8ELNS1_11target_archE1030ELNS1_3gpuE2ELNS1_3repE0EEENS1_30default_config_static_selectorELNS0_4arch9wavefront6targetE1EEEvSM_.has_indirect_call, 0
	.section	.AMDGPU.csdata,"",@progbits
; Kernel info:
; codeLenInByte = 0
; TotalNumSgprs: 6
; NumVgprs: 0
; NumAgprs: 0
; TotalNumVgprs: 0
; ScratchSize: 0
; MemoryBound: 0
; FloatMode: 240
; IeeeMode: 1
; LDSByteSize: 0 bytes/workgroup (compile time only)
; SGPRBlocks: 0
; VGPRBlocks: 0
; NumSGPRsForWavesPerEU: 6
; NumVGPRsForWavesPerEU: 1
; AccumOffset: 4
; Occupancy: 8
; WaveLimiterHint : 0
; COMPUTE_PGM_RSRC2:SCRATCH_EN: 0
; COMPUTE_PGM_RSRC2:USER_SGPR: 2
; COMPUTE_PGM_RSRC2:TRAP_HANDLER: 0
; COMPUTE_PGM_RSRC2:TGID_X_EN: 1
; COMPUTE_PGM_RSRC2:TGID_Y_EN: 0
; COMPUTE_PGM_RSRC2:TGID_Z_EN: 0
; COMPUTE_PGM_RSRC2:TIDIG_COMP_CNT: 0
; COMPUTE_PGM_RSRC3_GFX90A:ACCUM_OFFSET: 0
; COMPUTE_PGM_RSRC3_GFX90A:TG_SPLIT: 0
	.section	.text._ZN7rocprim17ROCPRIM_400000_NS6detail17trampoline_kernelINS0_14default_configENS1_38merge_sort_block_merge_config_selectorIlNS0_10empty_typeEEEZZNS1_27merge_sort_block_merge_implIS3_PlPS5_mZN2at6native12_GLOBAL__N_124unique_dim_cuda_templateIjEESt5tupleIJNSA_6TensorESF_SF_EERKSF_lbbbEUlllE_EE10hipError_tT0_T1_T2_jT3_P12ihipStream_tbPNSt15iterator_traitsISL_E10value_typeEPNSR_ISM_E10value_typeEPSN_NS1_7vsmem_tEENKUlT_SL_SM_SN_E_clIS8_S8_S9_S9_EESK_S10_SL_SM_SN_EUlS10_E_NS1_11comp_targetILNS1_3genE0ELNS1_11target_archE4294967295ELNS1_3gpuE0ELNS1_3repE0EEENS1_48merge_mergepath_partition_config_static_selectorELNS0_4arch9wavefront6targetE1EEEvSM_,"axG",@progbits,_ZN7rocprim17ROCPRIM_400000_NS6detail17trampoline_kernelINS0_14default_configENS1_38merge_sort_block_merge_config_selectorIlNS0_10empty_typeEEEZZNS1_27merge_sort_block_merge_implIS3_PlPS5_mZN2at6native12_GLOBAL__N_124unique_dim_cuda_templateIjEESt5tupleIJNSA_6TensorESF_SF_EERKSF_lbbbEUlllE_EE10hipError_tT0_T1_T2_jT3_P12ihipStream_tbPNSt15iterator_traitsISL_E10value_typeEPNSR_ISM_E10value_typeEPSN_NS1_7vsmem_tEENKUlT_SL_SM_SN_E_clIS8_S8_S9_S9_EESK_S10_SL_SM_SN_EUlS10_E_NS1_11comp_targetILNS1_3genE0ELNS1_11target_archE4294967295ELNS1_3gpuE0ELNS1_3repE0EEENS1_48merge_mergepath_partition_config_static_selectorELNS0_4arch9wavefront6targetE1EEEvSM_,comdat
	.globl	_ZN7rocprim17ROCPRIM_400000_NS6detail17trampoline_kernelINS0_14default_configENS1_38merge_sort_block_merge_config_selectorIlNS0_10empty_typeEEEZZNS1_27merge_sort_block_merge_implIS3_PlPS5_mZN2at6native12_GLOBAL__N_124unique_dim_cuda_templateIjEESt5tupleIJNSA_6TensorESF_SF_EERKSF_lbbbEUlllE_EE10hipError_tT0_T1_T2_jT3_P12ihipStream_tbPNSt15iterator_traitsISL_E10value_typeEPNSR_ISM_E10value_typeEPSN_NS1_7vsmem_tEENKUlT_SL_SM_SN_E_clIS8_S8_S9_S9_EESK_S10_SL_SM_SN_EUlS10_E_NS1_11comp_targetILNS1_3genE0ELNS1_11target_archE4294967295ELNS1_3gpuE0ELNS1_3repE0EEENS1_48merge_mergepath_partition_config_static_selectorELNS0_4arch9wavefront6targetE1EEEvSM_ ; -- Begin function _ZN7rocprim17ROCPRIM_400000_NS6detail17trampoline_kernelINS0_14default_configENS1_38merge_sort_block_merge_config_selectorIlNS0_10empty_typeEEEZZNS1_27merge_sort_block_merge_implIS3_PlPS5_mZN2at6native12_GLOBAL__N_124unique_dim_cuda_templateIjEESt5tupleIJNSA_6TensorESF_SF_EERKSF_lbbbEUlllE_EE10hipError_tT0_T1_T2_jT3_P12ihipStream_tbPNSt15iterator_traitsISL_E10value_typeEPNSR_ISM_E10value_typeEPSN_NS1_7vsmem_tEENKUlT_SL_SM_SN_E_clIS8_S8_S9_S9_EESK_S10_SL_SM_SN_EUlS10_E_NS1_11comp_targetILNS1_3genE0ELNS1_11target_archE4294967295ELNS1_3gpuE0ELNS1_3repE0EEENS1_48merge_mergepath_partition_config_static_selectorELNS0_4arch9wavefront6targetE1EEEvSM_
	.p2align	8
	.type	_ZN7rocprim17ROCPRIM_400000_NS6detail17trampoline_kernelINS0_14default_configENS1_38merge_sort_block_merge_config_selectorIlNS0_10empty_typeEEEZZNS1_27merge_sort_block_merge_implIS3_PlPS5_mZN2at6native12_GLOBAL__N_124unique_dim_cuda_templateIjEESt5tupleIJNSA_6TensorESF_SF_EERKSF_lbbbEUlllE_EE10hipError_tT0_T1_T2_jT3_P12ihipStream_tbPNSt15iterator_traitsISL_E10value_typeEPNSR_ISM_E10value_typeEPSN_NS1_7vsmem_tEENKUlT_SL_SM_SN_E_clIS8_S8_S9_S9_EESK_S10_SL_SM_SN_EUlS10_E_NS1_11comp_targetILNS1_3genE0ELNS1_11target_archE4294967295ELNS1_3gpuE0ELNS1_3repE0EEENS1_48merge_mergepath_partition_config_static_selectorELNS0_4arch9wavefront6targetE1EEEvSM_,@function
_ZN7rocprim17ROCPRIM_400000_NS6detail17trampoline_kernelINS0_14default_configENS1_38merge_sort_block_merge_config_selectorIlNS0_10empty_typeEEEZZNS1_27merge_sort_block_merge_implIS3_PlPS5_mZN2at6native12_GLOBAL__N_124unique_dim_cuda_templateIjEESt5tupleIJNSA_6TensorESF_SF_EERKSF_lbbbEUlllE_EE10hipError_tT0_T1_T2_jT3_P12ihipStream_tbPNSt15iterator_traitsISL_E10value_typeEPNSR_ISM_E10value_typeEPSN_NS1_7vsmem_tEENKUlT_SL_SM_SN_E_clIS8_S8_S9_S9_EESK_S10_SL_SM_SN_EUlS10_E_NS1_11comp_targetILNS1_3genE0ELNS1_11target_archE4294967295ELNS1_3gpuE0ELNS1_3repE0EEENS1_48merge_mergepath_partition_config_static_selectorELNS0_4arch9wavefront6targetE1EEEvSM_: ; @_ZN7rocprim17ROCPRIM_400000_NS6detail17trampoline_kernelINS0_14default_configENS1_38merge_sort_block_merge_config_selectorIlNS0_10empty_typeEEEZZNS1_27merge_sort_block_merge_implIS3_PlPS5_mZN2at6native12_GLOBAL__N_124unique_dim_cuda_templateIjEESt5tupleIJNSA_6TensorESF_SF_EERKSF_lbbbEUlllE_EE10hipError_tT0_T1_T2_jT3_P12ihipStream_tbPNSt15iterator_traitsISL_E10value_typeEPNSR_ISM_E10value_typeEPSN_NS1_7vsmem_tEENKUlT_SL_SM_SN_E_clIS8_S8_S9_S9_EESK_S10_SL_SM_SN_EUlS10_E_NS1_11comp_targetILNS1_3genE0ELNS1_11target_archE4294967295ELNS1_3gpuE0ELNS1_3repE0EEENS1_48merge_mergepath_partition_config_static_selectorELNS0_4arch9wavefront6targetE1EEEvSM_
; %bb.0:
	s_load_dword s3, s[0:1], 0x0
	v_lshl_or_b32 v0, s2, 7, v0
	s_waitcnt lgkmcnt(0)
	v_cmp_gt_u32_e32 vcc, s3, v0
	s_and_saveexec_b64 s[2:3], vcc
	s_cbranch_execz .LBB1492_12
; %bb.1:
	s_load_dwordx4 s[12:15], s[0:1], 0x8
	s_load_dwordx8 s[4:11], s[0:1], 0x18
	v_mov_b32_e32 v5, 0
	v_mov_b32_e32 v7, v5
	s_waitcnt lgkmcnt(0)
	s_lshr_b64 s[0:1], s[12:13], 9
	s_and_b32 s0, s0, -2
	s_add_i32 s1, s0, -1
	s_sub_i32 s0, 0, s0
	v_and_b32_e32 v4, s0, v0
	v_lshlrev_b64 v[8:9], 10, v[4:5]
	v_mov_b32_e32 v1, s15
	v_cmp_lt_u64_e32 vcc, s[14:15], v[8:9]
	v_mov_b32_e32 v4, s14
	v_and_b32_e32 v6, s1, v0
	v_cndmask_b32_e32 v3, v9, v1, vcc
	v_cndmask_b32_e32 v2, v8, v4, vcc
	v_lshl_add_u64 v[8:9], v[8:9], 0, s[12:13]
	v_cmp_lt_u64_e32 vcc, s[14:15], v[8:9]
	s_nop 1
	v_cndmask_b32_e32 v11, v9, v1, vcc
	v_cndmask_b32_e32 v10, v8, v4, vcc
	v_lshl_add_u64 v[8:9], v[10:11], 0, s[12:13]
	v_cmp_lt_u64_e32 vcc, s[14:15], v[8:9]
	s_nop 1
	v_cndmask_b32_e32 v14, v8, v4, vcc
	v_cndmask_b32_e32 v1, v9, v1, vcc
	v_sub_co_u32_e32 v8, vcc, v14, v2
	v_lshlrev_b64 v[4:5], 10, v[6:7]
	s_nop 0
	v_subb_co_u32_e32 v9, vcc, v1, v3, vcc
	v_cmp_lt_u64_e32 vcc, v[8:9], v[4:5]
	s_nop 1
	v_cndmask_b32_e32 v13, v5, v9, vcc
	v_cndmask_b32_e32 v12, v4, v8, vcc
	v_sub_co_u32_e32 v6, vcc, v10, v2
	s_nop 1
	v_subb_co_u32_e32 v7, vcc, v11, v3, vcc
	v_sub_co_u32_e32 v4, vcc, v10, v14
	s_nop 1
	v_subb_co_u32_e32 v5, vcc, v11, v1, vcc
	v_lshl_add_u64 v[4:5], v[12:13], 0, v[4:5]
	v_cmp_gt_u64_e32 vcc, v[4:5], v[12:13]
	s_nop 1
	v_cndmask_b32_e64 v5, v5, 0, vcc
	v_cndmask_b32_e64 v4, v4, 0, vcc
	v_cmp_lt_u64_e32 vcc, v[12:13], v[6:7]
	s_nop 1
	v_cndmask_b32_e32 v7, v7, v13, vcc
	v_cndmask_b32_e32 v6, v6, v12, vcc
	v_cmp_lt_u64_e32 vcc, v[4:5], v[6:7]
	s_and_saveexec_b64 s[12:13], vcc
	s_cbranch_execz .LBB1492_11
; %bb.2:
	v_cmp_gt_i64_e64 s[0:1], s[6:7], 0
	v_lshl_add_u64 v[10:11], v[10:11], 3, s[4:5]
	v_lshl_add_u64 v[8:9], v[2:3], 3, s[4:5]
	v_cndmask_b32_e64 v1, 0, 1, s[0:1]
	v_lshl_add_u64 v[10:11], v[12:13], 3, v[10:11]
	s_mov_b64 s[14:15], 0
	s_lshl_b64 s[16:17], s[6:7], 2
	v_cmp_ne_u32_e64 s[0:1], 1, v1
	s_branch .LBB1492_5
.LBB1492_3:                             ;   in Loop: Header=BB1492_5 Depth=1
	s_or_b64 exec, exec, s[20:21]
.LBB1492_4:                             ;   in Loop: Header=BB1492_5 Depth=1
	v_lshl_add_u64 v[14:15], v[12:13], 0, 1
	v_cndmask_b32_e64 v7, v7, v13, s[18:19]
	v_cndmask_b32_e64 v6, v6, v12, s[18:19]
	;; [unrolled: 1-line block ×4, first 2 shown]
	v_cmp_ge_u64_e32 vcc, v[4:5], v[6:7]
	s_or_b64 s[14:15], vcc, s[14:15]
	s_andn2_b64 exec, exec, s[14:15]
	s_cbranch_execz .LBB1492_10
.LBB1492_5:                             ; =>This Loop Header: Depth=1
                                        ;     Child Loop BB1492_8 Depth 2
	v_lshl_add_u64 v[12:13], v[6:7], 0, v[4:5]
	v_lshrrev_b64 v[12:13], 1, v[12:13]
	s_and_b64 vcc, exec, s[0:1]
	s_mov_b64 s[18:19], 0
	s_cbranch_vccnz .LBB1492_4
; %bb.6:                                ;   in Loop: Header=BB1492_5 Depth=1
	v_not_b32_e32 v15, v13
	v_not_b32_e32 v14, v12
	v_lshl_add_u64 v[14:15], v[14:15], 3, v[10:11]
	v_lshl_add_u64 v[16:17], v[12:13], 3, v[8:9]
	global_load_dwordx2 v[14:15], v[14:15], off
	v_mov_b64_e32 v[18:19], s[8:9]
	global_load_dwordx2 v[16:17], v[16:17], off
	s_mov_b64 s[20:21], 0
	s_mov_b64 s[24:25], s[6:7]
                                        ; implicit-def: $sgpr18_sgpr19
                                        ; implicit-def: $sgpr22_sgpr23
                                        ; implicit-def: $sgpr2_sgpr3
                                        ; implicit-def: $sgpr26_sgpr27
	s_waitcnt vmcnt(1)
	v_mul_lo_u32 v1, s16, v15
	v_mul_lo_u32 v20, s17, v14
	v_mad_u64_u32 v[14:15], s[4:5], s16, v14, v[18:19]
	s_waitcnt vmcnt(0)
	v_mul_lo_u32 v21, s16, v17
	v_mul_lo_u32 v22, s17, v16
	v_mad_u64_u32 v[16:17], s[4:5], s16, v16, v[18:19]
	v_add3_u32 v15, v20, v15, v1
	v_add3_u32 v17, v22, v17, v21
	s_branch .LBB1492_8
.LBB1492_7:                             ;   in Loop: Header=BB1492_8 Depth=2
	s_or_b64 exec, exec, s[30:31]
	s_and_b64 s[4:5], exec, s[22:23]
	s_or_b64 s[20:21], s[4:5], s[20:21]
	s_andn2_b64 s[4:5], s[26:27], exec
	s_and_b64 s[26:27], s[28:29], exec
	s_or_b64 s[26:27], s[4:5], s[26:27]
	s_andn2_b64 s[4:5], s[18:19], exec
	s_and_b64 s[18:19], s[2:3], exec
	s_or_b64 s[18:19], s[4:5], s[18:19]
	s_andn2_b64 exec, exec, s[20:21]
	s_cbranch_execz .LBB1492_3
.LBB1492_8:                             ;   Parent Loop BB1492_5 Depth=1
                                        ; =>  This Inner Loop Header: Depth=2
	global_load_dword v1, v[14:15], off
	global_load_dword v18, v[16:17], off
	s_andn2_b64 s[30:31], s[2:3], exec
	s_or_b64 s[22:23], s[22:23], exec
	s_waitcnt vmcnt(0)
	v_cmp_le_u32_e64 s[2:3], v1, v18
	v_cmp_lt_u32_e32 vcc, v1, v18
	s_and_b64 s[2:3], s[2:3], s[26:27]
	s_or_b64 s[28:29], vcc, s[2:3]
	s_and_b64 s[2:3], s[28:29], exec
	v_cmp_eq_u32_e64 s[4:5], v1, v18
	s_or_b64 s[2:3], s[30:31], s[2:3]
	s_and_saveexec_b64 s[30:31], s[4:5]
	s_cbranch_execz .LBB1492_7
; %bb.9:                                ;   in Loop: Header=BB1492_8 Depth=2
	s_add_u32 s24, s24, -1
	s_addc_u32 s25, s25, -1
	s_cmp_eq_u64 s[24:25], 0
	s_cselect_b64 s[4:5], -1, 0
	s_andn2_b64 s[22:23], s[22:23], exec
	s_and_b64 s[4:5], s[4:5], exec
	v_lshl_add_u64 v[14:15], v[14:15], 0, 4
	v_lshl_add_u64 v[16:17], v[16:17], 0, 4
	s_andn2_b64 s[2:3], s[2:3], exec
	s_or_b64 s[22:23], s[22:23], s[4:5]
                                        ; implicit-def: $sgpr26_sgpr27
	s_branch .LBB1492_7
.LBB1492_10:
	s_or_b64 exec, exec, s[14:15]
.LBB1492_11:
	s_or_b64 exec, exec, s[12:13]
	v_mov_b32_e32 v6, s10
	v_mov_b32_e32 v7, s11
	;; [unrolled: 1-line block ×3, first 2 shown]
	v_lshl_add_u64 v[2:3], v[4:5], 0, v[2:3]
	v_lshl_add_u64 v[0:1], v[0:1], 3, v[6:7]
	global_store_dwordx2 v[0:1], v[2:3], off
.LBB1492_12:
	s_endpgm
	.section	.rodata,"a",@progbits
	.p2align	6, 0x0
	.amdhsa_kernel _ZN7rocprim17ROCPRIM_400000_NS6detail17trampoline_kernelINS0_14default_configENS1_38merge_sort_block_merge_config_selectorIlNS0_10empty_typeEEEZZNS1_27merge_sort_block_merge_implIS3_PlPS5_mZN2at6native12_GLOBAL__N_124unique_dim_cuda_templateIjEESt5tupleIJNSA_6TensorESF_SF_EERKSF_lbbbEUlllE_EE10hipError_tT0_T1_T2_jT3_P12ihipStream_tbPNSt15iterator_traitsISL_E10value_typeEPNSR_ISM_E10value_typeEPSN_NS1_7vsmem_tEENKUlT_SL_SM_SN_E_clIS8_S8_S9_S9_EESK_S10_SL_SM_SN_EUlS10_E_NS1_11comp_targetILNS1_3genE0ELNS1_11target_archE4294967295ELNS1_3gpuE0ELNS1_3repE0EEENS1_48merge_mergepath_partition_config_static_selectorELNS0_4arch9wavefront6targetE1EEEvSM_
		.amdhsa_group_segment_fixed_size 0
		.amdhsa_private_segment_fixed_size 0
		.amdhsa_kernarg_size 56
		.amdhsa_user_sgpr_count 2
		.amdhsa_user_sgpr_dispatch_ptr 0
		.amdhsa_user_sgpr_queue_ptr 0
		.amdhsa_user_sgpr_kernarg_segment_ptr 1
		.amdhsa_user_sgpr_dispatch_id 0
		.amdhsa_user_sgpr_kernarg_preload_length 0
		.amdhsa_user_sgpr_kernarg_preload_offset 0
		.amdhsa_user_sgpr_private_segment_size 0
		.amdhsa_uses_dynamic_stack 0
		.amdhsa_enable_private_segment 0
		.amdhsa_system_sgpr_workgroup_id_x 1
		.amdhsa_system_sgpr_workgroup_id_y 0
		.amdhsa_system_sgpr_workgroup_id_z 0
		.amdhsa_system_sgpr_workgroup_info 0
		.amdhsa_system_vgpr_workitem_id 0
		.amdhsa_next_free_vgpr 23
		.amdhsa_next_free_sgpr 32
		.amdhsa_accum_offset 24
		.amdhsa_reserve_vcc 1
		.amdhsa_float_round_mode_32 0
		.amdhsa_float_round_mode_16_64 0
		.amdhsa_float_denorm_mode_32 3
		.amdhsa_float_denorm_mode_16_64 3
		.amdhsa_dx10_clamp 1
		.amdhsa_ieee_mode 1
		.amdhsa_fp16_overflow 0
		.amdhsa_tg_split 0
		.amdhsa_exception_fp_ieee_invalid_op 0
		.amdhsa_exception_fp_denorm_src 0
		.amdhsa_exception_fp_ieee_div_zero 0
		.amdhsa_exception_fp_ieee_overflow 0
		.amdhsa_exception_fp_ieee_underflow 0
		.amdhsa_exception_fp_ieee_inexact 0
		.amdhsa_exception_int_div_zero 0
	.end_amdhsa_kernel
	.section	.text._ZN7rocprim17ROCPRIM_400000_NS6detail17trampoline_kernelINS0_14default_configENS1_38merge_sort_block_merge_config_selectorIlNS0_10empty_typeEEEZZNS1_27merge_sort_block_merge_implIS3_PlPS5_mZN2at6native12_GLOBAL__N_124unique_dim_cuda_templateIjEESt5tupleIJNSA_6TensorESF_SF_EERKSF_lbbbEUlllE_EE10hipError_tT0_T1_T2_jT3_P12ihipStream_tbPNSt15iterator_traitsISL_E10value_typeEPNSR_ISM_E10value_typeEPSN_NS1_7vsmem_tEENKUlT_SL_SM_SN_E_clIS8_S8_S9_S9_EESK_S10_SL_SM_SN_EUlS10_E_NS1_11comp_targetILNS1_3genE0ELNS1_11target_archE4294967295ELNS1_3gpuE0ELNS1_3repE0EEENS1_48merge_mergepath_partition_config_static_selectorELNS0_4arch9wavefront6targetE1EEEvSM_,"axG",@progbits,_ZN7rocprim17ROCPRIM_400000_NS6detail17trampoline_kernelINS0_14default_configENS1_38merge_sort_block_merge_config_selectorIlNS0_10empty_typeEEEZZNS1_27merge_sort_block_merge_implIS3_PlPS5_mZN2at6native12_GLOBAL__N_124unique_dim_cuda_templateIjEESt5tupleIJNSA_6TensorESF_SF_EERKSF_lbbbEUlllE_EE10hipError_tT0_T1_T2_jT3_P12ihipStream_tbPNSt15iterator_traitsISL_E10value_typeEPNSR_ISM_E10value_typeEPSN_NS1_7vsmem_tEENKUlT_SL_SM_SN_E_clIS8_S8_S9_S9_EESK_S10_SL_SM_SN_EUlS10_E_NS1_11comp_targetILNS1_3genE0ELNS1_11target_archE4294967295ELNS1_3gpuE0ELNS1_3repE0EEENS1_48merge_mergepath_partition_config_static_selectorELNS0_4arch9wavefront6targetE1EEEvSM_,comdat
.Lfunc_end1492:
	.size	_ZN7rocprim17ROCPRIM_400000_NS6detail17trampoline_kernelINS0_14default_configENS1_38merge_sort_block_merge_config_selectorIlNS0_10empty_typeEEEZZNS1_27merge_sort_block_merge_implIS3_PlPS5_mZN2at6native12_GLOBAL__N_124unique_dim_cuda_templateIjEESt5tupleIJNSA_6TensorESF_SF_EERKSF_lbbbEUlllE_EE10hipError_tT0_T1_T2_jT3_P12ihipStream_tbPNSt15iterator_traitsISL_E10value_typeEPNSR_ISM_E10value_typeEPSN_NS1_7vsmem_tEENKUlT_SL_SM_SN_E_clIS8_S8_S9_S9_EESK_S10_SL_SM_SN_EUlS10_E_NS1_11comp_targetILNS1_3genE0ELNS1_11target_archE4294967295ELNS1_3gpuE0ELNS1_3repE0EEENS1_48merge_mergepath_partition_config_static_selectorELNS0_4arch9wavefront6targetE1EEEvSM_, .Lfunc_end1492-_ZN7rocprim17ROCPRIM_400000_NS6detail17trampoline_kernelINS0_14default_configENS1_38merge_sort_block_merge_config_selectorIlNS0_10empty_typeEEEZZNS1_27merge_sort_block_merge_implIS3_PlPS5_mZN2at6native12_GLOBAL__N_124unique_dim_cuda_templateIjEESt5tupleIJNSA_6TensorESF_SF_EERKSF_lbbbEUlllE_EE10hipError_tT0_T1_T2_jT3_P12ihipStream_tbPNSt15iterator_traitsISL_E10value_typeEPNSR_ISM_E10value_typeEPSN_NS1_7vsmem_tEENKUlT_SL_SM_SN_E_clIS8_S8_S9_S9_EESK_S10_SL_SM_SN_EUlS10_E_NS1_11comp_targetILNS1_3genE0ELNS1_11target_archE4294967295ELNS1_3gpuE0ELNS1_3repE0EEENS1_48merge_mergepath_partition_config_static_selectorELNS0_4arch9wavefront6targetE1EEEvSM_
                                        ; -- End function
	.set _ZN7rocprim17ROCPRIM_400000_NS6detail17trampoline_kernelINS0_14default_configENS1_38merge_sort_block_merge_config_selectorIlNS0_10empty_typeEEEZZNS1_27merge_sort_block_merge_implIS3_PlPS5_mZN2at6native12_GLOBAL__N_124unique_dim_cuda_templateIjEESt5tupleIJNSA_6TensorESF_SF_EERKSF_lbbbEUlllE_EE10hipError_tT0_T1_T2_jT3_P12ihipStream_tbPNSt15iterator_traitsISL_E10value_typeEPNSR_ISM_E10value_typeEPSN_NS1_7vsmem_tEENKUlT_SL_SM_SN_E_clIS8_S8_S9_S9_EESK_S10_SL_SM_SN_EUlS10_E_NS1_11comp_targetILNS1_3genE0ELNS1_11target_archE4294967295ELNS1_3gpuE0ELNS1_3repE0EEENS1_48merge_mergepath_partition_config_static_selectorELNS0_4arch9wavefront6targetE1EEEvSM_.num_vgpr, 23
	.set _ZN7rocprim17ROCPRIM_400000_NS6detail17trampoline_kernelINS0_14default_configENS1_38merge_sort_block_merge_config_selectorIlNS0_10empty_typeEEEZZNS1_27merge_sort_block_merge_implIS3_PlPS5_mZN2at6native12_GLOBAL__N_124unique_dim_cuda_templateIjEESt5tupleIJNSA_6TensorESF_SF_EERKSF_lbbbEUlllE_EE10hipError_tT0_T1_T2_jT3_P12ihipStream_tbPNSt15iterator_traitsISL_E10value_typeEPNSR_ISM_E10value_typeEPSN_NS1_7vsmem_tEENKUlT_SL_SM_SN_E_clIS8_S8_S9_S9_EESK_S10_SL_SM_SN_EUlS10_E_NS1_11comp_targetILNS1_3genE0ELNS1_11target_archE4294967295ELNS1_3gpuE0ELNS1_3repE0EEENS1_48merge_mergepath_partition_config_static_selectorELNS0_4arch9wavefront6targetE1EEEvSM_.num_agpr, 0
	.set _ZN7rocprim17ROCPRIM_400000_NS6detail17trampoline_kernelINS0_14default_configENS1_38merge_sort_block_merge_config_selectorIlNS0_10empty_typeEEEZZNS1_27merge_sort_block_merge_implIS3_PlPS5_mZN2at6native12_GLOBAL__N_124unique_dim_cuda_templateIjEESt5tupleIJNSA_6TensorESF_SF_EERKSF_lbbbEUlllE_EE10hipError_tT0_T1_T2_jT3_P12ihipStream_tbPNSt15iterator_traitsISL_E10value_typeEPNSR_ISM_E10value_typeEPSN_NS1_7vsmem_tEENKUlT_SL_SM_SN_E_clIS8_S8_S9_S9_EESK_S10_SL_SM_SN_EUlS10_E_NS1_11comp_targetILNS1_3genE0ELNS1_11target_archE4294967295ELNS1_3gpuE0ELNS1_3repE0EEENS1_48merge_mergepath_partition_config_static_selectorELNS0_4arch9wavefront6targetE1EEEvSM_.numbered_sgpr, 32
	.set _ZN7rocprim17ROCPRIM_400000_NS6detail17trampoline_kernelINS0_14default_configENS1_38merge_sort_block_merge_config_selectorIlNS0_10empty_typeEEEZZNS1_27merge_sort_block_merge_implIS3_PlPS5_mZN2at6native12_GLOBAL__N_124unique_dim_cuda_templateIjEESt5tupleIJNSA_6TensorESF_SF_EERKSF_lbbbEUlllE_EE10hipError_tT0_T1_T2_jT3_P12ihipStream_tbPNSt15iterator_traitsISL_E10value_typeEPNSR_ISM_E10value_typeEPSN_NS1_7vsmem_tEENKUlT_SL_SM_SN_E_clIS8_S8_S9_S9_EESK_S10_SL_SM_SN_EUlS10_E_NS1_11comp_targetILNS1_3genE0ELNS1_11target_archE4294967295ELNS1_3gpuE0ELNS1_3repE0EEENS1_48merge_mergepath_partition_config_static_selectorELNS0_4arch9wavefront6targetE1EEEvSM_.num_named_barrier, 0
	.set _ZN7rocprim17ROCPRIM_400000_NS6detail17trampoline_kernelINS0_14default_configENS1_38merge_sort_block_merge_config_selectorIlNS0_10empty_typeEEEZZNS1_27merge_sort_block_merge_implIS3_PlPS5_mZN2at6native12_GLOBAL__N_124unique_dim_cuda_templateIjEESt5tupleIJNSA_6TensorESF_SF_EERKSF_lbbbEUlllE_EE10hipError_tT0_T1_T2_jT3_P12ihipStream_tbPNSt15iterator_traitsISL_E10value_typeEPNSR_ISM_E10value_typeEPSN_NS1_7vsmem_tEENKUlT_SL_SM_SN_E_clIS8_S8_S9_S9_EESK_S10_SL_SM_SN_EUlS10_E_NS1_11comp_targetILNS1_3genE0ELNS1_11target_archE4294967295ELNS1_3gpuE0ELNS1_3repE0EEENS1_48merge_mergepath_partition_config_static_selectorELNS0_4arch9wavefront6targetE1EEEvSM_.private_seg_size, 0
	.set _ZN7rocprim17ROCPRIM_400000_NS6detail17trampoline_kernelINS0_14default_configENS1_38merge_sort_block_merge_config_selectorIlNS0_10empty_typeEEEZZNS1_27merge_sort_block_merge_implIS3_PlPS5_mZN2at6native12_GLOBAL__N_124unique_dim_cuda_templateIjEESt5tupleIJNSA_6TensorESF_SF_EERKSF_lbbbEUlllE_EE10hipError_tT0_T1_T2_jT3_P12ihipStream_tbPNSt15iterator_traitsISL_E10value_typeEPNSR_ISM_E10value_typeEPSN_NS1_7vsmem_tEENKUlT_SL_SM_SN_E_clIS8_S8_S9_S9_EESK_S10_SL_SM_SN_EUlS10_E_NS1_11comp_targetILNS1_3genE0ELNS1_11target_archE4294967295ELNS1_3gpuE0ELNS1_3repE0EEENS1_48merge_mergepath_partition_config_static_selectorELNS0_4arch9wavefront6targetE1EEEvSM_.uses_vcc, 1
	.set _ZN7rocprim17ROCPRIM_400000_NS6detail17trampoline_kernelINS0_14default_configENS1_38merge_sort_block_merge_config_selectorIlNS0_10empty_typeEEEZZNS1_27merge_sort_block_merge_implIS3_PlPS5_mZN2at6native12_GLOBAL__N_124unique_dim_cuda_templateIjEESt5tupleIJNSA_6TensorESF_SF_EERKSF_lbbbEUlllE_EE10hipError_tT0_T1_T2_jT3_P12ihipStream_tbPNSt15iterator_traitsISL_E10value_typeEPNSR_ISM_E10value_typeEPSN_NS1_7vsmem_tEENKUlT_SL_SM_SN_E_clIS8_S8_S9_S9_EESK_S10_SL_SM_SN_EUlS10_E_NS1_11comp_targetILNS1_3genE0ELNS1_11target_archE4294967295ELNS1_3gpuE0ELNS1_3repE0EEENS1_48merge_mergepath_partition_config_static_selectorELNS0_4arch9wavefront6targetE1EEEvSM_.uses_flat_scratch, 0
	.set _ZN7rocprim17ROCPRIM_400000_NS6detail17trampoline_kernelINS0_14default_configENS1_38merge_sort_block_merge_config_selectorIlNS0_10empty_typeEEEZZNS1_27merge_sort_block_merge_implIS3_PlPS5_mZN2at6native12_GLOBAL__N_124unique_dim_cuda_templateIjEESt5tupleIJNSA_6TensorESF_SF_EERKSF_lbbbEUlllE_EE10hipError_tT0_T1_T2_jT3_P12ihipStream_tbPNSt15iterator_traitsISL_E10value_typeEPNSR_ISM_E10value_typeEPSN_NS1_7vsmem_tEENKUlT_SL_SM_SN_E_clIS8_S8_S9_S9_EESK_S10_SL_SM_SN_EUlS10_E_NS1_11comp_targetILNS1_3genE0ELNS1_11target_archE4294967295ELNS1_3gpuE0ELNS1_3repE0EEENS1_48merge_mergepath_partition_config_static_selectorELNS0_4arch9wavefront6targetE1EEEvSM_.has_dyn_sized_stack, 0
	.set _ZN7rocprim17ROCPRIM_400000_NS6detail17trampoline_kernelINS0_14default_configENS1_38merge_sort_block_merge_config_selectorIlNS0_10empty_typeEEEZZNS1_27merge_sort_block_merge_implIS3_PlPS5_mZN2at6native12_GLOBAL__N_124unique_dim_cuda_templateIjEESt5tupleIJNSA_6TensorESF_SF_EERKSF_lbbbEUlllE_EE10hipError_tT0_T1_T2_jT3_P12ihipStream_tbPNSt15iterator_traitsISL_E10value_typeEPNSR_ISM_E10value_typeEPSN_NS1_7vsmem_tEENKUlT_SL_SM_SN_E_clIS8_S8_S9_S9_EESK_S10_SL_SM_SN_EUlS10_E_NS1_11comp_targetILNS1_3genE0ELNS1_11target_archE4294967295ELNS1_3gpuE0ELNS1_3repE0EEENS1_48merge_mergepath_partition_config_static_selectorELNS0_4arch9wavefront6targetE1EEEvSM_.has_recursion, 0
	.set _ZN7rocprim17ROCPRIM_400000_NS6detail17trampoline_kernelINS0_14default_configENS1_38merge_sort_block_merge_config_selectorIlNS0_10empty_typeEEEZZNS1_27merge_sort_block_merge_implIS3_PlPS5_mZN2at6native12_GLOBAL__N_124unique_dim_cuda_templateIjEESt5tupleIJNSA_6TensorESF_SF_EERKSF_lbbbEUlllE_EE10hipError_tT0_T1_T2_jT3_P12ihipStream_tbPNSt15iterator_traitsISL_E10value_typeEPNSR_ISM_E10value_typeEPSN_NS1_7vsmem_tEENKUlT_SL_SM_SN_E_clIS8_S8_S9_S9_EESK_S10_SL_SM_SN_EUlS10_E_NS1_11comp_targetILNS1_3genE0ELNS1_11target_archE4294967295ELNS1_3gpuE0ELNS1_3repE0EEENS1_48merge_mergepath_partition_config_static_selectorELNS0_4arch9wavefront6targetE1EEEvSM_.has_indirect_call, 0
	.section	.AMDGPU.csdata,"",@progbits
; Kernel info:
; codeLenInByte = 772
; TotalNumSgprs: 38
; NumVgprs: 23
; NumAgprs: 0
; TotalNumVgprs: 23
; ScratchSize: 0
; MemoryBound: 0
; FloatMode: 240
; IeeeMode: 1
; LDSByteSize: 0 bytes/workgroup (compile time only)
; SGPRBlocks: 4
; VGPRBlocks: 2
; NumSGPRsForWavesPerEU: 38
; NumVGPRsForWavesPerEU: 23
; AccumOffset: 24
; Occupancy: 8
; WaveLimiterHint : 0
; COMPUTE_PGM_RSRC2:SCRATCH_EN: 0
; COMPUTE_PGM_RSRC2:USER_SGPR: 2
; COMPUTE_PGM_RSRC2:TRAP_HANDLER: 0
; COMPUTE_PGM_RSRC2:TGID_X_EN: 1
; COMPUTE_PGM_RSRC2:TGID_Y_EN: 0
; COMPUTE_PGM_RSRC2:TGID_Z_EN: 0
; COMPUTE_PGM_RSRC2:TIDIG_COMP_CNT: 0
; COMPUTE_PGM_RSRC3_GFX90A:ACCUM_OFFSET: 5
; COMPUTE_PGM_RSRC3_GFX90A:TG_SPLIT: 0
	.section	.text._ZN7rocprim17ROCPRIM_400000_NS6detail17trampoline_kernelINS0_14default_configENS1_38merge_sort_block_merge_config_selectorIlNS0_10empty_typeEEEZZNS1_27merge_sort_block_merge_implIS3_PlPS5_mZN2at6native12_GLOBAL__N_124unique_dim_cuda_templateIjEESt5tupleIJNSA_6TensorESF_SF_EERKSF_lbbbEUlllE_EE10hipError_tT0_T1_T2_jT3_P12ihipStream_tbPNSt15iterator_traitsISL_E10value_typeEPNSR_ISM_E10value_typeEPSN_NS1_7vsmem_tEENKUlT_SL_SM_SN_E_clIS8_S8_S9_S9_EESK_S10_SL_SM_SN_EUlS10_E_NS1_11comp_targetILNS1_3genE10ELNS1_11target_archE1201ELNS1_3gpuE5ELNS1_3repE0EEENS1_48merge_mergepath_partition_config_static_selectorELNS0_4arch9wavefront6targetE1EEEvSM_,"axG",@progbits,_ZN7rocprim17ROCPRIM_400000_NS6detail17trampoline_kernelINS0_14default_configENS1_38merge_sort_block_merge_config_selectorIlNS0_10empty_typeEEEZZNS1_27merge_sort_block_merge_implIS3_PlPS5_mZN2at6native12_GLOBAL__N_124unique_dim_cuda_templateIjEESt5tupleIJNSA_6TensorESF_SF_EERKSF_lbbbEUlllE_EE10hipError_tT0_T1_T2_jT3_P12ihipStream_tbPNSt15iterator_traitsISL_E10value_typeEPNSR_ISM_E10value_typeEPSN_NS1_7vsmem_tEENKUlT_SL_SM_SN_E_clIS8_S8_S9_S9_EESK_S10_SL_SM_SN_EUlS10_E_NS1_11comp_targetILNS1_3genE10ELNS1_11target_archE1201ELNS1_3gpuE5ELNS1_3repE0EEENS1_48merge_mergepath_partition_config_static_selectorELNS0_4arch9wavefront6targetE1EEEvSM_,comdat
	.globl	_ZN7rocprim17ROCPRIM_400000_NS6detail17trampoline_kernelINS0_14default_configENS1_38merge_sort_block_merge_config_selectorIlNS0_10empty_typeEEEZZNS1_27merge_sort_block_merge_implIS3_PlPS5_mZN2at6native12_GLOBAL__N_124unique_dim_cuda_templateIjEESt5tupleIJNSA_6TensorESF_SF_EERKSF_lbbbEUlllE_EE10hipError_tT0_T1_T2_jT3_P12ihipStream_tbPNSt15iterator_traitsISL_E10value_typeEPNSR_ISM_E10value_typeEPSN_NS1_7vsmem_tEENKUlT_SL_SM_SN_E_clIS8_S8_S9_S9_EESK_S10_SL_SM_SN_EUlS10_E_NS1_11comp_targetILNS1_3genE10ELNS1_11target_archE1201ELNS1_3gpuE5ELNS1_3repE0EEENS1_48merge_mergepath_partition_config_static_selectorELNS0_4arch9wavefront6targetE1EEEvSM_ ; -- Begin function _ZN7rocprim17ROCPRIM_400000_NS6detail17trampoline_kernelINS0_14default_configENS1_38merge_sort_block_merge_config_selectorIlNS0_10empty_typeEEEZZNS1_27merge_sort_block_merge_implIS3_PlPS5_mZN2at6native12_GLOBAL__N_124unique_dim_cuda_templateIjEESt5tupleIJNSA_6TensorESF_SF_EERKSF_lbbbEUlllE_EE10hipError_tT0_T1_T2_jT3_P12ihipStream_tbPNSt15iterator_traitsISL_E10value_typeEPNSR_ISM_E10value_typeEPSN_NS1_7vsmem_tEENKUlT_SL_SM_SN_E_clIS8_S8_S9_S9_EESK_S10_SL_SM_SN_EUlS10_E_NS1_11comp_targetILNS1_3genE10ELNS1_11target_archE1201ELNS1_3gpuE5ELNS1_3repE0EEENS1_48merge_mergepath_partition_config_static_selectorELNS0_4arch9wavefront6targetE1EEEvSM_
	.p2align	8
	.type	_ZN7rocprim17ROCPRIM_400000_NS6detail17trampoline_kernelINS0_14default_configENS1_38merge_sort_block_merge_config_selectorIlNS0_10empty_typeEEEZZNS1_27merge_sort_block_merge_implIS3_PlPS5_mZN2at6native12_GLOBAL__N_124unique_dim_cuda_templateIjEESt5tupleIJNSA_6TensorESF_SF_EERKSF_lbbbEUlllE_EE10hipError_tT0_T1_T2_jT3_P12ihipStream_tbPNSt15iterator_traitsISL_E10value_typeEPNSR_ISM_E10value_typeEPSN_NS1_7vsmem_tEENKUlT_SL_SM_SN_E_clIS8_S8_S9_S9_EESK_S10_SL_SM_SN_EUlS10_E_NS1_11comp_targetILNS1_3genE10ELNS1_11target_archE1201ELNS1_3gpuE5ELNS1_3repE0EEENS1_48merge_mergepath_partition_config_static_selectorELNS0_4arch9wavefront6targetE1EEEvSM_,@function
_ZN7rocprim17ROCPRIM_400000_NS6detail17trampoline_kernelINS0_14default_configENS1_38merge_sort_block_merge_config_selectorIlNS0_10empty_typeEEEZZNS1_27merge_sort_block_merge_implIS3_PlPS5_mZN2at6native12_GLOBAL__N_124unique_dim_cuda_templateIjEESt5tupleIJNSA_6TensorESF_SF_EERKSF_lbbbEUlllE_EE10hipError_tT0_T1_T2_jT3_P12ihipStream_tbPNSt15iterator_traitsISL_E10value_typeEPNSR_ISM_E10value_typeEPSN_NS1_7vsmem_tEENKUlT_SL_SM_SN_E_clIS8_S8_S9_S9_EESK_S10_SL_SM_SN_EUlS10_E_NS1_11comp_targetILNS1_3genE10ELNS1_11target_archE1201ELNS1_3gpuE5ELNS1_3repE0EEENS1_48merge_mergepath_partition_config_static_selectorELNS0_4arch9wavefront6targetE1EEEvSM_: ; @_ZN7rocprim17ROCPRIM_400000_NS6detail17trampoline_kernelINS0_14default_configENS1_38merge_sort_block_merge_config_selectorIlNS0_10empty_typeEEEZZNS1_27merge_sort_block_merge_implIS3_PlPS5_mZN2at6native12_GLOBAL__N_124unique_dim_cuda_templateIjEESt5tupleIJNSA_6TensorESF_SF_EERKSF_lbbbEUlllE_EE10hipError_tT0_T1_T2_jT3_P12ihipStream_tbPNSt15iterator_traitsISL_E10value_typeEPNSR_ISM_E10value_typeEPSN_NS1_7vsmem_tEENKUlT_SL_SM_SN_E_clIS8_S8_S9_S9_EESK_S10_SL_SM_SN_EUlS10_E_NS1_11comp_targetILNS1_3genE10ELNS1_11target_archE1201ELNS1_3gpuE5ELNS1_3repE0EEENS1_48merge_mergepath_partition_config_static_selectorELNS0_4arch9wavefront6targetE1EEEvSM_
; %bb.0:
	.section	.rodata,"a",@progbits
	.p2align	6, 0x0
	.amdhsa_kernel _ZN7rocprim17ROCPRIM_400000_NS6detail17trampoline_kernelINS0_14default_configENS1_38merge_sort_block_merge_config_selectorIlNS0_10empty_typeEEEZZNS1_27merge_sort_block_merge_implIS3_PlPS5_mZN2at6native12_GLOBAL__N_124unique_dim_cuda_templateIjEESt5tupleIJNSA_6TensorESF_SF_EERKSF_lbbbEUlllE_EE10hipError_tT0_T1_T2_jT3_P12ihipStream_tbPNSt15iterator_traitsISL_E10value_typeEPNSR_ISM_E10value_typeEPSN_NS1_7vsmem_tEENKUlT_SL_SM_SN_E_clIS8_S8_S9_S9_EESK_S10_SL_SM_SN_EUlS10_E_NS1_11comp_targetILNS1_3genE10ELNS1_11target_archE1201ELNS1_3gpuE5ELNS1_3repE0EEENS1_48merge_mergepath_partition_config_static_selectorELNS0_4arch9wavefront6targetE1EEEvSM_
		.amdhsa_group_segment_fixed_size 0
		.amdhsa_private_segment_fixed_size 0
		.amdhsa_kernarg_size 56
		.amdhsa_user_sgpr_count 2
		.amdhsa_user_sgpr_dispatch_ptr 0
		.amdhsa_user_sgpr_queue_ptr 0
		.amdhsa_user_sgpr_kernarg_segment_ptr 1
		.amdhsa_user_sgpr_dispatch_id 0
		.amdhsa_user_sgpr_kernarg_preload_length 0
		.amdhsa_user_sgpr_kernarg_preload_offset 0
		.amdhsa_user_sgpr_private_segment_size 0
		.amdhsa_uses_dynamic_stack 0
		.amdhsa_enable_private_segment 0
		.amdhsa_system_sgpr_workgroup_id_x 1
		.amdhsa_system_sgpr_workgroup_id_y 0
		.amdhsa_system_sgpr_workgroup_id_z 0
		.amdhsa_system_sgpr_workgroup_info 0
		.amdhsa_system_vgpr_workitem_id 0
		.amdhsa_next_free_vgpr 1
		.amdhsa_next_free_sgpr 0
		.amdhsa_accum_offset 4
		.amdhsa_reserve_vcc 0
		.amdhsa_float_round_mode_32 0
		.amdhsa_float_round_mode_16_64 0
		.amdhsa_float_denorm_mode_32 3
		.amdhsa_float_denorm_mode_16_64 3
		.amdhsa_dx10_clamp 1
		.amdhsa_ieee_mode 1
		.amdhsa_fp16_overflow 0
		.amdhsa_tg_split 0
		.amdhsa_exception_fp_ieee_invalid_op 0
		.amdhsa_exception_fp_denorm_src 0
		.amdhsa_exception_fp_ieee_div_zero 0
		.amdhsa_exception_fp_ieee_overflow 0
		.amdhsa_exception_fp_ieee_underflow 0
		.amdhsa_exception_fp_ieee_inexact 0
		.amdhsa_exception_int_div_zero 0
	.end_amdhsa_kernel
	.section	.text._ZN7rocprim17ROCPRIM_400000_NS6detail17trampoline_kernelINS0_14default_configENS1_38merge_sort_block_merge_config_selectorIlNS0_10empty_typeEEEZZNS1_27merge_sort_block_merge_implIS3_PlPS5_mZN2at6native12_GLOBAL__N_124unique_dim_cuda_templateIjEESt5tupleIJNSA_6TensorESF_SF_EERKSF_lbbbEUlllE_EE10hipError_tT0_T1_T2_jT3_P12ihipStream_tbPNSt15iterator_traitsISL_E10value_typeEPNSR_ISM_E10value_typeEPSN_NS1_7vsmem_tEENKUlT_SL_SM_SN_E_clIS8_S8_S9_S9_EESK_S10_SL_SM_SN_EUlS10_E_NS1_11comp_targetILNS1_3genE10ELNS1_11target_archE1201ELNS1_3gpuE5ELNS1_3repE0EEENS1_48merge_mergepath_partition_config_static_selectorELNS0_4arch9wavefront6targetE1EEEvSM_,"axG",@progbits,_ZN7rocprim17ROCPRIM_400000_NS6detail17trampoline_kernelINS0_14default_configENS1_38merge_sort_block_merge_config_selectorIlNS0_10empty_typeEEEZZNS1_27merge_sort_block_merge_implIS3_PlPS5_mZN2at6native12_GLOBAL__N_124unique_dim_cuda_templateIjEESt5tupleIJNSA_6TensorESF_SF_EERKSF_lbbbEUlllE_EE10hipError_tT0_T1_T2_jT3_P12ihipStream_tbPNSt15iterator_traitsISL_E10value_typeEPNSR_ISM_E10value_typeEPSN_NS1_7vsmem_tEENKUlT_SL_SM_SN_E_clIS8_S8_S9_S9_EESK_S10_SL_SM_SN_EUlS10_E_NS1_11comp_targetILNS1_3genE10ELNS1_11target_archE1201ELNS1_3gpuE5ELNS1_3repE0EEENS1_48merge_mergepath_partition_config_static_selectorELNS0_4arch9wavefront6targetE1EEEvSM_,comdat
.Lfunc_end1493:
	.size	_ZN7rocprim17ROCPRIM_400000_NS6detail17trampoline_kernelINS0_14default_configENS1_38merge_sort_block_merge_config_selectorIlNS0_10empty_typeEEEZZNS1_27merge_sort_block_merge_implIS3_PlPS5_mZN2at6native12_GLOBAL__N_124unique_dim_cuda_templateIjEESt5tupleIJNSA_6TensorESF_SF_EERKSF_lbbbEUlllE_EE10hipError_tT0_T1_T2_jT3_P12ihipStream_tbPNSt15iterator_traitsISL_E10value_typeEPNSR_ISM_E10value_typeEPSN_NS1_7vsmem_tEENKUlT_SL_SM_SN_E_clIS8_S8_S9_S9_EESK_S10_SL_SM_SN_EUlS10_E_NS1_11comp_targetILNS1_3genE10ELNS1_11target_archE1201ELNS1_3gpuE5ELNS1_3repE0EEENS1_48merge_mergepath_partition_config_static_selectorELNS0_4arch9wavefront6targetE1EEEvSM_, .Lfunc_end1493-_ZN7rocprim17ROCPRIM_400000_NS6detail17trampoline_kernelINS0_14default_configENS1_38merge_sort_block_merge_config_selectorIlNS0_10empty_typeEEEZZNS1_27merge_sort_block_merge_implIS3_PlPS5_mZN2at6native12_GLOBAL__N_124unique_dim_cuda_templateIjEESt5tupleIJNSA_6TensorESF_SF_EERKSF_lbbbEUlllE_EE10hipError_tT0_T1_T2_jT3_P12ihipStream_tbPNSt15iterator_traitsISL_E10value_typeEPNSR_ISM_E10value_typeEPSN_NS1_7vsmem_tEENKUlT_SL_SM_SN_E_clIS8_S8_S9_S9_EESK_S10_SL_SM_SN_EUlS10_E_NS1_11comp_targetILNS1_3genE10ELNS1_11target_archE1201ELNS1_3gpuE5ELNS1_3repE0EEENS1_48merge_mergepath_partition_config_static_selectorELNS0_4arch9wavefront6targetE1EEEvSM_
                                        ; -- End function
	.set _ZN7rocprim17ROCPRIM_400000_NS6detail17trampoline_kernelINS0_14default_configENS1_38merge_sort_block_merge_config_selectorIlNS0_10empty_typeEEEZZNS1_27merge_sort_block_merge_implIS3_PlPS5_mZN2at6native12_GLOBAL__N_124unique_dim_cuda_templateIjEESt5tupleIJNSA_6TensorESF_SF_EERKSF_lbbbEUlllE_EE10hipError_tT0_T1_T2_jT3_P12ihipStream_tbPNSt15iterator_traitsISL_E10value_typeEPNSR_ISM_E10value_typeEPSN_NS1_7vsmem_tEENKUlT_SL_SM_SN_E_clIS8_S8_S9_S9_EESK_S10_SL_SM_SN_EUlS10_E_NS1_11comp_targetILNS1_3genE10ELNS1_11target_archE1201ELNS1_3gpuE5ELNS1_3repE0EEENS1_48merge_mergepath_partition_config_static_selectorELNS0_4arch9wavefront6targetE1EEEvSM_.num_vgpr, 0
	.set _ZN7rocprim17ROCPRIM_400000_NS6detail17trampoline_kernelINS0_14default_configENS1_38merge_sort_block_merge_config_selectorIlNS0_10empty_typeEEEZZNS1_27merge_sort_block_merge_implIS3_PlPS5_mZN2at6native12_GLOBAL__N_124unique_dim_cuda_templateIjEESt5tupleIJNSA_6TensorESF_SF_EERKSF_lbbbEUlllE_EE10hipError_tT0_T1_T2_jT3_P12ihipStream_tbPNSt15iterator_traitsISL_E10value_typeEPNSR_ISM_E10value_typeEPSN_NS1_7vsmem_tEENKUlT_SL_SM_SN_E_clIS8_S8_S9_S9_EESK_S10_SL_SM_SN_EUlS10_E_NS1_11comp_targetILNS1_3genE10ELNS1_11target_archE1201ELNS1_3gpuE5ELNS1_3repE0EEENS1_48merge_mergepath_partition_config_static_selectorELNS0_4arch9wavefront6targetE1EEEvSM_.num_agpr, 0
	.set _ZN7rocprim17ROCPRIM_400000_NS6detail17trampoline_kernelINS0_14default_configENS1_38merge_sort_block_merge_config_selectorIlNS0_10empty_typeEEEZZNS1_27merge_sort_block_merge_implIS3_PlPS5_mZN2at6native12_GLOBAL__N_124unique_dim_cuda_templateIjEESt5tupleIJNSA_6TensorESF_SF_EERKSF_lbbbEUlllE_EE10hipError_tT0_T1_T2_jT3_P12ihipStream_tbPNSt15iterator_traitsISL_E10value_typeEPNSR_ISM_E10value_typeEPSN_NS1_7vsmem_tEENKUlT_SL_SM_SN_E_clIS8_S8_S9_S9_EESK_S10_SL_SM_SN_EUlS10_E_NS1_11comp_targetILNS1_3genE10ELNS1_11target_archE1201ELNS1_3gpuE5ELNS1_3repE0EEENS1_48merge_mergepath_partition_config_static_selectorELNS0_4arch9wavefront6targetE1EEEvSM_.numbered_sgpr, 0
	.set _ZN7rocprim17ROCPRIM_400000_NS6detail17trampoline_kernelINS0_14default_configENS1_38merge_sort_block_merge_config_selectorIlNS0_10empty_typeEEEZZNS1_27merge_sort_block_merge_implIS3_PlPS5_mZN2at6native12_GLOBAL__N_124unique_dim_cuda_templateIjEESt5tupleIJNSA_6TensorESF_SF_EERKSF_lbbbEUlllE_EE10hipError_tT0_T1_T2_jT3_P12ihipStream_tbPNSt15iterator_traitsISL_E10value_typeEPNSR_ISM_E10value_typeEPSN_NS1_7vsmem_tEENKUlT_SL_SM_SN_E_clIS8_S8_S9_S9_EESK_S10_SL_SM_SN_EUlS10_E_NS1_11comp_targetILNS1_3genE10ELNS1_11target_archE1201ELNS1_3gpuE5ELNS1_3repE0EEENS1_48merge_mergepath_partition_config_static_selectorELNS0_4arch9wavefront6targetE1EEEvSM_.num_named_barrier, 0
	.set _ZN7rocprim17ROCPRIM_400000_NS6detail17trampoline_kernelINS0_14default_configENS1_38merge_sort_block_merge_config_selectorIlNS0_10empty_typeEEEZZNS1_27merge_sort_block_merge_implIS3_PlPS5_mZN2at6native12_GLOBAL__N_124unique_dim_cuda_templateIjEESt5tupleIJNSA_6TensorESF_SF_EERKSF_lbbbEUlllE_EE10hipError_tT0_T1_T2_jT3_P12ihipStream_tbPNSt15iterator_traitsISL_E10value_typeEPNSR_ISM_E10value_typeEPSN_NS1_7vsmem_tEENKUlT_SL_SM_SN_E_clIS8_S8_S9_S9_EESK_S10_SL_SM_SN_EUlS10_E_NS1_11comp_targetILNS1_3genE10ELNS1_11target_archE1201ELNS1_3gpuE5ELNS1_3repE0EEENS1_48merge_mergepath_partition_config_static_selectorELNS0_4arch9wavefront6targetE1EEEvSM_.private_seg_size, 0
	.set _ZN7rocprim17ROCPRIM_400000_NS6detail17trampoline_kernelINS0_14default_configENS1_38merge_sort_block_merge_config_selectorIlNS0_10empty_typeEEEZZNS1_27merge_sort_block_merge_implIS3_PlPS5_mZN2at6native12_GLOBAL__N_124unique_dim_cuda_templateIjEESt5tupleIJNSA_6TensorESF_SF_EERKSF_lbbbEUlllE_EE10hipError_tT0_T1_T2_jT3_P12ihipStream_tbPNSt15iterator_traitsISL_E10value_typeEPNSR_ISM_E10value_typeEPSN_NS1_7vsmem_tEENKUlT_SL_SM_SN_E_clIS8_S8_S9_S9_EESK_S10_SL_SM_SN_EUlS10_E_NS1_11comp_targetILNS1_3genE10ELNS1_11target_archE1201ELNS1_3gpuE5ELNS1_3repE0EEENS1_48merge_mergepath_partition_config_static_selectorELNS0_4arch9wavefront6targetE1EEEvSM_.uses_vcc, 0
	.set _ZN7rocprim17ROCPRIM_400000_NS6detail17trampoline_kernelINS0_14default_configENS1_38merge_sort_block_merge_config_selectorIlNS0_10empty_typeEEEZZNS1_27merge_sort_block_merge_implIS3_PlPS5_mZN2at6native12_GLOBAL__N_124unique_dim_cuda_templateIjEESt5tupleIJNSA_6TensorESF_SF_EERKSF_lbbbEUlllE_EE10hipError_tT0_T1_T2_jT3_P12ihipStream_tbPNSt15iterator_traitsISL_E10value_typeEPNSR_ISM_E10value_typeEPSN_NS1_7vsmem_tEENKUlT_SL_SM_SN_E_clIS8_S8_S9_S9_EESK_S10_SL_SM_SN_EUlS10_E_NS1_11comp_targetILNS1_3genE10ELNS1_11target_archE1201ELNS1_3gpuE5ELNS1_3repE0EEENS1_48merge_mergepath_partition_config_static_selectorELNS0_4arch9wavefront6targetE1EEEvSM_.uses_flat_scratch, 0
	.set _ZN7rocprim17ROCPRIM_400000_NS6detail17trampoline_kernelINS0_14default_configENS1_38merge_sort_block_merge_config_selectorIlNS0_10empty_typeEEEZZNS1_27merge_sort_block_merge_implIS3_PlPS5_mZN2at6native12_GLOBAL__N_124unique_dim_cuda_templateIjEESt5tupleIJNSA_6TensorESF_SF_EERKSF_lbbbEUlllE_EE10hipError_tT0_T1_T2_jT3_P12ihipStream_tbPNSt15iterator_traitsISL_E10value_typeEPNSR_ISM_E10value_typeEPSN_NS1_7vsmem_tEENKUlT_SL_SM_SN_E_clIS8_S8_S9_S9_EESK_S10_SL_SM_SN_EUlS10_E_NS1_11comp_targetILNS1_3genE10ELNS1_11target_archE1201ELNS1_3gpuE5ELNS1_3repE0EEENS1_48merge_mergepath_partition_config_static_selectorELNS0_4arch9wavefront6targetE1EEEvSM_.has_dyn_sized_stack, 0
	.set _ZN7rocprim17ROCPRIM_400000_NS6detail17trampoline_kernelINS0_14default_configENS1_38merge_sort_block_merge_config_selectorIlNS0_10empty_typeEEEZZNS1_27merge_sort_block_merge_implIS3_PlPS5_mZN2at6native12_GLOBAL__N_124unique_dim_cuda_templateIjEESt5tupleIJNSA_6TensorESF_SF_EERKSF_lbbbEUlllE_EE10hipError_tT0_T1_T2_jT3_P12ihipStream_tbPNSt15iterator_traitsISL_E10value_typeEPNSR_ISM_E10value_typeEPSN_NS1_7vsmem_tEENKUlT_SL_SM_SN_E_clIS8_S8_S9_S9_EESK_S10_SL_SM_SN_EUlS10_E_NS1_11comp_targetILNS1_3genE10ELNS1_11target_archE1201ELNS1_3gpuE5ELNS1_3repE0EEENS1_48merge_mergepath_partition_config_static_selectorELNS0_4arch9wavefront6targetE1EEEvSM_.has_recursion, 0
	.set _ZN7rocprim17ROCPRIM_400000_NS6detail17trampoline_kernelINS0_14default_configENS1_38merge_sort_block_merge_config_selectorIlNS0_10empty_typeEEEZZNS1_27merge_sort_block_merge_implIS3_PlPS5_mZN2at6native12_GLOBAL__N_124unique_dim_cuda_templateIjEESt5tupleIJNSA_6TensorESF_SF_EERKSF_lbbbEUlllE_EE10hipError_tT0_T1_T2_jT3_P12ihipStream_tbPNSt15iterator_traitsISL_E10value_typeEPNSR_ISM_E10value_typeEPSN_NS1_7vsmem_tEENKUlT_SL_SM_SN_E_clIS8_S8_S9_S9_EESK_S10_SL_SM_SN_EUlS10_E_NS1_11comp_targetILNS1_3genE10ELNS1_11target_archE1201ELNS1_3gpuE5ELNS1_3repE0EEENS1_48merge_mergepath_partition_config_static_selectorELNS0_4arch9wavefront6targetE1EEEvSM_.has_indirect_call, 0
	.section	.AMDGPU.csdata,"",@progbits
; Kernel info:
; codeLenInByte = 0
; TotalNumSgprs: 6
; NumVgprs: 0
; NumAgprs: 0
; TotalNumVgprs: 0
; ScratchSize: 0
; MemoryBound: 0
; FloatMode: 240
; IeeeMode: 1
; LDSByteSize: 0 bytes/workgroup (compile time only)
; SGPRBlocks: 0
; VGPRBlocks: 0
; NumSGPRsForWavesPerEU: 6
; NumVGPRsForWavesPerEU: 1
; AccumOffset: 4
; Occupancy: 8
; WaveLimiterHint : 0
; COMPUTE_PGM_RSRC2:SCRATCH_EN: 0
; COMPUTE_PGM_RSRC2:USER_SGPR: 2
; COMPUTE_PGM_RSRC2:TRAP_HANDLER: 0
; COMPUTE_PGM_RSRC2:TGID_X_EN: 1
; COMPUTE_PGM_RSRC2:TGID_Y_EN: 0
; COMPUTE_PGM_RSRC2:TGID_Z_EN: 0
; COMPUTE_PGM_RSRC2:TIDIG_COMP_CNT: 0
; COMPUTE_PGM_RSRC3_GFX90A:ACCUM_OFFSET: 0
; COMPUTE_PGM_RSRC3_GFX90A:TG_SPLIT: 0
	.section	.text._ZN7rocprim17ROCPRIM_400000_NS6detail17trampoline_kernelINS0_14default_configENS1_38merge_sort_block_merge_config_selectorIlNS0_10empty_typeEEEZZNS1_27merge_sort_block_merge_implIS3_PlPS5_mZN2at6native12_GLOBAL__N_124unique_dim_cuda_templateIjEESt5tupleIJNSA_6TensorESF_SF_EERKSF_lbbbEUlllE_EE10hipError_tT0_T1_T2_jT3_P12ihipStream_tbPNSt15iterator_traitsISL_E10value_typeEPNSR_ISM_E10value_typeEPSN_NS1_7vsmem_tEENKUlT_SL_SM_SN_E_clIS8_S8_S9_S9_EESK_S10_SL_SM_SN_EUlS10_E_NS1_11comp_targetILNS1_3genE5ELNS1_11target_archE942ELNS1_3gpuE9ELNS1_3repE0EEENS1_48merge_mergepath_partition_config_static_selectorELNS0_4arch9wavefront6targetE1EEEvSM_,"axG",@progbits,_ZN7rocprim17ROCPRIM_400000_NS6detail17trampoline_kernelINS0_14default_configENS1_38merge_sort_block_merge_config_selectorIlNS0_10empty_typeEEEZZNS1_27merge_sort_block_merge_implIS3_PlPS5_mZN2at6native12_GLOBAL__N_124unique_dim_cuda_templateIjEESt5tupleIJNSA_6TensorESF_SF_EERKSF_lbbbEUlllE_EE10hipError_tT0_T1_T2_jT3_P12ihipStream_tbPNSt15iterator_traitsISL_E10value_typeEPNSR_ISM_E10value_typeEPSN_NS1_7vsmem_tEENKUlT_SL_SM_SN_E_clIS8_S8_S9_S9_EESK_S10_SL_SM_SN_EUlS10_E_NS1_11comp_targetILNS1_3genE5ELNS1_11target_archE942ELNS1_3gpuE9ELNS1_3repE0EEENS1_48merge_mergepath_partition_config_static_selectorELNS0_4arch9wavefront6targetE1EEEvSM_,comdat
	.globl	_ZN7rocprim17ROCPRIM_400000_NS6detail17trampoline_kernelINS0_14default_configENS1_38merge_sort_block_merge_config_selectorIlNS0_10empty_typeEEEZZNS1_27merge_sort_block_merge_implIS3_PlPS5_mZN2at6native12_GLOBAL__N_124unique_dim_cuda_templateIjEESt5tupleIJNSA_6TensorESF_SF_EERKSF_lbbbEUlllE_EE10hipError_tT0_T1_T2_jT3_P12ihipStream_tbPNSt15iterator_traitsISL_E10value_typeEPNSR_ISM_E10value_typeEPSN_NS1_7vsmem_tEENKUlT_SL_SM_SN_E_clIS8_S8_S9_S9_EESK_S10_SL_SM_SN_EUlS10_E_NS1_11comp_targetILNS1_3genE5ELNS1_11target_archE942ELNS1_3gpuE9ELNS1_3repE0EEENS1_48merge_mergepath_partition_config_static_selectorELNS0_4arch9wavefront6targetE1EEEvSM_ ; -- Begin function _ZN7rocprim17ROCPRIM_400000_NS6detail17trampoline_kernelINS0_14default_configENS1_38merge_sort_block_merge_config_selectorIlNS0_10empty_typeEEEZZNS1_27merge_sort_block_merge_implIS3_PlPS5_mZN2at6native12_GLOBAL__N_124unique_dim_cuda_templateIjEESt5tupleIJNSA_6TensorESF_SF_EERKSF_lbbbEUlllE_EE10hipError_tT0_T1_T2_jT3_P12ihipStream_tbPNSt15iterator_traitsISL_E10value_typeEPNSR_ISM_E10value_typeEPSN_NS1_7vsmem_tEENKUlT_SL_SM_SN_E_clIS8_S8_S9_S9_EESK_S10_SL_SM_SN_EUlS10_E_NS1_11comp_targetILNS1_3genE5ELNS1_11target_archE942ELNS1_3gpuE9ELNS1_3repE0EEENS1_48merge_mergepath_partition_config_static_selectorELNS0_4arch9wavefront6targetE1EEEvSM_
	.p2align	8
	.type	_ZN7rocprim17ROCPRIM_400000_NS6detail17trampoline_kernelINS0_14default_configENS1_38merge_sort_block_merge_config_selectorIlNS0_10empty_typeEEEZZNS1_27merge_sort_block_merge_implIS3_PlPS5_mZN2at6native12_GLOBAL__N_124unique_dim_cuda_templateIjEESt5tupleIJNSA_6TensorESF_SF_EERKSF_lbbbEUlllE_EE10hipError_tT0_T1_T2_jT3_P12ihipStream_tbPNSt15iterator_traitsISL_E10value_typeEPNSR_ISM_E10value_typeEPSN_NS1_7vsmem_tEENKUlT_SL_SM_SN_E_clIS8_S8_S9_S9_EESK_S10_SL_SM_SN_EUlS10_E_NS1_11comp_targetILNS1_3genE5ELNS1_11target_archE942ELNS1_3gpuE9ELNS1_3repE0EEENS1_48merge_mergepath_partition_config_static_selectorELNS0_4arch9wavefront6targetE1EEEvSM_,@function
_ZN7rocprim17ROCPRIM_400000_NS6detail17trampoline_kernelINS0_14default_configENS1_38merge_sort_block_merge_config_selectorIlNS0_10empty_typeEEEZZNS1_27merge_sort_block_merge_implIS3_PlPS5_mZN2at6native12_GLOBAL__N_124unique_dim_cuda_templateIjEESt5tupleIJNSA_6TensorESF_SF_EERKSF_lbbbEUlllE_EE10hipError_tT0_T1_T2_jT3_P12ihipStream_tbPNSt15iterator_traitsISL_E10value_typeEPNSR_ISM_E10value_typeEPSN_NS1_7vsmem_tEENKUlT_SL_SM_SN_E_clIS8_S8_S9_S9_EESK_S10_SL_SM_SN_EUlS10_E_NS1_11comp_targetILNS1_3genE5ELNS1_11target_archE942ELNS1_3gpuE9ELNS1_3repE0EEENS1_48merge_mergepath_partition_config_static_selectorELNS0_4arch9wavefront6targetE1EEEvSM_: ; @_ZN7rocprim17ROCPRIM_400000_NS6detail17trampoline_kernelINS0_14default_configENS1_38merge_sort_block_merge_config_selectorIlNS0_10empty_typeEEEZZNS1_27merge_sort_block_merge_implIS3_PlPS5_mZN2at6native12_GLOBAL__N_124unique_dim_cuda_templateIjEESt5tupleIJNSA_6TensorESF_SF_EERKSF_lbbbEUlllE_EE10hipError_tT0_T1_T2_jT3_P12ihipStream_tbPNSt15iterator_traitsISL_E10value_typeEPNSR_ISM_E10value_typeEPSN_NS1_7vsmem_tEENKUlT_SL_SM_SN_E_clIS8_S8_S9_S9_EESK_S10_SL_SM_SN_EUlS10_E_NS1_11comp_targetILNS1_3genE5ELNS1_11target_archE942ELNS1_3gpuE9ELNS1_3repE0EEENS1_48merge_mergepath_partition_config_static_selectorELNS0_4arch9wavefront6targetE1EEEvSM_
; %bb.0:
	.section	.rodata,"a",@progbits
	.p2align	6, 0x0
	.amdhsa_kernel _ZN7rocprim17ROCPRIM_400000_NS6detail17trampoline_kernelINS0_14default_configENS1_38merge_sort_block_merge_config_selectorIlNS0_10empty_typeEEEZZNS1_27merge_sort_block_merge_implIS3_PlPS5_mZN2at6native12_GLOBAL__N_124unique_dim_cuda_templateIjEESt5tupleIJNSA_6TensorESF_SF_EERKSF_lbbbEUlllE_EE10hipError_tT0_T1_T2_jT3_P12ihipStream_tbPNSt15iterator_traitsISL_E10value_typeEPNSR_ISM_E10value_typeEPSN_NS1_7vsmem_tEENKUlT_SL_SM_SN_E_clIS8_S8_S9_S9_EESK_S10_SL_SM_SN_EUlS10_E_NS1_11comp_targetILNS1_3genE5ELNS1_11target_archE942ELNS1_3gpuE9ELNS1_3repE0EEENS1_48merge_mergepath_partition_config_static_selectorELNS0_4arch9wavefront6targetE1EEEvSM_
		.amdhsa_group_segment_fixed_size 0
		.amdhsa_private_segment_fixed_size 0
		.amdhsa_kernarg_size 56
		.amdhsa_user_sgpr_count 2
		.amdhsa_user_sgpr_dispatch_ptr 0
		.amdhsa_user_sgpr_queue_ptr 0
		.amdhsa_user_sgpr_kernarg_segment_ptr 1
		.amdhsa_user_sgpr_dispatch_id 0
		.amdhsa_user_sgpr_kernarg_preload_length 0
		.amdhsa_user_sgpr_kernarg_preload_offset 0
		.amdhsa_user_sgpr_private_segment_size 0
		.amdhsa_uses_dynamic_stack 0
		.amdhsa_enable_private_segment 0
		.amdhsa_system_sgpr_workgroup_id_x 1
		.amdhsa_system_sgpr_workgroup_id_y 0
		.amdhsa_system_sgpr_workgroup_id_z 0
		.amdhsa_system_sgpr_workgroup_info 0
		.amdhsa_system_vgpr_workitem_id 0
		.amdhsa_next_free_vgpr 1
		.amdhsa_next_free_sgpr 0
		.amdhsa_accum_offset 4
		.amdhsa_reserve_vcc 0
		.amdhsa_float_round_mode_32 0
		.amdhsa_float_round_mode_16_64 0
		.amdhsa_float_denorm_mode_32 3
		.amdhsa_float_denorm_mode_16_64 3
		.amdhsa_dx10_clamp 1
		.amdhsa_ieee_mode 1
		.amdhsa_fp16_overflow 0
		.amdhsa_tg_split 0
		.amdhsa_exception_fp_ieee_invalid_op 0
		.amdhsa_exception_fp_denorm_src 0
		.amdhsa_exception_fp_ieee_div_zero 0
		.amdhsa_exception_fp_ieee_overflow 0
		.amdhsa_exception_fp_ieee_underflow 0
		.amdhsa_exception_fp_ieee_inexact 0
		.amdhsa_exception_int_div_zero 0
	.end_amdhsa_kernel
	.section	.text._ZN7rocprim17ROCPRIM_400000_NS6detail17trampoline_kernelINS0_14default_configENS1_38merge_sort_block_merge_config_selectorIlNS0_10empty_typeEEEZZNS1_27merge_sort_block_merge_implIS3_PlPS5_mZN2at6native12_GLOBAL__N_124unique_dim_cuda_templateIjEESt5tupleIJNSA_6TensorESF_SF_EERKSF_lbbbEUlllE_EE10hipError_tT0_T1_T2_jT3_P12ihipStream_tbPNSt15iterator_traitsISL_E10value_typeEPNSR_ISM_E10value_typeEPSN_NS1_7vsmem_tEENKUlT_SL_SM_SN_E_clIS8_S8_S9_S9_EESK_S10_SL_SM_SN_EUlS10_E_NS1_11comp_targetILNS1_3genE5ELNS1_11target_archE942ELNS1_3gpuE9ELNS1_3repE0EEENS1_48merge_mergepath_partition_config_static_selectorELNS0_4arch9wavefront6targetE1EEEvSM_,"axG",@progbits,_ZN7rocprim17ROCPRIM_400000_NS6detail17trampoline_kernelINS0_14default_configENS1_38merge_sort_block_merge_config_selectorIlNS0_10empty_typeEEEZZNS1_27merge_sort_block_merge_implIS3_PlPS5_mZN2at6native12_GLOBAL__N_124unique_dim_cuda_templateIjEESt5tupleIJNSA_6TensorESF_SF_EERKSF_lbbbEUlllE_EE10hipError_tT0_T1_T2_jT3_P12ihipStream_tbPNSt15iterator_traitsISL_E10value_typeEPNSR_ISM_E10value_typeEPSN_NS1_7vsmem_tEENKUlT_SL_SM_SN_E_clIS8_S8_S9_S9_EESK_S10_SL_SM_SN_EUlS10_E_NS1_11comp_targetILNS1_3genE5ELNS1_11target_archE942ELNS1_3gpuE9ELNS1_3repE0EEENS1_48merge_mergepath_partition_config_static_selectorELNS0_4arch9wavefront6targetE1EEEvSM_,comdat
.Lfunc_end1494:
	.size	_ZN7rocprim17ROCPRIM_400000_NS6detail17trampoline_kernelINS0_14default_configENS1_38merge_sort_block_merge_config_selectorIlNS0_10empty_typeEEEZZNS1_27merge_sort_block_merge_implIS3_PlPS5_mZN2at6native12_GLOBAL__N_124unique_dim_cuda_templateIjEESt5tupleIJNSA_6TensorESF_SF_EERKSF_lbbbEUlllE_EE10hipError_tT0_T1_T2_jT3_P12ihipStream_tbPNSt15iterator_traitsISL_E10value_typeEPNSR_ISM_E10value_typeEPSN_NS1_7vsmem_tEENKUlT_SL_SM_SN_E_clIS8_S8_S9_S9_EESK_S10_SL_SM_SN_EUlS10_E_NS1_11comp_targetILNS1_3genE5ELNS1_11target_archE942ELNS1_3gpuE9ELNS1_3repE0EEENS1_48merge_mergepath_partition_config_static_selectorELNS0_4arch9wavefront6targetE1EEEvSM_, .Lfunc_end1494-_ZN7rocprim17ROCPRIM_400000_NS6detail17trampoline_kernelINS0_14default_configENS1_38merge_sort_block_merge_config_selectorIlNS0_10empty_typeEEEZZNS1_27merge_sort_block_merge_implIS3_PlPS5_mZN2at6native12_GLOBAL__N_124unique_dim_cuda_templateIjEESt5tupleIJNSA_6TensorESF_SF_EERKSF_lbbbEUlllE_EE10hipError_tT0_T1_T2_jT3_P12ihipStream_tbPNSt15iterator_traitsISL_E10value_typeEPNSR_ISM_E10value_typeEPSN_NS1_7vsmem_tEENKUlT_SL_SM_SN_E_clIS8_S8_S9_S9_EESK_S10_SL_SM_SN_EUlS10_E_NS1_11comp_targetILNS1_3genE5ELNS1_11target_archE942ELNS1_3gpuE9ELNS1_3repE0EEENS1_48merge_mergepath_partition_config_static_selectorELNS0_4arch9wavefront6targetE1EEEvSM_
                                        ; -- End function
	.set _ZN7rocprim17ROCPRIM_400000_NS6detail17trampoline_kernelINS0_14default_configENS1_38merge_sort_block_merge_config_selectorIlNS0_10empty_typeEEEZZNS1_27merge_sort_block_merge_implIS3_PlPS5_mZN2at6native12_GLOBAL__N_124unique_dim_cuda_templateIjEESt5tupleIJNSA_6TensorESF_SF_EERKSF_lbbbEUlllE_EE10hipError_tT0_T1_T2_jT3_P12ihipStream_tbPNSt15iterator_traitsISL_E10value_typeEPNSR_ISM_E10value_typeEPSN_NS1_7vsmem_tEENKUlT_SL_SM_SN_E_clIS8_S8_S9_S9_EESK_S10_SL_SM_SN_EUlS10_E_NS1_11comp_targetILNS1_3genE5ELNS1_11target_archE942ELNS1_3gpuE9ELNS1_3repE0EEENS1_48merge_mergepath_partition_config_static_selectorELNS0_4arch9wavefront6targetE1EEEvSM_.num_vgpr, 0
	.set _ZN7rocprim17ROCPRIM_400000_NS6detail17trampoline_kernelINS0_14default_configENS1_38merge_sort_block_merge_config_selectorIlNS0_10empty_typeEEEZZNS1_27merge_sort_block_merge_implIS3_PlPS5_mZN2at6native12_GLOBAL__N_124unique_dim_cuda_templateIjEESt5tupleIJNSA_6TensorESF_SF_EERKSF_lbbbEUlllE_EE10hipError_tT0_T1_T2_jT3_P12ihipStream_tbPNSt15iterator_traitsISL_E10value_typeEPNSR_ISM_E10value_typeEPSN_NS1_7vsmem_tEENKUlT_SL_SM_SN_E_clIS8_S8_S9_S9_EESK_S10_SL_SM_SN_EUlS10_E_NS1_11comp_targetILNS1_3genE5ELNS1_11target_archE942ELNS1_3gpuE9ELNS1_3repE0EEENS1_48merge_mergepath_partition_config_static_selectorELNS0_4arch9wavefront6targetE1EEEvSM_.num_agpr, 0
	.set _ZN7rocprim17ROCPRIM_400000_NS6detail17trampoline_kernelINS0_14default_configENS1_38merge_sort_block_merge_config_selectorIlNS0_10empty_typeEEEZZNS1_27merge_sort_block_merge_implIS3_PlPS5_mZN2at6native12_GLOBAL__N_124unique_dim_cuda_templateIjEESt5tupleIJNSA_6TensorESF_SF_EERKSF_lbbbEUlllE_EE10hipError_tT0_T1_T2_jT3_P12ihipStream_tbPNSt15iterator_traitsISL_E10value_typeEPNSR_ISM_E10value_typeEPSN_NS1_7vsmem_tEENKUlT_SL_SM_SN_E_clIS8_S8_S9_S9_EESK_S10_SL_SM_SN_EUlS10_E_NS1_11comp_targetILNS1_3genE5ELNS1_11target_archE942ELNS1_3gpuE9ELNS1_3repE0EEENS1_48merge_mergepath_partition_config_static_selectorELNS0_4arch9wavefront6targetE1EEEvSM_.numbered_sgpr, 0
	.set _ZN7rocprim17ROCPRIM_400000_NS6detail17trampoline_kernelINS0_14default_configENS1_38merge_sort_block_merge_config_selectorIlNS0_10empty_typeEEEZZNS1_27merge_sort_block_merge_implIS3_PlPS5_mZN2at6native12_GLOBAL__N_124unique_dim_cuda_templateIjEESt5tupleIJNSA_6TensorESF_SF_EERKSF_lbbbEUlllE_EE10hipError_tT0_T1_T2_jT3_P12ihipStream_tbPNSt15iterator_traitsISL_E10value_typeEPNSR_ISM_E10value_typeEPSN_NS1_7vsmem_tEENKUlT_SL_SM_SN_E_clIS8_S8_S9_S9_EESK_S10_SL_SM_SN_EUlS10_E_NS1_11comp_targetILNS1_3genE5ELNS1_11target_archE942ELNS1_3gpuE9ELNS1_3repE0EEENS1_48merge_mergepath_partition_config_static_selectorELNS0_4arch9wavefront6targetE1EEEvSM_.num_named_barrier, 0
	.set _ZN7rocprim17ROCPRIM_400000_NS6detail17trampoline_kernelINS0_14default_configENS1_38merge_sort_block_merge_config_selectorIlNS0_10empty_typeEEEZZNS1_27merge_sort_block_merge_implIS3_PlPS5_mZN2at6native12_GLOBAL__N_124unique_dim_cuda_templateIjEESt5tupleIJNSA_6TensorESF_SF_EERKSF_lbbbEUlllE_EE10hipError_tT0_T1_T2_jT3_P12ihipStream_tbPNSt15iterator_traitsISL_E10value_typeEPNSR_ISM_E10value_typeEPSN_NS1_7vsmem_tEENKUlT_SL_SM_SN_E_clIS8_S8_S9_S9_EESK_S10_SL_SM_SN_EUlS10_E_NS1_11comp_targetILNS1_3genE5ELNS1_11target_archE942ELNS1_3gpuE9ELNS1_3repE0EEENS1_48merge_mergepath_partition_config_static_selectorELNS0_4arch9wavefront6targetE1EEEvSM_.private_seg_size, 0
	.set _ZN7rocprim17ROCPRIM_400000_NS6detail17trampoline_kernelINS0_14default_configENS1_38merge_sort_block_merge_config_selectorIlNS0_10empty_typeEEEZZNS1_27merge_sort_block_merge_implIS3_PlPS5_mZN2at6native12_GLOBAL__N_124unique_dim_cuda_templateIjEESt5tupleIJNSA_6TensorESF_SF_EERKSF_lbbbEUlllE_EE10hipError_tT0_T1_T2_jT3_P12ihipStream_tbPNSt15iterator_traitsISL_E10value_typeEPNSR_ISM_E10value_typeEPSN_NS1_7vsmem_tEENKUlT_SL_SM_SN_E_clIS8_S8_S9_S9_EESK_S10_SL_SM_SN_EUlS10_E_NS1_11comp_targetILNS1_3genE5ELNS1_11target_archE942ELNS1_3gpuE9ELNS1_3repE0EEENS1_48merge_mergepath_partition_config_static_selectorELNS0_4arch9wavefront6targetE1EEEvSM_.uses_vcc, 0
	.set _ZN7rocprim17ROCPRIM_400000_NS6detail17trampoline_kernelINS0_14default_configENS1_38merge_sort_block_merge_config_selectorIlNS0_10empty_typeEEEZZNS1_27merge_sort_block_merge_implIS3_PlPS5_mZN2at6native12_GLOBAL__N_124unique_dim_cuda_templateIjEESt5tupleIJNSA_6TensorESF_SF_EERKSF_lbbbEUlllE_EE10hipError_tT0_T1_T2_jT3_P12ihipStream_tbPNSt15iterator_traitsISL_E10value_typeEPNSR_ISM_E10value_typeEPSN_NS1_7vsmem_tEENKUlT_SL_SM_SN_E_clIS8_S8_S9_S9_EESK_S10_SL_SM_SN_EUlS10_E_NS1_11comp_targetILNS1_3genE5ELNS1_11target_archE942ELNS1_3gpuE9ELNS1_3repE0EEENS1_48merge_mergepath_partition_config_static_selectorELNS0_4arch9wavefront6targetE1EEEvSM_.uses_flat_scratch, 0
	.set _ZN7rocprim17ROCPRIM_400000_NS6detail17trampoline_kernelINS0_14default_configENS1_38merge_sort_block_merge_config_selectorIlNS0_10empty_typeEEEZZNS1_27merge_sort_block_merge_implIS3_PlPS5_mZN2at6native12_GLOBAL__N_124unique_dim_cuda_templateIjEESt5tupleIJNSA_6TensorESF_SF_EERKSF_lbbbEUlllE_EE10hipError_tT0_T1_T2_jT3_P12ihipStream_tbPNSt15iterator_traitsISL_E10value_typeEPNSR_ISM_E10value_typeEPSN_NS1_7vsmem_tEENKUlT_SL_SM_SN_E_clIS8_S8_S9_S9_EESK_S10_SL_SM_SN_EUlS10_E_NS1_11comp_targetILNS1_3genE5ELNS1_11target_archE942ELNS1_3gpuE9ELNS1_3repE0EEENS1_48merge_mergepath_partition_config_static_selectorELNS0_4arch9wavefront6targetE1EEEvSM_.has_dyn_sized_stack, 0
	.set _ZN7rocprim17ROCPRIM_400000_NS6detail17trampoline_kernelINS0_14default_configENS1_38merge_sort_block_merge_config_selectorIlNS0_10empty_typeEEEZZNS1_27merge_sort_block_merge_implIS3_PlPS5_mZN2at6native12_GLOBAL__N_124unique_dim_cuda_templateIjEESt5tupleIJNSA_6TensorESF_SF_EERKSF_lbbbEUlllE_EE10hipError_tT0_T1_T2_jT3_P12ihipStream_tbPNSt15iterator_traitsISL_E10value_typeEPNSR_ISM_E10value_typeEPSN_NS1_7vsmem_tEENKUlT_SL_SM_SN_E_clIS8_S8_S9_S9_EESK_S10_SL_SM_SN_EUlS10_E_NS1_11comp_targetILNS1_3genE5ELNS1_11target_archE942ELNS1_3gpuE9ELNS1_3repE0EEENS1_48merge_mergepath_partition_config_static_selectorELNS0_4arch9wavefront6targetE1EEEvSM_.has_recursion, 0
	.set _ZN7rocprim17ROCPRIM_400000_NS6detail17trampoline_kernelINS0_14default_configENS1_38merge_sort_block_merge_config_selectorIlNS0_10empty_typeEEEZZNS1_27merge_sort_block_merge_implIS3_PlPS5_mZN2at6native12_GLOBAL__N_124unique_dim_cuda_templateIjEESt5tupleIJNSA_6TensorESF_SF_EERKSF_lbbbEUlllE_EE10hipError_tT0_T1_T2_jT3_P12ihipStream_tbPNSt15iterator_traitsISL_E10value_typeEPNSR_ISM_E10value_typeEPSN_NS1_7vsmem_tEENKUlT_SL_SM_SN_E_clIS8_S8_S9_S9_EESK_S10_SL_SM_SN_EUlS10_E_NS1_11comp_targetILNS1_3genE5ELNS1_11target_archE942ELNS1_3gpuE9ELNS1_3repE0EEENS1_48merge_mergepath_partition_config_static_selectorELNS0_4arch9wavefront6targetE1EEEvSM_.has_indirect_call, 0
	.section	.AMDGPU.csdata,"",@progbits
; Kernel info:
; codeLenInByte = 0
; TotalNumSgprs: 6
; NumVgprs: 0
; NumAgprs: 0
; TotalNumVgprs: 0
; ScratchSize: 0
; MemoryBound: 0
; FloatMode: 240
; IeeeMode: 1
; LDSByteSize: 0 bytes/workgroup (compile time only)
; SGPRBlocks: 0
; VGPRBlocks: 0
; NumSGPRsForWavesPerEU: 6
; NumVGPRsForWavesPerEU: 1
; AccumOffset: 4
; Occupancy: 8
; WaveLimiterHint : 0
; COMPUTE_PGM_RSRC2:SCRATCH_EN: 0
; COMPUTE_PGM_RSRC2:USER_SGPR: 2
; COMPUTE_PGM_RSRC2:TRAP_HANDLER: 0
; COMPUTE_PGM_RSRC2:TGID_X_EN: 1
; COMPUTE_PGM_RSRC2:TGID_Y_EN: 0
; COMPUTE_PGM_RSRC2:TGID_Z_EN: 0
; COMPUTE_PGM_RSRC2:TIDIG_COMP_CNT: 0
; COMPUTE_PGM_RSRC3_GFX90A:ACCUM_OFFSET: 0
; COMPUTE_PGM_RSRC3_GFX90A:TG_SPLIT: 0
	.section	.text._ZN7rocprim17ROCPRIM_400000_NS6detail17trampoline_kernelINS0_14default_configENS1_38merge_sort_block_merge_config_selectorIlNS0_10empty_typeEEEZZNS1_27merge_sort_block_merge_implIS3_PlPS5_mZN2at6native12_GLOBAL__N_124unique_dim_cuda_templateIjEESt5tupleIJNSA_6TensorESF_SF_EERKSF_lbbbEUlllE_EE10hipError_tT0_T1_T2_jT3_P12ihipStream_tbPNSt15iterator_traitsISL_E10value_typeEPNSR_ISM_E10value_typeEPSN_NS1_7vsmem_tEENKUlT_SL_SM_SN_E_clIS8_S8_S9_S9_EESK_S10_SL_SM_SN_EUlS10_E_NS1_11comp_targetILNS1_3genE4ELNS1_11target_archE910ELNS1_3gpuE8ELNS1_3repE0EEENS1_48merge_mergepath_partition_config_static_selectorELNS0_4arch9wavefront6targetE1EEEvSM_,"axG",@progbits,_ZN7rocprim17ROCPRIM_400000_NS6detail17trampoline_kernelINS0_14default_configENS1_38merge_sort_block_merge_config_selectorIlNS0_10empty_typeEEEZZNS1_27merge_sort_block_merge_implIS3_PlPS5_mZN2at6native12_GLOBAL__N_124unique_dim_cuda_templateIjEESt5tupleIJNSA_6TensorESF_SF_EERKSF_lbbbEUlllE_EE10hipError_tT0_T1_T2_jT3_P12ihipStream_tbPNSt15iterator_traitsISL_E10value_typeEPNSR_ISM_E10value_typeEPSN_NS1_7vsmem_tEENKUlT_SL_SM_SN_E_clIS8_S8_S9_S9_EESK_S10_SL_SM_SN_EUlS10_E_NS1_11comp_targetILNS1_3genE4ELNS1_11target_archE910ELNS1_3gpuE8ELNS1_3repE0EEENS1_48merge_mergepath_partition_config_static_selectorELNS0_4arch9wavefront6targetE1EEEvSM_,comdat
	.globl	_ZN7rocprim17ROCPRIM_400000_NS6detail17trampoline_kernelINS0_14default_configENS1_38merge_sort_block_merge_config_selectorIlNS0_10empty_typeEEEZZNS1_27merge_sort_block_merge_implIS3_PlPS5_mZN2at6native12_GLOBAL__N_124unique_dim_cuda_templateIjEESt5tupleIJNSA_6TensorESF_SF_EERKSF_lbbbEUlllE_EE10hipError_tT0_T1_T2_jT3_P12ihipStream_tbPNSt15iterator_traitsISL_E10value_typeEPNSR_ISM_E10value_typeEPSN_NS1_7vsmem_tEENKUlT_SL_SM_SN_E_clIS8_S8_S9_S9_EESK_S10_SL_SM_SN_EUlS10_E_NS1_11comp_targetILNS1_3genE4ELNS1_11target_archE910ELNS1_3gpuE8ELNS1_3repE0EEENS1_48merge_mergepath_partition_config_static_selectorELNS0_4arch9wavefront6targetE1EEEvSM_ ; -- Begin function _ZN7rocprim17ROCPRIM_400000_NS6detail17trampoline_kernelINS0_14default_configENS1_38merge_sort_block_merge_config_selectorIlNS0_10empty_typeEEEZZNS1_27merge_sort_block_merge_implIS3_PlPS5_mZN2at6native12_GLOBAL__N_124unique_dim_cuda_templateIjEESt5tupleIJNSA_6TensorESF_SF_EERKSF_lbbbEUlllE_EE10hipError_tT0_T1_T2_jT3_P12ihipStream_tbPNSt15iterator_traitsISL_E10value_typeEPNSR_ISM_E10value_typeEPSN_NS1_7vsmem_tEENKUlT_SL_SM_SN_E_clIS8_S8_S9_S9_EESK_S10_SL_SM_SN_EUlS10_E_NS1_11comp_targetILNS1_3genE4ELNS1_11target_archE910ELNS1_3gpuE8ELNS1_3repE0EEENS1_48merge_mergepath_partition_config_static_selectorELNS0_4arch9wavefront6targetE1EEEvSM_
	.p2align	8
	.type	_ZN7rocprim17ROCPRIM_400000_NS6detail17trampoline_kernelINS0_14default_configENS1_38merge_sort_block_merge_config_selectorIlNS0_10empty_typeEEEZZNS1_27merge_sort_block_merge_implIS3_PlPS5_mZN2at6native12_GLOBAL__N_124unique_dim_cuda_templateIjEESt5tupleIJNSA_6TensorESF_SF_EERKSF_lbbbEUlllE_EE10hipError_tT0_T1_T2_jT3_P12ihipStream_tbPNSt15iterator_traitsISL_E10value_typeEPNSR_ISM_E10value_typeEPSN_NS1_7vsmem_tEENKUlT_SL_SM_SN_E_clIS8_S8_S9_S9_EESK_S10_SL_SM_SN_EUlS10_E_NS1_11comp_targetILNS1_3genE4ELNS1_11target_archE910ELNS1_3gpuE8ELNS1_3repE0EEENS1_48merge_mergepath_partition_config_static_selectorELNS0_4arch9wavefront6targetE1EEEvSM_,@function
_ZN7rocprim17ROCPRIM_400000_NS6detail17trampoline_kernelINS0_14default_configENS1_38merge_sort_block_merge_config_selectorIlNS0_10empty_typeEEEZZNS1_27merge_sort_block_merge_implIS3_PlPS5_mZN2at6native12_GLOBAL__N_124unique_dim_cuda_templateIjEESt5tupleIJNSA_6TensorESF_SF_EERKSF_lbbbEUlllE_EE10hipError_tT0_T1_T2_jT3_P12ihipStream_tbPNSt15iterator_traitsISL_E10value_typeEPNSR_ISM_E10value_typeEPSN_NS1_7vsmem_tEENKUlT_SL_SM_SN_E_clIS8_S8_S9_S9_EESK_S10_SL_SM_SN_EUlS10_E_NS1_11comp_targetILNS1_3genE4ELNS1_11target_archE910ELNS1_3gpuE8ELNS1_3repE0EEENS1_48merge_mergepath_partition_config_static_selectorELNS0_4arch9wavefront6targetE1EEEvSM_: ; @_ZN7rocprim17ROCPRIM_400000_NS6detail17trampoline_kernelINS0_14default_configENS1_38merge_sort_block_merge_config_selectorIlNS0_10empty_typeEEEZZNS1_27merge_sort_block_merge_implIS3_PlPS5_mZN2at6native12_GLOBAL__N_124unique_dim_cuda_templateIjEESt5tupleIJNSA_6TensorESF_SF_EERKSF_lbbbEUlllE_EE10hipError_tT0_T1_T2_jT3_P12ihipStream_tbPNSt15iterator_traitsISL_E10value_typeEPNSR_ISM_E10value_typeEPSN_NS1_7vsmem_tEENKUlT_SL_SM_SN_E_clIS8_S8_S9_S9_EESK_S10_SL_SM_SN_EUlS10_E_NS1_11comp_targetILNS1_3genE4ELNS1_11target_archE910ELNS1_3gpuE8ELNS1_3repE0EEENS1_48merge_mergepath_partition_config_static_selectorELNS0_4arch9wavefront6targetE1EEEvSM_
; %bb.0:
	.section	.rodata,"a",@progbits
	.p2align	6, 0x0
	.amdhsa_kernel _ZN7rocprim17ROCPRIM_400000_NS6detail17trampoline_kernelINS0_14default_configENS1_38merge_sort_block_merge_config_selectorIlNS0_10empty_typeEEEZZNS1_27merge_sort_block_merge_implIS3_PlPS5_mZN2at6native12_GLOBAL__N_124unique_dim_cuda_templateIjEESt5tupleIJNSA_6TensorESF_SF_EERKSF_lbbbEUlllE_EE10hipError_tT0_T1_T2_jT3_P12ihipStream_tbPNSt15iterator_traitsISL_E10value_typeEPNSR_ISM_E10value_typeEPSN_NS1_7vsmem_tEENKUlT_SL_SM_SN_E_clIS8_S8_S9_S9_EESK_S10_SL_SM_SN_EUlS10_E_NS1_11comp_targetILNS1_3genE4ELNS1_11target_archE910ELNS1_3gpuE8ELNS1_3repE0EEENS1_48merge_mergepath_partition_config_static_selectorELNS0_4arch9wavefront6targetE1EEEvSM_
		.amdhsa_group_segment_fixed_size 0
		.amdhsa_private_segment_fixed_size 0
		.amdhsa_kernarg_size 56
		.amdhsa_user_sgpr_count 2
		.amdhsa_user_sgpr_dispatch_ptr 0
		.amdhsa_user_sgpr_queue_ptr 0
		.amdhsa_user_sgpr_kernarg_segment_ptr 1
		.amdhsa_user_sgpr_dispatch_id 0
		.amdhsa_user_sgpr_kernarg_preload_length 0
		.amdhsa_user_sgpr_kernarg_preload_offset 0
		.amdhsa_user_sgpr_private_segment_size 0
		.amdhsa_uses_dynamic_stack 0
		.amdhsa_enable_private_segment 0
		.amdhsa_system_sgpr_workgroup_id_x 1
		.amdhsa_system_sgpr_workgroup_id_y 0
		.amdhsa_system_sgpr_workgroup_id_z 0
		.amdhsa_system_sgpr_workgroup_info 0
		.amdhsa_system_vgpr_workitem_id 0
		.amdhsa_next_free_vgpr 1
		.amdhsa_next_free_sgpr 0
		.amdhsa_accum_offset 4
		.amdhsa_reserve_vcc 0
		.amdhsa_float_round_mode_32 0
		.amdhsa_float_round_mode_16_64 0
		.amdhsa_float_denorm_mode_32 3
		.amdhsa_float_denorm_mode_16_64 3
		.amdhsa_dx10_clamp 1
		.amdhsa_ieee_mode 1
		.amdhsa_fp16_overflow 0
		.amdhsa_tg_split 0
		.amdhsa_exception_fp_ieee_invalid_op 0
		.amdhsa_exception_fp_denorm_src 0
		.amdhsa_exception_fp_ieee_div_zero 0
		.amdhsa_exception_fp_ieee_overflow 0
		.amdhsa_exception_fp_ieee_underflow 0
		.amdhsa_exception_fp_ieee_inexact 0
		.amdhsa_exception_int_div_zero 0
	.end_amdhsa_kernel
	.section	.text._ZN7rocprim17ROCPRIM_400000_NS6detail17trampoline_kernelINS0_14default_configENS1_38merge_sort_block_merge_config_selectorIlNS0_10empty_typeEEEZZNS1_27merge_sort_block_merge_implIS3_PlPS5_mZN2at6native12_GLOBAL__N_124unique_dim_cuda_templateIjEESt5tupleIJNSA_6TensorESF_SF_EERKSF_lbbbEUlllE_EE10hipError_tT0_T1_T2_jT3_P12ihipStream_tbPNSt15iterator_traitsISL_E10value_typeEPNSR_ISM_E10value_typeEPSN_NS1_7vsmem_tEENKUlT_SL_SM_SN_E_clIS8_S8_S9_S9_EESK_S10_SL_SM_SN_EUlS10_E_NS1_11comp_targetILNS1_3genE4ELNS1_11target_archE910ELNS1_3gpuE8ELNS1_3repE0EEENS1_48merge_mergepath_partition_config_static_selectorELNS0_4arch9wavefront6targetE1EEEvSM_,"axG",@progbits,_ZN7rocprim17ROCPRIM_400000_NS6detail17trampoline_kernelINS0_14default_configENS1_38merge_sort_block_merge_config_selectorIlNS0_10empty_typeEEEZZNS1_27merge_sort_block_merge_implIS3_PlPS5_mZN2at6native12_GLOBAL__N_124unique_dim_cuda_templateIjEESt5tupleIJNSA_6TensorESF_SF_EERKSF_lbbbEUlllE_EE10hipError_tT0_T1_T2_jT3_P12ihipStream_tbPNSt15iterator_traitsISL_E10value_typeEPNSR_ISM_E10value_typeEPSN_NS1_7vsmem_tEENKUlT_SL_SM_SN_E_clIS8_S8_S9_S9_EESK_S10_SL_SM_SN_EUlS10_E_NS1_11comp_targetILNS1_3genE4ELNS1_11target_archE910ELNS1_3gpuE8ELNS1_3repE0EEENS1_48merge_mergepath_partition_config_static_selectorELNS0_4arch9wavefront6targetE1EEEvSM_,comdat
.Lfunc_end1495:
	.size	_ZN7rocprim17ROCPRIM_400000_NS6detail17trampoline_kernelINS0_14default_configENS1_38merge_sort_block_merge_config_selectorIlNS0_10empty_typeEEEZZNS1_27merge_sort_block_merge_implIS3_PlPS5_mZN2at6native12_GLOBAL__N_124unique_dim_cuda_templateIjEESt5tupleIJNSA_6TensorESF_SF_EERKSF_lbbbEUlllE_EE10hipError_tT0_T1_T2_jT3_P12ihipStream_tbPNSt15iterator_traitsISL_E10value_typeEPNSR_ISM_E10value_typeEPSN_NS1_7vsmem_tEENKUlT_SL_SM_SN_E_clIS8_S8_S9_S9_EESK_S10_SL_SM_SN_EUlS10_E_NS1_11comp_targetILNS1_3genE4ELNS1_11target_archE910ELNS1_3gpuE8ELNS1_3repE0EEENS1_48merge_mergepath_partition_config_static_selectorELNS0_4arch9wavefront6targetE1EEEvSM_, .Lfunc_end1495-_ZN7rocprim17ROCPRIM_400000_NS6detail17trampoline_kernelINS0_14default_configENS1_38merge_sort_block_merge_config_selectorIlNS0_10empty_typeEEEZZNS1_27merge_sort_block_merge_implIS3_PlPS5_mZN2at6native12_GLOBAL__N_124unique_dim_cuda_templateIjEESt5tupleIJNSA_6TensorESF_SF_EERKSF_lbbbEUlllE_EE10hipError_tT0_T1_T2_jT3_P12ihipStream_tbPNSt15iterator_traitsISL_E10value_typeEPNSR_ISM_E10value_typeEPSN_NS1_7vsmem_tEENKUlT_SL_SM_SN_E_clIS8_S8_S9_S9_EESK_S10_SL_SM_SN_EUlS10_E_NS1_11comp_targetILNS1_3genE4ELNS1_11target_archE910ELNS1_3gpuE8ELNS1_3repE0EEENS1_48merge_mergepath_partition_config_static_selectorELNS0_4arch9wavefront6targetE1EEEvSM_
                                        ; -- End function
	.set _ZN7rocprim17ROCPRIM_400000_NS6detail17trampoline_kernelINS0_14default_configENS1_38merge_sort_block_merge_config_selectorIlNS0_10empty_typeEEEZZNS1_27merge_sort_block_merge_implIS3_PlPS5_mZN2at6native12_GLOBAL__N_124unique_dim_cuda_templateIjEESt5tupleIJNSA_6TensorESF_SF_EERKSF_lbbbEUlllE_EE10hipError_tT0_T1_T2_jT3_P12ihipStream_tbPNSt15iterator_traitsISL_E10value_typeEPNSR_ISM_E10value_typeEPSN_NS1_7vsmem_tEENKUlT_SL_SM_SN_E_clIS8_S8_S9_S9_EESK_S10_SL_SM_SN_EUlS10_E_NS1_11comp_targetILNS1_3genE4ELNS1_11target_archE910ELNS1_3gpuE8ELNS1_3repE0EEENS1_48merge_mergepath_partition_config_static_selectorELNS0_4arch9wavefront6targetE1EEEvSM_.num_vgpr, 0
	.set _ZN7rocprim17ROCPRIM_400000_NS6detail17trampoline_kernelINS0_14default_configENS1_38merge_sort_block_merge_config_selectorIlNS0_10empty_typeEEEZZNS1_27merge_sort_block_merge_implIS3_PlPS5_mZN2at6native12_GLOBAL__N_124unique_dim_cuda_templateIjEESt5tupleIJNSA_6TensorESF_SF_EERKSF_lbbbEUlllE_EE10hipError_tT0_T1_T2_jT3_P12ihipStream_tbPNSt15iterator_traitsISL_E10value_typeEPNSR_ISM_E10value_typeEPSN_NS1_7vsmem_tEENKUlT_SL_SM_SN_E_clIS8_S8_S9_S9_EESK_S10_SL_SM_SN_EUlS10_E_NS1_11comp_targetILNS1_3genE4ELNS1_11target_archE910ELNS1_3gpuE8ELNS1_3repE0EEENS1_48merge_mergepath_partition_config_static_selectorELNS0_4arch9wavefront6targetE1EEEvSM_.num_agpr, 0
	.set _ZN7rocprim17ROCPRIM_400000_NS6detail17trampoline_kernelINS0_14default_configENS1_38merge_sort_block_merge_config_selectorIlNS0_10empty_typeEEEZZNS1_27merge_sort_block_merge_implIS3_PlPS5_mZN2at6native12_GLOBAL__N_124unique_dim_cuda_templateIjEESt5tupleIJNSA_6TensorESF_SF_EERKSF_lbbbEUlllE_EE10hipError_tT0_T1_T2_jT3_P12ihipStream_tbPNSt15iterator_traitsISL_E10value_typeEPNSR_ISM_E10value_typeEPSN_NS1_7vsmem_tEENKUlT_SL_SM_SN_E_clIS8_S8_S9_S9_EESK_S10_SL_SM_SN_EUlS10_E_NS1_11comp_targetILNS1_3genE4ELNS1_11target_archE910ELNS1_3gpuE8ELNS1_3repE0EEENS1_48merge_mergepath_partition_config_static_selectorELNS0_4arch9wavefront6targetE1EEEvSM_.numbered_sgpr, 0
	.set _ZN7rocprim17ROCPRIM_400000_NS6detail17trampoline_kernelINS0_14default_configENS1_38merge_sort_block_merge_config_selectorIlNS0_10empty_typeEEEZZNS1_27merge_sort_block_merge_implIS3_PlPS5_mZN2at6native12_GLOBAL__N_124unique_dim_cuda_templateIjEESt5tupleIJNSA_6TensorESF_SF_EERKSF_lbbbEUlllE_EE10hipError_tT0_T1_T2_jT3_P12ihipStream_tbPNSt15iterator_traitsISL_E10value_typeEPNSR_ISM_E10value_typeEPSN_NS1_7vsmem_tEENKUlT_SL_SM_SN_E_clIS8_S8_S9_S9_EESK_S10_SL_SM_SN_EUlS10_E_NS1_11comp_targetILNS1_3genE4ELNS1_11target_archE910ELNS1_3gpuE8ELNS1_3repE0EEENS1_48merge_mergepath_partition_config_static_selectorELNS0_4arch9wavefront6targetE1EEEvSM_.num_named_barrier, 0
	.set _ZN7rocprim17ROCPRIM_400000_NS6detail17trampoline_kernelINS0_14default_configENS1_38merge_sort_block_merge_config_selectorIlNS0_10empty_typeEEEZZNS1_27merge_sort_block_merge_implIS3_PlPS5_mZN2at6native12_GLOBAL__N_124unique_dim_cuda_templateIjEESt5tupleIJNSA_6TensorESF_SF_EERKSF_lbbbEUlllE_EE10hipError_tT0_T1_T2_jT3_P12ihipStream_tbPNSt15iterator_traitsISL_E10value_typeEPNSR_ISM_E10value_typeEPSN_NS1_7vsmem_tEENKUlT_SL_SM_SN_E_clIS8_S8_S9_S9_EESK_S10_SL_SM_SN_EUlS10_E_NS1_11comp_targetILNS1_3genE4ELNS1_11target_archE910ELNS1_3gpuE8ELNS1_3repE0EEENS1_48merge_mergepath_partition_config_static_selectorELNS0_4arch9wavefront6targetE1EEEvSM_.private_seg_size, 0
	.set _ZN7rocprim17ROCPRIM_400000_NS6detail17trampoline_kernelINS0_14default_configENS1_38merge_sort_block_merge_config_selectorIlNS0_10empty_typeEEEZZNS1_27merge_sort_block_merge_implIS3_PlPS5_mZN2at6native12_GLOBAL__N_124unique_dim_cuda_templateIjEESt5tupleIJNSA_6TensorESF_SF_EERKSF_lbbbEUlllE_EE10hipError_tT0_T1_T2_jT3_P12ihipStream_tbPNSt15iterator_traitsISL_E10value_typeEPNSR_ISM_E10value_typeEPSN_NS1_7vsmem_tEENKUlT_SL_SM_SN_E_clIS8_S8_S9_S9_EESK_S10_SL_SM_SN_EUlS10_E_NS1_11comp_targetILNS1_3genE4ELNS1_11target_archE910ELNS1_3gpuE8ELNS1_3repE0EEENS1_48merge_mergepath_partition_config_static_selectorELNS0_4arch9wavefront6targetE1EEEvSM_.uses_vcc, 0
	.set _ZN7rocprim17ROCPRIM_400000_NS6detail17trampoline_kernelINS0_14default_configENS1_38merge_sort_block_merge_config_selectorIlNS0_10empty_typeEEEZZNS1_27merge_sort_block_merge_implIS3_PlPS5_mZN2at6native12_GLOBAL__N_124unique_dim_cuda_templateIjEESt5tupleIJNSA_6TensorESF_SF_EERKSF_lbbbEUlllE_EE10hipError_tT0_T1_T2_jT3_P12ihipStream_tbPNSt15iterator_traitsISL_E10value_typeEPNSR_ISM_E10value_typeEPSN_NS1_7vsmem_tEENKUlT_SL_SM_SN_E_clIS8_S8_S9_S9_EESK_S10_SL_SM_SN_EUlS10_E_NS1_11comp_targetILNS1_3genE4ELNS1_11target_archE910ELNS1_3gpuE8ELNS1_3repE0EEENS1_48merge_mergepath_partition_config_static_selectorELNS0_4arch9wavefront6targetE1EEEvSM_.uses_flat_scratch, 0
	.set _ZN7rocprim17ROCPRIM_400000_NS6detail17trampoline_kernelINS0_14default_configENS1_38merge_sort_block_merge_config_selectorIlNS0_10empty_typeEEEZZNS1_27merge_sort_block_merge_implIS3_PlPS5_mZN2at6native12_GLOBAL__N_124unique_dim_cuda_templateIjEESt5tupleIJNSA_6TensorESF_SF_EERKSF_lbbbEUlllE_EE10hipError_tT0_T1_T2_jT3_P12ihipStream_tbPNSt15iterator_traitsISL_E10value_typeEPNSR_ISM_E10value_typeEPSN_NS1_7vsmem_tEENKUlT_SL_SM_SN_E_clIS8_S8_S9_S9_EESK_S10_SL_SM_SN_EUlS10_E_NS1_11comp_targetILNS1_3genE4ELNS1_11target_archE910ELNS1_3gpuE8ELNS1_3repE0EEENS1_48merge_mergepath_partition_config_static_selectorELNS0_4arch9wavefront6targetE1EEEvSM_.has_dyn_sized_stack, 0
	.set _ZN7rocprim17ROCPRIM_400000_NS6detail17trampoline_kernelINS0_14default_configENS1_38merge_sort_block_merge_config_selectorIlNS0_10empty_typeEEEZZNS1_27merge_sort_block_merge_implIS3_PlPS5_mZN2at6native12_GLOBAL__N_124unique_dim_cuda_templateIjEESt5tupleIJNSA_6TensorESF_SF_EERKSF_lbbbEUlllE_EE10hipError_tT0_T1_T2_jT3_P12ihipStream_tbPNSt15iterator_traitsISL_E10value_typeEPNSR_ISM_E10value_typeEPSN_NS1_7vsmem_tEENKUlT_SL_SM_SN_E_clIS8_S8_S9_S9_EESK_S10_SL_SM_SN_EUlS10_E_NS1_11comp_targetILNS1_3genE4ELNS1_11target_archE910ELNS1_3gpuE8ELNS1_3repE0EEENS1_48merge_mergepath_partition_config_static_selectorELNS0_4arch9wavefront6targetE1EEEvSM_.has_recursion, 0
	.set _ZN7rocprim17ROCPRIM_400000_NS6detail17trampoline_kernelINS0_14default_configENS1_38merge_sort_block_merge_config_selectorIlNS0_10empty_typeEEEZZNS1_27merge_sort_block_merge_implIS3_PlPS5_mZN2at6native12_GLOBAL__N_124unique_dim_cuda_templateIjEESt5tupleIJNSA_6TensorESF_SF_EERKSF_lbbbEUlllE_EE10hipError_tT0_T1_T2_jT3_P12ihipStream_tbPNSt15iterator_traitsISL_E10value_typeEPNSR_ISM_E10value_typeEPSN_NS1_7vsmem_tEENKUlT_SL_SM_SN_E_clIS8_S8_S9_S9_EESK_S10_SL_SM_SN_EUlS10_E_NS1_11comp_targetILNS1_3genE4ELNS1_11target_archE910ELNS1_3gpuE8ELNS1_3repE0EEENS1_48merge_mergepath_partition_config_static_selectorELNS0_4arch9wavefront6targetE1EEEvSM_.has_indirect_call, 0
	.section	.AMDGPU.csdata,"",@progbits
; Kernel info:
; codeLenInByte = 0
; TotalNumSgprs: 6
; NumVgprs: 0
; NumAgprs: 0
; TotalNumVgprs: 0
; ScratchSize: 0
; MemoryBound: 0
; FloatMode: 240
; IeeeMode: 1
; LDSByteSize: 0 bytes/workgroup (compile time only)
; SGPRBlocks: 0
; VGPRBlocks: 0
; NumSGPRsForWavesPerEU: 6
; NumVGPRsForWavesPerEU: 1
; AccumOffset: 4
; Occupancy: 8
; WaveLimiterHint : 0
; COMPUTE_PGM_RSRC2:SCRATCH_EN: 0
; COMPUTE_PGM_RSRC2:USER_SGPR: 2
; COMPUTE_PGM_RSRC2:TRAP_HANDLER: 0
; COMPUTE_PGM_RSRC2:TGID_X_EN: 1
; COMPUTE_PGM_RSRC2:TGID_Y_EN: 0
; COMPUTE_PGM_RSRC2:TGID_Z_EN: 0
; COMPUTE_PGM_RSRC2:TIDIG_COMP_CNT: 0
; COMPUTE_PGM_RSRC3_GFX90A:ACCUM_OFFSET: 0
; COMPUTE_PGM_RSRC3_GFX90A:TG_SPLIT: 0
	.section	.text._ZN7rocprim17ROCPRIM_400000_NS6detail17trampoline_kernelINS0_14default_configENS1_38merge_sort_block_merge_config_selectorIlNS0_10empty_typeEEEZZNS1_27merge_sort_block_merge_implIS3_PlPS5_mZN2at6native12_GLOBAL__N_124unique_dim_cuda_templateIjEESt5tupleIJNSA_6TensorESF_SF_EERKSF_lbbbEUlllE_EE10hipError_tT0_T1_T2_jT3_P12ihipStream_tbPNSt15iterator_traitsISL_E10value_typeEPNSR_ISM_E10value_typeEPSN_NS1_7vsmem_tEENKUlT_SL_SM_SN_E_clIS8_S8_S9_S9_EESK_S10_SL_SM_SN_EUlS10_E_NS1_11comp_targetILNS1_3genE3ELNS1_11target_archE908ELNS1_3gpuE7ELNS1_3repE0EEENS1_48merge_mergepath_partition_config_static_selectorELNS0_4arch9wavefront6targetE1EEEvSM_,"axG",@progbits,_ZN7rocprim17ROCPRIM_400000_NS6detail17trampoline_kernelINS0_14default_configENS1_38merge_sort_block_merge_config_selectorIlNS0_10empty_typeEEEZZNS1_27merge_sort_block_merge_implIS3_PlPS5_mZN2at6native12_GLOBAL__N_124unique_dim_cuda_templateIjEESt5tupleIJNSA_6TensorESF_SF_EERKSF_lbbbEUlllE_EE10hipError_tT0_T1_T2_jT3_P12ihipStream_tbPNSt15iterator_traitsISL_E10value_typeEPNSR_ISM_E10value_typeEPSN_NS1_7vsmem_tEENKUlT_SL_SM_SN_E_clIS8_S8_S9_S9_EESK_S10_SL_SM_SN_EUlS10_E_NS1_11comp_targetILNS1_3genE3ELNS1_11target_archE908ELNS1_3gpuE7ELNS1_3repE0EEENS1_48merge_mergepath_partition_config_static_selectorELNS0_4arch9wavefront6targetE1EEEvSM_,comdat
	.globl	_ZN7rocprim17ROCPRIM_400000_NS6detail17trampoline_kernelINS0_14default_configENS1_38merge_sort_block_merge_config_selectorIlNS0_10empty_typeEEEZZNS1_27merge_sort_block_merge_implIS3_PlPS5_mZN2at6native12_GLOBAL__N_124unique_dim_cuda_templateIjEESt5tupleIJNSA_6TensorESF_SF_EERKSF_lbbbEUlllE_EE10hipError_tT0_T1_T2_jT3_P12ihipStream_tbPNSt15iterator_traitsISL_E10value_typeEPNSR_ISM_E10value_typeEPSN_NS1_7vsmem_tEENKUlT_SL_SM_SN_E_clIS8_S8_S9_S9_EESK_S10_SL_SM_SN_EUlS10_E_NS1_11comp_targetILNS1_3genE3ELNS1_11target_archE908ELNS1_3gpuE7ELNS1_3repE0EEENS1_48merge_mergepath_partition_config_static_selectorELNS0_4arch9wavefront6targetE1EEEvSM_ ; -- Begin function _ZN7rocprim17ROCPRIM_400000_NS6detail17trampoline_kernelINS0_14default_configENS1_38merge_sort_block_merge_config_selectorIlNS0_10empty_typeEEEZZNS1_27merge_sort_block_merge_implIS3_PlPS5_mZN2at6native12_GLOBAL__N_124unique_dim_cuda_templateIjEESt5tupleIJNSA_6TensorESF_SF_EERKSF_lbbbEUlllE_EE10hipError_tT0_T1_T2_jT3_P12ihipStream_tbPNSt15iterator_traitsISL_E10value_typeEPNSR_ISM_E10value_typeEPSN_NS1_7vsmem_tEENKUlT_SL_SM_SN_E_clIS8_S8_S9_S9_EESK_S10_SL_SM_SN_EUlS10_E_NS1_11comp_targetILNS1_3genE3ELNS1_11target_archE908ELNS1_3gpuE7ELNS1_3repE0EEENS1_48merge_mergepath_partition_config_static_selectorELNS0_4arch9wavefront6targetE1EEEvSM_
	.p2align	8
	.type	_ZN7rocprim17ROCPRIM_400000_NS6detail17trampoline_kernelINS0_14default_configENS1_38merge_sort_block_merge_config_selectorIlNS0_10empty_typeEEEZZNS1_27merge_sort_block_merge_implIS3_PlPS5_mZN2at6native12_GLOBAL__N_124unique_dim_cuda_templateIjEESt5tupleIJNSA_6TensorESF_SF_EERKSF_lbbbEUlllE_EE10hipError_tT0_T1_T2_jT3_P12ihipStream_tbPNSt15iterator_traitsISL_E10value_typeEPNSR_ISM_E10value_typeEPSN_NS1_7vsmem_tEENKUlT_SL_SM_SN_E_clIS8_S8_S9_S9_EESK_S10_SL_SM_SN_EUlS10_E_NS1_11comp_targetILNS1_3genE3ELNS1_11target_archE908ELNS1_3gpuE7ELNS1_3repE0EEENS1_48merge_mergepath_partition_config_static_selectorELNS0_4arch9wavefront6targetE1EEEvSM_,@function
_ZN7rocprim17ROCPRIM_400000_NS6detail17trampoline_kernelINS0_14default_configENS1_38merge_sort_block_merge_config_selectorIlNS0_10empty_typeEEEZZNS1_27merge_sort_block_merge_implIS3_PlPS5_mZN2at6native12_GLOBAL__N_124unique_dim_cuda_templateIjEESt5tupleIJNSA_6TensorESF_SF_EERKSF_lbbbEUlllE_EE10hipError_tT0_T1_T2_jT3_P12ihipStream_tbPNSt15iterator_traitsISL_E10value_typeEPNSR_ISM_E10value_typeEPSN_NS1_7vsmem_tEENKUlT_SL_SM_SN_E_clIS8_S8_S9_S9_EESK_S10_SL_SM_SN_EUlS10_E_NS1_11comp_targetILNS1_3genE3ELNS1_11target_archE908ELNS1_3gpuE7ELNS1_3repE0EEENS1_48merge_mergepath_partition_config_static_selectorELNS0_4arch9wavefront6targetE1EEEvSM_: ; @_ZN7rocprim17ROCPRIM_400000_NS6detail17trampoline_kernelINS0_14default_configENS1_38merge_sort_block_merge_config_selectorIlNS0_10empty_typeEEEZZNS1_27merge_sort_block_merge_implIS3_PlPS5_mZN2at6native12_GLOBAL__N_124unique_dim_cuda_templateIjEESt5tupleIJNSA_6TensorESF_SF_EERKSF_lbbbEUlllE_EE10hipError_tT0_T1_T2_jT3_P12ihipStream_tbPNSt15iterator_traitsISL_E10value_typeEPNSR_ISM_E10value_typeEPSN_NS1_7vsmem_tEENKUlT_SL_SM_SN_E_clIS8_S8_S9_S9_EESK_S10_SL_SM_SN_EUlS10_E_NS1_11comp_targetILNS1_3genE3ELNS1_11target_archE908ELNS1_3gpuE7ELNS1_3repE0EEENS1_48merge_mergepath_partition_config_static_selectorELNS0_4arch9wavefront6targetE1EEEvSM_
; %bb.0:
	.section	.rodata,"a",@progbits
	.p2align	6, 0x0
	.amdhsa_kernel _ZN7rocprim17ROCPRIM_400000_NS6detail17trampoline_kernelINS0_14default_configENS1_38merge_sort_block_merge_config_selectorIlNS0_10empty_typeEEEZZNS1_27merge_sort_block_merge_implIS3_PlPS5_mZN2at6native12_GLOBAL__N_124unique_dim_cuda_templateIjEESt5tupleIJNSA_6TensorESF_SF_EERKSF_lbbbEUlllE_EE10hipError_tT0_T1_T2_jT3_P12ihipStream_tbPNSt15iterator_traitsISL_E10value_typeEPNSR_ISM_E10value_typeEPSN_NS1_7vsmem_tEENKUlT_SL_SM_SN_E_clIS8_S8_S9_S9_EESK_S10_SL_SM_SN_EUlS10_E_NS1_11comp_targetILNS1_3genE3ELNS1_11target_archE908ELNS1_3gpuE7ELNS1_3repE0EEENS1_48merge_mergepath_partition_config_static_selectorELNS0_4arch9wavefront6targetE1EEEvSM_
		.amdhsa_group_segment_fixed_size 0
		.amdhsa_private_segment_fixed_size 0
		.amdhsa_kernarg_size 56
		.amdhsa_user_sgpr_count 2
		.amdhsa_user_sgpr_dispatch_ptr 0
		.amdhsa_user_sgpr_queue_ptr 0
		.amdhsa_user_sgpr_kernarg_segment_ptr 1
		.amdhsa_user_sgpr_dispatch_id 0
		.amdhsa_user_sgpr_kernarg_preload_length 0
		.amdhsa_user_sgpr_kernarg_preload_offset 0
		.amdhsa_user_sgpr_private_segment_size 0
		.amdhsa_uses_dynamic_stack 0
		.amdhsa_enable_private_segment 0
		.amdhsa_system_sgpr_workgroup_id_x 1
		.amdhsa_system_sgpr_workgroup_id_y 0
		.amdhsa_system_sgpr_workgroup_id_z 0
		.amdhsa_system_sgpr_workgroup_info 0
		.amdhsa_system_vgpr_workitem_id 0
		.amdhsa_next_free_vgpr 1
		.amdhsa_next_free_sgpr 0
		.amdhsa_accum_offset 4
		.amdhsa_reserve_vcc 0
		.amdhsa_float_round_mode_32 0
		.amdhsa_float_round_mode_16_64 0
		.amdhsa_float_denorm_mode_32 3
		.amdhsa_float_denorm_mode_16_64 3
		.amdhsa_dx10_clamp 1
		.amdhsa_ieee_mode 1
		.amdhsa_fp16_overflow 0
		.amdhsa_tg_split 0
		.amdhsa_exception_fp_ieee_invalid_op 0
		.amdhsa_exception_fp_denorm_src 0
		.amdhsa_exception_fp_ieee_div_zero 0
		.amdhsa_exception_fp_ieee_overflow 0
		.amdhsa_exception_fp_ieee_underflow 0
		.amdhsa_exception_fp_ieee_inexact 0
		.amdhsa_exception_int_div_zero 0
	.end_amdhsa_kernel
	.section	.text._ZN7rocprim17ROCPRIM_400000_NS6detail17trampoline_kernelINS0_14default_configENS1_38merge_sort_block_merge_config_selectorIlNS0_10empty_typeEEEZZNS1_27merge_sort_block_merge_implIS3_PlPS5_mZN2at6native12_GLOBAL__N_124unique_dim_cuda_templateIjEESt5tupleIJNSA_6TensorESF_SF_EERKSF_lbbbEUlllE_EE10hipError_tT0_T1_T2_jT3_P12ihipStream_tbPNSt15iterator_traitsISL_E10value_typeEPNSR_ISM_E10value_typeEPSN_NS1_7vsmem_tEENKUlT_SL_SM_SN_E_clIS8_S8_S9_S9_EESK_S10_SL_SM_SN_EUlS10_E_NS1_11comp_targetILNS1_3genE3ELNS1_11target_archE908ELNS1_3gpuE7ELNS1_3repE0EEENS1_48merge_mergepath_partition_config_static_selectorELNS0_4arch9wavefront6targetE1EEEvSM_,"axG",@progbits,_ZN7rocprim17ROCPRIM_400000_NS6detail17trampoline_kernelINS0_14default_configENS1_38merge_sort_block_merge_config_selectorIlNS0_10empty_typeEEEZZNS1_27merge_sort_block_merge_implIS3_PlPS5_mZN2at6native12_GLOBAL__N_124unique_dim_cuda_templateIjEESt5tupleIJNSA_6TensorESF_SF_EERKSF_lbbbEUlllE_EE10hipError_tT0_T1_T2_jT3_P12ihipStream_tbPNSt15iterator_traitsISL_E10value_typeEPNSR_ISM_E10value_typeEPSN_NS1_7vsmem_tEENKUlT_SL_SM_SN_E_clIS8_S8_S9_S9_EESK_S10_SL_SM_SN_EUlS10_E_NS1_11comp_targetILNS1_3genE3ELNS1_11target_archE908ELNS1_3gpuE7ELNS1_3repE0EEENS1_48merge_mergepath_partition_config_static_selectorELNS0_4arch9wavefront6targetE1EEEvSM_,comdat
.Lfunc_end1496:
	.size	_ZN7rocprim17ROCPRIM_400000_NS6detail17trampoline_kernelINS0_14default_configENS1_38merge_sort_block_merge_config_selectorIlNS0_10empty_typeEEEZZNS1_27merge_sort_block_merge_implIS3_PlPS5_mZN2at6native12_GLOBAL__N_124unique_dim_cuda_templateIjEESt5tupleIJNSA_6TensorESF_SF_EERKSF_lbbbEUlllE_EE10hipError_tT0_T1_T2_jT3_P12ihipStream_tbPNSt15iterator_traitsISL_E10value_typeEPNSR_ISM_E10value_typeEPSN_NS1_7vsmem_tEENKUlT_SL_SM_SN_E_clIS8_S8_S9_S9_EESK_S10_SL_SM_SN_EUlS10_E_NS1_11comp_targetILNS1_3genE3ELNS1_11target_archE908ELNS1_3gpuE7ELNS1_3repE0EEENS1_48merge_mergepath_partition_config_static_selectorELNS0_4arch9wavefront6targetE1EEEvSM_, .Lfunc_end1496-_ZN7rocprim17ROCPRIM_400000_NS6detail17trampoline_kernelINS0_14default_configENS1_38merge_sort_block_merge_config_selectorIlNS0_10empty_typeEEEZZNS1_27merge_sort_block_merge_implIS3_PlPS5_mZN2at6native12_GLOBAL__N_124unique_dim_cuda_templateIjEESt5tupleIJNSA_6TensorESF_SF_EERKSF_lbbbEUlllE_EE10hipError_tT0_T1_T2_jT3_P12ihipStream_tbPNSt15iterator_traitsISL_E10value_typeEPNSR_ISM_E10value_typeEPSN_NS1_7vsmem_tEENKUlT_SL_SM_SN_E_clIS8_S8_S9_S9_EESK_S10_SL_SM_SN_EUlS10_E_NS1_11comp_targetILNS1_3genE3ELNS1_11target_archE908ELNS1_3gpuE7ELNS1_3repE0EEENS1_48merge_mergepath_partition_config_static_selectorELNS0_4arch9wavefront6targetE1EEEvSM_
                                        ; -- End function
	.set _ZN7rocprim17ROCPRIM_400000_NS6detail17trampoline_kernelINS0_14default_configENS1_38merge_sort_block_merge_config_selectorIlNS0_10empty_typeEEEZZNS1_27merge_sort_block_merge_implIS3_PlPS5_mZN2at6native12_GLOBAL__N_124unique_dim_cuda_templateIjEESt5tupleIJNSA_6TensorESF_SF_EERKSF_lbbbEUlllE_EE10hipError_tT0_T1_T2_jT3_P12ihipStream_tbPNSt15iterator_traitsISL_E10value_typeEPNSR_ISM_E10value_typeEPSN_NS1_7vsmem_tEENKUlT_SL_SM_SN_E_clIS8_S8_S9_S9_EESK_S10_SL_SM_SN_EUlS10_E_NS1_11comp_targetILNS1_3genE3ELNS1_11target_archE908ELNS1_3gpuE7ELNS1_3repE0EEENS1_48merge_mergepath_partition_config_static_selectorELNS0_4arch9wavefront6targetE1EEEvSM_.num_vgpr, 0
	.set _ZN7rocprim17ROCPRIM_400000_NS6detail17trampoline_kernelINS0_14default_configENS1_38merge_sort_block_merge_config_selectorIlNS0_10empty_typeEEEZZNS1_27merge_sort_block_merge_implIS3_PlPS5_mZN2at6native12_GLOBAL__N_124unique_dim_cuda_templateIjEESt5tupleIJNSA_6TensorESF_SF_EERKSF_lbbbEUlllE_EE10hipError_tT0_T1_T2_jT3_P12ihipStream_tbPNSt15iterator_traitsISL_E10value_typeEPNSR_ISM_E10value_typeEPSN_NS1_7vsmem_tEENKUlT_SL_SM_SN_E_clIS8_S8_S9_S9_EESK_S10_SL_SM_SN_EUlS10_E_NS1_11comp_targetILNS1_3genE3ELNS1_11target_archE908ELNS1_3gpuE7ELNS1_3repE0EEENS1_48merge_mergepath_partition_config_static_selectorELNS0_4arch9wavefront6targetE1EEEvSM_.num_agpr, 0
	.set _ZN7rocprim17ROCPRIM_400000_NS6detail17trampoline_kernelINS0_14default_configENS1_38merge_sort_block_merge_config_selectorIlNS0_10empty_typeEEEZZNS1_27merge_sort_block_merge_implIS3_PlPS5_mZN2at6native12_GLOBAL__N_124unique_dim_cuda_templateIjEESt5tupleIJNSA_6TensorESF_SF_EERKSF_lbbbEUlllE_EE10hipError_tT0_T1_T2_jT3_P12ihipStream_tbPNSt15iterator_traitsISL_E10value_typeEPNSR_ISM_E10value_typeEPSN_NS1_7vsmem_tEENKUlT_SL_SM_SN_E_clIS8_S8_S9_S9_EESK_S10_SL_SM_SN_EUlS10_E_NS1_11comp_targetILNS1_3genE3ELNS1_11target_archE908ELNS1_3gpuE7ELNS1_3repE0EEENS1_48merge_mergepath_partition_config_static_selectorELNS0_4arch9wavefront6targetE1EEEvSM_.numbered_sgpr, 0
	.set _ZN7rocprim17ROCPRIM_400000_NS6detail17trampoline_kernelINS0_14default_configENS1_38merge_sort_block_merge_config_selectorIlNS0_10empty_typeEEEZZNS1_27merge_sort_block_merge_implIS3_PlPS5_mZN2at6native12_GLOBAL__N_124unique_dim_cuda_templateIjEESt5tupleIJNSA_6TensorESF_SF_EERKSF_lbbbEUlllE_EE10hipError_tT0_T1_T2_jT3_P12ihipStream_tbPNSt15iterator_traitsISL_E10value_typeEPNSR_ISM_E10value_typeEPSN_NS1_7vsmem_tEENKUlT_SL_SM_SN_E_clIS8_S8_S9_S9_EESK_S10_SL_SM_SN_EUlS10_E_NS1_11comp_targetILNS1_3genE3ELNS1_11target_archE908ELNS1_3gpuE7ELNS1_3repE0EEENS1_48merge_mergepath_partition_config_static_selectorELNS0_4arch9wavefront6targetE1EEEvSM_.num_named_barrier, 0
	.set _ZN7rocprim17ROCPRIM_400000_NS6detail17trampoline_kernelINS0_14default_configENS1_38merge_sort_block_merge_config_selectorIlNS0_10empty_typeEEEZZNS1_27merge_sort_block_merge_implIS3_PlPS5_mZN2at6native12_GLOBAL__N_124unique_dim_cuda_templateIjEESt5tupleIJNSA_6TensorESF_SF_EERKSF_lbbbEUlllE_EE10hipError_tT0_T1_T2_jT3_P12ihipStream_tbPNSt15iterator_traitsISL_E10value_typeEPNSR_ISM_E10value_typeEPSN_NS1_7vsmem_tEENKUlT_SL_SM_SN_E_clIS8_S8_S9_S9_EESK_S10_SL_SM_SN_EUlS10_E_NS1_11comp_targetILNS1_3genE3ELNS1_11target_archE908ELNS1_3gpuE7ELNS1_3repE0EEENS1_48merge_mergepath_partition_config_static_selectorELNS0_4arch9wavefront6targetE1EEEvSM_.private_seg_size, 0
	.set _ZN7rocprim17ROCPRIM_400000_NS6detail17trampoline_kernelINS0_14default_configENS1_38merge_sort_block_merge_config_selectorIlNS0_10empty_typeEEEZZNS1_27merge_sort_block_merge_implIS3_PlPS5_mZN2at6native12_GLOBAL__N_124unique_dim_cuda_templateIjEESt5tupleIJNSA_6TensorESF_SF_EERKSF_lbbbEUlllE_EE10hipError_tT0_T1_T2_jT3_P12ihipStream_tbPNSt15iterator_traitsISL_E10value_typeEPNSR_ISM_E10value_typeEPSN_NS1_7vsmem_tEENKUlT_SL_SM_SN_E_clIS8_S8_S9_S9_EESK_S10_SL_SM_SN_EUlS10_E_NS1_11comp_targetILNS1_3genE3ELNS1_11target_archE908ELNS1_3gpuE7ELNS1_3repE0EEENS1_48merge_mergepath_partition_config_static_selectorELNS0_4arch9wavefront6targetE1EEEvSM_.uses_vcc, 0
	.set _ZN7rocprim17ROCPRIM_400000_NS6detail17trampoline_kernelINS0_14default_configENS1_38merge_sort_block_merge_config_selectorIlNS0_10empty_typeEEEZZNS1_27merge_sort_block_merge_implIS3_PlPS5_mZN2at6native12_GLOBAL__N_124unique_dim_cuda_templateIjEESt5tupleIJNSA_6TensorESF_SF_EERKSF_lbbbEUlllE_EE10hipError_tT0_T1_T2_jT3_P12ihipStream_tbPNSt15iterator_traitsISL_E10value_typeEPNSR_ISM_E10value_typeEPSN_NS1_7vsmem_tEENKUlT_SL_SM_SN_E_clIS8_S8_S9_S9_EESK_S10_SL_SM_SN_EUlS10_E_NS1_11comp_targetILNS1_3genE3ELNS1_11target_archE908ELNS1_3gpuE7ELNS1_3repE0EEENS1_48merge_mergepath_partition_config_static_selectorELNS0_4arch9wavefront6targetE1EEEvSM_.uses_flat_scratch, 0
	.set _ZN7rocprim17ROCPRIM_400000_NS6detail17trampoline_kernelINS0_14default_configENS1_38merge_sort_block_merge_config_selectorIlNS0_10empty_typeEEEZZNS1_27merge_sort_block_merge_implIS3_PlPS5_mZN2at6native12_GLOBAL__N_124unique_dim_cuda_templateIjEESt5tupleIJNSA_6TensorESF_SF_EERKSF_lbbbEUlllE_EE10hipError_tT0_T1_T2_jT3_P12ihipStream_tbPNSt15iterator_traitsISL_E10value_typeEPNSR_ISM_E10value_typeEPSN_NS1_7vsmem_tEENKUlT_SL_SM_SN_E_clIS8_S8_S9_S9_EESK_S10_SL_SM_SN_EUlS10_E_NS1_11comp_targetILNS1_3genE3ELNS1_11target_archE908ELNS1_3gpuE7ELNS1_3repE0EEENS1_48merge_mergepath_partition_config_static_selectorELNS0_4arch9wavefront6targetE1EEEvSM_.has_dyn_sized_stack, 0
	.set _ZN7rocprim17ROCPRIM_400000_NS6detail17trampoline_kernelINS0_14default_configENS1_38merge_sort_block_merge_config_selectorIlNS0_10empty_typeEEEZZNS1_27merge_sort_block_merge_implIS3_PlPS5_mZN2at6native12_GLOBAL__N_124unique_dim_cuda_templateIjEESt5tupleIJNSA_6TensorESF_SF_EERKSF_lbbbEUlllE_EE10hipError_tT0_T1_T2_jT3_P12ihipStream_tbPNSt15iterator_traitsISL_E10value_typeEPNSR_ISM_E10value_typeEPSN_NS1_7vsmem_tEENKUlT_SL_SM_SN_E_clIS8_S8_S9_S9_EESK_S10_SL_SM_SN_EUlS10_E_NS1_11comp_targetILNS1_3genE3ELNS1_11target_archE908ELNS1_3gpuE7ELNS1_3repE0EEENS1_48merge_mergepath_partition_config_static_selectorELNS0_4arch9wavefront6targetE1EEEvSM_.has_recursion, 0
	.set _ZN7rocprim17ROCPRIM_400000_NS6detail17trampoline_kernelINS0_14default_configENS1_38merge_sort_block_merge_config_selectorIlNS0_10empty_typeEEEZZNS1_27merge_sort_block_merge_implIS3_PlPS5_mZN2at6native12_GLOBAL__N_124unique_dim_cuda_templateIjEESt5tupleIJNSA_6TensorESF_SF_EERKSF_lbbbEUlllE_EE10hipError_tT0_T1_T2_jT3_P12ihipStream_tbPNSt15iterator_traitsISL_E10value_typeEPNSR_ISM_E10value_typeEPSN_NS1_7vsmem_tEENKUlT_SL_SM_SN_E_clIS8_S8_S9_S9_EESK_S10_SL_SM_SN_EUlS10_E_NS1_11comp_targetILNS1_3genE3ELNS1_11target_archE908ELNS1_3gpuE7ELNS1_3repE0EEENS1_48merge_mergepath_partition_config_static_selectorELNS0_4arch9wavefront6targetE1EEEvSM_.has_indirect_call, 0
	.section	.AMDGPU.csdata,"",@progbits
; Kernel info:
; codeLenInByte = 0
; TotalNumSgprs: 6
; NumVgprs: 0
; NumAgprs: 0
; TotalNumVgprs: 0
; ScratchSize: 0
; MemoryBound: 0
; FloatMode: 240
; IeeeMode: 1
; LDSByteSize: 0 bytes/workgroup (compile time only)
; SGPRBlocks: 0
; VGPRBlocks: 0
; NumSGPRsForWavesPerEU: 6
; NumVGPRsForWavesPerEU: 1
; AccumOffset: 4
; Occupancy: 8
; WaveLimiterHint : 0
; COMPUTE_PGM_RSRC2:SCRATCH_EN: 0
; COMPUTE_PGM_RSRC2:USER_SGPR: 2
; COMPUTE_PGM_RSRC2:TRAP_HANDLER: 0
; COMPUTE_PGM_RSRC2:TGID_X_EN: 1
; COMPUTE_PGM_RSRC2:TGID_Y_EN: 0
; COMPUTE_PGM_RSRC2:TGID_Z_EN: 0
; COMPUTE_PGM_RSRC2:TIDIG_COMP_CNT: 0
; COMPUTE_PGM_RSRC3_GFX90A:ACCUM_OFFSET: 0
; COMPUTE_PGM_RSRC3_GFX90A:TG_SPLIT: 0
	.section	.text._ZN7rocprim17ROCPRIM_400000_NS6detail17trampoline_kernelINS0_14default_configENS1_38merge_sort_block_merge_config_selectorIlNS0_10empty_typeEEEZZNS1_27merge_sort_block_merge_implIS3_PlPS5_mZN2at6native12_GLOBAL__N_124unique_dim_cuda_templateIjEESt5tupleIJNSA_6TensorESF_SF_EERKSF_lbbbEUlllE_EE10hipError_tT0_T1_T2_jT3_P12ihipStream_tbPNSt15iterator_traitsISL_E10value_typeEPNSR_ISM_E10value_typeEPSN_NS1_7vsmem_tEENKUlT_SL_SM_SN_E_clIS8_S8_S9_S9_EESK_S10_SL_SM_SN_EUlS10_E_NS1_11comp_targetILNS1_3genE2ELNS1_11target_archE906ELNS1_3gpuE6ELNS1_3repE0EEENS1_48merge_mergepath_partition_config_static_selectorELNS0_4arch9wavefront6targetE1EEEvSM_,"axG",@progbits,_ZN7rocprim17ROCPRIM_400000_NS6detail17trampoline_kernelINS0_14default_configENS1_38merge_sort_block_merge_config_selectorIlNS0_10empty_typeEEEZZNS1_27merge_sort_block_merge_implIS3_PlPS5_mZN2at6native12_GLOBAL__N_124unique_dim_cuda_templateIjEESt5tupleIJNSA_6TensorESF_SF_EERKSF_lbbbEUlllE_EE10hipError_tT0_T1_T2_jT3_P12ihipStream_tbPNSt15iterator_traitsISL_E10value_typeEPNSR_ISM_E10value_typeEPSN_NS1_7vsmem_tEENKUlT_SL_SM_SN_E_clIS8_S8_S9_S9_EESK_S10_SL_SM_SN_EUlS10_E_NS1_11comp_targetILNS1_3genE2ELNS1_11target_archE906ELNS1_3gpuE6ELNS1_3repE0EEENS1_48merge_mergepath_partition_config_static_selectorELNS0_4arch9wavefront6targetE1EEEvSM_,comdat
	.globl	_ZN7rocprim17ROCPRIM_400000_NS6detail17trampoline_kernelINS0_14default_configENS1_38merge_sort_block_merge_config_selectorIlNS0_10empty_typeEEEZZNS1_27merge_sort_block_merge_implIS3_PlPS5_mZN2at6native12_GLOBAL__N_124unique_dim_cuda_templateIjEESt5tupleIJNSA_6TensorESF_SF_EERKSF_lbbbEUlllE_EE10hipError_tT0_T1_T2_jT3_P12ihipStream_tbPNSt15iterator_traitsISL_E10value_typeEPNSR_ISM_E10value_typeEPSN_NS1_7vsmem_tEENKUlT_SL_SM_SN_E_clIS8_S8_S9_S9_EESK_S10_SL_SM_SN_EUlS10_E_NS1_11comp_targetILNS1_3genE2ELNS1_11target_archE906ELNS1_3gpuE6ELNS1_3repE0EEENS1_48merge_mergepath_partition_config_static_selectorELNS0_4arch9wavefront6targetE1EEEvSM_ ; -- Begin function _ZN7rocprim17ROCPRIM_400000_NS6detail17trampoline_kernelINS0_14default_configENS1_38merge_sort_block_merge_config_selectorIlNS0_10empty_typeEEEZZNS1_27merge_sort_block_merge_implIS3_PlPS5_mZN2at6native12_GLOBAL__N_124unique_dim_cuda_templateIjEESt5tupleIJNSA_6TensorESF_SF_EERKSF_lbbbEUlllE_EE10hipError_tT0_T1_T2_jT3_P12ihipStream_tbPNSt15iterator_traitsISL_E10value_typeEPNSR_ISM_E10value_typeEPSN_NS1_7vsmem_tEENKUlT_SL_SM_SN_E_clIS8_S8_S9_S9_EESK_S10_SL_SM_SN_EUlS10_E_NS1_11comp_targetILNS1_3genE2ELNS1_11target_archE906ELNS1_3gpuE6ELNS1_3repE0EEENS1_48merge_mergepath_partition_config_static_selectorELNS0_4arch9wavefront6targetE1EEEvSM_
	.p2align	8
	.type	_ZN7rocprim17ROCPRIM_400000_NS6detail17trampoline_kernelINS0_14default_configENS1_38merge_sort_block_merge_config_selectorIlNS0_10empty_typeEEEZZNS1_27merge_sort_block_merge_implIS3_PlPS5_mZN2at6native12_GLOBAL__N_124unique_dim_cuda_templateIjEESt5tupleIJNSA_6TensorESF_SF_EERKSF_lbbbEUlllE_EE10hipError_tT0_T1_T2_jT3_P12ihipStream_tbPNSt15iterator_traitsISL_E10value_typeEPNSR_ISM_E10value_typeEPSN_NS1_7vsmem_tEENKUlT_SL_SM_SN_E_clIS8_S8_S9_S9_EESK_S10_SL_SM_SN_EUlS10_E_NS1_11comp_targetILNS1_3genE2ELNS1_11target_archE906ELNS1_3gpuE6ELNS1_3repE0EEENS1_48merge_mergepath_partition_config_static_selectorELNS0_4arch9wavefront6targetE1EEEvSM_,@function
_ZN7rocprim17ROCPRIM_400000_NS6detail17trampoline_kernelINS0_14default_configENS1_38merge_sort_block_merge_config_selectorIlNS0_10empty_typeEEEZZNS1_27merge_sort_block_merge_implIS3_PlPS5_mZN2at6native12_GLOBAL__N_124unique_dim_cuda_templateIjEESt5tupleIJNSA_6TensorESF_SF_EERKSF_lbbbEUlllE_EE10hipError_tT0_T1_T2_jT3_P12ihipStream_tbPNSt15iterator_traitsISL_E10value_typeEPNSR_ISM_E10value_typeEPSN_NS1_7vsmem_tEENKUlT_SL_SM_SN_E_clIS8_S8_S9_S9_EESK_S10_SL_SM_SN_EUlS10_E_NS1_11comp_targetILNS1_3genE2ELNS1_11target_archE906ELNS1_3gpuE6ELNS1_3repE0EEENS1_48merge_mergepath_partition_config_static_selectorELNS0_4arch9wavefront6targetE1EEEvSM_: ; @_ZN7rocprim17ROCPRIM_400000_NS6detail17trampoline_kernelINS0_14default_configENS1_38merge_sort_block_merge_config_selectorIlNS0_10empty_typeEEEZZNS1_27merge_sort_block_merge_implIS3_PlPS5_mZN2at6native12_GLOBAL__N_124unique_dim_cuda_templateIjEESt5tupleIJNSA_6TensorESF_SF_EERKSF_lbbbEUlllE_EE10hipError_tT0_T1_T2_jT3_P12ihipStream_tbPNSt15iterator_traitsISL_E10value_typeEPNSR_ISM_E10value_typeEPSN_NS1_7vsmem_tEENKUlT_SL_SM_SN_E_clIS8_S8_S9_S9_EESK_S10_SL_SM_SN_EUlS10_E_NS1_11comp_targetILNS1_3genE2ELNS1_11target_archE906ELNS1_3gpuE6ELNS1_3repE0EEENS1_48merge_mergepath_partition_config_static_selectorELNS0_4arch9wavefront6targetE1EEEvSM_
; %bb.0:
	.section	.rodata,"a",@progbits
	.p2align	6, 0x0
	.amdhsa_kernel _ZN7rocprim17ROCPRIM_400000_NS6detail17trampoline_kernelINS0_14default_configENS1_38merge_sort_block_merge_config_selectorIlNS0_10empty_typeEEEZZNS1_27merge_sort_block_merge_implIS3_PlPS5_mZN2at6native12_GLOBAL__N_124unique_dim_cuda_templateIjEESt5tupleIJNSA_6TensorESF_SF_EERKSF_lbbbEUlllE_EE10hipError_tT0_T1_T2_jT3_P12ihipStream_tbPNSt15iterator_traitsISL_E10value_typeEPNSR_ISM_E10value_typeEPSN_NS1_7vsmem_tEENKUlT_SL_SM_SN_E_clIS8_S8_S9_S9_EESK_S10_SL_SM_SN_EUlS10_E_NS1_11comp_targetILNS1_3genE2ELNS1_11target_archE906ELNS1_3gpuE6ELNS1_3repE0EEENS1_48merge_mergepath_partition_config_static_selectorELNS0_4arch9wavefront6targetE1EEEvSM_
		.amdhsa_group_segment_fixed_size 0
		.amdhsa_private_segment_fixed_size 0
		.amdhsa_kernarg_size 56
		.amdhsa_user_sgpr_count 2
		.amdhsa_user_sgpr_dispatch_ptr 0
		.amdhsa_user_sgpr_queue_ptr 0
		.amdhsa_user_sgpr_kernarg_segment_ptr 1
		.amdhsa_user_sgpr_dispatch_id 0
		.amdhsa_user_sgpr_kernarg_preload_length 0
		.amdhsa_user_sgpr_kernarg_preload_offset 0
		.amdhsa_user_sgpr_private_segment_size 0
		.amdhsa_uses_dynamic_stack 0
		.amdhsa_enable_private_segment 0
		.amdhsa_system_sgpr_workgroup_id_x 1
		.amdhsa_system_sgpr_workgroup_id_y 0
		.amdhsa_system_sgpr_workgroup_id_z 0
		.amdhsa_system_sgpr_workgroup_info 0
		.amdhsa_system_vgpr_workitem_id 0
		.amdhsa_next_free_vgpr 1
		.amdhsa_next_free_sgpr 0
		.amdhsa_accum_offset 4
		.amdhsa_reserve_vcc 0
		.amdhsa_float_round_mode_32 0
		.amdhsa_float_round_mode_16_64 0
		.amdhsa_float_denorm_mode_32 3
		.amdhsa_float_denorm_mode_16_64 3
		.amdhsa_dx10_clamp 1
		.amdhsa_ieee_mode 1
		.amdhsa_fp16_overflow 0
		.amdhsa_tg_split 0
		.amdhsa_exception_fp_ieee_invalid_op 0
		.amdhsa_exception_fp_denorm_src 0
		.amdhsa_exception_fp_ieee_div_zero 0
		.amdhsa_exception_fp_ieee_overflow 0
		.amdhsa_exception_fp_ieee_underflow 0
		.amdhsa_exception_fp_ieee_inexact 0
		.amdhsa_exception_int_div_zero 0
	.end_amdhsa_kernel
	.section	.text._ZN7rocprim17ROCPRIM_400000_NS6detail17trampoline_kernelINS0_14default_configENS1_38merge_sort_block_merge_config_selectorIlNS0_10empty_typeEEEZZNS1_27merge_sort_block_merge_implIS3_PlPS5_mZN2at6native12_GLOBAL__N_124unique_dim_cuda_templateIjEESt5tupleIJNSA_6TensorESF_SF_EERKSF_lbbbEUlllE_EE10hipError_tT0_T1_T2_jT3_P12ihipStream_tbPNSt15iterator_traitsISL_E10value_typeEPNSR_ISM_E10value_typeEPSN_NS1_7vsmem_tEENKUlT_SL_SM_SN_E_clIS8_S8_S9_S9_EESK_S10_SL_SM_SN_EUlS10_E_NS1_11comp_targetILNS1_3genE2ELNS1_11target_archE906ELNS1_3gpuE6ELNS1_3repE0EEENS1_48merge_mergepath_partition_config_static_selectorELNS0_4arch9wavefront6targetE1EEEvSM_,"axG",@progbits,_ZN7rocprim17ROCPRIM_400000_NS6detail17trampoline_kernelINS0_14default_configENS1_38merge_sort_block_merge_config_selectorIlNS0_10empty_typeEEEZZNS1_27merge_sort_block_merge_implIS3_PlPS5_mZN2at6native12_GLOBAL__N_124unique_dim_cuda_templateIjEESt5tupleIJNSA_6TensorESF_SF_EERKSF_lbbbEUlllE_EE10hipError_tT0_T1_T2_jT3_P12ihipStream_tbPNSt15iterator_traitsISL_E10value_typeEPNSR_ISM_E10value_typeEPSN_NS1_7vsmem_tEENKUlT_SL_SM_SN_E_clIS8_S8_S9_S9_EESK_S10_SL_SM_SN_EUlS10_E_NS1_11comp_targetILNS1_3genE2ELNS1_11target_archE906ELNS1_3gpuE6ELNS1_3repE0EEENS1_48merge_mergepath_partition_config_static_selectorELNS0_4arch9wavefront6targetE1EEEvSM_,comdat
.Lfunc_end1497:
	.size	_ZN7rocprim17ROCPRIM_400000_NS6detail17trampoline_kernelINS0_14default_configENS1_38merge_sort_block_merge_config_selectorIlNS0_10empty_typeEEEZZNS1_27merge_sort_block_merge_implIS3_PlPS5_mZN2at6native12_GLOBAL__N_124unique_dim_cuda_templateIjEESt5tupleIJNSA_6TensorESF_SF_EERKSF_lbbbEUlllE_EE10hipError_tT0_T1_T2_jT3_P12ihipStream_tbPNSt15iterator_traitsISL_E10value_typeEPNSR_ISM_E10value_typeEPSN_NS1_7vsmem_tEENKUlT_SL_SM_SN_E_clIS8_S8_S9_S9_EESK_S10_SL_SM_SN_EUlS10_E_NS1_11comp_targetILNS1_3genE2ELNS1_11target_archE906ELNS1_3gpuE6ELNS1_3repE0EEENS1_48merge_mergepath_partition_config_static_selectorELNS0_4arch9wavefront6targetE1EEEvSM_, .Lfunc_end1497-_ZN7rocprim17ROCPRIM_400000_NS6detail17trampoline_kernelINS0_14default_configENS1_38merge_sort_block_merge_config_selectorIlNS0_10empty_typeEEEZZNS1_27merge_sort_block_merge_implIS3_PlPS5_mZN2at6native12_GLOBAL__N_124unique_dim_cuda_templateIjEESt5tupleIJNSA_6TensorESF_SF_EERKSF_lbbbEUlllE_EE10hipError_tT0_T1_T2_jT3_P12ihipStream_tbPNSt15iterator_traitsISL_E10value_typeEPNSR_ISM_E10value_typeEPSN_NS1_7vsmem_tEENKUlT_SL_SM_SN_E_clIS8_S8_S9_S9_EESK_S10_SL_SM_SN_EUlS10_E_NS1_11comp_targetILNS1_3genE2ELNS1_11target_archE906ELNS1_3gpuE6ELNS1_3repE0EEENS1_48merge_mergepath_partition_config_static_selectorELNS0_4arch9wavefront6targetE1EEEvSM_
                                        ; -- End function
	.set _ZN7rocprim17ROCPRIM_400000_NS6detail17trampoline_kernelINS0_14default_configENS1_38merge_sort_block_merge_config_selectorIlNS0_10empty_typeEEEZZNS1_27merge_sort_block_merge_implIS3_PlPS5_mZN2at6native12_GLOBAL__N_124unique_dim_cuda_templateIjEESt5tupleIJNSA_6TensorESF_SF_EERKSF_lbbbEUlllE_EE10hipError_tT0_T1_T2_jT3_P12ihipStream_tbPNSt15iterator_traitsISL_E10value_typeEPNSR_ISM_E10value_typeEPSN_NS1_7vsmem_tEENKUlT_SL_SM_SN_E_clIS8_S8_S9_S9_EESK_S10_SL_SM_SN_EUlS10_E_NS1_11comp_targetILNS1_3genE2ELNS1_11target_archE906ELNS1_3gpuE6ELNS1_3repE0EEENS1_48merge_mergepath_partition_config_static_selectorELNS0_4arch9wavefront6targetE1EEEvSM_.num_vgpr, 0
	.set _ZN7rocprim17ROCPRIM_400000_NS6detail17trampoline_kernelINS0_14default_configENS1_38merge_sort_block_merge_config_selectorIlNS0_10empty_typeEEEZZNS1_27merge_sort_block_merge_implIS3_PlPS5_mZN2at6native12_GLOBAL__N_124unique_dim_cuda_templateIjEESt5tupleIJNSA_6TensorESF_SF_EERKSF_lbbbEUlllE_EE10hipError_tT0_T1_T2_jT3_P12ihipStream_tbPNSt15iterator_traitsISL_E10value_typeEPNSR_ISM_E10value_typeEPSN_NS1_7vsmem_tEENKUlT_SL_SM_SN_E_clIS8_S8_S9_S9_EESK_S10_SL_SM_SN_EUlS10_E_NS1_11comp_targetILNS1_3genE2ELNS1_11target_archE906ELNS1_3gpuE6ELNS1_3repE0EEENS1_48merge_mergepath_partition_config_static_selectorELNS0_4arch9wavefront6targetE1EEEvSM_.num_agpr, 0
	.set _ZN7rocprim17ROCPRIM_400000_NS6detail17trampoline_kernelINS0_14default_configENS1_38merge_sort_block_merge_config_selectorIlNS0_10empty_typeEEEZZNS1_27merge_sort_block_merge_implIS3_PlPS5_mZN2at6native12_GLOBAL__N_124unique_dim_cuda_templateIjEESt5tupleIJNSA_6TensorESF_SF_EERKSF_lbbbEUlllE_EE10hipError_tT0_T1_T2_jT3_P12ihipStream_tbPNSt15iterator_traitsISL_E10value_typeEPNSR_ISM_E10value_typeEPSN_NS1_7vsmem_tEENKUlT_SL_SM_SN_E_clIS8_S8_S9_S9_EESK_S10_SL_SM_SN_EUlS10_E_NS1_11comp_targetILNS1_3genE2ELNS1_11target_archE906ELNS1_3gpuE6ELNS1_3repE0EEENS1_48merge_mergepath_partition_config_static_selectorELNS0_4arch9wavefront6targetE1EEEvSM_.numbered_sgpr, 0
	.set _ZN7rocprim17ROCPRIM_400000_NS6detail17trampoline_kernelINS0_14default_configENS1_38merge_sort_block_merge_config_selectorIlNS0_10empty_typeEEEZZNS1_27merge_sort_block_merge_implIS3_PlPS5_mZN2at6native12_GLOBAL__N_124unique_dim_cuda_templateIjEESt5tupleIJNSA_6TensorESF_SF_EERKSF_lbbbEUlllE_EE10hipError_tT0_T1_T2_jT3_P12ihipStream_tbPNSt15iterator_traitsISL_E10value_typeEPNSR_ISM_E10value_typeEPSN_NS1_7vsmem_tEENKUlT_SL_SM_SN_E_clIS8_S8_S9_S9_EESK_S10_SL_SM_SN_EUlS10_E_NS1_11comp_targetILNS1_3genE2ELNS1_11target_archE906ELNS1_3gpuE6ELNS1_3repE0EEENS1_48merge_mergepath_partition_config_static_selectorELNS0_4arch9wavefront6targetE1EEEvSM_.num_named_barrier, 0
	.set _ZN7rocprim17ROCPRIM_400000_NS6detail17trampoline_kernelINS0_14default_configENS1_38merge_sort_block_merge_config_selectorIlNS0_10empty_typeEEEZZNS1_27merge_sort_block_merge_implIS3_PlPS5_mZN2at6native12_GLOBAL__N_124unique_dim_cuda_templateIjEESt5tupleIJNSA_6TensorESF_SF_EERKSF_lbbbEUlllE_EE10hipError_tT0_T1_T2_jT3_P12ihipStream_tbPNSt15iterator_traitsISL_E10value_typeEPNSR_ISM_E10value_typeEPSN_NS1_7vsmem_tEENKUlT_SL_SM_SN_E_clIS8_S8_S9_S9_EESK_S10_SL_SM_SN_EUlS10_E_NS1_11comp_targetILNS1_3genE2ELNS1_11target_archE906ELNS1_3gpuE6ELNS1_3repE0EEENS1_48merge_mergepath_partition_config_static_selectorELNS0_4arch9wavefront6targetE1EEEvSM_.private_seg_size, 0
	.set _ZN7rocprim17ROCPRIM_400000_NS6detail17trampoline_kernelINS0_14default_configENS1_38merge_sort_block_merge_config_selectorIlNS0_10empty_typeEEEZZNS1_27merge_sort_block_merge_implIS3_PlPS5_mZN2at6native12_GLOBAL__N_124unique_dim_cuda_templateIjEESt5tupleIJNSA_6TensorESF_SF_EERKSF_lbbbEUlllE_EE10hipError_tT0_T1_T2_jT3_P12ihipStream_tbPNSt15iterator_traitsISL_E10value_typeEPNSR_ISM_E10value_typeEPSN_NS1_7vsmem_tEENKUlT_SL_SM_SN_E_clIS8_S8_S9_S9_EESK_S10_SL_SM_SN_EUlS10_E_NS1_11comp_targetILNS1_3genE2ELNS1_11target_archE906ELNS1_3gpuE6ELNS1_3repE0EEENS1_48merge_mergepath_partition_config_static_selectorELNS0_4arch9wavefront6targetE1EEEvSM_.uses_vcc, 0
	.set _ZN7rocprim17ROCPRIM_400000_NS6detail17trampoline_kernelINS0_14default_configENS1_38merge_sort_block_merge_config_selectorIlNS0_10empty_typeEEEZZNS1_27merge_sort_block_merge_implIS3_PlPS5_mZN2at6native12_GLOBAL__N_124unique_dim_cuda_templateIjEESt5tupleIJNSA_6TensorESF_SF_EERKSF_lbbbEUlllE_EE10hipError_tT0_T1_T2_jT3_P12ihipStream_tbPNSt15iterator_traitsISL_E10value_typeEPNSR_ISM_E10value_typeEPSN_NS1_7vsmem_tEENKUlT_SL_SM_SN_E_clIS8_S8_S9_S9_EESK_S10_SL_SM_SN_EUlS10_E_NS1_11comp_targetILNS1_3genE2ELNS1_11target_archE906ELNS1_3gpuE6ELNS1_3repE0EEENS1_48merge_mergepath_partition_config_static_selectorELNS0_4arch9wavefront6targetE1EEEvSM_.uses_flat_scratch, 0
	.set _ZN7rocprim17ROCPRIM_400000_NS6detail17trampoline_kernelINS0_14default_configENS1_38merge_sort_block_merge_config_selectorIlNS0_10empty_typeEEEZZNS1_27merge_sort_block_merge_implIS3_PlPS5_mZN2at6native12_GLOBAL__N_124unique_dim_cuda_templateIjEESt5tupleIJNSA_6TensorESF_SF_EERKSF_lbbbEUlllE_EE10hipError_tT0_T1_T2_jT3_P12ihipStream_tbPNSt15iterator_traitsISL_E10value_typeEPNSR_ISM_E10value_typeEPSN_NS1_7vsmem_tEENKUlT_SL_SM_SN_E_clIS8_S8_S9_S9_EESK_S10_SL_SM_SN_EUlS10_E_NS1_11comp_targetILNS1_3genE2ELNS1_11target_archE906ELNS1_3gpuE6ELNS1_3repE0EEENS1_48merge_mergepath_partition_config_static_selectorELNS0_4arch9wavefront6targetE1EEEvSM_.has_dyn_sized_stack, 0
	.set _ZN7rocprim17ROCPRIM_400000_NS6detail17trampoline_kernelINS0_14default_configENS1_38merge_sort_block_merge_config_selectorIlNS0_10empty_typeEEEZZNS1_27merge_sort_block_merge_implIS3_PlPS5_mZN2at6native12_GLOBAL__N_124unique_dim_cuda_templateIjEESt5tupleIJNSA_6TensorESF_SF_EERKSF_lbbbEUlllE_EE10hipError_tT0_T1_T2_jT3_P12ihipStream_tbPNSt15iterator_traitsISL_E10value_typeEPNSR_ISM_E10value_typeEPSN_NS1_7vsmem_tEENKUlT_SL_SM_SN_E_clIS8_S8_S9_S9_EESK_S10_SL_SM_SN_EUlS10_E_NS1_11comp_targetILNS1_3genE2ELNS1_11target_archE906ELNS1_3gpuE6ELNS1_3repE0EEENS1_48merge_mergepath_partition_config_static_selectorELNS0_4arch9wavefront6targetE1EEEvSM_.has_recursion, 0
	.set _ZN7rocprim17ROCPRIM_400000_NS6detail17trampoline_kernelINS0_14default_configENS1_38merge_sort_block_merge_config_selectorIlNS0_10empty_typeEEEZZNS1_27merge_sort_block_merge_implIS3_PlPS5_mZN2at6native12_GLOBAL__N_124unique_dim_cuda_templateIjEESt5tupleIJNSA_6TensorESF_SF_EERKSF_lbbbEUlllE_EE10hipError_tT0_T1_T2_jT3_P12ihipStream_tbPNSt15iterator_traitsISL_E10value_typeEPNSR_ISM_E10value_typeEPSN_NS1_7vsmem_tEENKUlT_SL_SM_SN_E_clIS8_S8_S9_S9_EESK_S10_SL_SM_SN_EUlS10_E_NS1_11comp_targetILNS1_3genE2ELNS1_11target_archE906ELNS1_3gpuE6ELNS1_3repE0EEENS1_48merge_mergepath_partition_config_static_selectorELNS0_4arch9wavefront6targetE1EEEvSM_.has_indirect_call, 0
	.section	.AMDGPU.csdata,"",@progbits
; Kernel info:
; codeLenInByte = 0
; TotalNumSgprs: 6
; NumVgprs: 0
; NumAgprs: 0
; TotalNumVgprs: 0
; ScratchSize: 0
; MemoryBound: 0
; FloatMode: 240
; IeeeMode: 1
; LDSByteSize: 0 bytes/workgroup (compile time only)
; SGPRBlocks: 0
; VGPRBlocks: 0
; NumSGPRsForWavesPerEU: 6
; NumVGPRsForWavesPerEU: 1
; AccumOffset: 4
; Occupancy: 8
; WaveLimiterHint : 0
; COMPUTE_PGM_RSRC2:SCRATCH_EN: 0
; COMPUTE_PGM_RSRC2:USER_SGPR: 2
; COMPUTE_PGM_RSRC2:TRAP_HANDLER: 0
; COMPUTE_PGM_RSRC2:TGID_X_EN: 1
; COMPUTE_PGM_RSRC2:TGID_Y_EN: 0
; COMPUTE_PGM_RSRC2:TGID_Z_EN: 0
; COMPUTE_PGM_RSRC2:TIDIG_COMP_CNT: 0
; COMPUTE_PGM_RSRC3_GFX90A:ACCUM_OFFSET: 0
; COMPUTE_PGM_RSRC3_GFX90A:TG_SPLIT: 0
	.section	.text._ZN7rocprim17ROCPRIM_400000_NS6detail17trampoline_kernelINS0_14default_configENS1_38merge_sort_block_merge_config_selectorIlNS0_10empty_typeEEEZZNS1_27merge_sort_block_merge_implIS3_PlPS5_mZN2at6native12_GLOBAL__N_124unique_dim_cuda_templateIjEESt5tupleIJNSA_6TensorESF_SF_EERKSF_lbbbEUlllE_EE10hipError_tT0_T1_T2_jT3_P12ihipStream_tbPNSt15iterator_traitsISL_E10value_typeEPNSR_ISM_E10value_typeEPSN_NS1_7vsmem_tEENKUlT_SL_SM_SN_E_clIS8_S8_S9_S9_EESK_S10_SL_SM_SN_EUlS10_E_NS1_11comp_targetILNS1_3genE9ELNS1_11target_archE1100ELNS1_3gpuE3ELNS1_3repE0EEENS1_48merge_mergepath_partition_config_static_selectorELNS0_4arch9wavefront6targetE1EEEvSM_,"axG",@progbits,_ZN7rocprim17ROCPRIM_400000_NS6detail17trampoline_kernelINS0_14default_configENS1_38merge_sort_block_merge_config_selectorIlNS0_10empty_typeEEEZZNS1_27merge_sort_block_merge_implIS3_PlPS5_mZN2at6native12_GLOBAL__N_124unique_dim_cuda_templateIjEESt5tupleIJNSA_6TensorESF_SF_EERKSF_lbbbEUlllE_EE10hipError_tT0_T1_T2_jT3_P12ihipStream_tbPNSt15iterator_traitsISL_E10value_typeEPNSR_ISM_E10value_typeEPSN_NS1_7vsmem_tEENKUlT_SL_SM_SN_E_clIS8_S8_S9_S9_EESK_S10_SL_SM_SN_EUlS10_E_NS1_11comp_targetILNS1_3genE9ELNS1_11target_archE1100ELNS1_3gpuE3ELNS1_3repE0EEENS1_48merge_mergepath_partition_config_static_selectorELNS0_4arch9wavefront6targetE1EEEvSM_,comdat
	.globl	_ZN7rocprim17ROCPRIM_400000_NS6detail17trampoline_kernelINS0_14default_configENS1_38merge_sort_block_merge_config_selectorIlNS0_10empty_typeEEEZZNS1_27merge_sort_block_merge_implIS3_PlPS5_mZN2at6native12_GLOBAL__N_124unique_dim_cuda_templateIjEESt5tupleIJNSA_6TensorESF_SF_EERKSF_lbbbEUlllE_EE10hipError_tT0_T1_T2_jT3_P12ihipStream_tbPNSt15iterator_traitsISL_E10value_typeEPNSR_ISM_E10value_typeEPSN_NS1_7vsmem_tEENKUlT_SL_SM_SN_E_clIS8_S8_S9_S9_EESK_S10_SL_SM_SN_EUlS10_E_NS1_11comp_targetILNS1_3genE9ELNS1_11target_archE1100ELNS1_3gpuE3ELNS1_3repE0EEENS1_48merge_mergepath_partition_config_static_selectorELNS0_4arch9wavefront6targetE1EEEvSM_ ; -- Begin function _ZN7rocprim17ROCPRIM_400000_NS6detail17trampoline_kernelINS0_14default_configENS1_38merge_sort_block_merge_config_selectorIlNS0_10empty_typeEEEZZNS1_27merge_sort_block_merge_implIS3_PlPS5_mZN2at6native12_GLOBAL__N_124unique_dim_cuda_templateIjEESt5tupleIJNSA_6TensorESF_SF_EERKSF_lbbbEUlllE_EE10hipError_tT0_T1_T2_jT3_P12ihipStream_tbPNSt15iterator_traitsISL_E10value_typeEPNSR_ISM_E10value_typeEPSN_NS1_7vsmem_tEENKUlT_SL_SM_SN_E_clIS8_S8_S9_S9_EESK_S10_SL_SM_SN_EUlS10_E_NS1_11comp_targetILNS1_3genE9ELNS1_11target_archE1100ELNS1_3gpuE3ELNS1_3repE0EEENS1_48merge_mergepath_partition_config_static_selectorELNS0_4arch9wavefront6targetE1EEEvSM_
	.p2align	8
	.type	_ZN7rocprim17ROCPRIM_400000_NS6detail17trampoline_kernelINS0_14default_configENS1_38merge_sort_block_merge_config_selectorIlNS0_10empty_typeEEEZZNS1_27merge_sort_block_merge_implIS3_PlPS5_mZN2at6native12_GLOBAL__N_124unique_dim_cuda_templateIjEESt5tupleIJNSA_6TensorESF_SF_EERKSF_lbbbEUlllE_EE10hipError_tT0_T1_T2_jT3_P12ihipStream_tbPNSt15iterator_traitsISL_E10value_typeEPNSR_ISM_E10value_typeEPSN_NS1_7vsmem_tEENKUlT_SL_SM_SN_E_clIS8_S8_S9_S9_EESK_S10_SL_SM_SN_EUlS10_E_NS1_11comp_targetILNS1_3genE9ELNS1_11target_archE1100ELNS1_3gpuE3ELNS1_3repE0EEENS1_48merge_mergepath_partition_config_static_selectorELNS0_4arch9wavefront6targetE1EEEvSM_,@function
_ZN7rocprim17ROCPRIM_400000_NS6detail17trampoline_kernelINS0_14default_configENS1_38merge_sort_block_merge_config_selectorIlNS0_10empty_typeEEEZZNS1_27merge_sort_block_merge_implIS3_PlPS5_mZN2at6native12_GLOBAL__N_124unique_dim_cuda_templateIjEESt5tupleIJNSA_6TensorESF_SF_EERKSF_lbbbEUlllE_EE10hipError_tT0_T1_T2_jT3_P12ihipStream_tbPNSt15iterator_traitsISL_E10value_typeEPNSR_ISM_E10value_typeEPSN_NS1_7vsmem_tEENKUlT_SL_SM_SN_E_clIS8_S8_S9_S9_EESK_S10_SL_SM_SN_EUlS10_E_NS1_11comp_targetILNS1_3genE9ELNS1_11target_archE1100ELNS1_3gpuE3ELNS1_3repE0EEENS1_48merge_mergepath_partition_config_static_selectorELNS0_4arch9wavefront6targetE1EEEvSM_: ; @_ZN7rocprim17ROCPRIM_400000_NS6detail17trampoline_kernelINS0_14default_configENS1_38merge_sort_block_merge_config_selectorIlNS0_10empty_typeEEEZZNS1_27merge_sort_block_merge_implIS3_PlPS5_mZN2at6native12_GLOBAL__N_124unique_dim_cuda_templateIjEESt5tupleIJNSA_6TensorESF_SF_EERKSF_lbbbEUlllE_EE10hipError_tT0_T1_T2_jT3_P12ihipStream_tbPNSt15iterator_traitsISL_E10value_typeEPNSR_ISM_E10value_typeEPSN_NS1_7vsmem_tEENKUlT_SL_SM_SN_E_clIS8_S8_S9_S9_EESK_S10_SL_SM_SN_EUlS10_E_NS1_11comp_targetILNS1_3genE9ELNS1_11target_archE1100ELNS1_3gpuE3ELNS1_3repE0EEENS1_48merge_mergepath_partition_config_static_selectorELNS0_4arch9wavefront6targetE1EEEvSM_
; %bb.0:
	.section	.rodata,"a",@progbits
	.p2align	6, 0x0
	.amdhsa_kernel _ZN7rocprim17ROCPRIM_400000_NS6detail17trampoline_kernelINS0_14default_configENS1_38merge_sort_block_merge_config_selectorIlNS0_10empty_typeEEEZZNS1_27merge_sort_block_merge_implIS3_PlPS5_mZN2at6native12_GLOBAL__N_124unique_dim_cuda_templateIjEESt5tupleIJNSA_6TensorESF_SF_EERKSF_lbbbEUlllE_EE10hipError_tT0_T1_T2_jT3_P12ihipStream_tbPNSt15iterator_traitsISL_E10value_typeEPNSR_ISM_E10value_typeEPSN_NS1_7vsmem_tEENKUlT_SL_SM_SN_E_clIS8_S8_S9_S9_EESK_S10_SL_SM_SN_EUlS10_E_NS1_11comp_targetILNS1_3genE9ELNS1_11target_archE1100ELNS1_3gpuE3ELNS1_3repE0EEENS1_48merge_mergepath_partition_config_static_selectorELNS0_4arch9wavefront6targetE1EEEvSM_
		.amdhsa_group_segment_fixed_size 0
		.amdhsa_private_segment_fixed_size 0
		.amdhsa_kernarg_size 56
		.amdhsa_user_sgpr_count 2
		.amdhsa_user_sgpr_dispatch_ptr 0
		.amdhsa_user_sgpr_queue_ptr 0
		.amdhsa_user_sgpr_kernarg_segment_ptr 1
		.amdhsa_user_sgpr_dispatch_id 0
		.amdhsa_user_sgpr_kernarg_preload_length 0
		.amdhsa_user_sgpr_kernarg_preload_offset 0
		.amdhsa_user_sgpr_private_segment_size 0
		.amdhsa_uses_dynamic_stack 0
		.amdhsa_enable_private_segment 0
		.amdhsa_system_sgpr_workgroup_id_x 1
		.amdhsa_system_sgpr_workgroup_id_y 0
		.amdhsa_system_sgpr_workgroup_id_z 0
		.amdhsa_system_sgpr_workgroup_info 0
		.amdhsa_system_vgpr_workitem_id 0
		.amdhsa_next_free_vgpr 1
		.amdhsa_next_free_sgpr 0
		.amdhsa_accum_offset 4
		.amdhsa_reserve_vcc 0
		.amdhsa_float_round_mode_32 0
		.amdhsa_float_round_mode_16_64 0
		.amdhsa_float_denorm_mode_32 3
		.amdhsa_float_denorm_mode_16_64 3
		.amdhsa_dx10_clamp 1
		.amdhsa_ieee_mode 1
		.amdhsa_fp16_overflow 0
		.amdhsa_tg_split 0
		.amdhsa_exception_fp_ieee_invalid_op 0
		.amdhsa_exception_fp_denorm_src 0
		.amdhsa_exception_fp_ieee_div_zero 0
		.amdhsa_exception_fp_ieee_overflow 0
		.amdhsa_exception_fp_ieee_underflow 0
		.amdhsa_exception_fp_ieee_inexact 0
		.amdhsa_exception_int_div_zero 0
	.end_amdhsa_kernel
	.section	.text._ZN7rocprim17ROCPRIM_400000_NS6detail17trampoline_kernelINS0_14default_configENS1_38merge_sort_block_merge_config_selectorIlNS0_10empty_typeEEEZZNS1_27merge_sort_block_merge_implIS3_PlPS5_mZN2at6native12_GLOBAL__N_124unique_dim_cuda_templateIjEESt5tupleIJNSA_6TensorESF_SF_EERKSF_lbbbEUlllE_EE10hipError_tT0_T1_T2_jT3_P12ihipStream_tbPNSt15iterator_traitsISL_E10value_typeEPNSR_ISM_E10value_typeEPSN_NS1_7vsmem_tEENKUlT_SL_SM_SN_E_clIS8_S8_S9_S9_EESK_S10_SL_SM_SN_EUlS10_E_NS1_11comp_targetILNS1_3genE9ELNS1_11target_archE1100ELNS1_3gpuE3ELNS1_3repE0EEENS1_48merge_mergepath_partition_config_static_selectorELNS0_4arch9wavefront6targetE1EEEvSM_,"axG",@progbits,_ZN7rocprim17ROCPRIM_400000_NS6detail17trampoline_kernelINS0_14default_configENS1_38merge_sort_block_merge_config_selectorIlNS0_10empty_typeEEEZZNS1_27merge_sort_block_merge_implIS3_PlPS5_mZN2at6native12_GLOBAL__N_124unique_dim_cuda_templateIjEESt5tupleIJNSA_6TensorESF_SF_EERKSF_lbbbEUlllE_EE10hipError_tT0_T1_T2_jT3_P12ihipStream_tbPNSt15iterator_traitsISL_E10value_typeEPNSR_ISM_E10value_typeEPSN_NS1_7vsmem_tEENKUlT_SL_SM_SN_E_clIS8_S8_S9_S9_EESK_S10_SL_SM_SN_EUlS10_E_NS1_11comp_targetILNS1_3genE9ELNS1_11target_archE1100ELNS1_3gpuE3ELNS1_3repE0EEENS1_48merge_mergepath_partition_config_static_selectorELNS0_4arch9wavefront6targetE1EEEvSM_,comdat
.Lfunc_end1498:
	.size	_ZN7rocprim17ROCPRIM_400000_NS6detail17trampoline_kernelINS0_14default_configENS1_38merge_sort_block_merge_config_selectorIlNS0_10empty_typeEEEZZNS1_27merge_sort_block_merge_implIS3_PlPS5_mZN2at6native12_GLOBAL__N_124unique_dim_cuda_templateIjEESt5tupleIJNSA_6TensorESF_SF_EERKSF_lbbbEUlllE_EE10hipError_tT0_T1_T2_jT3_P12ihipStream_tbPNSt15iterator_traitsISL_E10value_typeEPNSR_ISM_E10value_typeEPSN_NS1_7vsmem_tEENKUlT_SL_SM_SN_E_clIS8_S8_S9_S9_EESK_S10_SL_SM_SN_EUlS10_E_NS1_11comp_targetILNS1_3genE9ELNS1_11target_archE1100ELNS1_3gpuE3ELNS1_3repE0EEENS1_48merge_mergepath_partition_config_static_selectorELNS0_4arch9wavefront6targetE1EEEvSM_, .Lfunc_end1498-_ZN7rocprim17ROCPRIM_400000_NS6detail17trampoline_kernelINS0_14default_configENS1_38merge_sort_block_merge_config_selectorIlNS0_10empty_typeEEEZZNS1_27merge_sort_block_merge_implIS3_PlPS5_mZN2at6native12_GLOBAL__N_124unique_dim_cuda_templateIjEESt5tupleIJNSA_6TensorESF_SF_EERKSF_lbbbEUlllE_EE10hipError_tT0_T1_T2_jT3_P12ihipStream_tbPNSt15iterator_traitsISL_E10value_typeEPNSR_ISM_E10value_typeEPSN_NS1_7vsmem_tEENKUlT_SL_SM_SN_E_clIS8_S8_S9_S9_EESK_S10_SL_SM_SN_EUlS10_E_NS1_11comp_targetILNS1_3genE9ELNS1_11target_archE1100ELNS1_3gpuE3ELNS1_3repE0EEENS1_48merge_mergepath_partition_config_static_selectorELNS0_4arch9wavefront6targetE1EEEvSM_
                                        ; -- End function
	.set _ZN7rocprim17ROCPRIM_400000_NS6detail17trampoline_kernelINS0_14default_configENS1_38merge_sort_block_merge_config_selectorIlNS0_10empty_typeEEEZZNS1_27merge_sort_block_merge_implIS3_PlPS5_mZN2at6native12_GLOBAL__N_124unique_dim_cuda_templateIjEESt5tupleIJNSA_6TensorESF_SF_EERKSF_lbbbEUlllE_EE10hipError_tT0_T1_T2_jT3_P12ihipStream_tbPNSt15iterator_traitsISL_E10value_typeEPNSR_ISM_E10value_typeEPSN_NS1_7vsmem_tEENKUlT_SL_SM_SN_E_clIS8_S8_S9_S9_EESK_S10_SL_SM_SN_EUlS10_E_NS1_11comp_targetILNS1_3genE9ELNS1_11target_archE1100ELNS1_3gpuE3ELNS1_3repE0EEENS1_48merge_mergepath_partition_config_static_selectorELNS0_4arch9wavefront6targetE1EEEvSM_.num_vgpr, 0
	.set _ZN7rocprim17ROCPRIM_400000_NS6detail17trampoline_kernelINS0_14default_configENS1_38merge_sort_block_merge_config_selectorIlNS0_10empty_typeEEEZZNS1_27merge_sort_block_merge_implIS3_PlPS5_mZN2at6native12_GLOBAL__N_124unique_dim_cuda_templateIjEESt5tupleIJNSA_6TensorESF_SF_EERKSF_lbbbEUlllE_EE10hipError_tT0_T1_T2_jT3_P12ihipStream_tbPNSt15iterator_traitsISL_E10value_typeEPNSR_ISM_E10value_typeEPSN_NS1_7vsmem_tEENKUlT_SL_SM_SN_E_clIS8_S8_S9_S9_EESK_S10_SL_SM_SN_EUlS10_E_NS1_11comp_targetILNS1_3genE9ELNS1_11target_archE1100ELNS1_3gpuE3ELNS1_3repE0EEENS1_48merge_mergepath_partition_config_static_selectorELNS0_4arch9wavefront6targetE1EEEvSM_.num_agpr, 0
	.set _ZN7rocprim17ROCPRIM_400000_NS6detail17trampoline_kernelINS0_14default_configENS1_38merge_sort_block_merge_config_selectorIlNS0_10empty_typeEEEZZNS1_27merge_sort_block_merge_implIS3_PlPS5_mZN2at6native12_GLOBAL__N_124unique_dim_cuda_templateIjEESt5tupleIJNSA_6TensorESF_SF_EERKSF_lbbbEUlllE_EE10hipError_tT0_T1_T2_jT3_P12ihipStream_tbPNSt15iterator_traitsISL_E10value_typeEPNSR_ISM_E10value_typeEPSN_NS1_7vsmem_tEENKUlT_SL_SM_SN_E_clIS8_S8_S9_S9_EESK_S10_SL_SM_SN_EUlS10_E_NS1_11comp_targetILNS1_3genE9ELNS1_11target_archE1100ELNS1_3gpuE3ELNS1_3repE0EEENS1_48merge_mergepath_partition_config_static_selectorELNS0_4arch9wavefront6targetE1EEEvSM_.numbered_sgpr, 0
	.set _ZN7rocprim17ROCPRIM_400000_NS6detail17trampoline_kernelINS0_14default_configENS1_38merge_sort_block_merge_config_selectorIlNS0_10empty_typeEEEZZNS1_27merge_sort_block_merge_implIS3_PlPS5_mZN2at6native12_GLOBAL__N_124unique_dim_cuda_templateIjEESt5tupleIJNSA_6TensorESF_SF_EERKSF_lbbbEUlllE_EE10hipError_tT0_T1_T2_jT3_P12ihipStream_tbPNSt15iterator_traitsISL_E10value_typeEPNSR_ISM_E10value_typeEPSN_NS1_7vsmem_tEENKUlT_SL_SM_SN_E_clIS8_S8_S9_S9_EESK_S10_SL_SM_SN_EUlS10_E_NS1_11comp_targetILNS1_3genE9ELNS1_11target_archE1100ELNS1_3gpuE3ELNS1_3repE0EEENS1_48merge_mergepath_partition_config_static_selectorELNS0_4arch9wavefront6targetE1EEEvSM_.num_named_barrier, 0
	.set _ZN7rocprim17ROCPRIM_400000_NS6detail17trampoline_kernelINS0_14default_configENS1_38merge_sort_block_merge_config_selectorIlNS0_10empty_typeEEEZZNS1_27merge_sort_block_merge_implIS3_PlPS5_mZN2at6native12_GLOBAL__N_124unique_dim_cuda_templateIjEESt5tupleIJNSA_6TensorESF_SF_EERKSF_lbbbEUlllE_EE10hipError_tT0_T1_T2_jT3_P12ihipStream_tbPNSt15iterator_traitsISL_E10value_typeEPNSR_ISM_E10value_typeEPSN_NS1_7vsmem_tEENKUlT_SL_SM_SN_E_clIS8_S8_S9_S9_EESK_S10_SL_SM_SN_EUlS10_E_NS1_11comp_targetILNS1_3genE9ELNS1_11target_archE1100ELNS1_3gpuE3ELNS1_3repE0EEENS1_48merge_mergepath_partition_config_static_selectorELNS0_4arch9wavefront6targetE1EEEvSM_.private_seg_size, 0
	.set _ZN7rocprim17ROCPRIM_400000_NS6detail17trampoline_kernelINS0_14default_configENS1_38merge_sort_block_merge_config_selectorIlNS0_10empty_typeEEEZZNS1_27merge_sort_block_merge_implIS3_PlPS5_mZN2at6native12_GLOBAL__N_124unique_dim_cuda_templateIjEESt5tupleIJNSA_6TensorESF_SF_EERKSF_lbbbEUlllE_EE10hipError_tT0_T1_T2_jT3_P12ihipStream_tbPNSt15iterator_traitsISL_E10value_typeEPNSR_ISM_E10value_typeEPSN_NS1_7vsmem_tEENKUlT_SL_SM_SN_E_clIS8_S8_S9_S9_EESK_S10_SL_SM_SN_EUlS10_E_NS1_11comp_targetILNS1_3genE9ELNS1_11target_archE1100ELNS1_3gpuE3ELNS1_3repE0EEENS1_48merge_mergepath_partition_config_static_selectorELNS0_4arch9wavefront6targetE1EEEvSM_.uses_vcc, 0
	.set _ZN7rocprim17ROCPRIM_400000_NS6detail17trampoline_kernelINS0_14default_configENS1_38merge_sort_block_merge_config_selectorIlNS0_10empty_typeEEEZZNS1_27merge_sort_block_merge_implIS3_PlPS5_mZN2at6native12_GLOBAL__N_124unique_dim_cuda_templateIjEESt5tupleIJNSA_6TensorESF_SF_EERKSF_lbbbEUlllE_EE10hipError_tT0_T1_T2_jT3_P12ihipStream_tbPNSt15iterator_traitsISL_E10value_typeEPNSR_ISM_E10value_typeEPSN_NS1_7vsmem_tEENKUlT_SL_SM_SN_E_clIS8_S8_S9_S9_EESK_S10_SL_SM_SN_EUlS10_E_NS1_11comp_targetILNS1_3genE9ELNS1_11target_archE1100ELNS1_3gpuE3ELNS1_3repE0EEENS1_48merge_mergepath_partition_config_static_selectorELNS0_4arch9wavefront6targetE1EEEvSM_.uses_flat_scratch, 0
	.set _ZN7rocprim17ROCPRIM_400000_NS6detail17trampoline_kernelINS0_14default_configENS1_38merge_sort_block_merge_config_selectorIlNS0_10empty_typeEEEZZNS1_27merge_sort_block_merge_implIS3_PlPS5_mZN2at6native12_GLOBAL__N_124unique_dim_cuda_templateIjEESt5tupleIJNSA_6TensorESF_SF_EERKSF_lbbbEUlllE_EE10hipError_tT0_T1_T2_jT3_P12ihipStream_tbPNSt15iterator_traitsISL_E10value_typeEPNSR_ISM_E10value_typeEPSN_NS1_7vsmem_tEENKUlT_SL_SM_SN_E_clIS8_S8_S9_S9_EESK_S10_SL_SM_SN_EUlS10_E_NS1_11comp_targetILNS1_3genE9ELNS1_11target_archE1100ELNS1_3gpuE3ELNS1_3repE0EEENS1_48merge_mergepath_partition_config_static_selectorELNS0_4arch9wavefront6targetE1EEEvSM_.has_dyn_sized_stack, 0
	.set _ZN7rocprim17ROCPRIM_400000_NS6detail17trampoline_kernelINS0_14default_configENS1_38merge_sort_block_merge_config_selectorIlNS0_10empty_typeEEEZZNS1_27merge_sort_block_merge_implIS3_PlPS5_mZN2at6native12_GLOBAL__N_124unique_dim_cuda_templateIjEESt5tupleIJNSA_6TensorESF_SF_EERKSF_lbbbEUlllE_EE10hipError_tT0_T1_T2_jT3_P12ihipStream_tbPNSt15iterator_traitsISL_E10value_typeEPNSR_ISM_E10value_typeEPSN_NS1_7vsmem_tEENKUlT_SL_SM_SN_E_clIS8_S8_S9_S9_EESK_S10_SL_SM_SN_EUlS10_E_NS1_11comp_targetILNS1_3genE9ELNS1_11target_archE1100ELNS1_3gpuE3ELNS1_3repE0EEENS1_48merge_mergepath_partition_config_static_selectorELNS0_4arch9wavefront6targetE1EEEvSM_.has_recursion, 0
	.set _ZN7rocprim17ROCPRIM_400000_NS6detail17trampoline_kernelINS0_14default_configENS1_38merge_sort_block_merge_config_selectorIlNS0_10empty_typeEEEZZNS1_27merge_sort_block_merge_implIS3_PlPS5_mZN2at6native12_GLOBAL__N_124unique_dim_cuda_templateIjEESt5tupleIJNSA_6TensorESF_SF_EERKSF_lbbbEUlllE_EE10hipError_tT0_T1_T2_jT3_P12ihipStream_tbPNSt15iterator_traitsISL_E10value_typeEPNSR_ISM_E10value_typeEPSN_NS1_7vsmem_tEENKUlT_SL_SM_SN_E_clIS8_S8_S9_S9_EESK_S10_SL_SM_SN_EUlS10_E_NS1_11comp_targetILNS1_3genE9ELNS1_11target_archE1100ELNS1_3gpuE3ELNS1_3repE0EEENS1_48merge_mergepath_partition_config_static_selectorELNS0_4arch9wavefront6targetE1EEEvSM_.has_indirect_call, 0
	.section	.AMDGPU.csdata,"",@progbits
; Kernel info:
; codeLenInByte = 0
; TotalNumSgprs: 6
; NumVgprs: 0
; NumAgprs: 0
; TotalNumVgprs: 0
; ScratchSize: 0
; MemoryBound: 0
; FloatMode: 240
; IeeeMode: 1
; LDSByteSize: 0 bytes/workgroup (compile time only)
; SGPRBlocks: 0
; VGPRBlocks: 0
; NumSGPRsForWavesPerEU: 6
; NumVGPRsForWavesPerEU: 1
; AccumOffset: 4
; Occupancy: 8
; WaveLimiterHint : 0
; COMPUTE_PGM_RSRC2:SCRATCH_EN: 0
; COMPUTE_PGM_RSRC2:USER_SGPR: 2
; COMPUTE_PGM_RSRC2:TRAP_HANDLER: 0
; COMPUTE_PGM_RSRC2:TGID_X_EN: 1
; COMPUTE_PGM_RSRC2:TGID_Y_EN: 0
; COMPUTE_PGM_RSRC2:TGID_Z_EN: 0
; COMPUTE_PGM_RSRC2:TIDIG_COMP_CNT: 0
; COMPUTE_PGM_RSRC3_GFX90A:ACCUM_OFFSET: 0
; COMPUTE_PGM_RSRC3_GFX90A:TG_SPLIT: 0
	.section	.text._ZN7rocprim17ROCPRIM_400000_NS6detail17trampoline_kernelINS0_14default_configENS1_38merge_sort_block_merge_config_selectorIlNS0_10empty_typeEEEZZNS1_27merge_sort_block_merge_implIS3_PlPS5_mZN2at6native12_GLOBAL__N_124unique_dim_cuda_templateIjEESt5tupleIJNSA_6TensorESF_SF_EERKSF_lbbbEUlllE_EE10hipError_tT0_T1_T2_jT3_P12ihipStream_tbPNSt15iterator_traitsISL_E10value_typeEPNSR_ISM_E10value_typeEPSN_NS1_7vsmem_tEENKUlT_SL_SM_SN_E_clIS8_S8_S9_S9_EESK_S10_SL_SM_SN_EUlS10_E_NS1_11comp_targetILNS1_3genE8ELNS1_11target_archE1030ELNS1_3gpuE2ELNS1_3repE0EEENS1_48merge_mergepath_partition_config_static_selectorELNS0_4arch9wavefront6targetE1EEEvSM_,"axG",@progbits,_ZN7rocprim17ROCPRIM_400000_NS6detail17trampoline_kernelINS0_14default_configENS1_38merge_sort_block_merge_config_selectorIlNS0_10empty_typeEEEZZNS1_27merge_sort_block_merge_implIS3_PlPS5_mZN2at6native12_GLOBAL__N_124unique_dim_cuda_templateIjEESt5tupleIJNSA_6TensorESF_SF_EERKSF_lbbbEUlllE_EE10hipError_tT0_T1_T2_jT3_P12ihipStream_tbPNSt15iterator_traitsISL_E10value_typeEPNSR_ISM_E10value_typeEPSN_NS1_7vsmem_tEENKUlT_SL_SM_SN_E_clIS8_S8_S9_S9_EESK_S10_SL_SM_SN_EUlS10_E_NS1_11comp_targetILNS1_3genE8ELNS1_11target_archE1030ELNS1_3gpuE2ELNS1_3repE0EEENS1_48merge_mergepath_partition_config_static_selectorELNS0_4arch9wavefront6targetE1EEEvSM_,comdat
	.globl	_ZN7rocprim17ROCPRIM_400000_NS6detail17trampoline_kernelINS0_14default_configENS1_38merge_sort_block_merge_config_selectorIlNS0_10empty_typeEEEZZNS1_27merge_sort_block_merge_implIS3_PlPS5_mZN2at6native12_GLOBAL__N_124unique_dim_cuda_templateIjEESt5tupleIJNSA_6TensorESF_SF_EERKSF_lbbbEUlllE_EE10hipError_tT0_T1_T2_jT3_P12ihipStream_tbPNSt15iterator_traitsISL_E10value_typeEPNSR_ISM_E10value_typeEPSN_NS1_7vsmem_tEENKUlT_SL_SM_SN_E_clIS8_S8_S9_S9_EESK_S10_SL_SM_SN_EUlS10_E_NS1_11comp_targetILNS1_3genE8ELNS1_11target_archE1030ELNS1_3gpuE2ELNS1_3repE0EEENS1_48merge_mergepath_partition_config_static_selectorELNS0_4arch9wavefront6targetE1EEEvSM_ ; -- Begin function _ZN7rocprim17ROCPRIM_400000_NS6detail17trampoline_kernelINS0_14default_configENS1_38merge_sort_block_merge_config_selectorIlNS0_10empty_typeEEEZZNS1_27merge_sort_block_merge_implIS3_PlPS5_mZN2at6native12_GLOBAL__N_124unique_dim_cuda_templateIjEESt5tupleIJNSA_6TensorESF_SF_EERKSF_lbbbEUlllE_EE10hipError_tT0_T1_T2_jT3_P12ihipStream_tbPNSt15iterator_traitsISL_E10value_typeEPNSR_ISM_E10value_typeEPSN_NS1_7vsmem_tEENKUlT_SL_SM_SN_E_clIS8_S8_S9_S9_EESK_S10_SL_SM_SN_EUlS10_E_NS1_11comp_targetILNS1_3genE8ELNS1_11target_archE1030ELNS1_3gpuE2ELNS1_3repE0EEENS1_48merge_mergepath_partition_config_static_selectorELNS0_4arch9wavefront6targetE1EEEvSM_
	.p2align	8
	.type	_ZN7rocprim17ROCPRIM_400000_NS6detail17trampoline_kernelINS0_14default_configENS1_38merge_sort_block_merge_config_selectorIlNS0_10empty_typeEEEZZNS1_27merge_sort_block_merge_implIS3_PlPS5_mZN2at6native12_GLOBAL__N_124unique_dim_cuda_templateIjEESt5tupleIJNSA_6TensorESF_SF_EERKSF_lbbbEUlllE_EE10hipError_tT0_T1_T2_jT3_P12ihipStream_tbPNSt15iterator_traitsISL_E10value_typeEPNSR_ISM_E10value_typeEPSN_NS1_7vsmem_tEENKUlT_SL_SM_SN_E_clIS8_S8_S9_S9_EESK_S10_SL_SM_SN_EUlS10_E_NS1_11comp_targetILNS1_3genE8ELNS1_11target_archE1030ELNS1_3gpuE2ELNS1_3repE0EEENS1_48merge_mergepath_partition_config_static_selectorELNS0_4arch9wavefront6targetE1EEEvSM_,@function
_ZN7rocprim17ROCPRIM_400000_NS6detail17trampoline_kernelINS0_14default_configENS1_38merge_sort_block_merge_config_selectorIlNS0_10empty_typeEEEZZNS1_27merge_sort_block_merge_implIS3_PlPS5_mZN2at6native12_GLOBAL__N_124unique_dim_cuda_templateIjEESt5tupleIJNSA_6TensorESF_SF_EERKSF_lbbbEUlllE_EE10hipError_tT0_T1_T2_jT3_P12ihipStream_tbPNSt15iterator_traitsISL_E10value_typeEPNSR_ISM_E10value_typeEPSN_NS1_7vsmem_tEENKUlT_SL_SM_SN_E_clIS8_S8_S9_S9_EESK_S10_SL_SM_SN_EUlS10_E_NS1_11comp_targetILNS1_3genE8ELNS1_11target_archE1030ELNS1_3gpuE2ELNS1_3repE0EEENS1_48merge_mergepath_partition_config_static_selectorELNS0_4arch9wavefront6targetE1EEEvSM_: ; @_ZN7rocprim17ROCPRIM_400000_NS6detail17trampoline_kernelINS0_14default_configENS1_38merge_sort_block_merge_config_selectorIlNS0_10empty_typeEEEZZNS1_27merge_sort_block_merge_implIS3_PlPS5_mZN2at6native12_GLOBAL__N_124unique_dim_cuda_templateIjEESt5tupleIJNSA_6TensorESF_SF_EERKSF_lbbbEUlllE_EE10hipError_tT0_T1_T2_jT3_P12ihipStream_tbPNSt15iterator_traitsISL_E10value_typeEPNSR_ISM_E10value_typeEPSN_NS1_7vsmem_tEENKUlT_SL_SM_SN_E_clIS8_S8_S9_S9_EESK_S10_SL_SM_SN_EUlS10_E_NS1_11comp_targetILNS1_3genE8ELNS1_11target_archE1030ELNS1_3gpuE2ELNS1_3repE0EEENS1_48merge_mergepath_partition_config_static_selectorELNS0_4arch9wavefront6targetE1EEEvSM_
; %bb.0:
	.section	.rodata,"a",@progbits
	.p2align	6, 0x0
	.amdhsa_kernel _ZN7rocprim17ROCPRIM_400000_NS6detail17trampoline_kernelINS0_14default_configENS1_38merge_sort_block_merge_config_selectorIlNS0_10empty_typeEEEZZNS1_27merge_sort_block_merge_implIS3_PlPS5_mZN2at6native12_GLOBAL__N_124unique_dim_cuda_templateIjEESt5tupleIJNSA_6TensorESF_SF_EERKSF_lbbbEUlllE_EE10hipError_tT0_T1_T2_jT3_P12ihipStream_tbPNSt15iterator_traitsISL_E10value_typeEPNSR_ISM_E10value_typeEPSN_NS1_7vsmem_tEENKUlT_SL_SM_SN_E_clIS8_S8_S9_S9_EESK_S10_SL_SM_SN_EUlS10_E_NS1_11comp_targetILNS1_3genE8ELNS1_11target_archE1030ELNS1_3gpuE2ELNS1_3repE0EEENS1_48merge_mergepath_partition_config_static_selectorELNS0_4arch9wavefront6targetE1EEEvSM_
		.amdhsa_group_segment_fixed_size 0
		.amdhsa_private_segment_fixed_size 0
		.amdhsa_kernarg_size 56
		.amdhsa_user_sgpr_count 2
		.amdhsa_user_sgpr_dispatch_ptr 0
		.amdhsa_user_sgpr_queue_ptr 0
		.amdhsa_user_sgpr_kernarg_segment_ptr 1
		.amdhsa_user_sgpr_dispatch_id 0
		.amdhsa_user_sgpr_kernarg_preload_length 0
		.amdhsa_user_sgpr_kernarg_preload_offset 0
		.amdhsa_user_sgpr_private_segment_size 0
		.amdhsa_uses_dynamic_stack 0
		.amdhsa_enable_private_segment 0
		.amdhsa_system_sgpr_workgroup_id_x 1
		.amdhsa_system_sgpr_workgroup_id_y 0
		.amdhsa_system_sgpr_workgroup_id_z 0
		.amdhsa_system_sgpr_workgroup_info 0
		.amdhsa_system_vgpr_workitem_id 0
		.amdhsa_next_free_vgpr 1
		.amdhsa_next_free_sgpr 0
		.amdhsa_accum_offset 4
		.amdhsa_reserve_vcc 0
		.amdhsa_float_round_mode_32 0
		.amdhsa_float_round_mode_16_64 0
		.amdhsa_float_denorm_mode_32 3
		.amdhsa_float_denorm_mode_16_64 3
		.amdhsa_dx10_clamp 1
		.amdhsa_ieee_mode 1
		.amdhsa_fp16_overflow 0
		.amdhsa_tg_split 0
		.amdhsa_exception_fp_ieee_invalid_op 0
		.amdhsa_exception_fp_denorm_src 0
		.amdhsa_exception_fp_ieee_div_zero 0
		.amdhsa_exception_fp_ieee_overflow 0
		.amdhsa_exception_fp_ieee_underflow 0
		.amdhsa_exception_fp_ieee_inexact 0
		.amdhsa_exception_int_div_zero 0
	.end_amdhsa_kernel
	.section	.text._ZN7rocprim17ROCPRIM_400000_NS6detail17trampoline_kernelINS0_14default_configENS1_38merge_sort_block_merge_config_selectorIlNS0_10empty_typeEEEZZNS1_27merge_sort_block_merge_implIS3_PlPS5_mZN2at6native12_GLOBAL__N_124unique_dim_cuda_templateIjEESt5tupleIJNSA_6TensorESF_SF_EERKSF_lbbbEUlllE_EE10hipError_tT0_T1_T2_jT3_P12ihipStream_tbPNSt15iterator_traitsISL_E10value_typeEPNSR_ISM_E10value_typeEPSN_NS1_7vsmem_tEENKUlT_SL_SM_SN_E_clIS8_S8_S9_S9_EESK_S10_SL_SM_SN_EUlS10_E_NS1_11comp_targetILNS1_3genE8ELNS1_11target_archE1030ELNS1_3gpuE2ELNS1_3repE0EEENS1_48merge_mergepath_partition_config_static_selectorELNS0_4arch9wavefront6targetE1EEEvSM_,"axG",@progbits,_ZN7rocprim17ROCPRIM_400000_NS6detail17trampoline_kernelINS0_14default_configENS1_38merge_sort_block_merge_config_selectorIlNS0_10empty_typeEEEZZNS1_27merge_sort_block_merge_implIS3_PlPS5_mZN2at6native12_GLOBAL__N_124unique_dim_cuda_templateIjEESt5tupleIJNSA_6TensorESF_SF_EERKSF_lbbbEUlllE_EE10hipError_tT0_T1_T2_jT3_P12ihipStream_tbPNSt15iterator_traitsISL_E10value_typeEPNSR_ISM_E10value_typeEPSN_NS1_7vsmem_tEENKUlT_SL_SM_SN_E_clIS8_S8_S9_S9_EESK_S10_SL_SM_SN_EUlS10_E_NS1_11comp_targetILNS1_3genE8ELNS1_11target_archE1030ELNS1_3gpuE2ELNS1_3repE0EEENS1_48merge_mergepath_partition_config_static_selectorELNS0_4arch9wavefront6targetE1EEEvSM_,comdat
.Lfunc_end1499:
	.size	_ZN7rocprim17ROCPRIM_400000_NS6detail17trampoline_kernelINS0_14default_configENS1_38merge_sort_block_merge_config_selectorIlNS0_10empty_typeEEEZZNS1_27merge_sort_block_merge_implIS3_PlPS5_mZN2at6native12_GLOBAL__N_124unique_dim_cuda_templateIjEESt5tupleIJNSA_6TensorESF_SF_EERKSF_lbbbEUlllE_EE10hipError_tT0_T1_T2_jT3_P12ihipStream_tbPNSt15iterator_traitsISL_E10value_typeEPNSR_ISM_E10value_typeEPSN_NS1_7vsmem_tEENKUlT_SL_SM_SN_E_clIS8_S8_S9_S9_EESK_S10_SL_SM_SN_EUlS10_E_NS1_11comp_targetILNS1_3genE8ELNS1_11target_archE1030ELNS1_3gpuE2ELNS1_3repE0EEENS1_48merge_mergepath_partition_config_static_selectorELNS0_4arch9wavefront6targetE1EEEvSM_, .Lfunc_end1499-_ZN7rocprim17ROCPRIM_400000_NS6detail17trampoline_kernelINS0_14default_configENS1_38merge_sort_block_merge_config_selectorIlNS0_10empty_typeEEEZZNS1_27merge_sort_block_merge_implIS3_PlPS5_mZN2at6native12_GLOBAL__N_124unique_dim_cuda_templateIjEESt5tupleIJNSA_6TensorESF_SF_EERKSF_lbbbEUlllE_EE10hipError_tT0_T1_T2_jT3_P12ihipStream_tbPNSt15iterator_traitsISL_E10value_typeEPNSR_ISM_E10value_typeEPSN_NS1_7vsmem_tEENKUlT_SL_SM_SN_E_clIS8_S8_S9_S9_EESK_S10_SL_SM_SN_EUlS10_E_NS1_11comp_targetILNS1_3genE8ELNS1_11target_archE1030ELNS1_3gpuE2ELNS1_3repE0EEENS1_48merge_mergepath_partition_config_static_selectorELNS0_4arch9wavefront6targetE1EEEvSM_
                                        ; -- End function
	.set _ZN7rocprim17ROCPRIM_400000_NS6detail17trampoline_kernelINS0_14default_configENS1_38merge_sort_block_merge_config_selectorIlNS0_10empty_typeEEEZZNS1_27merge_sort_block_merge_implIS3_PlPS5_mZN2at6native12_GLOBAL__N_124unique_dim_cuda_templateIjEESt5tupleIJNSA_6TensorESF_SF_EERKSF_lbbbEUlllE_EE10hipError_tT0_T1_T2_jT3_P12ihipStream_tbPNSt15iterator_traitsISL_E10value_typeEPNSR_ISM_E10value_typeEPSN_NS1_7vsmem_tEENKUlT_SL_SM_SN_E_clIS8_S8_S9_S9_EESK_S10_SL_SM_SN_EUlS10_E_NS1_11comp_targetILNS1_3genE8ELNS1_11target_archE1030ELNS1_3gpuE2ELNS1_3repE0EEENS1_48merge_mergepath_partition_config_static_selectorELNS0_4arch9wavefront6targetE1EEEvSM_.num_vgpr, 0
	.set _ZN7rocprim17ROCPRIM_400000_NS6detail17trampoline_kernelINS0_14default_configENS1_38merge_sort_block_merge_config_selectorIlNS0_10empty_typeEEEZZNS1_27merge_sort_block_merge_implIS3_PlPS5_mZN2at6native12_GLOBAL__N_124unique_dim_cuda_templateIjEESt5tupleIJNSA_6TensorESF_SF_EERKSF_lbbbEUlllE_EE10hipError_tT0_T1_T2_jT3_P12ihipStream_tbPNSt15iterator_traitsISL_E10value_typeEPNSR_ISM_E10value_typeEPSN_NS1_7vsmem_tEENKUlT_SL_SM_SN_E_clIS8_S8_S9_S9_EESK_S10_SL_SM_SN_EUlS10_E_NS1_11comp_targetILNS1_3genE8ELNS1_11target_archE1030ELNS1_3gpuE2ELNS1_3repE0EEENS1_48merge_mergepath_partition_config_static_selectorELNS0_4arch9wavefront6targetE1EEEvSM_.num_agpr, 0
	.set _ZN7rocprim17ROCPRIM_400000_NS6detail17trampoline_kernelINS0_14default_configENS1_38merge_sort_block_merge_config_selectorIlNS0_10empty_typeEEEZZNS1_27merge_sort_block_merge_implIS3_PlPS5_mZN2at6native12_GLOBAL__N_124unique_dim_cuda_templateIjEESt5tupleIJNSA_6TensorESF_SF_EERKSF_lbbbEUlllE_EE10hipError_tT0_T1_T2_jT3_P12ihipStream_tbPNSt15iterator_traitsISL_E10value_typeEPNSR_ISM_E10value_typeEPSN_NS1_7vsmem_tEENKUlT_SL_SM_SN_E_clIS8_S8_S9_S9_EESK_S10_SL_SM_SN_EUlS10_E_NS1_11comp_targetILNS1_3genE8ELNS1_11target_archE1030ELNS1_3gpuE2ELNS1_3repE0EEENS1_48merge_mergepath_partition_config_static_selectorELNS0_4arch9wavefront6targetE1EEEvSM_.numbered_sgpr, 0
	.set _ZN7rocprim17ROCPRIM_400000_NS6detail17trampoline_kernelINS0_14default_configENS1_38merge_sort_block_merge_config_selectorIlNS0_10empty_typeEEEZZNS1_27merge_sort_block_merge_implIS3_PlPS5_mZN2at6native12_GLOBAL__N_124unique_dim_cuda_templateIjEESt5tupleIJNSA_6TensorESF_SF_EERKSF_lbbbEUlllE_EE10hipError_tT0_T1_T2_jT3_P12ihipStream_tbPNSt15iterator_traitsISL_E10value_typeEPNSR_ISM_E10value_typeEPSN_NS1_7vsmem_tEENKUlT_SL_SM_SN_E_clIS8_S8_S9_S9_EESK_S10_SL_SM_SN_EUlS10_E_NS1_11comp_targetILNS1_3genE8ELNS1_11target_archE1030ELNS1_3gpuE2ELNS1_3repE0EEENS1_48merge_mergepath_partition_config_static_selectorELNS0_4arch9wavefront6targetE1EEEvSM_.num_named_barrier, 0
	.set _ZN7rocprim17ROCPRIM_400000_NS6detail17trampoline_kernelINS0_14default_configENS1_38merge_sort_block_merge_config_selectorIlNS0_10empty_typeEEEZZNS1_27merge_sort_block_merge_implIS3_PlPS5_mZN2at6native12_GLOBAL__N_124unique_dim_cuda_templateIjEESt5tupleIJNSA_6TensorESF_SF_EERKSF_lbbbEUlllE_EE10hipError_tT0_T1_T2_jT3_P12ihipStream_tbPNSt15iterator_traitsISL_E10value_typeEPNSR_ISM_E10value_typeEPSN_NS1_7vsmem_tEENKUlT_SL_SM_SN_E_clIS8_S8_S9_S9_EESK_S10_SL_SM_SN_EUlS10_E_NS1_11comp_targetILNS1_3genE8ELNS1_11target_archE1030ELNS1_3gpuE2ELNS1_3repE0EEENS1_48merge_mergepath_partition_config_static_selectorELNS0_4arch9wavefront6targetE1EEEvSM_.private_seg_size, 0
	.set _ZN7rocprim17ROCPRIM_400000_NS6detail17trampoline_kernelINS0_14default_configENS1_38merge_sort_block_merge_config_selectorIlNS0_10empty_typeEEEZZNS1_27merge_sort_block_merge_implIS3_PlPS5_mZN2at6native12_GLOBAL__N_124unique_dim_cuda_templateIjEESt5tupleIJNSA_6TensorESF_SF_EERKSF_lbbbEUlllE_EE10hipError_tT0_T1_T2_jT3_P12ihipStream_tbPNSt15iterator_traitsISL_E10value_typeEPNSR_ISM_E10value_typeEPSN_NS1_7vsmem_tEENKUlT_SL_SM_SN_E_clIS8_S8_S9_S9_EESK_S10_SL_SM_SN_EUlS10_E_NS1_11comp_targetILNS1_3genE8ELNS1_11target_archE1030ELNS1_3gpuE2ELNS1_3repE0EEENS1_48merge_mergepath_partition_config_static_selectorELNS0_4arch9wavefront6targetE1EEEvSM_.uses_vcc, 0
	.set _ZN7rocprim17ROCPRIM_400000_NS6detail17trampoline_kernelINS0_14default_configENS1_38merge_sort_block_merge_config_selectorIlNS0_10empty_typeEEEZZNS1_27merge_sort_block_merge_implIS3_PlPS5_mZN2at6native12_GLOBAL__N_124unique_dim_cuda_templateIjEESt5tupleIJNSA_6TensorESF_SF_EERKSF_lbbbEUlllE_EE10hipError_tT0_T1_T2_jT3_P12ihipStream_tbPNSt15iterator_traitsISL_E10value_typeEPNSR_ISM_E10value_typeEPSN_NS1_7vsmem_tEENKUlT_SL_SM_SN_E_clIS8_S8_S9_S9_EESK_S10_SL_SM_SN_EUlS10_E_NS1_11comp_targetILNS1_3genE8ELNS1_11target_archE1030ELNS1_3gpuE2ELNS1_3repE0EEENS1_48merge_mergepath_partition_config_static_selectorELNS0_4arch9wavefront6targetE1EEEvSM_.uses_flat_scratch, 0
	.set _ZN7rocprim17ROCPRIM_400000_NS6detail17trampoline_kernelINS0_14default_configENS1_38merge_sort_block_merge_config_selectorIlNS0_10empty_typeEEEZZNS1_27merge_sort_block_merge_implIS3_PlPS5_mZN2at6native12_GLOBAL__N_124unique_dim_cuda_templateIjEESt5tupleIJNSA_6TensorESF_SF_EERKSF_lbbbEUlllE_EE10hipError_tT0_T1_T2_jT3_P12ihipStream_tbPNSt15iterator_traitsISL_E10value_typeEPNSR_ISM_E10value_typeEPSN_NS1_7vsmem_tEENKUlT_SL_SM_SN_E_clIS8_S8_S9_S9_EESK_S10_SL_SM_SN_EUlS10_E_NS1_11comp_targetILNS1_3genE8ELNS1_11target_archE1030ELNS1_3gpuE2ELNS1_3repE0EEENS1_48merge_mergepath_partition_config_static_selectorELNS0_4arch9wavefront6targetE1EEEvSM_.has_dyn_sized_stack, 0
	.set _ZN7rocprim17ROCPRIM_400000_NS6detail17trampoline_kernelINS0_14default_configENS1_38merge_sort_block_merge_config_selectorIlNS0_10empty_typeEEEZZNS1_27merge_sort_block_merge_implIS3_PlPS5_mZN2at6native12_GLOBAL__N_124unique_dim_cuda_templateIjEESt5tupleIJNSA_6TensorESF_SF_EERKSF_lbbbEUlllE_EE10hipError_tT0_T1_T2_jT3_P12ihipStream_tbPNSt15iterator_traitsISL_E10value_typeEPNSR_ISM_E10value_typeEPSN_NS1_7vsmem_tEENKUlT_SL_SM_SN_E_clIS8_S8_S9_S9_EESK_S10_SL_SM_SN_EUlS10_E_NS1_11comp_targetILNS1_3genE8ELNS1_11target_archE1030ELNS1_3gpuE2ELNS1_3repE0EEENS1_48merge_mergepath_partition_config_static_selectorELNS0_4arch9wavefront6targetE1EEEvSM_.has_recursion, 0
	.set _ZN7rocprim17ROCPRIM_400000_NS6detail17trampoline_kernelINS0_14default_configENS1_38merge_sort_block_merge_config_selectorIlNS0_10empty_typeEEEZZNS1_27merge_sort_block_merge_implIS3_PlPS5_mZN2at6native12_GLOBAL__N_124unique_dim_cuda_templateIjEESt5tupleIJNSA_6TensorESF_SF_EERKSF_lbbbEUlllE_EE10hipError_tT0_T1_T2_jT3_P12ihipStream_tbPNSt15iterator_traitsISL_E10value_typeEPNSR_ISM_E10value_typeEPSN_NS1_7vsmem_tEENKUlT_SL_SM_SN_E_clIS8_S8_S9_S9_EESK_S10_SL_SM_SN_EUlS10_E_NS1_11comp_targetILNS1_3genE8ELNS1_11target_archE1030ELNS1_3gpuE2ELNS1_3repE0EEENS1_48merge_mergepath_partition_config_static_selectorELNS0_4arch9wavefront6targetE1EEEvSM_.has_indirect_call, 0
	.section	.AMDGPU.csdata,"",@progbits
; Kernel info:
; codeLenInByte = 0
; TotalNumSgprs: 6
; NumVgprs: 0
; NumAgprs: 0
; TotalNumVgprs: 0
; ScratchSize: 0
; MemoryBound: 0
; FloatMode: 240
; IeeeMode: 1
; LDSByteSize: 0 bytes/workgroup (compile time only)
; SGPRBlocks: 0
; VGPRBlocks: 0
; NumSGPRsForWavesPerEU: 6
; NumVGPRsForWavesPerEU: 1
; AccumOffset: 4
; Occupancy: 8
; WaveLimiterHint : 0
; COMPUTE_PGM_RSRC2:SCRATCH_EN: 0
; COMPUTE_PGM_RSRC2:USER_SGPR: 2
; COMPUTE_PGM_RSRC2:TRAP_HANDLER: 0
; COMPUTE_PGM_RSRC2:TGID_X_EN: 1
; COMPUTE_PGM_RSRC2:TGID_Y_EN: 0
; COMPUTE_PGM_RSRC2:TGID_Z_EN: 0
; COMPUTE_PGM_RSRC2:TIDIG_COMP_CNT: 0
; COMPUTE_PGM_RSRC3_GFX90A:ACCUM_OFFSET: 0
; COMPUTE_PGM_RSRC3_GFX90A:TG_SPLIT: 0
	.section	.text._ZN7rocprim17ROCPRIM_400000_NS6detail17trampoline_kernelINS0_14default_configENS1_38merge_sort_block_merge_config_selectorIlNS0_10empty_typeEEEZZNS1_27merge_sort_block_merge_implIS3_PlPS5_mZN2at6native12_GLOBAL__N_124unique_dim_cuda_templateIjEESt5tupleIJNSA_6TensorESF_SF_EERKSF_lbbbEUlllE_EE10hipError_tT0_T1_T2_jT3_P12ihipStream_tbPNSt15iterator_traitsISL_E10value_typeEPNSR_ISM_E10value_typeEPSN_NS1_7vsmem_tEENKUlT_SL_SM_SN_E_clIS8_S8_S9_S9_EESK_S10_SL_SM_SN_EUlS10_E0_NS1_11comp_targetILNS1_3genE0ELNS1_11target_archE4294967295ELNS1_3gpuE0ELNS1_3repE0EEENS1_38merge_mergepath_config_static_selectorELNS0_4arch9wavefront6targetE1EEEvSM_,"axG",@progbits,_ZN7rocprim17ROCPRIM_400000_NS6detail17trampoline_kernelINS0_14default_configENS1_38merge_sort_block_merge_config_selectorIlNS0_10empty_typeEEEZZNS1_27merge_sort_block_merge_implIS3_PlPS5_mZN2at6native12_GLOBAL__N_124unique_dim_cuda_templateIjEESt5tupleIJNSA_6TensorESF_SF_EERKSF_lbbbEUlllE_EE10hipError_tT0_T1_T2_jT3_P12ihipStream_tbPNSt15iterator_traitsISL_E10value_typeEPNSR_ISM_E10value_typeEPSN_NS1_7vsmem_tEENKUlT_SL_SM_SN_E_clIS8_S8_S9_S9_EESK_S10_SL_SM_SN_EUlS10_E0_NS1_11comp_targetILNS1_3genE0ELNS1_11target_archE4294967295ELNS1_3gpuE0ELNS1_3repE0EEENS1_38merge_mergepath_config_static_selectorELNS0_4arch9wavefront6targetE1EEEvSM_,comdat
	.globl	_ZN7rocprim17ROCPRIM_400000_NS6detail17trampoline_kernelINS0_14default_configENS1_38merge_sort_block_merge_config_selectorIlNS0_10empty_typeEEEZZNS1_27merge_sort_block_merge_implIS3_PlPS5_mZN2at6native12_GLOBAL__N_124unique_dim_cuda_templateIjEESt5tupleIJNSA_6TensorESF_SF_EERKSF_lbbbEUlllE_EE10hipError_tT0_T1_T2_jT3_P12ihipStream_tbPNSt15iterator_traitsISL_E10value_typeEPNSR_ISM_E10value_typeEPSN_NS1_7vsmem_tEENKUlT_SL_SM_SN_E_clIS8_S8_S9_S9_EESK_S10_SL_SM_SN_EUlS10_E0_NS1_11comp_targetILNS1_3genE0ELNS1_11target_archE4294967295ELNS1_3gpuE0ELNS1_3repE0EEENS1_38merge_mergepath_config_static_selectorELNS0_4arch9wavefront6targetE1EEEvSM_ ; -- Begin function _ZN7rocprim17ROCPRIM_400000_NS6detail17trampoline_kernelINS0_14default_configENS1_38merge_sort_block_merge_config_selectorIlNS0_10empty_typeEEEZZNS1_27merge_sort_block_merge_implIS3_PlPS5_mZN2at6native12_GLOBAL__N_124unique_dim_cuda_templateIjEESt5tupleIJNSA_6TensorESF_SF_EERKSF_lbbbEUlllE_EE10hipError_tT0_T1_T2_jT3_P12ihipStream_tbPNSt15iterator_traitsISL_E10value_typeEPNSR_ISM_E10value_typeEPSN_NS1_7vsmem_tEENKUlT_SL_SM_SN_E_clIS8_S8_S9_S9_EESK_S10_SL_SM_SN_EUlS10_E0_NS1_11comp_targetILNS1_3genE0ELNS1_11target_archE4294967295ELNS1_3gpuE0ELNS1_3repE0EEENS1_38merge_mergepath_config_static_selectorELNS0_4arch9wavefront6targetE1EEEvSM_
	.p2align	8
	.type	_ZN7rocprim17ROCPRIM_400000_NS6detail17trampoline_kernelINS0_14default_configENS1_38merge_sort_block_merge_config_selectorIlNS0_10empty_typeEEEZZNS1_27merge_sort_block_merge_implIS3_PlPS5_mZN2at6native12_GLOBAL__N_124unique_dim_cuda_templateIjEESt5tupleIJNSA_6TensorESF_SF_EERKSF_lbbbEUlllE_EE10hipError_tT0_T1_T2_jT3_P12ihipStream_tbPNSt15iterator_traitsISL_E10value_typeEPNSR_ISM_E10value_typeEPSN_NS1_7vsmem_tEENKUlT_SL_SM_SN_E_clIS8_S8_S9_S9_EESK_S10_SL_SM_SN_EUlS10_E0_NS1_11comp_targetILNS1_3genE0ELNS1_11target_archE4294967295ELNS1_3gpuE0ELNS1_3repE0EEENS1_38merge_mergepath_config_static_selectorELNS0_4arch9wavefront6targetE1EEEvSM_,@function
_ZN7rocprim17ROCPRIM_400000_NS6detail17trampoline_kernelINS0_14default_configENS1_38merge_sort_block_merge_config_selectorIlNS0_10empty_typeEEEZZNS1_27merge_sort_block_merge_implIS3_PlPS5_mZN2at6native12_GLOBAL__N_124unique_dim_cuda_templateIjEESt5tupleIJNSA_6TensorESF_SF_EERKSF_lbbbEUlllE_EE10hipError_tT0_T1_T2_jT3_P12ihipStream_tbPNSt15iterator_traitsISL_E10value_typeEPNSR_ISM_E10value_typeEPSN_NS1_7vsmem_tEENKUlT_SL_SM_SN_E_clIS8_S8_S9_S9_EESK_S10_SL_SM_SN_EUlS10_E0_NS1_11comp_targetILNS1_3genE0ELNS1_11target_archE4294967295ELNS1_3gpuE0ELNS1_3repE0EEENS1_38merge_mergepath_config_static_selectorELNS0_4arch9wavefront6targetE1EEEvSM_: ; @_ZN7rocprim17ROCPRIM_400000_NS6detail17trampoline_kernelINS0_14default_configENS1_38merge_sort_block_merge_config_selectorIlNS0_10empty_typeEEEZZNS1_27merge_sort_block_merge_implIS3_PlPS5_mZN2at6native12_GLOBAL__N_124unique_dim_cuda_templateIjEESt5tupleIJNSA_6TensorESF_SF_EERKSF_lbbbEUlllE_EE10hipError_tT0_T1_T2_jT3_P12ihipStream_tbPNSt15iterator_traitsISL_E10value_typeEPNSR_ISM_E10value_typeEPSN_NS1_7vsmem_tEENKUlT_SL_SM_SN_E_clIS8_S8_S9_S9_EESK_S10_SL_SM_SN_EUlS10_E0_NS1_11comp_targetILNS1_3genE0ELNS1_11target_archE4294967295ELNS1_3gpuE0ELNS1_3repE0EEENS1_38merge_mergepath_config_static_selectorELNS0_4arch9wavefront6targetE1EEEvSM_
; %bb.0:
	s_load_dwordx2 s[22:23], s[0:1], 0x58
	s_load_dword s5, s[0:1], 0x38
	s_add_u32 s18, s0, 0x58
	s_addc_u32 s19, s1, 0
	s_waitcnt lgkmcnt(0)
	s_mul_i32 s4, s23, s4
	s_add_i32 s3, s4, s3
	s_mul_i32 s3, s3, s22
	s_add_i32 s20, s3, s2
	s_cmp_ge_u32 s20, s5
	s_cbranch_scc1 .LBB1500_138
; %bb.1:
	s_load_dwordx2 s[12:13], s[0:1], 0x50
	s_load_dwordx4 s[4:7], s[0:1], 0x8
	s_load_dwordx4 s[8:11], s[0:1], 0x28
	s_mov_b32 s21, 0
	s_lshl_b64 s[14:15], s[20:21], 3
	s_waitcnt lgkmcnt(0)
	s_add_u32 s16, s12, s14
	s_addc_u32 s17, s13, s15
	s_load_dwordx4 s[12:15], s[16:17], 0x0
	s_lshr_b64 s[16:17], s[10:11], 9
	s_and_b32 s3, s16, -2
	s_sub_i32 s33, 0, s3
	s_and_b32 s26, s20, s33
	s_mov_b32 s27, s21
	s_lshl_b64 s[24:25], s[26:27], 10
	s_lshl_b64 s[16:17], s[20:21], 10
	s_sub_u32 s3, s16, s24
	s_subb_u32 s23, s17, s25
	s_lshl_b64 s[26:27], s[26:27], 11
	s_add_u32 s26, s26, s10
	s_addc_u32 s27, s27, s11
	s_add_u32 s3, s26, s3
	s_addc_u32 s23, s27, s23
	s_waitcnt lgkmcnt(0)
	s_sub_u32 s28, s3, s14
	s_subb_u32 s15, s23, s15
	s_add_u32 s28, s28, 0x400
	s_addc_u32 s29, s15, 0
	v_mov_b64_e32 v[2:3], s[28:29]
	v_cmp_lt_u64_e32 vcc, s[8:9], v[2:3]
	s_and_b64 s[30:31], vcc, exec
	s_cselect_b32 s15, s8, s28
	s_or_b32 s28, s20, s33
	s_cmp_lg_u32 s28, -1
	s_cbranch_scc1 .LBB1500_3
; %bb.2:
	s_sub_u32 s24, s26, s24
	s_subb_u32 s25, s27, s25
	v_mov_b64_e32 v[2:3], s[24:25]
	v_cmp_lt_u64_e32 vcc, s[8:9], v[2:3]
	s_and_b64 s[14:15], vcc, exec
	s_cselect_b32 s14, s8, s24
	s_add_u32 s10, s24, s10
	s_addc_u32 s11, s25, s11
	v_mov_b64_e32 v[2:3], s[10:11]
	v_cmp_lt_u64_e32 vcc, s[8:9], v[2:3]
	s_and_b64 s[24:25], vcc, exec
	s_cselect_b32 s15, s8, s10
.LBB1500_3:
	s_lshr_b64 s[24:25], s[8:9], 10
	s_cmp_lg_u64 s[24:25], s[20:21]
	s_cselect_b64 s[10:11], -1, 0
	s_sub_u32 s26, s3, s12
	s_subb_u32 s27, s23, s13
	v_mov_b64_e32 v[2:3], s[26:27]
	v_cmp_lt_u64_e32 vcc, s[8:9], v[2:3]
	s_and_b64 s[28:29], vcc, exec
	s_cselect_b32 s26, s8, s26
	s_cselect_b32 s27, s9, s27
	s_sub_i32 s9, s14, s12
	s_sub_i32 s23, s15, s26
	s_lshl_b64 s[12:13], s[12:13], 3
	s_add_u32 s12, s4, s12
	s_addc_u32 s13, s5, s13
	s_lshl_b64 s[14:15], s[26:27], 3
	s_add_u32 s4, s4, s14
	s_addc_u32 s5, s5, s15
	s_cmp_lt_u32 s2, s22
	v_mov_b32_e32 v19, 0
	s_cselect_b32 s2, 12, 18
	global_load_dword v1, v19, s[18:19] offset:14
	s_add_u32 s2, s18, s2
	s_addc_u32 s3, s19, 0
	global_load_ushort v2, v19, s[2:3]
	s_cmp_eq_u64 s[24:25], s[20:21]
	v_lshlrev_b32_e32 v18, 3, v0
	s_waitcnt vmcnt(1)
	v_lshrrev_b32_e32 v3, 16, v1
	v_and_b32_e32 v1, 0xffff, v1
	v_mul_lo_u32 v1, v1, v3
	s_waitcnt vmcnt(0)
	v_mul_lo_u32 v1, v1, v2
	s_cbranch_scc1 .LBB1500_5
; %bb.4:
	v_subrev_co_u32_e32 v4, vcc, s9, v0
	v_mov_b32_e32 v5, v19
	v_lshl_add_u64 v[2:3], s[12:13], 0, v[18:19]
	v_lshl_add_u64 v[4:5], v[4:5], 3, s[4:5]
	v_add_u32_e32 v6, v1, v0
	v_cndmask_b32_e32 v3, v5, v3, vcc
	v_cndmask_b32_e32 v2, v4, v2, vcc
	v_mov_b32_e32 v7, v19
	v_subrev_co_u32_e32 v8, vcc, s9, v6
	v_mov_b32_e32 v9, v19
	v_lshl_add_u64 v[4:5], v[6:7], 3, s[12:13]
	v_lshl_add_u64 v[8:9], v[8:9], 3, s[4:5]
	v_cndmask_b32_e32 v4, v8, v4, vcc
	v_add_u32_e32 v8, v6, v1
	v_cndmask_b32_e32 v5, v9, v5, vcc
	v_mov_b32_e32 v9, v19
	v_subrev_co_u32_e32 v10, vcc, s9, v8
	v_mov_b32_e32 v11, v19
	v_lshl_add_u64 v[6:7], v[8:9], 3, s[12:13]
	v_lshl_add_u64 v[10:11], v[10:11], 3, s[4:5]
	v_cndmask_b32_e32 v6, v10, v6, vcc
	v_add_u32_e32 v10, v8, v1
	;; [unrolled: 8-line block ×5, first 2 shown]
	v_cndmask_b32_e32 v13, v17, v13, vcc
	v_mov_b32_e32 v17, v19
	v_subrev_co_u32_e32 v20, vcc, s9, v16
	v_mov_b32_e32 v21, v19
	v_lshl_add_u64 v[14:15], v[16:17], 3, s[12:13]
	v_lshl_add_u64 v[20:21], v[20:21], 3, s[4:5]
	v_add_u32_e32 v16, v16, v1
	v_cndmask_b32_e32 v15, v21, v15, vcc
	v_cndmask_b32_e32 v14, v20, v14, vcc
	v_lshl_add_u64 v[20:21], v[16:17], 3, s[12:13]
	v_subrev_co_u32_e32 v16, vcc, s9, v16
	v_lshl_add_u64 v[16:17], v[16:17], 3, s[4:5]
	s_nop 0
	v_cndmask_b32_e32 v17, v17, v21, vcc
	v_cndmask_b32_e32 v16, v16, v20, vcc
	global_load_dwordx2 v[2:3], v[2:3], off
	s_add_i32 s33, s9, s23
	global_load_dwordx2 v[4:5], v[4:5], off
	s_nop 0
	global_load_dwordx2 v[6:7], v[6:7], off
	s_nop 0
	;; [unrolled: 2-line block ×6, first 2 shown]
	global_load_dwordx2 v[16:17], v[16:17], off
	s_cbranch_execz .LBB1500_6
	s_branch .LBB1500_23
.LBB1500_5:
                                        ; implicit-def: $vgpr2_vgpr3_vgpr4_vgpr5_vgpr6_vgpr7_vgpr8_vgpr9_vgpr10_vgpr11_vgpr12_vgpr13_vgpr14_vgpr15_vgpr16_vgpr17
                                        ; implicit-def: $sgpr33
.LBB1500_6:
	s_add_i32 s33, s9, s23
	s_waitcnt vmcnt(7)
	v_mov_b32_e32 v2, 0
	v_cmp_gt_u32_e32 vcc, s33, v0
	v_mov_b32_e32 v3, v2
	s_waitcnt vmcnt(6)
	v_mov_b32_e32 v4, v2
	v_mov_b32_e32 v5, v2
	s_waitcnt vmcnt(5)
	v_mov_b32_e32 v6, v2
	;; [unrolled: 3-line block ×7, first 2 shown]
	v_mov_b32_e32 v17, v2
	s_and_saveexec_b64 s[2:3], vcc
	s_cbranch_execz .LBB1500_8
; %bb.7:
	v_mov_b32_e32 v19, v2
	v_subrev_co_u32_e32 v6, vcc, s9, v0
	v_mov_b32_e32 v7, v2
	v_lshl_add_u64 v[4:5], s[12:13], 0, v[18:19]
	v_lshl_add_u64 v[6:7], v[6:7], 3, s[4:5]
	v_cndmask_b32_e32 v5, v7, v5, vcc
	v_cndmask_b32_e32 v4, v6, v4, vcc
	global_load_dwordx2 v[20:21], v[4:5], off
	v_mov_b32_e32 v22, v2
	v_mov_b32_e32 v23, v2
	;; [unrolled: 1-line block ×14, first 2 shown]
	s_waitcnt vmcnt(0)
	v_mov_b64_e32 v[2:3], v[20:21]
	v_mov_b64_e32 v[4:5], v[22:23]
	;; [unrolled: 1-line block ×8, first 2 shown]
.LBB1500_8:
	s_or_b64 exec, exec, s[2:3]
	v_add_u32_e32 v20, v1, v0
	v_cmp_gt_u32_e32 vcc, s33, v20
	s_and_saveexec_b64 s[2:3], vcc
	s_cbranch_execz .LBB1500_10
; %bb.9:
	v_mov_b32_e32 v21, 0
	v_subrev_co_u32_e32 v22, vcc, s9, v20
	v_mov_b32_e32 v23, v21
	v_lshl_add_u64 v[4:5], v[20:21], 3, s[12:13]
	v_lshl_add_u64 v[22:23], v[22:23], 3, s[4:5]
	v_cndmask_b32_e32 v5, v23, v5, vcc
	v_cndmask_b32_e32 v4, v22, v4, vcc
	global_load_dwordx2 v[4:5], v[4:5], off
.LBB1500_10:
	s_or_b64 exec, exec, s[2:3]
	v_add_u32_e32 v20, v20, v1
	v_cmp_gt_u32_e32 vcc, s33, v20
	s_and_saveexec_b64 s[2:3], vcc
	s_cbranch_execz .LBB1500_12
; %bb.11:
	v_mov_b32_e32 v21, 0
	v_subrev_co_u32_e32 v22, vcc, s9, v20
	v_mov_b32_e32 v23, v21
	v_lshl_add_u64 v[6:7], v[20:21], 3, s[12:13]
	v_lshl_add_u64 v[22:23], v[22:23], 3, s[4:5]
	v_cndmask_b32_e32 v7, v23, v7, vcc
	v_cndmask_b32_e32 v6, v22, v6, vcc
	global_load_dwordx2 v[6:7], v[6:7], off
.LBB1500_12:
	;; [unrolled: 15-line block ×6, first 2 shown]
	s_or_b64 exec, exec, s[2:3]
	v_add_u32_e32 v20, v20, v1
	v_cmp_gt_u32_e32 vcc, s33, v20
	s_and_saveexec_b64 s[2:3], vcc
	s_cbranch_execz .LBB1500_22
; %bb.21:
	v_mov_b32_e32 v21, 0
	v_lshl_add_u64 v[16:17], v[20:21], 3, s[12:13]
	v_subrev_co_u32_e32 v20, vcc, s9, v20
	v_lshl_add_u64 v[20:21], v[20:21], 3, s[4:5]
	s_nop 0
	v_cndmask_b32_e32 v17, v21, v17, vcc
	v_cndmask_b32_e32 v16, v20, v16, vcc
	global_load_dwordx2 v[16:17], v[16:17], off
.LBB1500_22:
	s_or_b64 exec, exec, s[2:3]
.LBB1500_23:
	s_load_dwordx4 s[12:15], s[0:1], 0x40
	v_min_u32_e32 v1, s33, v18
	v_sub_u32_e64 v24, v1, s23 clamp
	v_min_u32_e32 v19, s9, v1
	v_cmp_lt_u32_e32 vcc, v24, v19
	s_waitcnt vmcnt(0)
	ds_write2st64_b64 v18, v[2:3], v[4:5] offset1:2
	ds_write2st64_b64 v18, v[6:7], v[8:9] offset0:4 offset1:6
	ds_write2st64_b64 v18, v[10:11], v[12:13] offset0:8 offset1:10
	;; [unrolled: 1-line block ×3, first 2 shown]
	s_waitcnt lgkmcnt(0)
	s_barrier
	s_and_saveexec_b64 s[18:19], vcc
	s_cbranch_execz .LBB1500_33
; %bb.24:
	v_lshlrev_b32_e32 v20, 3, v1
	v_cmp_gt_i64_e64 s[0:1], s[12:13], 0
	v_lshl_add_u32 v25, s9, 3, v20
	s_mov_b64 s[20:21], 0
	v_cndmask_b32_e64 v20, 0, 1, s[0:1]
	s_lshl_b64 s[22:23], s[12:13], 2
	v_cmp_ne_u32_e64 s[0:1], 1, v20
	s_branch .LBB1500_27
.LBB1500_25:                            ;   in Loop: Header=BB1500_27 Depth=1
	s_or_b64 exec, exec, s[26:27]
.LBB1500_26:                            ;   in Loop: Header=BB1500_27 Depth=1
	v_add_u32_e32 v20, 1, v26
	v_cndmask_b32_e64 v19, v19, v26, s[24:25]
	v_cndmask_b32_e64 v24, v20, v24, s[24:25]
	v_cmp_ge_u32_e32 vcc, v24, v19
	s_or_b64 s[20:21], vcc, s[20:21]
	s_andn2_b64 exec, exec, s[20:21]
	s_cbranch_execz .LBB1500_32
.LBB1500_27:                            ; =>This Loop Header: Depth=1
                                        ;     Child Loop BB1500_30 Depth 2
	v_add_u32_e32 v20, v19, v24
	v_lshrrev_b32_e32 v26, 1, v20
	s_and_b64 vcc, exec, s[0:1]
	s_mov_b64 s[24:25], 0
	s_cbranch_vccnz .LBB1500_26
; %bb.28:                               ;   in Loop: Header=BB1500_27 Depth=1
	v_not_b32_e32 v20, v26
	v_lshl_add_u32 v20, v20, 3, v25
	ds_read_b64 v[20:21], v20
	v_lshlrev_b32_e32 v27, 3, v26
	ds_read_b64 v[28:29], v27
	v_mov_b64_e32 v[22:23], s[14:15]
	s_mov_b64 s[26:27], 0
	s_waitcnt lgkmcnt(1)
	v_mul_lo_u32 v27, s22, v21
	v_mul_lo_u32 v30, s23, v20
	v_mad_u64_u32 v[20:21], s[2:3], s22, v20, v[22:23]
	v_add3_u32 v21, v30, v21, v27
	s_waitcnt lgkmcnt(0)
	v_mul_lo_u32 v27, s22, v29
	v_mul_lo_u32 v29, s23, v28
	v_mad_u64_u32 v[22:23], s[2:3], s22, v28, v[22:23]
	v_add3_u32 v23, v29, v23, v27
	s_mov_b64 s[30:31], s[12:13]
                                        ; implicit-def: $sgpr24_sgpr25
                                        ; implicit-def: $sgpr28_sgpr29
                                        ; implicit-def: $sgpr2_sgpr3
                                        ; implicit-def: $sgpr34_sgpr35
	s_branch .LBB1500_30
.LBB1500_29:                            ;   in Loop: Header=BB1500_30 Depth=2
	s_or_b64 exec, exec, s[38:39]
	s_and_b64 s[4:5], exec, s[28:29]
	s_or_b64 s[26:27], s[4:5], s[26:27]
	s_andn2_b64 s[4:5], s[34:35], exec
	s_and_b64 s[34:35], s[36:37], exec
	s_or_b64 s[34:35], s[4:5], s[34:35]
	s_andn2_b64 s[4:5], s[24:25], exec
	s_and_b64 s[24:25], s[2:3], exec
	s_or_b64 s[24:25], s[4:5], s[24:25]
	s_andn2_b64 exec, exec, s[26:27]
	s_cbranch_execz .LBB1500_25
.LBB1500_30:                            ;   Parent Loop BB1500_27 Depth=1
                                        ; =>  This Inner Loop Header: Depth=2
	global_load_dword v27, v[20:21], off
	global_load_dword v28, v[22:23], off
	s_andn2_b64 s[38:39], s[2:3], exec
	s_or_b64 s[28:29], s[28:29], exec
	s_waitcnt vmcnt(0)
	v_cmp_le_u32_e64 s[2:3], v27, v28
	v_cmp_lt_u32_e32 vcc, v27, v28
	s_and_b64 s[2:3], s[2:3], s[34:35]
	s_or_b64 s[36:37], vcc, s[2:3]
	s_and_b64 s[2:3], s[36:37], exec
	v_cmp_eq_u32_e64 s[4:5], v27, v28
	s_or_b64 s[2:3], s[38:39], s[2:3]
	s_and_saveexec_b64 s[38:39], s[4:5]
	s_cbranch_execz .LBB1500_29
; %bb.31:                               ;   in Loop: Header=BB1500_30 Depth=2
	s_add_u32 s30, s30, -1
	s_addc_u32 s31, s31, -1
	s_cmp_eq_u64 s[30:31], 0
	s_cselect_b64 s[4:5], -1, 0
	s_andn2_b64 s[28:29], s[28:29], exec
	s_and_b64 s[4:5], s[4:5], exec
	v_lshl_add_u64 v[20:21], v[20:21], 0, 4
	v_lshl_add_u64 v[22:23], v[22:23], 0, 4
	s_andn2_b64 s[2:3], s[2:3], exec
	s_or_b64 s[28:29], s[28:29], s[4:5]
                                        ; implicit-def: $sgpr34_sgpr35
	s_branch .LBB1500_29
.LBB1500_32:
	s_or_b64 exec, exec, s[20:21]
.LBB1500_33:
	s_or_b64 exec, exec, s[18:19]
	v_sub_u32_e32 v1, v1, v24
	v_add_u32_e32 v20, s9, v1
	v_cmp_ge_u32_e32 vcc, s9, v24
	v_cmp_ge_u32_e64 s[0:1], s33, v20
	s_or_b64 s[0:1], vcc, s[0:1]
	s_and_saveexec_b64 s[4:5], s[0:1]
	s_cbranch_execz .LBB1500_124
; %bb.34:
	v_cmp_le_u32_e32 vcc, s9, v24
	v_cmp_gt_u32_e64 s[0:1], s9, v24
                                        ; implicit-def: $vgpr2_vgpr3
	s_and_saveexec_b64 s[2:3], s[0:1]
; %bb.35:
	v_lshlrev_b32_e32 v1, 3, v24
	ds_read_b64 v[2:3], v1
; %bb.36:
	s_or_b64 exec, exec, s[2:3]
	v_cmp_le_u32_e64 s[20:21], s33, v20
	v_cmp_gt_u32_e64 s[0:1], s33, v20
                                        ; implicit-def: $vgpr14_vgpr15
	s_and_saveexec_b64 s[2:3], s[0:1]
; %bb.37:
	v_lshlrev_b32_e32 v1, 3, v20
	ds_read_b64 v[14:15], v1
; %bb.38:
	s_or_b64 exec, exec, s[2:3]
	v_cmp_gt_i64_e64 s[18:19], s[12:13], 0
	s_nor_b64 s[0:1], vcc, s[20:21]
	s_and_saveexec_b64 s[22:23], s[0:1]
	s_cbranch_execz .LBB1500_47
; %bb.39:
	s_andn2_b64 vcc, exec, s[18:19]
	s_cbranch_vccnz .LBB1500_45
; %bb.40:
	s_waitcnt lgkmcnt(0)
	v_mul_lo_u32 v1, v15, s12
	v_mul_lo_u32 v6, v14, s13
	v_mad_u64_u32 v[4:5], s[0:1], v14, s12, 0
	v_add3_u32 v5, v5, v6, v1
	v_mul_lo_u32 v1, v3, s12
	v_mul_lo_u32 v8, v2, s13
	v_mad_u64_u32 v[6:7], s[0:1], v2, s12, 0
	v_add3_u32 v7, v7, v8, v1
	v_lshl_add_u64 v[4:5], v[4:5], 2, s[14:15]
	v_lshl_add_u64 v[6:7], v[6:7], 2, s[14:15]
	s_mov_b64 s[24:25], 0
	s_mov_b64 s[30:31], s[12:13]
                                        ; implicit-def: $sgpr26_sgpr27
                                        ; implicit-def: $sgpr28_sgpr29
                                        ; implicit-def: $sgpr0_sgpr1
                                        ; implicit-def: $sgpr34_sgpr35
	s_branch .LBB1500_42
.LBB1500_41:                            ;   in Loop: Header=BB1500_42 Depth=1
	s_or_b64 exec, exec, s[38:39]
	s_and_b64 s[2:3], exec, s[28:29]
	s_or_b64 s[24:25], s[2:3], s[24:25]
	s_andn2_b64 s[2:3], s[34:35], exec
	s_and_b64 s[34:35], s[36:37], exec
	s_or_b64 s[34:35], s[2:3], s[34:35]
	s_andn2_b64 s[2:3], s[26:27], exec
	s_and_b64 s[26:27], s[0:1], exec
	s_or_b64 s[26:27], s[2:3], s[26:27]
	s_andn2_b64 exec, exec, s[24:25]
	s_cbranch_execz .LBB1500_44
.LBB1500_42:                            ; =>This Inner Loop Header: Depth=1
	global_load_dword v1, v[4:5], off
	global_load_dword v8, v[6:7], off
	s_andn2_b64 s[38:39], s[0:1], exec
	s_or_b64 s[28:29], s[28:29], exec
	s_waitcnt vmcnt(0)
	v_cmp_le_u32_e64 s[0:1], v1, v8
	v_cmp_lt_u32_e32 vcc, v1, v8
	s_and_b64 s[0:1], s[0:1], s[34:35]
	s_or_b64 s[36:37], vcc, s[0:1]
	s_and_b64 s[0:1], s[36:37], exec
	v_cmp_eq_u32_e64 s[2:3], v1, v8
	s_or_b64 s[0:1], s[38:39], s[0:1]
	s_and_saveexec_b64 s[38:39], s[2:3]
	s_cbranch_execz .LBB1500_41
; %bb.43:                               ;   in Loop: Header=BB1500_42 Depth=1
	s_add_u32 s30, s30, -1
	s_addc_u32 s31, s31, -1
	s_cmp_eq_u64 s[30:31], 0
	s_cselect_b64 s[2:3], -1, 0
	s_andn2_b64 s[28:29], s[28:29], exec
	s_and_b64 s[2:3], s[2:3], exec
	v_lshl_add_u64 v[4:5], v[4:5], 0, 4
	v_lshl_add_u64 v[6:7], v[6:7], 0, 4
	s_andn2_b64 s[0:1], s[0:1], exec
	s_or_b64 s[28:29], s[28:29], s[2:3]
                                        ; implicit-def: $sgpr34_sgpr35
	s_branch .LBB1500_41
.LBB1500_44:
	s_or_b64 exec, exec, s[24:25]
	s_xor_b64 s[0:1], s[26:27], -1
	s_branch .LBB1500_46
.LBB1500_45:
	s_mov_b64 s[0:1], -1
.LBB1500_46:
	s_andn2_b64 s[2:3], s[20:21], exec
	s_and_b64 s[0:1], s[0:1], exec
	s_or_b64 s[20:21], s[2:3], s[0:1]
.LBB1500_47:
	s_or_b64 exec, exec, s[22:23]
	v_mov_b32_e32 v4, s33
	v_mov_b32_e32 v5, s9
	v_cndmask_b32_e64 v1, v20, v24, s[20:21]
	v_cndmask_b32_e64 v4, v4, v5, s[20:21]
	v_add_u32_e32 v6, 1, v1
	v_add_u32_e32 v1, -1, v4
	v_min_u32_e32 v1, v6, v1
	v_lshlrev_b32_e32 v1, 3, v1
	ds_read_b64 v[4:5], v1
	v_cndmask_b32_e64 v8, v6, v20, s[20:21]
	v_cndmask_b32_e64 v9, v24, v6, s[20:21]
	v_cmp_gt_u32_e32 vcc, s33, v8
	s_mov_b64 s[24:25], -1
	s_waitcnt lgkmcnt(0)
	v_cndmask_b32_e64 v1, v5, v15, s[20:21]
	v_cndmask_b32_e64 v16, v4, v14, s[20:21]
	;; [unrolled: 1-line block ×4, first 2 shown]
	s_mov_b64 s[22:23], -1
	s_and_saveexec_b64 s[26:27], vcc
	s_cbranch_execz .LBB1500_58
; %bb.48:
	v_cmp_gt_u32_e32 vcc, s9, v9
	s_mov_b64 s[0:1], 0
	s_and_saveexec_b64 s[22:23], vcc
	s_cbranch_execz .LBB1500_57
; %bb.49:
	s_andn2_b64 vcc, exec, s[18:19]
	s_cbranch_vccnz .LBB1500_55
; %bb.50:
	v_mul_lo_u32 v6, v1, s12
	v_mul_lo_u32 v7, v16, s13
	v_mad_u64_u32 v[4:5], s[0:1], v16, s12, 0
	v_add3_u32 v5, v5, v7, v6
	v_mul_lo_u32 v10, v17, s12
	v_mul_lo_u32 v11, v19, s13
	v_mad_u64_u32 v[6:7], s[0:1], v19, s12, 0
	v_add3_u32 v7, v7, v11, v10
	v_lshl_add_u64 v[4:5], v[4:5], 2, s[14:15]
	v_lshl_add_u64 v[6:7], v[6:7], 2, s[14:15]
	s_mov_b64 s[28:29], 0
	s_mov_b64 s[36:37], s[12:13]
                                        ; implicit-def: $sgpr30_sgpr31
                                        ; implicit-def: $sgpr34_sgpr35
                                        ; implicit-def: $sgpr0_sgpr1
                                        ; implicit-def: $sgpr38_sgpr39
	s_branch .LBB1500_52
.LBB1500_51:                            ;   in Loop: Header=BB1500_52 Depth=1
	s_or_b64 exec, exec, s[42:43]
	s_and_b64 s[2:3], exec, s[34:35]
	s_or_b64 s[28:29], s[2:3], s[28:29]
	s_andn2_b64 s[2:3], s[38:39], exec
	s_and_b64 s[38:39], s[40:41], exec
	s_or_b64 s[38:39], s[2:3], s[38:39]
	s_andn2_b64 s[2:3], s[30:31], exec
	s_and_b64 s[30:31], s[0:1], exec
	s_or_b64 s[30:31], s[2:3], s[30:31]
	s_andn2_b64 exec, exec, s[28:29]
	s_cbranch_execz .LBB1500_54
.LBB1500_52:                            ; =>This Inner Loop Header: Depth=1
	global_load_dword v10, v[4:5], off
	global_load_dword v11, v[6:7], off
	s_andn2_b64 s[42:43], s[0:1], exec
	s_or_b64 s[34:35], s[34:35], exec
	s_waitcnt vmcnt(0)
	v_cmp_le_u32_e64 s[0:1], v10, v11
	v_cmp_lt_u32_e32 vcc, v10, v11
	s_and_b64 s[0:1], s[0:1], s[38:39]
	s_or_b64 s[40:41], vcc, s[0:1]
	s_and_b64 s[0:1], s[40:41], exec
	v_cmp_eq_u32_e64 s[2:3], v10, v11
	s_or_b64 s[0:1], s[42:43], s[0:1]
	s_and_saveexec_b64 s[42:43], s[2:3]
	s_cbranch_execz .LBB1500_51
; %bb.53:                               ;   in Loop: Header=BB1500_52 Depth=1
	s_add_u32 s36, s36, -1
	s_addc_u32 s37, s37, -1
	s_cmp_eq_u64 s[36:37], 0
	s_cselect_b64 s[2:3], -1, 0
	s_andn2_b64 s[34:35], s[34:35], exec
	s_and_b64 s[2:3], s[2:3], exec
	v_lshl_add_u64 v[4:5], v[4:5], 0, 4
	v_lshl_add_u64 v[6:7], v[6:7], 0, 4
	s_andn2_b64 s[0:1], s[0:1], exec
	s_or_b64 s[34:35], s[34:35], s[2:3]
                                        ; implicit-def: $sgpr38_sgpr39
	s_branch .LBB1500_51
.LBB1500_54:
	s_or_b64 exec, exec, s[28:29]
	s_xor_b64 s[0:1], s[30:31], -1
	s_branch .LBB1500_56
.LBB1500_55:
	s_mov_b64 s[0:1], -1
.LBB1500_56:
	s_and_b64 s[0:1], s[0:1], exec
.LBB1500_57:
	s_or_b64 exec, exec, s[22:23]
	s_orn2_b64 s[22:23], s[0:1], exec
.LBB1500_58:
	s_or_b64 exec, exec, s[26:27]
	v_mov_b32_e32 v5, s33
	v_mov_b32_e32 v6, s9
	v_cndmask_b32_e64 v4, v8, v9, s[22:23]
	v_cndmask_b32_e64 v5, v5, v6, s[22:23]
	v_add_u32_e32 v6, 1, v4
	v_add_u32_e32 v4, -1, v5
	v_min_u32_e32 v4, v6, v4
	v_lshlrev_b32_e32 v4, 3, v4
	ds_read_b64 v[4:5], v4
	v_cndmask_b32_e64 v10, v6, v8, s[22:23]
	v_cndmask_b32_e64 v11, v9, v6, s[22:23]
	v_cmp_gt_u32_e32 vcc, s33, v10
	s_waitcnt lgkmcnt(0)
	v_cndmask_b32_e64 v20, v5, v1, s[22:23]
	v_cndmask_b32_e64 v21, v4, v16, s[22:23]
	;; [unrolled: 1-line block ×4, first 2 shown]
	s_and_saveexec_b64 s[26:27], vcc
	s_cbranch_execz .LBB1500_69
; %bb.59:
	v_cmp_gt_u32_e32 vcc, s9, v11
	s_mov_b64 s[0:1], 0
	s_and_saveexec_b64 s[24:25], vcc
	s_cbranch_execz .LBB1500_68
; %bb.60:
	s_andn2_b64 vcc, exec, s[18:19]
	s_cbranch_vccnz .LBB1500_66
; %bb.61:
	v_mul_lo_u32 v6, v20, s12
	v_mul_lo_u32 v7, v21, s13
	v_mad_u64_u32 v[4:5], s[0:1], v21, s12, 0
	v_add3_u32 v5, v5, v7, v6
	v_mul_lo_u32 v8, v22, s12
	v_mul_lo_u32 v9, v23, s13
	v_mad_u64_u32 v[6:7], s[0:1], v23, s12, 0
	v_add3_u32 v7, v7, v9, v8
	v_lshl_add_u64 v[4:5], v[4:5], 2, s[14:15]
	v_lshl_add_u64 v[6:7], v[6:7], 2, s[14:15]
	s_mov_b64 s[28:29], 0
	s_mov_b64 s[36:37], s[12:13]
                                        ; implicit-def: $sgpr30_sgpr31
                                        ; implicit-def: $sgpr34_sgpr35
                                        ; implicit-def: $sgpr0_sgpr1
                                        ; implicit-def: $sgpr38_sgpr39
	s_branch .LBB1500_63
.LBB1500_62:                            ;   in Loop: Header=BB1500_63 Depth=1
	s_or_b64 exec, exec, s[42:43]
	s_and_b64 s[2:3], exec, s[34:35]
	s_or_b64 s[28:29], s[2:3], s[28:29]
	s_andn2_b64 s[2:3], s[38:39], exec
	s_and_b64 s[38:39], s[40:41], exec
	s_or_b64 s[38:39], s[2:3], s[38:39]
	s_andn2_b64 s[2:3], s[30:31], exec
	s_and_b64 s[30:31], s[0:1], exec
	s_or_b64 s[30:31], s[2:3], s[30:31]
	s_andn2_b64 exec, exec, s[28:29]
	s_cbranch_execz .LBB1500_65
.LBB1500_63:                            ; =>This Inner Loop Header: Depth=1
	global_load_dword v8, v[4:5], off
	global_load_dword v9, v[6:7], off
	s_andn2_b64 s[42:43], s[0:1], exec
	s_or_b64 s[34:35], s[34:35], exec
	s_waitcnt vmcnt(0)
	v_cmp_le_u32_e64 s[0:1], v8, v9
	v_cmp_lt_u32_e32 vcc, v8, v9
	s_and_b64 s[0:1], s[0:1], s[38:39]
	s_or_b64 s[40:41], vcc, s[0:1]
	s_and_b64 s[0:1], s[40:41], exec
	v_cmp_eq_u32_e64 s[2:3], v8, v9
	s_or_b64 s[0:1], s[42:43], s[0:1]
	s_and_saveexec_b64 s[42:43], s[2:3]
	s_cbranch_execz .LBB1500_62
; %bb.64:                               ;   in Loop: Header=BB1500_63 Depth=1
	s_add_u32 s36, s36, -1
	s_addc_u32 s37, s37, -1
	s_cmp_eq_u64 s[36:37], 0
	s_cselect_b64 s[2:3], -1, 0
	s_andn2_b64 s[34:35], s[34:35], exec
	s_and_b64 s[2:3], s[2:3], exec
	v_lshl_add_u64 v[4:5], v[4:5], 0, 4
	v_lshl_add_u64 v[6:7], v[6:7], 0, 4
	s_andn2_b64 s[0:1], s[0:1], exec
	s_or_b64 s[34:35], s[34:35], s[2:3]
                                        ; implicit-def: $sgpr38_sgpr39
	s_branch .LBB1500_62
.LBB1500_65:
	s_or_b64 exec, exec, s[28:29]
	s_xor_b64 s[0:1], s[30:31], -1
	s_branch .LBB1500_67
.LBB1500_66:
	s_mov_b64 s[0:1], -1
.LBB1500_67:
	s_and_b64 s[0:1], s[0:1], exec
.LBB1500_68:
	s_or_b64 exec, exec, s[24:25]
	s_orn2_b64 s[24:25], s[0:1], exec
.LBB1500_69:
	s_or_b64 exec, exec, s[26:27]
	v_mov_b32_e32 v5, s33
	v_mov_b32_e32 v6, s9
	v_cndmask_b32_e64 v4, v10, v11, s[24:25]
	v_cndmask_b32_e64 v5, v5, v6, s[24:25]
	v_add_u32_e32 v6, 1, v4
	v_add_u32_e32 v4, -1, v5
	v_min_u32_e32 v4, v6, v4
	v_lshlrev_b32_e32 v4, 3, v4
	ds_read_b64 v[4:5], v4
	v_cndmask_b32_e64 v12, v6, v10, s[24:25]
	v_cndmask_b32_e64 v13, v11, v6, s[24:25]
	v_cmp_gt_u32_e32 vcc, s33, v12
	s_mov_b64 s[28:29], -1
	s_waitcnt lgkmcnt(0)
	v_cndmask_b32_e64 v8, v5, v20, s[24:25]
	v_cndmask_b32_e64 v24, v4, v21, s[24:25]
	;; [unrolled: 1-line block ×4, first 2 shown]
	s_mov_b64 s[26:27], -1
	s_and_saveexec_b64 s[30:31], vcc
	s_cbranch_execz .LBB1500_80
; %bb.70:
	v_cmp_gt_u32_e32 vcc, s9, v13
	s_mov_b64 s[0:1], 0
	s_and_saveexec_b64 s[26:27], vcc
	s_cbranch_execz .LBB1500_79
; %bb.71:
	s_andn2_b64 vcc, exec, s[18:19]
	s_cbranch_vccnz .LBB1500_77
; %bb.72:
	v_mul_lo_u32 v6, v8, s12
	v_mul_lo_u32 v7, v24, s13
	v_mad_u64_u32 v[4:5], s[0:1], v24, s12, 0
	v_add3_u32 v5, v5, v7, v6
	v_mul_lo_u32 v10, v9, s12
	v_mul_lo_u32 v11, v25, s13
	v_mad_u64_u32 v[6:7], s[0:1], v25, s12, 0
	v_add3_u32 v7, v7, v11, v10
	v_lshl_add_u64 v[4:5], v[4:5], 2, s[14:15]
	v_lshl_add_u64 v[6:7], v[6:7], 2, s[14:15]
	s_mov_b64 s[34:35], 0
	s_mov_b64 s[40:41], s[12:13]
                                        ; implicit-def: $sgpr36_sgpr37
                                        ; implicit-def: $sgpr38_sgpr39
                                        ; implicit-def: $sgpr0_sgpr1
                                        ; implicit-def: $sgpr42_sgpr43
	s_branch .LBB1500_74
.LBB1500_73:                            ;   in Loop: Header=BB1500_74 Depth=1
	s_or_b64 exec, exec, s[46:47]
	s_and_b64 s[2:3], exec, s[38:39]
	s_or_b64 s[34:35], s[2:3], s[34:35]
	s_andn2_b64 s[2:3], s[42:43], exec
	s_and_b64 s[42:43], s[44:45], exec
	s_or_b64 s[42:43], s[2:3], s[42:43]
	s_andn2_b64 s[2:3], s[36:37], exec
	s_and_b64 s[36:37], s[0:1], exec
	s_or_b64 s[36:37], s[2:3], s[36:37]
	s_andn2_b64 exec, exec, s[34:35]
	s_cbranch_execz .LBB1500_76
.LBB1500_74:                            ; =>This Inner Loop Header: Depth=1
	global_load_dword v10, v[4:5], off
	global_load_dword v11, v[6:7], off
	s_andn2_b64 s[46:47], s[0:1], exec
	s_or_b64 s[38:39], s[38:39], exec
	s_waitcnt vmcnt(0)
	v_cmp_le_u32_e64 s[0:1], v10, v11
	v_cmp_lt_u32_e32 vcc, v10, v11
	s_and_b64 s[0:1], s[0:1], s[42:43]
	s_or_b64 s[44:45], vcc, s[0:1]
	s_and_b64 s[0:1], s[44:45], exec
	v_cmp_eq_u32_e64 s[2:3], v10, v11
	s_or_b64 s[0:1], s[46:47], s[0:1]
	s_and_saveexec_b64 s[46:47], s[2:3]
	s_cbranch_execz .LBB1500_73
; %bb.75:                               ;   in Loop: Header=BB1500_74 Depth=1
	s_add_u32 s40, s40, -1
	s_addc_u32 s41, s41, -1
	s_cmp_eq_u64 s[40:41], 0
	s_cselect_b64 s[2:3], -1, 0
	s_andn2_b64 s[38:39], s[38:39], exec
	s_and_b64 s[2:3], s[2:3], exec
	v_lshl_add_u64 v[4:5], v[4:5], 0, 4
	v_lshl_add_u64 v[6:7], v[6:7], 0, 4
	s_andn2_b64 s[0:1], s[0:1], exec
	s_or_b64 s[38:39], s[38:39], s[2:3]
                                        ; implicit-def: $sgpr42_sgpr43
	s_branch .LBB1500_73
.LBB1500_76:
	s_or_b64 exec, exec, s[34:35]
	s_xor_b64 s[0:1], s[36:37], -1
	s_branch .LBB1500_78
.LBB1500_77:
	s_mov_b64 s[0:1], -1
.LBB1500_78:
	s_and_b64 s[0:1], s[0:1], exec
.LBB1500_79:
	s_or_b64 exec, exec, s[26:27]
	s_orn2_b64 s[26:27], s[0:1], exec
.LBB1500_80:
	s_or_b64 exec, exec, s[30:31]
	v_mov_b32_e32 v5, s33
	v_mov_b32_e32 v6, s9
	v_cndmask_b32_e64 v4, v12, v13, s[26:27]
	v_cndmask_b32_e64 v5, v5, v6, s[26:27]
	v_add_u32_e32 v6, 1, v4
	v_add_u32_e32 v4, -1, v5
	v_min_u32_e32 v4, v6, v4
	v_lshlrev_b32_e32 v4, 3, v4
	ds_read_b64 v[4:5], v4
	v_cndmask_b32_e64 v30, v6, v12, s[26:27]
	v_cndmask_b32_e64 v31, v13, v6, s[26:27]
	v_cmp_gt_u32_e32 vcc, s33, v30
	s_waitcnt lgkmcnt(0)
	v_cndmask_b32_e64 v10, v5, v8, s[26:27]
	v_cndmask_b32_e64 v26, v4, v24, s[26:27]
	;; [unrolled: 1-line block ×4, first 2 shown]
	s_and_saveexec_b64 s[30:31], vcc
	s_cbranch_execz .LBB1500_91
; %bb.81:
	v_cmp_gt_u32_e32 vcc, s9, v31
	s_mov_b64 s[0:1], 0
	s_and_saveexec_b64 s[28:29], vcc
	s_cbranch_execz .LBB1500_90
; %bb.82:
	s_andn2_b64 vcc, exec, s[18:19]
	s_cbranch_vccnz .LBB1500_88
; %bb.83:
	v_mul_lo_u32 v6, v10, s12
	v_mul_lo_u32 v7, v26, s13
	v_mad_u64_u32 v[4:5], s[0:1], v26, s12, 0
	v_add3_u32 v5, v5, v7, v6
	v_mul_lo_u32 v12, v11, s12
	v_mul_lo_u32 v13, v27, s13
	v_mad_u64_u32 v[6:7], s[0:1], v27, s12, 0
	v_add3_u32 v7, v7, v13, v12
	v_lshl_add_u64 v[4:5], v[4:5], 2, s[14:15]
	v_lshl_add_u64 v[6:7], v[6:7], 2, s[14:15]
	s_mov_b64 s[34:35], 0
	s_mov_b64 s[40:41], s[12:13]
                                        ; implicit-def: $sgpr36_sgpr37
                                        ; implicit-def: $sgpr38_sgpr39
                                        ; implicit-def: $sgpr0_sgpr1
                                        ; implicit-def: $sgpr42_sgpr43
	s_branch .LBB1500_85
.LBB1500_84:                            ;   in Loop: Header=BB1500_85 Depth=1
	s_or_b64 exec, exec, s[46:47]
	s_and_b64 s[2:3], exec, s[38:39]
	s_or_b64 s[34:35], s[2:3], s[34:35]
	s_andn2_b64 s[2:3], s[42:43], exec
	s_and_b64 s[42:43], s[44:45], exec
	s_or_b64 s[42:43], s[2:3], s[42:43]
	s_andn2_b64 s[2:3], s[36:37], exec
	s_and_b64 s[36:37], s[0:1], exec
	s_or_b64 s[36:37], s[2:3], s[36:37]
	s_andn2_b64 exec, exec, s[34:35]
	s_cbranch_execz .LBB1500_87
.LBB1500_85:                            ; =>This Inner Loop Header: Depth=1
	global_load_dword v12, v[4:5], off
	global_load_dword v13, v[6:7], off
	s_andn2_b64 s[46:47], s[0:1], exec
	s_or_b64 s[38:39], s[38:39], exec
	s_waitcnt vmcnt(0)
	v_cmp_le_u32_e64 s[0:1], v12, v13
	v_cmp_lt_u32_e32 vcc, v12, v13
	s_and_b64 s[0:1], s[0:1], s[42:43]
	s_or_b64 s[44:45], vcc, s[0:1]
	s_and_b64 s[0:1], s[44:45], exec
	v_cmp_eq_u32_e64 s[2:3], v12, v13
	s_or_b64 s[0:1], s[46:47], s[0:1]
	s_and_saveexec_b64 s[46:47], s[2:3]
	s_cbranch_execz .LBB1500_84
; %bb.86:                               ;   in Loop: Header=BB1500_85 Depth=1
	s_add_u32 s40, s40, -1
	s_addc_u32 s41, s41, -1
	s_cmp_eq_u64 s[40:41], 0
	s_cselect_b64 s[2:3], -1, 0
	s_andn2_b64 s[38:39], s[38:39], exec
	s_and_b64 s[2:3], s[2:3], exec
	v_lshl_add_u64 v[4:5], v[4:5], 0, 4
	v_lshl_add_u64 v[6:7], v[6:7], 0, 4
	s_andn2_b64 s[0:1], s[0:1], exec
	s_or_b64 s[38:39], s[38:39], s[2:3]
                                        ; implicit-def: $sgpr42_sgpr43
	s_branch .LBB1500_84
.LBB1500_87:
	s_or_b64 exec, exec, s[34:35]
	s_xor_b64 s[0:1], s[36:37], -1
	s_branch .LBB1500_89
.LBB1500_88:
	s_mov_b64 s[0:1], -1
.LBB1500_89:
	s_and_b64 s[0:1], s[0:1], exec
.LBB1500_90:
	s_or_b64 exec, exec, s[28:29]
	s_orn2_b64 s[28:29], s[0:1], exec
.LBB1500_91:
	s_or_b64 exec, exec, s[30:31]
	v_mov_b32_e32 v5, s33
	v_mov_b32_e32 v6, s9
	v_cndmask_b32_e64 v4, v30, v31, s[28:29]
	v_cndmask_b32_e64 v5, v5, v6, s[28:29]
	v_add_u32_e32 v6, 1, v4
	v_add_u32_e32 v4, -1, v5
	v_min_u32_e32 v4, v6, v4
	v_lshlrev_b32_e32 v4, 3, v4
	ds_read_b64 v[4:5], v4
	v_cndmask_b32_e64 v32, v6, v30, s[28:29]
	v_cndmask_b32_e64 v36, v31, v6, s[28:29]
	v_cmp_gt_u32_e32 vcc, s33, v32
	s_mov_b64 s[30:31], -1
	s_waitcnt lgkmcnt(0)
	v_cndmask_b32_e64 v12, v5, v10, s[28:29]
	v_cndmask_b32_e64 v28, v4, v26, s[28:29]
	;; [unrolled: 1-line block ×4, first 2 shown]
	s_mov_b64 s[34:35], -1
	s_and_saveexec_b64 s[36:37], vcc
	s_cbranch_execz .LBB1500_102
; %bb.92:
	v_cmp_gt_u32_e32 vcc, s9, v36
	s_mov_b64 s[0:1], 0
	s_and_saveexec_b64 s[34:35], vcc
	s_cbranch_execz .LBB1500_101
; %bb.93:
	s_andn2_b64 vcc, exec, s[18:19]
	s_cbranch_vccnz .LBB1500_99
; %bb.94:
	v_mul_lo_u32 v6, v12, s12
	v_mul_lo_u32 v7, v28, s13
	v_mad_u64_u32 v[4:5], s[0:1], v28, s12, 0
	v_add3_u32 v5, v5, v7, v6
	v_mul_lo_u32 v30, v13, s12
	v_mul_lo_u32 v31, v29, s13
	v_mad_u64_u32 v[6:7], s[0:1], v29, s12, 0
	v_add3_u32 v7, v7, v31, v30
	v_lshl_add_u64 v[4:5], v[4:5], 2, s[14:15]
	v_lshl_add_u64 v[6:7], v[6:7], 2, s[14:15]
	s_mov_b64 s[38:39], 0
	s_mov_b64 s[44:45], s[12:13]
                                        ; implicit-def: $sgpr40_sgpr41
                                        ; implicit-def: $sgpr42_sgpr43
                                        ; implicit-def: $sgpr0_sgpr1
                                        ; implicit-def: $sgpr46_sgpr47
	s_branch .LBB1500_96
.LBB1500_95:                            ;   in Loop: Header=BB1500_96 Depth=1
	s_or_b64 exec, exec, s[50:51]
	s_and_b64 s[2:3], exec, s[42:43]
	s_or_b64 s[38:39], s[2:3], s[38:39]
	s_andn2_b64 s[2:3], s[46:47], exec
	s_and_b64 s[46:47], s[48:49], exec
	s_or_b64 s[46:47], s[2:3], s[46:47]
	s_andn2_b64 s[2:3], s[40:41], exec
	s_and_b64 s[40:41], s[0:1], exec
	s_or_b64 s[40:41], s[2:3], s[40:41]
	s_andn2_b64 exec, exec, s[38:39]
	s_cbranch_execz .LBB1500_98
.LBB1500_96:                            ; =>This Inner Loop Header: Depth=1
	global_load_dword v30, v[4:5], off
	global_load_dword v31, v[6:7], off
	s_andn2_b64 s[50:51], s[0:1], exec
	s_or_b64 s[42:43], s[42:43], exec
	s_waitcnt vmcnt(0)
	v_cmp_le_u32_e64 s[0:1], v30, v31
	v_cmp_lt_u32_e32 vcc, v30, v31
	s_and_b64 s[0:1], s[0:1], s[46:47]
	s_or_b64 s[48:49], vcc, s[0:1]
	s_and_b64 s[0:1], s[48:49], exec
	v_cmp_eq_u32_e64 s[2:3], v30, v31
	s_or_b64 s[0:1], s[50:51], s[0:1]
	s_and_saveexec_b64 s[50:51], s[2:3]
	s_cbranch_execz .LBB1500_95
; %bb.97:                               ;   in Loop: Header=BB1500_96 Depth=1
	s_add_u32 s44, s44, -1
	s_addc_u32 s45, s45, -1
	s_cmp_eq_u64 s[44:45], 0
	s_cselect_b64 s[2:3], -1, 0
	s_andn2_b64 s[42:43], s[42:43], exec
	s_and_b64 s[2:3], s[2:3], exec
	v_lshl_add_u64 v[4:5], v[4:5], 0, 4
	v_lshl_add_u64 v[6:7], v[6:7], 0, 4
	s_andn2_b64 s[0:1], s[0:1], exec
	s_or_b64 s[42:43], s[42:43], s[2:3]
                                        ; implicit-def: $sgpr46_sgpr47
	s_branch .LBB1500_95
.LBB1500_98:
	s_or_b64 exec, exec, s[38:39]
	s_xor_b64 s[0:1], s[40:41], -1
	s_branch .LBB1500_100
.LBB1500_99:
	s_mov_b64 s[0:1], -1
.LBB1500_100:
	s_and_b64 s[0:1], s[0:1], exec
.LBB1500_101:
	s_or_b64 exec, exec, s[34:35]
	s_orn2_b64 s[34:35], s[0:1], exec
.LBB1500_102:
	s_or_b64 exec, exec, s[36:37]
	v_mov_b32_e32 v5, s33
	v_mov_b32_e32 v6, s9
	v_cndmask_b32_e64 v4, v32, v36, s[34:35]
	v_cndmask_b32_e64 v5, v5, v6, s[34:35]
	v_add_u32_e32 v6, 1, v4
	v_add_u32_e32 v4, -1, v5
	v_min_u32_e32 v4, v6, v4
	v_lshlrev_b32_e32 v4, 3, v4
	ds_read_b64 v[4:5], v4
	v_cndmask_b32_e64 v33, v6, v32, s[34:35]
	v_cndmask_b32_e64 v32, v36, v6, s[34:35]
	v_cmp_gt_u32_e32 vcc, s33, v33
	s_waitcnt lgkmcnt(0)
	v_cndmask_b32_e64 v30, v5, v12, s[34:35]
	v_cndmask_b32_e64 v31, v4, v28, s[34:35]
	;; [unrolled: 1-line block ×4, first 2 shown]
	s_and_saveexec_b64 s[36:37], vcc
	s_cbranch_execz .LBB1500_113
; %bb.103:
	v_cmp_gt_u32_e32 vcc, s9, v32
	s_mov_b64 s[0:1], 0
	s_and_saveexec_b64 s[30:31], vcc
	s_cbranch_execz .LBB1500_112
; %bb.104:
	s_andn2_b64 vcc, exec, s[18:19]
	s_cbranch_vccnz .LBB1500_110
; %bb.105:
	v_mul_lo_u32 v6, v30, s12
	v_mul_lo_u32 v7, v31, s13
	v_mad_u64_u32 v[4:5], s[0:1], v31, s12, 0
	v_add3_u32 v5, v5, v7, v6
	v_mul_lo_u32 v36, v34, s12
	v_mul_lo_u32 v37, v35, s13
	v_mad_u64_u32 v[6:7], s[0:1], v35, s12, 0
	v_add3_u32 v7, v7, v37, v36
	v_lshl_add_u64 v[4:5], v[4:5], 2, s[14:15]
	v_lshl_add_u64 v[6:7], v[6:7], 2, s[14:15]
	s_mov_b64 s[38:39], 0
	s_mov_b64 s[44:45], s[12:13]
                                        ; implicit-def: $sgpr40_sgpr41
                                        ; implicit-def: $sgpr42_sgpr43
                                        ; implicit-def: $sgpr0_sgpr1
                                        ; implicit-def: $sgpr46_sgpr47
	s_branch .LBB1500_107
.LBB1500_106:                           ;   in Loop: Header=BB1500_107 Depth=1
	s_or_b64 exec, exec, s[50:51]
	s_and_b64 s[2:3], exec, s[42:43]
	s_or_b64 s[38:39], s[2:3], s[38:39]
	s_andn2_b64 s[2:3], s[46:47], exec
	s_and_b64 s[46:47], s[48:49], exec
	s_or_b64 s[46:47], s[2:3], s[46:47]
	s_andn2_b64 s[2:3], s[40:41], exec
	s_and_b64 s[40:41], s[0:1], exec
	s_or_b64 s[40:41], s[2:3], s[40:41]
	s_andn2_b64 exec, exec, s[38:39]
	s_cbranch_execz .LBB1500_109
.LBB1500_107:                           ; =>This Inner Loop Header: Depth=1
	global_load_dword v36, v[4:5], off
	global_load_dword v37, v[6:7], off
	s_andn2_b64 s[50:51], s[0:1], exec
	s_or_b64 s[42:43], s[42:43], exec
	s_waitcnt vmcnt(0)
	v_cmp_le_u32_e64 s[0:1], v36, v37
	v_cmp_lt_u32_e32 vcc, v36, v37
	s_and_b64 s[0:1], s[0:1], s[46:47]
	s_or_b64 s[48:49], vcc, s[0:1]
	s_and_b64 s[0:1], s[48:49], exec
	v_cmp_eq_u32_e64 s[2:3], v36, v37
	s_or_b64 s[0:1], s[50:51], s[0:1]
	s_and_saveexec_b64 s[50:51], s[2:3]
	s_cbranch_execz .LBB1500_106
; %bb.108:                              ;   in Loop: Header=BB1500_107 Depth=1
	s_add_u32 s44, s44, -1
	s_addc_u32 s45, s45, -1
	s_cmp_eq_u64 s[44:45], 0
	s_cselect_b64 s[2:3], -1, 0
	s_andn2_b64 s[42:43], s[42:43], exec
	s_and_b64 s[2:3], s[2:3], exec
	v_lshl_add_u64 v[4:5], v[4:5], 0, 4
	v_lshl_add_u64 v[6:7], v[6:7], 0, 4
	s_andn2_b64 s[0:1], s[0:1], exec
	s_or_b64 s[42:43], s[42:43], s[2:3]
                                        ; implicit-def: $sgpr46_sgpr47
	s_branch .LBB1500_106
.LBB1500_109:
	s_or_b64 exec, exec, s[38:39]
	s_xor_b64 s[0:1], s[40:41], -1
	s_branch .LBB1500_111
.LBB1500_110:
	s_mov_b64 s[0:1], -1
.LBB1500_111:
	s_and_b64 s[0:1], s[0:1], exec
.LBB1500_112:
	s_or_b64 exec, exec, s[30:31]
	s_orn2_b64 s[30:31], s[0:1], exec
.LBB1500_113:
	s_or_b64 exec, exec, s[36:37]
	v_cndmask_b32_e64 v5, v1, v17, s[22:23]
	v_cndmask_b32_e64 v4, v16, v19, s[22:23]
	v_mov_b32_e32 v16, s33
	v_mov_b32_e32 v17, s9
	v_cndmask_b32_e64 v1, v33, v32, s[30:31]
	v_cndmask_b32_e64 v16, v16, v17, s[30:31]
	v_add_u32_e32 v1, 1, v1
	v_add_u32_e32 v16, -1, v16
	v_min_u32_e32 v16, v1, v16
	v_lshlrev_b32_e32 v16, 3, v16
	v_cndmask_b32_e64 v7, v20, v22, s[24:25]
	v_cndmask_b32_e64 v6, v21, v23, s[24:25]
	ds_read_b64 v[20:21], v16
	v_cndmask_b32_e64 v19, v1, v33, s[30:31]
	v_cndmask_b32_e64 v13, v12, v13, s[34:35]
	;; [unrolled: 1-line block ×11, first 2 shown]
	s_waitcnt lgkmcnt(0)
	v_cndmask_b32_e64 v17, v34, v21, s[30:31]
	v_cndmask_b32_e64 v16, v35, v20, s[30:31]
	v_cmp_gt_u32_e32 vcc, s33, v19
	s_and_saveexec_b64 s[20:21], vcc
	s_cbranch_execz .LBB1500_123
; %bb.114:
	v_cndmask_b32_e64 v1, v32, v1, s[30:31]
	v_cndmask_b32_e64 v21, v21, v30, s[30:31]
	;; [unrolled: 1-line block ×3, first 2 shown]
	v_cmp_gt_u32_e32 vcc, s9, v1
	s_and_saveexec_b64 s[22:23], vcc
	s_cbranch_execz .LBB1500_122
; %bb.115:
	s_andn2_b64 vcc, exec, s[18:19]
	s_cbranch_vccnz .LBB1500_121
; %bb.116:
	v_mul_lo_u32 v1, v21, s12
	v_mul_lo_u32 v19, v20, s13
	v_mad_u64_u32 v[22:23], s[0:1], v20, s12, 0
	v_add3_u32 v23, v23, v19, v1
	v_mul_lo_u32 v1, v17, s12
	v_mul_lo_u32 v19, v16, s13
	v_mad_u64_u32 v[24:25], s[0:1], v16, s12, 0
	v_add3_u32 v25, v25, v19, v1
	v_lshl_add_u64 v[22:23], v[22:23], 2, s[14:15]
	v_lshl_add_u64 v[24:25], v[24:25], 2, s[14:15]
	s_mov_b64 s[14:15], 0
                                        ; implicit-def: $sgpr18_sgpr19
                                        ; implicit-def: $sgpr24_sgpr25
                                        ; implicit-def: $sgpr0_sgpr1
                                        ; implicit-def: $sgpr26_sgpr27
	s_branch .LBB1500_118
.LBB1500_117:                           ;   in Loop: Header=BB1500_118 Depth=1
	s_or_b64 exec, exec, s[30:31]
	s_and_b64 s[2:3], exec, s[24:25]
	s_or_b64 s[14:15], s[2:3], s[14:15]
	s_andn2_b64 s[2:3], s[26:27], exec
	s_and_b64 s[26:27], s[28:29], exec
	s_or_b64 s[26:27], s[2:3], s[26:27]
	s_andn2_b64 s[2:3], s[18:19], exec
	s_and_b64 s[18:19], s[0:1], exec
	s_or_b64 s[18:19], s[2:3], s[18:19]
	s_andn2_b64 exec, exec, s[14:15]
	s_cbranch_execz .LBB1500_120
.LBB1500_118:                           ; =>This Inner Loop Header: Depth=1
	global_load_dword v1, v[22:23], off
	global_load_dword v19, v[24:25], off
	s_andn2_b64 s[30:31], s[0:1], exec
	s_or_b64 s[24:25], s[24:25], exec
	s_waitcnt vmcnt(0)
	v_cmp_le_u32_e64 s[0:1], v1, v19
	v_cmp_lt_u32_e32 vcc, v1, v19
	s_and_b64 s[0:1], s[0:1], s[26:27]
	s_or_b64 s[28:29], vcc, s[0:1]
	s_and_b64 s[0:1], s[28:29], exec
	v_cmp_eq_u32_e64 s[2:3], v1, v19
	s_or_b64 s[0:1], s[30:31], s[0:1]
	s_and_saveexec_b64 s[30:31], s[2:3]
	s_cbranch_execz .LBB1500_117
; %bb.119:                              ;   in Loop: Header=BB1500_118 Depth=1
	s_add_u32 s12, s12, -1
	s_addc_u32 s13, s13, -1
	s_cmp_eq_u64 s[12:13], 0
	s_cselect_b64 s[2:3], -1, 0
	s_andn2_b64 s[24:25], s[24:25], exec
	s_and_b64 s[2:3], s[2:3], exec
	v_lshl_add_u64 v[22:23], v[22:23], 0, 4
	v_lshl_add_u64 v[24:25], v[24:25], 0, 4
	s_andn2_b64 s[0:1], s[0:1], exec
	s_or_b64 s[24:25], s[24:25], s[2:3]
                                        ; implicit-def: $sgpr26_sgpr27
	s_branch .LBB1500_117
.LBB1500_120:
	s_or_b64 exec, exec, s[14:15]
	v_cndmask_b32_e64 v17, v17, v21, s[18:19]
	v_cndmask_b32_e64 v16, v16, v20, s[18:19]
.LBB1500_121:
	v_mov_b64_e32 v[20:21], v[16:17]
.LBB1500_122:
	s_or_b64 exec, exec, s[22:23]
	v_mov_b64_e32 v[16:17], v[20:21]
.LBB1500_123:
	s_or_b64 exec, exec, s[20:21]
.LBB1500_124:
	s_or_b64 exec, exec, s[4:5]
	v_lshrrev_b32_e32 v1, 2, v0
	v_lshlrev_b32_e32 v19, 3, v18
	v_lshl_add_u32 v19, v1, 3, v19
	v_and_b32_e32 v1, 24, v1
	v_or_b32_e32 v23, 0x80, v0
	v_add_u32_e32 v24, v1, v18
	v_lshrrev_b32_e32 v1, 2, v23
	v_and_b32_e32 v1, 56, v1
	v_or_b32_e32 v22, 0x100, v0
	s_barrier
	s_barrier
	ds_write2_b64 v19, v[2:3], v[4:5] offset1:1
	ds_write2_b64 v19, v[6:7], v[8:9] offset0:2 offset1:3
	ds_write2_b64 v19, v[10:11], v[12:13] offset0:4 offset1:5
	;; [unrolled: 1-line block ×3, first 2 shown]
	v_add_u32_e32 v4, v1, v18
	v_lshrrev_b32_e32 v1, 2, v22
	v_and_b32_e32 v1, 0x58, v1
	v_or_b32_e32 v21, 0x180, v0
	v_add_u32_e32 v5, v1, v18
	v_lshrrev_b32_e32 v1, 2, v21
	v_and_b32_e32 v1, 0x78, v1
	v_or_b32_e32 v20, 0x200, v0
	;; [unrolled: 4-line block ×4, first 2 shown]
	v_add_u32_e32 v25, v1, v18
	v_lshrrev_b32_e32 v1, 2, v16
	v_and_b32_e32 v1, 0xd8, v1
	s_lshl_b64 s[0:1], s[16:17], 3
	v_add_u32_e32 v26, v1, v18
	v_or_b32_e32 v1, 0x380, v0
	s_add_u32 s0, s6, s0
	v_lshrrev_b32_e32 v2, 2, v1
	s_addc_u32 s1, s7, s1
	v_and_b32_e32 v2, 0xf8, v2
	v_mov_b32_e32 v19, 0
	v_add_u32_e32 v27, v2, v18
	v_lshl_add_u64 v[2:3], s[0:1], 0, v[18:19]
	s_and_b64 vcc, exec, s[10:11]
	s_waitcnt lgkmcnt(0)
	s_cbranch_vccz .LBB1500_126
; %bb.125:
	s_barrier
	ds_read_b64 v[8:9], v24
	ds_read_b64 v[10:11], v4 offset:1024
	ds_read_b64 v[12:13], v5 offset:2048
	;; [unrolled: 1-line block ×7, first 2 shown]
	s_waitcnt lgkmcnt(7)
	global_store_dwordx2 v[2:3], v[8:9], off
	s_waitcnt lgkmcnt(6)
	global_store_dwordx2 v[2:3], v[10:11], off offset:1024
	s_waitcnt lgkmcnt(5)
	global_store_dwordx2 v[2:3], v[12:13], off offset:2048
	;; [unrolled: 2-line block ×3, first 2 shown]
	v_add_co_u32_e32 v8, vcc, 0x1000, v2
	s_nop 1
	v_addc_co_u32_e32 v9, vcc, 0, v3, vcc
	s_waitcnt lgkmcnt(3)
	global_store_dwordx2 v[8:9], v[28:29], off
	s_waitcnt lgkmcnt(2)
	global_store_dwordx2 v[8:9], v[30:31], off offset:1024
	s_waitcnt lgkmcnt(1)
	global_store_dwordx2 v[8:9], v[32:33], off offset:2048
	s_mov_b64 s[0:1], -1
	s_cbranch_execz .LBB1500_127
	s_branch .LBB1500_136
.LBB1500_126:
	s_mov_b64 s[0:1], 0
                                        ; implicit-def: $vgpr18_vgpr19
.LBB1500_127:
	s_barrier
	s_waitcnt lgkmcnt(0)
	ds_read_b64 v[14:15], v4 offset:1024
	ds_read_b64 v[12:13], v5 offset:2048
	;; [unrolled: 1-line block ×7, first 2 shown]
	s_sub_i32 s2, s8, s16
	v_cmp_gt_u32_e32 vcc, s2, v0
	s_and_saveexec_b64 s[0:1], vcc
	s_cbranch_execnz .LBB1500_139
; %bb.128:
	s_or_b64 exec, exec, s[0:1]
	v_cmp_gt_u32_e32 vcc, s2, v23
	s_and_saveexec_b64 s[0:1], vcc
	s_cbranch_execnz .LBB1500_140
.LBB1500_129:
	s_or_b64 exec, exec, s[0:1]
	v_cmp_gt_u32_e32 vcc, s2, v22
	s_and_saveexec_b64 s[0:1], vcc
	s_cbranch_execnz .LBB1500_141
.LBB1500_130:
	s_or_b64 exec, exec, s[0:1]
	v_cmp_gt_u32_e32 vcc, s2, v21
	s_and_saveexec_b64 s[0:1], vcc
	s_cbranch_execnz .LBB1500_142
.LBB1500_131:
	s_or_b64 exec, exec, s[0:1]
	v_cmp_gt_u32_e32 vcc, s2, v20
	s_and_saveexec_b64 s[0:1], vcc
	s_cbranch_execnz .LBB1500_143
.LBB1500_132:
	s_or_b64 exec, exec, s[0:1]
	v_cmp_gt_u32_e32 vcc, s2, v17
	s_and_saveexec_b64 s[0:1], vcc
	s_cbranch_execnz .LBB1500_144
.LBB1500_133:
	s_or_b64 exec, exec, s[0:1]
	v_cmp_gt_u32_e32 vcc, s2, v16
	s_and_saveexec_b64 s[0:1], vcc
	s_cbranch_execz .LBB1500_135
.LBB1500_134:
	s_waitcnt lgkmcnt(2)
	v_add_co_u32_e32 v6, vcc, 0x1000, v2
	s_nop 1
	v_addc_co_u32_e32 v7, vcc, 0, v3, vcc
	s_waitcnt lgkmcnt(1)
	global_store_dwordx2 v[6:7], v[4:5], off offset:2048
.LBB1500_135:
	s_or_b64 exec, exec, s[0:1]
	v_cmp_gt_u32_e64 s[0:1], s2, v1
.LBB1500_136:
	s_and_saveexec_b64 s[2:3], s[0:1]
	s_cbranch_execz .LBB1500_138
; %bb.137:
	v_add_co_u32_e32 v0, vcc, 0x1000, v2
	s_nop 1
	v_addc_co_u32_e32 v1, vcc, 0, v3, vcc
	s_waitcnt lgkmcnt(0)
	global_store_dwordx2 v[0:1], v[18:19], off offset:3072
.LBB1500_138:
	s_endpgm
.LBB1500_139:
	ds_read_b64 v[24:25], v24
	s_waitcnt lgkmcnt(0)
	global_store_dwordx2 v[2:3], v[24:25], off
	s_or_b64 exec, exec, s[0:1]
	v_cmp_gt_u32_e32 vcc, s2, v23
	s_and_saveexec_b64 s[0:1], vcc
	s_cbranch_execz .LBB1500_129
.LBB1500_140:
	s_waitcnt lgkmcnt(6)
	global_store_dwordx2 v[2:3], v[14:15], off offset:1024
	s_or_b64 exec, exec, s[0:1]
	v_cmp_gt_u32_e32 vcc, s2, v22
	s_and_saveexec_b64 s[0:1], vcc
	s_cbranch_execz .LBB1500_130
.LBB1500_141:
	s_waitcnt lgkmcnt(5)
	global_store_dwordx2 v[2:3], v[12:13], off offset:2048
	s_or_b64 exec, exec, s[0:1]
	v_cmp_gt_u32_e32 vcc, s2, v21
	s_and_saveexec_b64 s[0:1], vcc
	s_cbranch_execz .LBB1500_131
.LBB1500_142:
	s_waitcnt lgkmcnt(4)
	global_store_dwordx2 v[2:3], v[10:11], off offset:3072
	s_or_b64 exec, exec, s[0:1]
	v_cmp_gt_u32_e32 vcc, s2, v20
	s_and_saveexec_b64 s[0:1], vcc
	s_cbranch_execz .LBB1500_132
.LBB1500_143:
	s_waitcnt lgkmcnt(4)
	v_add_co_u32_e32 v10, vcc, 0x1000, v2
	s_nop 1
	v_addc_co_u32_e32 v11, vcc, 0, v3, vcc
	s_waitcnt lgkmcnt(3)
	global_store_dwordx2 v[10:11], v[8:9], off
	s_or_b64 exec, exec, s[0:1]
	v_cmp_gt_u32_e32 vcc, s2, v17
	s_and_saveexec_b64 s[0:1], vcc
	s_cbranch_execz .LBB1500_133
.LBB1500_144:
	s_waitcnt lgkmcnt(3)
	v_add_co_u32_e32 v8, vcc, 0x1000, v2
	s_nop 1
	v_addc_co_u32_e32 v9, vcc, 0, v3, vcc
	s_waitcnt lgkmcnt(2)
	global_store_dwordx2 v[8:9], v[6:7], off offset:1024
	s_or_b64 exec, exec, s[0:1]
	v_cmp_gt_u32_e32 vcc, s2, v16
	s_and_saveexec_b64 s[0:1], vcc
	s_cbranch_execnz .LBB1500_134
	s_branch .LBB1500_135
	.section	.rodata,"a",@progbits
	.p2align	6, 0x0
	.amdhsa_kernel _ZN7rocprim17ROCPRIM_400000_NS6detail17trampoline_kernelINS0_14default_configENS1_38merge_sort_block_merge_config_selectorIlNS0_10empty_typeEEEZZNS1_27merge_sort_block_merge_implIS3_PlPS5_mZN2at6native12_GLOBAL__N_124unique_dim_cuda_templateIjEESt5tupleIJNSA_6TensorESF_SF_EERKSF_lbbbEUlllE_EE10hipError_tT0_T1_T2_jT3_P12ihipStream_tbPNSt15iterator_traitsISL_E10value_typeEPNSR_ISM_E10value_typeEPSN_NS1_7vsmem_tEENKUlT_SL_SM_SN_E_clIS8_S8_S9_S9_EESK_S10_SL_SM_SN_EUlS10_E0_NS1_11comp_targetILNS1_3genE0ELNS1_11target_archE4294967295ELNS1_3gpuE0ELNS1_3repE0EEENS1_38merge_mergepath_config_static_selectorELNS0_4arch9wavefront6targetE1EEEvSM_
		.amdhsa_group_segment_fixed_size 8448
		.amdhsa_private_segment_fixed_size 0
		.amdhsa_kernarg_size 344
		.amdhsa_user_sgpr_count 2
		.amdhsa_user_sgpr_dispatch_ptr 0
		.amdhsa_user_sgpr_queue_ptr 0
		.amdhsa_user_sgpr_kernarg_segment_ptr 1
		.amdhsa_user_sgpr_dispatch_id 0
		.amdhsa_user_sgpr_kernarg_preload_length 0
		.amdhsa_user_sgpr_kernarg_preload_offset 0
		.amdhsa_user_sgpr_private_segment_size 0
		.amdhsa_uses_dynamic_stack 0
		.amdhsa_enable_private_segment 0
		.amdhsa_system_sgpr_workgroup_id_x 1
		.amdhsa_system_sgpr_workgroup_id_y 1
		.amdhsa_system_sgpr_workgroup_id_z 1
		.amdhsa_system_sgpr_workgroup_info 0
		.amdhsa_system_vgpr_workitem_id 0
		.amdhsa_next_free_vgpr 38
		.amdhsa_next_free_sgpr 52
		.amdhsa_accum_offset 40
		.amdhsa_reserve_vcc 1
		.amdhsa_float_round_mode_32 0
		.amdhsa_float_round_mode_16_64 0
		.amdhsa_float_denorm_mode_32 3
		.amdhsa_float_denorm_mode_16_64 3
		.amdhsa_dx10_clamp 1
		.amdhsa_ieee_mode 1
		.amdhsa_fp16_overflow 0
		.amdhsa_tg_split 0
		.amdhsa_exception_fp_ieee_invalid_op 0
		.amdhsa_exception_fp_denorm_src 0
		.amdhsa_exception_fp_ieee_div_zero 0
		.amdhsa_exception_fp_ieee_overflow 0
		.amdhsa_exception_fp_ieee_underflow 0
		.amdhsa_exception_fp_ieee_inexact 0
		.amdhsa_exception_int_div_zero 0
	.end_amdhsa_kernel
	.section	.text._ZN7rocprim17ROCPRIM_400000_NS6detail17trampoline_kernelINS0_14default_configENS1_38merge_sort_block_merge_config_selectorIlNS0_10empty_typeEEEZZNS1_27merge_sort_block_merge_implIS3_PlPS5_mZN2at6native12_GLOBAL__N_124unique_dim_cuda_templateIjEESt5tupleIJNSA_6TensorESF_SF_EERKSF_lbbbEUlllE_EE10hipError_tT0_T1_T2_jT3_P12ihipStream_tbPNSt15iterator_traitsISL_E10value_typeEPNSR_ISM_E10value_typeEPSN_NS1_7vsmem_tEENKUlT_SL_SM_SN_E_clIS8_S8_S9_S9_EESK_S10_SL_SM_SN_EUlS10_E0_NS1_11comp_targetILNS1_3genE0ELNS1_11target_archE4294967295ELNS1_3gpuE0ELNS1_3repE0EEENS1_38merge_mergepath_config_static_selectorELNS0_4arch9wavefront6targetE1EEEvSM_,"axG",@progbits,_ZN7rocprim17ROCPRIM_400000_NS6detail17trampoline_kernelINS0_14default_configENS1_38merge_sort_block_merge_config_selectorIlNS0_10empty_typeEEEZZNS1_27merge_sort_block_merge_implIS3_PlPS5_mZN2at6native12_GLOBAL__N_124unique_dim_cuda_templateIjEESt5tupleIJNSA_6TensorESF_SF_EERKSF_lbbbEUlllE_EE10hipError_tT0_T1_T2_jT3_P12ihipStream_tbPNSt15iterator_traitsISL_E10value_typeEPNSR_ISM_E10value_typeEPSN_NS1_7vsmem_tEENKUlT_SL_SM_SN_E_clIS8_S8_S9_S9_EESK_S10_SL_SM_SN_EUlS10_E0_NS1_11comp_targetILNS1_3genE0ELNS1_11target_archE4294967295ELNS1_3gpuE0ELNS1_3repE0EEENS1_38merge_mergepath_config_static_selectorELNS0_4arch9wavefront6targetE1EEEvSM_,comdat
.Lfunc_end1500:
	.size	_ZN7rocprim17ROCPRIM_400000_NS6detail17trampoline_kernelINS0_14default_configENS1_38merge_sort_block_merge_config_selectorIlNS0_10empty_typeEEEZZNS1_27merge_sort_block_merge_implIS3_PlPS5_mZN2at6native12_GLOBAL__N_124unique_dim_cuda_templateIjEESt5tupleIJNSA_6TensorESF_SF_EERKSF_lbbbEUlllE_EE10hipError_tT0_T1_T2_jT3_P12ihipStream_tbPNSt15iterator_traitsISL_E10value_typeEPNSR_ISM_E10value_typeEPSN_NS1_7vsmem_tEENKUlT_SL_SM_SN_E_clIS8_S8_S9_S9_EESK_S10_SL_SM_SN_EUlS10_E0_NS1_11comp_targetILNS1_3genE0ELNS1_11target_archE4294967295ELNS1_3gpuE0ELNS1_3repE0EEENS1_38merge_mergepath_config_static_selectorELNS0_4arch9wavefront6targetE1EEEvSM_, .Lfunc_end1500-_ZN7rocprim17ROCPRIM_400000_NS6detail17trampoline_kernelINS0_14default_configENS1_38merge_sort_block_merge_config_selectorIlNS0_10empty_typeEEEZZNS1_27merge_sort_block_merge_implIS3_PlPS5_mZN2at6native12_GLOBAL__N_124unique_dim_cuda_templateIjEESt5tupleIJNSA_6TensorESF_SF_EERKSF_lbbbEUlllE_EE10hipError_tT0_T1_T2_jT3_P12ihipStream_tbPNSt15iterator_traitsISL_E10value_typeEPNSR_ISM_E10value_typeEPSN_NS1_7vsmem_tEENKUlT_SL_SM_SN_E_clIS8_S8_S9_S9_EESK_S10_SL_SM_SN_EUlS10_E0_NS1_11comp_targetILNS1_3genE0ELNS1_11target_archE4294967295ELNS1_3gpuE0ELNS1_3repE0EEENS1_38merge_mergepath_config_static_selectorELNS0_4arch9wavefront6targetE1EEEvSM_
                                        ; -- End function
	.set _ZN7rocprim17ROCPRIM_400000_NS6detail17trampoline_kernelINS0_14default_configENS1_38merge_sort_block_merge_config_selectorIlNS0_10empty_typeEEEZZNS1_27merge_sort_block_merge_implIS3_PlPS5_mZN2at6native12_GLOBAL__N_124unique_dim_cuda_templateIjEESt5tupleIJNSA_6TensorESF_SF_EERKSF_lbbbEUlllE_EE10hipError_tT0_T1_T2_jT3_P12ihipStream_tbPNSt15iterator_traitsISL_E10value_typeEPNSR_ISM_E10value_typeEPSN_NS1_7vsmem_tEENKUlT_SL_SM_SN_E_clIS8_S8_S9_S9_EESK_S10_SL_SM_SN_EUlS10_E0_NS1_11comp_targetILNS1_3genE0ELNS1_11target_archE4294967295ELNS1_3gpuE0ELNS1_3repE0EEENS1_38merge_mergepath_config_static_selectorELNS0_4arch9wavefront6targetE1EEEvSM_.num_vgpr, 38
	.set _ZN7rocprim17ROCPRIM_400000_NS6detail17trampoline_kernelINS0_14default_configENS1_38merge_sort_block_merge_config_selectorIlNS0_10empty_typeEEEZZNS1_27merge_sort_block_merge_implIS3_PlPS5_mZN2at6native12_GLOBAL__N_124unique_dim_cuda_templateIjEESt5tupleIJNSA_6TensorESF_SF_EERKSF_lbbbEUlllE_EE10hipError_tT0_T1_T2_jT3_P12ihipStream_tbPNSt15iterator_traitsISL_E10value_typeEPNSR_ISM_E10value_typeEPSN_NS1_7vsmem_tEENKUlT_SL_SM_SN_E_clIS8_S8_S9_S9_EESK_S10_SL_SM_SN_EUlS10_E0_NS1_11comp_targetILNS1_3genE0ELNS1_11target_archE4294967295ELNS1_3gpuE0ELNS1_3repE0EEENS1_38merge_mergepath_config_static_selectorELNS0_4arch9wavefront6targetE1EEEvSM_.num_agpr, 0
	.set _ZN7rocprim17ROCPRIM_400000_NS6detail17trampoline_kernelINS0_14default_configENS1_38merge_sort_block_merge_config_selectorIlNS0_10empty_typeEEEZZNS1_27merge_sort_block_merge_implIS3_PlPS5_mZN2at6native12_GLOBAL__N_124unique_dim_cuda_templateIjEESt5tupleIJNSA_6TensorESF_SF_EERKSF_lbbbEUlllE_EE10hipError_tT0_T1_T2_jT3_P12ihipStream_tbPNSt15iterator_traitsISL_E10value_typeEPNSR_ISM_E10value_typeEPSN_NS1_7vsmem_tEENKUlT_SL_SM_SN_E_clIS8_S8_S9_S9_EESK_S10_SL_SM_SN_EUlS10_E0_NS1_11comp_targetILNS1_3genE0ELNS1_11target_archE4294967295ELNS1_3gpuE0ELNS1_3repE0EEENS1_38merge_mergepath_config_static_selectorELNS0_4arch9wavefront6targetE1EEEvSM_.numbered_sgpr, 52
	.set _ZN7rocprim17ROCPRIM_400000_NS6detail17trampoline_kernelINS0_14default_configENS1_38merge_sort_block_merge_config_selectorIlNS0_10empty_typeEEEZZNS1_27merge_sort_block_merge_implIS3_PlPS5_mZN2at6native12_GLOBAL__N_124unique_dim_cuda_templateIjEESt5tupleIJNSA_6TensorESF_SF_EERKSF_lbbbEUlllE_EE10hipError_tT0_T1_T2_jT3_P12ihipStream_tbPNSt15iterator_traitsISL_E10value_typeEPNSR_ISM_E10value_typeEPSN_NS1_7vsmem_tEENKUlT_SL_SM_SN_E_clIS8_S8_S9_S9_EESK_S10_SL_SM_SN_EUlS10_E0_NS1_11comp_targetILNS1_3genE0ELNS1_11target_archE4294967295ELNS1_3gpuE0ELNS1_3repE0EEENS1_38merge_mergepath_config_static_selectorELNS0_4arch9wavefront6targetE1EEEvSM_.num_named_barrier, 0
	.set _ZN7rocprim17ROCPRIM_400000_NS6detail17trampoline_kernelINS0_14default_configENS1_38merge_sort_block_merge_config_selectorIlNS0_10empty_typeEEEZZNS1_27merge_sort_block_merge_implIS3_PlPS5_mZN2at6native12_GLOBAL__N_124unique_dim_cuda_templateIjEESt5tupleIJNSA_6TensorESF_SF_EERKSF_lbbbEUlllE_EE10hipError_tT0_T1_T2_jT3_P12ihipStream_tbPNSt15iterator_traitsISL_E10value_typeEPNSR_ISM_E10value_typeEPSN_NS1_7vsmem_tEENKUlT_SL_SM_SN_E_clIS8_S8_S9_S9_EESK_S10_SL_SM_SN_EUlS10_E0_NS1_11comp_targetILNS1_3genE0ELNS1_11target_archE4294967295ELNS1_3gpuE0ELNS1_3repE0EEENS1_38merge_mergepath_config_static_selectorELNS0_4arch9wavefront6targetE1EEEvSM_.private_seg_size, 0
	.set _ZN7rocprim17ROCPRIM_400000_NS6detail17trampoline_kernelINS0_14default_configENS1_38merge_sort_block_merge_config_selectorIlNS0_10empty_typeEEEZZNS1_27merge_sort_block_merge_implIS3_PlPS5_mZN2at6native12_GLOBAL__N_124unique_dim_cuda_templateIjEESt5tupleIJNSA_6TensorESF_SF_EERKSF_lbbbEUlllE_EE10hipError_tT0_T1_T2_jT3_P12ihipStream_tbPNSt15iterator_traitsISL_E10value_typeEPNSR_ISM_E10value_typeEPSN_NS1_7vsmem_tEENKUlT_SL_SM_SN_E_clIS8_S8_S9_S9_EESK_S10_SL_SM_SN_EUlS10_E0_NS1_11comp_targetILNS1_3genE0ELNS1_11target_archE4294967295ELNS1_3gpuE0ELNS1_3repE0EEENS1_38merge_mergepath_config_static_selectorELNS0_4arch9wavefront6targetE1EEEvSM_.uses_vcc, 1
	.set _ZN7rocprim17ROCPRIM_400000_NS6detail17trampoline_kernelINS0_14default_configENS1_38merge_sort_block_merge_config_selectorIlNS0_10empty_typeEEEZZNS1_27merge_sort_block_merge_implIS3_PlPS5_mZN2at6native12_GLOBAL__N_124unique_dim_cuda_templateIjEESt5tupleIJNSA_6TensorESF_SF_EERKSF_lbbbEUlllE_EE10hipError_tT0_T1_T2_jT3_P12ihipStream_tbPNSt15iterator_traitsISL_E10value_typeEPNSR_ISM_E10value_typeEPSN_NS1_7vsmem_tEENKUlT_SL_SM_SN_E_clIS8_S8_S9_S9_EESK_S10_SL_SM_SN_EUlS10_E0_NS1_11comp_targetILNS1_3genE0ELNS1_11target_archE4294967295ELNS1_3gpuE0ELNS1_3repE0EEENS1_38merge_mergepath_config_static_selectorELNS0_4arch9wavefront6targetE1EEEvSM_.uses_flat_scratch, 0
	.set _ZN7rocprim17ROCPRIM_400000_NS6detail17trampoline_kernelINS0_14default_configENS1_38merge_sort_block_merge_config_selectorIlNS0_10empty_typeEEEZZNS1_27merge_sort_block_merge_implIS3_PlPS5_mZN2at6native12_GLOBAL__N_124unique_dim_cuda_templateIjEESt5tupleIJNSA_6TensorESF_SF_EERKSF_lbbbEUlllE_EE10hipError_tT0_T1_T2_jT3_P12ihipStream_tbPNSt15iterator_traitsISL_E10value_typeEPNSR_ISM_E10value_typeEPSN_NS1_7vsmem_tEENKUlT_SL_SM_SN_E_clIS8_S8_S9_S9_EESK_S10_SL_SM_SN_EUlS10_E0_NS1_11comp_targetILNS1_3genE0ELNS1_11target_archE4294967295ELNS1_3gpuE0ELNS1_3repE0EEENS1_38merge_mergepath_config_static_selectorELNS0_4arch9wavefront6targetE1EEEvSM_.has_dyn_sized_stack, 0
	.set _ZN7rocprim17ROCPRIM_400000_NS6detail17trampoline_kernelINS0_14default_configENS1_38merge_sort_block_merge_config_selectorIlNS0_10empty_typeEEEZZNS1_27merge_sort_block_merge_implIS3_PlPS5_mZN2at6native12_GLOBAL__N_124unique_dim_cuda_templateIjEESt5tupleIJNSA_6TensorESF_SF_EERKSF_lbbbEUlllE_EE10hipError_tT0_T1_T2_jT3_P12ihipStream_tbPNSt15iterator_traitsISL_E10value_typeEPNSR_ISM_E10value_typeEPSN_NS1_7vsmem_tEENKUlT_SL_SM_SN_E_clIS8_S8_S9_S9_EESK_S10_SL_SM_SN_EUlS10_E0_NS1_11comp_targetILNS1_3genE0ELNS1_11target_archE4294967295ELNS1_3gpuE0ELNS1_3repE0EEENS1_38merge_mergepath_config_static_selectorELNS0_4arch9wavefront6targetE1EEEvSM_.has_recursion, 0
	.set _ZN7rocprim17ROCPRIM_400000_NS6detail17trampoline_kernelINS0_14default_configENS1_38merge_sort_block_merge_config_selectorIlNS0_10empty_typeEEEZZNS1_27merge_sort_block_merge_implIS3_PlPS5_mZN2at6native12_GLOBAL__N_124unique_dim_cuda_templateIjEESt5tupleIJNSA_6TensorESF_SF_EERKSF_lbbbEUlllE_EE10hipError_tT0_T1_T2_jT3_P12ihipStream_tbPNSt15iterator_traitsISL_E10value_typeEPNSR_ISM_E10value_typeEPSN_NS1_7vsmem_tEENKUlT_SL_SM_SN_E_clIS8_S8_S9_S9_EESK_S10_SL_SM_SN_EUlS10_E0_NS1_11comp_targetILNS1_3genE0ELNS1_11target_archE4294967295ELNS1_3gpuE0ELNS1_3repE0EEENS1_38merge_mergepath_config_static_selectorELNS0_4arch9wavefront6targetE1EEEvSM_.has_indirect_call, 0
	.section	.AMDGPU.csdata,"",@progbits
; Kernel info:
; codeLenInByte = 6496
; TotalNumSgprs: 58
; NumVgprs: 38
; NumAgprs: 0
; TotalNumVgprs: 38
; ScratchSize: 0
; MemoryBound: 0
; FloatMode: 240
; IeeeMode: 1
; LDSByteSize: 8448 bytes/workgroup (compile time only)
; SGPRBlocks: 7
; VGPRBlocks: 4
; NumSGPRsForWavesPerEU: 58
; NumVGPRsForWavesPerEU: 38
; AccumOffset: 40
; Occupancy: 8
; WaveLimiterHint : 1
; COMPUTE_PGM_RSRC2:SCRATCH_EN: 0
; COMPUTE_PGM_RSRC2:USER_SGPR: 2
; COMPUTE_PGM_RSRC2:TRAP_HANDLER: 0
; COMPUTE_PGM_RSRC2:TGID_X_EN: 1
; COMPUTE_PGM_RSRC2:TGID_Y_EN: 1
; COMPUTE_PGM_RSRC2:TGID_Z_EN: 1
; COMPUTE_PGM_RSRC2:TIDIG_COMP_CNT: 0
; COMPUTE_PGM_RSRC3_GFX90A:ACCUM_OFFSET: 9
; COMPUTE_PGM_RSRC3_GFX90A:TG_SPLIT: 0
	.section	.text._ZN7rocprim17ROCPRIM_400000_NS6detail17trampoline_kernelINS0_14default_configENS1_38merge_sort_block_merge_config_selectorIlNS0_10empty_typeEEEZZNS1_27merge_sort_block_merge_implIS3_PlPS5_mZN2at6native12_GLOBAL__N_124unique_dim_cuda_templateIjEESt5tupleIJNSA_6TensorESF_SF_EERKSF_lbbbEUlllE_EE10hipError_tT0_T1_T2_jT3_P12ihipStream_tbPNSt15iterator_traitsISL_E10value_typeEPNSR_ISM_E10value_typeEPSN_NS1_7vsmem_tEENKUlT_SL_SM_SN_E_clIS8_S8_S9_S9_EESK_S10_SL_SM_SN_EUlS10_E0_NS1_11comp_targetILNS1_3genE10ELNS1_11target_archE1201ELNS1_3gpuE5ELNS1_3repE0EEENS1_38merge_mergepath_config_static_selectorELNS0_4arch9wavefront6targetE1EEEvSM_,"axG",@progbits,_ZN7rocprim17ROCPRIM_400000_NS6detail17trampoline_kernelINS0_14default_configENS1_38merge_sort_block_merge_config_selectorIlNS0_10empty_typeEEEZZNS1_27merge_sort_block_merge_implIS3_PlPS5_mZN2at6native12_GLOBAL__N_124unique_dim_cuda_templateIjEESt5tupleIJNSA_6TensorESF_SF_EERKSF_lbbbEUlllE_EE10hipError_tT0_T1_T2_jT3_P12ihipStream_tbPNSt15iterator_traitsISL_E10value_typeEPNSR_ISM_E10value_typeEPSN_NS1_7vsmem_tEENKUlT_SL_SM_SN_E_clIS8_S8_S9_S9_EESK_S10_SL_SM_SN_EUlS10_E0_NS1_11comp_targetILNS1_3genE10ELNS1_11target_archE1201ELNS1_3gpuE5ELNS1_3repE0EEENS1_38merge_mergepath_config_static_selectorELNS0_4arch9wavefront6targetE1EEEvSM_,comdat
	.globl	_ZN7rocprim17ROCPRIM_400000_NS6detail17trampoline_kernelINS0_14default_configENS1_38merge_sort_block_merge_config_selectorIlNS0_10empty_typeEEEZZNS1_27merge_sort_block_merge_implIS3_PlPS5_mZN2at6native12_GLOBAL__N_124unique_dim_cuda_templateIjEESt5tupleIJNSA_6TensorESF_SF_EERKSF_lbbbEUlllE_EE10hipError_tT0_T1_T2_jT3_P12ihipStream_tbPNSt15iterator_traitsISL_E10value_typeEPNSR_ISM_E10value_typeEPSN_NS1_7vsmem_tEENKUlT_SL_SM_SN_E_clIS8_S8_S9_S9_EESK_S10_SL_SM_SN_EUlS10_E0_NS1_11comp_targetILNS1_3genE10ELNS1_11target_archE1201ELNS1_3gpuE5ELNS1_3repE0EEENS1_38merge_mergepath_config_static_selectorELNS0_4arch9wavefront6targetE1EEEvSM_ ; -- Begin function _ZN7rocprim17ROCPRIM_400000_NS6detail17trampoline_kernelINS0_14default_configENS1_38merge_sort_block_merge_config_selectorIlNS0_10empty_typeEEEZZNS1_27merge_sort_block_merge_implIS3_PlPS5_mZN2at6native12_GLOBAL__N_124unique_dim_cuda_templateIjEESt5tupleIJNSA_6TensorESF_SF_EERKSF_lbbbEUlllE_EE10hipError_tT0_T1_T2_jT3_P12ihipStream_tbPNSt15iterator_traitsISL_E10value_typeEPNSR_ISM_E10value_typeEPSN_NS1_7vsmem_tEENKUlT_SL_SM_SN_E_clIS8_S8_S9_S9_EESK_S10_SL_SM_SN_EUlS10_E0_NS1_11comp_targetILNS1_3genE10ELNS1_11target_archE1201ELNS1_3gpuE5ELNS1_3repE0EEENS1_38merge_mergepath_config_static_selectorELNS0_4arch9wavefront6targetE1EEEvSM_
	.p2align	8
	.type	_ZN7rocprim17ROCPRIM_400000_NS6detail17trampoline_kernelINS0_14default_configENS1_38merge_sort_block_merge_config_selectorIlNS0_10empty_typeEEEZZNS1_27merge_sort_block_merge_implIS3_PlPS5_mZN2at6native12_GLOBAL__N_124unique_dim_cuda_templateIjEESt5tupleIJNSA_6TensorESF_SF_EERKSF_lbbbEUlllE_EE10hipError_tT0_T1_T2_jT3_P12ihipStream_tbPNSt15iterator_traitsISL_E10value_typeEPNSR_ISM_E10value_typeEPSN_NS1_7vsmem_tEENKUlT_SL_SM_SN_E_clIS8_S8_S9_S9_EESK_S10_SL_SM_SN_EUlS10_E0_NS1_11comp_targetILNS1_3genE10ELNS1_11target_archE1201ELNS1_3gpuE5ELNS1_3repE0EEENS1_38merge_mergepath_config_static_selectorELNS0_4arch9wavefront6targetE1EEEvSM_,@function
_ZN7rocprim17ROCPRIM_400000_NS6detail17trampoline_kernelINS0_14default_configENS1_38merge_sort_block_merge_config_selectorIlNS0_10empty_typeEEEZZNS1_27merge_sort_block_merge_implIS3_PlPS5_mZN2at6native12_GLOBAL__N_124unique_dim_cuda_templateIjEESt5tupleIJNSA_6TensorESF_SF_EERKSF_lbbbEUlllE_EE10hipError_tT0_T1_T2_jT3_P12ihipStream_tbPNSt15iterator_traitsISL_E10value_typeEPNSR_ISM_E10value_typeEPSN_NS1_7vsmem_tEENKUlT_SL_SM_SN_E_clIS8_S8_S9_S9_EESK_S10_SL_SM_SN_EUlS10_E0_NS1_11comp_targetILNS1_3genE10ELNS1_11target_archE1201ELNS1_3gpuE5ELNS1_3repE0EEENS1_38merge_mergepath_config_static_selectorELNS0_4arch9wavefront6targetE1EEEvSM_: ; @_ZN7rocprim17ROCPRIM_400000_NS6detail17trampoline_kernelINS0_14default_configENS1_38merge_sort_block_merge_config_selectorIlNS0_10empty_typeEEEZZNS1_27merge_sort_block_merge_implIS3_PlPS5_mZN2at6native12_GLOBAL__N_124unique_dim_cuda_templateIjEESt5tupleIJNSA_6TensorESF_SF_EERKSF_lbbbEUlllE_EE10hipError_tT0_T1_T2_jT3_P12ihipStream_tbPNSt15iterator_traitsISL_E10value_typeEPNSR_ISM_E10value_typeEPSN_NS1_7vsmem_tEENKUlT_SL_SM_SN_E_clIS8_S8_S9_S9_EESK_S10_SL_SM_SN_EUlS10_E0_NS1_11comp_targetILNS1_3genE10ELNS1_11target_archE1201ELNS1_3gpuE5ELNS1_3repE0EEENS1_38merge_mergepath_config_static_selectorELNS0_4arch9wavefront6targetE1EEEvSM_
; %bb.0:
	.section	.rodata,"a",@progbits
	.p2align	6, 0x0
	.amdhsa_kernel _ZN7rocprim17ROCPRIM_400000_NS6detail17trampoline_kernelINS0_14default_configENS1_38merge_sort_block_merge_config_selectorIlNS0_10empty_typeEEEZZNS1_27merge_sort_block_merge_implIS3_PlPS5_mZN2at6native12_GLOBAL__N_124unique_dim_cuda_templateIjEESt5tupleIJNSA_6TensorESF_SF_EERKSF_lbbbEUlllE_EE10hipError_tT0_T1_T2_jT3_P12ihipStream_tbPNSt15iterator_traitsISL_E10value_typeEPNSR_ISM_E10value_typeEPSN_NS1_7vsmem_tEENKUlT_SL_SM_SN_E_clIS8_S8_S9_S9_EESK_S10_SL_SM_SN_EUlS10_E0_NS1_11comp_targetILNS1_3genE10ELNS1_11target_archE1201ELNS1_3gpuE5ELNS1_3repE0EEENS1_38merge_mergepath_config_static_selectorELNS0_4arch9wavefront6targetE1EEEvSM_
		.amdhsa_group_segment_fixed_size 0
		.amdhsa_private_segment_fixed_size 0
		.amdhsa_kernarg_size 88
		.amdhsa_user_sgpr_count 2
		.amdhsa_user_sgpr_dispatch_ptr 0
		.amdhsa_user_sgpr_queue_ptr 0
		.amdhsa_user_sgpr_kernarg_segment_ptr 1
		.amdhsa_user_sgpr_dispatch_id 0
		.amdhsa_user_sgpr_kernarg_preload_length 0
		.amdhsa_user_sgpr_kernarg_preload_offset 0
		.amdhsa_user_sgpr_private_segment_size 0
		.amdhsa_uses_dynamic_stack 0
		.amdhsa_enable_private_segment 0
		.amdhsa_system_sgpr_workgroup_id_x 1
		.amdhsa_system_sgpr_workgroup_id_y 0
		.amdhsa_system_sgpr_workgroup_id_z 0
		.amdhsa_system_sgpr_workgroup_info 0
		.amdhsa_system_vgpr_workitem_id 0
		.amdhsa_next_free_vgpr 1
		.amdhsa_next_free_sgpr 0
		.amdhsa_accum_offset 4
		.amdhsa_reserve_vcc 0
		.amdhsa_float_round_mode_32 0
		.amdhsa_float_round_mode_16_64 0
		.amdhsa_float_denorm_mode_32 3
		.amdhsa_float_denorm_mode_16_64 3
		.amdhsa_dx10_clamp 1
		.amdhsa_ieee_mode 1
		.amdhsa_fp16_overflow 0
		.amdhsa_tg_split 0
		.amdhsa_exception_fp_ieee_invalid_op 0
		.amdhsa_exception_fp_denorm_src 0
		.amdhsa_exception_fp_ieee_div_zero 0
		.amdhsa_exception_fp_ieee_overflow 0
		.amdhsa_exception_fp_ieee_underflow 0
		.amdhsa_exception_fp_ieee_inexact 0
		.amdhsa_exception_int_div_zero 0
	.end_amdhsa_kernel
	.section	.text._ZN7rocprim17ROCPRIM_400000_NS6detail17trampoline_kernelINS0_14default_configENS1_38merge_sort_block_merge_config_selectorIlNS0_10empty_typeEEEZZNS1_27merge_sort_block_merge_implIS3_PlPS5_mZN2at6native12_GLOBAL__N_124unique_dim_cuda_templateIjEESt5tupleIJNSA_6TensorESF_SF_EERKSF_lbbbEUlllE_EE10hipError_tT0_T1_T2_jT3_P12ihipStream_tbPNSt15iterator_traitsISL_E10value_typeEPNSR_ISM_E10value_typeEPSN_NS1_7vsmem_tEENKUlT_SL_SM_SN_E_clIS8_S8_S9_S9_EESK_S10_SL_SM_SN_EUlS10_E0_NS1_11comp_targetILNS1_3genE10ELNS1_11target_archE1201ELNS1_3gpuE5ELNS1_3repE0EEENS1_38merge_mergepath_config_static_selectorELNS0_4arch9wavefront6targetE1EEEvSM_,"axG",@progbits,_ZN7rocprim17ROCPRIM_400000_NS6detail17trampoline_kernelINS0_14default_configENS1_38merge_sort_block_merge_config_selectorIlNS0_10empty_typeEEEZZNS1_27merge_sort_block_merge_implIS3_PlPS5_mZN2at6native12_GLOBAL__N_124unique_dim_cuda_templateIjEESt5tupleIJNSA_6TensorESF_SF_EERKSF_lbbbEUlllE_EE10hipError_tT0_T1_T2_jT3_P12ihipStream_tbPNSt15iterator_traitsISL_E10value_typeEPNSR_ISM_E10value_typeEPSN_NS1_7vsmem_tEENKUlT_SL_SM_SN_E_clIS8_S8_S9_S9_EESK_S10_SL_SM_SN_EUlS10_E0_NS1_11comp_targetILNS1_3genE10ELNS1_11target_archE1201ELNS1_3gpuE5ELNS1_3repE0EEENS1_38merge_mergepath_config_static_selectorELNS0_4arch9wavefront6targetE1EEEvSM_,comdat
.Lfunc_end1501:
	.size	_ZN7rocprim17ROCPRIM_400000_NS6detail17trampoline_kernelINS0_14default_configENS1_38merge_sort_block_merge_config_selectorIlNS0_10empty_typeEEEZZNS1_27merge_sort_block_merge_implIS3_PlPS5_mZN2at6native12_GLOBAL__N_124unique_dim_cuda_templateIjEESt5tupleIJNSA_6TensorESF_SF_EERKSF_lbbbEUlllE_EE10hipError_tT0_T1_T2_jT3_P12ihipStream_tbPNSt15iterator_traitsISL_E10value_typeEPNSR_ISM_E10value_typeEPSN_NS1_7vsmem_tEENKUlT_SL_SM_SN_E_clIS8_S8_S9_S9_EESK_S10_SL_SM_SN_EUlS10_E0_NS1_11comp_targetILNS1_3genE10ELNS1_11target_archE1201ELNS1_3gpuE5ELNS1_3repE0EEENS1_38merge_mergepath_config_static_selectorELNS0_4arch9wavefront6targetE1EEEvSM_, .Lfunc_end1501-_ZN7rocprim17ROCPRIM_400000_NS6detail17trampoline_kernelINS0_14default_configENS1_38merge_sort_block_merge_config_selectorIlNS0_10empty_typeEEEZZNS1_27merge_sort_block_merge_implIS3_PlPS5_mZN2at6native12_GLOBAL__N_124unique_dim_cuda_templateIjEESt5tupleIJNSA_6TensorESF_SF_EERKSF_lbbbEUlllE_EE10hipError_tT0_T1_T2_jT3_P12ihipStream_tbPNSt15iterator_traitsISL_E10value_typeEPNSR_ISM_E10value_typeEPSN_NS1_7vsmem_tEENKUlT_SL_SM_SN_E_clIS8_S8_S9_S9_EESK_S10_SL_SM_SN_EUlS10_E0_NS1_11comp_targetILNS1_3genE10ELNS1_11target_archE1201ELNS1_3gpuE5ELNS1_3repE0EEENS1_38merge_mergepath_config_static_selectorELNS0_4arch9wavefront6targetE1EEEvSM_
                                        ; -- End function
	.set _ZN7rocprim17ROCPRIM_400000_NS6detail17trampoline_kernelINS0_14default_configENS1_38merge_sort_block_merge_config_selectorIlNS0_10empty_typeEEEZZNS1_27merge_sort_block_merge_implIS3_PlPS5_mZN2at6native12_GLOBAL__N_124unique_dim_cuda_templateIjEESt5tupleIJNSA_6TensorESF_SF_EERKSF_lbbbEUlllE_EE10hipError_tT0_T1_T2_jT3_P12ihipStream_tbPNSt15iterator_traitsISL_E10value_typeEPNSR_ISM_E10value_typeEPSN_NS1_7vsmem_tEENKUlT_SL_SM_SN_E_clIS8_S8_S9_S9_EESK_S10_SL_SM_SN_EUlS10_E0_NS1_11comp_targetILNS1_3genE10ELNS1_11target_archE1201ELNS1_3gpuE5ELNS1_3repE0EEENS1_38merge_mergepath_config_static_selectorELNS0_4arch9wavefront6targetE1EEEvSM_.num_vgpr, 0
	.set _ZN7rocprim17ROCPRIM_400000_NS6detail17trampoline_kernelINS0_14default_configENS1_38merge_sort_block_merge_config_selectorIlNS0_10empty_typeEEEZZNS1_27merge_sort_block_merge_implIS3_PlPS5_mZN2at6native12_GLOBAL__N_124unique_dim_cuda_templateIjEESt5tupleIJNSA_6TensorESF_SF_EERKSF_lbbbEUlllE_EE10hipError_tT0_T1_T2_jT3_P12ihipStream_tbPNSt15iterator_traitsISL_E10value_typeEPNSR_ISM_E10value_typeEPSN_NS1_7vsmem_tEENKUlT_SL_SM_SN_E_clIS8_S8_S9_S9_EESK_S10_SL_SM_SN_EUlS10_E0_NS1_11comp_targetILNS1_3genE10ELNS1_11target_archE1201ELNS1_3gpuE5ELNS1_3repE0EEENS1_38merge_mergepath_config_static_selectorELNS0_4arch9wavefront6targetE1EEEvSM_.num_agpr, 0
	.set _ZN7rocprim17ROCPRIM_400000_NS6detail17trampoline_kernelINS0_14default_configENS1_38merge_sort_block_merge_config_selectorIlNS0_10empty_typeEEEZZNS1_27merge_sort_block_merge_implIS3_PlPS5_mZN2at6native12_GLOBAL__N_124unique_dim_cuda_templateIjEESt5tupleIJNSA_6TensorESF_SF_EERKSF_lbbbEUlllE_EE10hipError_tT0_T1_T2_jT3_P12ihipStream_tbPNSt15iterator_traitsISL_E10value_typeEPNSR_ISM_E10value_typeEPSN_NS1_7vsmem_tEENKUlT_SL_SM_SN_E_clIS8_S8_S9_S9_EESK_S10_SL_SM_SN_EUlS10_E0_NS1_11comp_targetILNS1_3genE10ELNS1_11target_archE1201ELNS1_3gpuE5ELNS1_3repE0EEENS1_38merge_mergepath_config_static_selectorELNS0_4arch9wavefront6targetE1EEEvSM_.numbered_sgpr, 0
	.set _ZN7rocprim17ROCPRIM_400000_NS6detail17trampoline_kernelINS0_14default_configENS1_38merge_sort_block_merge_config_selectorIlNS0_10empty_typeEEEZZNS1_27merge_sort_block_merge_implIS3_PlPS5_mZN2at6native12_GLOBAL__N_124unique_dim_cuda_templateIjEESt5tupleIJNSA_6TensorESF_SF_EERKSF_lbbbEUlllE_EE10hipError_tT0_T1_T2_jT3_P12ihipStream_tbPNSt15iterator_traitsISL_E10value_typeEPNSR_ISM_E10value_typeEPSN_NS1_7vsmem_tEENKUlT_SL_SM_SN_E_clIS8_S8_S9_S9_EESK_S10_SL_SM_SN_EUlS10_E0_NS1_11comp_targetILNS1_3genE10ELNS1_11target_archE1201ELNS1_3gpuE5ELNS1_3repE0EEENS1_38merge_mergepath_config_static_selectorELNS0_4arch9wavefront6targetE1EEEvSM_.num_named_barrier, 0
	.set _ZN7rocprim17ROCPRIM_400000_NS6detail17trampoline_kernelINS0_14default_configENS1_38merge_sort_block_merge_config_selectorIlNS0_10empty_typeEEEZZNS1_27merge_sort_block_merge_implIS3_PlPS5_mZN2at6native12_GLOBAL__N_124unique_dim_cuda_templateIjEESt5tupleIJNSA_6TensorESF_SF_EERKSF_lbbbEUlllE_EE10hipError_tT0_T1_T2_jT3_P12ihipStream_tbPNSt15iterator_traitsISL_E10value_typeEPNSR_ISM_E10value_typeEPSN_NS1_7vsmem_tEENKUlT_SL_SM_SN_E_clIS8_S8_S9_S9_EESK_S10_SL_SM_SN_EUlS10_E0_NS1_11comp_targetILNS1_3genE10ELNS1_11target_archE1201ELNS1_3gpuE5ELNS1_3repE0EEENS1_38merge_mergepath_config_static_selectorELNS0_4arch9wavefront6targetE1EEEvSM_.private_seg_size, 0
	.set _ZN7rocprim17ROCPRIM_400000_NS6detail17trampoline_kernelINS0_14default_configENS1_38merge_sort_block_merge_config_selectorIlNS0_10empty_typeEEEZZNS1_27merge_sort_block_merge_implIS3_PlPS5_mZN2at6native12_GLOBAL__N_124unique_dim_cuda_templateIjEESt5tupleIJNSA_6TensorESF_SF_EERKSF_lbbbEUlllE_EE10hipError_tT0_T1_T2_jT3_P12ihipStream_tbPNSt15iterator_traitsISL_E10value_typeEPNSR_ISM_E10value_typeEPSN_NS1_7vsmem_tEENKUlT_SL_SM_SN_E_clIS8_S8_S9_S9_EESK_S10_SL_SM_SN_EUlS10_E0_NS1_11comp_targetILNS1_3genE10ELNS1_11target_archE1201ELNS1_3gpuE5ELNS1_3repE0EEENS1_38merge_mergepath_config_static_selectorELNS0_4arch9wavefront6targetE1EEEvSM_.uses_vcc, 0
	.set _ZN7rocprim17ROCPRIM_400000_NS6detail17trampoline_kernelINS0_14default_configENS1_38merge_sort_block_merge_config_selectorIlNS0_10empty_typeEEEZZNS1_27merge_sort_block_merge_implIS3_PlPS5_mZN2at6native12_GLOBAL__N_124unique_dim_cuda_templateIjEESt5tupleIJNSA_6TensorESF_SF_EERKSF_lbbbEUlllE_EE10hipError_tT0_T1_T2_jT3_P12ihipStream_tbPNSt15iterator_traitsISL_E10value_typeEPNSR_ISM_E10value_typeEPSN_NS1_7vsmem_tEENKUlT_SL_SM_SN_E_clIS8_S8_S9_S9_EESK_S10_SL_SM_SN_EUlS10_E0_NS1_11comp_targetILNS1_3genE10ELNS1_11target_archE1201ELNS1_3gpuE5ELNS1_3repE0EEENS1_38merge_mergepath_config_static_selectorELNS0_4arch9wavefront6targetE1EEEvSM_.uses_flat_scratch, 0
	.set _ZN7rocprim17ROCPRIM_400000_NS6detail17trampoline_kernelINS0_14default_configENS1_38merge_sort_block_merge_config_selectorIlNS0_10empty_typeEEEZZNS1_27merge_sort_block_merge_implIS3_PlPS5_mZN2at6native12_GLOBAL__N_124unique_dim_cuda_templateIjEESt5tupleIJNSA_6TensorESF_SF_EERKSF_lbbbEUlllE_EE10hipError_tT0_T1_T2_jT3_P12ihipStream_tbPNSt15iterator_traitsISL_E10value_typeEPNSR_ISM_E10value_typeEPSN_NS1_7vsmem_tEENKUlT_SL_SM_SN_E_clIS8_S8_S9_S9_EESK_S10_SL_SM_SN_EUlS10_E0_NS1_11comp_targetILNS1_3genE10ELNS1_11target_archE1201ELNS1_3gpuE5ELNS1_3repE0EEENS1_38merge_mergepath_config_static_selectorELNS0_4arch9wavefront6targetE1EEEvSM_.has_dyn_sized_stack, 0
	.set _ZN7rocprim17ROCPRIM_400000_NS6detail17trampoline_kernelINS0_14default_configENS1_38merge_sort_block_merge_config_selectorIlNS0_10empty_typeEEEZZNS1_27merge_sort_block_merge_implIS3_PlPS5_mZN2at6native12_GLOBAL__N_124unique_dim_cuda_templateIjEESt5tupleIJNSA_6TensorESF_SF_EERKSF_lbbbEUlllE_EE10hipError_tT0_T1_T2_jT3_P12ihipStream_tbPNSt15iterator_traitsISL_E10value_typeEPNSR_ISM_E10value_typeEPSN_NS1_7vsmem_tEENKUlT_SL_SM_SN_E_clIS8_S8_S9_S9_EESK_S10_SL_SM_SN_EUlS10_E0_NS1_11comp_targetILNS1_3genE10ELNS1_11target_archE1201ELNS1_3gpuE5ELNS1_3repE0EEENS1_38merge_mergepath_config_static_selectorELNS0_4arch9wavefront6targetE1EEEvSM_.has_recursion, 0
	.set _ZN7rocprim17ROCPRIM_400000_NS6detail17trampoline_kernelINS0_14default_configENS1_38merge_sort_block_merge_config_selectorIlNS0_10empty_typeEEEZZNS1_27merge_sort_block_merge_implIS3_PlPS5_mZN2at6native12_GLOBAL__N_124unique_dim_cuda_templateIjEESt5tupleIJNSA_6TensorESF_SF_EERKSF_lbbbEUlllE_EE10hipError_tT0_T1_T2_jT3_P12ihipStream_tbPNSt15iterator_traitsISL_E10value_typeEPNSR_ISM_E10value_typeEPSN_NS1_7vsmem_tEENKUlT_SL_SM_SN_E_clIS8_S8_S9_S9_EESK_S10_SL_SM_SN_EUlS10_E0_NS1_11comp_targetILNS1_3genE10ELNS1_11target_archE1201ELNS1_3gpuE5ELNS1_3repE0EEENS1_38merge_mergepath_config_static_selectorELNS0_4arch9wavefront6targetE1EEEvSM_.has_indirect_call, 0
	.section	.AMDGPU.csdata,"",@progbits
; Kernel info:
; codeLenInByte = 0
; TotalNumSgprs: 6
; NumVgprs: 0
; NumAgprs: 0
; TotalNumVgprs: 0
; ScratchSize: 0
; MemoryBound: 0
; FloatMode: 240
; IeeeMode: 1
; LDSByteSize: 0 bytes/workgroup (compile time only)
; SGPRBlocks: 0
; VGPRBlocks: 0
; NumSGPRsForWavesPerEU: 6
; NumVGPRsForWavesPerEU: 1
; AccumOffset: 4
; Occupancy: 8
; WaveLimiterHint : 0
; COMPUTE_PGM_RSRC2:SCRATCH_EN: 0
; COMPUTE_PGM_RSRC2:USER_SGPR: 2
; COMPUTE_PGM_RSRC2:TRAP_HANDLER: 0
; COMPUTE_PGM_RSRC2:TGID_X_EN: 1
; COMPUTE_PGM_RSRC2:TGID_Y_EN: 0
; COMPUTE_PGM_RSRC2:TGID_Z_EN: 0
; COMPUTE_PGM_RSRC2:TIDIG_COMP_CNT: 0
; COMPUTE_PGM_RSRC3_GFX90A:ACCUM_OFFSET: 0
; COMPUTE_PGM_RSRC3_GFX90A:TG_SPLIT: 0
	.section	.text._ZN7rocprim17ROCPRIM_400000_NS6detail17trampoline_kernelINS0_14default_configENS1_38merge_sort_block_merge_config_selectorIlNS0_10empty_typeEEEZZNS1_27merge_sort_block_merge_implIS3_PlPS5_mZN2at6native12_GLOBAL__N_124unique_dim_cuda_templateIjEESt5tupleIJNSA_6TensorESF_SF_EERKSF_lbbbEUlllE_EE10hipError_tT0_T1_T2_jT3_P12ihipStream_tbPNSt15iterator_traitsISL_E10value_typeEPNSR_ISM_E10value_typeEPSN_NS1_7vsmem_tEENKUlT_SL_SM_SN_E_clIS8_S8_S9_S9_EESK_S10_SL_SM_SN_EUlS10_E0_NS1_11comp_targetILNS1_3genE5ELNS1_11target_archE942ELNS1_3gpuE9ELNS1_3repE0EEENS1_38merge_mergepath_config_static_selectorELNS0_4arch9wavefront6targetE1EEEvSM_,"axG",@progbits,_ZN7rocprim17ROCPRIM_400000_NS6detail17trampoline_kernelINS0_14default_configENS1_38merge_sort_block_merge_config_selectorIlNS0_10empty_typeEEEZZNS1_27merge_sort_block_merge_implIS3_PlPS5_mZN2at6native12_GLOBAL__N_124unique_dim_cuda_templateIjEESt5tupleIJNSA_6TensorESF_SF_EERKSF_lbbbEUlllE_EE10hipError_tT0_T1_T2_jT3_P12ihipStream_tbPNSt15iterator_traitsISL_E10value_typeEPNSR_ISM_E10value_typeEPSN_NS1_7vsmem_tEENKUlT_SL_SM_SN_E_clIS8_S8_S9_S9_EESK_S10_SL_SM_SN_EUlS10_E0_NS1_11comp_targetILNS1_3genE5ELNS1_11target_archE942ELNS1_3gpuE9ELNS1_3repE0EEENS1_38merge_mergepath_config_static_selectorELNS0_4arch9wavefront6targetE1EEEvSM_,comdat
	.globl	_ZN7rocprim17ROCPRIM_400000_NS6detail17trampoline_kernelINS0_14default_configENS1_38merge_sort_block_merge_config_selectorIlNS0_10empty_typeEEEZZNS1_27merge_sort_block_merge_implIS3_PlPS5_mZN2at6native12_GLOBAL__N_124unique_dim_cuda_templateIjEESt5tupleIJNSA_6TensorESF_SF_EERKSF_lbbbEUlllE_EE10hipError_tT0_T1_T2_jT3_P12ihipStream_tbPNSt15iterator_traitsISL_E10value_typeEPNSR_ISM_E10value_typeEPSN_NS1_7vsmem_tEENKUlT_SL_SM_SN_E_clIS8_S8_S9_S9_EESK_S10_SL_SM_SN_EUlS10_E0_NS1_11comp_targetILNS1_3genE5ELNS1_11target_archE942ELNS1_3gpuE9ELNS1_3repE0EEENS1_38merge_mergepath_config_static_selectorELNS0_4arch9wavefront6targetE1EEEvSM_ ; -- Begin function _ZN7rocprim17ROCPRIM_400000_NS6detail17trampoline_kernelINS0_14default_configENS1_38merge_sort_block_merge_config_selectorIlNS0_10empty_typeEEEZZNS1_27merge_sort_block_merge_implIS3_PlPS5_mZN2at6native12_GLOBAL__N_124unique_dim_cuda_templateIjEESt5tupleIJNSA_6TensorESF_SF_EERKSF_lbbbEUlllE_EE10hipError_tT0_T1_T2_jT3_P12ihipStream_tbPNSt15iterator_traitsISL_E10value_typeEPNSR_ISM_E10value_typeEPSN_NS1_7vsmem_tEENKUlT_SL_SM_SN_E_clIS8_S8_S9_S9_EESK_S10_SL_SM_SN_EUlS10_E0_NS1_11comp_targetILNS1_3genE5ELNS1_11target_archE942ELNS1_3gpuE9ELNS1_3repE0EEENS1_38merge_mergepath_config_static_selectorELNS0_4arch9wavefront6targetE1EEEvSM_
	.p2align	8
	.type	_ZN7rocprim17ROCPRIM_400000_NS6detail17trampoline_kernelINS0_14default_configENS1_38merge_sort_block_merge_config_selectorIlNS0_10empty_typeEEEZZNS1_27merge_sort_block_merge_implIS3_PlPS5_mZN2at6native12_GLOBAL__N_124unique_dim_cuda_templateIjEESt5tupleIJNSA_6TensorESF_SF_EERKSF_lbbbEUlllE_EE10hipError_tT0_T1_T2_jT3_P12ihipStream_tbPNSt15iterator_traitsISL_E10value_typeEPNSR_ISM_E10value_typeEPSN_NS1_7vsmem_tEENKUlT_SL_SM_SN_E_clIS8_S8_S9_S9_EESK_S10_SL_SM_SN_EUlS10_E0_NS1_11comp_targetILNS1_3genE5ELNS1_11target_archE942ELNS1_3gpuE9ELNS1_3repE0EEENS1_38merge_mergepath_config_static_selectorELNS0_4arch9wavefront6targetE1EEEvSM_,@function
_ZN7rocprim17ROCPRIM_400000_NS6detail17trampoline_kernelINS0_14default_configENS1_38merge_sort_block_merge_config_selectorIlNS0_10empty_typeEEEZZNS1_27merge_sort_block_merge_implIS3_PlPS5_mZN2at6native12_GLOBAL__N_124unique_dim_cuda_templateIjEESt5tupleIJNSA_6TensorESF_SF_EERKSF_lbbbEUlllE_EE10hipError_tT0_T1_T2_jT3_P12ihipStream_tbPNSt15iterator_traitsISL_E10value_typeEPNSR_ISM_E10value_typeEPSN_NS1_7vsmem_tEENKUlT_SL_SM_SN_E_clIS8_S8_S9_S9_EESK_S10_SL_SM_SN_EUlS10_E0_NS1_11comp_targetILNS1_3genE5ELNS1_11target_archE942ELNS1_3gpuE9ELNS1_3repE0EEENS1_38merge_mergepath_config_static_selectorELNS0_4arch9wavefront6targetE1EEEvSM_: ; @_ZN7rocprim17ROCPRIM_400000_NS6detail17trampoline_kernelINS0_14default_configENS1_38merge_sort_block_merge_config_selectorIlNS0_10empty_typeEEEZZNS1_27merge_sort_block_merge_implIS3_PlPS5_mZN2at6native12_GLOBAL__N_124unique_dim_cuda_templateIjEESt5tupleIJNSA_6TensorESF_SF_EERKSF_lbbbEUlllE_EE10hipError_tT0_T1_T2_jT3_P12ihipStream_tbPNSt15iterator_traitsISL_E10value_typeEPNSR_ISM_E10value_typeEPSN_NS1_7vsmem_tEENKUlT_SL_SM_SN_E_clIS8_S8_S9_S9_EESK_S10_SL_SM_SN_EUlS10_E0_NS1_11comp_targetILNS1_3genE5ELNS1_11target_archE942ELNS1_3gpuE9ELNS1_3repE0EEENS1_38merge_mergepath_config_static_selectorELNS0_4arch9wavefront6targetE1EEEvSM_
; %bb.0:
	.section	.rodata,"a",@progbits
	.p2align	6, 0x0
	.amdhsa_kernel _ZN7rocprim17ROCPRIM_400000_NS6detail17trampoline_kernelINS0_14default_configENS1_38merge_sort_block_merge_config_selectorIlNS0_10empty_typeEEEZZNS1_27merge_sort_block_merge_implIS3_PlPS5_mZN2at6native12_GLOBAL__N_124unique_dim_cuda_templateIjEESt5tupleIJNSA_6TensorESF_SF_EERKSF_lbbbEUlllE_EE10hipError_tT0_T1_T2_jT3_P12ihipStream_tbPNSt15iterator_traitsISL_E10value_typeEPNSR_ISM_E10value_typeEPSN_NS1_7vsmem_tEENKUlT_SL_SM_SN_E_clIS8_S8_S9_S9_EESK_S10_SL_SM_SN_EUlS10_E0_NS1_11comp_targetILNS1_3genE5ELNS1_11target_archE942ELNS1_3gpuE9ELNS1_3repE0EEENS1_38merge_mergepath_config_static_selectorELNS0_4arch9wavefront6targetE1EEEvSM_
		.amdhsa_group_segment_fixed_size 0
		.amdhsa_private_segment_fixed_size 0
		.amdhsa_kernarg_size 88
		.amdhsa_user_sgpr_count 2
		.amdhsa_user_sgpr_dispatch_ptr 0
		.amdhsa_user_sgpr_queue_ptr 0
		.amdhsa_user_sgpr_kernarg_segment_ptr 1
		.amdhsa_user_sgpr_dispatch_id 0
		.amdhsa_user_sgpr_kernarg_preload_length 0
		.amdhsa_user_sgpr_kernarg_preload_offset 0
		.amdhsa_user_sgpr_private_segment_size 0
		.amdhsa_uses_dynamic_stack 0
		.amdhsa_enable_private_segment 0
		.amdhsa_system_sgpr_workgroup_id_x 1
		.amdhsa_system_sgpr_workgroup_id_y 0
		.amdhsa_system_sgpr_workgroup_id_z 0
		.amdhsa_system_sgpr_workgroup_info 0
		.amdhsa_system_vgpr_workitem_id 0
		.amdhsa_next_free_vgpr 1
		.amdhsa_next_free_sgpr 0
		.amdhsa_accum_offset 4
		.amdhsa_reserve_vcc 0
		.amdhsa_float_round_mode_32 0
		.amdhsa_float_round_mode_16_64 0
		.amdhsa_float_denorm_mode_32 3
		.amdhsa_float_denorm_mode_16_64 3
		.amdhsa_dx10_clamp 1
		.amdhsa_ieee_mode 1
		.amdhsa_fp16_overflow 0
		.amdhsa_tg_split 0
		.amdhsa_exception_fp_ieee_invalid_op 0
		.amdhsa_exception_fp_denorm_src 0
		.amdhsa_exception_fp_ieee_div_zero 0
		.amdhsa_exception_fp_ieee_overflow 0
		.amdhsa_exception_fp_ieee_underflow 0
		.amdhsa_exception_fp_ieee_inexact 0
		.amdhsa_exception_int_div_zero 0
	.end_amdhsa_kernel
	.section	.text._ZN7rocprim17ROCPRIM_400000_NS6detail17trampoline_kernelINS0_14default_configENS1_38merge_sort_block_merge_config_selectorIlNS0_10empty_typeEEEZZNS1_27merge_sort_block_merge_implIS3_PlPS5_mZN2at6native12_GLOBAL__N_124unique_dim_cuda_templateIjEESt5tupleIJNSA_6TensorESF_SF_EERKSF_lbbbEUlllE_EE10hipError_tT0_T1_T2_jT3_P12ihipStream_tbPNSt15iterator_traitsISL_E10value_typeEPNSR_ISM_E10value_typeEPSN_NS1_7vsmem_tEENKUlT_SL_SM_SN_E_clIS8_S8_S9_S9_EESK_S10_SL_SM_SN_EUlS10_E0_NS1_11comp_targetILNS1_3genE5ELNS1_11target_archE942ELNS1_3gpuE9ELNS1_3repE0EEENS1_38merge_mergepath_config_static_selectorELNS0_4arch9wavefront6targetE1EEEvSM_,"axG",@progbits,_ZN7rocprim17ROCPRIM_400000_NS6detail17trampoline_kernelINS0_14default_configENS1_38merge_sort_block_merge_config_selectorIlNS0_10empty_typeEEEZZNS1_27merge_sort_block_merge_implIS3_PlPS5_mZN2at6native12_GLOBAL__N_124unique_dim_cuda_templateIjEESt5tupleIJNSA_6TensorESF_SF_EERKSF_lbbbEUlllE_EE10hipError_tT0_T1_T2_jT3_P12ihipStream_tbPNSt15iterator_traitsISL_E10value_typeEPNSR_ISM_E10value_typeEPSN_NS1_7vsmem_tEENKUlT_SL_SM_SN_E_clIS8_S8_S9_S9_EESK_S10_SL_SM_SN_EUlS10_E0_NS1_11comp_targetILNS1_3genE5ELNS1_11target_archE942ELNS1_3gpuE9ELNS1_3repE0EEENS1_38merge_mergepath_config_static_selectorELNS0_4arch9wavefront6targetE1EEEvSM_,comdat
.Lfunc_end1502:
	.size	_ZN7rocprim17ROCPRIM_400000_NS6detail17trampoline_kernelINS0_14default_configENS1_38merge_sort_block_merge_config_selectorIlNS0_10empty_typeEEEZZNS1_27merge_sort_block_merge_implIS3_PlPS5_mZN2at6native12_GLOBAL__N_124unique_dim_cuda_templateIjEESt5tupleIJNSA_6TensorESF_SF_EERKSF_lbbbEUlllE_EE10hipError_tT0_T1_T2_jT3_P12ihipStream_tbPNSt15iterator_traitsISL_E10value_typeEPNSR_ISM_E10value_typeEPSN_NS1_7vsmem_tEENKUlT_SL_SM_SN_E_clIS8_S8_S9_S9_EESK_S10_SL_SM_SN_EUlS10_E0_NS1_11comp_targetILNS1_3genE5ELNS1_11target_archE942ELNS1_3gpuE9ELNS1_3repE0EEENS1_38merge_mergepath_config_static_selectorELNS0_4arch9wavefront6targetE1EEEvSM_, .Lfunc_end1502-_ZN7rocprim17ROCPRIM_400000_NS6detail17trampoline_kernelINS0_14default_configENS1_38merge_sort_block_merge_config_selectorIlNS0_10empty_typeEEEZZNS1_27merge_sort_block_merge_implIS3_PlPS5_mZN2at6native12_GLOBAL__N_124unique_dim_cuda_templateIjEESt5tupleIJNSA_6TensorESF_SF_EERKSF_lbbbEUlllE_EE10hipError_tT0_T1_T2_jT3_P12ihipStream_tbPNSt15iterator_traitsISL_E10value_typeEPNSR_ISM_E10value_typeEPSN_NS1_7vsmem_tEENKUlT_SL_SM_SN_E_clIS8_S8_S9_S9_EESK_S10_SL_SM_SN_EUlS10_E0_NS1_11comp_targetILNS1_3genE5ELNS1_11target_archE942ELNS1_3gpuE9ELNS1_3repE0EEENS1_38merge_mergepath_config_static_selectorELNS0_4arch9wavefront6targetE1EEEvSM_
                                        ; -- End function
	.set _ZN7rocprim17ROCPRIM_400000_NS6detail17trampoline_kernelINS0_14default_configENS1_38merge_sort_block_merge_config_selectorIlNS0_10empty_typeEEEZZNS1_27merge_sort_block_merge_implIS3_PlPS5_mZN2at6native12_GLOBAL__N_124unique_dim_cuda_templateIjEESt5tupleIJNSA_6TensorESF_SF_EERKSF_lbbbEUlllE_EE10hipError_tT0_T1_T2_jT3_P12ihipStream_tbPNSt15iterator_traitsISL_E10value_typeEPNSR_ISM_E10value_typeEPSN_NS1_7vsmem_tEENKUlT_SL_SM_SN_E_clIS8_S8_S9_S9_EESK_S10_SL_SM_SN_EUlS10_E0_NS1_11comp_targetILNS1_3genE5ELNS1_11target_archE942ELNS1_3gpuE9ELNS1_3repE0EEENS1_38merge_mergepath_config_static_selectorELNS0_4arch9wavefront6targetE1EEEvSM_.num_vgpr, 0
	.set _ZN7rocprim17ROCPRIM_400000_NS6detail17trampoline_kernelINS0_14default_configENS1_38merge_sort_block_merge_config_selectorIlNS0_10empty_typeEEEZZNS1_27merge_sort_block_merge_implIS3_PlPS5_mZN2at6native12_GLOBAL__N_124unique_dim_cuda_templateIjEESt5tupleIJNSA_6TensorESF_SF_EERKSF_lbbbEUlllE_EE10hipError_tT0_T1_T2_jT3_P12ihipStream_tbPNSt15iterator_traitsISL_E10value_typeEPNSR_ISM_E10value_typeEPSN_NS1_7vsmem_tEENKUlT_SL_SM_SN_E_clIS8_S8_S9_S9_EESK_S10_SL_SM_SN_EUlS10_E0_NS1_11comp_targetILNS1_3genE5ELNS1_11target_archE942ELNS1_3gpuE9ELNS1_3repE0EEENS1_38merge_mergepath_config_static_selectorELNS0_4arch9wavefront6targetE1EEEvSM_.num_agpr, 0
	.set _ZN7rocprim17ROCPRIM_400000_NS6detail17trampoline_kernelINS0_14default_configENS1_38merge_sort_block_merge_config_selectorIlNS0_10empty_typeEEEZZNS1_27merge_sort_block_merge_implIS3_PlPS5_mZN2at6native12_GLOBAL__N_124unique_dim_cuda_templateIjEESt5tupleIJNSA_6TensorESF_SF_EERKSF_lbbbEUlllE_EE10hipError_tT0_T1_T2_jT3_P12ihipStream_tbPNSt15iterator_traitsISL_E10value_typeEPNSR_ISM_E10value_typeEPSN_NS1_7vsmem_tEENKUlT_SL_SM_SN_E_clIS8_S8_S9_S9_EESK_S10_SL_SM_SN_EUlS10_E0_NS1_11comp_targetILNS1_3genE5ELNS1_11target_archE942ELNS1_3gpuE9ELNS1_3repE0EEENS1_38merge_mergepath_config_static_selectorELNS0_4arch9wavefront6targetE1EEEvSM_.numbered_sgpr, 0
	.set _ZN7rocprim17ROCPRIM_400000_NS6detail17trampoline_kernelINS0_14default_configENS1_38merge_sort_block_merge_config_selectorIlNS0_10empty_typeEEEZZNS1_27merge_sort_block_merge_implIS3_PlPS5_mZN2at6native12_GLOBAL__N_124unique_dim_cuda_templateIjEESt5tupleIJNSA_6TensorESF_SF_EERKSF_lbbbEUlllE_EE10hipError_tT0_T1_T2_jT3_P12ihipStream_tbPNSt15iterator_traitsISL_E10value_typeEPNSR_ISM_E10value_typeEPSN_NS1_7vsmem_tEENKUlT_SL_SM_SN_E_clIS8_S8_S9_S9_EESK_S10_SL_SM_SN_EUlS10_E0_NS1_11comp_targetILNS1_3genE5ELNS1_11target_archE942ELNS1_3gpuE9ELNS1_3repE0EEENS1_38merge_mergepath_config_static_selectorELNS0_4arch9wavefront6targetE1EEEvSM_.num_named_barrier, 0
	.set _ZN7rocprim17ROCPRIM_400000_NS6detail17trampoline_kernelINS0_14default_configENS1_38merge_sort_block_merge_config_selectorIlNS0_10empty_typeEEEZZNS1_27merge_sort_block_merge_implIS3_PlPS5_mZN2at6native12_GLOBAL__N_124unique_dim_cuda_templateIjEESt5tupleIJNSA_6TensorESF_SF_EERKSF_lbbbEUlllE_EE10hipError_tT0_T1_T2_jT3_P12ihipStream_tbPNSt15iterator_traitsISL_E10value_typeEPNSR_ISM_E10value_typeEPSN_NS1_7vsmem_tEENKUlT_SL_SM_SN_E_clIS8_S8_S9_S9_EESK_S10_SL_SM_SN_EUlS10_E0_NS1_11comp_targetILNS1_3genE5ELNS1_11target_archE942ELNS1_3gpuE9ELNS1_3repE0EEENS1_38merge_mergepath_config_static_selectorELNS0_4arch9wavefront6targetE1EEEvSM_.private_seg_size, 0
	.set _ZN7rocprim17ROCPRIM_400000_NS6detail17trampoline_kernelINS0_14default_configENS1_38merge_sort_block_merge_config_selectorIlNS0_10empty_typeEEEZZNS1_27merge_sort_block_merge_implIS3_PlPS5_mZN2at6native12_GLOBAL__N_124unique_dim_cuda_templateIjEESt5tupleIJNSA_6TensorESF_SF_EERKSF_lbbbEUlllE_EE10hipError_tT0_T1_T2_jT3_P12ihipStream_tbPNSt15iterator_traitsISL_E10value_typeEPNSR_ISM_E10value_typeEPSN_NS1_7vsmem_tEENKUlT_SL_SM_SN_E_clIS8_S8_S9_S9_EESK_S10_SL_SM_SN_EUlS10_E0_NS1_11comp_targetILNS1_3genE5ELNS1_11target_archE942ELNS1_3gpuE9ELNS1_3repE0EEENS1_38merge_mergepath_config_static_selectorELNS0_4arch9wavefront6targetE1EEEvSM_.uses_vcc, 0
	.set _ZN7rocprim17ROCPRIM_400000_NS6detail17trampoline_kernelINS0_14default_configENS1_38merge_sort_block_merge_config_selectorIlNS0_10empty_typeEEEZZNS1_27merge_sort_block_merge_implIS3_PlPS5_mZN2at6native12_GLOBAL__N_124unique_dim_cuda_templateIjEESt5tupleIJNSA_6TensorESF_SF_EERKSF_lbbbEUlllE_EE10hipError_tT0_T1_T2_jT3_P12ihipStream_tbPNSt15iterator_traitsISL_E10value_typeEPNSR_ISM_E10value_typeEPSN_NS1_7vsmem_tEENKUlT_SL_SM_SN_E_clIS8_S8_S9_S9_EESK_S10_SL_SM_SN_EUlS10_E0_NS1_11comp_targetILNS1_3genE5ELNS1_11target_archE942ELNS1_3gpuE9ELNS1_3repE0EEENS1_38merge_mergepath_config_static_selectorELNS0_4arch9wavefront6targetE1EEEvSM_.uses_flat_scratch, 0
	.set _ZN7rocprim17ROCPRIM_400000_NS6detail17trampoline_kernelINS0_14default_configENS1_38merge_sort_block_merge_config_selectorIlNS0_10empty_typeEEEZZNS1_27merge_sort_block_merge_implIS3_PlPS5_mZN2at6native12_GLOBAL__N_124unique_dim_cuda_templateIjEESt5tupleIJNSA_6TensorESF_SF_EERKSF_lbbbEUlllE_EE10hipError_tT0_T1_T2_jT3_P12ihipStream_tbPNSt15iterator_traitsISL_E10value_typeEPNSR_ISM_E10value_typeEPSN_NS1_7vsmem_tEENKUlT_SL_SM_SN_E_clIS8_S8_S9_S9_EESK_S10_SL_SM_SN_EUlS10_E0_NS1_11comp_targetILNS1_3genE5ELNS1_11target_archE942ELNS1_3gpuE9ELNS1_3repE0EEENS1_38merge_mergepath_config_static_selectorELNS0_4arch9wavefront6targetE1EEEvSM_.has_dyn_sized_stack, 0
	.set _ZN7rocprim17ROCPRIM_400000_NS6detail17trampoline_kernelINS0_14default_configENS1_38merge_sort_block_merge_config_selectorIlNS0_10empty_typeEEEZZNS1_27merge_sort_block_merge_implIS3_PlPS5_mZN2at6native12_GLOBAL__N_124unique_dim_cuda_templateIjEESt5tupleIJNSA_6TensorESF_SF_EERKSF_lbbbEUlllE_EE10hipError_tT0_T1_T2_jT3_P12ihipStream_tbPNSt15iterator_traitsISL_E10value_typeEPNSR_ISM_E10value_typeEPSN_NS1_7vsmem_tEENKUlT_SL_SM_SN_E_clIS8_S8_S9_S9_EESK_S10_SL_SM_SN_EUlS10_E0_NS1_11comp_targetILNS1_3genE5ELNS1_11target_archE942ELNS1_3gpuE9ELNS1_3repE0EEENS1_38merge_mergepath_config_static_selectorELNS0_4arch9wavefront6targetE1EEEvSM_.has_recursion, 0
	.set _ZN7rocprim17ROCPRIM_400000_NS6detail17trampoline_kernelINS0_14default_configENS1_38merge_sort_block_merge_config_selectorIlNS0_10empty_typeEEEZZNS1_27merge_sort_block_merge_implIS3_PlPS5_mZN2at6native12_GLOBAL__N_124unique_dim_cuda_templateIjEESt5tupleIJNSA_6TensorESF_SF_EERKSF_lbbbEUlllE_EE10hipError_tT0_T1_T2_jT3_P12ihipStream_tbPNSt15iterator_traitsISL_E10value_typeEPNSR_ISM_E10value_typeEPSN_NS1_7vsmem_tEENKUlT_SL_SM_SN_E_clIS8_S8_S9_S9_EESK_S10_SL_SM_SN_EUlS10_E0_NS1_11comp_targetILNS1_3genE5ELNS1_11target_archE942ELNS1_3gpuE9ELNS1_3repE0EEENS1_38merge_mergepath_config_static_selectorELNS0_4arch9wavefront6targetE1EEEvSM_.has_indirect_call, 0
	.section	.AMDGPU.csdata,"",@progbits
; Kernel info:
; codeLenInByte = 0
; TotalNumSgprs: 6
; NumVgprs: 0
; NumAgprs: 0
; TotalNumVgprs: 0
; ScratchSize: 0
; MemoryBound: 0
; FloatMode: 240
; IeeeMode: 1
; LDSByteSize: 0 bytes/workgroup (compile time only)
; SGPRBlocks: 0
; VGPRBlocks: 0
; NumSGPRsForWavesPerEU: 6
; NumVGPRsForWavesPerEU: 1
; AccumOffset: 4
; Occupancy: 8
; WaveLimiterHint : 0
; COMPUTE_PGM_RSRC2:SCRATCH_EN: 0
; COMPUTE_PGM_RSRC2:USER_SGPR: 2
; COMPUTE_PGM_RSRC2:TRAP_HANDLER: 0
; COMPUTE_PGM_RSRC2:TGID_X_EN: 1
; COMPUTE_PGM_RSRC2:TGID_Y_EN: 0
; COMPUTE_PGM_RSRC2:TGID_Z_EN: 0
; COMPUTE_PGM_RSRC2:TIDIG_COMP_CNT: 0
; COMPUTE_PGM_RSRC3_GFX90A:ACCUM_OFFSET: 0
; COMPUTE_PGM_RSRC3_GFX90A:TG_SPLIT: 0
	.section	.text._ZN7rocprim17ROCPRIM_400000_NS6detail17trampoline_kernelINS0_14default_configENS1_38merge_sort_block_merge_config_selectorIlNS0_10empty_typeEEEZZNS1_27merge_sort_block_merge_implIS3_PlPS5_mZN2at6native12_GLOBAL__N_124unique_dim_cuda_templateIjEESt5tupleIJNSA_6TensorESF_SF_EERKSF_lbbbEUlllE_EE10hipError_tT0_T1_T2_jT3_P12ihipStream_tbPNSt15iterator_traitsISL_E10value_typeEPNSR_ISM_E10value_typeEPSN_NS1_7vsmem_tEENKUlT_SL_SM_SN_E_clIS8_S8_S9_S9_EESK_S10_SL_SM_SN_EUlS10_E0_NS1_11comp_targetILNS1_3genE4ELNS1_11target_archE910ELNS1_3gpuE8ELNS1_3repE0EEENS1_38merge_mergepath_config_static_selectorELNS0_4arch9wavefront6targetE1EEEvSM_,"axG",@progbits,_ZN7rocprim17ROCPRIM_400000_NS6detail17trampoline_kernelINS0_14default_configENS1_38merge_sort_block_merge_config_selectorIlNS0_10empty_typeEEEZZNS1_27merge_sort_block_merge_implIS3_PlPS5_mZN2at6native12_GLOBAL__N_124unique_dim_cuda_templateIjEESt5tupleIJNSA_6TensorESF_SF_EERKSF_lbbbEUlllE_EE10hipError_tT0_T1_T2_jT3_P12ihipStream_tbPNSt15iterator_traitsISL_E10value_typeEPNSR_ISM_E10value_typeEPSN_NS1_7vsmem_tEENKUlT_SL_SM_SN_E_clIS8_S8_S9_S9_EESK_S10_SL_SM_SN_EUlS10_E0_NS1_11comp_targetILNS1_3genE4ELNS1_11target_archE910ELNS1_3gpuE8ELNS1_3repE0EEENS1_38merge_mergepath_config_static_selectorELNS0_4arch9wavefront6targetE1EEEvSM_,comdat
	.globl	_ZN7rocprim17ROCPRIM_400000_NS6detail17trampoline_kernelINS0_14default_configENS1_38merge_sort_block_merge_config_selectorIlNS0_10empty_typeEEEZZNS1_27merge_sort_block_merge_implIS3_PlPS5_mZN2at6native12_GLOBAL__N_124unique_dim_cuda_templateIjEESt5tupleIJNSA_6TensorESF_SF_EERKSF_lbbbEUlllE_EE10hipError_tT0_T1_T2_jT3_P12ihipStream_tbPNSt15iterator_traitsISL_E10value_typeEPNSR_ISM_E10value_typeEPSN_NS1_7vsmem_tEENKUlT_SL_SM_SN_E_clIS8_S8_S9_S9_EESK_S10_SL_SM_SN_EUlS10_E0_NS1_11comp_targetILNS1_3genE4ELNS1_11target_archE910ELNS1_3gpuE8ELNS1_3repE0EEENS1_38merge_mergepath_config_static_selectorELNS0_4arch9wavefront6targetE1EEEvSM_ ; -- Begin function _ZN7rocprim17ROCPRIM_400000_NS6detail17trampoline_kernelINS0_14default_configENS1_38merge_sort_block_merge_config_selectorIlNS0_10empty_typeEEEZZNS1_27merge_sort_block_merge_implIS3_PlPS5_mZN2at6native12_GLOBAL__N_124unique_dim_cuda_templateIjEESt5tupleIJNSA_6TensorESF_SF_EERKSF_lbbbEUlllE_EE10hipError_tT0_T1_T2_jT3_P12ihipStream_tbPNSt15iterator_traitsISL_E10value_typeEPNSR_ISM_E10value_typeEPSN_NS1_7vsmem_tEENKUlT_SL_SM_SN_E_clIS8_S8_S9_S9_EESK_S10_SL_SM_SN_EUlS10_E0_NS1_11comp_targetILNS1_3genE4ELNS1_11target_archE910ELNS1_3gpuE8ELNS1_3repE0EEENS1_38merge_mergepath_config_static_selectorELNS0_4arch9wavefront6targetE1EEEvSM_
	.p2align	8
	.type	_ZN7rocprim17ROCPRIM_400000_NS6detail17trampoline_kernelINS0_14default_configENS1_38merge_sort_block_merge_config_selectorIlNS0_10empty_typeEEEZZNS1_27merge_sort_block_merge_implIS3_PlPS5_mZN2at6native12_GLOBAL__N_124unique_dim_cuda_templateIjEESt5tupleIJNSA_6TensorESF_SF_EERKSF_lbbbEUlllE_EE10hipError_tT0_T1_T2_jT3_P12ihipStream_tbPNSt15iterator_traitsISL_E10value_typeEPNSR_ISM_E10value_typeEPSN_NS1_7vsmem_tEENKUlT_SL_SM_SN_E_clIS8_S8_S9_S9_EESK_S10_SL_SM_SN_EUlS10_E0_NS1_11comp_targetILNS1_3genE4ELNS1_11target_archE910ELNS1_3gpuE8ELNS1_3repE0EEENS1_38merge_mergepath_config_static_selectorELNS0_4arch9wavefront6targetE1EEEvSM_,@function
_ZN7rocprim17ROCPRIM_400000_NS6detail17trampoline_kernelINS0_14default_configENS1_38merge_sort_block_merge_config_selectorIlNS0_10empty_typeEEEZZNS1_27merge_sort_block_merge_implIS3_PlPS5_mZN2at6native12_GLOBAL__N_124unique_dim_cuda_templateIjEESt5tupleIJNSA_6TensorESF_SF_EERKSF_lbbbEUlllE_EE10hipError_tT0_T1_T2_jT3_P12ihipStream_tbPNSt15iterator_traitsISL_E10value_typeEPNSR_ISM_E10value_typeEPSN_NS1_7vsmem_tEENKUlT_SL_SM_SN_E_clIS8_S8_S9_S9_EESK_S10_SL_SM_SN_EUlS10_E0_NS1_11comp_targetILNS1_3genE4ELNS1_11target_archE910ELNS1_3gpuE8ELNS1_3repE0EEENS1_38merge_mergepath_config_static_selectorELNS0_4arch9wavefront6targetE1EEEvSM_: ; @_ZN7rocprim17ROCPRIM_400000_NS6detail17trampoline_kernelINS0_14default_configENS1_38merge_sort_block_merge_config_selectorIlNS0_10empty_typeEEEZZNS1_27merge_sort_block_merge_implIS3_PlPS5_mZN2at6native12_GLOBAL__N_124unique_dim_cuda_templateIjEESt5tupleIJNSA_6TensorESF_SF_EERKSF_lbbbEUlllE_EE10hipError_tT0_T1_T2_jT3_P12ihipStream_tbPNSt15iterator_traitsISL_E10value_typeEPNSR_ISM_E10value_typeEPSN_NS1_7vsmem_tEENKUlT_SL_SM_SN_E_clIS8_S8_S9_S9_EESK_S10_SL_SM_SN_EUlS10_E0_NS1_11comp_targetILNS1_3genE4ELNS1_11target_archE910ELNS1_3gpuE8ELNS1_3repE0EEENS1_38merge_mergepath_config_static_selectorELNS0_4arch9wavefront6targetE1EEEvSM_
; %bb.0:
	.section	.rodata,"a",@progbits
	.p2align	6, 0x0
	.amdhsa_kernel _ZN7rocprim17ROCPRIM_400000_NS6detail17trampoline_kernelINS0_14default_configENS1_38merge_sort_block_merge_config_selectorIlNS0_10empty_typeEEEZZNS1_27merge_sort_block_merge_implIS3_PlPS5_mZN2at6native12_GLOBAL__N_124unique_dim_cuda_templateIjEESt5tupleIJNSA_6TensorESF_SF_EERKSF_lbbbEUlllE_EE10hipError_tT0_T1_T2_jT3_P12ihipStream_tbPNSt15iterator_traitsISL_E10value_typeEPNSR_ISM_E10value_typeEPSN_NS1_7vsmem_tEENKUlT_SL_SM_SN_E_clIS8_S8_S9_S9_EESK_S10_SL_SM_SN_EUlS10_E0_NS1_11comp_targetILNS1_3genE4ELNS1_11target_archE910ELNS1_3gpuE8ELNS1_3repE0EEENS1_38merge_mergepath_config_static_selectorELNS0_4arch9wavefront6targetE1EEEvSM_
		.amdhsa_group_segment_fixed_size 0
		.amdhsa_private_segment_fixed_size 0
		.amdhsa_kernarg_size 88
		.amdhsa_user_sgpr_count 2
		.amdhsa_user_sgpr_dispatch_ptr 0
		.amdhsa_user_sgpr_queue_ptr 0
		.amdhsa_user_sgpr_kernarg_segment_ptr 1
		.amdhsa_user_sgpr_dispatch_id 0
		.amdhsa_user_sgpr_kernarg_preload_length 0
		.amdhsa_user_sgpr_kernarg_preload_offset 0
		.amdhsa_user_sgpr_private_segment_size 0
		.amdhsa_uses_dynamic_stack 0
		.amdhsa_enable_private_segment 0
		.amdhsa_system_sgpr_workgroup_id_x 1
		.amdhsa_system_sgpr_workgroup_id_y 0
		.amdhsa_system_sgpr_workgroup_id_z 0
		.amdhsa_system_sgpr_workgroup_info 0
		.amdhsa_system_vgpr_workitem_id 0
		.amdhsa_next_free_vgpr 1
		.amdhsa_next_free_sgpr 0
		.amdhsa_accum_offset 4
		.amdhsa_reserve_vcc 0
		.amdhsa_float_round_mode_32 0
		.amdhsa_float_round_mode_16_64 0
		.amdhsa_float_denorm_mode_32 3
		.amdhsa_float_denorm_mode_16_64 3
		.amdhsa_dx10_clamp 1
		.amdhsa_ieee_mode 1
		.amdhsa_fp16_overflow 0
		.amdhsa_tg_split 0
		.amdhsa_exception_fp_ieee_invalid_op 0
		.amdhsa_exception_fp_denorm_src 0
		.amdhsa_exception_fp_ieee_div_zero 0
		.amdhsa_exception_fp_ieee_overflow 0
		.amdhsa_exception_fp_ieee_underflow 0
		.amdhsa_exception_fp_ieee_inexact 0
		.amdhsa_exception_int_div_zero 0
	.end_amdhsa_kernel
	.section	.text._ZN7rocprim17ROCPRIM_400000_NS6detail17trampoline_kernelINS0_14default_configENS1_38merge_sort_block_merge_config_selectorIlNS0_10empty_typeEEEZZNS1_27merge_sort_block_merge_implIS3_PlPS5_mZN2at6native12_GLOBAL__N_124unique_dim_cuda_templateIjEESt5tupleIJNSA_6TensorESF_SF_EERKSF_lbbbEUlllE_EE10hipError_tT0_T1_T2_jT3_P12ihipStream_tbPNSt15iterator_traitsISL_E10value_typeEPNSR_ISM_E10value_typeEPSN_NS1_7vsmem_tEENKUlT_SL_SM_SN_E_clIS8_S8_S9_S9_EESK_S10_SL_SM_SN_EUlS10_E0_NS1_11comp_targetILNS1_3genE4ELNS1_11target_archE910ELNS1_3gpuE8ELNS1_3repE0EEENS1_38merge_mergepath_config_static_selectorELNS0_4arch9wavefront6targetE1EEEvSM_,"axG",@progbits,_ZN7rocprim17ROCPRIM_400000_NS6detail17trampoline_kernelINS0_14default_configENS1_38merge_sort_block_merge_config_selectorIlNS0_10empty_typeEEEZZNS1_27merge_sort_block_merge_implIS3_PlPS5_mZN2at6native12_GLOBAL__N_124unique_dim_cuda_templateIjEESt5tupleIJNSA_6TensorESF_SF_EERKSF_lbbbEUlllE_EE10hipError_tT0_T1_T2_jT3_P12ihipStream_tbPNSt15iterator_traitsISL_E10value_typeEPNSR_ISM_E10value_typeEPSN_NS1_7vsmem_tEENKUlT_SL_SM_SN_E_clIS8_S8_S9_S9_EESK_S10_SL_SM_SN_EUlS10_E0_NS1_11comp_targetILNS1_3genE4ELNS1_11target_archE910ELNS1_3gpuE8ELNS1_3repE0EEENS1_38merge_mergepath_config_static_selectorELNS0_4arch9wavefront6targetE1EEEvSM_,comdat
.Lfunc_end1503:
	.size	_ZN7rocprim17ROCPRIM_400000_NS6detail17trampoline_kernelINS0_14default_configENS1_38merge_sort_block_merge_config_selectorIlNS0_10empty_typeEEEZZNS1_27merge_sort_block_merge_implIS3_PlPS5_mZN2at6native12_GLOBAL__N_124unique_dim_cuda_templateIjEESt5tupleIJNSA_6TensorESF_SF_EERKSF_lbbbEUlllE_EE10hipError_tT0_T1_T2_jT3_P12ihipStream_tbPNSt15iterator_traitsISL_E10value_typeEPNSR_ISM_E10value_typeEPSN_NS1_7vsmem_tEENKUlT_SL_SM_SN_E_clIS8_S8_S9_S9_EESK_S10_SL_SM_SN_EUlS10_E0_NS1_11comp_targetILNS1_3genE4ELNS1_11target_archE910ELNS1_3gpuE8ELNS1_3repE0EEENS1_38merge_mergepath_config_static_selectorELNS0_4arch9wavefront6targetE1EEEvSM_, .Lfunc_end1503-_ZN7rocprim17ROCPRIM_400000_NS6detail17trampoline_kernelINS0_14default_configENS1_38merge_sort_block_merge_config_selectorIlNS0_10empty_typeEEEZZNS1_27merge_sort_block_merge_implIS3_PlPS5_mZN2at6native12_GLOBAL__N_124unique_dim_cuda_templateIjEESt5tupleIJNSA_6TensorESF_SF_EERKSF_lbbbEUlllE_EE10hipError_tT0_T1_T2_jT3_P12ihipStream_tbPNSt15iterator_traitsISL_E10value_typeEPNSR_ISM_E10value_typeEPSN_NS1_7vsmem_tEENKUlT_SL_SM_SN_E_clIS8_S8_S9_S9_EESK_S10_SL_SM_SN_EUlS10_E0_NS1_11comp_targetILNS1_3genE4ELNS1_11target_archE910ELNS1_3gpuE8ELNS1_3repE0EEENS1_38merge_mergepath_config_static_selectorELNS0_4arch9wavefront6targetE1EEEvSM_
                                        ; -- End function
	.set _ZN7rocprim17ROCPRIM_400000_NS6detail17trampoline_kernelINS0_14default_configENS1_38merge_sort_block_merge_config_selectorIlNS0_10empty_typeEEEZZNS1_27merge_sort_block_merge_implIS3_PlPS5_mZN2at6native12_GLOBAL__N_124unique_dim_cuda_templateIjEESt5tupleIJNSA_6TensorESF_SF_EERKSF_lbbbEUlllE_EE10hipError_tT0_T1_T2_jT3_P12ihipStream_tbPNSt15iterator_traitsISL_E10value_typeEPNSR_ISM_E10value_typeEPSN_NS1_7vsmem_tEENKUlT_SL_SM_SN_E_clIS8_S8_S9_S9_EESK_S10_SL_SM_SN_EUlS10_E0_NS1_11comp_targetILNS1_3genE4ELNS1_11target_archE910ELNS1_3gpuE8ELNS1_3repE0EEENS1_38merge_mergepath_config_static_selectorELNS0_4arch9wavefront6targetE1EEEvSM_.num_vgpr, 0
	.set _ZN7rocprim17ROCPRIM_400000_NS6detail17trampoline_kernelINS0_14default_configENS1_38merge_sort_block_merge_config_selectorIlNS0_10empty_typeEEEZZNS1_27merge_sort_block_merge_implIS3_PlPS5_mZN2at6native12_GLOBAL__N_124unique_dim_cuda_templateIjEESt5tupleIJNSA_6TensorESF_SF_EERKSF_lbbbEUlllE_EE10hipError_tT0_T1_T2_jT3_P12ihipStream_tbPNSt15iterator_traitsISL_E10value_typeEPNSR_ISM_E10value_typeEPSN_NS1_7vsmem_tEENKUlT_SL_SM_SN_E_clIS8_S8_S9_S9_EESK_S10_SL_SM_SN_EUlS10_E0_NS1_11comp_targetILNS1_3genE4ELNS1_11target_archE910ELNS1_3gpuE8ELNS1_3repE0EEENS1_38merge_mergepath_config_static_selectorELNS0_4arch9wavefront6targetE1EEEvSM_.num_agpr, 0
	.set _ZN7rocprim17ROCPRIM_400000_NS6detail17trampoline_kernelINS0_14default_configENS1_38merge_sort_block_merge_config_selectorIlNS0_10empty_typeEEEZZNS1_27merge_sort_block_merge_implIS3_PlPS5_mZN2at6native12_GLOBAL__N_124unique_dim_cuda_templateIjEESt5tupleIJNSA_6TensorESF_SF_EERKSF_lbbbEUlllE_EE10hipError_tT0_T1_T2_jT3_P12ihipStream_tbPNSt15iterator_traitsISL_E10value_typeEPNSR_ISM_E10value_typeEPSN_NS1_7vsmem_tEENKUlT_SL_SM_SN_E_clIS8_S8_S9_S9_EESK_S10_SL_SM_SN_EUlS10_E0_NS1_11comp_targetILNS1_3genE4ELNS1_11target_archE910ELNS1_3gpuE8ELNS1_3repE0EEENS1_38merge_mergepath_config_static_selectorELNS0_4arch9wavefront6targetE1EEEvSM_.numbered_sgpr, 0
	.set _ZN7rocprim17ROCPRIM_400000_NS6detail17trampoline_kernelINS0_14default_configENS1_38merge_sort_block_merge_config_selectorIlNS0_10empty_typeEEEZZNS1_27merge_sort_block_merge_implIS3_PlPS5_mZN2at6native12_GLOBAL__N_124unique_dim_cuda_templateIjEESt5tupleIJNSA_6TensorESF_SF_EERKSF_lbbbEUlllE_EE10hipError_tT0_T1_T2_jT3_P12ihipStream_tbPNSt15iterator_traitsISL_E10value_typeEPNSR_ISM_E10value_typeEPSN_NS1_7vsmem_tEENKUlT_SL_SM_SN_E_clIS8_S8_S9_S9_EESK_S10_SL_SM_SN_EUlS10_E0_NS1_11comp_targetILNS1_3genE4ELNS1_11target_archE910ELNS1_3gpuE8ELNS1_3repE0EEENS1_38merge_mergepath_config_static_selectorELNS0_4arch9wavefront6targetE1EEEvSM_.num_named_barrier, 0
	.set _ZN7rocprim17ROCPRIM_400000_NS6detail17trampoline_kernelINS0_14default_configENS1_38merge_sort_block_merge_config_selectorIlNS0_10empty_typeEEEZZNS1_27merge_sort_block_merge_implIS3_PlPS5_mZN2at6native12_GLOBAL__N_124unique_dim_cuda_templateIjEESt5tupleIJNSA_6TensorESF_SF_EERKSF_lbbbEUlllE_EE10hipError_tT0_T1_T2_jT3_P12ihipStream_tbPNSt15iterator_traitsISL_E10value_typeEPNSR_ISM_E10value_typeEPSN_NS1_7vsmem_tEENKUlT_SL_SM_SN_E_clIS8_S8_S9_S9_EESK_S10_SL_SM_SN_EUlS10_E0_NS1_11comp_targetILNS1_3genE4ELNS1_11target_archE910ELNS1_3gpuE8ELNS1_3repE0EEENS1_38merge_mergepath_config_static_selectorELNS0_4arch9wavefront6targetE1EEEvSM_.private_seg_size, 0
	.set _ZN7rocprim17ROCPRIM_400000_NS6detail17trampoline_kernelINS0_14default_configENS1_38merge_sort_block_merge_config_selectorIlNS0_10empty_typeEEEZZNS1_27merge_sort_block_merge_implIS3_PlPS5_mZN2at6native12_GLOBAL__N_124unique_dim_cuda_templateIjEESt5tupleIJNSA_6TensorESF_SF_EERKSF_lbbbEUlllE_EE10hipError_tT0_T1_T2_jT3_P12ihipStream_tbPNSt15iterator_traitsISL_E10value_typeEPNSR_ISM_E10value_typeEPSN_NS1_7vsmem_tEENKUlT_SL_SM_SN_E_clIS8_S8_S9_S9_EESK_S10_SL_SM_SN_EUlS10_E0_NS1_11comp_targetILNS1_3genE4ELNS1_11target_archE910ELNS1_3gpuE8ELNS1_3repE0EEENS1_38merge_mergepath_config_static_selectorELNS0_4arch9wavefront6targetE1EEEvSM_.uses_vcc, 0
	.set _ZN7rocprim17ROCPRIM_400000_NS6detail17trampoline_kernelINS0_14default_configENS1_38merge_sort_block_merge_config_selectorIlNS0_10empty_typeEEEZZNS1_27merge_sort_block_merge_implIS3_PlPS5_mZN2at6native12_GLOBAL__N_124unique_dim_cuda_templateIjEESt5tupleIJNSA_6TensorESF_SF_EERKSF_lbbbEUlllE_EE10hipError_tT0_T1_T2_jT3_P12ihipStream_tbPNSt15iterator_traitsISL_E10value_typeEPNSR_ISM_E10value_typeEPSN_NS1_7vsmem_tEENKUlT_SL_SM_SN_E_clIS8_S8_S9_S9_EESK_S10_SL_SM_SN_EUlS10_E0_NS1_11comp_targetILNS1_3genE4ELNS1_11target_archE910ELNS1_3gpuE8ELNS1_3repE0EEENS1_38merge_mergepath_config_static_selectorELNS0_4arch9wavefront6targetE1EEEvSM_.uses_flat_scratch, 0
	.set _ZN7rocprim17ROCPRIM_400000_NS6detail17trampoline_kernelINS0_14default_configENS1_38merge_sort_block_merge_config_selectorIlNS0_10empty_typeEEEZZNS1_27merge_sort_block_merge_implIS3_PlPS5_mZN2at6native12_GLOBAL__N_124unique_dim_cuda_templateIjEESt5tupleIJNSA_6TensorESF_SF_EERKSF_lbbbEUlllE_EE10hipError_tT0_T1_T2_jT3_P12ihipStream_tbPNSt15iterator_traitsISL_E10value_typeEPNSR_ISM_E10value_typeEPSN_NS1_7vsmem_tEENKUlT_SL_SM_SN_E_clIS8_S8_S9_S9_EESK_S10_SL_SM_SN_EUlS10_E0_NS1_11comp_targetILNS1_3genE4ELNS1_11target_archE910ELNS1_3gpuE8ELNS1_3repE0EEENS1_38merge_mergepath_config_static_selectorELNS0_4arch9wavefront6targetE1EEEvSM_.has_dyn_sized_stack, 0
	.set _ZN7rocprim17ROCPRIM_400000_NS6detail17trampoline_kernelINS0_14default_configENS1_38merge_sort_block_merge_config_selectorIlNS0_10empty_typeEEEZZNS1_27merge_sort_block_merge_implIS3_PlPS5_mZN2at6native12_GLOBAL__N_124unique_dim_cuda_templateIjEESt5tupleIJNSA_6TensorESF_SF_EERKSF_lbbbEUlllE_EE10hipError_tT0_T1_T2_jT3_P12ihipStream_tbPNSt15iterator_traitsISL_E10value_typeEPNSR_ISM_E10value_typeEPSN_NS1_7vsmem_tEENKUlT_SL_SM_SN_E_clIS8_S8_S9_S9_EESK_S10_SL_SM_SN_EUlS10_E0_NS1_11comp_targetILNS1_3genE4ELNS1_11target_archE910ELNS1_3gpuE8ELNS1_3repE0EEENS1_38merge_mergepath_config_static_selectorELNS0_4arch9wavefront6targetE1EEEvSM_.has_recursion, 0
	.set _ZN7rocprim17ROCPRIM_400000_NS6detail17trampoline_kernelINS0_14default_configENS1_38merge_sort_block_merge_config_selectorIlNS0_10empty_typeEEEZZNS1_27merge_sort_block_merge_implIS3_PlPS5_mZN2at6native12_GLOBAL__N_124unique_dim_cuda_templateIjEESt5tupleIJNSA_6TensorESF_SF_EERKSF_lbbbEUlllE_EE10hipError_tT0_T1_T2_jT3_P12ihipStream_tbPNSt15iterator_traitsISL_E10value_typeEPNSR_ISM_E10value_typeEPSN_NS1_7vsmem_tEENKUlT_SL_SM_SN_E_clIS8_S8_S9_S9_EESK_S10_SL_SM_SN_EUlS10_E0_NS1_11comp_targetILNS1_3genE4ELNS1_11target_archE910ELNS1_3gpuE8ELNS1_3repE0EEENS1_38merge_mergepath_config_static_selectorELNS0_4arch9wavefront6targetE1EEEvSM_.has_indirect_call, 0
	.section	.AMDGPU.csdata,"",@progbits
; Kernel info:
; codeLenInByte = 0
; TotalNumSgprs: 6
; NumVgprs: 0
; NumAgprs: 0
; TotalNumVgprs: 0
; ScratchSize: 0
; MemoryBound: 0
; FloatMode: 240
; IeeeMode: 1
; LDSByteSize: 0 bytes/workgroup (compile time only)
; SGPRBlocks: 0
; VGPRBlocks: 0
; NumSGPRsForWavesPerEU: 6
; NumVGPRsForWavesPerEU: 1
; AccumOffset: 4
; Occupancy: 8
; WaveLimiterHint : 0
; COMPUTE_PGM_RSRC2:SCRATCH_EN: 0
; COMPUTE_PGM_RSRC2:USER_SGPR: 2
; COMPUTE_PGM_RSRC2:TRAP_HANDLER: 0
; COMPUTE_PGM_RSRC2:TGID_X_EN: 1
; COMPUTE_PGM_RSRC2:TGID_Y_EN: 0
; COMPUTE_PGM_RSRC2:TGID_Z_EN: 0
; COMPUTE_PGM_RSRC2:TIDIG_COMP_CNT: 0
; COMPUTE_PGM_RSRC3_GFX90A:ACCUM_OFFSET: 0
; COMPUTE_PGM_RSRC3_GFX90A:TG_SPLIT: 0
	.section	.text._ZN7rocprim17ROCPRIM_400000_NS6detail17trampoline_kernelINS0_14default_configENS1_38merge_sort_block_merge_config_selectorIlNS0_10empty_typeEEEZZNS1_27merge_sort_block_merge_implIS3_PlPS5_mZN2at6native12_GLOBAL__N_124unique_dim_cuda_templateIjEESt5tupleIJNSA_6TensorESF_SF_EERKSF_lbbbEUlllE_EE10hipError_tT0_T1_T2_jT3_P12ihipStream_tbPNSt15iterator_traitsISL_E10value_typeEPNSR_ISM_E10value_typeEPSN_NS1_7vsmem_tEENKUlT_SL_SM_SN_E_clIS8_S8_S9_S9_EESK_S10_SL_SM_SN_EUlS10_E0_NS1_11comp_targetILNS1_3genE3ELNS1_11target_archE908ELNS1_3gpuE7ELNS1_3repE0EEENS1_38merge_mergepath_config_static_selectorELNS0_4arch9wavefront6targetE1EEEvSM_,"axG",@progbits,_ZN7rocprim17ROCPRIM_400000_NS6detail17trampoline_kernelINS0_14default_configENS1_38merge_sort_block_merge_config_selectorIlNS0_10empty_typeEEEZZNS1_27merge_sort_block_merge_implIS3_PlPS5_mZN2at6native12_GLOBAL__N_124unique_dim_cuda_templateIjEESt5tupleIJNSA_6TensorESF_SF_EERKSF_lbbbEUlllE_EE10hipError_tT0_T1_T2_jT3_P12ihipStream_tbPNSt15iterator_traitsISL_E10value_typeEPNSR_ISM_E10value_typeEPSN_NS1_7vsmem_tEENKUlT_SL_SM_SN_E_clIS8_S8_S9_S9_EESK_S10_SL_SM_SN_EUlS10_E0_NS1_11comp_targetILNS1_3genE3ELNS1_11target_archE908ELNS1_3gpuE7ELNS1_3repE0EEENS1_38merge_mergepath_config_static_selectorELNS0_4arch9wavefront6targetE1EEEvSM_,comdat
	.globl	_ZN7rocprim17ROCPRIM_400000_NS6detail17trampoline_kernelINS0_14default_configENS1_38merge_sort_block_merge_config_selectorIlNS0_10empty_typeEEEZZNS1_27merge_sort_block_merge_implIS3_PlPS5_mZN2at6native12_GLOBAL__N_124unique_dim_cuda_templateIjEESt5tupleIJNSA_6TensorESF_SF_EERKSF_lbbbEUlllE_EE10hipError_tT0_T1_T2_jT3_P12ihipStream_tbPNSt15iterator_traitsISL_E10value_typeEPNSR_ISM_E10value_typeEPSN_NS1_7vsmem_tEENKUlT_SL_SM_SN_E_clIS8_S8_S9_S9_EESK_S10_SL_SM_SN_EUlS10_E0_NS1_11comp_targetILNS1_3genE3ELNS1_11target_archE908ELNS1_3gpuE7ELNS1_3repE0EEENS1_38merge_mergepath_config_static_selectorELNS0_4arch9wavefront6targetE1EEEvSM_ ; -- Begin function _ZN7rocprim17ROCPRIM_400000_NS6detail17trampoline_kernelINS0_14default_configENS1_38merge_sort_block_merge_config_selectorIlNS0_10empty_typeEEEZZNS1_27merge_sort_block_merge_implIS3_PlPS5_mZN2at6native12_GLOBAL__N_124unique_dim_cuda_templateIjEESt5tupleIJNSA_6TensorESF_SF_EERKSF_lbbbEUlllE_EE10hipError_tT0_T1_T2_jT3_P12ihipStream_tbPNSt15iterator_traitsISL_E10value_typeEPNSR_ISM_E10value_typeEPSN_NS1_7vsmem_tEENKUlT_SL_SM_SN_E_clIS8_S8_S9_S9_EESK_S10_SL_SM_SN_EUlS10_E0_NS1_11comp_targetILNS1_3genE3ELNS1_11target_archE908ELNS1_3gpuE7ELNS1_3repE0EEENS1_38merge_mergepath_config_static_selectorELNS0_4arch9wavefront6targetE1EEEvSM_
	.p2align	8
	.type	_ZN7rocprim17ROCPRIM_400000_NS6detail17trampoline_kernelINS0_14default_configENS1_38merge_sort_block_merge_config_selectorIlNS0_10empty_typeEEEZZNS1_27merge_sort_block_merge_implIS3_PlPS5_mZN2at6native12_GLOBAL__N_124unique_dim_cuda_templateIjEESt5tupleIJNSA_6TensorESF_SF_EERKSF_lbbbEUlllE_EE10hipError_tT0_T1_T2_jT3_P12ihipStream_tbPNSt15iterator_traitsISL_E10value_typeEPNSR_ISM_E10value_typeEPSN_NS1_7vsmem_tEENKUlT_SL_SM_SN_E_clIS8_S8_S9_S9_EESK_S10_SL_SM_SN_EUlS10_E0_NS1_11comp_targetILNS1_3genE3ELNS1_11target_archE908ELNS1_3gpuE7ELNS1_3repE0EEENS1_38merge_mergepath_config_static_selectorELNS0_4arch9wavefront6targetE1EEEvSM_,@function
_ZN7rocprim17ROCPRIM_400000_NS6detail17trampoline_kernelINS0_14default_configENS1_38merge_sort_block_merge_config_selectorIlNS0_10empty_typeEEEZZNS1_27merge_sort_block_merge_implIS3_PlPS5_mZN2at6native12_GLOBAL__N_124unique_dim_cuda_templateIjEESt5tupleIJNSA_6TensorESF_SF_EERKSF_lbbbEUlllE_EE10hipError_tT0_T1_T2_jT3_P12ihipStream_tbPNSt15iterator_traitsISL_E10value_typeEPNSR_ISM_E10value_typeEPSN_NS1_7vsmem_tEENKUlT_SL_SM_SN_E_clIS8_S8_S9_S9_EESK_S10_SL_SM_SN_EUlS10_E0_NS1_11comp_targetILNS1_3genE3ELNS1_11target_archE908ELNS1_3gpuE7ELNS1_3repE0EEENS1_38merge_mergepath_config_static_selectorELNS0_4arch9wavefront6targetE1EEEvSM_: ; @_ZN7rocprim17ROCPRIM_400000_NS6detail17trampoline_kernelINS0_14default_configENS1_38merge_sort_block_merge_config_selectorIlNS0_10empty_typeEEEZZNS1_27merge_sort_block_merge_implIS3_PlPS5_mZN2at6native12_GLOBAL__N_124unique_dim_cuda_templateIjEESt5tupleIJNSA_6TensorESF_SF_EERKSF_lbbbEUlllE_EE10hipError_tT0_T1_T2_jT3_P12ihipStream_tbPNSt15iterator_traitsISL_E10value_typeEPNSR_ISM_E10value_typeEPSN_NS1_7vsmem_tEENKUlT_SL_SM_SN_E_clIS8_S8_S9_S9_EESK_S10_SL_SM_SN_EUlS10_E0_NS1_11comp_targetILNS1_3genE3ELNS1_11target_archE908ELNS1_3gpuE7ELNS1_3repE0EEENS1_38merge_mergepath_config_static_selectorELNS0_4arch9wavefront6targetE1EEEvSM_
; %bb.0:
	.section	.rodata,"a",@progbits
	.p2align	6, 0x0
	.amdhsa_kernel _ZN7rocprim17ROCPRIM_400000_NS6detail17trampoline_kernelINS0_14default_configENS1_38merge_sort_block_merge_config_selectorIlNS0_10empty_typeEEEZZNS1_27merge_sort_block_merge_implIS3_PlPS5_mZN2at6native12_GLOBAL__N_124unique_dim_cuda_templateIjEESt5tupleIJNSA_6TensorESF_SF_EERKSF_lbbbEUlllE_EE10hipError_tT0_T1_T2_jT3_P12ihipStream_tbPNSt15iterator_traitsISL_E10value_typeEPNSR_ISM_E10value_typeEPSN_NS1_7vsmem_tEENKUlT_SL_SM_SN_E_clIS8_S8_S9_S9_EESK_S10_SL_SM_SN_EUlS10_E0_NS1_11comp_targetILNS1_3genE3ELNS1_11target_archE908ELNS1_3gpuE7ELNS1_3repE0EEENS1_38merge_mergepath_config_static_selectorELNS0_4arch9wavefront6targetE1EEEvSM_
		.amdhsa_group_segment_fixed_size 0
		.amdhsa_private_segment_fixed_size 0
		.amdhsa_kernarg_size 88
		.amdhsa_user_sgpr_count 2
		.amdhsa_user_sgpr_dispatch_ptr 0
		.amdhsa_user_sgpr_queue_ptr 0
		.amdhsa_user_sgpr_kernarg_segment_ptr 1
		.amdhsa_user_sgpr_dispatch_id 0
		.amdhsa_user_sgpr_kernarg_preload_length 0
		.amdhsa_user_sgpr_kernarg_preload_offset 0
		.amdhsa_user_sgpr_private_segment_size 0
		.amdhsa_uses_dynamic_stack 0
		.amdhsa_enable_private_segment 0
		.amdhsa_system_sgpr_workgroup_id_x 1
		.amdhsa_system_sgpr_workgroup_id_y 0
		.amdhsa_system_sgpr_workgroup_id_z 0
		.amdhsa_system_sgpr_workgroup_info 0
		.amdhsa_system_vgpr_workitem_id 0
		.amdhsa_next_free_vgpr 1
		.amdhsa_next_free_sgpr 0
		.amdhsa_accum_offset 4
		.amdhsa_reserve_vcc 0
		.amdhsa_float_round_mode_32 0
		.amdhsa_float_round_mode_16_64 0
		.amdhsa_float_denorm_mode_32 3
		.amdhsa_float_denorm_mode_16_64 3
		.amdhsa_dx10_clamp 1
		.amdhsa_ieee_mode 1
		.amdhsa_fp16_overflow 0
		.amdhsa_tg_split 0
		.amdhsa_exception_fp_ieee_invalid_op 0
		.amdhsa_exception_fp_denorm_src 0
		.amdhsa_exception_fp_ieee_div_zero 0
		.amdhsa_exception_fp_ieee_overflow 0
		.amdhsa_exception_fp_ieee_underflow 0
		.amdhsa_exception_fp_ieee_inexact 0
		.amdhsa_exception_int_div_zero 0
	.end_amdhsa_kernel
	.section	.text._ZN7rocprim17ROCPRIM_400000_NS6detail17trampoline_kernelINS0_14default_configENS1_38merge_sort_block_merge_config_selectorIlNS0_10empty_typeEEEZZNS1_27merge_sort_block_merge_implIS3_PlPS5_mZN2at6native12_GLOBAL__N_124unique_dim_cuda_templateIjEESt5tupleIJNSA_6TensorESF_SF_EERKSF_lbbbEUlllE_EE10hipError_tT0_T1_T2_jT3_P12ihipStream_tbPNSt15iterator_traitsISL_E10value_typeEPNSR_ISM_E10value_typeEPSN_NS1_7vsmem_tEENKUlT_SL_SM_SN_E_clIS8_S8_S9_S9_EESK_S10_SL_SM_SN_EUlS10_E0_NS1_11comp_targetILNS1_3genE3ELNS1_11target_archE908ELNS1_3gpuE7ELNS1_3repE0EEENS1_38merge_mergepath_config_static_selectorELNS0_4arch9wavefront6targetE1EEEvSM_,"axG",@progbits,_ZN7rocprim17ROCPRIM_400000_NS6detail17trampoline_kernelINS0_14default_configENS1_38merge_sort_block_merge_config_selectorIlNS0_10empty_typeEEEZZNS1_27merge_sort_block_merge_implIS3_PlPS5_mZN2at6native12_GLOBAL__N_124unique_dim_cuda_templateIjEESt5tupleIJNSA_6TensorESF_SF_EERKSF_lbbbEUlllE_EE10hipError_tT0_T1_T2_jT3_P12ihipStream_tbPNSt15iterator_traitsISL_E10value_typeEPNSR_ISM_E10value_typeEPSN_NS1_7vsmem_tEENKUlT_SL_SM_SN_E_clIS8_S8_S9_S9_EESK_S10_SL_SM_SN_EUlS10_E0_NS1_11comp_targetILNS1_3genE3ELNS1_11target_archE908ELNS1_3gpuE7ELNS1_3repE0EEENS1_38merge_mergepath_config_static_selectorELNS0_4arch9wavefront6targetE1EEEvSM_,comdat
.Lfunc_end1504:
	.size	_ZN7rocprim17ROCPRIM_400000_NS6detail17trampoline_kernelINS0_14default_configENS1_38merge_sort_block_merge_config_selectorIlNS0_10empty_typeEEEZZNS1_27merge_sort_block_merge_implIS3_PlPS5_mZN2at6native12_GLOBAL__N_124unique_dim_cuda_templateIjEESt5tupleIJNSA_6TensorESF_SF_EERKSF_lbbbEUlllE_EE10hipError_tT0_T1_T2_jT3_P12ihipStream_tbPNSt15iterator_traitsISL_E10value_typeEPNSR_ISM_E10value_typeEPSN_NS1_7vsmem_tEENKUlT_SL_SM_SN_E_clIS8_S8_S9_S9_EESK_S10_SL_SM_SN_EUlS10_E0_NS1_11comp_targetILNS1_3genE3ELNS1_11target_archE908ELNS1_3gpuE7ELNS1_3repE0EEENS1_38merge_mergepath_config_static_selectorELNS0_4arch9wavefront6targetE1EEEvSM_, .Lfunc_end1504-_ZN7rocprim17ROCPRIM_400000_NS6detail17trampoline_kernelINS0_14default_configENS1_38merge_sort_block_merge_config_selectorIlNS0_10empty_typeEEEZZNS1_27merge_sort_block_merge_implIS3_PlPS5_mZN2at6native12_GLOBAL__N_124unique_dim_cuda_templateIjEESt5tupleIJNSA_6TensorESF_SF_EERKSF_lbbbEUlllE_EE10hipError_tT0_T1_T2_jT3_P12ihipStream_tbPNSt15iterator_traitsISL_E10value_typeEPNSR_ISM_E10value_typeEPSN_NS1_7vsmem_tEENKUlT_SL_SM_SN_E_clIS8_S8_S9_S9_EESK_S10_SL_SM_SN_EUlS10_E0_NS1_11comp_targetILNS1_3genE3ELNS1_11target_archE908ELNS1_3gpuE7ELNS1_3repE0EEENS1_38merge_mergepath_config_static_selectorELNS0_4arch9wavefront6targetE1EEEvSM_
                                        ; -- End function
	.set _ZN7rocprim17ROCPRIM_400000_NS6detail17trampoline_kernelINS0_14default_configENS1_38merge_sort_block_merge_config_selectorIlNS0_10empty_typeEEEZZNS1_27merge_sort_block_merge_implIS3_PlPS5_mZN2at6native12_GLOBAL__N_124unique_dim_cuda_templateIjEESt5tupleIJNSA_6TensorESF_SF_EERKSF_lbbbEUlllE_EE10hipError_tT0_T1_T2_jT3_P12ihipStream_tbPNSt15iterator_traitsISL_E10value_typeEPNSR_ISM_E10value_typeEPSN_NS1_7vsmem_tEENKUlT_SL_SM_SN_E_clIS8_S8_S9_S9_EESK_S10_SL_SM_SN_EUlS10_E0_NS1_11comp_targetILNS1_3genE3ELNS1_11target_archE908ELNS1_3gpuE7ELNS1_3repE0EEENS1_38merge_mergepath_config_static_selectorELNS0_4arch9wavefront6targetE1EEEvSM_.num_vgpr, 0
	.set _ZN7rocprim17ROCPRIM_400000_NS6detail17trampoline_kernelINS0_14default_configENS1_38merge_sort_block_merge_config_selectorIlNS0_10empty_typeEEEZZNS1_27merge_sort_block_merge_implIS3_PlPS5_mZN2at6native12_GLOBAL__N_124unique_dim_cuda_templateIjEESt5tupleIJNSA_6TensorESF_SF_EERKSF_lbbbEUlllE_EE10hipError_tT0_T1_T2_jT3_P12ihipStream_tbPNSt15iterator_traitsISL_E10value_typeEPNSR_ISM_E10value_typeEPSN_NS1_7vsmem_tEENKUlT_SL_SM_SN_E_clIS8_S8_S9_S9_EESK_S10_SL_SM_SN_EUlS10_E0_NS1_11comp_targetILNS1_3genE3ELNS1_11target_archE908ELNS1_3gpuE7ELNS1_3repE0EEENS1_38merge_mergepath_config_static_selectorELNS0_4arch9wavefront6targetE1EEEvSM_.num_agpr, 0
	.set _ZN7rocprim17ROCPRIM_400000_NS6detail17trampoline_kernelINS0_14default_configENS1_38merge_sort_block_merge_config_selectorIlNS0_10empty_typeEEEZZNS1_27merge_sort_block_merge_implIS3_PlPS5_mZN2at6native12_GLOBAL__N_124unique_dim_cuda_templateIjEESt5tupleIJNSA_6TensorESF_SF_EERKSF_lbbbEUlllE_EE10hipError_tT0_T1_T2_jT3_P12ihipStream_tbPNSt15iterator_traitsISL_E10value_typeEPNSR_ISM_E10value_typeEPSN_NS1_7vsmem_tEENKUlT_SL_SM_SN_E_clIS8_S8_S9_S9_EESK_S10_SL_SM_SN_EUlS10_E0_NS1_11comp_targetILNS1_3genE3ELNS1_11target_archE908ELNS1_3gpuE7ELNS1_3repE0EEENS1_38merge_mergepath_config_static_selectorELNS0_4arch9wavefront6targetE1EEEvSM_.numbered_sgpr, 0
	.set _ZN7rocprim17ROCPRIM_400000_NS6detail17trampoline_kernelINS0_14default_configENS1_38merge_sort_block_merge_config_selectorIlNS0_10empty_typeEEEZZNS1_27merge_sort_block_merge_implIS3_PlPS5_mZN2at6native12_GLOBAL__N_124unique_dim_cuda_templateIjEESt5tupleIJNSA_6TensorESF_SF_EERKSF_lbbbEUlllE_EE10hipError_tT0_T1_T2_jT3_P12ihipStream_tbPNSt15iterator_traitsISL_E10value_typeEPNSR_ISM_E10value_typeEPSN_NS1_7vsmem_tEENKUlT_SL_SM_SN_E_clIS8_S8_S9_S9_EESK_S10_SL_SM_SN_EUlS10_E0_NS1_11comp_targetILNS1_3genE3ELNS1_11target_archE908ELNS1_3gpuE7ELNS1_3repE0EEENS1_38merge_mergepath_config_static_selectorELNS0_4arch9wavefront6targetE1EEEvSM_.num_named_barrier, 0
	.set _ZN7rocprim17ROCPRIM_400000_NS6detail17trampoline_kernelINS0_14default_configENS1_38merge_sort_block_merge_config_selectorIlNS0_10empty_typeEEEZZNS1_27merge_sort_block_merge_implIS3_PlPS5_mZN2at6native12_GLOBAL__N_124unique_dim_cuda_templateIjEESt5tupleIJNSA_6TensorESF_SF_EERKSF_lbbbEUlllE_EE10hipError_tT0_T1_T2_jT3_P12ihipStream_tbPNSt15iterator_traitsISL_E10value_typeEPNSR_ISM_E10value_typeEPSN_NS1_7vsmem_tEENKUlT_SL_SM_SN_E_clIS8_S8_S9_S9_EESK_S10_SL_SM_SN_EUlS10_E0_NS1_11comp_targetILNS1_3genE3ELNS1_11target_archE908ELNS1_3gpuE7ELNS1_3repE0EEENS1_38merge_mergepath_config_static_selectorELNS0_4arch9wavefront6targetE1EEEvSM_.private_seg_size, 0
	.set _ZN7rocprim17ROCPRIM_400000_NS6detail17trampoline_kernelINS0_14default_configENS1_38merge_sort_block_merge_config_selectorIlNS0_10empty_typeEEEZZNS1_27merge_sort_block_merge_implIS3_PlPS5_mZN2at6native12_GLOBAL__N_124unique_dim_cuda_templateIjEESt5tupleIJNSA_6TensorESF_SF_EERKSF_lbbbEUlllE_EE10hipError_tT0_T1_T2_jT3_P12ihipStream_tbPNSt15iterator_traitsISL_E10value_typeEPNSR_ISM_E10value_typeEPSN_NS1_7vsmem_tEENKUlT_SL_SM_SN_E_clIS8_S8_S9_S9_EESK_S10_SL_SM_SN_EUlS10_E0_NS1_11comp_targetILNS1_3genE3ELNS1_11target_archE908ELNS1_3gpuE7ELNS1_3repE0EEENS1_38merge_mergepath_config_static_selectorELNS0_4arch9wavefront6targetE1EEEvSM_.uses_vcc, 0
	.set _ZN7rocprim17ROCPRIM_400000_NS6detail17trampoline_kernelINS0_14default_configENS1_38merge_sort_block_merge_config_selectorIlNS0_10empty_typeEEEZZNS1_27merge_sort_block_merge_implIS3_PlPS5_mZN2at6native12_GLOBAL__N_124unique_dim_cuda_templateIjEESt5tupleIJNSA_6TensorESF_SF_EERKSF_lbbbEUlllE_EE10hipError_tT0_T1_T2_jT3_P12ihipStream_tbPNSt15iterator_traitsISL_E10value_typeEPNSR_ISM_E10value_typeEPSN_NS1_7vsmem_tEENKUlT_SL_SM_SN_E_clIS8_S8_S9_S9_EESK_S10_SL_SM_SN_EUlS10_E0_NS1_11comp_targetILNS1_3genE3ELNS1_11target_archE908ELNS1_3gpuE7ELNS1_3repE0EEENS1_38merge_mergepath_config_static_selectorELNS0_4arch9wavefront6targetE1EEEvSM_.uses_flat_scratch, 0
	.set _ZN7rocprim17ROCPRIM_400000_NS6detail17trampoline_kernelINS0_14default_configENS1_38merge_sort_block_merge_config_selectorIlNS0_10empty_typeEEEZZNS1_27merge_sort_block_merge_implIS3_PlPS5_mZN2at6native12_GLOBAL__N_124unique_dim_cuda_templateIjEESt5tupleIJNSA_6TensorESF_SF_EERKSF_lbbbEUlllE_EE10hipError_tT0_T1_T2_jT3_P12ihipStream_tbPNSt15iterator_traitsISL_E10value_typeEPNSR_ISM_E10value_typeEPSN_NS1_7vsmem_tEENKUlT_SL_SM_SN_E_clIS8_S8_S9_S9_EESK_S10_SL_SM_SN_EUlS10_E0_NS1_11comp_targetILNS1_3genE3ELNS1_11target_archE908ELNS1_3gpuE7ELNS1_3repE0EEENS1_38merge_mergepath_config_static_selectorELNS0_4arch9wavefront6targetE1EEEvSM_.has_dyn_sized_stack, 0
	.set _ZN7rocprim17ROCPRIM_400000_NS6detail17trampoline_kernelINS0_14default_configENS1_38merge_sort_block_merge_config_selectorIlNS0_10empty_typeEEEZZNS1_27merge_sort_block_merge_implIS3_PlPS5_mZN2at6native12_GLOBAL__N_124unique_dim_cuda_templateIjEESt5tupleIJNSA_6TensorESF_SF_EERKSF_lbbbEUlllE_EE10hipError_tT0_T1_T2_jT3_P12ihipStream_tbPNSt15iterator_traitsISL_E10value_typeEPNSR_ISM_E10value_typeEPSN_NS1_7vsmem_tEENKUlT_SL_SM_SN_E_clIS8_S8_S9_S9_EESK_S10_SL_SM_SN_EUlS10_E0_NS1_11comp_targetILNS1_3genE3ELNS1_11target_archE908ELNS1_3gpuE7ELNS1_3repE0EEENS1_38merge_mergepath_config_static_selectorELNS0_4arch9wavefront6targetE1EEEvSM_.has_recursion, 0
	.set _ZN7rocprim17ROCPRIM_400000_NS6detail17trampoline_kernelINS0_14default_configENS1_38merge_sort_block_merge_config_selectorIlNS0_10empty_typeEEEZZNS1_27merge_sort_block_merge_implIS3_PlPS5_mZN2at6native12_GLOBAL__N_124unique_dim_cuda_templateIjEESt5tupleIJNSA_6TensorESF_SF_EERKSF_lbbbEUlllE_EE10hipError_tT0_T1_T2_jT3_P12ihipStream_tbPNSt15iterator_traitsISL_E10value_typeEPNSR_ISM_E10value_typeEPSN_NS1_7vsmem_tEENKUlT_SL_SM_SN_E_clIS8_S8_S9_S9_EESK_S10_SL_SM_SN_EUlS10_E0_NS1_11comp_targetILNS1_3genE3ELNS1_11target_archE908ELNS1_3gpuE7ELNS1_3repE0EEENS1_38merge_mergepath_config_static_selectorELNS0_4arch9wavefront6targetE1EEEvSM_.has_indirect_call, 0
	.section	.AMDGPU.csdata,"",@progbits
; Kernel info:
; codeLenInByte = 0
; TotalNumSgprs: 6
; NumVgprs: 0
; NumAgprs: 0
; TotalNumVgprs: 0
; ScratchSize: 0
; MemoryBound: 0
; FloatMode: 240
; IeeeMode: 1
; LDSByteSize: 0 bytes/workgroup (compile time only)
; SGPRBlocks: 0
; VGPRBlocks: 0
; NumSGPRsForWavesPerEU: 6
; NumVGPRsForWavesPerEU: 1
; AccumOffset: 4
; Occupancy: 8
; WaveLimiterHint : 0
; COMPUTE_PGM_RSRC2:SCRATCH_EN: 0
; COMPUTE_PGM_RSRC2:USER_SGPR: 2
; COMPUTE_PGM_RSRC2:TRAP_HANDLER: 0
; COMPUTE_PGM_RSRC2:TGID_X_EN: 1
; COMPUTE_PGM_RSRC2:TGID_Y_EN: 0
; COMPUTE_PGM_RSRC2:TGID_Z_EN: 0
; COMPUTE_PGM_RSRC2:TIDIG_COMP_CNT: 0
; COMPUTE_PGM_RSRC3_GFX90A:ACCUM_OFFSET: 0
; COMPUTE_PGM_RSRC3_GFX90A:TG_SPLIT: 0
	.section	.text._ZN7rocprim17ROCPRIM_400000_NS6detail17trampoline_kernelINS0_14default_configENS1_38merge_sort_block_merge_config_selectorIlNS0_10empty_typeEEEZZNS1_27merge_sort_block_merge_implIS3_PlPS5_mZN2at6native12_GLOBAL__N_124unique_dim_cuda_templateIjEESt5tupleIJNSA_6TensorESF_SF_EERKSF_lbbbEUlllE_EE10hipError_tT0_T1_T2_jT3_P12ihipStream_tbPNSt15iterator_traitsISL_E10value_typeEPNSR_ISM_E10value_typeEPSN_NS1_7vsmem_tEENKUlT_SL_SM_SN_E_clIS8_S8_S9_S9_EESK_S10_SL_SM_SN_EUlS10_E0_NS1_11comp_targetILNS1_3genE2ELNS1_11target_archE906ELNS1_3gpuE6ELNS1_3repE0EEENS1_38merge_mergepath_config_static_selectorELNS0_4arch9wavefront6targetE1EEEvSM_,"axG",@progbits,_ZN7rocprim17ROCPRIM_400000_NS6detail17trampoline_kernelINS0_14default_configENS1_38merge_sort_block_merge_config_selectorIlNS0_10empty_typeEEEZZNS1_27merge_sort_block_merge_implIS3_PlPS5_mZN2at6native12_GLOBAL__N_124unique_dim_cuda_templateIjEESt5tupleIJNSA_6TensorESF_SF_EERKSF_lbbbEUlllE_EE10hipError_tT0_T1_T2_jT3_P12ihipStream_tbPNSt15iterator_traitsISL_E10value_typeEPNSR_ISM_E10value_typeEPSN_NS1_7vsmem_tEENKUlT_SL_SM_SN_E_clIS8_S8_S9_S9_EESK_S10_SL_SM_SN_EUlS10_E0_NS1_11comp_targetILNS1_3genE2ELNS1_11target_archE906ELNS1_3gpuE6ELNS1_3repE0EEENS1_38merge_mergepath_config_static_selectorELNS0_4arch9wavefront6targetE1EEEvSM_,comdat
	.globl	_ZN7rocprim17ROCPRIM_400000_NS6detail17trampoline_kernelINS0_14default_configENS1_38merge_sort_block_merge_config_selectorIlNS0_10empty_typeEEEZZNS1_27merge_sort_block_merge_implIS3_PlPS5_mZN2at6native12_GLOBAL__N_124unique_dim_cuda_templateIjEESt5tupleIJNSA_6TensorESF_SF_EERKSF_lbbbEUlllE_EE10hipError_tT0_T1_T2_jT3_P12ihipStream_tbPNSt15iterator_traitsISL_E10value_typeEPNSR_ISM_E10value_typeEPSN_NS1_7vsmem_tEENKUlT_SL_SM_SN_E_clIS8_S8_S9_S9_EESK_S10_SL_SM_SN_EUlS10_E0_NS1_11comp_targetILNS1_3genE2ELNS1_11target_archE906ELNS1_3gpuE6ELNS1_3repE0EEENS1_38merge_mergepath_config_static_selectorELNS0_4arch9wavefront6targetE1EEEvSM_ ; -- Begin function _ZN7rocprim17ROCPRIM_400000_NS6detail17trampoline_kernelINS0_14default_configENS1_38merge_sort_block_merge_config_selectorIlNS0_10empty_typeEEEZZNS1_27merge_sort_block_merge_implIS3_PlPS5_mZN2at6native12_GLOBAL__N_124unique_dim_cuda_templateIjEESt5tupleIJNSA_6TensorESF_SF_EERKSF_lbbbEUlllE_EE10hipError_tT0_T1_T2_jT3_P12ihipStream_tbPNSt15iterator_traitsISL_E10value_typeEPNSR_ISM_E10value_typeEPSN_NS1_7vsmem_tEENKUlT_SL_SM_SN_E_clIS8_S8_S9_S9_EESK_S10_SL_SM_SN_EUlS10_E0_NS1_11comp_targetILNS1_3genE2ELNS1_11target_archE906ELNS1_3gpuE6ELNS1_3repE0EEENS1_38merge_mergepath_config_static_selectorELNS0_4arch9wavefront6targetE1EEEvSM_
	.p2align	8
	.type	_ZN7rocprim17ROCPRIM_400000_NS6detail17trampoline_kernelINS0_14default_configENS1_38merge_sort_block_merge_config_selectorIlNS0_10empty_typeEEEZZNS1_27merge_sort_block_merge_implIS3_PlPS5_mZN2at6native12_GLOBAL__N_124unique_dim_cuda_templateIjEESt5tupleIJNSA_6TensorESF_SF_EERKSF_lbbbEUlllE_EE10hipError_tT0_T1_T2_jT3_P12ihipStream_tbPNSt15iterator_traitsISL_E10value_typeEPNSR_ISM_E10value_typeEPSN_NS1_7vsmem_tEENKUlT_SL_SM_SN_E_clIS8_S8_S9_S9_EESK_S10_SL_SM_SN_EUlS10_E0_NS1_11comp_targetILNS1_3genE2ELNS1_11target_archE906ELNS1_3gpuE6ELNS1_3repE0EEENS1_38merge_mergepath_config_static_selectorELNS0_4arch9wavefront6targetE1EEEvSM_,@function
_ZN7rocprim17ROCPRIM_400000_NS6detail17trampoline_kernelINS0_14default_configENS1_38merge_sort_block_merge_config_selectorIlNS0_10empty_typeEEEZZNS1_27merge_sort_block_merge_implIS3_PlPS5_mZN2at6native12_GLOBAL__N_124unique_dim_cuda_templateIjEESt5tupleIJNSA_6TensorESF_SF_EERKSF_lbbbEUlllE_EE10hipError_tT0_T1_T2_jT3_P12ihipStream_tbPNSt15iterator_traitsISL_E10value_typeEPNSR_ISM_E10value_typeEPSN_NS1_7vsmem_tEENKUlT_SL_SM_SN_E_clIS8_S8_S9_S9_EESK_S10_SL_SM_SN_EUlS10_E0_NS1_11comp_targetILNS1_3genE2ELNS1_11target_archE906ELNS1_3gpuE6ELNS1_3repE0EEENS1_38merge_mergepath_config_static_selectorELNS0_4arch9wavefront6targetE1EEEvSM_: ; @_ZN7rocprim17ROCPRIM_400000_NS6detail17trampoline_kernelINS0_14default_configENS1_38merge_sort_block_merge_config_selectorIlNS0_10empty_typeEEEZZNS1_27merge_sort_block_merge_implIS3_PlPS5_mZN2at6native12_GLOBAL__N_124unique_dim_cuda_templateIjEESt5tupleIJNSA_6TensorESF_SF_EERKSF_lbbbEUlllE_EE10hipError_tT0_T1_T2_jT3_P12ihipStream_tbPNSt15iterator_traitsISL_E10value_typeEPNSR_ISM_E10value_typeEPSN_NS1_7vsmem_tEENKUlT_SL_SM_SN_E_clIS8_S8_S9_S9_EESK_S10_SL_SM_SN_EUlS10_E0_NS1_11comp_targetILNS1_3genE2ELNS1_11target_archE906ELNS1_3gpuE6ELNS1_3repE0EEENS1_38merge_mergepath_config_static_selectorELNS0_4arch9wavefront6targetE1EEEvSM_
; %bb.0:
	.section	.rodata,"a",@progbits
	.p2align	6, 0x0
	.amdhsa_kernel _ZN7rocprim17ROCPRIM_400000_NS6detail17trampoline_kernelINS0_14default_configENS1_38merge_sort_block_merge_config_selectorIlNS0_10empty_typeEEEZZNS1_27merge_sort_block_merge_implIS3_PlPS5_mZN2at6native12_GLOBAL__N_124unique_dim_cuda_templateIjEESt5tupleIJNSA_6TensorESF_SF_EERKSF_lbbbEUlllE_EE10hipError_tT0_T1_T2_jT3_P12ihipStream_tbPNSt15iterator_traitsISL_E10value_typeEPNSR_ISM_E10value_typeEPSN_NS1_7vsmem_tEENKUlT_SL_SM_SN_E_clIS8_S8_S9_S9_EESK_S10_SL_SM_SN_EUlS10_E0_NS1_11comp_targetILNS1_3genE2ELNS1_11target_archE906ELNS1_3gpuE6ELNS1_3repE0EEENS1_38merge_mergepath_config_static_selectorELNS0_4arch9wavefront6targetE1EEEvSM_
		.amdhsa_group_segment_fixed_size 0
		.amdhsa_private_segment_fixed_size 0
		.amdhsa_kernarg_size 88
		.amdhsa_user_sgpr_count 2
		.amdhsa_user_sgpr_dispatch_ptr 0
		.amdhsa_user_sgpr_queue_ptr 0
		.amdhsa_user_sgpr_kernarg_segment_ptr 1
		.amdhsa_user_sgpr_dispatch_id 0
		.amdhsa_user_sgpr_kernarg_preload_length 0
		.amdhsa_user_sgpr_kernarg_preload_offset 0
		.amdhsa_user_sgpr_private_segment_size 0
		.amdhsa_uses_dynamic_stack 0
		.amdhsa_enable_private_segment 0
		.amdhsa_system_sgpr_workgroup_id_x 1
		.amdhsa_system_sgpr_workgroup_id_y 0
		.amdhsa_system_sgpr_workgroup_id_z 0
		.amdhsa_system_sgpr_workgroup_info 0
		.amdhsa_system_vgpr_workitem_id 0
		.amdhsa_next_free_vgpr 1
		.amdhsa_next_free_sgpr 0
		.amdhsa_accum_offset 4
		.amdhsa_reserve_vcc 0
		.amdhsa_float_round_mode_32 0
		.amdhsa_float_round_mode_16_64 0
		.amdhsa_float_denorm_mode_32 3
		.amdhsa_float_denorm_mode_16_64 3
		.amdhsa_dx10_clamp 1
		.amdhsa_ieee_mode 1
		.amdhsa_fp16_overflow 0
		.amdhsa_tg_split 0
		.amdhsa_exception_fp_ieee_invalid_op 0
		.amdhsa_exception_fp_denorm_src 0
		.amdhsa_exception_fp_ieee_div_zero 0
		.amdhsa_exception_fp_ieee_overflow 0
		.amdhsa_exception_fp_ieee_underflow 0
		.amdhsa_exception_fp_ieee_inexact 0
		.amdhsa_exception_int_div_zero 0
	.end_amdhsa_kernel
	.section	.text._ZN7rocprim17ROCPRIM_400000_NS6detail17trampoline_kernelINS0_14default_configENS1_38merge_sort_block_merge_config_selectorIlNS0_10empty_typeEEEZZNS1_27merge_sort_block_merge_implIS3_PlPS5_mZN2at6native12_GLOBAL__N_124unique_dim_cuda_templateIjEESt5tupleIJNSA_6TensorESF_SF_EERKSF_lbbbEUlllE_EE10hipError_tT0_T1_T2_jT3_P12ihipStream_tbPNSt15iterator_traitsISL_E10value_typeEPNSR_ISM_E10value_typeEPSN_NS1_7vsmem_tEENKUlT_SL_SM_SN_E_clIS8_S8_S9_S9_EESK_S10_SL_SM_SN_EUlS10_E0_NS1_11comp_targetILNS1_3genE2ELNS1_11target_archE906ELNS1_3gpuE6ELNS1_3repE0EEENS1_38merge_mergepath_config_static_selectorELNS0_4arch9wavefront6targetE1EEEvSM_,"axG",@progbits,_ZN7rocprim17ROCPRIM_400000_NS6detail17trampoline_kernelINS0_14default_configENS1_38merge_sort_block_merge_config_selectorIlNS0_10empty_typeEEEZZNS1_27merge_sort_block_merge_implIS3_PlPS5_mZN2at6native12_GLOBAL__N_124unique_dim_cuda_templateIjEESt5tupleIJNSA_6TensorESF_SF_EERKSF_lbbbEUlllE_EE10hipError_tT0_T1_T2_jT3_P12ihipStream_tbPNSt15iterator_traitsISL_E10value_typeEPNSR_ISM_E10value_typeEPSN_NS1_7vsmem_tEENKUlT_SL_SM_SN_E_clIS8_S8_S9_S9_EESK_S10_SL_SM_SN_EUlS10_E0_NS1_11comp_targetILNS1_3genE2ELNS1_11target_archE906ELNS1_3gpuE6ELNS1_3repE0EEENS1_38merge_mergepath_config_static_selectorELNS0_4arch9wavefront6targetE1EEEvSM_,comdat
.Lfunc_end1505:
	.size	_ZN7rocprim17ROCPRIM_400000_NS6detail17trampoline_kernelINS0_14default_configENS1_38merge_sort_block_merge_config_selectorIlNS0_10empty_typeEEEZZNS1_27merge_sort_block_merge_implIS3_PlPS5_mZN2at6native12_GLOBAL__N_124unique_dim_cuda_templateIjEESt5tupleIJNSA_6TensorESF_SF_EERKSF_lbbbEUlllE_EE10hipError_tT0_T1_T2_jT3_P12ihipStream_tbPNSt15iterator_traitsISL_E10value_typeEPNSR_ISM_E10value_typeEPSN_NS1_7vsmem_tEENKUlT_SL_SM_SN_E_clIS8_S8_S9_S9_EESK_S10_SL_SM_SN_EUlS10_E0_NS1_11comp_targetILNS1_3genE2ELNS1_11target_archE906ELNS1_3gpuE6ELNS1_3repE0EEENS1_38merge_mergepath_config_static_selectorELNS0_4arch9wavefront6targetE1EEEvSM_, .Lfunc_end1505-_ZN7rocprim17ROCPRIM_400000_NS6detail17trampoline_kernelINS0_14default_configENS1_38merge_sort_block_merge_config_selectorIlNS0_10empty_typeEEEZZNS1_27merge_sort_block_merge_implIS3_PlPS5_mZN2at6native12_GLOBAL__N_124unique_dim_cuda_templateIjEESt5tupleIJNSA_6TensorESF_SF_EERKSF_lbbbEUlllE_EE10hipError_tT0_T1_T2_jT3_P12ihipStream_tbPNSt15iterator_traitsISL_E10value_typeEPNSR_ISM_E10value_typeEPSN_NS1_7vsmem_tEENKUlT_SL_SM_SN_E_clIS8_S8_S9_S9_EESK_S10_SL_SM_SN_EUlS10_E0_NS1_11comp_targetILNS1_3genE2ELNS1_11target_archE906ELNS1_3gpuE6ELNS1_3repE0EEENS1_38merge_mergepath_config_static_selectorELNS0_4arch9wavefront6targetE1EEEvSM_
                                        ; -- End function
	.set _ZN7rocprim17ROCPRIM_400000_NS6detail17trampoline_kernelINS0_14default_configENS1_38merge_sort_block_merge_config_selectorIlNS0_10empty_typeEEEZZNS1_27merge_sort_block_merge_implIS3_PlPS5_mZN2at6native12_GLOBAL__N_124unique_dim_cuda_templateIjEESt5tupleIJNSA_6TensorESF_SF_EERKSF_lbbbEUlllE_EE10hipError_tT0_T1_T2_jT3_P12ihipStream_tbPNSt15iterator_traitsISL_E10value_typeEPNSR_ISM_E10value_typeEPSN_NS1_7vsmem_tEENKUlT_SL_SM_SN_E_clIS8_S8_S9_S9_EESK_S10_SL_SM_SN_EUlS10_E0_NS1_11comp_targetILNS1_3genE2ELNS1_11target_archE906ELNS1_3gpuE6ELNS1_3repE0EEENS1_38merge_mergepath_config_static_selectorELNS0_4arch9wavefront6targetE1EEEvSM_.num_vgpr, 0
	.set _ZN7rocprim17ROCPRIM_400000_NS6detail17trampoline_kernelINS0_14default_configENS1_38merge_sort_block_merge_config_selectorIlNS0_10empty_typeEEEZZNS1_27merge_sort_block_merge_implIS3_PlPS5_mZN2at6native12_GLOBAL__N_124unique_dim_cuda_templateIjEESt5tupleIJNSA_6TensorESF_SF_EERKSF_lbbbEUlllE_EE10hipError_tT0_T1_T2_jT3_P12ihipStream_tbPNSt15iterator_traitsISL_E10value_typeEPNSR_ISM_E10value_typeEPSN_NS1_7vsmem_tEENKUlT_SL_SM_SN_E_clIS8_S8_S9_S9_EESK_S10_SL_SM_SN_EUlS10_E0_NS1_11comp_targetILNS1_3genE2ELNS1_11target_archE906ELNS1_3gpuE6ELNS1_3repE0EEENS1_38merge_mergepath_config_static_selectorELNS0_4arch9wavefront6targetE1EEEvSM_.num_agpr, 0
	.set _ZN7rocprim17ROCPRIM_400000_NS6detail17trampoline_kernelINS0_14default_configENS1_38merge_sort_block_merge_config_selectorIlNS0_10empty_typeEEEZZNS1_27merge_sort_block_merge_implIS3_PlPS5_mZN2at6native12_GLOBAL__N_124unique_dim_cuda_templateIjEESt5tupleIJNSA_6TensorESF_SF_EERKSF_lbbbEUlllE_EE10hipError_tT0_T1_T2_jT3_P12ihipStream_tbPNSt15iterator_traitsISL_E10value_typeEPNSR_ISM_E10value_typeEPSN_NS1_7vsmem_tEENKUlT_SL_SM_SN_E_clIS8_S8_S9_S9_EESK_S10_SL_SM_SN_EUlS10_E0_NS1_11comp_targetILNS1_3genE2ELNS1_11target_archE906ELNS1_3gpuE6ELNS1_3repE0EEENS1_38merge_mergepath_config_static_selectorELNS0_4arch9wavefront6targetE1EEEvSM_.numbered_sgpr, 0
	.set _ZN7rocprim17ROCPRIM_400000_NS6detail17trampoline_kernelINS0_14default_configENS1_38merge_sort_block_merge_config_selectorIlNS0_10empty_typeEEEZZNS1_27merge_sort_block_merge_implIS3_PlPS5_mZN2at6native12_GLOBAL__N_124unique_dim_cuda_templateIjEESt5tupleIJNSA_6TensorESF_SF_EERKSF_lbbbEUlllE_EE10hipError_tT0_T1_T2_jT3_P12ihipStream_tbPNSt15iterator_traitsISL_E10value_typeEPNSR_ISM_E10value_typeEPSN_NS1_7vsmem_tEENKUlT_SL_SM_SN_E_clIS8_S8_S9_S9_EESK_S10_SL_SM_SN_EUlS10_E0_NS1_11comp_targetILNS1_3genE2ELNS1_11target_archE906ELNS1_3gpuE6ELNS1_3repE0EEENS1_38merge_mergepath_config_static_selectorELNS0_4arch9wavefront6targetE1EEEvSM_.num_named_barrier, 0
	.set _ZN7rocprim17ROCPRIM_400000_NS6detail17trampoline_kernelINS0_14default_configENS1_38merge_sort_block_merge_config_selectorIlNS0_10empty_typeEEEZZNS1_27merge_sort_block_merge_implIS3_PlPS5_mZN2at6native12_GLOBAL__N_124unique_dim_cuda_templateIjEESt5tupleIJNSA_6TensorESF_SF_EERKSF_lbbbEUlllE_EE10hipError_tT0_T1_T2_jT3_P12ihipStream_tbPNSt15iterator_traitsISL_E10value_typeEPNSR_ISM_E10value_typeEPSN_NS1_7vsmem_tEENKUlT_SL_SM_SN_E_clIS8_S8_S9_S9_EESK_S10_SL_SM_SN_EUlS10_E0_NS1_11comp_targetILNS1_3genE2ELNS1_11target_archE906ELNS1_3gpuE6ELNS1_3repE0EEENS1_38merge_mergepath_config_static_selectorELNS0_4arch9wavefront6targetE1EEEvSM_.private_seg_size, 0
	.set _ZN7rocprim17ROCPRIM_400000_NS6detail17trampoline_kernelINS0_14default_configENS1_38merge_sort_block_merge_config_selectorIlNS0_10empty_typeEEEZZNS1_27merge_sort_block_merge_implIS3_PlPS5_mZN2at6native12_GLOBAL__N_124unique_dim_cuda_templateIjEESt5tupleIJNSA_6TensorESF_SF_EERKSF_lbbbEUlllE_EE10hipError_tT0_T1_T2_jT3_P12ihipStream_tbPNSt15iterator_traitsISL_E10value_typeEPNSR_ISM_E10value_typeEPSN_NS1_7vsmem_tEENKUlT_SL_SM_SN_E_clIS8_S8_S9_S9_EESK_S10_SL_SM_SN_EUlS10_E0_NS1_11comp_targetILNS1_3genE2ELNS1_11target_archE906ELNS1_3gpuE6ELNS1_3repE0EEENS1_38merge_mergepath_config_static_selectorELNS0_4arch9wavefront6targetE1EEEvSM_.uses_vcc, 0
	.set _ZN7rocprim17ROCPRIM_400000_NS6detail17trampoline_kernelINS0_14default_configENS1_38merge_sort_block_merge_config_selectorIlNS0_10empty_typeEEEZZNS1_27merge_sort_block_merge_implIS3_PlPS5_mZN2at6native12_GLOBAL__N_124unique_dim_cuda_templateIjEESt5tupleIJNSA_6TensorESF_SF_EERKSF_lbbbEUlllE_EE10hipError_tT0_T1_T2_jT3_P12ihipStream_tbPNSt15iterator_traitsISL_E10value_typeEPNSR_ISM_E10value_typeEPSN_NS1_7vsmem_tEENKUlT_SL_SM_SN_E_clIS8_S8_S9_S9_EESK_S10_SL_SM_SN_EUlS10_E0_NS1_11comp_targetILNS1_3genE2ELNS1_11target_archE906ELNS1_3gpuE6ELNS1_3repE0EEENS1_38merge_mergepath_config_static_selectorELNS0_4arch9wavefront6targetE1EEEvSM_.uses_flat_scratch, 0
	.set _ZN7rocprim17ROCPRIM_400000_NS6detail17trampoline_kernelINS0_14default_configENS1_38merge_sort_block_merge_config_selectorIlNS0_10empty_typeEEEZZNS1_27merge_sort_block_merge_implIS3_PlPS5_mZN2at6native12_GLOBAL__N_124unique_dim_cuda_templateIjEESt5tupleIJNSA_6TensorESF_SF_EERKSF_lbbbEUlllE_EE10hipError_tT0_T1_T2_jT3_P12ihipStream_tbPNSt15iterator_traitsISL_E10value_typeEPNSR_ISM_E10value_typeEPSN_NS1_7vsmem_tEENKUlT_SL_SM_SN_E_clIS8_S8_S9_S9_EESK_S10_SL_SM_SN_EUlS10_E0_NS1_11comp_targetILNS1_3genE2ELNS1_11target_archE906ELNS1_3gpuE6ELNS1_3repE0EEENS1_38merge_mergepath_config_static_selectorELNS0_4arch9wavefront6targetE1EEEvSM_.has_dyn_sized_stack, 0
	.set _ZN7rocprim17ROCPRIM_400000_NS6detail17trampoline_kernelINS0_14default_configENS1_38merge_sort_block_merge_config_selectorIlNS0_10empty_typeEEEZZNS1_27merge_sort_block_merge_implIS3_PlPS5_mZN2at6native12_GLOBAL__N_124unique_dim_cuda_templateIjEESt5tupleIJNSA_6TensorESF_SF_EERKSF_lbbbEUlllE_EE10hipError_tT0_T1_T2_jT3_P12ihipStream_tbPNSt15iterator_traitsISL_E10value_typeEPNSR_ISM_E10value_typeEPSN_NS1_7vsmem_tEENKUlT_SL_SM_SN_E_clIS8_S8_S9_S9_EESK_S10_SL_SM_SN_EUlS10_E0_NS1_11comp_targetILNS1_3genE2ELNS1_11target_archE906ELNS1_3gpuE6ELNS1_3repE0EEENS1_38merge_mergepath_config_static_selectorELNS0_4arch9wavefront6targetE1EEEvSM_.has_recursion, 0
	.set _ZN7rocprim17ROCPRIM_400000_NS6detail17trampoline_kernelINS0_14default_configENS1_38merge_sort_block_merge_config_selectorIlNS0_10empty_typeEEEZZNS1_27merge_sort_block_merge_implIS3_PlPS5_mZN2at6native12_GLOBAL__N_124unique_dim_cuda_templateIjEESt5tupleIJNSA_6TensorESF_SF_EERKSF_lbbbEUlllE_EE10hipError_tT0_T1_T2_jT3_P12ihipStream_tbPNSt15iterator_traitsISL_E10value_typeEPNSR_ISM_E10value_typeEPSN_NS1_7vsmem_tEENKUlT_SL_SM_SN_E_clIS8_S8_S9_S9_EESK_S10_SL_SM_SN_EUlS10_E0_NS1_11comp_targetILNS1_3genE2ELNS1_11target_archE906ELNS1_3gpuE6ELNS1_3repE0EEENS1_38merge_mergepath_config_static_selectorELNS0_4arch9wavefront6targetE1EEEvSM_.has_indirect_call, 0
	.section	.AMDGPU.csdata,"",@progbits
; Kernel info:
; codeLenInByte = 0
; TotalNumSgprs: 6
; NumVgprs: 0
; NumAgprs: 0
; TotalNumVgprs: 0
; ScratchSize: 0
; MemoryBound: 0
; FloatMode: 240
; IeeeMode: 1
; LDSByteSize: 0 bytes/workgroup (compile time only)
; SGPRBlocks: 0
; VGPRBlocks: 0
; NumSGPRsForWavesPerEU: 6
; NumVGPRsForWavesPerEU: 1
; AccumOffset: 4
; Occupancy: 8
; WaveLimiterHint : 0
; COMPUTE_PGM_RSRC2:SCRATCH_EN: 0
; COMPUTE_PGM_RSRC2:USER_SGPR: 2
; COMPUTE_PGM_RSRC2:TRAP_HANDLER: 0
; COMPUTE_PGM_RSRC2:TGID_X_EN: 1
; COMPUTE_PGM_RSRC2:TGID_Y_EN: 0
; COMPUTE_PGM_RSRC2:TGID_Z_EN: 0
; COMPUTE_PGM_RSRC2:TIDIG_COMP_CNT: 0
; COMPUTE_PGM_RSRC3_GFX90A:ACCUM_OFFSET: 0
; COMPUTE_PGM_RSRC3_GFX90A:TG_SPLIT: 0
	.section	.text._ZN7rocprim17ROCPRIM_400000_NS6detail17trampoline_kernelINS0_14default_configENS1_38merge_sort_block_merge_config_selectorIlNS0_10empty_typeEEEZZNS1_27merge_sort_block_merge_implIS3_PlPS5_mZN2at6native12_GLOBAL__N_124unique_dim_cuda_templateIjEESt5tupleIJNSA_6TensorESF_SF_EERKSF_lbbbEUlllE_EE10hipError_tT0_T1_T2_jT3_P12ihipStream_tbPNSt15iterator_traitsISL_E10value_typeEPNSR_ISM_E10value_typeEPSN_NS1_7vsmem_tEENKUlT_SL_SM_SN_E_clIS8_S8_S9_S9_EESK_S10_SL_SM_SN_EUlS10_E0_NS1_11comp_targetILNS1_3genE9ELNS1_11target_archE1100ELNS1_3gpuE3ELNS1_3repE0EEENS1_38merge_mergepath_config_static_selectorELNS0_4arch9wavefront6targetE1EEEvSM_,"axG",@progbits,_ZN7rocprim17ROCPRIM_400000_NS6detail17trampoline_kernelINS0_14default_configENS1_38merge_sort_block_merge_config_selectorIlNS0_10empty_typeEEEZZNS1_27merge_sort_block_merge_implIS3_PlPS5_mZN2at6native12_GLOBAL__N_124unique_dim_cuda_templateIjEESt5tupleIJNSA_6TensorESF_SF_EERKSF_lbbbEUlllE_EE10hipError_tT0_T1_T2_jT3_P12ihipStream_tbPNSt15iterator_traitsISL_E10value_typeEPNSR_ISM_E10value_typeEPSN_NS1_7vsmem_tEENKUlT_SL_SM_SN_E_clIS8_S8_S9_S9_EESK_S10_SL_SM_SN_EUlS10_E0_NS1_11comp_targetILNS1_3genE9ELNS1_11target_archE1100ELNS1_3gpuE3ELNS1_3repE0EEENS1_38merge_mergepath_config_static_selectorELNS0_4arch9wavefront6targetE1EEEvSM_,comdat
	.globl	_ZN7rocprim17ROCPRIM_400000_NS6detail17trampoline_kernelINS0_14default_configENS1_38merge_sort_block_merge_config_selectorIlNS0_10empty_typeEEEZZNS1_27merge_sort_block_merge_implIS3_PlPS5_mZN2at6native12_GLOBAL__N_124unique_dim_cuda_templateIjEESt5tupleIJNSA_6TensorESF_SF_EERKSF_lbbbEUlllE_EE10hipError_tT0_T1_T2_jT3_P12ihipStream_tbPNSt15iterator_traitsISL_E10value_typeEPNSR_ISM_E10value_typeEPSN_NS1_7vsmem_tEENKUlT_SL_SM_SN_E_clIS8_S8_S9_S9_EESK_S10_SL_SM_SN_EUlS10_E0_NS1_11comp_targetILNS1_3genE9ELNS1_11target_archE1100ELNS1_3gpuE3ELNS1_3repE0EEENS1_38merge_mergepath_config_static_selectorELNS0_4arch9wavefront6targetE1EEEvSM_ ; -- Begin function _ZN7rocprim17ROCPRIM_400000_NS6detail17trampoline_kernelINS0_14default_configENS1_38merge_sort_block_merge_config_selectorIlNS0_10empty_typeEEEZZNS1_27merge_sort_block_merge_implIS3_PlPS5_mZN2at6native12_GLOBAL__N_124unique_dim_cuda_templateIjEESt5tupleIJNSA_6TensorESF_SF_EERKSF_lbbbEUlllE_EE10hipError_tT0_T1_T2_jT3_P12ihipStream_tbPNSt15iterator_traitsISL_E10value_typeEPNSR_ISM_E10value_typeEPSN_NS1_7vsmem_tEENKUlT_SL_SM_SN_E_clIS8_S8_S9_S9_EESK_S10_SL_SM_SN_EUlS10_E0_NS1_11comp_targetILNS1_3genE9ELNS1_11target_archE1100ELNS1_3gpuE3ELNS1_3repE0EEENS1_38merge_mergepath_config_static_selectorELNS0_4arch9wavefront6targetE1EEEvSM_
	.p2align	8
	.type	_ZN7rocprim17ROCPRIM_400000_NS6detail17trampoline_kernelINS0_14default_configENS1_38merge_sort_block_merge_config_selectorIlNS0_10empty_typeEEEZZNS1_27merge_sort_block_merge_implIS3_PlPS5_mZN2at6native12_GLOBAL__N_124unique_dim_cuda_templateIjEESt5tupleIJNSA_6TensorESF_SF_EERKSF_lbbbEUlllE_EE10hipError_tT0_T1_T2_jT3_P12ihipStream_tbPNSt15iterator_traitsISL_E10value_typeEPNSR_ISM_E10value_typeEPSN_NS1_7vsmem_tEENKUlT_SL_SM_SN_E_clIS8_S8_S9_S9_EESK_S10_SL_SM_SN_EUlS10_E0_NS1_11comp_targetILNS1_3genE9ELNS1_11target_archE1100ELNS1_3gpuE3ELNS1_3repE0EEENS1_38merge_mergepath_config_static_selectorELNS0_4arch9wavefront6targetE1EEEvSM_,@function
_ZN7rocprim17ROCPRIM_400000_NS6detail17trampoline_kernelINS0_14default_configENS1_38merge_sort_block_merge_config_selectorIlNS0_10empty_typeEEEZZNS1_27merge_sort_block_merge_implIS3_PlPS5_mZN2at6native12_GLOBAL__N_124unique_dim_cuda_templateIjEESt5tupleIJNSA_6TensorESF_SF_EERKSF_lbbbEUlllE_EE10hipError_tT0_T1_T2_jT3_P12ihipStream_tbPNSt15iterator_traitsISL_E10value_typeEPNSR_ISM_E10value_typeEPSN_NS1_7vsmem_tEENKUlT_SL_SM_SN_E_clIS8_S8_S9_S9_EESK_S10_SL_SM_SN_EUlS10_E0_NS1_11comp_targetILNS1_3genE9ELNS1_11target_archE1100ELNS1_3gpuE3ELNS1_3repE0EEENS1_38merge_mergepath_config_static_selectorELNS0_4arch9wavefront6targetE1EEEvSM_: ; @_ZN7rocprim17ROCPRIM_400000_NS6detail17trampoline_kernelINS0_14default_configENS1_38merge_sort_block_merge_config_selectorIlNS0_10empty_typeEEEZZNS1_27merge_sort_block_merge_implIS3_PlPS5_mZN2at6native12_GLOBAL__N_124unique_dim_cuda_templateIjEESt5tupleIJNSA_6TensorESF_SF_EERKSF_lbbbEUlllE_EE10hipError_tT0_T1_T2_jT3_P12ihipStream_tbPNSt15iterator_traitsISL_E10value_typeEPNSR_ISM_E10value_typeEPSN_NS1_7vsmem_tEENKUlT_SL_SM_SN_E_clIS8_S8_S9_S9_EESK_S10_SL_SM_SN_EUlS10_E0_NS1_11comp_targetILNS1_3genE9ELNS1_11target_archE1100ELNS1_3gpuE3ELNS1_3repE0EEENS1_38merge_mergepath_config_static_selectorELNS0_4arch9wavefront6targetE1EEEvSM_
; %bb.0:
	.section	.rodata,"a",@progbits
	.p2align	6, 0x0
	.amdhsa_kernel _ZN7rocprim17ROCPRIM_400000_NS6detail17trampoline_kernelINS0_14default_configENS1_38merge_sort_block_merge_config_selectorIlNS0_10empty_typeEEEZZNS1_27merge_sort_block_merge_implIS3_PlPS5_mZN2at6native12_GLOBAL__N_124unique_dim_cuda_templateIjEESt5tupleIJNSA_6TensorESF_SF_EERKSF_lbbbEUlllE_EE10hipError_tT0_T1_T2_jT3_P12ihipStream_tbPNSt15iterator_traitsISL_E10value_typeEPNSR_ISM_E10value_typeEPSN_NS1_7vsmem_tEENKUlT_SL_SM_SN_E_clIS8_S8_S9_S9_EESK_S10_SL_SM_SN_EUlS10_E0_NS1_11comp_targetILNS1_3genE9ELNS1_11target_archE1100ELNS1_3gpuE3ELNS1_3repE0EEENS1_38merge_mergepath_config_static_selectorELNS0_4arch9wavefront6targetE1EEEvSM_
		.amdhsa_group_segment_fixed_size 0
		.amdhsa_private_segment_fixed_size 0
		.amdhsa_kernarg_size 88
		.amdhsa_user_sgpr_count 2
		.amdhsa_user_sgpr_dispatch_ptr 0
		.amdhsa_user_sgpr_queue_ptr 0
		.amdhsa_user_sgpr_kernarg_segment_ptr 1
		.amdhsa_user_sgpr_dispatch_id 0
		.amdhsa_user_sgpr_kernarg_preload_length 0
		.amdhsa_user_sgpr_kernarg_preload_offset 0
		.amdhsa_user_sgpr_private_segment_size 0
		.amdhsa_uses_dynamic_stack 0
		.amdhsa_enable_private_segment 0
		.amdhsa_system_sgpr_workgroup_id_x 1
		.amdhsa_system_sgpr_workgroup_id_y 0
		.amdhsa_system_sgpr_workgroup_id_z 0
		.amdhsa_system_sgpr_workgroup_info 0
		.amdhsa_system_vgpr_workitem_id 0
		.amdhsa_next_free_vgpr 1
		.amdhsa_next_free_sgpr 0
		.amdhsa_accum_offset 4
		.amdhsa_reserve_vcc 0
		.amdhsa_float_round_mode_32 0
		.amdhsa_float_round_mode_16_64 0
		.amdhsa_float_denorm_mode_32 3
		.amdhsa_float_denorm_mode_16_64 3
		.amdhsa_dx10_clamp 1
		.amdhsa_ieee_mode 1
		.amdhsa_fp16_overflow 0
		.amdhsa_tg_split 0
		.amdhsa_exception_fp_ieee_invalid_op 0
		.amdhsa_exception_fp_denorm_src 0
		.amdhsa_exception_fp_ieee_div_zero 0
		.amdhsa_exception_fp_ieee_overflow 0
		.amdhsa_exception_fp_ieee_underflow 0
		.amdhsa_exception_fp_ieee_inexact 0
		.amdhsa_exception_int_div_zero 0
	.end_amdhsa_kernel
	.section	.text._ZN7rocprim17ROCPRIM_400000_NS6detail17trampoline_kernelINS0_14default_configENS1_38merge_sort_block_merge_config_selectorIlNS0_10empty_typeEEEZZNS1_27merge_sort_block_merge_implIS3_PlPS5_mZN2at6native12_GLOBAL__N_124unique_dim_cuda_templateIjEESt5tupleIJNSA_6TensorESF_SF_EERKSF_lbbbEUlllE_EE10hipError_tT0_T1_T2_jT3_P12ihipStream_tbPNSt15iterator_traitsISL_E10value_typeEPNSR_ISM_E10value_typeEPSN_NS1_7vsmem_tEENKUlT_SL_SM_SN_E_clIS8_S8_S9_S9_EESK_S10_SL_SM_SN_EUlS10_E0_NS1_11comp_targetILNS1_3genE9ELNS1_11target_archE1100ELNS1_3gpuE3ELNS1_3repE0EEENS1_38merge_mergepath_config_static_selectorELNS0_4arch9wavefront6targetE1EEEvSM_,"axG",@progbits,_ZN7rocprim17ROCPRIM_400000_NS6detail17trampoline_kernelINS0_14default_configENS1_38merge_sort_block_merge_config_selectorIlNS0_10empty_typeEEEZZNS1_27merge_sort_block_merge_implIS3_PlPS5_mZN2at6native12_GLOBAL__N_124unique_dim_cuda_templateIjEESt5tupleIJNSA_6TensorESF_SF_EERKSF_lbbbEUlllE_EE10hipError_tT0_T1_T2_jT3_P12ihipStream_tbPNSt15iterator_traitsISL_E10value_typeEPNSR_ISM_E10value_typeEPSN_NS1_7vsmem_tEENKUlT_SL_SM_SN_E_clIS8_S8_S9_S9_EESK_S10_SL_SM_SN_EUlS10_E0_NS1_11comp_targetILNS1_3genE9ELNS1_11target_archE1100ELNS1_3gpuE3ELNS1_3repE0EEENS1_38merge_mergepath_config_static_selectorELNS0_4arch9wavefront6targetE1EEEvSM_,comdat
.Lfunc_end1506:
	.size	_ZN7rocprim17ROCPRIM_400000_NS6detail17trampoline_kernelINS0_14default_configENS1_38merge_sort_block_merge_config_selectorIlNS0_10empty_typeEEEZZNS1_27merge_sort_block_merge_implIS3_PlPS5_mZN2at6native12_GLOBAL__N_124unique_dim_cuda_templateIjEESt5tupleIJNSA_6TensorESF_SF_EERKSF_lbbbEUlllE_EE10hipError_tT0_T1_T2_jT3_P12ihipStream_tbPNSt15iterator_traitsISL_E10value_typeEPNSR_ISM_E10value_typeEPSN_NS1_7vsmem_tEENKUlT_SL_SM_SN_E_clIS8_S8_S9_S9_EESK_S10_SL_SM_SN_EUlS10_E0_NS1_11comp_targetILNS1_3genE9ELNS1_11target_archE1100ELNS1_3gpuE3ELNS1_3repE0EEENS1_38merge_mergepath_config_static_selectorELNS0_4arch9wavefront6targetE1EEEvSM_, .Lfunc_end1506-_ZN7rocprim17ROCPRIM_400000_NS6detail17trampoline_kernelINS0_14default_configENS1_38merge_sort_block_merge_config_selectorIlNS0_10empty_typeEEEZZNS1_27merge_sort_block_merge_implIS3_PlPS5_mZN2at6native12_GLOBAL__N_124unique_dim_cuda_templateIjEESt5tupleIJNSA_6TensorESF_SF_EERKSF_lbbbEUlllE_EE10hipError_tT0_T1_T2_jT3_P12ihipStream_tbPNSt15iterator_traitsISL_E10value_typeEPNSR_ISM_E10value_typeEPSN_NS1_7vsmem_tEENKUlT_SL_SM_SN_E_clIS8_S8_S9_S9_EESK_S10_SL_SM_SN_EUlS10_E0_NS1_11comp_targetILNS1_3genE9ELNS1_11target_archE1100ELNS1_3gpuE3ELNS1_3repE0EEENS1_38merge_mergepath_config_static_selectorELNS0_4arch9wavefront6targetE1EEEvSM_
                                        ; -- End function
	.set _ZN7rocprim17ROCPRIM_400000_NS6detail17trampoline_kernelINS0_14default_configENS1_38merge_sort_block_merge_config_selectorIlNS0_10empty_typeEEEZZNS1_27merge_sort_block_merge_implIS3_PlPS5_mZN2at6native12_GLOBAL__N_124unique_dim_cuda_templateIjEESt5tupleIJNSA_6TensorESF_SF_EERKSF_lbbbEUlllE_EE10hipError_tT0_T1_T2_jT3_P12ihipStream_tbPNSt15iterator_traitsISL_E10value_typeEPNSR_ISM_E10value_typeEPSN_NS1_7vsmem_tEENKUlT_SL_SM_SN_E_clIS8_S8_S9_S9_EESK_S10_SL_SM_SN_EUlS10_E0_NS1_11comp_targetILNS1_3genE9ELNS1_11target_archE1100ELNS1_3gpuE3ELNS1_3repE0EEENS1_38merge_mergepath_config_static_selectorELNS0_4arch9wavefront6targetE1EEEvSM_.num_vgpr, 0
	.set _ZN7rocprim17ROCPRIM_400000_NS6detail17trampoline_kernelINS0_14default_configENS1_38merge_sort_block_merge_config_selectorIlNS0_10empty_typeEEEZZNS1_27merge_sort_block_merge_implIS3_PlPS5_mZN2at6native12_GLOBAL__N_124unique_dim_cuda_templateIjEESt5tupleIJNSA_6TensorESF_SF_EERKSF_lbbbEUlllE_EE10hipError_tT0_T1_T2_jT3_P12ihipStream_tbPNSt15iterator_traitsISL_E10value_typeEPNSR_ISM_E10value_typeEPSN_NS1_7vsmem_tEENKUlT_SL_SM_SN_E_clIS8_S8_S9_S9_EESK_S10_SL_SM_SN_EUlS10_E0_NS1_11comp_targetILNS1_3genE9ELNS1_11target_archE1100ELNS1_3gpuE3ELNS1_3repE0EEENS1_38merge_mergepath_config_static_selectorELNS0_4arch9wavefront6targetE1EEEvSM_.num_agpr, 0
	.set _ZN7rocprim17ROCPRIM_400000_NS6detail17trampoline_kernelINS0_14default_configENS1_38merge_sort_block_merge_config_selectorIlNS0_10empty_typeEEEZZNS1_27merge_sort_block_merge_implIS3_PlPS5_mZN2at6native12_GLOBAL__N_124unique_dim_cuda_templateIjEESt5tupleIJNSA_6TensorESF_SF_EERKSF_lbbbEUlllE_EE10hipError_tT0_T1_T2_jT3_P12ihipStream_tbPNSt15iterator_traitsISL_E10value_typeEPNSR_ISM_E10value_typeEPSN_NS1_7vsmem_tEENKUlT_SL_SM_SN_E_clIS8_S8_S9_S9_EESK_S10_SL_SM_SN_EUlS10_E0_NS1_11comp_targetILNS1_3genE9ELNS1_11target_archE1100ELNS1_3gpuE3ELNS1_3repE0EEENS1_38merge_mergepath_config_static_selectorELNS0_4arch9wavefront6targetE1EEEvSM_.numbered_sgpr, 0
	.set _ZN7rocprim17ROCPRIM_400000_NS6detail17trampoline_kernelINS0_14default_configENS1_38merge_sort_block_merge_config_selectorIlNS0_10empty_typeEEEZZNS1_27merge_sort_block_merge_implIS3_PlPS5_mZN2at6native12_GLOBAL__N_124unique_dim_cuda_templateIjEESt5tupleIJNSA_6TensorESF_SF_EERKSF_lbbbEUlllE_EE10hipError_tT0_T1_T2_jT3_P12ihipStream_tbPNSt15iterator_traitsISL_E10value_typeEPNSR_ISM_E10value_typeEPSN_NS1_7vsmem_tEENKUlT_SL_SM_SN_E_clIS8_S8_S9_S9_EESK_S10_SL_SM_SN_EUlS10_E0_NS1_11comp_targetILNS1_3genE9ELNS1_11target_archE1100ELNS1_3gpuE3ELNS1_3repE0EEENS1_38merge_mergepath_config_static_selectorELNS0_4arch9wavefront6targetE1EEEvSM_.num_named_barrier, 0
	.set _ZN7rocprim17ROCPRIM_400000_NS6detail17trampoline_kernelINS0_14default_configENS1_38merge_sort_block_merge_config_selectorIlNS0_10empty_typeEEEZZNS1_27merge_sort_block_merge_implIS3_PlPS5_mZN2at6native12_GLOBAL__N_124unique_dim_cuda_templateIjEESt5tupleIJNSA_6TensorESF_SF_EERKSF_lbbbEUlllE_EE10hipError_tT0_T1_T2_jT3_P12ihipStream_tbPNSt15iterator_traitsISL_E10value_typeEPNSR_ISM_E10value_typeEPSN_NS1_7vsmem_tEENKUlT_SL_SM_SN_E_clIS8_S8_S9_S9_EESK_S10_SL_SM_SN_EUlS10_E0_NS1_11comp_targetILNS1_3genE9ELNS1_11target_archE1100ELNS1_3gpuE3ELNS1_3repE0EEENS1_38merge_mergepath_config_static_selectorELNS0_4arch9wavefront6targetE1EEEvSM_.private_seg_size, 0
	.set _ZN7rocprim17ROCPRIM_400000_NS6detail17trampoline_kernelINS0_14default_configENS1_38merge_sort_block_merge_config_selectorIlNS0_10empty_typeEEEZZNS1_27merge_sort_block_merge_implIS3_PlPS5_mZN2at6native12_GLOBAL__N_124unique_dim_cuda_templateIjEESt5tupleIJNSA_6TensorESF_SF_EERKSF_lbbbEUlllE_EE10hipError_tT0_T1_T2_jT3_P12ihipStream_tbPNSt15iterator_traitsISL_E10value_typeEPNSR_ISM_E10value_typeEPSN_NS1_7vsmem_tEENKUlT_SL_SM_SN_E_clIS8_S8_S9_S9_EESK_S10_SL_SM_SN_EUlS10_E0_NS1_11comp_targetILNS1_3genE9ELNS1_11target_archE1100ELNS1_3gpuE3ELNS1_3repE0EEENS1_38merge_mergepath_config_static_selectorELNS0_4arch9wavefront6targetE1EEEvSM_.uses_vcc, 0
	.set _ZN7rocprim17ROCPRIM_400000_NS6detail17trampoline_kernelINS0_14default_configENS1_38merge_sort_block_merge_config_selectorIlNS0_10empty_typeEEEZZNS1_27merge_sort_block_merge_implIS3_PlPS5_mZN2at6native12_GLOBAL__N_124unique_dim_cuda_templateIjEESt5tupleIJNSA_6TensorESF_SF_EERKSF_lbbbEUlllE_EE10hipError_tT0_T1_T2_jT3_P12ihipStream_tbPNSt15iterator_traitsISL_E10value_typeEPNSR_ISM_E10value_typeEPSN_NS1_7vsmem_tEENKUlT_SL_SM_SN_E_clIS8_S8_S9_S9_EESK_S10_SL_SM_SN_EUlS10_E0_NS1_11comp_targetILNS1_3genE9ELNS1_11target_archE1100ELNS1_3gpuE3ELNS1_3repE0EEENS1_38merge_mergepath_config_static_selectorELNS0_4arch9wavefront6targetE1EEEvSM_.uses_flat_scratch, 0
	.set _ZN7rocprim17ROCPRIM_400000_NS6detail17trampoline_kernelINS0_14default_configENS1_38merge_sort_block_merge_config_selectorIlNS0_10empty_typeEEEZZNS1_27merge_sort_block_merge_implIS3_PlPS5_mZN2at6native12_GLOBAL__N_124unique_dim_cuda_templateIjEESt5tupleIJNSA_6TensorESF_SF_EERKSF_lbbbEUlllE_EE10hipError_tT0_T1_T2_jT3_P12ihipStream_tbPNSt15iterator_traitsISL_E10value_typeEPNSR_ISM_E10value_typeEPSN_NS1_7vsmem_tEENKUlT_SL_SM_SN_E_clIS8_S8_S9_S9_EESK_S10_SL_SM_SN_EUlS10_E0_NS1_11comp_targetILNS1_3genE9ELNS1_11target_archE1100ELNS1_3gpuE3ELNS1_3repE0EEENS1_38merge_mergepath_config_static_selectorELNS0_4arch9wavefront6targetE1EEEvSM_.has_dyn_sized_stack, 0
	.set _ZN7rocprim17ROCPRIM_400000_NS6detail17trampoline_kernelINS0_14default_configENS1_38merge_sort_block_merge_config_selectorIlNS0_10empty_typeEEEZZNS1_27merge_sort_block_merge_implIS3_PlPS5_mZN2at6native12_GLOBAL__N_124unique_dim_cuda_templateIjEESt5tupleIJNSA_6TensorESF_SF_EERKSF_lbbbEUlllE_EE10hipError_tT0_T1_T2_jT3_P12ihipStream_tbPNSt15iterator_traitsISL_E10value_typeEPNSR_ISM_E10value_typeEPSN_NS1_7vsmem_tEENKUlT_SL_SM_SN_E_clIS8_S8_S9_S9_EESK_S10_SL_SM_SN_EUlS10_E0_NS1_11comp_targetILNS1_3genE9ELNS1_11target_archE1100ELNS1_3gpuE3ELNS1_3repE0EEENS1_38merge_mergepath_config_static_selectorELNS0_4arch9wavefront6targetE1EEEvSM_.has_recursion, 0
	.set _ZN7rocprim17ROCPRIM_400000_NS6detail17trampoline_kernelINS0_14default_configENS1_38merge_sort_block_merge_config_selectorIlNS0_10empty_typeEEEZZNS1_27merge_sort_block_merge_implIS3_PlPS5_mZN2at6native12_GLOBAL__N_124unique_dim_cuda_templateIjEESt5tupleIJNSA_6TensorESF_SF_EERKSF_lbbbEUlllE_EE10hipError_tT0_T1_T2_jT3_P12ihipStream_tbPNSt15iterator_traitsISL_E10value_typeEPNSR_ISM_E10value_typeEPSN_NS1_7vsmem_tEENKUlT_SL_SM_SN_E_clIS8_S8_S9_S9_EESK_S10_SL_SM_SN_EUlS10_E0_NS1_11comp_targetILNS1_3genE9ELNS1_11target_archE1100ELNS1_3gpuE3ELNS1_3repE0EEENS1_38merge_mergepath_config_static_selectorELNS0_4arch9wavefront6targetE1EEEvSM_.has_indirect_call, 0
	.section	.AMDGPU.csdata,"",@progbits
; Kernel info:
; codeLenInByte = 0
; TotalNumSgprs: 6
; NumVgprs: 0
; NumAgprs: 0
; TotalNumVgprs: 0
; ScratchSize: 0
; MemoryBound: 0
; FloatMode: 240
; IeeeMode: 1
; LDSByteSize: 0 bytes/workgroup (compile time only)
; SGPRBlocks: 0
; VGPRBlocks: 0
; NumSGPRsForWavesPerEU: 6
; NumVGPRsForWavesPerEU: 1
; AccumOffset: 4
; Occupancy: 8
; WaveLimiterHint : 0
; COMPUTE_PGM_RSRC2:SCRATCH_EN: 0
; COMPUTE_PGM_RSRC2:USER_SGPR: 2
; COMPUTE_PGM_RSRC2:TRAP_HANDLER: 0
; COMPUTE_PGM_RSRC2:TGID_X_EN: 1
; COMPUTE_PGM_RSRC2:TGID_Y_EN: 0
; COMPUTE_PGM_RSRC2:TGID_Z_EN: 0
; COMPUTE_PGM_RSRC2:TIDIG_COMP_CNT: 0
; COMPUTE_PGM_RSRC3_GFX90A:ACCUM_OFFSET: 0
; COMPUTE_PGM_RSRC3_GFX90A:TG_SPLIT: 0
	.section	.text._ZN7rocprim17ROCPRIM_400000_NS6detail17trampoline_kernelINS0_14default_configENS1_38merge_sort_block_merge_config_selectorIlNS0_10empty_typeEEEZZNS1_27merge_sort_block_merge_implIS3_PlPS5_mZN2at6native12_GLOBAL__N_124unique_dim_cuda_templateIjEESt5tupleIJNSA_6TensorESF_SF_EERKSF_lbbbEUlllE_EE10hipError_tT0_T1_T2_jT3_P12ihipStream_tbPNSt15iterator_traitsISL_E10value_typeEPNSR_ISM_E10value_typeEPSN_NS1_7vsmem_tEENKUlT_SL_SM_SN_E_clIS8_S8_S9_S9_EESK_S10_SL_SM_SN_EUlS10_E0_NS1_11comp_targetILNS1_3genE8ELNS1_11target_archE1030ELNS1_3gpuE2ELNS1_3repE0EEENS1_38merge_mergepath_config_static_selectorELNS0_4arch9wavefront6targetE1EEEvSM_,"axG",@progbits,_ZN7rocprim17ROCPRIM_400000_NS6detail17trampoline_kernelINS0_14default_configENS1_38merge_sort_block_merge_config_selectorIlNS0_10empty_typeEEEZZNS1_27merge_sort_block_merge_implIS3_PlPS5_mZN2at6native12_GLOBAL__N_124unique_dim_cuda_templateIjEESt5tupleIJNSA_6TensorESF_SF_EERKSF_lbbbEUlllE_EE10hipError_tT0_T1_T2_jT3_P12ihipStream_tbPNSt15iterator_traitsISL_E10value_typeEPNSR_ISM_E10value_typeEPSN_NS1_7vsmem_tEENKUlT_SL_SM_SN_E_clIS8_S8_S9_S9_EESK_S10_SL_SM_SN_EUlS10_E0_NS1_11comp_targetILNS1_3genE8ELNS1_11target_archE1030ELNS1_3gpuE2ELNS1_3repE0EEENS1_38merge_mergepath_config_static_selectorELNS0_4arch9wavefront6targetE1EEEvSM_,comdat
	.globl	_ZN7rocprim17ROCPRIM_400000_NS6detail17trampoline_kernelINS0_14default_configENS1_38merge_sort_block_merge_config_selectorIlNS0_10empty_typeEEEZZNS1_27merge_sort_block_merge_implIS3_PlPS5_mZN2at6native12_GLOBAL__N_124unique_dim_cuda_templateIjEESt5tupleIJNSA_6TensorESF_SF_EERKSF_lbbbEUlllE_EE10hipError_tT0_T1_T2_jT3_P12ihipStream_tbPNSt15iterator_traitsISL_E10value_typeEPNSR_ISM_E10value_typeEPSN_NS1_7vsmem_tEENKUlT_SL_SM_SN_E_clIS8_S8_S9_S9_EESK_S10_SL_SM_SN_EUlS10_E0_NS1_11comp_targetILNS1_3genE8ELNS1_11target_archE1030ELNS1_3gpuE2ELNS1_3repE0EEENS1_38merge_mergepath_config_static_selectorELNS0_4arch9wavefront6targetE1EEEvSM_ ; -- Begin function _ZN7rocprim17ROCPRIM_400000_NS6detail17trampoline_kernelINS0_14default_configENS1_38merge_sort_block_merge_config_selectorIlNS0_10empty_typeEEEZZNS1_27merge_sort_block_merge_implIS3_PlPS5_mZN2at6native12_GLOBAL__N_124unique_dim_cuda_templateIjEESt5tupleIJNSA_6TensorESF_SF_EERKSF_lbbbEUlllE_EE10hipError_tT0_T1_T2_jT3_P12ihipStream_tbPNSt15iterator_traitsISL_E10value_typeEPNSR_ISM_E10value_typeEPSN_NS1_7vsmem_tEENKUlT_SL_SM_SN_E_clIS8_S8_S9_S9_EESK_S10_SL_SM_SN_EUlS10_E0_NS1_11comp_targetILNS1_3genE8ELNS1_11target_archE1030ELNS1_3gpuE2ELNS1_3repE0EEENS1_38merge_mergepath_config_static_selectorELNS0_4arch9wavefront6targetE1EEEvSM_
	.p2align	8
	.type	_ZN7rocprim17ROCPRIM_400000_NS6detail17trampoline_kernelINS0_14default_configENS1_38merge_sort_block_merge_config_selectorIlNS0_10empty_typeEEEZZNS1_27merge_sort_block_merge_implIS3_PlPS5_mZN2at6native12_GLOBAL__N_124unique_dim_cuda_templateIjEESt5tupleIJNSA_6TensorESF_SF_EERKSF_lbbbEUlllE_EE10hipError_tT0_T1_T2_jT3_P12ihipStream_tbPNSt15iterator_traitsISL_E10value_typeEPNSR_ISM_E10value_typeEPSN_NS1_7vsmem_tEENKUlT_SL_SM_SN_E_clIS8_S8_S9_S9_EESK_S10_SL_SM_SN_EUlS10_E0_NS1_11comp_targetILNS1_3genE8ELNS1_11target_archE1030ELNS1_3gpuE2ELNS1_3repE0EEENS1_38merge_mergepath_config_static_selectorELNS0_4arch9wavefront6targetE1EEEvSM_,@function
_ZN7rocprim17ROCPRIM_400000_NS6detail17trampoline_kernelINS0_14default_configENS1_38merge_sort_block_merge_config_selectorIlNS0_10empty_typeEEEZZNS1_27merge_sort_block_merge_implIS3_PlPS5_mZN2at6native12_GLOBAL__N_124unique_dim_cuda_templateIjEESt5tupleIJNSA_6TensorESF_SF_EERKSF_lbbbEUlllE_EE10hipError_tT0_T1_T2_jT3_P12ihipStream_tbPNSt15iterator_traitsISL_E10value_typeEPNSR_ISM_E10value_typeEPSN_NS1_7vsmem_tEENKUlT_SL_SM_SN_E_clIS8_S8_S9_S9_EESK_S10_SL_SM_SN_EUlS10_E0_NS1_11comp_targetILNS1_3genE8ELNS1_11target_archE1030ELNS1_3gpuE2ELNS1_3repE0EEENS1_38merge_mergepath_config_static_selectorELNS0_4arch9wavefront6targetE1EEEvSM_: ; @_ZN7rocprim17ROCPRIM_400000_NS6detail17trampoline_kernelINS0_14default_configENS1_38merge_sort_block_merge_config_selectorIlNS0_10empty_typeEEEZZNS1_27merge_sort_block_merge_implIS3_PlPS5_mZN2at6native12_GLOBAL__N_124unique_dim_cuda_templateIjEESt5tupleIJNSA_6TensorESF_SF_EERKSF_lbbbEUlllE_EE10hipError_tT0_T1_T2_jT3_P12ihipStream_tbPNSt15iterator_traitsISL_E10value_typeEPNSR_ISM_E10value_typeEPSN_NS1_7vsmem_tEENKUlT_SL_SM_SN_E_clIS8_S8_S9_S9_EESK_S10_SL_SM_SN_EUlS10_E0_NS1_11comp_targetILNS1_3genE8ELNS1_11target_archE1030ELNS1_3gpuE2ELNS1_3repE0EEENS1_38merge_mergepath_config_static_selectorELNS0_4arch9wavefront6targetE1EEEvSM_
; %bb.0:
	.section	.rodata,"a",@progbits
	.p2align	6, 0x0
	.amdhsa_kernel _ZN7rocprim17ROCPRIM_400000_NS6detail17trampoline_kernelINS0_14default_configENS1_38merge_sort_block_merge_config_selectorIlNS0_10empty_typeEEEZZNS1_27merge_sort_block_merge_implIS3_PlPS5_mZN2at6native12_GLOBAL__N_124unique_dim_cuda_templateIjEESt5tupleIJNSA_6TensorESF_SF_EERKSF_lbbbEUlllE_EE10hipError_tT0_T1_T2_jT3_P12ihipStream_tbPNSt15iterator_traitsISL_E10value_typeEPNSR_ISM_E10value_typeEPSN_NS1_7vsmem_tEENKUlT_SL_SM_SN_E_clIS8_S8_S9_S9_EESK_S10_SL_SM_SN_EUlS10_E0_NS1_11comp_targetILNS1_3genE8ELNS1_11target_archE1030ELNS1_3gpuE2ELNS1_3repE0EEENS1_38merge_mergepath_config_static_selectorELNS0_4arch9wavefront6targetE1EEEvSM_
		.amdhsa_group_segment_fixed_size 0
		.amdhsa_private_segment_fixed_size 0
		.amdhsa_kernarg_size 88
		.amdhsa_user_sgpr_count 2
		.amdhsa_user_sgpr_dispatch_ptr 0
		.amdhsa_user_sgpr_queue_ptr 0
		.amdhsa_user_sgpr_kernarg_segment_ptr 1
		.amdhsa_user_sgpr_dispatch_id 0
		.amdhsa_user_sgpr_kernarg_preload_length 0
		.amdhsa_user_sgpr_kernarg_preload_offset 0
		.amdhsa_user_sgpr_private_segment_size 0
		.amdhsa_uses_dynamic_stack 0
		.amdhsa_enable_private_segment 0
		.amdhsa_system_sgpr_workgroup_id_x 1
		.amdhsa_system_sgpr_workgroup_id_y 0
		.amdhsa_system_sgpr_workgroup_id_z 0
		.amdhsa_system_sgpr_workgroup_info 0
		.amdhsa_system_vgpr_workitem_id 0
		.amdhsa_next_free_vgpr 1
		.amdhsa_next_free_sgpr 0
		.amdhsa_accum_offset 4
		.amdhsa_reserve_vcc 0
		.amdhsa_float_round_mode_32 0
		.amdhsa_float_round_mode_16_64 0
		.amdhsa_float_denorm_mode_32 3
		.amdhsa_float_denorm_mode_16_64 3
		.amdhsa_dx10_clamp 1
		.amdhsa_ieee_mode 1
		.amdhsa_fp16_overflow 0
		.amdhsa_tg_split 0
		.amdhsa_exception_fp_ieee_invalid_op 0
		.amdhsa_exception_fp_denorm_src 0
		.amdhsa_exception_fp_ieee_div_zero 0
		.amdhsa_exception_fp_ieee_overflow 0
		.amdhsa_exception_fp_ieee_underflow 0
		.amdhsa_exception_fp_ieee_inexact 0
		.amdhsa_exception_int_div_zero 0
	.end_amdhsa_kernel
	.section	.text._ZN7rocprim17ROCPRIM_400000_NS6detail17trampoline_kernelINS0_14default_configENS1_38merge_sort_block_merge_config_selectorIlNS0_10empty_typeEEEZZNS1_27merge_sort_block_merge_implIS3_PlPS5_mZN2at6native12_GLOBAL__N_124unique_dim_cuda_templateIjEESt5tupleIJNSA_6TensorESF_SF_EERKSF_lbbbEUlllE_EE10hipError_tT0_T1_T2_jT3_P12ihipStream_tbPNSt15iterator_traitsISL_E10value_typeEPNSR_ISM_E10value_typeEPSN_NS1_7vsmem_tEENKUlT_SL_SM_SN_E_clIS8_S8_S9_S9_EESK_S10_SL_SM_SN_EUlS10_E0_NS1_11comp_targetILNS1_3genE8ELNS1_11target_archE1030ELNS1_3gpuE2ELNS1_3repE0EEENS1_38merge_mergepath_config_static_selectorELNS0_4arch9wavefront6targetE1EEEvSM_,"axG",@progbits,_ZN7rocprim17ROCPRIM_400000_NS6detail17trampoline_kernelINS0_14default_configENS1_38merge_sort_block_merge_config_selectorIlNS0_10empty_typeEEEZZNS1_27merge_sort_block_merge_implIS3_PlPS5_mZN2at6native12_GLOBAL__N_124unique_dim_cuda_templateIjEESt5tupleIJNSA_6TensorESF_SF_EERKSF_lbbbEUlllE_EE10hipError_tT0_T1_T2_jT3_P12ihipStream_tbPNSt15iterator_traitsISL_E10value_typeEPNSR_ISM_E10value_typeEPSN_NS1_7vsmem_tEENKUlT_SL_SM_SN_E_clIS8_S8_S9_S9_EESK_S10_SL_SM_SN_EUlS10_E0_NS1_11comp_targetILNS1_3genE8ELNS1_11target_archE1030ELNS1_3gpuE2ELNS1_3repE0EEENS1_38merge_mergepath_config_static_selectorELNS0_4arch9wavefront6targetE1EEEvSM_,comdat
.Lfunc_end1507:
	.size	_ZN7rocprim17ROCPRIM_400000_NS6detail17trampoline_kernelINS0_14default_configENS1_38merge_sort_block_merge_config_selectorIlNS0_10empty_typeEEEZZNS1_27merge_sort_block_merge_implIS3_PlPS5_mZN2at6native12_GLOBAL__N_124unique_dim_cuda_templateIjEESt5tupleIJNSA_6TensorESF_SF_EERKSF_lbbbEUlllE_EE10hipError_tT0_T1_T2_jT3_P12ihipStream_tbPNSt15iterator_traitsISL_E10value_typeEPNSR_ISM_E10value_typeEPSN_NS1_7vsmem_tEENKUlT_SL_SM_SN_E_clIS8_S8_S9_S9_EESK_S10_SL_SM_SN_EUlS10_E0_NS1_11comp_targetILNS1_3genE8ELNS1_11target_archE1030ELNS1_3gpuE2ELNS1_3repE0EEENS1_38merge_mergepath_config_static_selectorELNS0_4arch9wavefront6targetE1EEEvSM_, .Lfunc_end1507-_ZN7rocprim17ROCPRIM_400000_NS6detail17trampoline_kernelINS0_14default_configENS1_38merge_sort_block_merge_config_selectorIlNS0_10empty_typeEEEZZNS1_27merge_sort_block_merge_implIS3_PlPS5_mZN2at6native12_GLOBAL__N_124unique_dim_cuda_templateIjEESt5tupleIJNSA_6TensorESF_SF_EERKSF_lbbbEUlllE_EE10hipError_tT0_T1_T2_jT3_P12ihipStream_tbPNSt15iterator_traitsISL_E10value_typeEPNSR_ISM_E10value_typeEPSN_NS1_7vsmem_tEENKUlT_SL_SM_SN_E_clIS8_S8_S9_S9_EESK_S10_SL_SM_SN_EUlS10_E0_NS1_11comp_targetILNS1_3genE8ELNS1_11target_archE1030ELNS1_3gpuE2ELNS1_3repE0EEENS1_38merge_mergepath_config_static_selectorELNS0_4arch9wavefront6targetE1EEEvSM_
                                        ; -- End function
	.set _ZN7rocprim17ROCPRIM_400000_NS6detail17trampoline_kernelINS0_14default_configENS1_38merge_sort_block_merge_config_selectorIlNS0_10empty_typeEEEZZNS1_27merge_sort_block_merge_implIS3_PlPS5_mZN2at6native12_GLOBAL__N_124unique_dim_cuda_templateIjEESt5tupleIJNSA_6TensorESF_SF_EERKSF_lbbbEUlllE_EE10hipError_tT0_T1_T2_jT3_P12ihipStream_tbPNSt15iterator_traitsISL_E10value_typeEPNSR_ISM_E10value_typeEPSN_NS1_7vsmem_tEENKUlT_SL_SM_SN_E_clIS8_S8_S9_S9_EESK_S10_SL_SM_SN_EUlS10_E0_NS1_11comp_targetILNS1_3genE8ELNS1_11target_archE1030ELNS1_3gpuE2ELNS1_3repE0EEENS1_38merge_mergepath_config_static_selectorELNS0_4arch9wavefront6targetE1EEEvSM_.num_vgpr, 0
	.set _ZN7rocprim17ROCPRIM_400000_NS6detail17trampoline_kernelINS0_14default_configENS1_38merge_sort_block_merge_config_selectorIlNS0_10empty_typeEEEZZNS1_27merge_sort_block_merge_implIS3_PlPS5_mZN2at6native12_GLOBAL__N_124unique_dim_cuda_templateIjEESt5tupleIJNSA_6TensorESF_SF_EERKSF_lbbbEUlllE_EE10hipError_tT0_T1_T2_jT3_P12ihipStream_tbPNSt15iterator_traitsISL_E10value_typeEPNSR_ISM_E10value_typeEPSN_NS1_7vsmem_tEENKUlT_SL_SM_SN_E_clIS8_S8_S9_S9_EESK_S10_SL_SM_SN_EUlS10_E0_NS1_11comp_targetILNS1_3genE8ELNS1_11target_archE1030ELNS1_3gpuE2ELNS1_3repE0EEENS1_38merge_mergepath_config_static_selectorELNS0_4arch9wavefront6targetE1EEEvSM_.num_agpr, 0
	.set _ZN7rocprim17ROCPRIM_400000_NS6detail17trampoline_kernelINS0_14default_configENS1_38merge_sort_block_merge_config_selectorIlNS0_10empty_typeEEEZZNS1_27merge_sort_block_merge_implIS3_PlPS5_mZN2at6native12_GLOBAL__N_124unique_dim_cuda_templateIjEESt5tupleIJNSA_6TensorESF_SF_EERKSF_lbbbEUlllE_EE10hipError_tT0_T1_T2_jT3_P12ihipStream_tbPNSt15iterator_traitsISL_E10value_typeEPNSR_ISM_E10value_typeEPSN_NS1_7vsmem_tEENKUlT_SL_SM_SN_E_clIS8_S8_S9_S9_EESK_S10_SL_SM_SN_EUlS10_E0_NS1_11comp_targetILNS1_3genE8ELNS1_11target_archE1030ELNS1_3gpuE2ELNS1_3repE0EEENS1_38merge_mergepath_config_static_selectorELNS0_4arch9wavefront6targetE1EEEvSM_.numbered_sgpr, 0
	.set _ZN7rocprim17ROCPRIM_400000_NS6detail17trampoline_kernelINS0_14default_configENS1_38merge_sort_block_merge_config_selectorIlNS0_10empty_typeEEEZZNS1_27merge_sort_block_merge_implIS3_PlPS5_mZN2at6native12_GLOBAL__N_124unique_dim_cuda_templateIjEESt5tupleIJNSA_6TensorESF_SF_EERKSF_lbbbEUlllE_EE10hipError_tT0_T1_T2_jT3_P12ihipStream_tbPNSt15iterator_traitsISL_E10value_typeEPNSR_ISM_E10value_typeEPSN_NS1_7vsmem_tEENKUlT_SL_SM_SN_E_clIS8_S8_S9_S9_EESK_S10_SL_SM_SN_EUlS10_E0_NS1_11comp_targetILNS1_3genE8ELNS1_11target_archE1030ELNS1_3gpuE2ELNS1_3repE0EEENS1_38merge_mergepath_config_static_selectorELNS0_4arch9wavefront6targetE1EEEvSM_.num_named_barrier, 0
	.set _ZN7rocprim17ROCPRIM_400000_NS6detail17trampoline_kernelINS0_14default_configENS1_38merge_sort_block_merge_config_selectorIlNS0_10empty_typeEEEZZNS1_27merge_sort_block_merge_implIS3_PlPS5_mZN2at6native12_GLOBAL__N_124unique_dim_cuda_templateIjEESt5tupleIJNSA_6TensorESF_SF_EERKSF_lbbbEUlllE_EE10hipError_tT0_T1_T2_jT3_P12ihipStream_tbPNSt15iterator_traitsISL_E10value_typeEPNSR_ISM_E10value_typeEPSN_NS1_7vsmem_tEENKUlT_SL_SM_SN_E_clIS8_S8_S9_S9_EESK_S10_SL_SM_SN_EUlS10_E0_NS1_11comp_targetILNS1_3genE8ELNS1_11target_archE1030ELNS1_3gpuE2ELNS1_3repE0EEENS1_38merge_mergepath_config_static_selectorELNS0_4arch9wavefront6targetE1EEEvSM_.private_seg_size, 0
	.set _ZN7rocprim17ROCPRIM_400000_NS6detail17trampoline_kernelINS0_14default_configENS1_38merge_sort_block_merge_config_selectorIlNS0_10empty_typeEEEZZNS1_27merge_sort_block_merge_implIS3_PlPS5_mZN2at6native12_GLOBAL__N_124unique_dim_cuda_templateIjEESt5tupleIJNSA_6TensorESF_SF_EERKSF_lbbbEUlllE_EE10hipError_tT0_T1_T2_jT3_P12ihipStream_tbPNSt15iterator_traitsISL_E10value_typeEPNSR_ISM_E10value_typeEPSN_NS1_7vsmem_tEENKUlT_SL_SM_SN_E_clIS8_S8_S9_S9_EESK_S10_SL_SM_SN_EUlS10_E0_NS1_11comp_targetILNS1_3genE8ELNS1_11target_archE1030ELNS1_3gpuE2ELNS1_3repE0EEENS1_38merge_mergepath_config_static_selectorELNS0_4arch9wavefront6targetE1EEEvSM_.uses_vcc, 0
	.set _ZN7rocprim17ROCPRIM_400000_NS6detail17trampoline_kernelINS0_14default_configENS1_38merge_sort_block_merge_config_selectorIlNS0_10empty_typeEEEZZNS1_27merge_sort_block_merge_implIS3_PlPS5_mZN2at6native12_GLOBAL__N_124unique_dim_cuda_templateIjEESt5tupleIJNSA_6TensorESF_SF_EERKSF_lbbbEUlllE_EE10hipError_tT0_T1_T2_jT3_P12ihipStream_tbPNSt15iterator_traitsISL_E10value_typeEPNSR_ISM_E10value_typeEPSN_NS1_7vsmem_tEENKUlT_SL_SM_SN_E_clIS8_S8_S9_S9_EESK_S10_SL_SM_SN_EUlS10_E0_NS1_11comp_targetILNS1_3genE8ELNS1_11target_archE1030ELNS1_3gpuE2ELNS1_3repE0EEENS1_38merge_mergepath_config_static_selectorELNS0_4arch9wavefront6targetE1EEEvSM_.uses_flat_scratch, 0
	.set _ZN7rocprim17ROCPRIM_400000_NS6detail17trampoline_kernelINS0_14default_configENS1_38merge_sort_block_merge_config_selectorIlNS0_10empty_typeEEEZZNS1_27merge_sort_block_merge_implIS3_PlPS5_mZN2at6native12_GLOBAL__N_124unique_dim_cuda_templateIjEESt5tupleIJNSA_6TensorESF_SF_EERKSF_lbbbEUlllE_EE10hipError_tT0_T1_T2_jT3_P12ihipStream_tbPNSt15iterator_traitsISL_E10value_typeEPNSR_ISM_E10value_typeEPSN_NS1_7vsmem_tEENKUlT_SL_SM_SN_E_clIS8_S8_S9_S9_EESK_S10_SL_SM_SN_EUlS10_E0_NS1_11comp_targetILNS1_3genE8ELNS1_11target_archE1030ELNS1_3gpuE2ELNS1_3repE0EEENS1_38merge_mergepath_config_static_selectorELNS0_4arch9wavefront6targetE1EEEvSM_.has_dyn_sized_stack, 0
	.set _ZN7rocprim17ROCPRIM_400000_NS6detail17trampoline_kernelINS0_14default_configENS1_38merge_sort_block_merge_config_selectorIlNS0_10empty_typeEEEZZNS1_27merge_sort_block_merge_implIS3_PlPS5_mZN2at6native12_GLOBAL__N_124unique_dim_cuda_templateIjEESt5tupleIJNSA_6TensorESF_SF_EERKSF_lbbbEUlllE_EE10hipError_tT0_T1_T2_jT3_P12ihipStream_tbPNSt15iterator_traitsISL_E10value_typeEPNSR_ISM_E10value_typeEPSN_NS1_7vsmem_tEENKUlT_SL_SM_SN_E_clIS8_S8_S9_S9_EESK_S10_SL_SM_SN_EUlS10_E0_NS1_11comp_targetILNS1_3genE8ELNS1_11target_archE1030ELNS1_3gpuE2ELNS1_3repE0EEENS1_38merge_mergepath_config_static_selectorELNS0_4arch9wavefront6targetE1EEEvSM_.has_recursion, 0
	.set _ZN7rocprim17ROCPRIM_400000_NS6detail17trampoline_kernelINS0_14default_configENS1_38merge_sort_block_merge_config_selectorIlNS0_10empty_typeEEEZZNS1_27merge_sort_block_merge_implIS3_PlPS5_mZN2at6native12_GLOBAL__N_124unique_dim_cuda_templateIjEESt5tupleIJNSA_6TensorESF_SF_EERKSF_lbbbEUlllE_EE10hipError_tT0_T1_T2_jT3_P12ihipStream_tbPNSt15iterator_traitsISL_E10value_typeEPNSR_ISM_E10value_typeEPSN_NS1_7vsmem_tEENKUlT_SL_SM_SN_E_clIS8_S8_S9_S9_EESK_S10_SL_SM_SN_EUlS10_E0_NS1_11comp_targetILNS1_3genE8ELNS1_11target_archE1030ELNS1_3gpuE2ELNS1_3repE0EEENS1_38merge_mergepath_config_static_selectorELNS0_4arch9wavefront6targetE1EEEvSM_.has_indirect_call, 0
	.section	.AMDGPU.csdata,"",@progbits
; Kernel info:
; codeLenInByte = 0
; TotalNumSgprs: 6
; NumVgprs: 0
; NumAgprs: 0
; TotalNumVgprs: 0
; ScratchSize: 0
; MemoryBound: 0
; FloatMode: 240
; IeeeMode: 1
; LDSByteSize: 0 bytes/workgroup (compile time only)
; SGPRBlocks: 0
; VGPRBlocks: 0
; NumSGPRsForWavesPerEU: 6
; NumVGPRsForWavesPerEU: 1
; AccumOffset: 4
; Occupancy: 8
; WaveLimiterHint : 0
; COMPUTE_PGM_RSRC2:SCRATCH_EN: 0
; COMPUTE_PGM_RSRC2:USER_SGPR: 2
; COMPUTE_PGM_RSRC2:TRAP_HANDLER: 0
; COMPUTE_PGM_RSRC2:TGID_X_EN: 1
; COMPUTE_PGM_RSRC2:TGID_Y_EN: 0
; COMPUTE_PGM_RSRC2:TGID_Z_EN: 0
; COMPUTE_PGM_RSRC2:TIDIG_COMP_CNT: 0
; COMPUTE_PGM_RSRC3_GFX90A:ACCUM_OFFSET: 0
; COMPUTE_PGM_RSRC3_GFX90A:TG_SPLIT: 0
	.section	.text._ZN7rocprim17ROCPRIM_400000_NS6detail17trampoline_kernelINS0_14default_configENS1_38merge_sort_block_merge_config_selectorIlNS0_10empty_typeEEEZZNS1_27merge_sort_block_merge_implIS3_PlPS5_mZN2at6native12_GLOBAL__N_124unique_dim_cuda_templateIjEESt5tupleIJNSA_6TensorESF_SF_EERKSF_lbbbEUlllE_EE10hipError_tT0_T1_T2_jT3_P12ihipStream_tbPNSt15iterator_traitsISL_E10value_typeEPNSR_ISM_E10value_typeEPSN_NS1_7vsmem_tEENKUlT_SL_SM_SN_E_clIS8_S8_S9_S9_EESK_S10_SL_SM_SN_EUlS10_E1_NS1_11comp_targetILNS1_3genE0ELNS1_11target_archE4294967295ELNS1_3gpuE0ELNS1_3repE0EEENS1_36merge_oddeven_config_static_selectorELNS0_4arch9wavefront6targetE1EEEvSM_,"axG",@progbits,_ZN7rocprim17ROCPRIM_400000_NS6detail17trampoline_kernelINS0_14default_configENS1_38merge_sort_block_merge_config_selectorIlNS0_10empty_typeEEEZZNS1_27merge_sort_block_merge_implIS3_PlPS5_mZN2at6native12_GLOBAL__N_124unique_dim_cuda_templateIjEESt5tupleIJNSA_6TensorESF_SF_EERKSF_lbbbEUlllE_EE10hipError_tT0_T1_T2_jT3_P12ihipStream_tbPNSt15iterator_traitsISL_E10value_typeEPNSR_ISM_E10value_typeEPSN_NS1_7vsmem_tEENKUlT_SL_SM_SN_E_clIS8_S8_S9_S9_EESK_S10_SL_SM_SN_EUlS10_E1_NS1_11comp_targetILNS1_3genE0ELNS1_11target_archE4294967295ELNS1_3gpuE0ELNS1_3repE0EEENS1_36merge_oddeven_config_static_selectorELNS0_4arch9wavefront6targetE1EEEvSM_,comdat
	.globl	_ZN7rocprim17ROCPRIM_400000_NS6detail17trampoline_kernelINS0_14default_configENS1_38merge_sort_block_merge_config_selectorIlNS0_10empty_typeEEEZZNS1_27merge_sort_block_merge_implIS3_PlPS5_mZN2at6native12_GLOBAL__N_124unique_dim_cuda_templateIjEESt5tupleIJNSA_6TensorESF_SF_EERKSF_lbbbEUlllE_EE10hipError_tT0_T1_T2_jT3_P12ihipStream_tbPNSt15iterator_traitsISL_E10value_typeEPNSR_ISM_E10value_typeEPSN_NS1_7vsmem_tEENKUlT_SL_SM_SN_E_clIS8_S8_S9_S9_EESK_S10_SL_SM_SN_EUlS10_E1_NS1_11comp_targetILNS1_3genE0ELNS1_11target_archE4294967295ELNS1_3gpuE0ELNS1_3repE0EEENS1_36merge_oddeven_config_static_selectorELNS0_4arch9wavefront6targetE1EEEvSM_ ; -- Begin function _ZN7rocprim17ROCPRIM_400000_NS6detail17trampoline_kernelINS0_14default_configENS1_38merge_sort_block_merge_config_selectorIlNS0_10empty_typeEEEZZNS1_27merge_sort_block_merge_implIS3_PlPS5_mZN2at6native12_GLOBAL__N_124unique_dim_cuda_templateIjEESt5tupleIJNSA_6TensorESF_SF_EERKSF_lbbbEUlllE_EE10hipError_tT0_T1_T2_jT3_P12ihipStream_tbPNSt15iterator_traitsISL_E10value_typeEPNSR_ISM_E10value_typeEPSN_NS1_7vsmem_tEENKUlT_SL_SM_SN_E_clIS8_S8_S9_S9_EESK_S10_SL_SM_SN_EUlS10_E1_NS1_11comp_targetILNS1_3genE0ELNS1_11target_archE4294967295ELNS1_3gpuE0ELNS1_3repE0EEENS1_36merge_oddeven_config_static_selectorELNS0_4arch9wavefront6targetE1EEEvSM_
	.p2align	8
	.type	_ZN7rocprim17ROCPRIM_400000_NS6detail17trampoline_kernelINS0_14default_configENS1_38merge_sort_block_merge_config_selectorIlNS0_10empty_typeEEEZZNS1_27merge_sort_block_merge_implIS3_PlPS5_mZN2at6native12_GLOBAL__N_124unique_dim_cuda_templateIjEESt5tupleIJNSA_6TensorESF_SF_EERKSF_lbbbEUlllE_EE10hipError_tT0_T1_T2_jT3_P12ihipStream_tbPNSt15iterator_traitsISL_E10value_typeEPNSR_ISM_E10value_typeEPSN_NS1_7vsmem_tEENKUlT_SL_SM_SN_E_clIS8_S8_S9_S9_EESK_S10_SL_SM_SN_EUlS10_E1_NS1_11comp_targetILNS1_3genE0ELNS1_11target_archE4294967295ELNS1_3gpuE0ELNS1_3repE0EEENS1_36merge_oddeven_config_static_selectorELNS0_4arch9wavefront6targetE1EEEvSM_,@function
_ZN7rocprim17ROCPRIM_400000_NS6detail17trampoline_kernelINS0_14default_configENS1_38merge_sort_block_merge_config_selectorIlNS0_10empty_typeEEEZZNS1_27merge_sort_block_merge_implIS3_PlPS5_mZN2at6native12_GLOBAL__N_124unique_dim_cuda_templateIjEESt5tupleIJNSA_6TensorESF_SF_EERKSF_lbbbEUlllE_EE10hipError_tT0_T1_T2_jT3_P12ihipStream_tbPNSt15iterator_traitsISL_E10value_typeEPNSR_ISM_E10value_typeEPSN_NS1_7vsmem_tEENKUlT_SL_SM_SN_E_clIS8_S8_S9_S9_EESK_S10_SL_SM_SN_EUlS10_E1_NS1_11comp_targetILNS1_3genE0ELNS1_11target_archE4294967295ELNS1_3gpuE0ELNS1_3repE0EEENS1_36merge_oddeven_config_static_selectorELNS0_4arch9wavefront6targetE1EEEvSM_: ; @_ZN7rocprim17ROCPRIM_400000_NS6detail17trampoline_kernelINS0_14default_configENS1_38merge_sort_block_merge_config_selectorIlNS0_10empty_typeEEEZZNS1_27merge_sort_block_merge_implIS3_PlPS5_mZN2at6native12_GLOBAL__N_124unique_dim_cuda_templateIjEESt5tupleIJNSA_6TensorESF_SF_EERKSF_lbbbEUlllE_EE10hipError_tT0_T1_T2_jT3_P12ihipStream_tbPNSt15iterator_traitsISL_E10value_typeEPNSR_ISM_E10value_typeEPSN_NS1_7vsmem_tEENKUlT_SL_SM_SN_E_clIS8_S8_S9_S9_EESK_S10_SL_SM_SN_EUlS10_E1_NS1_11comp_targetILNS1_3genE0ELNS1_11target_archE4294967295ELNS1_3gpuE0ELNS1_3repE0EEENS1_36merge_oddeven_config_static_selectorELNS0_4arch9wavefront6targetE1EEEvSM_
; %bb.0:
	s_load_dword s22, s[0:1], 0x20
	s_waitcnt lgkmcnt(0)
	s_lshr_b32 s3, s22, 8
	s_cmp_lg_u32 s2, s3
	s_cselect_b64 s[12:13], -1, 0
	s_cmp_eq_u32 s2, s3
	s_cselect_b64 s[6:7], -1, 0
	s_lshl_b32 s20, s2, 8
	s_sub_i32 s3, s22, s20
	v_cmp_gt_u32_e64 s[4:5], s3, v0
	s_or_b64 s[8:9], s[12:13], s[4:5]
	s_and_saveexec_b64 s[10:11], s[8:9]
	s_cbranch_execz .LBB1508_54
; %bb.1:
	s_load_dwordx4 s[8:11], s[0:1], 0x0
	s_load_dword s23, s[0:1], 0x28
	s_mov_b32 s21, 0
	s_lshl_b64 s[14:15], s[20:21], 3
	v_lshlrev_b32_e32 v1, 3, v0
	s_waitcnt lgkmcnt(0)
	s_add_u32 s14, s8, s14
	s_addc_u32 s15, s9, s15
	global_load_dwordx2 v[2:3], v1, s[14:15]
	s_lshr_b32 s3, s23, 8
	s_sub_i32 s14, 0, s3
	s_and_b32 s2, s2, s14
	s_and_b32 s3, s2, s3
	s_cmp_lg_u32 s3, 0
	s_cselect_b64 s[16:17], -1, 0
	s_lshl_b32 s21, s2, 8
	s_sub_i32 s2, 0, s23
	s_cmp_eq_u32 s3, 0
	s_cselect_b32 s33, s23, s2
	s_add_i32 s33, s33, s21
	s_cmp_lt_u32 s33, s22
	s_cbranch_scc1 .LBB1508_3
; %bb.2:
	v_add_u32_e32 v4, s20, v0
	v_cmp_gt_u32_e32 vcc, s22, v4
	s_or_b64 s[12:13], vcc, s[12:13]
	s_and_b64 s[18:19], s[12:13], exec
	s_cbranch_execz .LBB1508_4
	s_branch .LBB1508_52
.LBB1508_3:
	s_mov_b64 s[18:19], 0
                                        ; implicit-def: $vgpr4
.LBB1508_4:
	s_load_dwordx4 s[12:15], s[0:1], 0x30
	s_min_u32 s44, s33, s22
	s_add_i32 s0, s44, s23
	s_min_u32 s45, s0, s22
	s_min_u32 s0, s21, s44
	v_add_u32_e32 v0, s20, v0
	s_add_i32 s21, s21, s44
	v_subrev_u32_e32 v0, s21, v0
	v_add_u32_e32 v14, s0, v0
	s_waitcnt lgkmcnt(0)
	v_cmp_gt_i64_e64 s[20:21], s[12:13], 0
	s_and_b64 vcc, exec, s[6:7]
	s_cbranch_vccz .LBB1508_26
; %bb.5:
                                        ; implicit-def: $vgpr4
	s_and_saveexec_b64 s[22:23], s[4:5]
	s_cbranch_execz .LBB1508_29
; %bb.6:
	s_cmp_ge_u32 s33, s45
	v_mov_b32_e32 v15, s44
	s_cbranch_scc1 .LBB1508_28
; %bb.7:
	s_waitcnt vmcnt(0)
	v_mul_lo_u32 v0, v3, s12
	v_mul_lo_u32 v1, v2, s13
	v_mad_u64_u32 v[4:5], s[0:1], v2, s12, 0
	v_cndmask_b32_e64 v6, 0, 1, s[16:17]
	v_add3_u32 v5, v5, v1, v0
	v_cmp_ne_u32_e64 s[0:1], 1, v6
	v_cndmask_b32_e64 v6, 0, 1, s[20:21]
	v_mov_b64_e32 v[0:1], s[14:15]
	v_lshl_add_u64 v[4:5], v[4:5], 2, s[14:15]
	s_lshl_b64 s[26:27], s[12:13], 2
	s_mov_b64 s[24:25], 0
	v_mov_b32_e32 v16, s45
	v_mov_b32_e32 v15, s44
	;; [unrolled: 1-line block ×3, first 2 shown]
	v_cmp_ne_u32_e64 s[2:3], 1, v6
	s_branch .LBB1508_10
.LBB1508_8:                             ;   in Loop: Header=BB1508_10 Depth=1
	s_or_b64 exec, exec, s[30:31]
.LBB1508_9:                             ;   in Loop: Header=BB1508_10 Depth=1
	s_waitcnt vmcnt(0)
	v_add_u32_e32 v8, 1, v6
	v_cndmask_b32_e64 v16, v6, v16, s[28:29]
	v_cndmask_b32_e64 v15, v15, v8, s[28:29]
	v_cmp_ge_u32_e32 vcc, v15, v16
	s_or_b64 s[24:25], vcc, s[24:25]
	s_andn2_b64 exec, exec, s[24:25]
	s_cbranch_execz .LBB1508_27
.LBB1508_10:                            ; =>This Loop Header: Depth=1
                                        ;     Child Loop BB1508_14 Depth 2
                                        ;     Child Loop BB1508_23 Depth 2
	v_add_u32_e32 v6, v15, v16
	v_lshrrev_b32_e32 v6, 1, v6
	v_lshl_add_u64 v[8:9], v[6:7], 3, s[8:9]
	global_load_dwordx2 v[8:9], v[8:9], off
	s_and_b64 vcc, exec, s[0:1]
	s_mov_b64 s[4:5], -1
                                        ; implicit-def: $sgpr28_sgpr29
	s_cbranch_vccnz .LBB1508_19
; %bb.11:                               ;   in Loop: Header=BB1508_10 Depth=1
	s_and_b64 vcc, exec, s[2:3]
	s_cbranch_vccnz .LBB1508_17
; %bb.12:                               ;   in Loop: Header=BB1508_10 Depth=1
	s_waitcnt vmcnt(0)
	v_mad_u64_u32 v[10:11], s[4:5], s26, v8, v[0:1]
	v_mul_lo_u32 v12, s26, v9
	v_mul_lo_u32 v13, s27, v8
	v_add3_u32 v11, v13, v11, v12
	s_mov_b64 s[28:29], 0
	s_mov_b64 s[36:37], s[12:13]
	v_mov_b64_e32 v[12:13], v[4:5]
                                        ; implicit-def: $sgpr30_sgpr31
                                        ; implicit-def: $sgpr34_sgpr35
                                        ; implicit-def: $sgpr4_sgpr5
                                        ; implicit-def: $sgpr38_sgpr39
	s_branch .LBB1508_14
.LBB1508_13:                            ;   in Loop: Header=BB1508_14 Depth=2
	s_or_b64 exec, exec, s[42:43]
	s_and_b64 s[6:7], exec, s[34:35]
	s_or_b64 s[28:29], s[6:7], s[28:29]
	s_andn2_b64 s[6:7], s[38:39], exec
	s_and_b64 s[38:39], s[40:41], exec
	s_or_b64 s[38:39], s[6:7], s[38:39]
	s_andn2_b64 s[6:7], s[30:31], exec
	s_and_b64 s[30:31], s[4:5], exec
	s_or_b64 s[30:31], s[6:7], s[30:31]
	s_andn2_b64 exec, exec, s[28:29]
	s_cbranch_execz .LBB1508_16
.LBB1508_14:                            ;   Parent Loop BB1508_10 Depth=1
                                        ; =>  This Inner Loop Header: Depth=2
	global_load_dword v17, v[12:13], off
	global_load_dword v18, v[10:11], off
	s_andn2_b64 s[42:43], s[4:5], exec
	s_or_b64 s[34:35], s[34:35], exec
	s_waitcnt vmcnt(0)
	v_cmp_le_u32_e64 s[4:5], v17, v18
	v_cmp_lt_u32_e32 vcc, v17, v18
	s_and_b64 s[4:5], s[4:5], s[38:39]
	s_or_b64 s[40:41], vcc, s[4:5]
	s_and_b64 s[4:5], s[40:41], exec
	v_cmp_eq_u32_e64 s[6:7], v17, v18
	s_or_b64 s[4:5], s[42:43], s[4:5]
	s_and_saveexec_b64 s[42:43], s[6:7]
	s_cbranch_execz .LBB1508_13
; %bb.15:                               ;   in Loop: Header=BB1508_14 Depth=2
	s_add_u32 s36, s36, -1
	s_addc_u32 s37, s37, -1
	s_cmp_eq_u64 s[36:37], 0
	s_cselect_b64 s[6:7], -1, 0
	s_andn2_b64 s[34:35], s[34:35], exec
	s_and_b64 s[6:7], s[6:7], exec
	v_lshl_add_u64 v[12:13], v[12:13], 0, 4
	v_lshl_add_u64 v[10:11], v[10:11], 0, 4
	s_andn2_b64 s[4:5], s[4:5], exec
	s_or_b64 s[34:35], s[34:35], s[6:7]
                                        ; implicit-def: $sgpr38_sgpr39
	s_branch .LBB1508_13
.LBB1508_16:                            ;   in Loop: Header=BB1508_10 Depth=1
	s_or_b64 exec, exec, s[28:29]
	s_xor_b64 s[28:29], s[30:31], -1
	s_branch .LBB1508_18
.LBB1508_17:                            ;   in Loop: Header=BB1508_10 Depth=1
	s_mov_b64 s[28:29], -1
.LBB1508_18:                            ;   in Loop: Header=BB1508_10 Depth=1
	s_mov_b64 s[4:5], 0
.LBB1508_19:                            ;   in Loop: Header=BB1508_10 Depth=1
	s_andn2_b64 vcc, exec, s[4:5]
	s_cbranch_vccnz .LBB1508_9
; %bb.20:                               ;   in Loop: Header=BB1508_10 Depth=1
	s_and_b64 vcc, exec, s[2:3]
	s_cbranch_vccnz .LBB1508_25
; %bb.21:                               ;   in Loop: Header=BB1508_10 Depth=1
	s_waitcnt vmcnt(0)
	v_mad_u64_u32 v[10:11], s[4:5], s26, v8, v[0:1]
	v_mul_lo_u32 v9, s26, v9
	v_mul_lo_u32 v8, s27, v8
	v_add3_u32 v11, v8, v11, v9
	s_mov_b64 s[30:31], 0
	s_mov_b64 s[36:37], s[12:13]
	v_mov_b64_e32 v[8:9], v[4:5]
                                        ; implicit-def: $sgpr28_sgpr29
                                        ; implicit-def: $sgpr34_sgpr35
                                        ; implicit-def: $sgpr4_sgpr5
                                        ; implicit-def: $sgpr38_sgpr39
	s_branch .LBB1508_23
.LBB1508_22:                            ;   in Loop: Header=BB1508_23 Depth=2
	s_or_b64 exec, exec, s[42:43]
	s_and_b64 s[6:7], exec, s[34:35]
	s_or_b64 s[30:31], s[6:7], s[30:31]
	s_andn2_b64 s[6:7], s[38:39], exec
	s_and_b64 s[38:39], s[40:41], exec
	s_or_b64 s[38:39], s[6:7], s[38:39]
	s_andn2_b64 s[6:7], s[28:29], exec
	s_and_b64 s[28:29], s[4:5], exec
	s_or_b64 s[28:29], s[6:7], s[28:29]
	s_andn2_b64 exec, exec, s[30:31]
	s_cbranch_execz .LBB1508_8
.LBB1508_23:                            ;   Parent Loop BB1508_10 Depth=1
                                        ; =>  This Inner Loop Header: Depth=2
	global_load_dword v12, v[10:11], off
	global_load_dword v13, v[8:9], off
	s_andn2_b64 s[42:43], s[4:5], exec
	s_or_b64 s[34:35], s[34:35], exec
	s_waitcnt vmcnt(0)
	v_cmp_le_u32_e64 s[4:5], v12, v13
	v_cmp_lt_u32_e32 vcc, v12, v13
	s_and_b64 s[4:5], s[4:5], s[38:39]
	s_or_b64 s[40:41], vcc, s[4:5]
	s_and_b64 s[4:5], s[40:41], exec
	v_cmp_eq_u32_e64 s[6:7], v12, v13
	s_or_b64 s[4:5], s[42:43], s[4:5]
	s_and_saveexec_b64 s[42:43], s[6:7]
	s_cbranch_execz .LBB1508_22
; %bb.24:                               ;   in Loop: Header=BB1508_23 Depth=2
	s_add_u32 s36, s36, -1
	s_addc_u32 s37, s37, -1
	s_cmp_eq_u64 s[36:37], 0
	s_cselect_b64 s[6:7], -1, 0
	s_andn2_b64 s[34:35], s[34:35], exec
	s_and_b64 s[6:7], s[6:7], exec
	v_lshl_add_u64 v[10:11], v[10:11], 0, 4
	v_lshl_add_u64 v[8:9], v[8:9], 0, 4
	s_andn2_b64 s[4:5], s[4:5], exec
	s_or_b64 s[34:35], s[34:35], s[6:7]
                                        ; implicit-def: $sgpr38_sgpr39
	s_branch .LBB1508_22
.LBB1508_25:                            ;   in Loop: Header=BB1508_10 Depth=1
	s_mov_b64 s[28:29], 0
	s_branch .LBB1508_9
.LBB1508_26:
                                        ; implicit-def: $vgpr4
	s_cbranch_execnz .LBB1508_30
	s_branch .LBB1508_52
.LBB1508_27:
	s_or_b64 exec, exec, s[24:25]
.LBB1508_28:
	v_add_u32_e32 v4, v15, v14
	s_or_b64 s[18:19], s[18:19], exec
.LBB1508_29:
	s_or_b64 exec, exec, s[22:23]
	s_branch .LBB1508_52
.LBB1508_30:
	s_cmp_ge_u32 s33, s45
	v_mov_b32_e32 v15, s44
	s_cbranch_scc1 .LBB1508_51
; %bb.31:
	s_waitcnt vmcnt(0)
	v_mul_lo_u32 v0, v3, s12
	v_mul_lo_u32 v1, v2, s13
	v_mad_u64_u32 v[4:5], s[0:1], v2, s12, 0
	v_cndmask_b32_e64 v6, 0, 1, s[16:17]
	v_add3_u32 v5, v5, v1, v0
	v_cmp_ne_u32_e64 s[0:1], 1, v6
	v_cndmask_b32_e64 v6, 0, 1, s[20:21]
	v_mov_b64_e32 v[0:1], s[14:15]
	v_lshl_add_u64 v[4:5], v[4:5], 2, s[14:15]
	s_lshl_b64 s[18:19], s[12:13], 2
	s_mov_b64 s[14:15], 0
	v_mov_b32_e32 v16, s45
	v_mov_b32_e32 v15, s44
	;; [unrolled: 1-line block ×3, first 2 shown]
	v_cmp_ne_u32_e64 s[2:3], 1, v6
	s_branch .LBB1508_34
.LBB1508_32:                            ;   in Loop: Header=BB1508_34 Depth=1
	s_or_b64 exec, exec, s[20:21]
.LBB1508_33:                            ;   in Loop: Header=BB1508_34 Depth=1
	s_waitcnt vmcnt(0)
	v_add_u32_e32 v8, 1, v6
	v_cndmask_b32_e64 v16, v6, v16, s[16:17]
	v_cndmask_b32_e64 v15, v15, v8, s[16:17]
	v_cmp_ge_u32_e32 vcc, v15, v16
	s_or_b64 s[14:15], vcc, s[14:15]
	s_andn2_b64 exec, exec, s[14:15]
	s_cbranch_execz .LBB1508_50
.LBB1508_34:                            ; =>This Loop Header: Depth=1
                                        ;     Child Loop BB1508_38 Depth 2
                                        ;     Child Loop BB1508_47 Depth 2
	v_add_u32_e32 v6, v15, v16
	v_lshrrev_b32_e32 v6, 1, v6
	v_lshl_add_u64 v[8:9], v[6:7], 3, s[8:9]
	global_load_dwordx2 v[8:9], v[8:9], off
	s_and_b64 vcc, exec, s[0:1]
	s_mov_b64 s[4:5], -1
                                        ; implicit-def: $sgpr16_sgpr17
	s_cbranch_vccnz .LBB1508_43
; %bb.35:                               ;   in Loop: Header=BB1508_34 Depth=1
	s_and_b64 vcc, exec, s[2:3]
	s_cbranch_vccnz .LBB1508_41
; %bb.36:                               ;   in Loop: Header=BB1508_34 Depth=1
	s_waitcnt vmcnt(0)
	v_mad_u64_u32 v[10:11], s[4:5], s18, v8, v[0:1]
	v_mul_lo_u32 v12, s18, v9
	v_mul_lo_u32 v13, s19, v8
	v_add3_u32 v11, v13, v11, v12
	s_mov_b64 s[16:17], 0
	s_mov_b64 s[24:25], s[12:13]
	v_mov_b64_e32 v[12:13], v[4:5]
                                        ; implicit-def: $sgpr20_sgpr21
                                        ; implicit-def: $sgpr22_sgpr23
                                        ; implicit-def: $sgpr4_sgpr5
                                        ; implicit-def: $sgpr26_sgpr27
	s_branch .LBB1508_38
.LBB1508_37:                            ;   in Loop: Header=BB1508_38 Depth=2
	s_or_b64 exec, exec, s[30:31]
	s_and_b64 s[6:7], exec, s[22:23]
	s_or_b64 s[16:17], s[6:7], s[16:17]
	s_andn2_b64 s[6:7], s[26:27], exec
	s_and_b64 s[26:27], s[28:29], exec
	s_or_b64 s[26:27], s[6:7], s[26:27]
	s_andn2_b64 s[6:7], s[20:21], exec
	s_and_b64 s[20:21], s[4:5], exec
	s_or_b64 s[20:21], s[6:7], s[20:21]
	s_andn2_b64 exec, exec, s[16:17]
	s_cbranch_execz .LBB1508_40
.LBB1508_38:                            ;   Parent Loop BB1508_34 Depth=1
                                        ; =>  This Inner Loop Header: Depth=2
	global_load_dword v17, v[12:13], off
	global_load_dword v18, v[10:11], off
	s_andn2_b64 s[30:31], s[4:5], exec
	s_or_b64 s[22:23], s[22:23], exec
	s_waitcnt vmcnt(0)
	v_cmp_le_u32_e64 s[4:5], v17, v18
	v_cmp_lt_u32_e32 vcc, v17, v18
	s_and_b64 s[4:5], s[4:5], s[26:27]
	s_or_b64 s[28:29], vcc, s[4:5]
	s_and_b64 s[4:5], s[28:29], exec
	v_cmp_eq_u32_e64 s[6:7], v17, v18
	s_or_b64 s[4:5], s[30:31], s[4:5]
	s_and_saveexec_b64 s[30:31], s[6:7]
	s_cbranch_execz .LBB1508_37
; %bb.39:                               ;   in Loop: Header=BB1508_38 Depth=2
	s_add_u32 s24, s24, -1
	s_addc_u32 s25, s25, -1
	s_cmp_eq_u64 s[24:25], 0
	s_cselect_b64 s[6:7], -1, 0
	s_andn2_b64 s[22:23], s[22:23], exec
	s_and_b64 s[6:7], s[6:7], exec
	v_lshl_add_u64 v[12:13], v[12:13], 0, 4
	v_lshl_add_u64 v[10:11], v[10:11], 0, 4
	s_andn2_b64 s[4:5], s[4:5], exec
	s_or_b64 s[22:23], s[22:23], s[6:7]
                                        ; implicit-def: $sgpr26_sgpr27
	s_branch .LBB1508_37
.LBB1508_40:                            ;   in Loop: Header=BB1508_34 Depth=1
	s_or_b64 exec, exec, s[16:17]
	s_xor_b64 s[16:17], s[20:21], -1
	s_branch .LBB1508_42
.LBB1508_41:                            ;   in Loop: Header=BB1508_34 Depth=1
	s_mov_b64 s[16:17], -1
.LBB1508_42:                            ;   in Loop: Header=BB1508_34 Depth=1
	s_mov_b64 s[4:5], 0
.LBB1508_43:                            ;   in Loop: Header=BB1508_34 Depth=1
	s_andn2_b64 vcc, exec, s[4:5]
	s_cbranch_vccnz .LBB1508_33
; %bb.44:                               ;   in Loop: Header=BB1508_34 Depth=1
	s_and_b64 vcc, exec, s[2:3]
	s_cbranch_vccnz .LBB1508_49
; %bb.45:                               ;   in Loop: Header=BB1508_34 Depth=1
	s_waitcnt vmcnt(0)
	v_mad_u64_u32 v[10:11], s[4:5], s18, v8, v[0:1]
	v_mul_lo_u32 v9, s18, v9
	v_mul_lo_u32 v8, s19, v8
	v_add3_u32 v11, v8, v11, v9
	s_mov_b64 s[20:21], 0
	s_mov_b64 s[24:25], s[12:13]
	v_mov_b64_e32 v[8:9], v[4:5]
                                        ; implicit-def: $sgpr16_sgpr17
                                        ; implicit-def: $sgpr22_sgpr23
                                        ; implicit-def: $sgpr4_sgpr5
                                        ; implicit-def: $sgpr26_sgpr27
	s_branch .LBB1508_47
.LBB1508_46:                            ;   in Loop: Header=BB1508_47 Depth=2
	s_or_b64 exec, exec, s[30:31]
	s_and_b64 s[6:7], exec, s[22:23]
	s_or_b64 s[20:21], s[6:7], s[20:21]
	s_andn2_b64 s[6:7], s[26:27], exec
	s_and_b64 s[26:27], s[28:29], exec
	s_or_b64 s[26:27], s[6:7], s[26:27]
	s_andn2_b64 s[6:7], s[16:17], exec
	s_and_b64 s[16:17], s[4:5], exec
	s_or_b64 s[16:17], s[6:7], s[16:17]
	s_andn2_b64 exec, exec, s[20:21]
	s_cbranch_execz .LBB1508_32
.LBB1508_47:                            ;   Parent Loop BB1508_34 Depth=1
                                        ; =>  This Inner Loop Header: Depth=2
	global_load_dword v12, v[10:11], off
	global_load_dword v13, v[8:9], off
	s_andn2_b64 s[30:31], s[4:5], exec
	s_or_b64 s[22:23], s[22:23], exec
	s_waitcnt vmcnt(0)
	v_cmp_le_u32_e64 s[4:5], v12, v13
	v_cmp_lt_u32_e32 vcc, v12, v13
	s_and_b64 s[4:5], s[4:5], s[26:27]
	s_or_b64 s[28:29], vcc, s[4:5]
	s_and_b64 s[4:5], s[28:29], exec
	v_cmp_eq_u32_e64 s[6:7], v12, v13
	s_or_b64 s[4:5], s[30:31], s[4:5]
	s_and_saveexec_b64 s[30:31], s[6:7]
	s_cbranch_execz .LBB1508_46
; %bb.48:                               ;   in Loop: Header=BB1508_47 Depth=2
	s_add_u32 s24, s24, -1
	s_addc_u32 s25, s25, -1
	s_cmp_eq_u64 s[24:25], 0
	s_cselect_b64 s[6:7], -1, 0
	s_andn2_b64 s[22:23], s[22:23], exec
	s_and_b64 s[6:7], s[6:7], exec
	v_lshl_add_u64 v[10:11], v[10:11], 0, 4
	v_lshl_add_u64 v[8:9], v[8:9], 0, 4
	s_andn2_b64 s[4:5], s[4:5], exec
	s_or_b64 s[22:23], s[22:23], s[6:7]
                                        ; implicit-def: $sgpr26_sgpr27
	s_branch .LBB1508_46
.LBB1508_49:                            ;   in Loop: Header=BB1508_34 Depth=1
	s_mov_b64 s[16:17], 0
	s_branch .LBB1508_33
.LBB1508_50:
	s_or_b64 exec, exec, s[14:15]
.LBB1508_51:
	v_add_u32_e32 v4, v15, v14
	s_mov_b64 s[18:19], -1
.LBB1508_52:
	s_and_b64 exec, exec, s[18:19]
	s_cbranch_execz .LBB1508_54
; %bb.53:
	v_mov_b32_e32 v0, s10
	v_mov_b32_e32 v1, s11
	v_mov_b32_e32 v5, 0
	v_lshl_add_u64 v[0:1], v[4:5], 3, v[0:1]
	s_waitcnt vmcnt(0)
	global_store_dwordx2 v[0:1], v[2:3], off
.LBB1508_54:
	s_endpgm
	.section	.rodata,"a",@progbits
	.p2align	6, 0x0
	.amdhsa_kernel _ZN7rocprim17ROCPRIM_400000_NS6detail17trampoline_kernelINS0_14default_configENS1_38merge_sort_block_merge_config_selectorIlNS0_10empty_typeEEEZZNS1_27merge_sort_block_merge_implIS3_PlPS5_mZN2at6native12_GLOBAL__N_124unique_dim_cuda_templateIjEESt5tupleIJNSA_6TensorESF_SF_EERKSF_lbbbEUlllE_EE10hipError_tT0_T1_T2_jT3_P12ihipStream_tbPNSt15iterator_traitsISL_E10value_typeEPNSR_ISM_E10value_typeEPSN_NS1_7vsmem_tEENKUlT_SL_SM_SN_E_clIS8_S8_S9_S9_EESK_S10_SL_SM_SN_EUlS10_E1_NS1_11comp_targetILNS1_3genE0ELNS1_11target_archE4294967295ELNS1_3gpuE0ELNS1_3repE0EEENS1_36merge_oddeven_config_static_selectorELNS0_4arch9wavefront6targetE1EEEvSM_
		.amdhsa_group_segment_fixed_size 0
		.amdhsa_private_segment_fixed_size 0
		.amdhsa_kernarg_size 64
		.amdhsa_user_sgpr_count 2
		.amdhsa_user_sgpr_dispatch_ptr 0
		.amdhsa_user_sgpr_queue_ptr 0
		.amdhsa_user_sgpr_kernarg_segment_ptr 1
		.amdhsa_user_sgpr_dispatch_id 0
		.amdhsa_user_sgpr_kernarg_preload_length 0
		.amdhsa_user_sgpr_kernarg_preload_offset 0
		.amdhsa_user_sgpr_private_segment_size 0
		.amdhsa_uses_dynamic_stack 0
		.amdhsa_enable_private_segment 0
		.amdhsa_system_sgpr_workgroup_id_x 1
		.amdhsa_system_sgpr_workgroup_id_y 0
		.amdhsa_system_sgpr_workgroup_id_z 0
		.amdhsa_system_sgpr_workgroup_info 0
		.amdhsa_system_vgpr_workitem_id 0
		.amdhsa_next_free_vgpr 19
		.amdhsa_next_free_sgpr 46
		.amdhsa_accum_offset 20
		.amdhsa_reserve_vcc 1
		.amdhsa_float_round_mode_32 0
		.amdhsa_float_round_mode_16_64 0
		.amdhsa_float_denorm_mode_32 3
		.amdhsa_float_denorm_mode_16_64 3
		.amdhsa_dx10_clamp 1
		.amdhsa_ieee_mode 1
		.amdhsa_fp16_overflow 0
		.amdhsa_tg_split 0
		.amdhsa_exception_fp_ieee_invalid_op 0
		.amdhsa_exception_fp_denorm_src 0
		.amdhsa_exception_fp_ieee_div_zero 0
		.amdhsa_exception_fp_ieee_overflow 0
		.amdhsa_exception_fp_ieee_underflow 0
		.amdhsa_exception_fp_ieee_inexact 0
		.amdhsa_exception_int_div_zero 0
	.end_amdhsa_kernel
	.section	.text._ZN7rocprim17ROCPRIM_400000_NS6detail17trampoline_kernelINS0_14default_configENS1_38merge_sort_block_merge_config_selectorIlNS0_10empty_typeEEEZZNS1_27merge_sort_block_merge_implIS3_PlPS5_mZN2at6native12_GLOBAL__N_124unique_dim_cuda_templateIjEESt5tupleIJNSA_6TensorESF_SF_EERKSF_lbbbEUlllE_EE10hipError_tT0_T1_T2_jT3_P12ihipStream_tbPNSt15iterator_traitsISL_E10value_typeEPNSR_ISM_E10value_typeEPSN_NS1_7vsmem_tEENKUlT_SL_SM_SN_E_clIS8_S8_S9_S9_EESK_S10_SL_SM_SN_EUlS10_E1_NS1_11comp_targetILNS1_3genE0ELNS1_11target_archE4294967295ELNS1_3gpuE0ELNS1_3repE0EEENS1_36merge_oddeven_config_static_selectorELNS0_4arch9wavefront6targetE1EEEvSM_,"axG",@progbits,_ZN7rocprim17ROCPRIM_400000_NS6detail17trampoline_kernelINS0_14default_configENS1_38merge_sort_block_merge_config_selectorIlNS0_10empty_typeEEEZZNS1_27merge_sort_block_merge_implIS3_PlPS5_mZN2at6native12_GLOBAL__N_124unique_dim_cuda_templateIjEESt5tupleIJNSA_6TensorESF_SF_EERKSF_lbbbEUlllE_EE10hipError_tT0_T1_T2_jT3_P12ihipStream_tbPNSt15iterator_traitsISL_E10value_typeEPNSR_ISM_E10value_typeEPSN_NS1_7vsmem_tEENKUlT_SL_SM_SN_E_clIS8_S8_S9_S9_EESK_S10_SL_SM_SN_EUlS10_E1_NS1_11comp_targetILNS1_3genE0ELNS1_11target_archE4294967295ELNS1_3gpuE0ELNS1_3repE0EEENS1_36merge_oddeven_config_static_selectorELNS0_4arch9wavefront6targetE1EEEvSM_,comdat
.Lfunc_end1508:
	.size	_ZN7rocprim17ROCPRIM_400000_NS6detail17trampoline_kernelINS0_14default_configENS1_38merge_sort_block_merge_config_selectorIlNS0_10empty_typeEEEZZNS1_27merge_sort_block_merge_implIS3_PlPS5_mZN2at6native12_GLOBAL__N_124unique_dim_cuda_templateIjEESt5tupleIJNSA_6TensorESF_SF_EERKSF_lbbbEUlllE_EE10hipError_tT0_T1_T2_jT3_P12ihipStream_tbPNSt15iterator_traitsISL_E10value_typeEPNSR_ISM_E10value_typeEPSN_NS1_7vsmem_tEENKUlT_SL_SM_SN_E_clIS8_S8_S9_S9_EESK_S10_SL_SM_SN_EUlS10_E1_NS1_11comp_targetILNS1_3genE0ELNS1_11target_archE4294967295ELNS1_3gpuE0ELNS1_3repE0EEENS1_36merge_oddeven_config_static_selectorELNS0_4arch9wavefront6targetE1EEEvSM_, .Lfunc_end1508-_ZN7rocprim17ROCPRIM_400000_NS6detail17trampoline_kernelINS0_14default_configENS1_38merge_sort_block_merge_config_selectorIlNS0_10empty_typeEEEZZNS1_27merge_sort_block_merge_implIS3_PlPS5_mZN2at6native12_GLOBAL__N_124unique_dim_cuda_templateIjEESt5tupleIJNSA_6TensorESF_SF_EERKSF_lbbbEUlllE_EE10hipError_tT0_T1_T2_jT3_P12ihipStream_tbPNSt15iterator_traitsISL_E10value_typeEPNSR_ISM_E10value_typeEPSN_NS1_7vsmem_tEENKUlT_SL_SM_SN_E_clIS8_S8_S9_S9_EESK_S10_SL_SM_SN_EUlS10_E1_NS1_11comp_targetILNS1_3genE0ELNS1_11target_archE4294967295ELNS1_3gpuE0ELNS1_3repE0EEENS1_36merge_oddeven_config_static_selectorELNS0_4arch9wavefront6targetE1EEEvSM_
                                        ; -- End function
	.set _ZN7rocprim17ROCPRIM_400000_NS6detail17trampoline_kernelINS0_14default_configENS1_38merge_sort_block_merge_config_selectorIlNS0_10empty_typeEEEZZNS1_27merge_sort_block_merge_implIS3_PlPS5_mZN2at6native12_GLOBAL__N_124unique_dim_cuda_templateIjEESt5tupleIJNSA_6TensorESF_SF_EERKSF_lbbbEUlllE_EE10hipError_tT0_T1_T2_jT3_P12ihipStream_tbPNSt15iterator_traitsISL_E10value_typeEPNSR_ISM_E10value_typeEPSN_NS1_7vsmem_tEENKUlT_SL_SM_SN_E_clIS8_S8_S9_S9_EESK_S10_SL_SM_SN_EUlS10_E1_NS1_11comp_targetILNS1_3genE0ELNS1_11target_archE4294967295ELNS1_3gpuE0ELNS1_3repE0EEENS1_36merge_oddeven_config_static_selectorELNS0_4arch9wavefront6targetE1EEEvSM_.num_vgpr, 19
	.set _ZN7rocprim17ROCPRIM_400000_NS6detail17trampoline_kernelINS0_14default_configENS1_38merge_sort_block_merge_config_selectorIlNS0_10empty_typeEEEZZNS1_27merge_sort_block_merge_implIS3_PlPS5_mZN2at6native12_GLOBAL__N_124unique_dim_cuda_templateIjEESt5tupleIJNSA_6TensorESF_SF_EERKSF_lbbbEUlllE_EE10hipError_tT0_T1_T2_jT3_P12ihipStream_tbPNSt15iterator_traitsISL_E10value_typeEPNSR_ISM_E10value_typeEPSN_NS1_7vsmem_tEENKUlT_SL_SM_SN_E_clIS8_S8_S9_S9_EESK_S10_SL_SM_SN_EUlS10_E1_NS1_11comp_targetILNS1_3genE0ELNS1_11target_archE4294967295ELNS1_3gpuE0ELNS1_3repE0EEENS1_36merge_oddeven_config_static_selectorELNS0_4arch9wavefront6targetE1EEEvSM_.num_agpr, 0
	.set _ZN7rocprim17ROCPRIM_400000_NS6detail17trampoline_kernelINS0_14default_configENS1_38merge_sort_block_merge_config_selectorIlNS0_10empty_typeEEEZZNS1_27merge_sort_block_merge_implIS3_PlPS5_mZN2at6native12_GLOBAL__N_124unique_dim_cuda_templateIjEESt5tupleIJNSA_6TensorESF_SF_EERKSF_lbbbEUlllE_EE10hipError_tT0_T1_T2_jT3_P12ihipStream_tbPNSt15iterator_traitsISL_E10value_typeEPNSR_ISM_E10value_typeEPSN_NS1_7vsmem_tEENKUlT_SL_SM_SN_E_clIS8_S8_S9_S9_EESK_S10_SL_SM_SN_EUlS10_E1_NS1_11comp_targetILNS1_3genE0ELNS1_11target_archE4294967295ELNS1_3gpuE0ELNS1_3repE0EEENS1_36merge_oddeven_config_static_selectorELNS0_4arch9wavefront6targetE1EEEvSM_.numbered_sgpr, 46
	.set _ZN7rocprim17ROCPRIM_400000_NS6detail17trampoline_kernelINS0_14default_configENS1_38merge_sort_block_merge_config_selectorIlNS0_10empty_typeEEEZZNS1_27merge_sort_block_merge_implIS3_PlPS5_mZN2at6native12_GLOBAL__N_124unique_dim_cuda_templateIjEESt5tupleIJNSA_6TensorESF_SF_EERKSF_lbbbEUlllE_EE10hipError_tT0_T1_T2_jT3_P12ihipStream_tbPNSt15iterator_traitsISL_E10value_typeEPNSR_ISM_E10value_typeEPSN_NS1_7vsmem_tEENKUlT_SL_SM_SN_E_clIS8_S8_S9_S9_EESK_S10_SL_SM_SN_EUlS10_E1_NS1_11comp_targetILNS1_3genE0ELNS1_11target_archE4294967295ELNS1_3gpuE0ELNS1_3repE0EEENS1_36merge_oddeven_config_static_selectorELNS0_4arch9wavefront6targetE1EEEvSM_.num_named_barrier, 0
	.set _ZN7rocprim17ROCPRIM_400000_NS6detail17trampoline_kernelINS0_14default_configENS1_38merge_sort_block_merge_config_selectorIlNS0_10empty_typeEEEZZNS1_27merge_sort_block_merge_implIS3_PlPS5_mZN2at6native12_GLOBAL__N_124unique_dim_cuda_templateIjEESt5tupleIJNSA_6TensorESF_SF_EERKSF_lbbbEUlllE_EE10hipError_tT0_T1_T2_jT3_P12ihipStream_tbPNSt15iterator_traitsISL_E10value_typeEPNSR_ISM_E10value_typeEPSN_NS1_7vsmem_tEENKUlT_SL_SM_SN_E_clIS8_S8_S9_S9_EESK_S10_SL_SM_SN_EUlS10_E1_NS1_11comp_targetILNS1_3genE0ELNS1_11target_archE4294967295ELNS1_3gpuE0ELNS1_3repE0EEENS1_36merge_oddeven_config_static_selectorELNS0_4arch9wavefront6targetE1EEEvSM_.private_seg_size, 0
	.set _ZN7rocprim17ROCPRIM_400000_NS6detail17trampoline_kernelINS0_14default_configENS1_38merge_sort_block_merge_config_selectorIlNS0_10empty_typeEEEZZNS1_27merge_sort_block_merge_implIS3_PlPS5_mZN2at6native12_GLOBAL__N_124unique_dim_cuda_templateIjEESt5tupleIJNSA_6TensorESF_SF_EERKSF_lbbbEUlllE_EE10hipError_tT0_T1_T2_jT3_P12ihipStream_tbPNSt15iterator_traitsISL_E10value_typeEPNSR_ISM_E10value_typeEPSN_NS1_7vsmem_tEENKUlT_SL_SM_SN_E_clIS8_S8_S9_S9_EESK_S10_SL_SM_SN_EUlS10_E1_NS1_11comp_targetILNS1_3genE0ELNS1_11target_archE4294967295ELNS1_3gpuE0ELNS1_3repE0EEENS1_36merge_oddeven_config_static_selectorELNS0_4arch9wavefront6targetE1EEEvSM_.uses_vcc, 1
	.set _ZN7rocprim17ROCPRIM_400000_NS6detail17trampoline_kernelINS0_14default_configENS1_38merge_sort_block_merge_config_selectorIlNS0_10empty_typeEEEZZNS1_27merge_sort_block_merge_implIS3_PlPS5_mZN2at6native12_GLOBAL__N_124unique_dim_cuda_templateIjEESt5tupleIJNSA_6TensorESF_SF_EERKSF_lbbbEUlllE_EE10hipError_tT0_T1_T2_jT3_P12ihipStream_tbPNSt15iterator_traitsISL_E10value_typeEPNSR_ISM_E10value_typeEPSN_NS1_7vsmem_tEENKUlT_SL_SM_SN_E_clIS8_S8_S9_S9_EESK_S10_SL_SM_SN_EUlS10_E1_NS1_11comp_targetILNS1_3genE0ELNS1_11target_archE4294967295ELNS1_3gpuE0ELNS1_3repE0EEENS1_36merge_oddeven_config_static_selectorELNS0_4arch9wavefront6targetE1EEEvSM_.uses_flat_scratch, 0
	.set _ZN7rocprim17ROCPRIM_400000_NS6detail17trampoline_kernelINS0_14default_configENS1_38merge_sort_block_merge_config_selectorIlNS0_10empty_typeEEEZZNS1_27merge_sort_block_merge_implIS3_PlPS5_mZN2at6native12_GLOBAL__N_124unique_dim_cuda_templateIjEESt5tupleIJNSA_6TensorESF_SF_EERKSF_lbbbEUlllE_EE10hipError_tT0_T1_T2_jT3_P12ihipStream_tbPNSt15iterator_traitsISL_E10value_typeEPNSR_ISM_E10value_typeEPSN_NS1_7vsmem_tEENKUlT_SL_SM_SN_E_clIS8_S8_S9_S9_EESK_S10_SL_SM_SN_EUlS10_E1_NS1_11comp_targetILNS1_3genE0ELNS1_11target_archE4294967295ELNS1_3gpuE0ELNS1_3repE0EEENS1_36merge_oddeven_config_static_selectorELNS0_4arch9wavefront6targetE1EEEvSM_.has_dyn_sized_stack, 0
	.set _ZN7rocprim17ROCPRIM_400000_NS6detail17trampoline_kernelINS0_14default_configENS1_38merge_sort_block_merge_config_selectorIlNS0_10empty_typeEEEZZNS1_27merge_sort_block_merge_implIS3_PlPS5_mZN2at6native12_GLOBAL__N_124unique_dim_cuda_templateIjEESt5tupleIJNSA_6TensorESF_SF_EERKSF_lbbbEUlllE_EE10hipError_tT0_T1_T2_jT3_P12ihipStream_tbPNSt15iterator_traitsISL_E10value_typeEPNSR_ISM_E10value_typeEPSN_NS1_7vsmem_tEENKUlT_SL_SM_SN_E_clIS8_S8_S9_S9_EESK_S10_SL_SM_SN_EUlS10_E1_NS1_11comp_targetILNS1_3genE0ELNS1_11target_archE4294967295ELNS1_3gpuE0ELNS1_3repE0EEENS1_36merge_oddeven_config_static_selectorELNS0_4arch9wavefront6targetE1EEEvSM_.has_recursion, 0
	.set _ZN7rocprim17ROCPRIM_400000_NS6detail17trampoline_kernelINS0_14default_configENS1_38merge_sort_block_merge_config_selectorIlNS0_10empty_typeEEEZZNS1_27merge_sort_block_merge_implIS3_PlPS5_mZN2at6native12_GLOBAL__N_124unique_dim_cuda_templateIjEESt5tupleIJNSA_6TensorESF_SF_EERKSF_lbbbEUlllE_EE10hipError_tT0_T1_T2_jT3_P12ihipStream_tbPNSt15iterator_traitsISL_E10value_typeEPNSR_ISM_E10value_typeEPSN_NS1_7vsmem_tEENKUlT_SL_SM_SN_E_clIS8_S8_S9_S9_EESK_S10_SL_SM_SN_EUlS10_E1_NS1_11comp_targetILNS1_3genE0ELNS1_11target_archE4294967295ELNS1_3gpuE0ELNS1_3repE0EEENS1_36merge_oddeven_config_static_selectorELNS0_4arch9wavefront6targetE1EEEvSM_.has_indirect_call, 0
	.section	.AMDGPU.csdata,"",@progbits
; Kernel info:
; codeLenInByte = 1716
; TotalNumSgprs: 52
; NumVgprs: 19
; NumAgprs: 0
; TotalNumVgprs: 19
; ScratchSize: 0
; MemoryBound: 0
; FloatMode: 240
; IeeeMode: 1
; LDSByteSize: 0 bytes/workgroup (compile time only)
; SGPRBlocks: 6
; VGPRBlocks: 2
; NumSGPRsForWavesPerEU: 52
; NumVGPRsForWavesPerEU: 19
; AccumOffset: 20
; Occupancy: 8
; WaveLimiterHint : 0
; COMPUTE_PGM_RSRC2:SCRATCH_EN: 0
; COMPUTE_PGM_RSRC2:USER_SGPR: 2
; COMPUTE_PGM_RSRC2:TRAP_HANDLER: 0
; COMPUTE_PGM_RSRC2:TGID_X_EN: 1
; COMPUTE_PGM_RSRC2:TGID_Y_EN: 0
; COMPUTE_PGM_RSRC2:TGID_Z_EN: 0
; COMPUTE_PGM_RSRC2:TIDIG_COMP_CNT: 0
; COMPUTE_PGM_RSRC3_GFX90A:ACCUM_OFFSET: 4
; COMPUTE_PGM_RSRC3_GFX90A:TG_SPLIT: 0
	.section	.text._ZN7rocprim17ROCPRIM_400000_NS6detail17trampoline_kernelINS0_14default_configENS1_38merge_sort_block_merge_config_selectorIlNS0_10empty_typeEEEZZNS1_27merge_sort_block_merge_implIS3_PlPS5_mZN2at6native12_GLOBAL__N_124unique_dim_cuda_templateIjEESt5tupleIJNSA_6TensorESF_SF_EERKSF_lbbbEUlllE_EE10hipError_tT0_T1_T2_jT3_P12ihipStream_tbPNSt15iterator_traitsISL_E10value_typeEPNSR_ISM_E10value_typeEPSN_NS1_7vsmem_tEENKUlT_SL_SM_SN_E_clIS8_S8_S9_S9_EESK_S10_SL_SM_SN_EUlS10_E1_NS1_11comp_targetILNS1_3genE10ELNS1_11target_archE1201ELNS1_3gpuE5ELNS1_3repE0EEENS1_36merge_oddeven_config_static_selectorELNS0_4arch9wavefront6targetE1EEEvSM_,"axG",@progbits,_ZN7rocprim17ROCPRIM_400000_NS6detail17trampoline_kernelINS0_14default_configENS1_38merge_sort_block_merge_config_selectorIlNS0_10empty_typeEEEZZNS1_27merge_sort_block_merge_implIS3_PlPS5_mZN2at6native12_GLOBAL__N_124unique_dim_cuda_templateIjEESt5tupleIJNSA_6TensorESF_SF_EERKSF_lbbbEUlllE_EE10hipError_tT0_T1_T2_jT3_P12ihipStream_tbPNSt15iterator_traitsISL_E10value_typeEPNSR_ISM_E10value_typeEPSN_NS1_7vsmem_tEENKUlT_SL_SM_SN_E_clIS8_S8_S9_S9_EESK_S10_SL_SM_SN_EUlS10_E1_NS1_11comp_targetILNS1_3genE10ELNS1_11target_archE1201ELNS1_3gpuE5ELNS1_3repE0EEENS1_36merge_oddeven_config_static_selectorELNS0_4arch9wavefront6targetE1EEEvSM_,comdat
	.globl	_ZN7rocprim17ROCPRIM_400000_NS6detail17trampoline_kernelINS0_14default_configENS1_38merge_sort_block_merge_config_selectorIlNS0_10empty_typeEEEZZNS1_27merge_sort_block_merge_implIS3_PlPS5_mZN2at6native12_GLOBAL__N_124unique_dim_cuda_templateIjEESt5tupleIJNSA_6TensorESF_SF_EERKSF_lbbbEUlllE_EE10hipError_tT0_T1_T2_jT3_P12ihipStream_tbPNSt15iterator_traitsISL_E10value_typeEPNSR_ISM_E10value_typeEPSN_NS1_7vsmem_tEENKUlT_SL_SM_SN_E_clIS8_S8_S9_S9_EESK_S10_SL_SM_SN_EUlS10_E1_NS1_11comp_targetILNS1_3genE10ELNS1_11target_archE1201ELNS1_3gpuE5ELNS1_3repE0EEENS1_36merge_oddeven_config_static_selectorELNS0_4arch9wavefront6targetE1EEEvSM_ ; -- Begin function _ZN7rocprim17ROCPRIM_400000_NS6detail17trampoline_kernelINS0_14default_configENS1_38merge_sort_block_merge_config_selectorIlNS0_10empty_typeEEEZZNS1_27merge_sort_block_merge_implIS3_PlPS5_mZN2at6native12_GLOBAL__N_124unique_dim_cuda_templateIjEESt5tupleIJNSA_6TensorESF_SF_EERKSF_lbbbEUlllE_EE10hipError_tT0_T1_T2_jT3_P12ihipStream_tbPNSt15iterator_traitsISL_E10value_typeEPNSR_ISM_E10value_typeEPSN_NS1_7vsmem_tEENKUlT_SL_SM_SN_E_clIS8_S8_S9_S9_EESK_S10_SL_SM_SN_EUlS10_E1_NS1_11comp_targetILNS1_3genE10ELNS1_11target_archE1201ELNS1_3gpuE5ELNS1_3repE0EEENS1_36merge_oddeven_config_static_selectorELNS0_4arch9wavefront6targetE1EEEvSM_
	.p2align	8
	.type	_ZN7rocprim17ROCPRIM_400000_NS6detail17trampoline_kernelINS0_14default_configENS1_38merge_sort_block_merge_config_selectorIlNS0_10empty_typeEEEZZNS1_27merge_sort_block_merge_implIS3_PlPS5_mZN2at6native12_GLOBAL__N_124unique_dim_cuda_templateIjEESt5tupleIJNSA_6TensorESF_SF_EERKSF_lbbbEUlllE_EE10hipError_tT0_T1_T2_jT3_P12ihipStream_tbPNSt15iterator_traitsISL_E10value_typeEPNSR_ISM_E10value_typeEPSN_NS1_7vsmem_tEENKUlT_SL_SM_SN_E_clIS8_S8_S9_S9_EESK_S10_SL_SM_SN_EUlS10_E1_NS1_11comp_targetILNS1_3genE10ELNS1_11target_archE1201ELNS1_3gpuE5ELNS1_3repE0EEENS1_36merge_oddeven_config_static_selectorELNS0_4arch9wavefront6targetE1EEEvSM_,@function
_ZN7rocprim17ROCPRIM_400000_NS6detail17trampoline_kernelINS0_14default_configENS1_38merge_sort_block_merge_config_selectorIlNS0_10empty_typeEEEZZNS1_27merge_sort_block_merge_implIS3_PlPS5_mZN2at6native12_GLOBAL__N_124unique_dim_cuda_templateIjEESt5tupleIJNSA_6TensorESF_SF_EERKSF_lbbbEUlllE_EE10hipError_tT0_T1_T2_jT3_P12ihipStream_tbPNSt15iterator_traitsISL_E10value_typeEPNSR_ISM_E10value_typeEPSN_NS1_7vsmem_tEENKUlT_SL_SM_SN_E_clIS8_S8_S9_S9_EESK_S10_SL_SM_SN_EUlS10_E1_NS1_11comp_targetILNS1_3genE10ELNS1_11target_archE1201ELNS1_3gpuE5ELNS1_3repE0EEENS1_36merge_oddeven_config_static_selectorELNS0_4arch9wavefront6targetE1EEEvSM_: ; @_ZN7rocprim17ROCPRIM_400000_NS6detail17trampoline_kernelINS0_14default_configENS1_38merge_sort_block_merge_config_selectorIlNS0_10empty_typeEEEZZNS1_27merge_sort_block_merge_implIS3_PlPS5_mZN2at6native12_GLOBAL__N_124unique_dim_cuda_templateIjEESt5tupleIJNSA_6TensorESF_SF_EERKSF_lbbbEUlllE_EE10hipError_tT0_T1_T2_jT3_P12ihipStream_tbPNSt15iterator_traitsISL_E10value_typeEPNSR_ISM_E10value_typeEPSN_NS1_7vsmem_tEENKUlT_SL_SM_SN_E_clIS8_S8_S9_S9_EESK_S10_SL_SM_SN_EUlS10_E1_NS1_11comp_targetILNS1_3genE10ELNS1_11target_archE1201ELNS1_3gpuE5ELNS1_3repE0EEENS1_36merge_oddeven_config_static_selectorELNS0_4arch9wavefront6targetE1EEEvSM_
; %bb.0:
	.section	.rodata,"a",@progbits
	.p2align	6, 0x0
	.amdhsa_kernel _ZN7rocprim17ROCPRIM_400000_NS6detail17trampoline_kernelINS0_14default_configENS1_38merge_sort_block_merge_config_selectorIlNS0_10empty_typeEEEZZNS1_27merge_sort_block_merge_implIS3_PlPS5_mZN2at6native12_GLOBAL__N_124unique_dim_cuda_templateIjEESt5tupleIJNSA_6TensorESF_SF_EERKSF_lbbbEUlllE_EE10hipError_tT0_T1_T2_jT3_P12ihipStream_tbPNSt15iterator_traitsISL_E10value_typeEPNSR_ISM_E10value_typeEPSN_NS1_7vsmem_tEENKUlT_SL_SM_SN_E_clIS8_S8_S9_S9_EESK_S10_SL_SM_SN_EUlS10_E1_NS1_11comp_targetILNS1_3genE10ELNS1_11target_archE1201ELNS1_3gpuE5ELNS1_3repE0EEENS1_36merge_oddeven_config_static_selectorELNS0_4arch9wavefront6targetE1EEEvSM_
		.amdhsa_group_segment_fixed_size 0
		.amdhsa_private_segment_fixed_size 0
		.amdhsa_kernarg_size 64
		.amdhsa_user_sgpr_count 2
		.amdhsa_user_sgpr_dispatch_ptr 0
		.amdhsa_user_sgpr_queue_ptr 0
		.amdhsa_user_sgpr_kernarg_segment_ptr 1
		.amdhsa_user_sgpr_dispatch_id 0
		.amdhsa_user_sgpr_kernarg_preload_length 0
		.amdhsa_user_sgpr_kernarg_preload_offset 0
		.amdhsa_user_sgpr_private_segment_size 0
		.amdhsa_uses_dynamic_stack 0
		.amdhsa_enable_private_segment 0
		.amdhsa_system_sgpr_workgroup_id_x 1
		.amdhsa_system_sgpr_workgroup_id_y 0
		.amdhsa_system_sgpr_workgroup_id_z 0
		.amdhsa_system_sgpr_workgroup_info 0
		.amdhsa_system_vgpr_workitem_id 0
		.amdhsa_next_free_vgpr 1
		.amdhsa_next_free_sgpr 0
		.amdhsa_accum_offset 4
		.amdhsa_reserve_vcc 0
		.amdhsa_float_round_mode_32 0
		.amdhsa_float_round_mode_16_64 0
		.amdhsa_float_denorm_mode_32 3
		.amdhsa_float_denorm_mode_16_64 3
		.amdhsa_dx10_clamp 1
		.amdhsa_ieee_mode 1
		.amdhsa_fp16_overflow 0
		.amdhsa_tg_split 0
		.amdhsa_exception_fp_ieee_invalid_op 0
		.amdhsa_exception_fp_denorm_src 0
		.amdhsa_exception_fp_ieee_div_zero 0
		.amdhsa_exception_fp_ieee_overflow 0
		.amdhsa_exception_fp_ieee_underflow 0
		.amdhsa_exception_fp_ieee_inexact 0
		.amdhsa_exception_int_div_zero 0
	.end_amdhsa_kernel
	.section	.text._ZN7rocprim17ROCPRIM_400000_NS6detail17trampoline_kernelINS0_14default_configENS1_38merge_sort_block_merge_config_selectorIlNS0_10empty_typeEEEZZNS1_27merge_sort_block_merge_implIS3_PlPS5_mZN2at6native12_GLOBAL__N_124unique_dim_cuda_templateIjEESt5tupleIJNSA_6TensorESF_SF_EERKSF_lbbbEUlllE_EE10hipError_tT0_T1_T2_jT3_P12ihipStream_tbPNSt15iterator_traitsISL_E10value_typeEPNSR_ISM_E10value_typeEPSN_NS1_7vsmem_tEENKUlT_SL_SM_SN_E_clIS8_S8_S9_S9_EESK_S10_SL_SM_SN_EUlS10_E1_NS1_11comp_targetILNS1_3genE10ELNS1_11target_archE1201ELNS1_3gpuE5ELNS1_3repE0EEENS1_36merge_oddeven_config_static_selectorELNS0_4arch9wavefront6targetE1EEEvSM_,"axG",@progbits,_ZN7rocprim17ROCPRIM_400000_NS6detail17trampoline_kernelINS0_14default_configENS1_38merge_sort_block_merge_config_selectorIlNS0_10empty_typeEEEZZNS1_27merge_sort_block_merge_implIS3_PlPS5_mZN2at6native12_GLOBAL__N_124unique_dim_cuda_templateIjEESt5tupleIJNSA_6TensorESF_SF_EERKSF_lbbbEUlllE_EE10hipError_tT0_T1_T2_jT3_P12ihipStream_tbPNSt15iterator_traitsISL_E10value_typeEPNSR_ISM_E10value_typeEPSN_NS1_7vsmem_tEENKUlT_SL_SM_SN_E_clIS8_S8_S9_S9_EESK_S10_SL_SM_SN_EUlS10_E1_NS1_11comp_targetILNS1_3genE10ELNS1_11target_archE1201ELNS1_3gpuE5ELNS1_3repE0EEENS1_36merge_oddeven_config_static_selectorELNS0_4arch9wavefront6targetE1EEEvSM_,comdat
.Lfunc_end1509:
	.size	_ZN7rocprim17ROCPRIM_400000_NS6detail17trampoline_kernelINS0_14default_configENS1_38merge_sort_block_merge_config_selectorIlNS0_10empty_typeEEEZZNS1_27merge_sort_block_merge_implIS3_PlPS5_mZN2at6native12_GLOBAL__N_124unique_dim_cuda_templateIjEESt5tupleIJNSA_6TensorESF_SF_EERKSF_lbbbEUlllE_EE10hipError_tT0_T1_T2_jT3_P12ihipStream_tbPNSt15iterator_traitsISL_E10value_typeEPNSR_ISM_E10value_typeEPSN_NS1_7vsmem_tEENKUlT_SL_SM_SN_E_clIS8_S8_S9_S9_EESK_S10_SL_SM_SN_EUlS10_E1_NS1_11comp_targetILNS1_3genE10ELNS1_11target_archE1201ELNS1_3gpuE5ELNS1_3repE0EEENS1_36merge_oddeven_config_static_selectorELNS0_4arch9wavefront6targetE1EEEvSM_, .Lfunc_end1509-_ZN7rocprim17ROCPRIM_400000_NS6detail17trampoline_kernelINS0_14default_configENS1_38merge_sort_block_merge_config_selectorIlNS0_10empty_typeEEEZZNS1_27merge_sort_block_merge_implIS3_PlPS5_mZN2at6native12_GLOBAL__N_124unique_dim_cuda_templateIjEESt5tupleIJNSA_6TensorESF_SF_EERKSF_lbbbEUlllE_EE10hipError_tT0_T1_T2_jT3_P12ihipStream_tbPNSt15iterator_traitsISL_E10value_typeEPNSR_ISM_E10value_typeEPSN_NS1_7vsmem_tEENKUlT_SL_SM_SN_E_clIS8_S8_S9_S9_EESK_S10_SL_SM_SN_EUlS10_E1_NS1_11comp_targetILNS1_3genE10ELNS1_11target_archE1201ELNS1_3gpuE5ELNS1_3repE0EEENS1_36merge_oddeven_config_static_selectorELNS0_4arch9wavefront6targetE1EEEvSM_
                                        ; -- End function
	.set _ZN7rocprim17ROCPRIM_400000_NS6detail17trampoline_kernelINS0_14default_configENS1_38merge_sort_block_merge_config_selectorIlNS0_10empty_typeEEEZZNS1_27merge_sort_block_merge_implIS3_PlPS5_mZN2at6native12_GLOBAL__N_124unique_dim_cuda_templateIjEESt5tupleIJNSA_6TensorESF_SF_EERKSF_lbbbEUlllE_EE10hipError_tT0_T1_T2_jT3_P12ihipStream_tbPNSt15iterator_traitsISL_E10value_typeEPNSR_ISM_E10value_typeEPSN_NS1_7vsmem_tEENKUlT_SL_SM_SN_E_clIS8_S8_S9_S9_EESK_S10_SL_SM_SN_EUlS10_E1_NS1_11comp_targetILNS1_3genE10ELNS1_11target_archE1201ELNS1_3gpuE5ELNS1_3repE0EEENS1_36merge_oddeven_config_static_selectorELNS0_4arch9wavefront6targetE1EEEvSM_.num_vgpr, 0
	.set _ZN7rocprim17ROCPRIM_400000_NS6detail17trampoline_kernelINS0_14default_configENS1_38merge_sort_block_merge_config_selectorIlNS0_10empty_typeEEEZZNS1_27merge_sort_block_merge_implIS3_PlPS5_mZN2at6native12_GLOBAL__N_124unique_dim_cuda_templateIjEESt5tupleIJNSA_6TensorESF_SF_EERKSF_lbbbEUlllE_EE10hipError_tT0_T1_T2_jT3_P12ihipStream_tbPNSt15iterator_traitsISL_E10value_typeEPNSR_ISM_E10value_typeEPSN_NS1_7vsmem_tEENKUlT_SL_SM_SN_E_clIS8_S8_S9_S9_EESK_S10_SL_SM_SN_EUlS10_E1_NS1_11comp_targetILNS1_3genE10ELNS1_11target_archE1201ELNS1_3gpuE5ELNS1_3repE0EEENS1_36merge_oddeven_config_static_selectorELNS0_4arch9wavefront6targetE1EEEvSM_.num_agpr, 0
	.set _ZN7rocprim17ROCPRIM_400000_NS6detail17trampoline_kernelINS0_14default_configENS1_38merge_sort_block_merge_config_selectorIlNS0_10empty_typeEEEZZNS1_27merge_sort_block_merge_implIS3_PlPS5_mZN2at6native12_GLOBAL__N_124unique_dim_cuda_templateIjEESt5tupleIJNSA_6TensorESF_SF_EERKSF_lbbbEUlllE_EE10hipError_tT0_T1_T2_jT3_P12ihipStream_tbPNSt15iterator_traitsISL_E10value_typeEPNSR_ISM_E10value_typeEPSN_NS1_7vsmem_tEENKUlT_SL_SM_SN_E_clIS8_S8_S9_S9_EESK_S10_SL_SM_SN_EUlS10_E1_NS1_11comp_targetILNS1_3genE10ELNS1_11target_archE1201ELNS1_3gpuE5ELNS1_3repE0EEENS1_36merge_oddeven_config_static_selectorELNS0_4arch9wavefront6targetE1EEEvSM_.numbered_sgpr, 0
	.set _ZN7rocprim17ROCPRIM_400000_NS6detail17trampoline_kernelINS0_14default_configENS1_38merge_sort_block_merge_config_selectorIlNS0_10empty_typeEEEZZNS1_27merge_sort_block_merge_implIS3_PlPS5_mZN2at6native12_GLOBAL__N_124unique_dim_cuda_templateIjEESt5tupleIJNSA_6TensorESF_SF_EERKSF_lbbbEUlllE_EE10hipError_tT0_T1_T2_jT3_P12ihipStream_tbPNSt15iterator_traitsISL_E10value_typeEPNSR_ISM_E10value_typeEPSN_NS1_7vsmem_tEENKUlT_SL_SM_SN_E_clIS8_S8_S9_S9_EESK_S10_SL_SM_SN_EUlS10_E1_NS1_11comp_targetILNS1_3genE10ELNS1_11target_archE1201ELNS1_3gpuE5ELNS1_3repE0EEENS1_36merge_oddeven_config_static_selectorELNS0_4arch9wavefront6targetE1EEEvSM_.num_named_barrier, 0
	.set _ZN7rocprim17ROCPRIM_400000_NS6detail17trampoline_kernelINS0_14default_configENS1_38merge_sort_block_merge_config_selectorIlNS0_10empty_typeEEEZZNS1_27merge_sort_block_merge_implIS3_PlPS5_mZN2at6native12_GLOBAL__N_124unique_dim_cuda_templateIjEESt5tupleIJNSA_6TensorESF_SF_EERKSF_lbbbEUlllE_EE10hipError_tT0_T1_T2_jT3_P12ihipStream_tbPNSt15iterator_traitsISL_E10value_typeEPNSR_ISM_E10value_typeEPSN_NS1_7vsmem_tEENKUlT_SL_SM_SN_E_clIS8_S8_S9_S9_EESK_S10_SL_SM_SN_EUlS10_E1_NS1_11comp_targetILNS1_3genE10ELNS1_11target_archE1201ELNS1_3gpuE5ELNS1_3repE0EEENS1_36merge_oddeven_config_static_selectorELNS0_4arch9wavefront6targetE1EEEvSM_.private_seg_size, 0
	.set _ZN7rocprim17ROCPRIM_400000_NS6detail17trampoline_kernelINS0_14default_configENS1_38merge_sort_block_merge_config_selectorIlNS0_10empty_typeEEEZZNS1_27merge_sort_block_merge_implIS3_PlPS5_mZN2at6native12_GLOBAL__N_124unique_dim_cuda_templateIjEESt5tupleIJNSA_6TensorESF_SF_EERKSF_lbbbEUlllE_EE10hipError_tT0_T1_T2_jT3_P12ihipStream_tbPNSt15iterator_traitsISL_E10value_typeEPNSR_ISM_E10value_typeEPSN_NS1_7vsmem_tEENKUlT_SL_SM_SN_E_clIS8_S8_S9_S9_EESK_S10_SL_SM_SN_EUlS10_E1_NS1_11comp_targetILNS1_3genE10ELNS1_11target_archE1201ELNS1_3gpuE5ELNS1_3repE0EEENS1_36merge_oddeven_config_static_selectorELNS0_4arch9wavefront6targetE1EEEvSM_.uses_vcc, 0
	.set _ZN7rocprim17ROCPRIM_400000_NS6detail17trampoline_kernelINS0_14default_configENS1_38merge_sort_block_merge_config_selectorIlNS0_10empty_typeEEEZZNS1_27merge_sort_block_merge_implIS3_PlPS5_mZN2at6native12_GLOBAL__N_124unique_dim_cuda_templateIjEESt5tupleIJNSA_6TensorESF_SF_EERKSF_lbbbEUlllE_EE10hipError_tT0_T1_T2_jT3_P12ihipStream_tbPNSt15iterator_traitsISL_E10value_typeEPNSR_ISM_E10value_typeEPSN_NS1_7vsmem_tEENKUlT_SL_SM_SN_E_clIS8_S8_S9_S9_EESK_S10_SL_SM_SN_EUlS10_E1_NS1_11comp_targetILNS1_3genE10ELNS1_11target_archE1201ELNS1_3gpuE5ELNS1_3repE0EEENS1_36merge_oddeven_config_static_selectorELNS0_4arch9wavefront6targetE1EEEvSM_.uses_flat_scratch, 0
	.set _ZN7rocprim17ROCPRIM_400000_NS6detail17trampoline_kernelINS0_14default_configENS1_38merge_sort_block_merge_config_selectorIlNS0_10empty_typeEEEZZNS1_27merge_sort_block_merge_implIS3_PlPS5_mZN2at6native12_GLOBAL__N_124unique_dim_cuda_templateIjEESt5tupleIJNSA_6TensorESF_SF_EERKSF_lbbbEUlllE_EE10hipError_tT0_T1_T2_jT3_P12ihipStream_tbPNSt15iterator_traitsISL_E10value_typeEPNSR_ISM_E10value_typeEPSN_NS1_7vsmem_tEENKUlT_SL_SM_SN_E_clIS8_S8_S9_S9_EESK_S10_SL_SM_SN_EUlS10_E1_NS1_11comp_targetILNS1_3genE10ELNS1_11target_archE1201ELNS1_3gpuE5ELNS1_3repE0EEENS1_36merge_oddeven_config_static_selectorELNS0_4arch9wavefront6targetE1EEEvSM_.has_dyn_sized_stack, 0
	.set _ZN7rocprim17ROCPRIM_400000_NS6detail17trampoline_kernelINS0_14default_configENS1_38merge_sort_block_merge_config_selectorIlNS0_10empty_typeEEEZZNS1_27merge_sort_block_merge_implIS3_PlPS5_mZN2at6native12_GLOBAL__N_124unique_dim_cuda_templateIjEESt5tupleIJNSA_6TensorESF_SF_EERKSF_lbbbEUlllE_EE10hipError_tT0_T1_T2_jT3_P12ihipStream_tbPNSt15iterator_traitsISL_E10value_typeEPNSR_ISM_E10value_typeEPSN_NS1_7vsmem_tEENKUlT_SL_SM_SN_E_clIS8_S8_S9_S9_EESK_S10_SL_SM_SN_EUlS10_E1_NS1_11comp_targetILNS1_3genE10ELNS1_11target_archE1201ELNS1_3gpuE5ELNS1_3repE0EEENS1_36merge_oddeven_config_static_selectorELNS0_4arch9wavefront6targetE1EEEvSM_.has_recursion, 0
	.set _ZN7rocprim17ROCPRIM_400000_NS6detail17trampoline_kernelINS0_14default_configENS1_38merge_sort_block_merge_config_selectorIlNS0_10empty_typeEEEZZNS1_27merge_sort_block_merge_implIS3_PlPS5_mZN2at6native12_GLOBAL__N_124unique_dim_cuda_templateIjEESt5tupleIJNSA_6TensorESF_SF_EERKSF_lbbbEUlllE_EE10hipError_tT0_T1_T2_jT3_P12ihipStream_tbPNSt15iterator_traitsISL_E10value_typeEPNSR_ISM_E10value_typeEPSN_NS1_7vsmem_tEENKUlT_SL_SM_SN_E_clIS8_S8_S9_S9_EESK_S10_SL_SM_SN_EUlS10_E1_NS1_11comp_targetILNS1_3genE10ELNS1_11target_archE1201ELNS1_3gpuE5ELNS1_3repE0EEENS1_36merge_oddeven_config_static_selectorELNS0_4arch9wavefront6targetE1EEEvSM_.has_indirect_call, 0
	.section	.AMDGPU.csdata,"",@progbits
; Kernel info:
; codeLenInByte = 0
; TotalNumSgprs: 6
; NumVgprs: 0
; NumAgprs: 0
; TotalNumVgprs: 0
; ScratchSize: 0
; MemoryBound: 0
; FloatMode: 240
; IeeeMode: 1
; LDSByteSize: 0 bytes/workgroup (compile time only)
; SGPRBlocks: 0
; VGPRBlocks: 0
; NumSGPRsForWavesPerEU: 6
; NumVGPRsForWavesPerEU: 1
; AccumOffset: 4
; Occupancy: 8
; WaveLimiterHint : 0
; COMPUTE_PGM_RSRC2:SCRATCH_EN: 0
; COMPUTE_PGM_RSRC2:USER_SGPR: 2
; COMPUTE_PGM_RSRC2:TRAP_HANDLER: 0
; COMPUTE_PGM_RSRC2:TGID_X_EN: 1
; COMPUTE_PGM_RSRC2:TGID_Y_EN: 0
; COMPUTE_PGM_RSRC2:TGID_Z_EN: 0
; COMPUTE_PGM_RSRC2:TIDIG_COMP_CNT: 0
; COMPUTE_PGM_RSRC3_GFX90A:ACCUM_OFFSET: 0
; COMPUTE_PGM_RSRC3_GFX90A:TG_SPLIT: 0
	.section	.text._ZN7rocprim17ROCPRIM_400000_NS6detail17trampoline_kernelINS0_14default_configENS1_38merge_sort_block_merge_config_selectorIlNS0_10empty_typeEEEZZNS1_27merge_sort_block_merge_implIS3_PlPS5_mZN2at6native12_GLOBAL__N_124unique_dim_cuda_templateIjEESt5tupleIJNSA_6TensorESF_SF_EERKSF_lbbbEUlllE_EE10hipError_tT0_T1_T2_jT3_P12ihipStream_tbPNSt15iterator_traitsISL_E10value_typeEPNSR_ISM_E10value_typeEPSN_NS1_7vsmem_tEENKUlT_SL_SM_SN_E_clIS8_S8_S9_S9_EESK_S10_SL_SM_SN_EUlS10_E1_NS1_11comp_targetILNS1_3genE5ELNS1_11target_archE942ELNS1_3gpuE9ELNS1_3repE0EEENS1_36merge_oddeven_config_static_selectorELNS0_4arch9wavefront6targetE1EEEvSM_,"axG",@progbits,_ZN7rocprim17ROCPRIM_400000_NS6detail17trampoline_kernelINS0_14default_configENS1_38merge_sort_block_merge_config_selectorIlNS0_10empty_typeEEEZZNS1_27merge_sort_block_merge_implIS3_PlPS5_mZN2at6native12_GLOBAL__N_124unique_dim_cuda_templateIjEESt5tupleIJNSA_6TensorESF_SF_EERKSF_lbbbEUlllE_EE10hipError_tT0_T1_T2_jT3_P12ihipStream_tbPNSt15iterator_traitsISL_E10value_typeEPNSR_ISM_E10value_typeEPSN_NS1_7vsmem_tEENKUlT_SL_SM_SN_E_clIS8_S8_S9_S9_EESK_S10_SL_SM_SN_EUlS10_E1_NS1_11comp_targetILNS1_3genE5ELNS1_11target_archE942ELNS1_3gpuE9ELNS1_3repE0EEENS1_36merge_oddeven_config_static_selectorELNS0_4arch9wavefront6targetE1EEEvSM_,comdat
	.globl	_ZN7rocprim17ROCPRIM_400000_NS6detail17trampoline_kernelINS0_14default_configENS1_38merge_sort_block_merge_config_selectorIlNS0_10empty_typeEEEZZNS1_27merge_sort_block_merge_implIS3_PlPS5_mZN2at6native12_GLOBAL__N_124unique_dim_cuda_templateIjEESt5tupleIJNSA_6TensorESF_SF_EERKSF_lbbbEUlllE_EE10hipError_tT0_T1_T2_jT3_P12ihipStream_tbPNSt15iterator_traitsISL_E10value_typeEPNSR_ISM_E10value_typeEPSN_NS1_7vsmem_tEENKUlT_SL_SM_SN_E_clIS8_S8_S9_S9_EESK_S10_SL_SM_SN_EUlS10_E1_NS1_11comp_targetILNS1_3genE5ELNS1_11target_archE942ELNS1_3gpuE9ELNS1_3repE0EEENS1_36merge_oddeven_config_static_selectorELNS0_4arch9wavefront6targetE1EEEvSM_ ; -- Begin function _ZN7rocprim17ROCPRIM_400000_NS6detail17trampoline_kernelINS0_14default_configENS1_38merge_sort_block_merge_config_selectorIlNS0_10empty_typeEEEZZNS1_27merge_sort_block_merge_implIS3_PlPS5_mZN2at6native12_GLOBAL__N_124unique_dim_cuda_templateIjEESt5tupleIJNSA_6TensorESF_SF_EERKSF_lbbbEUlllE_EE10hipError_tT0_T1_T2_jT3_P12ihipStream_tbPNSt15iterator_traitsISL_E10value_typeEPNSR_ISM_E10value_typeEPSN_NS1_7vsmem_tEENKUlT_SL_SM_SN_E_clIS8_S8_S9_S9_EESK_S10_SL_SM_SN_EUlS10_E1_NS1_11comp_targetILNS1_3genE5ELNS1_11target_archE942ELNS1_3gpuE9ELNS1_3repE0EEENS1_36merge_oddeven_config_static_selectorELNS0_4arch9wavefront6targetE1EEEvSM_
	.p2align	8
	.type	_ZN7rocprim17ROCPRIM_400000_NS6detail17trampoline_kernelINS0_14default_configENS1_38merge_sort_block_merge_config_selectorIlNS0_10empty_typeEEEZZNS1_27merge_sort_block_merge_implIS3_PlPS5_mZN2at6native12_GLOBAL__N_124unique_dim_cuda_templateIjEESt5tupleIJNSA_6TensorESF_SF_EERKSF_lbbbEUlllE_EE10hipError_tT0_T1_T2_jT3_P12ihipStream_tbPNSt15iterator_traitsISL_E10value_typeEPNSR_ISM_E10value_typeEPSN_NS1_7vsmem_tEENKUlT_SL_SM_SN_E_clIS8_S8_S9_S9_EESK_S10_SL_SM_SN_EUlS10_E1_NS1_11comp_targetILNS1_3genE5ELNS1_11target_archE942ELNS1_3gpuE9ELNS1_3repE0EEENS1_36merge_oddeven_config_static_selectorELNS0_4arch9wavefront6targetE1EEEvSM_,@function
_ZN7rocprim17ROCPRIM_400000_NS6detail17trampoline_kernelINS0_14default_configENS1_38merge_sort_block_merge_config_selectorIlNS0_10empty_typeEEEZZNS1_27merge_sort_block_merge_implIS3_PlPS5_mZN2at6native12_GLOBAL__N_124unique_dim_cuda_templateIjEESt5tupleIJNSA_6TensorESF_SF_EERKSF_lbbbEUlllE_EE10hipError_tT0_T1_T2_jT3_P12ihipStream_tbPNSt15iterator_traitsISL_E10value_typeEPNSR_ISM_E10value_typeEPSN_NS1_7vsmem_tEENKUlT_SL_SM_SN_E_clIS8_S8_S9_S9_EESK_S10_SL_SM_SN_EUlS10_E1_NS1_11comp_targetILNS1_3genE5ELNS1_11target_archE942ELNS1_3gpuE9ELNS1_3repE0EEENS1_36merge_oddeven_config_static_selectorELNS0_4arch9wavefront6targetE1EEEvSM_: ; @_ZN7rocprim17ROCPRIM_400000_NS6detail17trampoline_kernelINS0_14default_configENS1_38merge_sort_block_merge_config_selectorIlNS0_10empty_typeEEEZZNS1_27merge_sort_block_merge_implIS3_PlPS5_mZN2at6native12_GLOBAL__N_124unique_dim_cuda_templateIjEESt5tupleIJNSA_6TensorESF_SF_EERKSF_lbbbEUlllE_EE10hipError_tT0_T1_T2_jT3_P12ihipStream_tbPNSt15iterator_traitsISL_E10value_typeEPNSR_ISM_E10value_typeEPSN_NS1_7vsmem_tEENKUlT_SL_SM_SN_E_clIS8_S8_S9_S9_EESK_S10_SL_SM_SN_EUlS10_E1_NS1_11comp_targetILNS1_3genE5ELNS1_11target_archE942ELNS1_3gpuE9ELNS1_3repE0EEENS1_36merge_oddeven_config_static_selectorELNS0_4arch9wavefront6targetE1EEEvSM_
; %bb.0:
	.section	.rodata,"a",@progbits
	.p2align	6, 0x0
	.amdhsa_kernel _ZN7rocprim17ROCPRIM_400000_NS6detail17trampoline_kernelINS0_14default_configENS1_38merge_sort_block_merge_config_selectorIlNS0_10empty_typeEEEZZNS1_27merge_sort_block_merge_implIS3_PlPS5_mZN2at6native12_GLOBAL__N_124unique_dim_cuda_templateIjEESt5tupleIJNSA_6TensorESF_SF_EERKSF_lbbbEUlllE_EE10hipError_tT0_T1_T2_jT3_P12ihipStream_tbPNSt15iterator_traitsISL_E10value_typeEPNSR_ISM_E10value_typeEPSN_NS1_7vsmem_tEENKUlT_SL_SM_SN_E_clIS8_S8_S9_S9_EESK_S10_SL_SM_SN_EUlS10_E1_NS1_11comp_targetILNS1_3genE5ELNS1_11target_archE942ELNS1_3gpuE9ELNS1_3repE0EEENS1_36merge_oddeven_config_static_selectorELNS0_4arch9wavefront6targetE1EEEvSM_
		.amdhsa_group_segment_fixed_size 0
		.amdhsa_private_segment_fixed_size 0
		.amdhsa_kernarg_size 64
		.amdhsa_user_sgpr_count 2
		.amdhsa_user_sgpr_dispatch_ptr 0
		.amdhsa_user_sgpr_queue_ptr 0
		.amdhsa_user_sgpr_kernarg_segment_ptr 1
		.amdhsa_user_sgpr_dispatch_id 0
		.amdhsa_user_sgpr_kernarg_preload_length 0
		.amdhsa_user_sgpr_kernarg_preload_offset 0
		.amdhsa_user_sgpr_private_segment_size 0
		.amdhsa_uses_dynamic_stack 0
		.amdhsa_enable_private_segment 0
		.amdhsa_system_sgpr_workgroup_id_x 1
		.amdhsa_system_sgpr_workgroup_id_y 0
		.amdhsa_system_sgpr_workgroup_id_z 0
		.amdhsa_system_sgpr_workgroup_info 0
		.amdhsa_system_vgpr_workitem_id 0
		.amdhsa_next_free_vgpr 1
		.amdhsa_next_free_sgpr 0
		.amdhsa_accum_offset 4
		.amdhsa_reserve_vcc 0
		.amdhsa_float_round_mode_32 0
		.amdhsa_float_round_mode_16_64 0
		.amdhsa_float_denorm_mode_32 3
		.amdhsa_float_denorm_mode_16_64 3
		.amdhsa_dx10_clamp 1
		.amdhsa_ieee_mode 1
		.amdhsa_fp16_overflow 0
		.amdhsa_tg_split 0
		.amdhsa_exception_fp_ieee_invalid_op 0
		.amdhsa_exception_fp_denorm_src 0
		.amdhsa_exception_fp_ieee_div_zero 0
		.amdhsa_exception_fp_ieee_overflow 0
		.amdhsa_exception_fp_ieee_underflow 0
		.amdhsa_exception_fp_ieee_inexact 0
		.amdhsa_exception_int_div_zero 0
	.end_amdhsa_kernel
	.section	.text._ZN7rocprim17ROCPRIM_400000_NS6detail17trampoline_kernelINS0_14default_configENS1_38merge_sort_block_merge_config_selectorIlNS0_10empty_typeEEEZZNS1_27merge_sort_block_merge_implIS3_PlPS5_mZN2at6native12_GLOBAL__N_124unique_dim_cuda_templateIjEESt5tupleIJNSA_6TensorESF_SF_EERKSF_lbbbEUlllE_EE10hipError_tT0_T1_T2_jT3_P12ihipStream_tbPNSt15iterator_traitsISL_E10value_typeEPNSR_ISM_E10value_typeEPSN_NS1_7vsmem_tEENKUlT_SL_SM_SN_E_clIS8_S8_S9_S9_EESK_S10_SL_SM_SN_EUlS10_E1_NS1_11comp_targetILNS1_3genE5ELNS1_11target_archE942ELNS1_3gpuE9ELNS1_3repE0EEENS1_36merge_oddeven_config_static_selectorELNS0_4arch9wavefront6targetE1EEEvSM_,"axG",@progbits,_ZN7rocprim17ROCPRIM_400000_NS6detail17trampoline_kernelINS0_14default_configENS1_38merge_sort_block_merge_config_selectorIlNS0_10empty_typeEEEZZNS1_27merge_sort_block_merge_implIS3_PlPS5_mZN2at6native12_GLOBAL__N_124unique_dim_cuda_templateIjEESt5tupleIJNSA_6TensorESF_SF_EERKSF_lbbbEUlllE_EE10hipError_tT0_T1_T2_jT3_P12ihipStream_tbPNSt15iterator_traitsISL_E10value_typeEPNSR_ISM_E10value_typeEPSN_NS1_7vsmem_tEENKUlT_SL_SM_SN_E_clIS8_S8_S9_S9_EESK_S10_SL_SM_SN_EUlS10_E1_NS1_11comp_targetILNS1_3genE5ELNS1_11target_archE942ELNS1_3gpuE9ELNS1_3repE0EEENS1_36merge_oddeven_config_static_selectorELNS0_4arch9wavefront6targetE1EEEvSM_,comdat
.Lfunc_end1510:
	.size	_ZN7rocprim17ROCPRIM_400000_NS6detail17trampoline_kernelINS0_14default_configENS1_38merge_sort_block_merge_config_selectorIlNS0_10empty_typeEEEZZNS1_27merge_sort_block_merge_implIS3_PlPS5_mZN2at6native12_GLOBAL__N_124unique_dim_cuda_templateIjEESt5tupleIJNSA_6TensorESF_SF_EERKSF_lbbbEUlllE_EE10hipError_tT0_T1_T2_jT3_P12ihipStream_tbPNSt15iterator_traitsISL_E10value_typeEPNSR_ISM_E10value_typeEPSN_NS1_7vsmem_tEENKUlT_SL_SM_SN_E_clIS8_S8_S9_S9_EESK_S10_SL_SM_SN_EUlS10_E1_NS1_11comp_targetILNS1_3genE5ELNS1_11target_archE942ELNS1_3gpuE9ELNS1_3repE0EEENS1_36merge_oddeven_config_static_selectorELNS0_4arch9wavefront6targetE1EEEvSM_, .Lfunc_end1510-_ZN7rocprim17ROCPRIM_400000_NS6detail17trampoline_kernelINS0_14default_configENS1_38merge_sort_block_merge_config_selectorIlNS0_10empty_typeEEEZZNS1_27merge_sort_block_merge_implIS3_PlPS5_mZN2at6native12_GLOBAL__N_124unique_dim_cuda_templateIjEESt5tupleIJNSA_6TensorESF_SF_EERKSF_lbbbEUlllE_EE10hipError_tT0_T1_T2_jT3_P12ihipStream_tbPNSt15iterator_traitsISL_E10value_typeEPNSR_ISM_E10value_typeEPSN_NS1_7vsmem_tEENKUlT_SL_SM_SN_E_clIS8_S8_S9_S9_EESK_S10_SL_SM_SN_EUlS10_E1_NS1_11comp_targetILNS1_3genE5ELNS1_11target_archE942ELNS1_3gpuE9ELNS1_3repE0EEENS1_36merge_oddeven_config_static_selectorELNS0_4arch9wavefront6targetE1EEEvSM_
                                        ; -- End function
	.set _ZN7rocprim17ROCPRIM_400000_NS6detail17trampoline_kernelINS0_14default_configENS1_38merge_sort_block_merge_config_selectorIlNS0_10empty_typeEEEZZNS1_27merge_sort_block_merge_implIS3_PlPS5_mZN2at6native12_GLOBAL__N_124unique_dim_cuda_templateIjEESt5tupleIJNSA_6TensorESF_SF_EERKSF_lbbbEUlllE_EE10hipError_tT0_T1_T2_jT3_P12ihipStream_tbPNSt15iterator_traitsISL_E10value_typeEPNSR_ISM_E10value_typeEPSN_NS1_7vsmem_tEENKUlT_SL_SM_SN_E_clIS8_S8_S9_S9_EESK_S10_SL_SM_SN_EUlS10_E1_NS1_11comp_targetILNS1_3genE5ELNS1_11target_archE942ELNS1_3gpuE9ELNS1_3repE0EEENS1_36merge_oddeven_config_static_selectorELNS0_4arch9wavefront6targetE1EEEvSM_.num_vgpr, 0
	.set _ZN7rocprim17ROCPRIM_400000_NS6detail17trampoline_kernelINS0_14default_configENS1_38merge_sort_block_merge_config_selectorIlNS0_10empty_typeEEEZZNS1_27merge_sort_block_merge_implIS3_PlPS5_mZN2at6native12_GLOBAL__N_124unique_dim_cuda_templateIjEESt5tupleIJNSA_6TensorESF_SF_EERKSF_lbbbEUlllE_EE10hipError_tT0_T1_T2_jT3_P12ihipStream_tbPNSt15iterator_traitsISL_E10value_typeEPNSR_ISM_E10value_typeEPSN_NS1_7vsmem_tEENKUlT_SL_SM_SN_E_clIS8_S8_S9_S9_EESK_S10_SL_SM_SN_EUlS10_E1_NS1_11comp_targetILNS1_3genE5ELNS1_11target_archE942ELNS1_3gpuE9ELNS1_3repE0EEENS1_36merge_oddeven_config_static_selectorELNS0_4arch9wavefront6targetE1EEEvSM_.num_agpr, 0
	.set _ZN7rocprim17ROCPRIM_400000_NS6detail17trampoline_kernelINS0_14default_configENS1_38merge_sort_block_merge_config_selectorIlNS0_10empty_typeEEEZZNS1_27merge_sort_block_merge_implIS3_PlPS5_mZN2at6native12_GLOBAL__N_124unique_dim_cuda_templateIjEESt5tupleIJNSA_6TensorESF_SF_EERKSF_lbbbEUlllE_EE10hipError_tT0_T1_T2_jT3_P12ihipStream_tbPNSt15iterator_traitsISL_E10value_typeEPNSR_ISM_E10value_typeEPSN_NS1_7vsmem_tEENKUlT_SL_SM_SN_E_clIS8_S8_S9_S9_EESK_S10_SL_SM_SN_EUlS10_E1_NS1_11comp_targetILNS1_3genE5ELNS1_11target_archE942ELNS1_3gpuE9ELNS1_3repE0EEENS1_36merge_oddeven_config_static_selectorELNS0_4arch9wavefront6targetE1EEEvSM_.numbered_sgpr, 0
	.set _ZN7rocprim17ROCPRIM_400000_NS6detail17trampoline_kernelINS0_14default_configENS1_38merge_sort_block_merge_config_selectorIlNS0_10empty_typeEEEZZNS1_27merge_sort_block_merge_implIS3_PlPS5_mZN2at6native12_GLOBAL__N_124unique_dim_cuda_templateIjEESt5tupleIJNSA_6TensorESF_SF_EERKSF_lbbbEUlllE_EE10hipError_tT0_T1_T2_jT3_P12ihipStream_tbPNSt15iterator_traitsISL_E10value_typeEPNSR_ISM_E10value_typeEPSN_NS1_7vsmem_tEENKUlT_SL_SM_SN_E_clIS8_S8_S9_S9_EESK_S10_SL_SM_SN_EUlS10_E1_NS1_11comp_targetILNS1_3genE5ELNS1_11target_archE942ELNS1_3gpuE9ELNS1_3repE0EEENS1_36merge_oddeven_config_static_selectorELNS0_4arch9wavefront6targetE1EEEvSM_.num_named_barrier, 0
	.set _ZN7rocprim17ROCPRIM_400000_NS6detail17trampoline_kernelINS0_14default_configENS1_38merge_sort_block_merge_config_selectorIlNS0_10empty_typeEEEZZNS1_27merge_sort_block_merge_implIS3_PlPS5_mZN2at6native12_GLOBAL__N_124unique_dim_cuda_templateIjEESt5tupleIJNSA_6TensorESF_SF_EERKSF_lbbbEUlllE_EE10hipError_tT0_T1_T2_jT3_P12ihipStream_tbPNSt15iterator_traitsISL_E10value_typeEPNSR_ISM_E10value_typeEPSN_NS1_7vsmem_tEENKUlT_SL_SM_SN_E_clIS8_S8_S9_S9_EESK_S10_SL_SM_SN_EUlS10_E1_NS1_11comp_targetILNS1_3genE5ELNS1_11target_archE942ELNS1_3gpuE9ELNS1_3repE0EEENS1_36merge_oddeven_config_static_selectorELNS0_4arch9wavefront6targetE1EEEvSM_.private_seg_size, 0
	.set _ZN7rocprim17ROCPRIM_400000_NS6detail17trampoline_kernelINS0_14default_configENS1_38merge_sort_block_merge_config_selectorIlNS0_10empty_typeEEEZZNS1_27merge_sort_block_merge_implIS3_PlPS5_mZN2at6native12_GLOBAL__N_124unique_dim_cuda_templateIjEESt5tupleIJNSA_6TensorESF_SF_EERKSF_lbbbEUlllE_EE10hipError_tT0_T1_T2_jT3_P12ihipStream_tbPNSt15iterator_traitsISL_E10value_typeEPNSR_ISM_E10value_typeEPSN_NS1_7vsmem_tEENKUlT_SL_SM_SN_E_clIS8_S8_S9_S9_EESK_S10_SL_SM_SN_EUlS10_E1_NS1_11comp_targetILNS1_3genE5ELNS1_11target_archE942ELNS1_3gpuE9ELNS1_3repE0EEENS1_36merge_oddeven_config_static_selectorELNS0_4arch9wavefront6targetE1EEEvSM_.uses_vcc, 0
	.set _ZN7rocprim17ROCPRIM_400000_NS6detail17trampoline_kernelINS0_14default_configENS1_38merge_sort_block_merge_config_selectorIlNS0_10empty_typeEEEZZNS1_27merge_sort_block_merge_implIS3_PlPS5_mZN2at6native12_GLOBAL__N_124unique_dim_cuda_templateIjEESt5tupleIJNSA_6TensorESF_SF_EERKSF_lbbbEUlllE_EE10hipError_tT0_T1_T2_jT3_P12ihipStream_tbPNSt15iterator_traitsISL_E10value_typeEPNSR_ISM_E10value_typeEPSN_NS1_7vsmem_tEENKUlT_SL_SM_SN_E_clIS8_S8_S9_S9_EESK_S10_SL_SM_SN_EUlS10_E1_NS1_11comp_targetILNS1_3genE5ELNS1_11target_archE942ELNS1_3gpuE9ELNS1_3repE0EEENS1_36merge_oddeven_config_static_selectorELNS0_4arch9wavefront6targetE1EEEvSM_.uses_flat_scratch, 0
	.set _ZN7rocprim17ROCPRIM_400000_NS6detail17trampoline_kernelINS0_14default_configENS1_38merge_sort_block_merge_config_selectorIlNS0_10empty_typeEEEZZNS1_27merge_sort_block_merge_implIS3_PlPS5_mZN2at6native12_GLOBAL__N_124unique_dim_cuda_templateIjEESt5tupleIJNSA_6TensorESF_SF_EERKSF_lbbbEUlllE_EE10hipError_tT0_T1_T2_jT3_P12ihipStream_tbPNSt15iterator_traitsISL_E10value_typeEPNSR_ISM_E10value_typeEPSN_NS1_7vsmem_tEENKUlT_SL_SM_SN_E_clIS8_S8_S9_S9_EESK_S10_SL_SM_SN_EUlS10_E1_NS1_11comp_targetILNS1_3genE5ELNS1_11target_archE942ELNS1_3gpuE9ELNS1_3repE0EEENS1_36merge_oddeven_config_static_selectorELNS0_4arch9wavefront6targetE1EEEvSM_.has_dyn_sized_stack, 0
	.set _ZN7rocprim17ROCPRIM_400000_NS6detail17trampoline_kernelINS0_14default_configENS1_38merge_sort_block_merge_config_selectorIlNS0_10empty_typeEEEZZNS1_27merge_sort_block_merge_implIS3_PlPS5_mZN2at6native12_GLOBAL__N_124unique_dim_cuda_templateIjEESt5tupleIJNSA_6TensorESF_SF_EERKSF_lbbbEUlllE_EE10hipError_tT0_T1_T2_jT3_P12ihipStream_tbPNSt15iterator_traitsISL_E10value_typeEPNSR_ISM_E10value_typeEPSN_NS1_7vsmem_tEENKUlT_SL_SM_SN_E_clIS8_S8_S9_S9_EESK_S10_SL_SM_SN_EUlS10_E1_NS1_11comp_targetILNS1_3genE5ELNS1_11target_archE942ELNS1_3gpuE9ELNS1_3repE0EEENS1_36merge_oddeven_config_static_selectorELNS0_4arch9wavefront6targetE1EEEvSM_.has_recursion, 0
	.set _ZN7rocprim17ROCPRIM_400000_NS6detail17trampoline_kernelINS0_14default_configENS1_38merge_sort_block_merge_config_selectorIlNS0_10empty_typeEEEZZNS1_27merge_sort_block_merge_implIS3_PlPS5_mZN2at6native12_GLOBAL__N_124unique_dim_cuda_templateIjEESt5tupleIJNSA_6TensorESF_SF_EERKSF_lbbbEUlllE_EE10hipError_tT0_T1_T2_jT3_P12ihipStream_tbPNSt15iterator_traitsISL_E10value_typeEPNSR_ISM_E10value_typeEPSN_NS1_7vsmem_tEENKUlT_SL_SM_SN_E_clIS8_S8_S9_S9_EESK_S10_SL_SM_SN_EUlS10_E1_NS1_11comp_targetILNS1_3genE5ELNS1_11target_archE942ELNS1_3gpuE9ELNS1_3repE0EEENS1_36merge_oddeven_config_static_selectorELNS0_4arch9wavefront6targetE1EEEvSM_.has_indirect_call, 0
	.section	.AMDGPU.csdata,"",@progbits
; Kernel info:
; codeLenInByte = 0
; TotalNumSgprs: 6
; NumVgprs: 0
; NumAgprs: 0
; TotalNumVgprs: 0
; ScratchSize: 0
; MemoryBound: 0
; FloatMode: 240
; IeeeMode: 1
; LDSByteSize: 0 bytes/workgroup (compile time only)
; SGPRBlocks: 0
; VGPRBlocks: 0
; NumSGPRsForWavesPerEU: 6
; NumVGPRsForWavesPerEU: 1
; AccumOffset: 4
; Occupancy: 8
; WaveLimiterHint : 0
; COMPUTE_PGM_RSRC2:SCRATCH_EN: 0
; COMPUTE_PGM_RSRC2:USER_SGPR: 2
; COMPUTE_PGM_RSRC2:TRAP_HANDLER: 0
; COMPUTE_PGM_RSRC2:TGID_X_EN: 1
; COMPUTE_PGM_RSRC2:TGID_Y_EN: 0
; COMPUTE_PGM_RSRC2:TGID_Z_EN: 0
; COMPUTE_PGM_RSRC2:TIDIG_COMP_CNT: 0
; COMPUTE_PGM_RSRC3_GFX90A:ACCUM_OFFSET: 0
; COMPUTE_PGM_RSRC3_GFX90A:TG_SPLIT: 0
	.section	.text._ZN7rocprim17ROCPRIM_400000_NS6detail17trampoline_kernelINS0_14default_configENS1_38merge_sort_block_merge_config_selectorIlNS0_10empty_typeEEEZZNS1_27merge_sort_block_merge_implIS3_PlPS5_mZN2at6native12_GLOBAL__N_124unique_dim_cuda_templateIjEESt5tupleIJNSA_6TensorESF_SF_EERKSF_lbbbEUlllE_EE10hipError_tT0_T1_T2_jT3_P12ihipStream_tbPNSt15iterator_traitsISL_E10value_typeEPNSR_ISM_E10value_typeEPSN_NS1_7vsmem_tEENKUlT_SL_SM_SN_E_clIS8_S8_S9_S9_EESK_S10_SL_SM_SN_EUlS10_E1_NS1_11comp_targetILNS1_3genE4ELNS1_11target_archE910ELNS1_3gpuE8ELNS1_3repE0EEENS1_36merge_oddeven_config_static_selectorELNS0_4arch9wavefront6targetE1EEEvSM_,"axG",@progbits,_ZN7rocprim17ROCPRIM_400000_NS6detail17trampoline_kernelINS0_14default_configENS1_38merge_sort_block_merge_config_selectorIlNS0_10empty_typeEEEZZNS1_27merge_sort_block_merge_implIS3_PlPS5_mZN2at6native12_GLOBAL__N_124unique_dim_cuda_templateIjEESt5tupleIJNSA_6TensorESF_SF_EERKSF_lbbbEUlllE_EE10hipError_tT0_T1_T2_jT3_P12ihipStream_tbPNSt15iterator_traitsISL_E10value_typeEPNSR_ISM_E10value_typeEPSN_NS1_7vsmem_tEENKUlT_SL_SM_SN_E_clIS8_S8_S9_S9_EESK_S10_SL_SM_SN_EUlS10_E1_NS1_11comp_targetILNS1_3genE4ELNS1_11target_archE910ELNS1_3gpuE8ELNS1_3repE0EEENS1_36merge_oddeven_config_static_selectorELNS0_4arch9wavefront6targetE1EEEvSM_,comdat
	.globl	_ZN7rocprim17ROCPRIM_400000_NS6detail17trampoline_kernelINS0_14default_configENS1_38merge_sort_block_merge_config_selectorIlNS0_10empty_typeEEEZZNS1_27merge_sort_block_merge_implIS3_PlPS5_mZN2at6native12_GLOBAL__N_124unique_dim_cuda_templateIjEESt5tupleIJNSA_6TensorESF_SF_EERKSF_lbbbEUlllE_EE10hipError_tT0_T1_T2_jT3_P12ihipStream_tbPNSt15iterator_traitsISL_E10value_typeEPNSR_ISM_E10value_typeEPSN_NS1_7vsmem_tEENKUlT_SL_SM_SN_E_clIS8_S8_S9_S9_EESK_S10_SL_SM_SN_EUlS10_E1_NS1_11comp_targetILNS1_3genE4ELNS1_11target_archE910ELNS1_3gpuE8ELNS1_3repE0EEENS1_36merge_oddeven_config_static_selectorELNS0_4arch9wavefront6targetE1EEEvSM_ ; -- Begin function _ZN7rocprim17ROCPRIM_400000_NS6detail17trampoline_kernelINS0_14default_configENS1_38merge_sort_block_merge_config_selectorIlNS0_10empty_typeEEEZZNS1_27merge_sort_block_merge_implIS3_PlPS5_mZN2at6native12_GLOBAL__N_124unique_dim_cuda_templateIjEESt5tupleIJNSA_6TensorESF_SF_EERKSF_lbbbEUlllE_EE10hipError_tT0_T1_T2_jT3_P12ihipStream_tbPNSt15iterator_traitsISL_E10value_typeEPNSR_ISM_E10value_typeEPSN_NS1_7vsmem_tEENKUlT_SL_SM_SN_E_clIS8_S8_S9_S9_EESK_S10_SL_SM_SN_EUlS10_E1_NS1_11comp_targetILNS1_3genE4ELNS1_11target_archE910ELNS1_3gpuE8ELNS1_3repE0EEENS1_36merge_oddeven_config_static_selectorELNS0_4arch9wavefront6targetE1EEEvSM_
	.p2align	8
	.type	_ZN7rocprim17ROCPRIM_400000_NS6detail17trampoline_kernelINS0_14default_configENS1_38merge_sort_block_merge_config_selectorIlNS0_10empty_typeEEEZZNS1_27merge_sort_block_merge_implIS3_PlPS5_mZN2at6native12_GLOBAL__N_124unique_dim_cuda_templateIjEESt5tupleIJNSA_6TensorESF_SF_EERKSF_lbbbEUlllE_EE10hipError_tT0_T1_T2_jT3_P12ihipStream_tbPNSt15iterator_traitsISL_E10value_typeEPNSR_ISM_E10value_typeEPSN_NS1_7vsmem_tEENKUlT_SL_SM_SN_E_clIS8_S8_S9_S9_EESK_S10_SL_SM_SN_EUlS10_E1_NS1_11comp_targetILNS1_3genE4ELNS1_11target_archE910ELNS1_3gpuE8ELNS1_3repE0EEENS1_36merge_oddeven_config_static_selectorELNS0_4arch9wavefront6targetE1EEEvSM_,@function
_ZN7rocprim17ROCPRIM_400000_NS6detail17trampoline_kernelINS0_14default_configENS1_38merge_sort_block_merge_config_selectorIlNS0_10empty_typeEEEZZNS1_27merge_sort_block_merge_implIS3_PlPS5_mZN2at6native12_GLOBAL__N_124unique_dim_cuda_templateIjEESt5tupleIJNSA_6TensorESF_SF_EERKSF_lbbbEUlllE_EE10hipError_tT0_T1_T2_jT3_P12ihipStream_tbPNSt15iterator_traitsISL_E10value_typeEPNSR_ISM_E10value_typeEPSN_NS1_7vsmem_tEENKUlT_SL_SM_SN_E_clIS8_S8_S9_S9_EESK_S10_SL_SM_SN_EUlS10_E1_NS1_11comp_targetILNS1_3genE4ELNS1_11target_archE910ELNS1_3gpuE8ELNS1_3repE0EEENS1_36merge_oddeven_config_static_selectorELNS0_4arch9wavefront6targetE1EEEvSM_: ; @_ZN7rocprim17ROCPRIM_400000_NS6detail17trampoline_kernelINS0_14default_configENS1_38merge_sort_block_merge_config_selectorIlNS0_10empty_typeEEEZZNS1_27merge_sort_block_merge_implIS3_PlPS5_mZN2at6native12_GLOBAL__N_124unique_dim_cuda_templateIjEESt5tupleIJNSA_6TensorESF_SF_EERKSF_lbbbEUlllE_EE10hipError_tT0_T1_T2_jT3_P12ihipStream_tbPNSt15iterator_traitsISL_E10value_typeEPNSR_ISM_E10value_typeEPSN_NS1_7vsmem_tEENKUlT_SL_SM_SN_E_clIS8_S8_S9_S9_EESK_S10_SL_SM_SN_EUlS10_E1_NS1_11comp_targetILNS1_3genE4ELNS1_11target_archE910ELNS1_3gpuE8ELNS1_3repE0EEENS1_36merge_oddeven_config_static_selectorELNS0_4arch9wavefront6targetE1EEEvSM_
; %bb.0:
	.section	.rodata,"a",@progbits
	.p2align	6, 0x0
	.amdhsa_kernel _ZN7rocprim17ROCPRIM_400000_NS6detail17trampoline_kernelINS0_14default_configENS1_38merge_sort_block_merge_config_selectorIlNS0_10empty_typeEEEZZNS1_27merge_sort_block_merge_implIS3_PlPS5_mZN2at6native12_GLOBAL__N_124unique_dim_cuda_templateIjEESt5tupleIJNSA_6TensorESF_SF_EERKSF_lbbbEUlllE_EE10hipError_tT0_T1_T2_jT3_P12ihipStream_tbPNSt15iterator_traitsISL_E10value_typeEPNSR_ISM_E10value_typeEPSN_NS1_7vsmem_tEENKUlT_SL_SM_SN_E_clIS8_S8_S9_S9_EESK_S10_SL_SM_SN_EUlS10_E1_NS1_11comp_targetILNS1_3genE4ELNS1_11target_archE910ELNS1_3gpuE8ELNS1_3repE0EEENS1_36merge_oddeven_config_static_selectorELNS0_4arch9wavefront6targetE1EEEvSM_
		.amdhsa_group_segment_fixed_size 0
		.amdhsa_private_segment_fixed_size 0
		.amdhsa_kernarg_size 64
		.amdhsa_user_sgpr_count 2
		.amdhsa_user_sgpr_dispatch_ptr 0
		.amdhsa_user_sgpr_queue_ptr 0
		.amdhsa_user_sgpr_kernarg_segment_ptr 1
		.amdhsa_user_sgpr_dispatch_id 0
		.amdhsa_user_sgpr_kernarg_preload_length 0
		.amdhsa_user_sgpr_kernarg_preload_offset 0
		.amdhsa_user_sgpr_private_segment_size 0
		.amdhsa_uses_dynamic_stack 0
		.amdhsa_enable_private_segment 0
		.amdhsa_system_sgpr_workgroup_id_x 1
		.amdhsa_system_sgpr_workgroup_id_y 0
		.amdhsa_system_sgpr_workgroup_id_z 0
		.amdhsa_system_sgpr_workgroup_info 0
		.amdhsa_system_vgpr_workitem_id 0
		.amdhsa_next_free_vgpr 1
		.amdhsa_next_free_sgpr 0
		.amdhsa_accum_offset 4
		.amdhsa_reserve_vcc 0
		.amdhsa_float_round_mode_32 0
		.amdhsa_float_round_mode_16_64 0
		.amdhsa_float_denorm_mode_32 3
		.amdhsa_float_denorm_mode_16_64 3
		.amdhsa_dx10_clamp 1
		.amdhsa_ieee_mode 1
		.amdhsa_fp16_overflow 0
		.amdhsa_tg_split 0
		.amdhsa_exception_fp_ieee_invalid_op 0
		.amdhsa_exception_fp_denorm_src 0
		.amdhsa_exception_fp_ieee_div_zero 0
		.amdhsa_exception_fp_ieee_overflow 0
		.amdhsa_exception_fp_ieee_underflow 0
		.amdhsa_exception_fp_ieee_inexact 0
		.amdhsa_exception_int_div_zero 0
	.end_amdhsa_kernel
	.section	.text._ZN7rocprim17ROCPRIM_400000_NS6detail17trampoline_kernelINS0_14default_configENS1_38merge_sort_block_merge_config_selectorIlNS0_10empty_typeEEEZZNS1_27merge_sort_block_merge_implIS3_PlPS5_mZN2at6native12_GLOBAL__N_124unique_dim_cuda_templateIjEESt5tupleIJNSA_6TensorESF_SF_EERKSF_lbbbEUlllE_EE10hipError_tT0_T1_T2_jT3_P12ihipStream_tbPNSt15iterator_traitsISL_E10value_typeEPNSR_ISM_E10value_typeEPSN_NS1_7vsmem_tEENKUlT_SL_SM_SN_E_clIS8_S8_S9_S9_EESK_S10_SL_SM_SN_EUlS10_E1_NS1_11comp_targetILNS1_3genE4ELNS1_11target_archE910ELNS1_3gpuE8ELNS1_3repE0EEENS1_36merge_oddeven_config_static_selectorELNS0_4arch9wavefront6targetE1EEEvSM_,"axG",@progbits,_ZN7rocprim17ROCPRIM_400000_NS6detail17trampoline_kernelINS0_14default_configENS1_38merge_sort_block_merge_config_selectorIlNS0_10empty_typeEEEZZNS1_27merge_sort_block_merge_implIS3_PlPS5_mZN2at6native12_GLOBAL__N_124unique_dim_cuda_templateIjEESt5tupleIJNSA_6TensorESF_SF_EERKSF_lbbbEUlllE_EE10hipError_tT0_T1_T2_jT3_P12ihipStream_tbPNSt15iterator_traitsISL_E10value_typeEPNSR_ISM_E10value_typeEPSN_NS1_7vsmem_tEENKUlT_SL_SM_SN_E_clIS8_S8_S9_S9_EESK_S10_SL_SM_SN_EUlS10_E1_NS1_11comp_targetILNS1_3genE4ELNS1_11target_archE910ELNS1_3gpuE8ELNS1_3repE0EEENS1_36merge_oddeven_config_static_selectorELNS0_4arch9wavefront6targetE1EEEvSM_,comdat
.Lfunc_end1511:
	.size	_ZN7rocprim17ROCPRIM_400000_NS6detail17trampoline_kernelINS0_14default_configENS1_38merge_sort_block_merge_config_selectorIlNS0_10empty_typeEEEZZNS1_27merge_sort_block_merge_implIS3_PlPS5_mZN2at6native12_GLOBAL__N_124unique_dim_cuda_templateIjEESt5tupleIJNSA_6TensorESF_SF_EERKSF_lbbbEUlllE_EE10hipError_tT0_T1_T2_jT3_P12ihipStream_tbPNSt15iterator_traitsISL_E10value_typeEPNSR_ISM_E10value_typeEPSN_NS1_7vsmem_tEENKUlT_SL_SM_SN_E_clIS8_S8_S9_S9_EESK_S10_SL_SM_SN_EUlS10_E1_NS1_11comp_targetILNS1_3genE4ELNS1_11target_archE910ELNS1_3gpuE8ELNS1_3repE0EEENS1_36merge_oddeven_config_static_selectorELNS0_4arch9wavefront6targetE1EEEvSM_, .Lfunc_end1511-_ZN7rocprim17ROCPRIM_400000_NS6detail17trampoline_kernelINS0_14default_configENS1_38merge_sort_block_merge_config_selectorIlNS0_10empty_typeEEEZZNS1_27merge_sort_block_merge_implIS3_PlPS5_mZN2at6native12_GLOBAL__N_124unique_dim_cuda_templateIjEESt5tupleIJNSA_6TensorESF_SF_EERKSF_lbbbEUlllE_EE10hipError_tT0_T1_T2_jT3_P12ihipStream_tbPNSt15iterator_traitsISL_E10value_typeEPNSR_ISM_E10value_typeEPSN_NS1_7vsmem_tEENKUlT_SL_SM_SN_E_clIS8_S8_S9_S9_EESK_S10_SL_SM_SN_EUlS10_E1_NS1_11comp_targetILNS1_3genE4ELNS1_11target_archE910ELNS1_3gpuE8ELNS1_3repE0EEENS1_36merge_oddeven_config_static_selectorELNS0_4arch9wavefront6targetE1EEEvSM_
                                        ; -- End function
	.set _ZN7rocprim17ROCPRIM_400000_NS6detail17trampoline_kernelINS0_14default_configENS1_38merge_sort_block_merge_config_selectorIlNS0_10empty_typeEEEZZNS1_27merge_sort_block_merge_implIS3_PlPS5_mZN2at6native12_GLOBAL__N_124unique_dim_cuda_templateIjEESt5tupleIJNSA_6TensorESF_SF_EERKSF_lbbbEUlllE_EE10hipError_tT0_T1_T2_jT3_P12ihipStream_tbPNSt15iterator_traitsISL_E10value_typeEPNSR_ISM_E10value_typeEPSN_NS1_7vsmem_tEENKUlT_SL_SM_SN_E_clIS8_S8_S9_S9_EESK_S10_SL_SM_SN_EUlS10_E1_NS1_11comp_targetILNS1_3genE4ELNS1_11target_archE910ELNS1_3gpuE8ELNS1_3repE0EEENS1_36merge_oddeven_config_static_selectorELNS0_4arch9wavefront6targetE1EEEvSM_.num_vgpr, 0
	.set _ZN7rocprim17ROCPRIM_400000_NS6detail17trampoline_kernelINS0_14default_configENS1_38merge_sort_block_merge_config_selectorIlNS0_10empty_typeEEEZZNS1_27merge_sort_block_merge_implIS3_PlPS5_mZN2at6native12_GLOBAL__N_124unique_dim_cuda_templateIjEESt5tupleIJNSA_6TensorESF_SF_EERKSF_lbbbEUlllE_EE10hipError_tT0_T1_T2_jT3_P12ihipStream_tbPNSt15iterator_traitsISL_E10value_typeEPNSR_ISM_E10value_typeEPSN_NS1_7vsmem_tEENKUlT_SL_SM_SN_E_clIS8_S8_S9_S9_EESK_S10_SL_SM_SN_EUlS10_E1_NS1_11comp_targetILNS1_3genE4ELNS1_11target_archE910ELNS1_3gpuE8ELNS1_3repE0EEENS1_36merge_oddeven_config_static_selectorELNS0_4arch9wavefront6targetE1EEEvSM_.num_agpr, 0
	.set _ZN7rocprim17ROCPRIM_400000_NS6detail17trampoline_kernelINS0_14default_configENS1_38merge_sort_block_merge_config_selectorIlNS0_10empty_typeEEEZZNS1_27merge_sort_block_merge_implIS3_PlPS5_mZN2at6native12_GLOBAL__N_124unique_dim_cuda_templateIjEESt5tupleIJNSA_6TensorESF_SF_EERKSF_lbbbEUlllE_EE10hipError_tT0_T1_T2_jT3_P12ihipStream_tbPNSt15iterator_traitsISL_E10value_typeEPNSR_ISM_E10value_typeEPSN_NS1_7vsmem_tEENKUlT_SL_SM_SN_E_clIS8_S8_S9_S9_EESK_S10_SL_SM_SN_EUlS10_E1_NS1_11comp_targetILNS1_3genE4ELNS1_11target_archE910ELNS1_3gpuE8ELNS1_3repE0EEENS1_36merge_oddeven_config_static_selectorELNS0_4arch9wavefront6targetE1EEEvSM_.numbered_sgpr, 0
	.set _ZN7rocprim17ROCPRIM_400000_NS6detail17trampoline_kernelINS0_14default_configENS1_38merge_sort_block_merge_config_selectorIlNS0_10empty_typeEEEZZNS1_27merge_sort_block_merge_implIS3_PlPS5_mZN2at6native12_GLOBAL__N_124unique_dim_cuda_templateIjEESt5tupleIJNSA_6TensorESF_SF_EERKSF_lbbbEUlllE_EE10hipError_tT0_T1_T2_jT3_P12ihipStream_tbPNSt15iterator_traitsISL_E10value_typeEPNSR_ISM_E10value_typeEPSN_NS1_7vsmem_tEENKUlT_SL_SM_SN_E_clIS8_S8_S9_S9_EESK_S10_SL_SM_SN_EUlS10_E1_NS1_11comp_targetILNS1_3genE4ELNS1_11target_archE910ELNS1_3gpuE8ELNS1_3repE0EEENS1_36merge_oddeven_config_static_selectorELNS0_4arch9wavefront6targetE1EEEvSM_.num_named_barrier, 0
	.set _ZN7rocprim17ROCPRIM_400000_NS6detail17trampoline_kernelINS0_14default_configENS1_38merge_sort_block_merge_config_selectorIlNS0_10empty_typeEEEZZNS1_27merge_sort_block_merge_implIS3_PlPS5_mZN2at6native12_GLOBAL__N_124unique_dim_cuda_templateIjEESt5tupleIJNSA_6TensorESF_SF_EERKSF_lbbbEUlllE_EE10hipError_tT0_T1_T2_jT3_P12ihipStream_tbPNSt15iterator_traitsISL_E10value_typeEPNSR_ISM_E10value_typeEPSN_NS1_7vsmem_tEENKUlT_SL_SM_SN_E_clIS8_S8_S9_S9_EESK_S10_SL_SM_SN_EUlS10_E1_NS1_11comp_targetILNS1_3genE4ELNS1_11target_archE910ELNS1_3gpuE8ELNS1_3repE0EEENS1_36merge_oddeven_config_static_selectorELNS0_4arch9wavefront6targetE1EEEvSM_.private_seg_size, 0
	.set _ZN7rocprim17ROCPRIM_400000_NS6detail17trampoline_kernelINS0_14default_configENS1_38merge_sort_block_merge_config_selectorIlNS0_10empty_typeEEEZZNS1_27merge_sort_block_merge_implIS3_PlPS5_mZN2at6native12_GLOBAL__N_124unique_dim_cuda_templateIjEESt5tupleIJNSA_6TensorESF_SF_EERKSF_lbbbEUlllE_EE10hipError_tT0_T1_T2_jT3_P12ihipStream_tbPNSt15iterator_traitsISL_E10value_typeEPNSR_ISM_E10value_typeEPSN_NS1_7vsmem_tEENKUlT_SL_SM_SN_E_clIS8_S8_S9_S9_EESK_S10_SL_SM_SN_EUlS10_E1_NS1_11comp_targetILNS1_3genE4ELNS1_11target_archE910ELNS1_3gpuE8ELNS1_3repE0EEENS1_36merge_oddeven_config_static_selectorELNS0_4arch9wavefront6targetE1EEEvSM_.uses_vcc, 0
	.set _ZN7rocprim17ROCPRIM_400000_NS6detail17trampoline_kernelINS0_14default_configENS1_38merge_sort_block_merge_config_selectorIlNS0_10empty_typeEEEZZNS1_27merge_sort_block_merge_implIS3_PlPS5_mZN2at6native12_GLOBAL__N_124unique_dim_cuda_templateIjEESt5tupleIJNSA_6TensorESF_SF_EERKSF_lbbbEUlllE_EE10hipError_tT0_T1_T2_jT3_P12ihipStream_tbPNSt15iterator_traitsISL_E10value_typeEPNSR_ISM_E10value_typeEPSN_NS1_7vsmem_tEENKUlT_SL_SM_SN_E_clIS8_S8_S9_S9_EESK_S10_SL_SM_SN_EUlS10_E1_NS1_11comp_targetILNS1_3genE4ELNS1_11target_archE910ELNS1_3gpuE8ELNS1_3repE0EEENS1_36merge_oddeven_config_static_selectorELNS0_4arch9wavefront6targetE1EEEvSM_.uses_flat_scratch, 0
	.set _ZN7rocprim17ROCPRIM_400000_NS6detail17trampoline_kernelINS0_14default_configENS1_38merge_sort_block_merge_config_selectorIlNS0_10empty_typeEEEZZNS1_27merge_sort_block_merge_implIS3_PlPS5_mZN2at6native12_GLOBAL__N_124unique_dim_cuda_templateIjEESt5tupleIJNSA_6TensorESF_SF_EERKSF_lbbbEUlllE_EE10hipError_tT0_T1_T2_jT3_P12ihipStream_tbPNSt15iterator_traitsISL_E10value_typeEPNSR_ISM_E10value_typeEPSN_NS1_7vsmem_tEENKUlT_SL_SM_SN_E_clIS8_S8_S9_S9_EESK_S10_SL_SM_SN_EUlS10_E1_NS1_11comp_targetILNS1_3genE4ELNS1_11target_archE910ELNS1_3gpuE8ELNS1_3repE0EEENS1_36merge_oddeven_config_static_selectorELNS0_4arch9wavefront6targetE1EEEvSM_.has_dyn_sized_stack, 0
	.set _ZN7rocprim17ROCPRIM_400000_NS6detail17trampoline_kernelINS0_14default_configENS1_38merge_sort_block_merge_config_selectorIlNS0_10empty_typeEEEZZNS1_27merge_sort_block_merge_implIS3_PlPS5_mZN2at6native12_GLOBAL__N_124unique_dim_cuda_templateIjEESt5tupleIJNSA_6TensorESF_SF_EERKSF_lbbbEUlllE_EE10hipError_tT0_T1_T2_jT3_P12ihipStream_tbPNSt15iterator_traitsISL_E10value_typeEPNSR_ISM_E10value_typeEPSN_NS1_7vsmem_tEENKUlT_SL_SM_SN_E_clIS8_S8_S9_S9_EESK_S10_SL_SM_SN_EUlS10_E1_NS1_11comp_targetILNS1_3genE4ELNS1_11target_archE910ELNS1_3gpuE8ELNS1_3repE0EEENS1_36merge_oddeven_config_static_selectorELNS0_4arch9wavefront6targetE1EEEvSM_.has_recursion, 0
	.set _ZN7rocprim17ROCPRIM_400000_NS6detail17trampoline_kernelINS0_14default_configENS1_38merge_sort_block_merge_config_selectorIlNS0_10empty_typeEEEZZNS1_27merge_sort_block_merge_implIS3_PlPS5_mZN2at6native12_GLOBAL__N_124unique_dim_cuda_templateIjEESt5tupleIJNSA_6TensorESF_SF_EERKSF_lbbbEUlllE_EE10hipError_tT0_T1_T2_jT3_P12ihipStream_tbPNSt15iterator_traitsISL_E10value_typeEPNSR_ISM_E10value_typeEPSN_NS1_7vsmem_tEENKUlT_SL_SM_SN_E_clIS8_S8_S9_S9_EESK_S10_SL_SM_SN_EUlS10_E1_NS1_11comp_targetILNS1_3genE4ELNS1_11target_archE910ELNS1_3gpuE8ELNS1_3repE0EEENS1_36merge_oddeven_config_static_selectorELNS0_4arch9wavefront6targetE1EEEvSM_.has_indirect_call, 0
	.section	.AMDGPU.csdata,"",@progbits
; Kernel info:
; codeLenInByte = 0
; TotalNumSgprs: 6
; NumVgprs: 0
; NumAgprs: 0
; TotalNumVgprs: 0
; ScratchSize: 0
; MemoryBound: 0
; FloatMode: 240
; IeeeMode: 1
; LDSByteSize: 0 bytes/workgroup (compile time only)
; SGPRBlocks: 0
; VGPRBlocks: 0
; NumSGPRsForWavesPerEU: 6
; NumVGPRsForWavesPerEU: 1
; AccumOffset: 4
; Occupancy: 8
; WaveLimiterHint : 0
; COMPUTE_PGM_RSRC2:SCRATCH_EN: 0
; COMPUTE_PGM_RSRC2:USER_SGPR: 2
; COMPUTE_PGM_RSRC2:TRAP_HANDLER: 0
; COMPUTE_PGM_RSRC2:TGID_X_EN: 1
; COMPUTE_PGM_RSRC2:TGID_Y_EN: 0
; COMPUTE_PGM_RSRC2:TGID_Z_EN: 0
; COMPUTE_PGM_RSRC2:TIDIG_COMP_CNT: 0
; COMPUTE_PGM_RSRC3_GFX90A:ACCUM_OFFSET: 0
; COMPUTE_PGM_RSRC3_GFX90A:TG_SPLIT: 0
	.section	.text._ZN7rocprim17ROCPRIM_400000_NS6detail17trampoline_kernelINS0_14default_configENS1_38merge_sort_block_merge_config_selectorIlNS0_10empty_typeEEEZZNS1_27merge_sort_block_merge_implIS3_PlPS5_mZN2at6native12_GLOBAL__N_124unique_dim_cuda_templateIjEESt5tupleIJNSA_6TensorESF_SF_EERKSF_lbbbEUlllE_EE10hipError_tT0_T1_T2_jT3_P12ihipStream_tbPNSt15iterator_traitsISL_E10value_typeEPNSR_ISM_E10value_typeEPSN_NS1_7vsmem_tEENKUlT_SL_SM_SN_E_clIS8_S8_S9_S9_EESK_S10_SL_SM_SN_EUlS10_E1_NS1_11comp_targetILNS1_3genE3ELNS1_11target_archE908ELNS1_3gpuE7ELNS1_3repE0EEENS1_36merge_oddeven_config_static_selectorELNS0_4arch9wavefront6targetE1EEEvSM_,"axG",@progbits,_ZN7rocprim17ROCPRIM_400000_NS6detail17trampoline_kernelINS0_14default_configENS1_38merge_sort_block_merge_config_selectorIlNS0_10empty_typeEEEZZNS1_27merge_sort_block_merge_implIS3_PlPS5_mZN2at6native12_GLOBAL__N_124unique_dim_cuda_templateIjEESt5tupleIJNSA_6TensorESF_SF_EERKSF_lbbbEUlllE_EE10hipError_tT0_T1_T2_jT3_P12ihipStream_tbPNSt15iterator_traitsISL_E10value_typeEPNSR_ISM_E10value_typeEPSN_NS1_7vsmem_tEENKUlT_SL_SM_SN_E_clIS8_S8_S9_S9_EESK_S10_SL_SM_SN_EUlS10_E1_NS1_11comp_targetILNS1_3genE3ELNS1_11target_archE908ELNS1_3gpuE7ELNS1_3repE0EEENS1_36merge_oddeven_config_static_selectorELNS0_4arch9wavefront6targetE1EEEvSM_,comdat
	.globl	_ZN7rocprim17ROCPRIM_400000_NS6detail17trampoline_kernelINS0_14default_configENS1_38merge_sort_block_merge_config_selectorIlNS0_10empty_typeEEEZZNS1_27merge_sort_block_merge_implIS3_PlPS5_mZN2at6native12_GLOBAL__N_124unique_dim_cuda_templateIjEESt5tupleIJNSA_6TensorESF_SF_EERKSF_lbbbEUlllE_EE10hipError_tT0_T1_T2_jT3_P12ihipStream_tbPNSt15iterator_traitsISL_E10value_typeEPNSR_ISM_E10value_typeEPSN_NS1_7vsmem_tEENKUlT_SL_SM_SN_E_clIS8_S8_S9_S9_EESK_S10_SL_SM_SN_EUlS10_E1_NS1_11comp_targetILNS1_3genE3ELNS1_11target_archE908ELNS1_3gpuE7ELNS1_3repE0EEENS1_36merge_oddeven_config_static_selectorELNS0_4arch9wavefront6targetE1EEEvSM_ ; -- Begin function _ZN7rocprim17ROCPRIM_400000_NS6detail17trampoline_kernelINS0_14default_configENS1_38merge_sort_block_merge_config_selectorIlNS0_10empty_typeEEEZZNS1_27merge_sort_block_merge_implIS3_PlPS5_mZN2at6native12_GLOBAL__N_124unique_dim_cuda_templateIjEESt5tupleIJNSA_6TensorESF_SF_EERKSF_lbbbEUlllE_EE10hipError_tT0_T1_T2_jT3_P12ihipStream_tbPNSt15iterator_traitsISL_E10value_typeEPNSR_ISM_E10value_typeEPSN_NS1_7vsmem_tEENKUlT_SL_SM_SN_E_clIS8_S8_S9_S9_EESK_S10_SL_SM_SN_EUlS10_E1_NS1_11comp_targetILNS1_3genE3ELNS1_11target_archE908ELNS1_3gpuE7ELNS1_3repE0EEENS1_36merge_oddeven_config_static_selectorELNS0_4arch9wavefront6targetE1EEEvSM_
	.p2align	8
	.type	_ZN7rocprim17ROCPRIM_400000_NS6detail17trampoline_kernelINS0_14default_configENS1_38merge_sort_block_merge_config_selectorIlNS0_10empty_typeEEEZZNS1_27merge_sort_block_merge_implIS3_PlPS5_mZN2at6native12_GLOBAL__N_124unique_dim_cuda_templateIjEESt5tupleIJNSA_6TensorESF_SF_EERKSF_lbbbEUlllE_EE10hipError_tT0_T1_T2_jT3_P12ihipStream_tbPNSt15iterator_traitsISL_E10value_typeEPNSR_ISM_E10value_typeEPSN_NS1_7vsmem_tEENKUlT_SL_SM_SN_E_clIS8_S8_S9_S9_EESK_S10_SL_SM_SN_EUlS10_E1_NS1_11comp_targetILNS1_3genE3ELNS1_11target_archE908ELNS1_3gpuE7ELNS1_3repE0EEENS1_36merge_oddeven_config_static_selectorELNS0_4arch9wavefront6targetE1EEEvSM_,@function
_ZN7rocprim17ROCPRIM_400000_NS6detail17trampoline_kernelINS0_14default_configENS1_38merge_sort_block_merge_config_selectorIlNS0_10empty_typeEEEZZNS1_27merge_sort_block_merge_implIS3_PlPS5_mZN2at6native12_GLOBAL__N_124unique_dim_cuda_templateIjEESt5tupleIJNSA_6TensorESF_SF_EERKSF_lbbbEUlllE_EE10hipError_tT0_T1_T2_jT3_P12ihipStream_tbPNSt15iterator_traitsISL_E10value_typeEPNSR_ISM_E10value_typeEPSN_NS1_7vsmem_tEENKUlT_SL_SM_SN_E_clIS8_S8_S9_S9_EESK_S10_SL_SM_SN_EUlS10_E1_NS1_11comp_targetILNS1_3genE3ELNS1_11target_archE908ELNS1_3gpuE7ELNS1_3repE0EEENS1_36merge_oddeven_config_static_selectorELNS0_4arch9wavefront6targetE1EEEvSM_: ; @_ZN7rocprim17ROCPRIM_400000_NS6detail17trampoline_kernelINS0_14default_configENS1_38merge_sort_block_merge_config_selectorIlNS0_10empty_typeEEEZZNS1_27merge_sort_block_merge_implIS3_PlPS5_mZN2at6native12_GLOBAL__N_124unique_dim_cuda_templateIjEESt5tupleIJNSA_6TensorESF_SF_EERKSF_lbbbEUlllE_EE10hipError_tT0_T1_T2_jT3_P12ihipStream_tbPNSt15iterator_traitsISL_E10value_typeEPNSR_ISM_E10value_typeEPSN_NS1_7vsmem_tEENKUlT_SL_SM_SN_E_clIS8_S8_S9_S9_EESK_S10_SL_SM_SN_EUlS10_E1_NS1_11comp_targetILNS1_3genE3ELNS1_11target_archE908ELNS1_3gpuE7ELNS1_3repE0EEENS1_36merge_oddeven_config_static_selectorELNS0_4arch9wavefront6targetE1EEEvSM_
; %bb.0:
	.section	.rodata,"a",@progbits
	.p2align	6, 0x0
	.amdhsa_kernel _ZN7rocprim17ROCPRIM_400000_NS6detail17trampoline_kernelINS0_14default_configENS1_38merge_sort_block_merge_config_selectorIlNS0_10empty_typeEEEZZNS1_27merge_sort_block_merge_implIS3_PlPS5_mZN2at6native12_GLOBAL__N_124unique_dim_cuda_templateIjEESt5tupleIJNSA_6TensorESF_SF_EERKSF_lbbbEUlllE_EE10hipError_tT0_T1_T2_jT3_P12ihipStream_tbPNSt15iterator_traitsISL_E10value_typeEPNSR_ISM_E10value_typeEPSN_NS1_7vsmem_tEENKUlT_SL_SM_SN_E_clIS8_S8_S9_S9_EESK_S10_SL_SM_SN_EUlS10_E1_NS1_11comp_targetILNS1_3genE3ELNS1_11target_archE908ELNS1_3gpuE7ELNS1_3repE0EEENS1_36merge_oddeven_config_static_selectorELNS0_4arch9wavefront6targetE1EEEvSM_
		.amdhsa_group_segment_fixed_size 0
		.amdhsa_private_segment_fixed_size 0
		.amdhsa_kernarg_size 64
		.amdhsa_user_sgpr_count 2
		.amdhsa_user_sgpr_dispatch_ptr 0
		.amdhsa_user_sgpr_queue_ptr 0
		.amdhsa_user_sgpr_kernarg_segment_ptr 1
		.amdhsa_user_sgpr_dispatch_id 0
		.amdhsa_user_sgpr_kernarg_preload_length 0
		.amdhsa_user_sgpr_kernarg_preload_offset 0
		.amdhsa_user_sgpr_private_segment_size 0
		.amdhsa_uses_dynamic_stack 0
		.amdhsa_enable_private_segment 0
		.amdhsa_system_sgpr_workgroup_id_x 1
		.amdhsa_system_sgpr_workgroup_id_y 0
		.amdhsa_system_sgpr_workgroup_id_z 0
		.amdhsa_system_sgpr_workgroup_info 0
		.amdhsa_system_vgpr_workitem_id 0
		.amdhsa_next_free_vgpr 1
		.amdhsa_next_free_sgpr 0
		.amdhsa_accum_offset 4
		.amdhsa_reserve_vcc 0
		.amdhsa_float_round_mode_32 0
		.amdhsa_float_round_mode_16_64 0
		.amdhsa_float_denorm_mode_32 3
		.amdhsa_float_denorm_mode_16_64 3
		.amdhsa_dx10_clamp 1
		.amdhsa_ieee_mode 1
		.amdhsa_fp16_overflow 0
		.amdhsa_tg_split 0
		.amdhsa_exception_fp_ieee_invalid_op 0
		.amdhsa_exception_fp_denorm_src 0
		.amdhsa_exception_fp_ieee_div_zero 0
		.amdhsa_exception_fp_ieee_overflow 0
		.amdhsa_exception_fp_ieee_underflow 0
		.amdhsa_exception_fp_ieee_inexact 0
		.amdhsa_exception_int_div_zero 0
	.end_amdhsa_kernel
	.section	.text._ZN7rocprim17ROCPRIM_400000_NS6detail17trampoline_kernelINS0_14default_configENS1_38merge_sort_block_merge_config_selectorIlNS0_10empty_typeEEEZZNS1_27merge_sort_block_merge_implIS3_PlPS5_mZN2at6native12_GLOBAL__N_124unique_dim_cuda_templateIjEESt5tupleIJNSA_6TensorESF_SF_EERKSF_lbbbEUlllE_EE10hipError_tT0_T1_T2_jT3_P12ihipStream_tbPNSt15iterator_traitsISL_E10value_typeEPNSR_ISM_E10value_typeEPSN_NS1_7vsmem_tEENKUlT_SL_SM_SN_E_clIS8_S8_S9_S9_EESK_S10_SL_SM_SN_EUlS10_E1_NS1_11comp_targetILNS1_3genE3ELNS1_11target_archE908ELNS1_3gpuE7ELNS1_3repE0EEENS1_36merge_oddeven_config_static_selectorELNS0_4arch9wavefront6targetE1EEEvSM_,"axG",@progbits,_ZN7rocprim17ROCPRIM_400000_NS6detail17trampoline_kernelINS0_14default_configENS1_38merge_sort_block_merge_config_selectorIlNS0_10empty_typeEEEZZNS1_27merge_sort_block_merge_implIS3_PlPS5_mZN2at6native12_GLOBAL__N_124unique_dim_cuda_templateIjEESt5tupleIJNSA_6TensorESF_SF_EERKSF_lbbbEUlllE_EE10hipError_tT0_T1_T2_jT3_P12ihipStream_tbPNSt15iterator_traitsISL_E10value_typeEPNSR_ISM_E10value_typeEPSN_NS1_7vsmem_tEENKUlT_SL_SM_SN_E_clIS8_S8_S9_S9_EESK_S10_SL_SM_SN_EUlS10_E1_NS1_11comp_targetILNS1_3genE3ELNS1_11target_archE908ELNS1_3gpuE7ELNS1_3repE0EEENS1_36merge_oddeven_config_static_selectorELNS0_4arch9wavefront6targetE1EEEvSM_,comdat
.Lfunc_end1512:
	.size	_ZN7rocprim17ROCPRIM_400000_NS6detail17trampoline_kernelINS0_14default_configENS1_38merge_sort_block_merge_config_selectorIlNS0_10empty_typeEEEZZNS1_27merge_sort_block_merge_implIS3_PlPS5_mZN2at6native12_GLOBAL__N_124unique_dim_cuda_templateIjEESt5tupleIJNSA_6TensorESF_SF_EERKSF_lbbbEUlllE_EE10hipError_tT0_T1_T2_jT3_P12ihipStream_tbPNSt15iterator_traitsISL_E10value_typeEPNSR_ISM_E10value_typeEPSN_NS1_7vsmem_tEENKUlT_SL_SM_SN_E_clIS8_S8_S9_S9_EESK_S10_SL_SM_SN_EUlS10_E1_NS1_11comp_targetILNS1_3genE3ELNS1_11target_archE908ELNS1_3gpuE7ELNS1_3repE0EEENS1_36merge_oddeven_config_static_selectorELNS0_4arch9wavefront6targetE1EEEvSM_, .Lfunc_end1512-_ZN7rocprim17ROCPRIM_400000_NS6detail17trampoline_kernelINS0_14default_configENS1_38merge_sort_block_merge_config_selectorIlNS0_10empty_typeEEEZZNS1_27merge_sort_block_merge_implIS3_PlPS5_mZN2at6native12_GLOBAL__N_124unique_dim_cuda_templateIjEESt5tupleIJNSA_6TensorESF_SF_EERKSF_lbbbEUlllE_EE10hipError_tT0_T1_T2_jT3_P12ihipStream_tbPNSt15iterator_traitsISL_E10value_typeEPNSR_ISM_E10value_typeEPSN_NS1_7vsmem_tEENKUlT_SL_SM_SN_E_clIS8_S8_S9_S9_EESK_S10_SL_SM_SN_EUlS10_E1_NS1_11comp_targetILNS1_3genE3ELNS1_11target_archE908ELNS1_3gpuE7ELNS1_3repE0EEENS1_36merge_oddeven_config_static_selectorELNS0_4arch9wavefront6targetE1EEEvSM_
                                        ; -- End function
	.set _ZN7rocprim17ROCPRIM_400000_NS6detail17trampoline_kernelINS0_14default_configENS1_38merge_sort_block_merge_config_selectorIlNS0_10empty_typeEEEZZNS1_27merge_sort_block_merge_implIS3_PlPS5_mZN2at6native12_GLOBAL__N_124unique_dim_cuda_templateIjEESt5tupleIJNSA_6TensorESF_SF_EERKSF_lbbbEUlllE_EE10hipError_tT0_T1_T2_jT3_P12ihipStream_tbPNSt15iterator_traitsISL_E10value_typeEPNSR_ISM_E10value_typeEPSN_NS1_7vsmem_tEENKUlT_SL_SM_SN_E_clIS8_S8_S9_S9_EESK_S10_SL_SM_SN_EUlS10_E1_NS1_11comp_targetILNS1_3genE3ELNS1_11target_archE908ELNS1_3gpuE7ELNS1_3repE0EEENS1_36merge_oddeven_config_static_selectorELNS0_4arch9wavefront6targetE1EEEvSM_.num_vgpr, 0
	.set _ZN7rocprim17ROCPRIM_400000_NS6detail17trampoline_kernelINS0_14default_configENS1_38merge_sort_block_merge_config_selectorIlNS0_10empty_typeEEEZZNS1_27merge_sort_block_merge_implIS3_PlPS5_mZN2at6native12_GLOBAL__N_124unique_dim_cuda_templateIjEESt5tupleIJNSA_6TensorESF_SF_EERKSF_lbbbEUlllE_EE10hipError_tT0_T1_T2_jT3_P12ihipStream_tbPNSt15iterator_traitsISL_E10value_typeEPNSR_ISM_E10value_typeEPSN_NS1_7vsmem_tEENKUlT_SL_SM_SN_E_clIS8_S8_S9_S9_EESK_S10_SL_SM_SN_EUlS10_E1_NS1_11comp_targetILNS1_3genE3ELNS1_11target_archE908ELNS1_3gpuE7ELNS1_3repE0EEENS1_36merge_oddeven_config_static_selectorELNS0_4arch9wavefront6targetE1EEEvSM_.num_agpr, 0
	.set _ZN7rocprim17ROCPRIM_400000_NS6detail17trampoline_kernelINS0_14default_configENS1_38merge_sort_block_merge_config_selectorIlNS0_10empty_typeEEEZZNS1_27merge_sort_block_merge_implIS3_PlPS5_mZN2at6native12_GLOBAL__N_124unique_dim_cuda_templateIjEESt5tupleIJNSA_6TensorESF_SF_EERKSF_lbbbEUlllE_EE10hipError_tT0_T1_T2_jT3_P12ihipStream_tbPNSt15iterator_traitsISL_E10value_typeEPNSR_ISM_E10value_typeEPSN_NS1_7vsmem_tEENKUlT_SL_SM_SN_E_clIS8_S8_S9_S9_EESK_S10_SL_SM_SN_EUlS10_E1_NS1_11comp_targetILNS1_3genE3ELNS1_11target_archE908ELNS1_3gpuE7ELNS1_3repE0EEENS1_36merge_oddeven_config_static_selectorELNS0_4arch9wavefront6targetE1EEEvSM_.numbered_sgpr, 0
	.set _ZN7rocprim17ROCPRIM_400000_NS6detail17trampoline_kernelINS0_14default_configENS1_38merge_sort_block_merge_config_selectorIlNS0_10empty_typeEEEZZNS1_27merge_sort_block_merge_implIS3_PlPS5_mZN2at6native12_GLOBAL__N_124unique_dim_cuda_templateIjEESt5tupleIJNSA_6TensorESF_SF_EERKSF_lbbbEUlllE_EE10hipError_tT0_T1_T2_jT3_P12ihipStream_tbPNSt15iterator_traitsISL_E10value_typeEPNSR_ISM_E10value_typeEPSN_NS1_7vsmem_tEENKUlT_SL_SM_SN_E_clIS8_S8_S9_S9_EESK_S10_SL_SM_SN_EUlS10_E1_NS1_11comp_targetILNS1_3genE3ELNS1_11target_archE908ELNS1_3gpuE7ELNS1_3repE0EEENS1_36merge_oddeven_config_static_selectorELNS0_4arch9wavefront6targetE1EEEvSM_.num_named_barrier, 0
	.set _ZN7rocprim17ROCPRIM_400000_NS6detail17trampoline_kernelINS0_14default_configENS1_38merge_sort_block_merge_config_selectorIlNS0_10empty_typeEEEZZNS1_27merge_sort_block_merge_implIS3_PlPS5_mZN2at6native12_GLOBAL__N_124unique_dim_cuda_templateIjEESt5tupleIJNSA_6TensorESF_SF_EERKSF_lbbbEUlllE_EE10hipError_tT0_T1_T2_jT3_P12ihipStream_tbPNSt15iterator_traitsISL_E10value_typeEPNSR_ISM_E10value_typeEPSN_NS1_7vsmem_tEENKUlT_SL_SM_SN_E_clIS8_S8_S9_S9_EESK_S10_SL_SM_SN_EUlS10_E1_NS1_11comp_targetILNS1_3genE3ELNS1_11target_archE908ELNS1_3gpuE7ELNS1_3repE0EEENS1_36merge_oddeven_config_static_selectorELNS0_4arch9wavefront6targetE1EEEvSM_.private_seg_size, 0
	.set _ZN7rocprim17ROCPRIM_400000_NS6detail17trampoline_kernelINS0_14default_configENS1_38merge_sort_block_merge_config_selectorIlNS0_10empty_typeEEEZZNS1_27merge_sort_block_merge_implIS3_PlPS5_mZN2at6native12_GLOBAL__N_124unique_dim_cuda_templateIjEESt5tupleIJNSA_6TensorESF_SF_EERKSF_lbbbEUlllE_EE10hipError_tT0_T1_T2_jT3_P12ihipStream_tbPNSt15iterator_traitsISL_E10value_typeEPNSR_ISM_E10value_typeEPSN_NS1_7vsmem_tEENKUlT_SL_SM_SN_E_clIS8_S8_S9_S9_EESK_S10_SL_SM_SN_EUlS10_E1_NS1_11comp_targetILNS1_3genE3ELNS1_11target_archE908ELNS1_3gpuE7ELNS1_3repE0EEENS1_36merge_oddeven_config_static_selectorELNS0_4arch9wavefront6targetE1EEEvSM_.uses_vcc, 0
	.set _ZN7rocprim17ROCPRIM_400000_NS6detail17trampoline_kernelINS0_14default_configENS1_38merge_sort_block_merge_config_selectorIlNS0_10empty_typeEEEZZNS1_27merge_sort_block_merge_implIS3_PlPS5_mZN2at6native12_GLOBAL__N_124unique_dim_cuda_templateIjEESt5tupleIJNSA_6TensorESF_SF_EERKSF_lbbbEUlllE_EE10hipError_tT0_T1_T2_jT3_P12ihipStream_tbPNSt15iterator_traitsISL_E10value_typeEPNSR_ISM_E10value_typeEPSN_NS1_7vsmem_tEENKUlT_SL_SM_SN_E_clIS8_S8_S9_S9_EESK_S10_SL_SM_SN_EUlS10_E1_NS1_11comp_targetILNS1_3genE3ELNS1_11target_archE908ELNS1_3gpuE7ELNS1_3repE0EEENS1_36merge_oddeven_config_static_selectorELNS0_4arch9wavefront6targetE1EEEvSM_.uses_flat_scratch, 0
	.set _ZN7rocprim17ROCPRIM_400000_NS6detail17trampoline_kernelINS0_14default_configENS1_38merge_sort_block_merge_config_selectorIlNS0_10empty_typeEEEZZNS1_27merge_sort_block_merge_implIS3_PlPS5_mZN2at6native12_GLOBAL__N_124unique_dim_cuda_templateIjEESt5tupleIJNSA_6TensorESF_SF_EERKSF_lbbbEUlllE_EE10hipError_tT0_T1_T2_jT3_P12ihipStream_tbPNSt15iterator_traitsISL_E10value_typeEPNSR_ISM_E10value_typeEPSN_NS1_7vsmem_tEENKUlT_SL_SM_SN_E_clIS8_S8_S9_S9_EESK_S10_SL_SM_SN_EUlS10_E1_NS1_11comp_targetILNS1_3genE3ELNS1_11target_archE908ELNS1_3gpuE7ELNS1_3repE0EEENS1_36merge_oddeven_config_static_selectorELNS0_4arch9wavefront6targetE1EEEvSM_.has_dyn_sized_stack, 0
	.set _ZN7rocprim17ROCPRIM_400000_NS6detail17trampoline_kernelINS0_14default_configENS1_38merge_sort_block_merge_config_selectorIlNS0_10empty_typeEEEZZNS1_27merge_sort_block_merge_implIS3_PlPS5_mZN2at6native12_GLOBAL__N_124unique_dim_cuda_templateIjEESt5tupleIJNSA_6TensorESF_SF_EERKSF_lbbbEUlllE_EE10hipError_tT0_T1_T2_jT3_P12ihipStream_tbPNSt15iterator_traitsISL_E10value_typeEPNSR_ISM_E10value_typeEPSN_NS1_7vsmem_tEENKUlT_SL_SM_SN_E_clIS8_S8_S9_S9_EESK_S10_SL_SM_SN_EUlS10_E1_NS1_11comp_targetILNS1_3genE3ELNS1_11target_archE908ELNS1_3gpuE7ELNS1_3repE0EEENS1_36merge_oddeven_config_static_selectorELNS0_4arch9wavefront6targetE1EEEvSM_.has_recursion, 0
	.set _ZN7rocprim17ROCPRIM_400000_NS6detail17trampoline_kernelINS0_14default_configENS1_38merge_sort_block_merge_config_selectorIlNS0_10empty_typeEEEZZNS1_27merge_sort_block_merge_implIS3_PlPS5_mZN2at6native12_GLOBAL__N_124unique_dim_cuda_templateIjEESt5tupleIJNSA_6TensorESF_SF_EERKSF_lbbbEUlllE_EE10hipError_tT0_T1_T2_jT3_P12ihipStream_tbPNSt15iterator_traitsISL_E10value_typeEPNSR_ISM_E10value_typeEPSN_NS1_7vsmem_tEENKUlT_SL_SM_SN_E_clIS8_S8_S9_S9_EESK_S10_SL_SM_SN_EUlS10_E1_NS1_11comp_targetILNS1_3genE3ELNS1_11target_archE908ELNS1_3gpuE7ELNS1_3repE0EEENS1_36merge_oddeven_config_static_selectorELNS0_4arch9wavefront6targetE1EEEvSM_.has_indirect_call, 0
	.section	.AMDGPU.csdata,"",@progbits
; Kernel info:
; codeLenInByte = 0
; TotalNumSgprs: 6
; NumVgprs: 0
; NumAgprs: 0
; TotalNumVgprs: 0
; ScratchSize: 0
; MemoryBound: 0
; FloatMode: 240
; IeeeMode: 1
; LDSByteSize: 0 bytes/workgroup (compile time only)
; SGPRBlocks: 0
; VGPRBlocks: 0
; NumSGPRsForWavesPerEU: 6
; NumVGPRsForWavesPerEU: 1
; AccumOffset: 4
; Occupancy: 8
; WaveLimiterHint : 0
; COMPUTE_PGM_RSRC2:SCRATCH_EN: 0
; COMPUTE_PGM_RSRC2:USER_SGPR: 2
; COMPUTE_PGM_RSRC2:TRAP_HANDLER: 0
; COMPUTE_PGM_RSRC2:TGID_X_EN: 1
; COMPUTE_PGM_RSRC2:TGID_Y_EN: 0
; COMPUTE_PGM_RSRC2:TGID_Z_EN: 0
; COMPUTE_PGM_RSRC2:TIDIG_COMP_CNT: 0
; COMPUTE_PGM_RSRC3_GFX90A:ACCUM_OFFSET: 0
; COMPUTE_PGM_RSRC3_GFX90A:TG_SPLIT: 0
	.section	.text._ZN7rocprim17ROCPRIM_400000_NS6detail17trampoline_kernelINS0_14default_configENS1_38merge_sort_block_merge_config_selectorIlNS0_10empty_typeEEEZZNS1_27merge_sort_block_merge_implIS3_PlPS5_mZN2at6native12_GLOBAL__N_124unique_dim_cuda_templateIjEESt5tupleIJNSA_6TensorESF_SF_EERKSF_lbbbEUlllE_EE10hipError_tT0_T1_T2_jT3_P12ihipStream_tbPNSt15iterator_traitsISL_E10value_typeEPNSR_ISM_E10value_typeEPSN_NS1_7vsmem_tEENKUlT_SL_SM_SN_E_clIS8_S8_S9_S9_EESK_S10_SL_SM_SN_EUlS10_E1_NS1_11comp_targetILNS1_3genE2ELNS1_11target_archE906ELNS1_3gpuE6ELNS1_3repE0EEENS1_36merge_oddeven_config_static_selectorELNS0_4arch9wavefront6targetE1EEEvSM_,"axG",@progbits,_ZN7rocprim17ROCPRIM_400000_NS6detail17trampoline_kernelINS0_14default_configENS1_38merge_sort_block_merge_config_selectorIlNS0_10empty_typeEEEZZNS1_27merge_sort_block_merge_implIS3_PlPS5_mZN2at6native12_GLOBAL__N_124unique_dim_cuda_templateIjEESt5tupleIJNSA_6TensorESF_SF_EERKSF_lbbbEUlllE_EE10hipError_tT0_T1_T2_jT3_P12ihipStream_tbPNSt15iterator_traitsISL_E10value_typeEPNSR_ISM_E10value_typeEPSN_NS1_7vsmem_tEENKUlT_SL_SM_SN_E_clIS8_S8_S9_S9_EESK_S10_SL_SM_SN_EUlS10_E1_NS1_11comp_targetILNS1_3genE2ELNS1_11target_archE906ELNS1_3gpuE6ELNS1_3repE0EEENS1_36merge_oddeven_config_static_selectorELNS0_4arch9wavefront6targetE1EEEvSM_,comdat
	.globl	_ZN7rocprim17ROCPRIM_400000_NS6detail17trampoline_kernelINS0_14default_configENS1_38merge_sort_block_merge_config_selectorIlNS0_10empty_typeEEEZZNS1_27merge_sort_block_merge_implIS3_PlPS5_mZN2at6native12_GLOBAL__N_124unique_dim_cuda_templateIjEESt5tupleIJNSA_6TensorESF_SF_EERKSF_lbbbEUlllE_EE10hipError_tT0_T1_T2_jT3_P12ihipStream_tbPNSt15iterator_traitsISL_E10value_typeEPNSR_ISM_E10value_typeEPSN_NS1_7vsmem_tEENKUlT_SL_SM_SN_E_clIS8_S8_S9_S9_EESK_S10_SL_SM_SN_EUlS10_E1_NS1_11comp_targetILNS1_3genE2ELNS1_11target_archE906ELNS1_3gpuE6ELNS1_3repE0EEENS1_36merge_oddeven_config_static_selectorELNS0_4arch9wavefront6targetE1EEEvSM_ ; -- Begin function _ZN7rocprim17ROCPRIM_400000_NS6detail17trampoline_kernelINS0_14default_configENS1_38merge_sort_block_merge_config_selectorIlNS0_10empty_typeEEEZZNS1_27merge_sort_block_merge_implIS3_PlPS5_mZN2at6native12_GLOBAL__N_124unique_dim_cuda_templateIjEESt5tupleIJNSA_6TensorESF_SF_EERKSF_lbbbEUlllE_EE10hipError_tT0_T1_T2_jT3_P12ihipStream_tbPNSt15iterator_traitsISL_E10value_typeEPNSR_ISM_E10value_typeEPSN_NS1_7vsmem_tEENKUlT_SL_SM_SN_E_clIS8_S8_S9_S9_EESK_S10_SL_SM_SN_EUlS10_E1_NS1_11comp_targetILNS1_3genE2ELNS1_11target_archE906ELNS1_3gpuE6ELNS1_3repE0EEENS1_36merge_oddeven_config_static_selectorELNS0_4arch9wavefront6targetE1EEEvSM_
	.p2align	8
	.type	_ZN7rocprim17ROCPRIM_400000_NS6detail17trampoline_kernelINS0_14default_configENS1_38merge_sort_block_merge_config_selectorIlNS0_10empty_typeEEEZZNS1_27merge_sort_block_merge_implIS3_PlPS5_mZN2at6native12_GLOBAL__N_124unique_dim_cuda_templateIjEESt5tupleIJNSA_6TensorESF_SF_EERKSF_lbbbEUlllE_EE10hipError_tT0_T1_T2_jT3_P12ihipStream_tbPNSt15iterator_traitsISL_E10value_typeEPNSR_ISM_E10value_typeEPSN_NS1_7vsmem_tEENKUlT_SL_SM_SN_E_clIS8_S8_S9_S9_EESK_S10_SL_SM_SN_EUlS10_E1_NS1_11comp_targetILNS1_3genE2ELNS1_11target_archE906ELNS1_3gpuE6ELNS1_3repE0EEENS1_36merge_oddeven_config_static_selectorELNS0_4arch9wavefront6targetE1EEEvSM_,@function
_ZN7rocprim17ROCPRIM_400000_NS6detail17trampoline_kernelINS0_14default_configENS1_38merge_sort_block_merge_config_selectorIlNS0_10empty_typeEEEZZNS1_27merge_sort_block_merge_implIS3_PlPS5_mZN2at6native12_GLOBAL__N_124unique_dim_cuda_templateIjEESt5tupleIJNSA_6TensorESF_SF_EERKSF_lbbbEUlllE_EE10hipError_tT0_T1_T2_jT3_P12ihipStream_tbPNSt15iterator_traitsISL_E10value_typeEPNSR_ISM_E10value_typeEPSN_NS1_7vsmem_tEENKUlT_SL_SM_SN_E_clIS8_S8_S9_S9_EESK_S10_SL_SM_SN_EUlS10_E1_NS1_11comp_targetILNS1_3genE2ELNS1_11target_archE906ELNS1_3gpuE6ELNS1_3repE0EEENS1_36merge_oddeven_config_static_selectorELNS0_4arch9wavefront6targetE1EEEvSM_: ; @_ZN7rocprim17ROCPRIM_400000_NS6detail17trampoline_kernelINS0_14default_configENS1_38merge_sort_block_merge_config_selectorIlNS0_10empty_typeEEEZZNS1_27merge_sort_block_merge_implIS3_PlPS5_mZN2at6native12_GLOBAL__N_124unique_dim_cuda_templateIjEESt5tupleIJNSA_6TensorESF_SF_EERKSF_lbbbEUlllE_EE10hipError_tT0_T1_T2_jT3_P12ihipStream_tbPNSt15iterator_traitsISL_E10value_typeEPNSR_ISM_E10value_typeEPSN_NS1_7vsmem_tEENKUlT_SL_SM_SN_E_clIS8_S8_S9_S9_EESK_S10_SL_SM_SN_EUlS10_E1_NS1_11comp_targetILNS1_3genE2ELNS1_11target_archE906ELNS1_3gpuE6ELNS1_3repE0EEENS1_36merge_oddeven_config_static_selectorELNS0_4arch9wavefront6targetE1EEEvSM_
; %bb.0:
	.section	.rodata,"a",@progbits
	.p2align	6, 0x0
	.amdhsa_kernel _ZN7rocprim17ROCPRIM_400000_NS6detail17trampoline_kernelINS0_14default_configENS1_38merge_sort_block_merge_config_selectorIlNS0_10empty_typeEEEZZNS1_27merge_sort_block_merge_implIS3_PlPS5_mZN2at6native12_GLOBAL__N_124unique_dim_cuda_templateIjEESt5tupleIJNSA_6TensorESF_SF_EERKSF_lbbbEUlllE_EE10hipError_tT0_T1_T2_jT3_P12ihipStream_tbPNSt15iterator_traitsISL_E10value_typeEPNSR_ISM_E10value_typeEPSN_NS1_7vsmem_tEENKUlT_SL_SM_SN_E_clIS8_S8_S9_S9_EESK_S10_SL_SM_SN_EUlS10_E1_NS1_11comp_targetILNS1_3genE2ELNS1_11target_archE906ELNS1_3gpuE6ELNS1_3repE0EEENS1_36merge_oddeven_config_static_selectorELNS0_4arch9wavefront6targetE1EEEvSM_
		.amdhsa_group_segment_fixed_size 0
		.amdhsa_private_segment_fixed_size 0
		.amdhsa_kernarg_size 64
		.amdhsa_user_sgpr_count 2
		.amdhsa_user_sgpr_dispatch_ptr 0
		.amdhsa_user_sgpr_queue_ptr 0
		.amdhsa_user_sgpr_kernarg_segment_ptr 1
		.amdhsa_user_sgpr_dispatch_id 0
		.amdhsa_user_sgpr_kernarg_preload_length 0
		.amdhsa_user_sgpr_kernarg_preload_offset 0
		.amdhsa_user_sgpr_private_segment_size 0
		.amdhsa_uses_dynamic_stack 0
		.amdhsa_enable_private_segment 0
		.amdhsa_system_sgpr_workgroup_id_x 1
		.amdhsa_system_sgpr_workgroup_id_y 0
		.amdhsa_system_sgpr_workgroup_id_z 0
		.amdhsa_system_sgpr_workgroup_info 0
		.amdhsa_system_vgpr_workitem_id 0
		.amdhsa_next_free_vgpr 1
		.amdhsa_next_free_sgpr 0
		.amdhsa_accum_offset 4
		.amdhsa_reserve_vcc 0
		.amdhsa_float_round_mode_32 0
		.amdhsa_float_round_mode_16_64 0
		.amdhsa_float_denorm_mode_32 3
		.amdhsa_float_denorm_mode_16_64 3
		.amdhsa_dx10_clamp 1
		.amdhsa_ieee_mode 1
		.amdhsa_fp16_overflow 0
		.amdhsa_tg_split 0
		.amdhsa_exception_fp_ieee_invalid_op 0
		.amdhsa_exception_fp_denorm_src 0
		.amdhsa_exception_fp_ieee_div_zero 0
		.amdhsa_exception_fp_ieee_overflow 0
		.amdhsa_exception_fp_ieee_underflow 0
		.amdhsa_exception_fp_ieee_inexact 0
		.amdhsa_exception_int_div_zero 0
	.end_amdhsa_kernel
	.section	.text._ZN7rocprim17ROCPRIM_400000_NS6detail17trampoline_kernelINS0_14default_configENS1_38merge_sort_block_merge_config_selectorIlNS0_10empty_typeEEEZZNS1_27merge_sort_block_merge_implIS3_PlPS5_mZN2at6native12_GLOBAL__N_124unique_dim_cuda_templateIjEESt5tupleIJNSA_6TensorESF_SF_EERKSF_lbbbEUlllE_EE10hipError_tT0_T1_T2_jT3_P12ihipStream_tbPNSt15iterator_traitsISL_E10value_typeEPNSR_ISM_E10value_typeEPSN_NS1_7vsmem_tEENKUlT_SL_SM_SN_E_clIS8_S8_S9_S9_EESK_S10_SL_SM_SN_EUlS10_E1_NS1_11comp_targetILNS1_3genE2ELNS1_11target_archE906ELNS1_3gpuE6ELNS1_3repE0EEENS1_36merge_oddeven_config_static_selectorELNS0_4arch9wavefront6targetE1EEEvSM_,"axG",@progbits,_ZN7rocprim17ROCPRIM_400000_NS6detail17trampoline_kernelINS0_14default_configENS1_38merge_sort_block_merge_config_selectorIlNS0_10empty_typeEEEZZNS1_27merge_sort_block_merge_implIS3_PlPS5_mZN2at6native12_GLOBAL__N_124unique_dim_cuda_templateIjEESt5tupleIJNSA_6TensorESF_SF_EERKSF_lbbbEUlllE_EE10hipError_tT0_T1_T2_jT3_P12ihipStream_tbPNSt15iterator_traitsISL_E10value_typeEPNSR_ISM_E10value_typeEPSN_NS1_7vsmem_tEENKUlT_SL_SM_SN_E_clIS8_S8_S9_S9_EESK_S10_SL_SM_SN_EUlS10_E1_NS1_11comp_targetILNS1_3genE2ELNS1_11target_archE906ELNS1_3gpuE6ELNS1_3repE0EEENS1_36merge_oddeven_config_static_selectorELNS0_4arch9wavefront6targetE1EEEvSM_,comdat
.Lfunc_end1513:
	.size	_ZN7rocprim17ROCPRIM_400000_NS6detail17trampoline_kernelINS0_14default_configENS1_38merge_sort_block_merge_config_selectorIlNS0_10empty_typeEEEZZNS1_27merge_sort_block_merge_implIS3_PlPS5_mZN2at6native12_GLOBAL__N_124unique_dim_cuda_templateIjEESt5tupleIJNSA_6TensorESF_SF_EERKSF_lbbbEUlllE_EE10hipError_tT0_T1_T2_jT3_P12ihipStream_tbPNSt15iterator_traitsISL_E10value_typeEPNSR_ISM_E10value_typeEPSN_NS1_7vsmem_tEENKUlT_SL_SM_SN_E_clIS8_S8_S9_S9_EESK_S10_SL_SM_SN_EUlS10_E1_NS1_11comp_targetILNS1_3genE2ELNS1_11target_archE906ELNS1_3gpuE6ELNS1_3repE0EEENS1_36merge_oddeven_config_static_selectorELNS0_4arch9wavefront6targetE1EEEvSM_, .Lfunc_end1513-_ZN7rocprim17ROCPRIM_400000_NS6detail17trampoline_kernelINS0_14default_configENS1_38merge_sort_block_merge_config_selectorIlNS0_10empty_typeEEEZZNS1_27merge_sort_block_merge_implIS3_PlPS5_mZN2at6native12_GLOBAL__N_124unique_dim_cuda_templateIjEESt5tupleIJNSA_6TensorESF_SF_EERKSF_lbbbEUlllE_EE10hipError_tT0_T1_T2_jT3_P12ihipStream_tbPNSt15iterator_traitsISL_E10value_typeEPNSR_ISM_E10value_typeEPSN_NS1_7vsmem_tEENKUlT_SL_SM_SN_E_clIS8_S8_S9_S9_EESK_S10_SL_SM_SN_EUlS10_E1_NS1_11comp_targetILNS1_3genE2ELNS1_11target_archE906ELNS1_3gpuE6ELNS1_3repE0EEENS1_36merge_oddeven_config_static_selectorELNS0_4arch9wavefront6targetE1EEEvSM_
                                        ; -- End function
	.set _ZN7rocprim17ROCPRIM_400000_NS6detail17trampoline_kernelINS0_14default_configENS1_38merge_sort_block_merge_config_selectorIlNS0_10empty_typeEEEZZNS1_27merge_sort_block_merge_implIS3_PlPS5_mZN2at6native12_GLOBAL__N_124unique_dim_cuda_templateIjEESt5tupleIJNSA_6TensorESF_SF_EERKSF_lbbbEUlllE_EE10hipError_tT0_T1_T2_jT3_P12ihipStream_tbPNSt15iterator_traitsISL_E10value_typeEPNSR_ISM_E10value_typeEPSN_NS1_7vsmem_tEENKUlT_SL_SM_SN_E_clIS8_S8_S9_S9_EESK_S10_SL_SM_SN_EUlS10_E1_NS1_11comp_targetILNS1_3genE2ELNS1_11target_archE906ELNS1_3gpuE6ELNS1_3repE0EEENS1_36merge_oddeven_config_static_selectorELNS0_4arch9wavefront6targetE1EEEvSM_.num_vgpr, 0
	.set _ZN7rocprim17ROCPRIM_400000_NS6detail17trampoline_kernelINS0_14default_configENS1_38merge_sort_block_merge_config_selectorIlNS0_10empty_typeEEEZZNS1_27merge_sort_block_merge_implIS3_PlPS5_mZN2at6native12_GLOBAL__N_124unique_dim_cuda_templateIjEESt5tupleIJNSA_6TensorESF_SF_EERKSF_lbbbEUlllE_EE10hipError_tT0_T1_T2_jT3_P12ihipStream_tbPNSt15iterator_traitsISL_E10value_typeEPNSR_ISM_E10value_typeEPSN_NS1_7vsmem_tEENKUlT_SL_SM_SN_E_clIS8_S8_S9_S9_EESK_S10_SL_SM_SN_EUlS10_E1_NS1_11comp_targetILNS1_3genE2ELNS1_11target_archE906ELNS1_3gpuE6ELNS1_3repE0EEENS1_36merge_oddeven_config_static_selectorELNS0_4arch9wavefront6targetE1EEEvSM_.num_agpr, 0
	.set _ZN7rocprim17ROCPRIM_400000_NS6detail17trampoline_kernelINS0_14default_configENS1_38merge_sort_block_merge_config_selectorIlNS0_10empty_typeEEEZZNS1_27merge_sort_block_merge_implIS3_PlPS5_mZN2at6native12_GLOBAL__N_124unique_dim_cuda_templateIjEESt5tupleIJNSA_6TensorESF_SF_EERKSF_lbbbEUlllE_EE10hipError_tT0_T1_T2_jT3_P12ihipStream_tbPNSt15iterator_traitsISL_E10value_typeEPNSR_ISM_E10value_typeEPSN_NS1_7vsmem_tEENKUlT_SL_SM_SN_E_clIS8_S8_S9_S9_EESK_S10_SL_SM_SN_EUlS10_E1_NS1_11comp_targetILNS1_3genE2ELNS1_11target_archE906ELNS1_3gpuE6ELNS1_3repE0EEENS1_36merge_oddeven_config_static_selectorELNS0_4arch9wavefront6targetE1EEEvSM_.numbered_sgpr, 0
	.set _ZN7rocprim17ROCPRIM_400000_NS6detail17trampoline_kernelINS0_14default_configENS1_38merge_sort_block_merge_config_selectorIlNS0_10empty_typeEEEZZNS1_27merge_sort_block_merge_implIS3_PlPS5_mZN2at6native12_GLOBAL__N_124unique_dim_cuda_templateIjEESt5tupleIJNSA_6TensorESF_SF_EERKSF_lbbbEUlllE_EE10hipError_tT0_T1_T2_jT3_P12ihipStream_tbPNSt15iterator_traitsISL_E10value_typeEPNSR_ISM_E10value_typeEPSN_NS1_7vsmem_tEENKUlT_SL_SM_SN_E_clIS8_S8_S9_S9_EESK_S10_SL_SM_SN_EUlS10_E1_NS1_11comp_targetILNS1_3genE2ELNS1_11target_archE906ELNS1_3gpuE6ELNS1_3repE0EEENS1_36merge_oddeven_config_static_selectorELNS0_4arch9wavefront6targetE1EEEvSM_.num_named_barrier, 0
	.set _ZN7rocprim17ROCPRIM_400000_NS6detail17trampoline_kernelINS0_14default_configENS1_38merge_sort_block_merge_config_selectorIlNS0_10empty_typeEEEZZNS1_27merge_sort_block_merge_implIS3_PlPS5_mZN2at6native12_GLOBAL__N_124unique_dim_cuda_templateIjEESt5tupleIJNSA_6TensorESF_SF_EERKSF_lbbbEUlllE_EE10hipError_tT0_T1_T2_jT3_P12ihipStream_tbPNSt15iterator_traitsISL_E10value_typeEPNSR_ISM_E10value_typeEPSN_NS1_7vsmem_tEENKUlT_SL_SM_SN_E_clIS8_S8_S9_S9_EESK_S10_SL_SM_SN_EUlS10_E1_NS1_11comp_targetILNS1_3genE2ELNS1_11target_archE906ELNS1_3gpuE6ELNS1_3repE0EEENS1_36merge_oddeven_config_static_selectorELNS0_4arch9wavefront6targetE1EEEvSM_.private_seg_size, 0
	.set _ZN7rocprim17ROCPRIM_400000_NS6detail17trampoline_kernelINS0_14default_configENS1_38merge_sort_block_merge_config_selectorIlNS0_10empty_typeEEEZZNS1_27merge_sort_block_merge_implIS3_PlPS5_mZN2at6native12_GLOBAL__N_124unique_dim_cuda_templateIjEESt5tupleIJNSA_6TensorESF_SF_EERKSF_lbbbEUlllE_EE10hipError_tT0_T1_T2_jT3_P12ihipStream_tbPNSt15iterator_traitsISL_E10value_typeEPNSR_ISM_E10value_typeEPSN_NS1_7vsmem_tEENKUlT_SL_SM_SN_E_clIS8_S8_S9_S9_EESK_S10_SL_SM_SN_EUlS10_E1_NS1_11comp_targetILNS1_3genE2ELNS1_11target_archE906ELNS1_3gpuE6ELNS1_3repE0EEENS1_36merge_oddeven_config_static_selectorELNS0_4arch9wavefront6targetE1EEEvSM_.uses_vcc, 0
	.set _ZN7rocprim17ROCPRIM_400000_NS6detail17trampoline_kernelINS0_14default_configENS1_38merge_sort_block_merge_config_selectorIlNS0_10empty_typeEEEZZNS1_27merge_sort_block_merge_implIS3_PlPS5_mZN2at6native12_GLOBAL__N_124unique_dim_cuda_templateIjEESt5tupleIJNSA_6TensorESF_SF_EERKSF_lbbbEUlllE_EE10hipError_tT0_T1_T2_jT3_P12ihipStream_tbPNSt15iterator_traitsISL_E10value_typeEPNSR_ISM_E10value_typeEPSN_NS1_7vsmem_tEENKUlT_SL_SM_SN_E_clIS8_S8_S9_S9_EESK_S10_SL_SM_SN_EUlS10_E1_NS1_11comp_targetILNS1_3genE2ELNS1_11target_archE906ELNS1_3gpuE6ELNS1_3repE0EEENS1_36merge_oddeven_config_static_selectorELNS0_4arch9wavefront6targetE1EEEvSM_.uses_flat_scratch, 0
	.set _ZN7rocprim17ROCPRIM_400000_NS6detail17trampoline_kernelINS0_14default_configENS1_38merge_sort_block_merge_config_selectorIlNS0_10empty_typeEEEZZNS1_27merge_sort_block_merge_implIS3_PlPS5_mZN2at6native12_GLOBAL__N_124unique_dim_cuda_templateIjEESt5tupleIJNSA_6TensorESF_SF_EERKSF_lbbbEUlllE_EE10hipError_tT0_T1_T2_jT3_P12ihipStream_tbPNSt15iterator_traitsISL_E10value_typeEPNSR_ISM_E10value_typeEPSN_NS1_7vsmem_tEENKUlT_SL_SM_SN_E_clIS8_S8_S9_S9_EESK_S10_SL_SM_SN_EUlS10_E1_NS1_11comp_targetILNS1_3genE2ELNS1_11target_archE906ELNS1_3gpuE6ELNS1_3repE0EEENS1_36merge_oddeven_config_static_selectorELNS0_4arch9wavefront6targetE1EEEvSM_.has_dyn_sized_stack, 0
	.set _ZN7rocprim17ROCPRIM_400000_NS6detail17trampoline_kernelINS0_14default_configENS1_38merge_sort_block_merge_config_selectorIlNS0_10empty_typeEEEZZNS1_27merge_sort_block_merge_implIS3_PlPS5_mZN2at6native12_GLOBAL__N_124unique_dim_cuda_templateIjEESt5tupleIJNSA_6TensorESF_SF_EERKSF_lbbbEUlllE_EE10hipError_tT0_T1_T2_jT3_P12ihipStream_tbPNSt15iterator_traitsISL_E10value_typeEPNSR_ISM_E10value_typeEPSN_NS1_7vsmem_tEENKUlT_SL_SM_SN_E_clIS8_S8_S9_S9_EESK_S10_SL_SM_SN_EUlS10_E1_NS1_11comp_targetILNS1_3genE2ELNS1_11target_archE906ELNS1_3gpuE6ELNS1_3repE0EEENS1_36merge_oddeven_config_static_selectorELNS0_4arch9wavefront6targetE1EEEvSM_.has_recursion, 0
	.set _ZN7rocprim17ROCPRIM_400000_NS6detail17trampoline_kernelINS0_14default_configENS1_38merge_sort_block_merge_config_selectorIlNS0_10empty_typeEEEZZNS1_27merge_sort_block_merge_implIS3_PlPS5_mZN2at6native12_GLOBAL__N_124unique_dim_cuda_templateIjEESt5tupleIJNSA_6TensorESF_SF_EERKSF_lbbbEUlllE_EE10hipError_tT0_T1_T2_jT3_P12ihipStream_tbPNSt15iterator_traitsISL_E10value_typeEPNSR_ISM_E10value_typeEPSN_NS1_7vsmem_tEENKUlT_SL_SM_SN_E_clIS8_S8_S9_S9_EESK_S10_SL_SM_SN_EUlS10_E1_NS1_11comp_targetILNS1_3genE2ELNS1_11target_archE906ELNS1_3gpuE6ELNS1_3repE0EEENS1_36merge_oddeven_config_static_selectorELNS0_4arch9wavefront6targetE1EEEvSM_.has_indirect_call, 0
	.section	.AMDGPU.csdata,"",@progbits
; Kernel info:
; codeLenInByte = 0
; TotalNumSgprs: 6
; NumVgprs: 0
; NumAgprs: 0
; TotalNumVgprs: 0
; ScratchSize: 0
; MemoryBound: 0
; FloatMode: 240
; IeeeMode: 1
; LDSByteSize: 0 bytes/workgroup (compile time only)
; SGPRBlocks: 0
; VGPRBlocks: 0
; NumSGPRsForWavesPerEU: 6
; NumVGPRsForWavesPerEU: 1
; AccumOffset: 4
; Occupancy: 8
; WaveLimiterHint : 0
; COMPUTE_PGM_RSRC2:SCRATCH_EN: 0
; COMPUTE_PGM_RSRC2:USER_SGPR: 2
; COMPUTE_PGM_RSRC2:TRAP_HANDLER: 0
; COMPUTE_PGM_RSRC2:TGID_X_EN: 1
; COMPUTE_PGM_RSRC2:TGID_Y_EN: 0
; COMPUTE_PGM_RSRC2:TGID_Z_EN: 0
; COMPUTE_PGM_RSRC2:TIDIG_COMP_CNT: 0
; COMPUTE_PGM_RSRC3_GFX90A:ACCUM_OFFSET: 0
; COMPUTE_PGM_RSRC3_GFX90A:TG_SPLIT: 0
	.section	.text._ZN7rocprim17ROCPRIM_400000_NS6detail17trampoline_kernelINS0_14default_configENS1_38merge_sort_block_merge_config_selectorIlNS0_10empty_typeEEEZZNS1_27merge_sort_block_merge_implIS3_PlPS5_mZN2at6native12_GLOBAL__N_124unique_dim_cuda_templateIjEESt5tupleIJNSA_6TensorESF_SF_EERKSF_lbbbEUlllE_EE10hipError_tT0_T1_T2_jT3_P12ihipStream_tbPNSt15iterator_traitsISL_E10value_typeEPNSR_ISM_E10value_typeEPSN_NS1_7vsmem_tEENKUlT_SL_SM_SN_E_clIS8_S8_S9_S9_EESK_S10_SL_SM_SN_EUlS10_E1_NS1_11comp_targetILNS1_3genE9ELNS1_11target_archE1100ELNS1_3gpuE3ELNS1_3repE0EEENS1_36merge_oddeven_config_static_selectorELNS0_4arch9wavefront6targetE1EEEvSM_,"axG",@progbits,_ZN7rocprim17ROCPRIM_400000_NS6detail17trampoline_kernelINS0_14default_configENS1_38merge_sort_block_merge_config_selectorIlNS0_10empty_typeEEEZZNS1_27merge_sort_block_merge_implIS3_PlPS5_mZN2at6native12_GLOBAL__N_124unique_dim_cuda_templateIjEESt5tupleIJNSA_6TensorESF_SF_EERKSF_lbbbEUlllE_EE10hipError_tT0_T1_T2_jT3_P12ihipStream_tbPNSt15iterator_traitsISL_E10value_typeEPNSR_ISM_E10value_typeEPSN_NS1_7vsmem_tEENKUlT_SL_SM_SN_E_clIS8_S8_S9_S9_EESK_S10_SL_SM_SN_EUlS10_E1_NS1_11comp_targetILNS1_3genE9ELNS1_11target_archE1100ELNS1_3gpuE3ELNS1_3repE0EEENS1_36merge_oddeven_config_static_selectorELNS0_4arch9wavefront6targetE1EEEvSM_,comdat
	.globl	_ZN7rocprim17ROCPRIM_400000_NS6detail17trampoline_kernelINS0_14default_configENS1_38merge_sort_block_merge_config_selectorIlNS0_10empty_typeEEEZZNS1_27merge_sort_block_merge_implIS3_PlPS5_mZN2at6native12_GLOBAL__N_124unique_dim_cuda_templateIjEESt5tupleIJNSA_6TensorESF_SF_EERKSF_lbbbEUlllE_EE10hipError_tT0_T1_T2_jT3_P12ihipStream_tbPNSt15iterator_traitsISL_E10value_typeEPNSR_ISM_E10value_typeEPSN_NS1_7vsmem_tEENKUlT_SL_SM_SN_E_clIS8_S8_S9_S9_EESK_S10_SL_SM_SN_EUlS10_E1_NS1_11comp_targetILNS1_3genE9ELNS1_11target_archE1100ELNS1_3gpuE3ELNS1_3repE0EEENS1_36merge_oddeven_config_static_selectorELNS0_4arch9wavefront6targetE1EEEvSM_ ; -- Begin function _ZN7rocprim17ROCPRIM_400000_NS6detail17trampoline_kernelINS0_14default_configENS1_38merge_sort_block_merge_config_selectorIlNS0_10empty_typeEEEZZNS1_27merge_sort_block_merge_implIS3_PlPS5_mZN2at6native12_GLOBAL__N_124unique_dim_cuda_templateIjEESt5tupleIJNSA_6TensorESF_SF_EERKSF_lbbbEUlllE_EE10hipError_tT0_T1_T2_jT3_P12ihipStream_tbPNSt15iterator_traitsISL_E10value_typeEPNSR_ISM_E10value_typeEPSN_NS1_7vsmem_tEENKUlT_SL_SM_SN_E_clIS8_S8_S9_S9_EESK_S10_SL_SM_SN_EUlS10_E1_NS1_11comp_targetILNS1_3genE9ELNS1_11target_archE1100ELNS1_3gpuE3ELNS1_3repE0EEENS1_36merge_oddeven_config_static_selectorELNS0_4arch9wavefront6targetE1EEEvSM_
	.p2align	8
	.type	_ZN7rocprim17ROCPRIM_400000_NS6detail17trampoline_kernelINS0_14default_configENS1_38merge_sort_block_merge_config_selectorIlNS0_10empty_typeEEEZZNS1_27merge_sort_block_merge_implIS3_PlPS5_mZN2at6native12_GLOBAL__N_124unique_dim_cuda_templateIjEESt5tupleIJNSA_6TensorESF_SF_EERKSF_lbbbEUlllE_EE10hipError_tT0_T1_T2_jT3_P12ihipStream_tbPNSt15iterator_traitsISL_E10value_typeEPNSR_ISM_E10value_typeEPSN_NS1_7vsmem_tEENKUlT_SL_SM_SN_E_clIS8_S8_S9_S9_EESK_S10_SL_SM_SN_EUlS10_E1_NS1_11comp_targetILNS1_3genE9ELNS1_11target_archE1100ELNS1_3gpuE3ELNS1_3repE0EEENS1_36merge_oddeven_config_static_selectorELNS0_4arch9wavefront6targetE1EEEvSM_,@function
_ZN7rocprim17ROCPRIM_400000_NS6detail17trampoline_kernelINS0_14default_configENS1_38merge_sort_block_merge_config_selectorIlNS0_10empty_typeEEEZZNS1_27merge_sort_block_merge_implIS3_PlPS5_mZN2at6native12_GLOBAL__N_124unique_dim_cuda_templateIjEESt5tupleIJNSA_6TensorESF_SF_EERKSF_lbbbEUlllE_EE10hipError_tT0_T1_T2_jT3_P12ihipStream_tbPNSt15iterator_traitsISL_E10value_typeEPNSR_ISM_E10value_typeEPSN_NS1_7vsmem_tEENKUlT_SL_SM_SN_E_clIS8_S8_S9_S9_EESK_S10_SL_SM_SN_EUlS10_E1_NS1_11comp_targetILNS1_3genE9ELNS1_11target_archE1100ELNS1_3gpuE3ELNS1_3repE0EEENS1_36merge_oddeven_config_static_selectorELNS0_4arch9wavefront6targetE1EEEvSM_: ; @_ZN7rocprim17ROCPRIM_400000_NS6detail17trampoline_kernelINS0_14default_configENS1_38merge_sort_block_merge_config_selectorIlNS0_10empty_typeEEEZZNS1_27merge_sort_block_merge_implIS3_PlPS5_mZN2at6native12_GLOBAL__N_124unique_dim_cuda_templateIjEESt5tupleIJNSA_6TensorESF_SF_EERKSF_lbbbEUlllE_EE10hipError_tT0_T1_T2_jT3_P12ihipStream_tbPNSt15iterator_traitsISL_E10value_typeEPNSR_ISM_E10value_typeEPSN_NS1_7vsmem_tEENKUlT_SL_SM_SN_E_clIS8_S8_S9_S9_EESK_S10_SL_SM_SN_EUlS10_E1_NS1_11comp_targetILNS1_3genE9ELNS1_11target_archE1100ELNS1_3gpuE3ELNS1_3repE0EEENS1_36merge_oddeven_config_static_selectorELNS0_4arch9wavefront6targetE1EEEvSM_
; %bb.0:
	.section	.rodata,"a",@progbits
	.p2align	6, 0x0
	.amdhsa_kernel _ZN7rocprim17ROCPRIM_400000_NS6detail17trampoline_kernelINS0_14default_configENS1_38merge_sort_block_merge_config_selectorIlNS0_10empty_typeEEEZZNS1_27merge_sort_block_merge_implIS3_PlPS5_mZN2at6native12_GLOBAL__N_124unique_dim_cuda_templateIjEESt5tupleIJNSA_6TensorESF_SF_EERKSF_lbbbEUlllE_EE10hipError_tT0_T1_T2_jT3_P12ihipStream_tbPNSt15iterator_traitsISL_E10value_typeEPNSR_ISM_E10value_typeEPSN_NS1_7vsmem_tEENKUlT_SL_SM_SN_E_clIS8_S8_S9_S9_EESK_S10_SL_SM_SN_EUlS10_E1_NS1_11comp_targetILNS1_3genE9ELNS1_11target_archE1100ELNS1_3gpuE3ELNS1_3repE0EEENS1_36merge_oddeven_config_static_selectorELNS0_4arch9wavefront6targetE1EEEvSM_
		.amdhsa_group_segment_fixed_size 0
		.amdhsa_private_segment_fixed_size 0
		.amdhsa_kernarg_size 64
		.amdhsa_user_sgpr_count 2
		.amdhsa_user_sgpr_dispatch_ptr 0
		.amdhsa_user_sgpr_queue_ptr 0
		.amdhsa_user_sgpr_kernarg_segment_ptr 1
		.amdhsa_user_sgpr_dispatch_id 0
		.amdhsa_user_sgpr_kernarg_preload_length 0
		.amdhsa_user_sgpr_kernarg_preload_offset 0
		.amdhsa_user_sgpr_private_segment_size 0
		.amdhsa_uses_dynamic_stack 0
		.amdhsa_enable_private_segment 0
		.amdhsa_system_sgpr_workgroup_id_x 1
		.amdhsa_system_sgpr_workgroup_id_y 0
		.amdhsa_system_sgpr_workgroup_id_z 0
		.amdhsa_system_sgpr_workgroup_info 0
		.amdhsa_system_vgpr_workitem_id 0
		.amdhsa_next_free_vgpr 1
		.amdhsa_next_free_sgpr 0
		.amdhsa_accum_offset 4
		.amdhsa_reserve_vcc 0
		.amdhsa_float_round_mode_32 0
		.amdhsa_float_round_mode_16_64 0
		.amdhsa_float_denorm_mode_32 3
		.amdhsa_float_denorm_mode_16_64 3
		.amdhsa_dx10_clamp 1
		.amdhsa_ieee_mode 1
		.amdhsa_fp16_overflow 0
		.amdhsa_tg_split 0
		.amdhsa_exception_fp_ieee_invalid_op 0
		.amdhsa_exception_fp_denorm_src 0
		.amdhsa_exception_fp_ieee_div_zero 0
		.amdhsa_exception_fp_ieee_overflow 0
		.amdhsa_exception_fp_ieee_underflow 0
		.amdhsa_exception_fp_ieee_inexact 0
		.amdhsa_exception_int_div_zero 0
	.end_amdhsa_kernel
	.section	.text._ZN7rocprim17ROCPRIM_400000_NS6detail17trampoline_kernelINS0_14default_configENS1_38merge_sort_block_merge_config_selectorIlNS0_10empty_typeEEEZZNS1_27merge_sort_block_merge_implIS3_PlPS5_mZN2at6native12_GLOBAL__N_124unique_dim_cuda_templateIjEESt5tupleIJNSA_6TensorESF_SF_EERKSF_lbbbEUlllE_EE10hipError_tT0_T1_T2_jT3_P12ihipStream_tbPNSt15iterator_traitsISL_E10value_typeEPNSR_ISM_E10value_typeEPSN_NS1_7vsmem_tEENKUlT_SL_SM_SN_E_clIS8_S8_S9_S9_EESK_S10_SL_SM_SN_EUlS10_E1_NS1_11comp_targetILNS1_3genE9ELNS1_11target_archE1100ELNS1_3gpuE3ELNS1_3repE0EEENS1_36merge_oddeven_config_static_selectorELNS0_4arch9wavefront6targetE1EEEvSM_,"axG",@progbits,_ZN7rocprim17ROCPRIM_400000_NS6detail17trampoline_kernelINS0_14default_configENS1_38merge_sort_block_merge_config_selectorIlNS0_10empty_typeEEEZZNS1_27merge_sort_block_merge_implIS3_PlPS5_mZN2at6native12_GLOBAL__N_124unique_dim_cuda_templateIjEESt5tupleIJNSA_6TensorESF_SF_EERKSF_lbbbEUlllE_EE10hipError_tT0_T1_T2_jT3_P12ihipStream_tbPNSt15iterator_traitsISL_E10value_typeEPNSR_ISM_E10value_typeEPSN_NS1_7vsmem_tEENKUlT_SL_SM_SN_E_clIS8_S8_S9_S9_EESK_S10_SL_SM_SN_EUlS10_E1_NS1_11comp_targetILNS1_3genE9ELNS1_11target_archE1100ELNS1_3gpuE3ELNS1_3repE0EEENS1_36merge_oddeven_config_static_selectorELNS0_4arch9wavefront6targetE1EEEvSM_,comdat
.Lfunc_end1514:
	.size	_ZN7rocprim17ROCPRIM_400000_NS6detail17trampoline_kernelINS0_14default_configENS1_38merge_sort_block_merge_config_selectorIlNS0_10empty_typeEEEZZNS1_27merge_sort_block_merge_implIS3_PlPS5_mZN2at6native12_GLOBAL__N_124unique_dim_cuda_templateIjEESt5tupleIJNSA_6TensorESF_SF_EERKSF_lbbbEUlllE_EE10hipError_tT0_T1_T2_jT3_P12ihipStream_tbPNSt15iterator_traitsISL_E10value_typeEPNSR_ISM_E10value_typeEPSN_NS1_7vsmem_tEENKUlT_SL_SM_SN_E_clIS8_S8_S9_S9_EESK_S10_SL_SM_SN_EUlS10_E1_NS1_11comp_targetILNS1_3genE9ELNS1_11target_archE1100ELNS1_3gpuE3ELNS1_3repE0EEENS1_36merge_oddeven_config_static_selectorELNS0_4arch9wavefront6targetE1EEEvSM_, .Lfunc_end1514-_ZN7rocprim17ROCPRIM_400000_NS6detail17trampoline_kernelINS0_14default_configENS1_38merge_sort_block_merge_config_selectorIlNS0_10empty_typeEEEZZNS1_27merge_sort_block_merge_implIS3_PlPS5_mZN2at6native12_GLOBAL__N_124unique_dim_cuda_templateIjEESt5tupleIJNSA_6TensorESF_SF_EERKSF_lbbbEUlllE_EE10hipError_tT0_T1_T2_jT3_P12ihipStream_tbPNSt15iterator_traitsISL_E10value_typeEPNSR_ISM_E10value_typeEPSN_NS1_7vsmem_tEENKUlT_SL_SM_SN_E_clIS8_S8_S9_S9_EESK_S10_SL_SM_SN_EUlS10_E1_NS1_11comp_targetILNS1_3genE9ELNS1_11target_archE1100ELNS1_3gpuE3ELNS1_3repE0EEENS1_36merge_oddeven_config_static_selectorELNS0_4arch9wavefront6targetE1EEEvSM_
                                        ; -- End function
	.set _ZN7rocprim17ROCPRIM_400000_NS6detail17trampoline_kernelINS0_14default_configENS1_38merge_sort_block_merge_config_selectorIlNS0_10empty_typeEEEZZNS1_27merge_sort_block_merge_implIS3_PlPS5_mZN2at6native12_GLOBAL__N_124unique_dim_cuda_templateIjEESt5tupleIJNSA_6TensorESF_SF_EERKSF_lbbbEUlllE_EE10hipError_tT0_T1_T2_jT3_P12ihipStream_tbPNSt15iterator_traitsISL_E10value_typeEPNSR_ISM_E10value_typeEPSN_NS1_7vsmem_tEENKUlT_SL_SM_SN_E_clIS8_S8_S9_S9_EESK_S10_SL_SM_SN_EUlS10_E1_NS1_11comp_targetILNS1_3genE9ELNS1_11target_archE1100ELNS1_3gpuE3ELNS1_3repE0EEENS1_36merge_oddeven_config_static_selectorELNS0_4arch9wavefront6targetE1EEEvSM_.num_vgpr, 0
	.set _ZN7rocprim17ROCPRIM_400000_NS6detail17trampoline_kernelINS0_14default_configENS1_38merge_sort_block_merge_config_selectorIlNS0_10empty_typeEEEZZNS1_27merge_sort_block_merge_implIS3_PlPS5_mZN2at6native12_GLOBAL__N_124unique_dim_cuda_templateIjEESt5tupleIJNSA_6TensorESF_SF_EERKSF_lbbbEUlllE_EE10hipError_tT0_T1_T2_jT3_P12ihipStream_tbPNSt15iterator_traitsISL_E10value_typeEPNSR_ISM_E10value_typeEPSN_NS1_7vsmem_tEENKUlT_SL_SM_SN_E_clIS8_S8_S9_S9_EESK_S10_SL_SM_SN_EUlS10_E1_NS1_11comp_targetILNS1_3genE9ELNS1_11target_archE1100ELNS1_3gpuE3ELNS1_3repE0EEENS1_36merge_oddeven_config_static_selectorELNS0_4arch9wavefront6targetE1EEEvSM_.num_agpr, 0
	.set _ZN7rocprim17ROCPRIM_400000_NS6detail17trampoline_kernelINS0_14default_configENS1_38merge_sort_block_merge_config_selectorIlNS0_10empty_typeEEEZZNS1_27merge_sort_block_merge_implIS3_PlPS5_mZN2at6native12_GLOBAL__N_124unique_dim_cuda_templateIjEESt5tupleIJNSA_6TensorESF_SF_EERKSF_lbbbEUlllE_EE10hipError_tT0_T1_T2_jT3_P12ihipStream_tbPNSt15iterator_traitsISL_E10value_typeEPNSR_ISM_E10value_typeEPSN_NS1_7vsmem_tEENKUlT_SL_SM_SN_E_clIS8_S8_S9_S9_EESK_S10_SL_SM_SN_EUlS10_E1_NS1_11comp_targetILNS1_3genE9ELNS1_11target_archE1100ELNS1_3gpuE3ELNS1_3repE0EEENS1_36merge_oddeven_config_static_selectorELNS0_4arch9wavefront6targetE1EEEvSM_.numbered_sgpr, 0
	.set _ZN7rocprim17ROCPRIM_400000_NS6detail17trampoline_kernelINS0_14default_configENS1_38merge_sort_block_merge_config_selectorIlNS0_10empty_typeEEEZZNS1_27merge_sort_block_merge_implIS3_PlPS5_mZN2at6native12_GLOBAL__N_124unique_dim_cuda_templateIjEESt5tupleIJNSA_6TensorESF_SF_EERKSF_lbbbEUlllE_EE10hipError_tT0_T1_T2_jT3_P12ihipStream_tbPNSt15iterator_traitsISL_E10value_typeEPNSR_ISM_E10value_typeEPSN_NS1_7vsmem_tEENKUlT_SL_SM_SN_E_clIS8_S8_S9_S9_EESK_S10_SL_SM_SN_EUlS10_E1_NS1_11comp_targetILNS1_3genE9ELNS1_11target_archE1100ELNS1_3gpuE3ELNS1_3repE0EEENS1_36merge_oddeven_config_static_selectorELNS0_4arch9wavefront6targetE1EEEvSM_.num_named_barrier, 0
	.set _ZN7rocprim17ROCPRIM_400000_NS6detail17trampoline_kernelINS0_14default_configENS1_38merge_sort_block_merge_config_selectorIlNS0_10empty_typeEEEZZNS1_27merge_sort_block_merge_implIS3_PlPS5_mZN2at6native12_GLOBAL__N_124unique_dim_cuda_templateIjEESt5tupleIJNSA_6TensorESF_SF_EERKSF_lbbbEUlllE_EE10hipError_tT0_T1_T2_jT3_P12ihipStream_tbPNSt15iterator_traitsISL_E10value_typeEPNSR_ISM_E10value_typeEPSN_NS1_7vsmem_tEENKUlT_SL_SM_SN_E_clIS8_S8_S9_S9_EESK_S10_SL_SM_SN_EUlS10_E1_NS1_11comp_targetILNS1_3genE9ELNS1_11target_archE1100ELNS1_3gpuE3ELNS1_3repE0EEENS1_36merge_oddeven_config_static_selectorELNS0_4arch9wavefront6targetE1EEEvSM_.private_seg_size, 0
	.set _ZN7rocprim17ROCPRIM_400000_NS6detail17trampoline_kernelINS0_14default_configENS1_38merge_sort_block_merge_config_selectorIlNS0_10empty_typeEEEZZNS1_27merge_sort_block_merge_implIS3_PlPS5_mZN2at6native12_GLOBAL__N_124unique_dim_cuda_templateIjEESt5tupleIJNSA_6TensorESF_SF_EERKSF_lbbbEUlllE_EE10hipError_tT0_T1_T2_jT3_P12ihipStream_tbPNSt15iterator_traitsISL_E10value_typeEPNSR_ISM_E10value_typeEPSN_NS1_7vsmem_tEENKUlT_SL_SM_SN_E_clIS8_S8_S9_S9_EESK_S10_SL_SM_SN_EUlS10_E1_NS1_11comp_targetILNS1_3genE9ELNS1_11target_archE1100ELNS1_3gpuE3ELNS1_3repE0EEENS1_36merge_oddeven_config_static_selectorELNS0_4arch9wavefront6targetE1EEEvSM_.uses_vcc, 0
	.set _ZN7rocprim17ROCPRIM_400000_NS6detail17trampoline_kernelINS0_14default_configENS1_38merge_sort_block_merge_config_selectorIlNS0_10empty_typeEEEZZNS1_27merge_sort_block_merge_implIS3_PlPS5_mZN2at6native12_GLOBAL__N_124unique_dim_cuda_templateIjEESt5tupleIJNSA_6TensorESF_SF_EERKSF_lbbbEUlllE_EE10hipError_tT0_T1_T2_jT3_P12ihipStream_tbPNSt15iterator_traitsISL_E10value_typeEPNSR_ISM_E10value_typeEPSN_NS1_7vsmem_tEENKUlT_SL_SM_SN_E_clIS8_S8_S9_S9_EESK_S10_SL_SM_SN_EUlS10_E1_NS1_11comp_targetILNS1_3genE9ELNS1_11target_archE1100ELNS1_3gpuE3ELNS1_3repE0EEENS1_36merge_oddeven_config_static_selectorELNS0_4arch9wavefront6targetE1EEEvSM_.uses_flat_scratch, 0
	.set _ZN7rocprim17ROCPRIM_400000_NS6detail17trampoline_kernelINS0_14default_configENS1_38merge_sort_block_merge_config_selectorIlNS0_10empty_typeEEEZZNS1_27merge_sort_block_merge_implIS3_PlPS5_mZN2at6native12_GLOBAL__N_124unique_dim_cuda_templateIjEESt5tupleIJNSA_6TensorESF_SF_EERKSF_lbbbEUlllE_EE10hipError_tT0_T1_T2_jT3_P12ihipStream_tbPNSt15iterator_traitsISL_E10value_typeEPNSR_ISM_E10value_typeEPSN_NS1_7vsmem_tEENKUlT_SL_SM_SN_E_clIS8_S8_S9_S9_EESK_S10_SL_SM_SN_EUlS10_E1_NS1_11comp_targetILNS1_3genE9ELNS1_11target_archE1100ELNS1_3gpuE3ELNS1_3repE0EEENS1_36merge_oddeven_config_static_selectorELNS0_4arch9wavefront6targetE1EEEvSM_.has_dyn_sized_stack, 0
	.set _ZN7rocprim17ROCPRIM_400000_NS6detail17trampoline_kernelINS0_14default_configENS1_38merge_sort_block_merge_config_selectorIlNS0_10empty_typeEEEZZNS1_27merge_sort_block_merge_implIS3_PlPS5_mZN2at6native12_GLOBAL__N_124unique_dim_cuda_templateIjEESt5tupleIJNSA_6TensorESF_SF_EERKSF_lbbbEUlllE_EE10hipError_tT0_T1_T2_jT3_P12ihipStream_tbPNSt15iterator_traitsISL_E10value_typeEPNSR_ISM_E10value_typeEPSN_NS1_7vsmem_tEENKUlT_SL_SM_SN_E_clIS8_S8_S9_S9_EESK_S10_SL_SM_SN_EUlS10_E1_NS1_11comp_targetILNS1_3genE9ELNS1_11target_archE1100ELNS1_3gpuE3ELNS1_3repE0EEENS1_36merge_oddeven_config_static_selectorELNS0_4arch9wavefront6targetE1EEEvSM_.has_recursion, 0
	.set _ZN7rocprim17ROCPRIM_400000_NS6detail17trampoline_kernelINS0_14default_configENS1_38merge_sort_block_merge_config_selectorIlNS0_10empty_typeEEEZZNS1_27merge_sort_block_merge_implIS3_PlPS5_mZN2at6native12_GLOBAL__N_124unique_dim_cuda_templateIjEESt5tupleIJNSA_6TensorESF_SF_EERKSF_lbbbEUlllE_EE10hipError_tT0_T1_T2_jT3_P12ihipStream_tbPNSt15iterator_traitsISL_E10value_typeEPNSR_ISM_E10value_typeEPSN_NS1_7vsmem_tEENKUlT_SL_SM_SN_E_clIS8_S8_S9_S9_EESK_S10_SL_SM_SN_EUlS10_E1_NS1_11comp_targetILNS1_3genE9ELNS1_11target_archE1100ELNS1_3gpuE3ELNS1_3repE0EEENS1_36merge_oddeven_config_static_selectorELNS0_4arch9wavefront6targetE1EEEvSM_.has_indirect_call, 0
	.section	.AMDGPU.csdata,"",@progbits
; Kernel info:
; codeLenInByte = 0
; TotalNumSgprs: 6
; NumVgprs: 0
; NumAgprs: 0
; TotalNumVgprs: 0
; ScratchSize: 0
; MemoryBound: 0
; FloatMode: 240
; IeeeMode: 1
; LDSByteSize: 0 bytes/workgroup (compile time only)
; SGPRBlocks: 0
; VGPRBlocks: 0
; NumSGPRsForWavesPerEU: 6
; NumVGPRsForWavesPerEU: 1
; AccumOffset: 4
; Occupancy: 8
; WaveLimiterHint : 0
; COMPUTE_PGM_RSRC2:SCRATCH_EN: 0
; COMPUTE_PGM_RSRC2:USER_SGPR: 2
; COMPUTE_PGM_RSRC2:TRAP_HANDLER: 0
; COMPUTE_PGM_RSRC2:TGID_X_EN: 1
; COMPUTE_PGM_RSRC2:TGID_Y_EN: 0
; COMPUTE_PGM_RSRC2:TGID_Z_EN: 0
; COMPUTE_PGM_RSRC2:TIDIG_COMP_CNT: 0
; COMPUTE_PGM_RSRC3_GFX90A:ACCUM_OFFSET: 0
; COMPUTE_PGM_RSRC3_GFX90A:TG_SPLIT: 0
	.section	.text._ZN7rocprim17ROCPRIM_400000_NS6detail17trampoline_kernelINS0_14default_configENS1_38merge_sort_block_merge_config_selectorIlNS0_10empty_typeEEEZZNS1_27merge_sort_block_merge_implIS3_PlPS5_mZN2at6native12_GLOBAL__N_124unique_dim_cuda_templateIjEESt5tupleIJNSA_6TensorESF_SF_EERKSF_lbbbEUlllE_EE10hipError_tT0_T1_T2_jT3_P12ihipStream_tbPNSt15iterator_traitsISL_E10value_typeEPNSR_ISM_E10value_typeEPSN_NS1_7vsmem_tEENKUlT_SL_SM_SN_E_clIS8_S8_S9_S9_EESK_S10_SL_SM_SN_EUlS10_E1_NS1_11comp_targetILNS1_3genE8ELNS1_11target_archE1030ELNS1_3gpuE2ELNS1_3repE0EEENS1_36merge_oddeven_config_static_selectorELNS0_4arch9wavefront6targetE1EEEvSM_,"axG",@progbits,_ZN7rocprim17ROCPRIM_400000_NS6detail17trampoline_kernelINS0_14default_configENS1_38merge_sort_block_merge_config_selectorIlNS0_10empty_typeEEEZZNS1_27merge_sort_block_merge_implIS3_PlPS5_mZN2at6native12_GLOBAL__N_124unique_dim_cuda_templateIjEESt5tupleIJNSA_6TensorESF_SF_EERKSF_lbbbEUlllE_EE10hipError_tT0_T1_T2_jT3_P12ihipStream_tbPNSt15iterator_traitsISL_E10value_typeEPNSR_ISM_E10value_typeEPSN_NS1_7vsmem_tEENKUlT_SL_SM_SN_E_clIS8_S8_S9_S9_EESK_S10_SL_SM_SN_EUlS10_E1_NS1_11comp_targetILNS1_3genE8ELNS1_11target_archE1030ELNS1_3gpuE2ELNS1_3repE0EEENS1_36merge_oddeven_config_static_selectorELNS0_4arch9wavefront6targetE1EEEvSM_,comdat
	.globl	_ZN7rocprim17ROCPRIM_400000_NS6detail17trampoline_kernelINS0_14default_configENS1_38merge_sort_block_merge_config_selectorIlNS0_10empty_typeEEEZZNS1_27merge_sort_block_merge_implIS3_PlPS5_mZN2at6native12_GLOBAL__N_124unique_dim_cuda_templateIjEESt5tupleIJNSA_6TensorESF_SF_EERKSF_lbbbEUlllE_EE10hipError_tT0_T1_T2_jT3_P12ihipStream_tbPNSt15iterator_traitsISL_E10value_typeEPNSR_ISM_E10value_typeEPSN_NS1_7vsmem_tEENKUlT_SL_SM_SN_E_clIS8_S8_S9_S9_EESK_S10_SL_SM_SN_EUlS10_E1_NS1_11comp_targetILNS1_3genE8ELNS1_11target_archE1030ELNS1_3gpuE2ELNS1_3repE0EEENS1_36merge_oddeven_config_static_selectorELNS0_4arch9wavefront6targetE1EEEvSM_ ; -- Begin function _ZN7rocprim17ROCPRIM_400000_NS6detail17trampoline_kernelINS0_14default_configENS1_38merge_sort_block_merge_config_selectorIlNS0_10empty_typeEEEZZNS1_27merge_sort_block_merge_implIS3_PlPS5_mZN2at6native12_GLOBAL__N_124unique_dim_cuda_templateIjEESt5tupleIJNSA_6TensorESF_SF_EERKSF_lbbbEUlllE_EE10hipError_tT0_T1_T2_jT3_P12ihipStream_tbPNSt15iterator_traitsISL_E10value_typeEPNSR_ISM_E10value_typeEPSN_NS1_7vsmem_tEENKUlT_SL_SM_SN_E_clIS8_S8_S9_S9_EESK_S10_SL_SM_SN_EUlS10_E1_NS1_11comp_targetILNS1_3genE8ELNS1_11target_archE1030ELNS1_3gpuE2ELNS1_3repE0EEENS1_36merge_oddeven_config_static_selectorELNS0_4arch9wavefront6targetE1EEEvSM_
	.p2align	8
	.type	_ZN7rocprim17ROCPRIM_400000_NS6detail17trampoline_kernelINS0_14default_configENS1_38merge_sort_block_merge_config_selectorIlNS0_10empty_typeEEEZZNS1_27merge_sort_block_merge_implIS3_PlPS5_mZN2at6native12_GLOBAL__N_124unique_dim_cuda_templateIjEESt5tupleIJNSA_6TensorESF_SF_EERKSF_lbbbEUlllE_EE10hipError_tT0_T1_T2_jT3_P12ihipStream_tbPNSt15iterator_traitsISL_E10value_typeEPNSR_ISM_E10value_typeEPSN_NS1_7vsmem_tEENKUlT_SL_SM_SN_E_clIS8_S8_S9_S9_EESK_S10_SL_SM_SN_EUlS10_E1_NS1_11comp_targetILNS1_3genE8ELNS1_11target_archE1030ELNS1_3gpuE2ELNS1_3repE0EEENS1_36merge_oddeven_config_static_selectorELNS0_4arch9wavefront6targetE1EEEvSM_,@function
_ZN7rocprim17ROCPRIM_400000_NS6detail17trampoline_kernelINS0_14default_configENS1_38merge_sort_block_merge_config_selectorIlNS0_10empty_typeEEEZZNS1_27merge_sort_block_merge_implIS3_PlPS5_mZN2at6native12_GLOBAL__N_124unique_dim_cuda_templateIjEESt5tupleIJNSA_6TensorESF_SF_EERKSF_lbbbEUlllE_EE10hipError_tT0_T1_T2_jT3_P12ihipStream_tbPNSt15iterator_traitsISL_E10value_typeEPNSR_ISM_E10value_typeEPSN_NS1_7vsmem_tEENKUlT_SL_SM_SN_E_clIS8_S8_S9_S9_EESK_S10_SL_SM_SN_EUlS10_E1_NS1_11comp_targetILNS1_3genE8ELNS1_11target_archE1030ELNS1_3gpuE2ELNS1_3repE0EEENS1_36merge_oddeven_config_static_selectorELNS0_4arch9wavefront6targetE1EEEvSM_: ; @_ZN7rocprim17ROCPRIM_400000_NS6detail17trampoline_kernelINS0_14default_configENS1_38merge_sort_block_merge_config_selectorIlNS0_10empty_typeEEEZZNS1_27merge_sort_block_merge_implIS3_PlPS5_mZN2at6native12_GLOBAL__N_124unique_dim_cuda_templateIjEESt5tupleIJNSA_6TensorESF_SF_EERKSF_lbbbEUlllE_EE10hipError_tT0_T1_T2_jT3_P12ihipStream_tbPNSt15iterator_traitsISL_E10value_typeEPNSR_ISM_E10value_typeEPSN_NS1_7vsmem_tEENKUlT_SL_SM_SN_E_clIS8_S8_S9_S9_EESK_S10_SL_SM_SN_EUlS10_E1_NS1_11comp_targetILNS1_3genE8ELNS1_11target_archE1030ELNS1_3gpuE2ELNS1_3repE0EEENS1_36merge_oddeven_config_static_selectorELNS0_4arch9wavefront6targetE1EEEvSM_
; %bb.0:
	.section	.rodata,"a",@progbits
	.p2align	6, 0x0
	.amdhsa_kernel _ZN7rocprim17ROCPRIM_400000_NS6detail17trampoline_kernelINS0_14default_configENS1_38merge_sort_block_merge_config_selectorIlNS0_10empty_typeEEEZZNS1_27merge_sort_block_merge_implIS3_PlPS5_mZN2at6native12_GLOBAL__N_124unique_dim_cuda_templateIjEESt5tupleIJNSA_6TensorESF_SF_EERKSF_lbbbEUlllE_EE10hipError_tT0_T1_T2_jT3_P12ihipStream_tbPNSt15iterator_traitsISL_E10value_typeEPNSR_ISM_E10value_typeEPSN_NS1_7vsmem_tEENKUlT_SL_SM_SN_E_clIS8_S8_S9_S9_EESK_S10_SL_SM_SN_EUlS10_E1_NS1_11comp_targetILNS1_3genE8ELNS1_11target_archE1030ELNS1_3gpuE2ELNS1_3repE0EEENS1_36merge_oddeven_config_static_selectorELNS0_4arch9wavefront6targetE1EEEvSM_
		.amdhsa_group_segment_fixed_size 0
		.amdhsa_private_segment_fixed_size 0
		.amdhsa_kernarg_size 64
		.amdhsa_user_sgpr_count 2
		.amdhsa_user_sgpr_dispatch_ptr 0
		.amdhsa_user_sgpr_queue_ptr 0
		.amdhsa_user_sgpr_kernarg_segment_ptr 1
		.amdhsa_user_sgpr_dispatch_id 0
		.amdhsa_user_sgpr_kernarg_preload_length 0
		.amdhsa_user_sgpr_kernarg_preload_offset 0
		.amdhsa_user_sgpr_private_segment_size 0
		.amdhsa_uses_dynamic_stack 0
		.amdhsa_enable_private_segment 0
		.amdhsa_system_sgpr_workgroup_id_x 1
		.amdhsa_system_sgpr_workgroup_id_y 0
		.amdhsa_system_sgpr_workgroup_id_z 0
		.amdhsa_system_sgpr_workgroup_info 0
		.amdhsa_system_vgpr_workitem_id 0
		.amdhsa_next_free_vgpr 1
		.amdhsa_next_free_sgpr 0
		.amdhsa_accum_offset 4
		.amdhsa_reserve_vcc 0
		.amdhsa_float_round_mode_32 0
		.amdhsa_float_round_mode_16_64 0
		.amdhsa_float_denorm_mode_32 3
		.amdhsa_float_denorm_mode_16_64 3
		.amdhsa_dx10_clamp 1
		.amdhsa_ieee_mode 1
		.amdhsa_fp16_overflow 0
		.amdhsa_tg_split 0
		.amdhsa_exception_fp_ieee_invalid_op 0
		.amdhsa_exception_fp_denorm_src 0
		.amdhsa_exception_fp_ieee_div_zero 0
		.amdhsa_exception_fp_ieee_overflow 0
		.amdhsa_exception_fp_ieee_underflow 0
		.amdhsa_exception_fp_ieee_inexact 0
		.amdhsa_exception_int_div_zero 0
	.end_amdhsa_kernel
	.section	.text._ZN7rocprim17ROCPRIM_400000_NS6detail17trampoline_kernelINS0_14default_configENS1_38merge_sort_block_merge_config_selectorIlNS0_10empty_typeEEEZZNS1_27merge_sort_block_merge_implIS3_PlPS5_mZN2at6native12_GLOBAL__N_124unique_dim_cuda_templateIjEESt5tupleIJNSA_6TensorESF_SF_EERKSF_lbbbEUlllE_EE10hipError_tT0_T1_T2_jT3_P12ihipStream_tbPNSt15iterator_traitsISL_E10value_typeEPNSR_ISM_E10value_typeEPSN_NS1_7vsmem_tEENKUlT_SL_SM_SN_E_clIS8_S8_S9_S9_EESK_S10_SL_SM_SN_EUlS10_E1_NS1_11comp_targetILNS1_3genE8ELNS1_11target_archE1030ELNS1_3gpuE2ELNS1_3repE0EEENS1_36merge_oddeven_config_static_selectorELNS0_4arch9wavefront6targetE1EEEvSM_,"axG",@progbits,_ZN7rocprim17ROCPRIM_400000_NS6detail17trampoline_kernelINS0_14default_configENS1_38merge_sort_block_merge_config_selectorIlNS0_10empty_typeEEEZZNS1_27merge_sort_block_merge_implIS3_PlPS5_mZN2at6native12_GLOBAL__N_124unique_dim_cuda_templateIjEESt5tupleIJNSA_6TensorESF_SF_EERKSF_lbbbEUlllE_EE10hipError_tT0_T1_T2_jT3_P12ihipStream_tbPNSt15iterator_traitsISL_E10value_typeEPNSR_ISM_E10value_typeEPSN_NS1_7vsmem_tEENKUlT_SL_SM_SN_E_clIS8_S8_S9_S9_EESK_S10_SL_SM_SN_EUlS10_E1_NS1_11comp_targetILNS1_3genE8ELNS1_11target_archE1030ELNS1_3gpuE2ELNS1_3repE0EEENS1_36merge_oddeven_config_static_selectorELNS0_4arch9wavefront6targetE1EEEvSM_,comdat
.Lfunc_end1515:
	.size	_ZN7rocprim17ROCPRIM_400000_NS6detail17trampoline_kernelINS0_14default_configENS1_38merge_sort_block_merge_config_selectorIlNS0_10empty_typeEEEZZNS1_27merge_sort_block_merge_implIS3_PlPS5_mZN2at6native12_GLOBAL__N_124unique_dim_cuda_templateIjEESt5tupleIJNSA_6TensorESF_SF_EERKSF_lbbbEUlllE_EE10hipError_tT0_T1_T2_jT3_P12ihipStream_tbPNSt15iterator_traitsISL_E10value_typeEPNSR_ISM_E10value_typeEPSN_NS1_7vsmem_tEENKUlT_SL_SM_SN_E_clIS8_S8_S9_S9_EESK_S10_SL_SM_SN_EUlS10_E1_NS1_11comp_targetILNS1_3genE8ELNS1_11target_archE1030ELNS1_3gpuE2ELNS1_3repE0EEENS1_36merge_oddeven_config_static_selectorELNS0_4arch9wavefront6targetE1EEEvSM_, .Lfunc_end1515-_ZN7rocprim17ROCPRIM_400000_NS6detail17trampoline_kernelINS0_14default_configENS1_38merge_sort_block_merge_config_selectorIlNS0_10empty_typeEEEZZNS1_27merge_sort_block_merge_implIS3_PlPS5_mZN2at6native12_GLOBAL__N_124unique_dim_cuda_templateIjEESt5tupleIJNSA_6TensorESF_SF_EERKSF_lbbbEUlllE_EE10hipError_tT0_T1_T2_jT3_P12ihipStream_tbPNSt15iterator_traitsISL_E10value_typeEPNSR_ISM_E10value_typeEPSN_NS1_7vsmem_tEENKUlT_SL_SM_SN_E_clIS8_S8_S9_S9_EESK_S10_SL_SM_SN_EUlS10_E1_NS1_11comp_targetILNS1_3genE8ELNS1_11target_archE1030ELNS1_3gpuE2ELNS1_3repE0EEENS1_36merge_oddeven_config_static_selectorELNS0_4arch9wavefront6targetE1EEEvSM_
                                        ; -- End function
	.set _ZN7rocprim17ROCPRIM_400000_NS6detail17trampoline_kernelINS0_14default_configENS1_38merge_sort_block_merge_config_selectorIlNS0_10empty_typeEEEZZNS1_27merge_sort_block_merge_implIS3_PlPS5_mZN2at6native12_GLOBAL__N_124unique_dim_cuda_templateIjEESt5tupleIJNSA_6TensorESF_SF_EERKSF_lbbbEUlllE_EE10hipError_tT0_T1_T2_jT3_P12ihipStream_tbPNSt15iterator_traitsISL_E10value_typeEPNSR_ISM_E10value_typeEPSN_NS1_7vsmem_tEENKUlT_SL_SM_SN_E_clIS8_S8_S9_S9_EESK_S10_SL_SM_SN_EUlS10_E1_NS1_11comp_targetILNS1_3genE8ELNS1_11target_archE1030ELNS1_3gpuE2ELNS1_3repE0EEENS1_36merge_oddeven_config_static_selectorELNS0_4arch9wavefront6targetE1EEEvSM_.num_vgpr, 0
	.set _ZN7rocprim17ROCPRIM_400000_NS6detail17trampoline_kernelINS0_14default_configENS1_38merge_sort_block_merge_config_selectorIlNS0_10empty_typeEEEZZNS1_27merge_sort_block_merge_implIS3_PlPS5_mZN2at6native12_GLOBAL__N_124unique_dim_cuda_templateIjEESt5tupleIJNSA_6TensorESF_SF_EERKSF_lbbbEUlllE_EE10hipError_tT0_T1_T2_jT3_P12ihipStream_tbPNSt15iterator_traitsISL_E10value_typeEPNSR_ISM_E10value_typeEPSN_NS1_7vsmem_tEENKUlT_SL_SM_SN_E_clIS8_S8_S9_S9_EESK_S10_SL_SM_SN_EUlS10_E1_NS1_11comp_targetILNS1_3genE8ELNS1_11target_archE1030ELNS1_3gpuE2ELNS1_3repE0EEENS1_36merge_oddeven_config_static_selectorELNS0_4arch9wavefront6targetE1EEEvSM_.num_agpr, 0
	.set _ZN7rocprim17ROCPRIM_400000_NS6detail17trampoline_kernelINS0_14default_configENS1_38merge_sort_block_merge_config_selectorIlNS0_10empty_typeEEEZZNS1_27merge_sort_block_merge_implIS3_PlPS5_mZN2at6native12_GLOBAL__N_124unique_dim_cuda_templateIjEESt5tupleIJNSA_6TensorESF_SF_EERKSF_lbbbEUlllE_EE10hipError_tT0_T1_T2_jT3_P12ihipStream_tbPNSt15iterator_traitsISL_E10value_typeEPNSR_ISM_E10value_typeEPSN_NS1_7vsmem_tEENKUlT_SL_SM_SN_E_clIS8_S8_S9_S9_EESK_S10_SL_SM_SN_EUlS10_E1_NS1_11comp_targetILNS1_3genE8ELNS1_11target_archE1030ELNS1_3gpuE2ELNS1_3repE0EEENS1_36merge_oddeven_config_static_selectorELNS0_4arch9wavefront6targetE1EEEvSM_.numbered_sgpr, 0
	.set _ZN7rocprim17ROCPRIM_400000_NS6detail17trampoline_kernelINS0_14default_configENS1_38merge_sort_block_merge_config_selectorIlNS0_10empty_typeEEEZZNS1_27merge_sort_block_merge_implIS3_PlPS5_mZN2at6native12_GLOBAL__N_124unique_dim_cuda_templateIjEESt5tupleIJNSA_6TensorESF_SF_EERKSF_lbbbEUlllE_EE10hipError_tT0_T1_T2_jT3_P12ihipStream_tbPNSt15iterator_traitsISL_E10value_typeEPNSR_ISM_E10value_typeEPSN_NS1_7vsmem_tEENKUlT_SL_SM_SN_E_clIS8_S8_S9_S9_EESK_S10_SL_SM_SN_EUlS10_E1_NS1_11comp_targetILNS1_3genE8ELNS1_11target_archE1030ELNS1_3gpuE2ELNS1_3repE0EEENS1_36merge_oddeven_config_static_selectorELNS0_4arch9wavefront6targetE1EEEvSM_.num_named_barrier, 0
	.set _ZN7rocprim17ROCPRIM_400000_NS6detail17trampoline_kernelINS0_14default_configENS1_38merge_sort_block_merge_config_selectorIlNS0_10empty_typeEEEZZNS1_27merge_sort_block_merge_implIS3_PlPS5_mZN2at6native12_GLOBAL__N_124unique_dim_cuda_templateIjEESt5tupleIJNSA_6TensorESF_SF_EERKSF_lbbbEUlllE_EE10hipError_tT0_T1_T2_jT3_P12ihipStream_tbPNSt15iterator_traitsISL_E10value_typeEPNSR_ISM_E10value_typeEPSN_NS1_7vsmem_tEENKUlT_SL_SM_SN_E_clIS8_S8_S9_S9_EESK_S10_SL_SM_SN_EUlS10_E1_NS1_11comp_targetILNS1_3genE8ELNS1_11target_archE1030ELNS1_3gpuE2ELNS1_3repE0EEENS1_36merge_oddeven_config_static_selectorELNS0_4arch9wavefront6targetE1EEEvSM_.private_seg_size, 0
	.set _ZN7rocprim17ROCPRIM_400000_NS6detail17trampoline_kernelINS0_14default_configENS1_38merge_sort_block_merge_config_selectorIlNS0_10empty_typeEEEZZNS1_27merge_sort_block_merge_implIS3_PlPS5_mZN2at6native12_GLOBAL__N_124unique_dim_cuda_templateIjEESt5tupleIJNSA_6TensorESF_SF_EERKSF_lbbbEUlllE_EE10hipError_tT0_T1_T2_jT3_P12ihipStream_tbPNSt15iterator_traitsISL_E10value_typeEPNSR_ISM_E10value_typeEPSN_NS1_7vsmem_tEENKUlT_SL_SM_SN_E_clIS8_S8_S9_S9_EESK_S10_SL_SM_SN_EUlS10_E1_NS1_11comp_targetILNS1_3genE8ELNS1_11target_archE1030ELNS1_3gpuE2ELNS1_3repE0EEENS1_36merge_oddeven_config_static_selectorELNS0_4arch9wavefront6targetE1EEEvSM_.uses_vcc, 0
	.set _ZN7rocprim17ROCPRIM_400000_NS6detail17trampoline_kernelINS0_14default_configENS1_38merge_sort_block_merge_config_selectorIlNS0_10empty_typeEEEZZNS1_27merge_sort_block_merge_implIS3_PlPS5_mZN2at6native12_GLOBAL__N_124unique_dim_cuda_templateIjEESt5tupleIJNSA_6TensorESF_SF_EERKSF_lbbbEUlllE_EE10hipError_tT0_T1_T2_jT3_P12ihipStream_tbPNSt15iterator_traitsISL_E10value_typeEPNSR_ISM_E10value_typeEPSN_NS1_7vsmem_tEENKUlT_SL_SM_SN_E_clIS8_S8_S9_S9_EESK_S10_SL_SM_SN_EUlS10_E1_NS1_11comp_targetILNS1_3genE8ELNS1_11target_archE1030ELNS1_3gpuE2ELNS1_3repE0EEENS1_36merge_oddeven_config_static_selectorELNS0_4arch9wavefront6targetE1EEEvSM_.uses_flat_scratch, 0
	.set _ZN7rocprim17ROCPRIM_400000_NS6detail17trampoline_kernelINS0_14default_configENS1_38merge_sort_block_merge_config_selectorIlNS0_10empty_typeEEEZZNS1_27merge_sort_block_merge_implIS3_PlPS5_mZN2at6native12_GLOBAL__N_124unique_dim_cuda_templateIjEESt5tupleIJNSA_6TensorESF_SF_EERKSF_lbbbEUlllE_EE10hipError_tT0_T1_T2_jT3_P12ihipStream_tbPNSt15iterator_traitsISL_E10value_typeEPNSR_ISM_E10value_typeEPSN_NS1_7vsmem_tEENKUlT_SL_SM_SN_E_clIS8_S8_S9_S9_EESK_S10_SL_SM_SN_EUlS10_E1_NS1_11comp_targetILNS1_3genE8ELNS1_11target_archE1030ELNS1_3gpuE2ELNS1_3repE0EEENS1_36merge_oddeven_config_static_selectorELNS0_4arch9wavefront6targetE1EEEvSM_.has_dyn_sized_stack, 0
	.set _ZN7rocprim17ROCPRIM_400000_NS6detail17trampoline_kernelINS0_14default_configENS1_38merge_sort_block_merge_config_selectorIlNS0_10empty_typeEEEZZNS1_27merge_sort_block_merge_implIS3_PlPS5_mZN2at6native12_GLOBAL__N_124unique_dim_cuda_templateIjEESt5tupleIJNSA_6TensorESF_SF_EERKSF_lbbbEUlllE_EE10hipError_tT0_T1_T2_jT3_P12ihipStream_tbPNSt15iterator_traitsISL_E10value_typeEPNSR_ISM_E10value_typeEPSN_NS1_7vsmem_tEENKUlT_SL_SM_SN_E_clIS8_S8_S9_S9_EESK_S10_SL_SM_SN_EUlS10_E1_NS1_11comp_targetILNS1_3genE8ELNS1_11target_archE1030ELNS1_3gpuE2ELNS1_3repE0EEENS1_36merge_oddeven_config_static_selectorELNS0_4arch9wavefront6targetE1EEEvSM_.has_recursion, 0
	.set _ZN7rocprim17ROCPRIM_400000_NS6detail17trampoline_kernelINS0_14default_configENS1_38merge_sort_block_merge_config_selectorIlNS0_10empty_typeEEEZZNS1_27merge_sort_block_merge_implIS3_PlPS5_mZN2at6native12_GLOBAL__N_124unique_dim_cuda_templateIjEESt5tupleIJNSA_6TensorESF_SF_EERKSF_lbbbEUlllE_EE10hipError_tT0_T1_T2_jT3_P12ihipStream_tbPNSt15iterator_traitsISL_E10value_typeEPNSR_ISM_E10value_typeEPSN_NS1_7vsmem_tEENKUlT_SL_SM_SN_E_clIS8_S8_S9_S9_EESK_S10_SL_SM_SN_EUlS10_E1_NS1_11comp_targetILNS1_3genE8ELNS1_11target_archE1030ELNS1_3gpuE2ELNS1_3repE0EEENS1_36merge_oddeven_config_static_selectorELNS0_4arch9wavefront6targetE1EEEvSM_.has_indirect_call, 0
	.section	.AMDGPU.csdata,"",@progbits
; Kernel info:
; codeLenInByte = 0
; TotalNumSgprs: 6
; NumVgprs: 0
; NumAgprs: 0
; TotalNumVgprs: 0
; ScratchSize: 0
; MemoryBound: 0
; FloatMode: 240
; IeeeMode: 1
; LDSByteSize: 0 bytes/workgroup (compile time only)
; SGPRBlocks: 0
; VGPRBlocks: 0
; NumSGPRsForWavesPerEU: 6
; NumVGPRsForWavesPerEU: 1
; AccumOffset: 4
; Occupancy: 8
; WaveLimiterHint : 0
; COMPUTE_PGM_RSRC2:SCRATCH_EN: 0
; COMPUTE_PGM_RSRC2:USER_SGPR: 2
; COMPUTE_PGM_RSRC2:TRAP_HANDLER: 0
; COMPUTE_PGM_RSRC2:TGID_X_EN: 1
; COMPUTE_PGM_RSRC2:TGID_Y_EN: 0
; COMPUTE_PGM_RSRC2:TGID_Z_EN: 0
; COMPUTE_PGM_RSRC2:TIDIG_COMP_CNT: 0
; COMPUTE_PGM_RSRC3_GFX90A:ACCUM_OFFSET: 0
; COMPUTE_PGM_RSRC3_GFX90A:TG_SPLIT: 0
	.section	.text._ZN7rocprim17ROCPRIM_400000_NS6detail17trampoline_kernelINS0_14default_configENS1_35adjacent_difference_config_selectorILb0ElEEZNS1_24adjacent_difference_implIS3_Lb0ELb0EPlS7_ZN2at6native12_GLOBAL__N_124unique_dim_cuda_templateIjEESt5tupleIJNS8_6TensorESD_SD_EERKSD_lbbbEUlllE1_EE10hipError_tPvRmT2_T3_mT4_P12ihipStream_tbEUlT_E_NS1_11comp_targetILNS1_3genE0ELNS1_11target_archE4294967295ELNS1_3gpuE0ELNS1_3repE0EEENS1_30default_config_static_selectorELNS0_4arch9wavefront6targetE1EEEvT1_,"axG",@progbits,_ZN7rocprim17ROCPRIM_400000_NS6detail17trampoline_kernelINS0_14default_configENS1_35adjacent_difference_config_selectorILb0ElEEZNS1_24adjacent_difference_implIS3_Lb0ELb0EPlS7_ZN2at6native12_GLOBAL__N_124unique_dim_cuda_templateIjEESt5tupleIJNS8_6TensorESD_SD_EERKSD_lbbbEUlllE1_EE10hipError_tPvRmT2_T3_mT4_P12ihipStream_tbEUlT_E_NS1_11comp_targetILNS1_3genE0ELNS1_11target_archE4294967295ELNS1_3gpuE0ELNS1_3repE0EEENS1_30default_config_static_selectorELNS0_4arch9wavefront6targetE1EEEvT1_,comdat
	.globl	_ZN7rocprim17ROCPRIM_400000_NS6detail17trampoline_kernelINS0_14default_configENS1_35adjacent_difference_config_selectorILb0ElEEZNS1_24adjacent_difference_implIS3_Lb0ELb0EPlS7_ZN2at6native12_GLOBAL__N_124unique_dim_cuda_templateIjEESt5tupleIJNS8_6TensorESD_SD_EERKSD_lbbbEUlllE1_EE10hipError_tPvRmT2_T3_mT4_P12ihipStream_tbEUlT_E_NS1_11comp_targetILNS1_3genE0ELNS1_11target_archE4294967295ELNS1_3gpuE0ELNS1_3repE0EEENS1_30default_config_static_selectorELNS0_4arch9wavefront6targetE1EEEvT1_ ; -- Begin function _ZN7rocprim17ROCPRIM_400000_NS6detail17trampoline_kernelINS0_14default_configENS1_35adjacent_difference_config_selectorILb0ElEEZNS1_24adjacent_difference_implIS3_Lb0ELb0EPlS7_ZN2at6native12_GLOBAL__N_124unique_dim_cuda_templateIjEESt5tupleIJNS8_6TensorESD_SD_EERKSD_lbbbEUlllE1_EE10hipError_tPvRmT2_T3_mT4_P12ihipStream_tbEUlT_E_NS1_11comp_targetILNS1_3genE0ELNS1_11target_archE4294967295ELNS1_3gpuE0ELNS1_3repE0EEENS1_30default_config_static_selectorELNS0_4arch9wavefront6targetE1EEEvT1_
	.p2align	8
	.type	_ZN7rocprim17ROCPRIM_400000_NS6detail17trampoline_kernelINS0_14default_configENS1_35adjacent_difference_config_selectorILb0ElEEZNS1_24adjacent_difference_implIS3_Lb0ELb0EPlS7_ZN2at6native12_GLOBAL__N_124unique_dim_cuda_templateIjEESt5tupleIJNS8_6TensorESD_SD_EERKSD_lbbbEUlllE1_EE10hipError_tPvRmT2_T3_mT4_P12ihipStream_tbEUlT_E_NS1_11comp_targetILNS1_3genE0ELNS1_11target_archE4294967295ELNS1_3gpuE0ELNS1_3repE0EEENS1_30default_config_static_selectorELNS0_4arch9wavefront6targetE1EEEvT1_,@function
_ZN7rocprim17ROCPRIM_400000_NS6detail17trampoline_kernelINS0_14default_configENS1_35adjacent_difference_config_selectorILb0ElEEZNS1_24adjacent_difference_implIS3_Lb0ELb0EPlS7_ZN2at6native12_GLOBAL__N_124unique_dim_cuda_templateIjEESt5tupleIJNS8_6TensorESD_SD_EERKSD_lbbbEUlllE1_EE10hipError_tPvRmT2_T3_mT4_P12ihipStream_tbEUlT_E_NS1_11comp_targetILNS1_3genE0ELNS1_11target_archE4294967295ELNS1_3gpuE0ELNS1_3repE0EEENS1_30default_config_static_selectorELNS0_4arch9wavefront6targetE1EEEvT1_: ; @_ZN7rocprim17ROCPRIM_400000_NS6detail17trampoline_kernelINS0_14default_configENS1_35adjacent_difference_config_selectorILb0ElEEZNS1_24adjacent_difference_implIS3_Lb0ELb0EPlS7_ZN2at6native12_GLOBAL__N_124unique_dim_cuda_templateIjEESt5tupleIJNS8_6TensorESD_SD_EERKSD_lbbbEUlllE1_EE10hipError_tPvRmT2_T3_mT4_P12ihipStream_tbEUlT_E_NS1_11comp_targetILNS1_3genE0ELNS1_11target_archE4294967295ELNS1_3gpuE0ELNS1_3repE0EEENS1_30default_config_static_selectorELNS0_4arch9wavefront6targetE1EEEvT1_
; %bb.0:
	s_load_dwordx8 s[4:11], s[0:1], 0x0
	s_load_dwordx4 s[12:15], s[0:1], 0x20
	s_load_dwordx2 s[16:17], s[0:1], 0x38
	s_mov_b32 s19, 0
	s_mov_b64 s[20:21], -1
	s_waitcnt lgkmcnt(0)
	s_lshl_b64 s[6:7], s[6:7], 3
	s_add_u32 s22, s4, s6
	s_addc_u32 s23, s5, s7
	s_lshl_b32 s4, s2, 7
	s_lshr_b64 s[0:1], s[10:11], 7
	s_and_b32 s18, s10, 0x7f
	s_cmp_lg_u64 s[18:19], 0
	s_cselect_b64 s[18:19], -1, 0
	v_cndmask_b32_e64 v1, 0, 1, s[18:19]
	s_nop 0
	v_readfirstlane_b32 s3, v1
	s_add_u32 s18, s0, s3
	s_addc_u32 s19, s1, 0
	s_add_u32 s2, s16, s2
	s_addc_u32 s3, s17, 0
	s_add_u32 s16, s18, -1
	s_addc_u32 s17, s19, -1
	v_mov_b64_e32 v[2:3], s[16:17]
	v_cmp_ge_u64_e64 s[0:1], s[2:3], v[2:3]
	s_and_b64 vcc, exec, s[0:1]
                                        ; implicit-def: $vgpr1
	s_cbranch_vccz .LBB1516_4
; %bb.1:
	s_lshl_b32 s5, s16, 7
	s_sub_i32 s5, s10, s5
	v_cmp_gt_u32_e32 vcc, s5, v0
                                        ; implicit-def: $vgpr2_vgpr3
	s_and_saveexec_b64 s[20:21], vcc
	s_cbranch_execz .LBB1516_3
; %bb.2:
	s_mov_b32 s5, 0
	s_lshl_b64 s[24:25], s[4:5], 3
	s_add_u32 s24, s22, s24
	s_addc_u32 s25, s23, s25
	v_lshlrev_b32_e32 v1, 3, v0
	global_load_dwordx2 v[2:3], v1, s[24:25]
.LBB1516_3:
	s_or_b64 exec, exec, s[20:21]
	v_lshlrev_b32_e32 v1, 3, v0
	s_mov_b64 s[20:21], 0
	s_waitcnt vmcnt(0)
	ds_write_b64 v1, v[2:3]
	s_waitcnt lgkmcnt(0)
	s_barrier
.LBB1516_4:
	s_and_b64 vcc, exec, s[20:21]
	s_cbranch_vccz .LBB1516_6
; %bb.5:
	s_mov_b32 s5, 0
	s_lshl_b64 s[20:21], s[4:5], 3
	s_add_u32 s20, s22, s20
	s_addc_u32 s21, s23, s21
	v_lshlrev_b32_e32 v1, 3, v0
	global_load_dwordx2 v[2:3], v1, s[20:21]
	s_waitcnt vmcnt(0)
	ds_write_b64 v1, v[2:3]
	s_waitcnt lgkmcnt(0)
	s_barrier
.LBB1516_6:
	ds_read_b64 v[2:3], v1
	s_cmp_eq_u64 s[2:3], 0
	s_waitcnt lgkmcnt(0)
	s_barrier
	s_cbranch_scc1 .LBB1516_15
; %bb.7:
	s_mov_b32 s5, 0
	s_lshl_b64 s[20:21], s[4:5], 3
	s_add_u32 s5, s22, s20
	s_addc_u32 s11, s23, s21
	s_add_u32 s20, s5, -8
	s_addc_u32 s21, s11, -1
	s_load_dwordx2 s[20:21], s[20:21], 0x0
	s_cmp_eq_u64 s[2:3], s[16:17]
	s_cbranch_scc1 .LBB1516_16
; %bb.8:
	v_lshlrev_b32_e32 v1, 3, v0
	v_cmp_ne_u32_e32 vcc, 0, v0
	s_waitcnt lgkmcnt(0)
	v_mov_b64_e32 v[6:7], s[20:21]
	ds_write_b64 v1, v[2:3]
	s_waitcnt lgkmcnt(0)
	s_barrier
	s_and_saveexec_b64 s[22:23], vcc
; %bb.9:
	v_add_u32_e32 v1, -8, v1
	ds_read_b64 v[6:7], v1
; %bb.10:
	s_or_b64 exec, exec, s[22:23]
	v_cmp_lt_i64_e64 s[22:23], s[12:13], 1
	s_and_b64 vcc, exec, s[22:23]
	s_cbranch_vccnz .LBB1516_18
; %bb.11:
	v_mul_lo_u32 v1, v3, s12
	v_mul_lo_u32 v8, v2, s13
	v_mad_u64_u32 v[4:5], s[22:23], v2, s12, 0
	v_add3_u32 v5, v5, v8, v1
	s_waitcnt lgkmcnt(0)
	v_mul_lo_u32 v1, v7, s12
	v_mul_lo_u32 v8, v6, s13
	v_mad_u64_u32 v[6:7], s[22:23], v6, s12, 0
	v_add3_u32 v7, v7, v8, v1
	v_lshl_add_u64 v[4:5], v[4:5], 2, s[14:15]
	v_lshl_add_u64 v[6:7], v[6:7], 2, s[14:15]
	s_mov_b64 s[22:23], 0
	s_mov_b64 s[24:25], s[12:13]
                                        ; implicit-def: $sgpr26_sgpr27
	s_branch .LBB1516_13
.LBB1516_12:                            ;   in Loop: Header=BB1516_13 Depth=1
	s_or_b64 exec, exec, s[28:29]
	s_and_b64 s[28:29], exec, s[26:27]
	s_or_b64 s[22:23], s[28:29], s[22:23]
	s_andn2_b64 exec, exec, s[22:23]
	s_cbranch_execz .LBB1516_17
.LBB1516_13:                            ; =>This Inner Loop Header: Depth=1
	global_load_dword v1, v[4:5], off
	global_load_dword v10, v[6:7], off
	v_mov_b64_e32 v[8:9], 1
	s_or_b64 s[26:27], s[26:27], exec
	s_waitcnt vmcnt(0)
	v_cmp_eq_u32_e32 vcc, v1, v10
	s_and_saveexec_b64 s[28:29], vcc
	s_cbranch_execz .LBB1516_12
; %bb.14:                               ;   in Loop: Header=BB1516_13 Depth=1
	s_add_u32 s24, s24, -1
	s_addc_u32 s25, s25, -1
	s_cmp_eq_u64 s[24:25], 0
	s_cselect_b64 s[30:31], -1, 0
	s_andn2_b64 s[26:27], s[26:27], exec
	s_and_b64 s[30:31], s[30:31], exec
	v_lshl_add_u64 v[4:5], v[4:5], 0, 4
	v_lshl_add_u64 v[6:7], v[6:7], 0, 4
	v_mov_b64_e32 v[8:9], 0
	s_or_b64 s[26:27], s[26:27], s[30:31]
	s_branch .LBB1516_12
.LBB1516_15:
                                        ; implicit-def: $vgpr8_vgpr9
	s_branch .LBB1516_31
.LBB1516_16:
                                        ; implicit-def: $vgpr8_vgpr9
	s_cbranch_execnz .LBB1516_19
	s_branch .LBB1516_30
.LBB1516_17:
	s_or_b64 exec, exec, s[22:23]
	s_branch .LBB1516_30
.LBB1516_18:
	v_mov_b64_e32 v[8:9], 0
	s_branch .LBB1516_30
.LBB1516_19:
	v_lshlrev_b32_e32 v1, 3, v0
	v_cmp_ne_u32_e32 vcc, 0, v0
	s_waitcnt lgkmcnt(0)
	v_mov_b64_e32 v[6:7], s[20:21]
	ds_write_b64 v1, v[2:3]
	s_waitcnt lgkmcnt(0)
	s_barrier
	s_and_saveexec_b64 s[20:21], vcc
; %bb.20:
	v_add_u32_e32 v1, -8, v1
	ds_read_b64 v[6:7], v1
; %bb.21:
	s_or_b64 exec, exec, s[20:21]
	s_lshl_b32 s2, s2, 7
	s_sub_i32 s2, s10, s2
	v_cmp_gt_u32_e32 vcc, s2, v0
	v_mov_b64_e32 v[8:9], v[2:3]
	s_and_saveexec_b64 s[2:3], vcc
	s_cbranch_execz .LBB1516_29
; %bb.22:
	v_cmp_lt_i64_e64 s[20:21], s[12:13], 1
	s_and_b64 vcc, exec, s[20:21]
	s_cbranch_vccnz .LBB1516_28
; %bb.23:
	v_mul_lo_u32 v1, v3, s12
	v_mul_lo_u32 v8, v2, s13
	v_mad_u64_u32 v[4:5], s[20:21], v2, s12, 0
	v_add3_u32 v5, v5, v8, v1
	s_waitcnt lgkmcnt(0)
	v_mul_lo_u32 v1, v7, s12
	v_mul_lo_u32 v8, v6, s13
	v_mad_u64_u32 v[6:7], s[20:21], v6, s12, 0
	v_add3_u32 v7, v7, v8, v1
	v_lshl_add_u64 v[4:5], v[4:5], 2, s[14:15]
	v_lshl_add_u64 v[6:7], v[6:7], 2, s[14:15]
	s_mov_b64 s[20:21], 0
	s_mov_b64 s[22:23], s[12:13]
                                        ; implicit-def: $sgpr24_sgpr25
	s_branch .LBB1516_25
.LBB1516_24:                            ;   in Loop: Header=BB1516_25 Depth=1
	s_or_b64 exec, exec, s[26:27]
	s_and_b64 s[26:27], exec, s[24:25]
	s_or_b64 s[20:21], s[26:27], s[20:21]
	s_andn2_b64 exec, exec, s[20:21]
	s_cbranch_execz .LBB1516_27
.LBB1516_25:                            ; =>This Inner Loop Header: Depth=1
	global_load_dword v1, v[4:5], off
	global_load_dword v10, v[6:7], off
	v_mov_b64_e32 v[8:9], 1
	s_or_b64 s[24:25], s[24:25], exec
	s_waitcnt vmcnt(0)
	v_cmp_eq_u32_e32 vcc, v1, v10
	s_and_saveexec_b64 s[26:27], vcc
	s_cbranch_execz .LBB1516_24
; %bb.26:                               ;   in Loop: Header=BB1516_25 Depth=1
	s_add_u32 s22, s22, -1
	s_addc_u32 s23, s23, -1
	s_cmp_eq_u64 s[22:23], 0
	s_cselect_b64 s[28:29], -1, 0
	s_andn2_b64 s[24:25], s[24:25], exec
	s_and_b64 s[28:29], s[28:29], exec
	v_lshl_add_u64 v[4:5], v[4:5], 0, 4
	v_lshl_add_u64 v[6:7], v[6:7], 0, 4
	v_mov_b64_e32 v[8:9], 0
	s_or_b64 s[24:25], s[24:25], s[28:29]
	s_branch .LBB1516_24
.LBB1516_27:
	s_or_b64 exec, exec, s[20:21]
	s_branch .LBB1516_29
.LBB1516_28:
	v_mov_b64_e32 v[8:9], 0
.LBB1516_29:
	s_or_b64 exec, exec, s[2:3]
.LBB1516_30:
	s_cbranch_execnz .LBB1516_51
.LBB1516_31:
	s_cmp_eq_u64 s[18:19], 1
	v_cmp_ne_u32_e32 vcc, 0, v0
	s_cbranch_scc1 .LBB1516_38
; %bb.32:
	v_lshlrev_b32_e32 v1, 3, v0
	v_mov_b64_e32 v[8:9], v[2:3]
	ds_write_b64 v1, v[2:3]
	s_waitcnt lgkmcnt(0)
	s_barrier
	s_and_saveexec_b64 s[2:3], vcc
	s_cbranch_execz .LBB1516_41
; %bb.33:
	v_cmp_lt_i64_e64 s[18:19], s[12:13], 1
	s_and_b64 vcc, exec, s[18:19]
	s_cbranch_vccnz .LBB1516_40
; %bb.34:
	v_add_u32_e32 v1, -8, v1
	ds_read_b64 v[6:7], v1
	v_mul_lo_u32 v1, v3, s12
	v_mul_lo_u32 v8, v2, s13
	v_mad_u64_u32 v[4:5], s[18:19], v2, s12, 0
	v_add3_u32 v5, v5, v8, v1
	s_waitcnt lgkmcnt(0)
	v_mul_lo_u32 v1, s13, v6
	v_mul_lo_u32 v8, s12, v7
	v_mad_u64_u32 v[6:7], s[18:19], s12, v6, 0
	v_add3_u32 v7, v7, v8, v1
	v_lshl_add_u64 v[4:5], v[4:5], 2, s[14:15]
	v_lshl_add_u64 v[6:7], v[6:7], 2, s[14:15]
	s_mov_b64 s[18:19], 0
	s_mov_b64 s[20:21], s[12:13]
                                        ; implicit-def: $sgpr22_sgpr23
	s_branch .LBB1516_36
.LBB1516_35:                            ;   in Loop: Header=BB1516_36 Depth=1
	s_or_b64 exec, exec, s[24:25]
	s_and_b64 s[24:25], exec, s[22:23]
	s_or_b64 s[18:19], s[24:25], s[18:19]
	s_andn2_b64 exec, exec, s[18:19]
	s_cbranch_execz .LBB1516_39
.LBB1516_36:                            ; =>This Inner Loop Header: Depth=1
	global_load_dword v1, v[4:5], off
	global_load_dword v10, v[6:7], off
	v_mov_b64_e32 v[8:9], 1
	s_or_b64 s[22:23], s[22:23], exec
	s_waitcnt vmcnt(0)
	v_cmp_eq_u32_e32 vcc, v1, v10
	s_and_saveexec_b64 s[24:25], vcc
	s_cbranch_execz .LBB1516_35
; %bb.37:                               ;   in Loop: Header=BB1516_36 Depth=1
	s_add_u32 s20, s20, -1
	s_addc_u32 s21, s21, -1
	s_cmp_eq_u64 s[20:21], 0
	s_cselect_b64 s[26:27], -1, 0
	s_andn2_b64 s[22:23], s[22:23], exec
	s_and_b64 s[26:27], s[26:27], exec
	v_lshl_add_u64 v[4:5], v[4:5], 0, 4
	v_lshl_add_u64 v[6:7], v[6:7], 0, 4
	v_mov_b64_e32 v[8:9], 0
	s_or_b64 s[22:23], s[22:23], s[26:27]
	s_branch .LBB1516_35
.LBB1516_38:
                                        ; implicit-def: $vgpr8_vgpr9
	s_branch .LBB1516_42
.LBB1516_39:
	s_or_b64 exec, exec, s[18:19]
	s_branch .LBB1516_41
.LBB1516_40:
	v_mov_b64_e32 v[8:9], 0
.LBB1516_41:
	s_or_b64 exec, exec, s[2:3]
	s_cbranch_execnz .LBB1516_51
.LBB1516_42:
	v_cmp_ne_u32_e32 vcc, 0, v0
	v_cmp_gt_u32_e64 s[2:3], s10, v0
	v_lshlrev_b32_e32 v1, 3, v0
	s_and_b64 s[18:19], vcc, s[2:3]
	ds_write_b64 v1, v[2:3]
	s_waitcnt lgkmcnt(0)
	s_barrier
	s_and_saveexec_b64 s[2:3], s[18:19]
	s_cbranch_execz .LBB1516_50
; %bb.43:
	v_cmp_lt_i64_e64 s[18:19], s[12:13], 1
	s_and_b64 vcc, exec, s[18:19]
	s_cbranch_vccnz .LBB1516_49
; %bb.44:
	v_add_u32_e32 v1, -8, v1
	ds_read_b64 v[6:7], v1
	v_mul_lo_u32 v1, v3, s12
	v_mul_lo_u32 v4, v2, s13
	v_mad_u64_u32 v[2:3], s[18:19], v2, s12, 0
	v_add3_u32 v3, v3, v4, v1
	v_lshl_add_u64 v[4:5], v[2:3], 2, s[14:15]
	s_waitcnt lgkmcnt(0)
	v_mul_lo_u32 v1, s13, v6
	v_mul_lo_u32 v7, s12, v7
	v_mad_u64_u32 v[2:3], s[18:19], s12, v6, 0
	v_add3_u32 v3, v3, v7, v1
	v_lshl_add_u64 v[6:7], v[2:3], 2, s[14:15]
	s_mov_b64 s[14:15], 0
                                        ; implicit-def: $sgpr18_sgpr19
	s_branch .LBB1516_46
.LBB1516_45:                            ;   in Loop: Header=BB1516_46 Depth=1
	s_or_b64 exec, exec, s[20:21]
	s_and_b64 s[20:21], exec, s[18:19]
	s_or_b64 s[14:15], s[20:21], s[14:15]
	s_andn2_b64 exec, exec, s[14:15]
	s_cbranch_execz .LBB1516_48
.LBB1516_46:                            ; =>This Inner Loop Header: Depth=1
	global_load_dword v1, v[4:5], off
	global_load_dword v8, v[6:7], off
	v_mov_b64_e32 v[2:3], 1
	s_or_b64 s[18:19], s[18:19], exec
	s_waitcnt vmcnt(0)
	v_cmp_eq_u32_e32 vcc, v1, v8
	s_and_saveexec_b64 s[20:21], vcc
	s_cbranch_execz .LBB1516_45
; %bb.47:                               ;   in Loop: Header=BB1516_46 Depth=1
	s_add_u32 s12, s12, -1
	s_addc_u32 s13, s13, -1
	s_cmp_eq_u64 s[12:13], 0
	s_cselect_b64 s[22:23], -1, 0
	s_andn2_b64 s[18:19], s[18:19], exec
	s_and_b64 s[22:23], s[22:23], exec
	v_lshl_add_u64 v[4:5], v[4:5], 0, 4
	v_lshl_add_u64 v[6:7], v[6:7], 0, 4
	v_mov_b64_e32 v[2:3], 0
	s_or_b64 s[18:19], s[18:19], s[22:23]
	s_branch .LBB1516_45
.LBB1516_48:
	s_or_b64 exec, exec, s[14:15]
	s_branch .LBB1516_50
.LBB1516_49:
	v_mov_b64_e32 v[2:3], 0
.LBB1516_50:
	s_or_b64 exec, exec, s[2:3]
	v_mov_b64_e32 v[8:9], v[2:3]
.LBB1516_51:
	s_add_u32 s6, s8, s6
	s_addc_u32 s7, s9, s7
	s_mov_b64 s[2:3], -1
	s_and_b64 vcc, exec, s[0:1]
	s_waitcnt lgkmcnt(0)
	s_barrier
	s_cbranch_vccnz .LBB1516_54
; %bb.52:
	s_andn2_b64 vcc, exec, s[2:3]
	s_cbranch_vccz .LBB1516_57
.LBB1516_53:
	s_endpgm
.LBB1516_54:
	s_lshl_b32 s0, s16, 7
	s_sub_i32 s0, s10, s0
	v_lshlrev_b32_e32 v1, 3, v0
	v_cmp_gt_u32_e32 vcc, s0, v0
	ds_write_b64 v1, v[8:9]
	s_waitcnt lgkmcnt(0)
	s_barrier
	s_and_saveexec_b64 s[0:1], vcc
	s_cbranch_execz .LBB1516_56
; %bb.55:
	ds_read_b64 v[2:3], v1
	s_mov_b32 s5, 0
	s_lshl_b64 s[2:3], s[4:5], 3
	s_add_u32 s2, s6, s2
	s_addc_u32 s3, s7, s3
	s_waitcnt lgkmcnt(0)
	global_store_dwordx2 v1, v[2:3], s[2:3]
.LBB1516_56:
	s_or_b64 exec, exec, s[0:1]
	s_cbranch_execnz .LBB1516_53
.LBB1516_57:
	v_lshlrev_b32_e32 v2, 3, v0
	ds_write_b64 v2, v[8:9]
	s_waitcnt lgkmcnt(0)
	s_barrier
	ds_read_b64 v[0:1], v2
	s_mov_b32 s5, 0
	s_lshl_b64 s[0:1], s[4:5], 3
	s_add_u32 s0, s6, s0
	s_addc_u32 s1, s7, s1
	s_waitcnt lgkmcnt(0)
	global_store_dwordx2 v2, v[0:1], s[0:1]
	s_endpgm
	.section	.rodata,"a",@progbits
	.p2align	6, 0x0
	.amdhsa_kernel _ZN7rocprim17ROCPRIM_400000_NS6detail17trampoline_kernelINS0_14default_configENS1_35adjacent_difference_config_selectorILb0ElEEZNS1_24adjacent_difference_implIS3_Lb0ELb0EPlS7_ZN2at6native12_GLOBAL__N_124unique_dim_cuda_templateIjEESt5tupleIJNS8_6TensorESD_SD_EERKSD_lbbbEUlllE1_EE10hipError_tPvRmT2_T3_mT4_P12ihipStream_tbEUlT_E_NS1_11comp_targetILNS1_3genE0ELNS1_11target_archE4294967295ELNS1_3gpuE0ELNS1_3repE0EEENS1_30default_config_static_selectorELNS0_4arch9wavefront6targetE1EEEvT1_
		.amdhsa_group_segment_fixed_size 2048
		.amdhsa_private_segment_fixed_size 0
		.amdhsa_kernarg_size 64
		.amdhsa_user_sgpr_count 2
		.amdhsa_user_sgpr_dispatch_ptr 0
		.amdhsa_user_sgpr_queue_ptr 0
		.amdhsa_user_sgpr_kernarg_segment_ptr 1
		.amdhsa_user_sgpr_dispatch_id 0
		.amdhsa_user_sgpr_kernarg_preload_length 0
		.amdhsa_user_sgpr_kernarg_preload_offset 0
		.amdhsa_user_sgpr_private_segment_size 0
		.amdhsa_uses_dynamic_stack 0
		.amdhsa_enable_private_segment 0
		.amdhsa_system_sgpr_workgroup_id_x 1
		.amdhsa_system_sgpr_workgroup_id_y 0
		.amdhsa_system_sgpr_workgroup_id_z 0
		.amdhsa_system_sgpr_workgroup_info 0
		.amdhsa_system_vgpr_workitem_id 0
		.amdhsa_next_free_vgpr 11
		.amdhsa_next_free_sgpr 32
		.amdhsa_accum_offset 12
		.amdhsa_reserve_vcc 1
		.amdhsa_float_round_mode_32 0
		.amdhsa_float_round_mode_16_64 0
		.amdhsa_float_denorm_mode_32 3
		.amdhsa_float_denorm_mode_16_64 3
		.amdhsa_dx10_clamp 1
		.amdhsa_ieee_mode 1
		.amdhsa_fp16_overflow 0
		.amdhsa_tg_split 0
		.amdhsa_exception_fp_ieee_invalid_op 0
		.amdhsa_exception_fp_denorm_src 0
		.amdhsa_exception_fp_ieee_div_zero 0
		.amdhsa_exception_fp_ieee_overflow 0
		.amdhsa_exception_fp_ieee_underflow 0
		.amdhsa_exception_fp_ieee_inexact 0
		.amdhsa_exception_int_div_zero 0
	.end_amdhsa_kernel
	.section	.text._ZN7rocprim17ROCPRIM_400000_NS6detail17trampoline_kernelINS0_14default_configENS1_35adjacent_difference_config_selectorILb0ElEEZNS1_24adjacent_difference_implIS3_Lb0ELb0EPlS7_ZN2at6native12_GLOBAL__N_124unique_dim_cuda_templateIjEESt5tupleIJNS8_6TensorESD_SD_EERKSD_lbbbEUlllE1_EE10hipError_tPvRmT2_T3_mT4_P12ihipStream_tbEUlT_E_NS1_11comp_targetILNS1_3genE0ELNS1_11target_archE4294967295ELNS1_3gpuE0ELNS1_3repE0EEENS1_30default_config_static_selectorELNS0_4arch9wavefront6targetE1EEEvT1_,"axG",@progbits,_ZN7rocprim17ROCPRIM_400000_NS6detail17trampoline_kernelINS0_14default_configENS1_35adjacent_difference_config_selectorILb0ElEEZNS1_24adjacent_difference_implIS3_Lb0ELb0EPlS7_ZN2at6native12_GLOBAL__N_124unique_dim_cuda_templateIjEESt5tupleIJNS8_6TensorESD_SD_EERKSD_lbbbEUlllE1_EE10hipError_tPvRmT2_T3_mT4_P12ihipStream_tbEUlT_E_NS1_11comp_targetILNS1_3genE0ELNS1_11target_archE4294967295ELNS1_3gpuE0ELNS1_3repE0EEENS1_30default_config_static_selectorELNS0_4arch9wavefront6targetE1EEEvT1_,comdat
.Lfunc_end1516:
	.size	_ZN7rocprim17ROCPRIM_400000_NS6detail17trampoline_kernelINS0_14default_configENS1_35adjacent_difference_config_selectorILb0ElEEZNS1_24adjacent_difference_implIS3_Lb0ELb0EPlS7_ZN2at6native12_GLOBAL__N_124unique_dim_cuda_templateIjEESt5tupleIJNS8_6TensorESD_SD_EERKSD_lbbbEUlllE1_EE10hipError_tPvRmT2_T3_mT4_P12ihipStream_tbEUlT_E_NS1_11comp_targetILNS1_3genE0ELNS1_11target_archE4294967295ELNS1_3gpuE0ELNS1_3repE0EEENS1_30default_config_static_selectorELNS0_4arch9wavefront6targetE1EEEvT1_, .Lfunc_end1516-_ZN7rocprim17ROCPRIM_400000_NS6detail17trampoline_kernelINS0_14default_configENS1_35adjacent_difference_config_selectorILb0ElEEZNS1_24adjacent_difference_implIS3_Lb0ELb0EPlS7_ZN2at6native12_GLOBAL__N_124unique_dim_cuda_templateIjEESt5tupleIJNS8_6TensorESD_SD_EERKSD_lbbbEUlllE1_EE10hipError_tPvRmT2_T3_mT4_P12ihipStream_tbEUlT_E_NS1_11comp_targetILNS1_3genE0ELNS1_11target_archE4294967295ELNS1_3gpuE0ELNS1_3repE0EEENS1_30default_config_static_selectorELNS0_4arch9wavefront6targetE1EEEvT1_
                                        ; -- End function
	.set _ZN7rocprim17ROCPRIM_400000_NS6detail17trampoline_kernelINS0_14default_configENS1_35adjacent_difference_config_selectorILb0ElEEZNS1_24adjacent_difference_implIS3_Lb0ELb0EPlS7_ZN2at6native12_GLOBAL__N_124unique_dim_cuda_templateIjEESt5tupleIJNS8_6TensorESD_SD_EERKSD_lbbbEUlllE1_EE10hipError_tPvRmT2_T3_mT4_P12ihipStream_tbEUlT_E_NS1_11comp_targetILNS1_3genE0ELNS1_11target_archE4294967295ELNS1_3gpuE0ELNS1_3repE0EEENS1_30default_config_static_selectorELNS0_4arch9wavefront6targetE1EEEvT1_.num_vgpr, 11
	.set _ZN7rocprim17ROCPRIM_400000_NS6detail17trampoline_kernelINS0_14default_configENS1_35adjacent_difference_config_selectorILb0ElEEZNS1_24adjacent_difference_implIS3_Lb0ELb0EPlS7_ZN2at6native12_GLOBAL__N_124unique_dim_cuda_templateIjEESt5tupleIJNS8_6TensorESD_SD_EERKSD_lbbbEUlllE1_EE10hipError_tPvRmT2_T3_mT4_P12ihipStream_tbEUlT_E_NS1_11comp_targetILNS1_3genE0ELNS1_11target_archE4294967295ELNS1_3gpuE0ELNS1_3repE0EEENS1_30default_config_static_selectorELNS0_4arch9wavefront6targetE1EEEvT1_.num_agpr, 0
	.set _ZN7rocprim17ROCPRIM_400000_NS6detail17trampoline_kernelINS0_14default_configENS1_35adjacent_difference_config_selectorILb0ElEEZNS1_24adjacent_difference_implIS3_Lb0ELb0EPlS7_ZN2at6native12_GLOBAL__N_124unique_dim_cuda_templateIjEESt5tupleIJNS8_6TensorESD_SD_EERKSD_lbbbEUlllE1_EE10hipError_tPvRmT2_T3_mT4_P12ihipStream_tbEUlT_E_NS1_11comp_targetILNS1_3genE0ELNS1_11target_archE4294967295ELNS1_3gpuE0ELNS1_3repE0EEENS1_30default_config_static_selectorELNS0_4arch9wavefront6targetE1EEEvT1_.numbered_sgpr, 32
	.set _ZN7rocprim17ROCPRIM_400000_NS6detail17trampoline_kernelINS0_14default_configENS1_35adjacent_difference_config_selectorILb0ElEEZNS1_24adjacent_difference_implIS3_Lb0ELb0EPlS7_ZN2at6native12_GLOBAL__N_124unique_dim_cuda_templateIjEESt5tupleIJNS8_6TensorESD_SD_EERKSD_lbbbEUlllE1_EE10hipError_tPvRmT2_T3_mT4_P12ihipStream_tbEUlT_E_NS1_11comp_targetILNS1_3genE0ELNS1_11target_archE4294967295ELNS1_3gpuE0ELNS1_3repE0EEENS1_30default_config_static_selectorELNS0_4arch9wavefront6targetE1EEEvT1_.num_named_barrier, 0
	.set _ZN7rocprim17ROCPRIM_400000_NS6detail17trampoline_kernelINS0_14default_configENS1_35adjacent_difference_config_selectorILb0ElEEZNS1_24adjacent_difference_implIS3_Lb0ELb0EPlS7_ZN2at6native12_GLOBAL__N_124unique_dim_cuda_templateIjEESt5tupleIJNS8_6TensorESD_SD_EERKSD_lbbbEUlllE1_EE10hipError_tPvRmT2_T3_mT4_P12ihipStream_tbEUlT_E_NS1_11comp_targetILNS1_3genE0ELNS1_11target_archE4294967295ELNS1_3gpuE0ELNS1_3repE0EEENS1_30default_config_static_selectorELNS0_4arch9wavefront6targetE1EEEvT1_.private_seg_size, 0
	.set _ZN7rocprim17ROCPRIM_400000_NS6detail17trampoline_kernelINS0_14default_configENS1_35adjacent_difference_config_selectorILb0ElEEZNS1_24adjacent_difference_implIS3_Lb0ELb0EPlS7_ZN2at6native12_GLOBAL__N_124unique_dim_cuda_templateIjEESt5tupleIJNS8_6TensorESD_SD_EERKSD_lbbbEUlllE1_EE10hipError_tPvRmT2_T3_mT4_P12ihipStream_tbEUlT_E_NS1_11comp_targetILNS1_3genE0ELNS1_11target_archE4294967295ELNS1_3gpuE0ELNS1_3repE0EEENS1_30default_config_static_selectorELNS0_4arch9wavefront6targetE1EEEvT1_.uses_vcc, 1
	.set _ZN7rocprim17ROCPRIM_400000_NS6detail17trampoline_kernelINS0_14default_configENS1_35adjacent_difference_config_selectorILb0ElEEZNS1_24adjacent_difference_implIS3_Lb0ELb0EPlS7_ZN2at6native12_GLOBAL__N_124unique_dim_cuda_templateIjEESt5tupleIJNS8_6TensorESD_SD_EERKSD_lbbbEUlllE1_EE10hipError_tPvRmT2_T3_mT4_P12ihipStream_tbEUlT_E_NS1_11comp_targetILNS1_3genE0ELNS1_11target_archE4294967295ELNS1_3gpuE0ELNS1_3repE0EEENS1_30default_config_static_selectorELNS0_4arch9wavefront6targetE1EEEvT1_.uses_flat_scratch, 0
	.set _ZN7rocprim17ROCPRIM_400000_NS6detail17trampoline_kernelINS0_14default_configENS1_35adjacent_difference_config_selectorILb0ElEEZNS1_24adjacent_difference_implIS3_Lb0ELb0EPlS7_ZN2at6native12_GLOBAL__N_124unique_dim_cuda_templateIjEESt5tupleIJNS8_6TensorESD_SD_EERKSD_lbbbEUlllE1_EE10hipError_tPvRmT2_T3_mT4_P12ihipStream_tbEUlT_E_NS1_11comp_targetILNS1_3genE0ELNS1_11target_archE4294967295ELNS1_3gpuE0ELNS1_3repE0EEENS1_30default_config_static_selectorELNS0_4arch9wavefront6targetE1EEEvT1_.has_dyn_sized_stack, 0
	.set _ZN7rocprim17ROCPRIM_400000_NS6detail17trampoline_kernelINS0_14default_configENS1_35adjacent_difference_config_selectorILb0ElEEZNS1_24adjacent_difference_implIS3_Lb0ELb0EPlS7_ZN2at6native12_GLOBAL__N_124unique_dim_cuda_templateIjEESt5tupleIJNS8_6TensorESD_SD_EERKSD_lbbbEUlllE1_EE10hipError_tPvRmT2_T3_mT4_P12ihipStream_tbEUlT_E_NS1_11comp_targetILNS1_3genE0ELNS1_11target_archE4294967295ELNS1_3gpuE0ELNS1_3repE0EEENS1_30default_config_static_selectorELNS0_4arch9wavefront6targetE1EEEvT1_.has_recursion, 0
	.set _ZN7rocprim17ROCPRIM_400000_NS6detail17trampoline_kernelINS0_14default_configENS1_35adjacent_difference_config_selectorILb0ElEEZNS1_24adjacent_difference_implIS3_Lb0ELb0EPlS7_ZN2at6native12_GLOBAL__N_124unique_dim_cuda_templateIjEESt5tupleIJNS8_6TensorESD_SD_EERKSD_lbbbEUlllE1_EE10hipError_tPvRmT2_T3_mT4_P12ihipStream_tbEUlT_E_NS1_11comp_targetILNS1_3genE0ELNS1_11target_archE4294967295ELNS1_3gpuE0ELNS1_3repE0EEENS1_30default_config_static_selectorELNS0_4arch9wavefront6targetE1EEEvT1_.has_indirect_call, 0
	.section	.AMDGPU.csdata,"",@progbits
; Kernel info:
; codeLenInByte = 1740
; TotalNumSgprs: 38
; NumVgprs: 11
; NumAgprs: 0
; TotalNumVgprs: 11
; ScratchSize: 0
; MemoryBound: 0
; FloatMode: 240
; IeeeMode: 1
; LDSByteSize: 2048 bytes/workgroup (compile time only)
; SGPRBlocks: 4
; VGPRBlocks: 1
; NumSGPRsForWavesPerEU: 38
; NumVGPRsForWavesPerEU: 11
; AccumOffset: 12
; Occupancy: 8
; WaveLimiterHint : 0
; COMPUTE_PGM_RSRC2:SCRATCH_EN: 0
; COMPUTE_PGM_RSRC2:USER_SGPR: 2
; COMPUTE_PGM_RSRC2:TRAP_HANDLER: 0
; COMPUTE_PGM_RSRC2:TGID_X_EN: 1
; COMPUTE_PGM_RSRC2:TGID_Y_EN: 0
; COMPUTE_PGM_RSRC2:TGID_Z_EN: 0
; COMPUTE_PGM_RSRC2:TIDIG_COMP_CNT: 0
; COMPUTE_PGM_RSRC3_GFX90A:ACCUM_OFFSET: 2
; COMPUTE_PGM_RSRC3_GFX90A:TG_SPLIT: 0
	.section	.text._ZN7rocprim17ROCPRIM_400000_NS6detail17trampoline_kernelINS0_14default_configENS1_35adjacent_difference_config_selectorILb0ElEEZNS1_24adjacent_difference_implIS3_Lb0ELb0EPlS7_ZN2at6native12_GLOBAL__N_124unique_dim_cuda_templateIjEESt5tupleIJNS8_6TensorESD_SD_EERKSD_lbbbEUlllE1_EE10hipError_tPvRmT2_T3_mT4_P12ihipStream_tbEUlT_E_NS1_11comp_targetILNS1_3genE10ELNS1_11target_archE1201ELNS1_3gpuE5ELNS1_3repE0EEENS1_30default_config_static_selectorELNS0_4arch9wavefront6targetE1EEEvT1_,"axG",@progbits,_ZN7rocprim17ROCPRIM_400000_NS6detail17trampoline_kernelINS0_14default_configENS1_35adjacent_difference_config_selectorILb0ElEEZNS1_24adjacent_difference_implIS3_Lb0ELb0EPlS7_ZN2at6native12_GLOBAL__N_124unique_dim_cuda_templateIjEESt5tupleIJNS8_6TensorESD_SD_EERKSD_lbbbEUlllE1_EE10hipError_tPvRmT2_T3_mT4_P12ihipStream_tbEUlT_E_NS1_11comp_targetILNS1_3genE10ELNS1_11target_archE1201ELNS1_3gpuE5ELNS1_3repE0EEENS1_30default_config_static_selectorELNS0_4arch9wavefront6targetE1EEEvT1_,comdat
	.globl	_ZN7rocprim17ROCPRIM_400000_NS6detail17trampoline_kernelINS0_14default_configENS1_35adjacent_difference_config_selectorILb0ElEEZNS1_24adjacent_difference_implIS3_Lb0ELb0EPlS7_ZN2at6native12_GLOBAL__N_124unique_dim_cuda_templateIjEESt5tupleIJNS8_6TensorESD_SD_EERKSD_lbbbEUlllE1_EE10hipError_tPvRmT2_T3_mT4_P12ihipStream_tbEUlT_E_NS1_11comp_targetILNS1_3genE10ELNS1_11target_archE1201ELNS1_3gpuE5ELNS1_3repE0EEENS1_30default_config_static_selectorELNS0_4arch9wavefront6targetE1EEEvT1_ ; -- Begin function _ZN7rocprim17ROCPRIM_400000_NS6detail17trampoline_kernelINS0_14default_configENS1_35adjacent_difference_config_selectorILb0ElEEZNS1_24adjacent_difference_implIS3_Lb0ELb0EPlS7_ZN2at6native12_GLOBAL__N_124unique_dim_cuda_templateIjEESt5tupleIJNS8_6TensorESD_SD_EERKSD_lbbbEUlllE1_EE10hipError_tPvRmT2_T3_mT4_P12ihipStream_tbEUlT_E_NS1_11comp_targetILNS1_3genE10ELNS1_11target_archE1201ELNS1_3gpuE5ELNS1_3repE0EEENS1_30default_config_static_selectorELNS0_4arch9wavefront6targetE1EEEvT1_
	.p2align	8
	.type	_ZN7rocprim17ROCPRIM_400000_NS6detail17trampoline_kernelINS0_14default_configENS1_35adjacent_difference_config_selectorILb0ElEEZNS1_24adjacent_difference_implIS3_Lb0ELb0EPlS7_ZN2at6native12_GLOBAL__N_124unique_dim_cuda_templateIjEESt5tupleIJNS8_6TensorESD_SD_EERKSD_lbbbEUlllE1_EE10hipError_tPvRmT2_T3_mT4_P12ihipStream_tbEUlT_E_NS1_11comp_targetILNS1_3genE10ELNS1_11target_archE1201ELNS1_3gpuE5ELNS1_3repE0EEENS1_30default_config_static_selectorELNS0_4arch9wavefront6targetE1EEEvT1_,@function
_ZN7rocprim17ROCPRIM_400000_NS6detail17trampoline_kernelINS0_14default_configENS1_35adjacent_difference_config_selectorILb0ElEEZNS1_24adjacent_difference_implIS3_Lb0ELb0EPlS7_ZN2at6native12_GLOBAL__N_124unique_dim_cuda_templateIjEESt5tupleIJNS8_6TensorESD_SD_EERKSD_lbbbEUlllE1_EE10hipError_tPvRmT2_T3_mT4_P12ihipStream_tbEUlT_E_NS1_11comp_targetILNS1_3genE10ELNS1_11target_archE1201ELNS1_3gpuE5ELNS1_3repE0EEENS1_30default_config_static_selectorELNS0_4arch9wavefront6targetE1EEEvT1_: ; @_ZN7rocprim17ROCPRIM_400000_NS6detail17trampoline_kernelINS0_14default_configENS1_35adjacent_difference_config_selectorILb0ElEEZNS1_24adjacent_difference_implIS3_Lb0ELb0EPlS7_ZN2at6native12_GLOBAL__N_124unique_dim_cuda_templateIjEESt5tupleIJNS8_6TensorESD_SD_EERKSD_lbbbEUlllE1_EE10hipError_tPvRmT2_T3_mT4_P12ihipStream_tbEUlT_E_NS1_11comp_targetILNS1_3genE10ELNS1_11target_archE1201ELNS1_3gpuE5ELNS1_3repE0EEENS1_30default_config_static_selectorELNS0_4arch9wavefront6targetE1EEEvT1_
; %bb.0:
	.section	.rodata,"a",@progbits
	.p2align	6, 0x0
	.amdhsa_kernel _ZN7rocprim17ROCPRIM_400000_NS6detail17trampoline_kernelINS0_14default_configENS1_35adjacent_difference_config_selectorILb0ElEEZNS1_24adjacent_difference_implIS3_Lb0ELb0EPlS7_ZN2at6native12_GLOBAL__N_124unique_dim_cuda_templateIjEESt5tupleIJNS8_6TensorESD_SD_EERKSD_lbbbEUlllE1_EE10hipError_tPvRmT2_T3_mT4_P12ihipStream_tbEUlT_E_NS1_11comp_targetILNS1_3genE10ELNS1_11target_archE1201ELNS1_3gpuE5ELNS1_3repE0EEENS1_30default_config_static_selectorELNS0_4arch9wavefront6targetE1EEEvT1_
		.amdhsa_group_segment_fixed_size 0
		.amdhsa_private_segment_fixed_size 0
		.amdhsa_kernarg_size 64
		.amdhsa_user_sgpr_count 2
		.amdhsa_user_sgpr_dispatch_ptr 0
		.amdhsa_user_sgpr_queue_ptr 0
		.amdhsa_user_sgpr_kernarg_segment_ptr 1
		.amdhsa_user_sgpr_dispatch_id 0
		.amdhsa_user_sgpr_kernarg_preload_length 0
		.amdhsa_user_sgpr_kernarg_preload_offset 0
		.amdhsa_user_sgpr_private_segment_size 0
		.amdhsa_uses_dynamic_stack 0
		.amdhsa_enable_private_segment 0
		.amdhsa_system_sgpr_workgroup_id_x 1
		.amdhsa_system_sgpr_workgroup_id_y 0
		.amdhsa_system_sgpr_workgroup_id_z 0
		.amdhsa_system_sgpr_workgroup_info 0
		.amdhsa_system_vgpr_workitem_id 0
		.amdhsa_next_free_vgpr 1
		.amdhsa_next_free_sgpr 0
		.amdhsa_accum_offset 4
		.amdhsa_reserve_vcc 0
		.amdhsa_float_round_mode_32 0
		.amdhsa_float_round_mode_16_64 0
		.amdhsa_float_denorm_mode_32 3
		.amdhsa_float_denorm_mode_16_64 3
		.amdhsa_dx10_clamp 1
		.amdhsa_ieee_mode 1
		.amdhsa_fp16_overflow 0
		.amdhsa_tg_split 0
		.amdhsa_exception_fp_ieee_invalid_op 0
		.amdhsa_exception_fp_denorm_src 0
		.amdhsa_exception_fp_ieee_div_zero 0
		.amdhsa_exception_fp_ieee_overflow 0
		.amdhsa_exception_fp_ieee_underflow 0
		.amdhsa_exception_fp_ieee_inexact 0
		.amdhsa_exception_int_div_zero 0
	.end_amdhsa_kernel
	.section	.text._ZN7rocprim17ROCPRIM_400000_NS6detail17trampoline_kernelINS0_14default_configENS1_35adjacent_difference_config_selectorILb0ElEEZNS1_24adjacent_difference_implIS3_Lb0ELb0EPlS7_ZN2at6native12_GLOBAL__N_124unique_dim_cuda_templateIjEESt5tupleIJNS8_6TensorESD_SD_EERKSD_lbbbEUlllE1_EE10hipError_tPvRmT2_T3_mT4_P12ihipStream_tbEUlT_E_NS1_11comp_targetILNS1_3genE10ELNS1_11target_archE1201ELNS1_3gpuE5ELNS1_3repE0EEENS1_30default_config_static_selectorELNS0_4arch9wavefront6targetE1EEEvT1_,"axG",@progbits,_ZN7rocprim17ROCPRIM_400000_NS6detail17trampoline_kernelINS0_14default_configENS1_35adjacent_difference_config_selectorILb0ElEEZNS1_24adjacent_difference_implIS3_Lb0ELb0EPlS7_ZN2at6native12_GLOBAL__N_124unique_dim_cuda_templateIjEESt5tupleIJNS8_6TensorESD_SD_EERKSD_lbbbEUlllE1_EE10hipError_tPvRmT2_T3_mT4_P12ihipStream_tbEUlT_E_NS1_11comp_targetILNS1_3genE10ELNS1_11target_archE1201ELNS1_3gpuE5ELNS1_3repE0EEENS1_30default_config_static_selectorELNS0_4arch9wavefront6targetE1EEEvT1_,comdat
.Lfunc_end1517:
	.size	_ZN7rocprim17ROCPRIM_400000_NS6detail17trampoline_kernelINS0_14default_configENS1_35adjacent_difference_config_selectorILb0ElEEZNS1_24adjacent_difference_implIS3_Lb0ELb0EPlS7_ZN2at6native12_GLOBAL__N_124unique_dim_cuda_templateIjEESt5tupleIJNS8_6TensorESD_SD_EERKSD_lbbbEUlllE1_EE10hipError_tPvRmT2_T3_mT4_P12ihipStream_tbEUlT_E_NS1_11comp_targetILNS1_3genE10ELNS1_11target_archE1201ELNS1_3gpuE5ELNS1_3repE0EEENS1_30default_config_static_selectorELNS0_4arch9wavefront6targetE1EEEvT1_, .Lfunc_end1517-_ZN7rocprim17ROCPRIM_400000_NS6detail17trampoline_kernelINS0_14default_configENS1_35adjacent_difference_config_selectorILb0ElEEZNS1_24adjacent_difference_implIS3_Lb0ELb0EPlS7_ZN2at6native12_GLOBAL__N_124unique_dim_cuda_templateIjEESt5tupleIJNS8_6TensorESD_SD_EERKSD_lbbbEUlllE1_EE10hipError_tPvRmT2_T3_mT4_P12ihipStream_tbEUlT_E_NS1_11comp_targetILNS1_3genE10ELNS1_11target_archE1201ELNS1_3gpuE5ELNS1_3repE0EEENS1_30default_config_static_selectorELNS0_4arch9wavefront6targetE1EEEvT1_
                                        ; -- End function
	.set _ZN7rocprim17ROCPRIM_400000_NS6detail17trampoline_kernelINS0_14default_configENS1_35adjacent_difference_config_selectorILb0ElEEZNS1_24adjacent_difference_implIS3_Lb0ELb0EPlS7_ZN2at6native12_GLOBAL__N_124unique_dim_cuda_templateIjEESt5tupleIJNS8_6TensorESD_SD_EERKSD_lbbbEUlllE1_EE10hipError_tPvRmT2_T3_mT4_P12ihipStream_tbEUlT_E_NS1_11comp_targetILNS1_3genE10ELNS1_11target_archE1201ELNS1_3gpuE5ELNS1_3repE0EEENS1_30default_config_static_selectorELNS0_4arch9wavefront6targetE1EEEvT1_.num_vgpr, 0
	.set _ZN7rocprim17ROCPRIM_400000_NS6detail17trampoline_kernelINS0_14default_configENS1_35adjacent_difference_config_selectorILb0ElEEZNS1_24adjacent_difference_implIS3_Lb0ELb0EPlS7_ZN2at6native12_GLOBAL__N_124unique_dim_cuda_templateIjEESt5tupleIJNS8_6TensorESD_SD_EERKSD_lbbbEUlllE1_EE10hipError_tPvRmT2_T3_mT4_P12ihipStream_tbEUlT_E_NS1_11comp_targetILNS1_3genE10ELNS1_11target_archE1201ELNS1_3gpuE5ELNS1_3repE0EEENS1_30default_config_static_selectorELNS0_4arch9wavefront6targetE1EEEvT1_.num_agpr, 0
	.set _ZN7rocprim17ROCPRIM_400000_NS6detail17trampoline_kernelINS0_14default_configENS1_35adjacent_difference_config_selectorILb0ElEEZNS1_24adjacent_difference_implIS3_Lb0ELb0EPlS7_ZN2at6native12_GLOBAL__N_124unique_dim_cuda_templateIjEESt5tupleIJNS8_6TensorESD_SD_EERKSD_lbbbEUlllE1_EE10hipError_tPvRmT2_T3_mT4_P12ihipStream_tbEUlT_E_NS1_11comp_targetILNS1_3genE10ELNS1_11target_archE1201ELNS1_3gpuE5ELNS1_3repE0EEENS1_30default_config_static_selectorELNS0_4arch9wavefront6targetE1EEEvT1_.numbered_sgpr, 0
	.set _ZN7rocprim17ROCPRIM_400000_NS6detail17trampoline_kernelINS0_14default_configENS1_35adjacent_difference_config_selectorILb0ElEEZNS1_24adjacent_difference_implIS3_Lb0ELb0EPlS7_ZN2at6native12_GLOBAL__N_124unique_dim_cuda_templateIjEESt5tupleIJNS8_6TensorESD_SD_EERKSD_lbbbEUlllE1_EE10hipError_tPvRmT2_T3_mT4_P12ihipStream_tbEUlT_E_NS1_11comp_targetILNS1_3genE10ELNS1_11target_archE1201ELNS1_3gpuE5ELNS1_3repE0EEENS1_30default_config_static_selectorELNS0_4arch9wavefront6targetE1EEEvT1_.num_named_barrier, 0
	.set _ZN7rocprim17ROCPRIM_400000_NS6detail17trampoline_kernelINS0_14default_configENS1_35adjacent_difference_config_selectorILb0ElEEZNS1_24adjacent_difference_implIS3_Lb0ELb0EPlS7_ZN2at6native12_GLOBAL__N_124unique_dim_cuda_templateIjEESt5tupleIJNS8_6TensorESD_SD_EERKSD_lbbbEUlllE1_EE10hipError_tPvRmT2_T3_mT4_P12ihipStream_tbEUlT_E_NS1_11comp_targetILNS1_3genE10ELNS1_11target_archE1201ELNS1_3gpuE5ELNS1_3repE0EEENS1_30default_config_static_selectorELNS0_4arch9wavefront6targetE1EEEvT1_.private_seg_size, 0
	.set _ZN7rocprim17ROCPRIM_400000_NS6detail17trampoline_kernelINS0_14default_configENS1_35adjacent_difference_config_selectorILb0ElEEZNS1_24adjacent_difference_implIS3_Lb0ELb0EPlS7_ZN2at6native12_GLOBAL__N_124unique_dim_cuda_templateIjEESt5tupleIJNS8_6TensorESD_SD_EERKSD_lbbbEUlllE1_EE10hipError_tPvRmT2_T3_mT4_P12ihipStream_tbEUlT_E_NS1_11comp_targetILNS1_3genE10ELNS1_11target_archE1201ELNS1_3gpuE5ELNS1_3repE0EEENS1_30default_config_static_selectorELNS0_4arch9wavefront6targetE1EEEvT1_.uses_vcc, 0
	.set _ZN7rocprim17ROCPRIM_400000_NS6detail17trampoline_kernelINS0_14default_configENS1_35adjacent_difference_config_selectorILb0ElEEZNS1_24adjacent_difference_implIS3_Lb0ELb0EPlS7_ZN2at6native12_GLOBAL__N_124unique_dim_cuda_templateIjEESt5tupleIJNS8_6TensorESD_SD_EERKSD_lbbbEUlllE1_EE10hipError_tPvRmT2_T3_mT4_P12ihipStream_tbEUlT_E_NS1_11comp_targetILNS1_3genE10ELNS1_11target_archE1201ELNS1_3gpuE5ELNS1_3repE0EEENS1_30default_config_static_selectorELNS0_4arch9wavefront6targetE1EEEvT1_.uses_flat_scratch, 0
	.set _ZN7rocprim17ROCPRIM_400000_NS6detail17trampoline_kernelINS0_14default_configENS1_35adjacent_difference_config_selectorILb0ElEEZNS1_24adjacent_difference_implIS3_Lb0ELb0EPlS7_ZN2at6native12_GLOBAL__N_124unique_dim_cuda_templateIjEESt5tupleIJNS8_6TensorESD_SD_EERKSD_lbbbEUlllE1_EE10hipError_tPvRmT2_T3_mT4_P12ihipStream_tbEUlT_E_NS1_11comp_targetILNS1_3genE10ELNS1_11target_archE1201ELNS1_3gpuE5ELNS1_3repE0EEENS1_30default_config_static_selectorELNS0_4arch9wavefront6targetE1EEEvT1_.has_dyn_sized_stack, 0
	.set _ZN7rocprim17ROCPRIM_400000_NS6detail17trampoline_kernelINS0_14default_configENS1_35adjacent_difference_config_selectorILb0ElEEZNS1_24adjacent_difference_implIS3_Lb0ELb0EPlS7_ZN2at6native12_GLOBAL__N_124unique_dim_cuda_templateIjEESt5tupleIJNS8_6TensorESD_SD_EERKSD_lbbbEUlllE1_EE10hipError_tPvRmT2_T3_mT4_P12ihipStream_tbEUlT_E_NS1_11comp_targetILNS1_3genE10ELNS1_11target_archE1201ELNS1_3gpuE5ELNS1_3repE0EEENS1_30default_config_static_selectorELNS0_4arch9wavefront6targetE1EEEvT1_.has_recursion, 0
	.set _ZN7rocprim17ROCPRIM_400000_NS6detail17trampoline_kernelINS0_14default_configENS1_35adjacent_difference_config_selectorILb0ElEEZNS1_24adjacent_difference_implIS3_Lb0ELb0EPlS7_ZN2at6native12_GLOBAL__N_124unique_dim_cuda_templateIjEESt5tupleIJNS8_6TensorESD_SD_EERKSD_lbbbEUlllE1_EE10hipError_tPvRmT2_T3_mT4_P12ihipStream_tbEUlT_E_NS1_11comp_targetILNS1_3genE10ELNS1_11target_archE1201ELNS1_3gpuE5ELNS1_3repE0EEENS1_30default_config_static_selectorELNS0_4arch9wavefront6targetE1EEEvT1_.has_indirect_call, 0
	.section	.AMDGPU.csdata,"",@progbits
; Kernel info:
; codeLenInByte = 0
; TotalNumSgprs: 6
; NumVgprs: 0
; NumAgprs: 0
; TotalNumVgprs: 0
; ScratchSize: 0
; MemoryBound: 0
; FloatMode: 240
; IeeeMode: 1
; LDSByteSize: 0 bytes/workgroup (compile time only)
; SGPRBlocks: 0
; VGPRBlocks: 0
; NumSGPRsForWavesPerEU: 6
; NumVGPRsForWavesPerEU: 1
; AccumOffset: 4
; Occupancy: 8
; WaveLimiterHint : 0
; COMPUTE_PGM_RSRC2:SCRATCH_EN: 0
; COMPUTE_PGM_RSRC2:USER_SGPR: 2
; COMPUTE_PGM_RSRC2:TRAP_HANDLER: 0
; COMPUTE_PGM_RSRC2:TGID_X_EN: 1
; COMPUTE_PGM_RSRC2:TGID_Y_EN: 0
; COMPUTE_PGM_RSRC2:TGID_Z_EN: 0
; COMPUTE_PGM_RSRC2:TIDIG_COMP_CNT: 0
; COMPUTE_PGM_RSRC3_GFX90A:ACCUM_OFFSET: 0
; COMPUTE_PGM_RSRC3_GFX90A:TG_SPLIT: 0
	.section	.text._ZN7rocprim17ROCPRIM_400000_NS6detail17trampoline_kernelINS0_14default_configENS1_35adjacent_difference_config_selectorILb0ElEEZNS1_24adjacent_difference_implIS3_Lb0ELb0EPlS7_ZN2at6native12_GLOBAL__N_124unique_dim_cuda_templateIjEESt5tupleIJNS8_6TensorESD_SD_EERKSD_lbbbEUlllE1_EE10hipError_tPvRmT2_T3_mT4_P12ihipStream_tbEUlT_E_NS1_11comp_targetILNS1_3genE5ELNS1_11target_archE942ELNS1_3gpuE9ELNS1_3repE0EEENS1_30default_config_static_selectorELNS0_4arch9wavefront6targetE1EEEvT1_,"axG",@progbits,_ZN7rocprim17ROCPRIM_400000_NS6detail17trampoline_kernelINS0_14default_configENS1_35adjacent_difference_config_selectorILb0ElEEZNS1_24adjacent_difference_implIS3_Lb0ELb0EPlS7_ZN2at6native12_GLOBAL__N_124unique_dim_cuda_templateIjEESt5tupleIJNS8_6TensorESD_SD_EERKSD_lbbbEUlllE1_EE10hipError_tPvRmT2_T3_mT4_P12ihipStream_tbEUlT_E_NS1_11comp_targetILNS1_3genE5ELNS1_11target_archE942ELNS1_3gpuE9ELNS1_3repE0EEENS1_30default_config_static_selectorELNS0_4arch9wavefront6targetE1EEEvT1_,comdat
	.globl	_ZN7rocprim17ROCPRIM_400000_NS6detail17trampoline_kernelINS0_14default_configENS1_35adjacent_difference_config_selectorILb0ElEEZNS1_24adjacent_difference_implIS3_Lb0ELb0EPlS7_ZN2at6native12_GLOBAL__N_124unique_dim_cuda_templateIjEESt5tupleIJNS8_6TensorESD_SD_EERKSD_lbbbEUlllE1_EE10hipError_tPvRmT2_T3_mT4_P12ihipStream_tbEUlT_E_NS1_11comp_targetILNS1_3genE5ELNS1_11target_archE942ELNS1_3gpuE9ELNS1_3repE0EEENS1_30default_config_static_selectorELNS0_4arch9wavefront6targetE1EEEvT1_ ; -- Begin function _ZN7rocprim17ROCPRIM_400000_NS6detail17trampoline_kernelINS0_14default_configENS1_35adjacent_difference_config_selectorILb0ElEEZNS1_24adjacent_difference_implIS3_Lb0ELb0EPlS7_ZN2at6native12_GLOBAL__N_124unique_dim_cuda_templateIjEESt5tupleIJNS8_6TensorESD_SD_EERKSD_lbbbEUlllE1_EE10hipError_tPvRmT2_T3_mT4_P12ihipStream_tbEUlT_E_NS1_11comp_targetILNS1_3genE5ELNS1_11target_archE942ELNS1_3gpuE9ELNS1_3repE0EEENS1_30default_config_static_selectorELNS0_4arch9wavefront6targetE1EEEvT1_
	.p2align	8
	.type	_ZN7rocprim17ROCPRIM_400000_NS6detail17trampoline_kernelINS0_14default_configENS1_35adjacent_difference_config_selectorILb0ElEEZNS1_24adjacent_difference_implIS3_Lb0ELb0EPlS7_ZN2at6native12_GLOBAL__N_124unique_dim_cuda_templateIjEESt5tupleIJNS8_6TensorESD_SD_EERKSD_lbbbEUlllE1_EE10hipError_tPvRmT2_T3_mT4_P12ihipStream_tbEUlT_E_NS1_11comp_targetILNS1_3genE5ELNS1_11target_archE942ELNS1_3gpuE9ELNS1_3repE0EEENS1_30default_config_static_selectorELNS0_4arch9wavefront6targetE1EEEvT1_,@function
_ZN7rocprim17ROCPRIM_400000_NS6detail17trampoline_kernelINS0_14default_configENS1_35adjacent_difference_config_selectorILb0ElEEZNS1_24adjacent_difference_implIS3_Lb0ELb0EPlS7_ZN2at6native12_GLOBAL__N_124unique_dim_cuda_templateIjEESt5tupleIJNS8_6TensorESD_SD_EERKSD_lbbbEUlllE1_EE10hipError_tPvRmT2_T3_mT4_P12ihipStream_tbEUlT_E_NS1_11comp_targetILNS1_3genE5ELNS1_11target_archE942ELNS1_3gpuE9ELNS1_3repE0EEENS1_30default_config_static_selectorELNS0_4arch9wavefront6targetE1EEEvT1_: ; @_ZN7rocprim17ROCPRIM_400000_NS6detail17trampoline_kernelINS0_14default_configENS1_35adjacent_difference_config_selectorILb0ElEEZNS1_24adjacent_difference_implIS3_Lb0ELb0EPlS7_ZN2at6native12_GLOBAL__N_124unique_dim_cuda_templateIjEESt5tupleIJNS8_6TensorESD_SD_EERKSD_lbbbEUlllE1_EE10hipError_tPvRmT2_T3_mT4_P12ihipStream_tbEUlT_E_NS1_11comp_targetILNS1_3genE5ELNS1_11target_archE942ELNS1_3gpuE9ELNS1_3repE0EEENS1_30default_config_static_selectorELNS0_4arch9wavefront6targetE1EEEvT1_
; %bb.0:
	.section	.rodata,"a",@progbits
	.p2align	6, 0x0
	.amdhsa_kernel _ZN7rocprim17ROCPRIM_400000_NS6detail17trampoline_kernelINS0_14default_configENS1_35adjacent_difference_config_selectorILb0ElEEZNS1_24adjacent_difference_implIS3_Lb0ELb0EPlS7_ZN2at6native12_GLOBAL__N_124unique_dim_cuda_templateIjEESt5tupleIJNS8_6TensorESD_SD_EERKSD_lbbbEUlllE1_EE10hipError_tPvRmT2_T3_mT4_P12ihipStream_tbEUlT_E_NS1_11comp_targetILNS1_3genE5ELNS1_11target_archE942ELNS1_3gpuE9ELNS1_3repE0EEENS1_30default_config_static_selectorELNS0_4arch9wavefront6targetE1EEEvT1_
		.amdhsa_group_segment_fixed_size 0
		.amdhsa_private_segment_fixed_size 0
		.amdhsa_kernarg_size 64
		.amdhsa_user_sgpr_count 2
		.amdhsa_user_sgpr_dispatch_ptr 0
		.amdhsa_user_sgpr_queue_ptr 0
		.amdhsa_user_sgpr_kernarg_segment_ptr 1
		.amdhsa_user_sgpr_dispatch_id 0
		.amdhsa_user_sgpr_kernarg_preload_length 0
		.amdhsa_user_sgpr_kernarg_preload_offset 0
		.amdhsa_user_sgpr_private_segment_size 0
		.amdhsa_uses_dynamic_stack 0
		.amdhsa_enable_private_segment 0
		.amdhsa_system_sgpr_workgroup_id_x 1
		.amdhsa_system_sgpr_workgroup_id_y 0
		.amdhsa_system_sgpr_workgroup_id_z 0
		.amdhsa_system_sgpr_workgroup_info 0
		.amdhsa_system_vgpr_workitem_id 0
		.amdhsa_next_free_vgpr 1
		.amdhsa_next_free_sgpr 0
		.amdhsa_accum_offset 4
		.amdhsa_reserve_vcc 0
		.amdhsa_float_round_mode_32 0
		.amdhsa_float_round_mode_16_64 0
		.amdhsa_float_denorm_mode_32 3
		.amdhsa_float_denorm_mode_16_64 3
		.amdhsa_dx10_clamp 1
		.amdhsa_ieee_mode 1
		.amdhsa_fp16_overflow 0
		.amdhsa_tg_split 0
		.amdhsa_exception_fp_ieee_invalid_op 0
		.amdhsa_exception_fp_denorm_src 0
		.amdhsa_exception_fp_ieee_div_zero 0
		.amdhsa_exception_fp_ieee_overflow 0
		.amdhsa_exception_fp_ieee_underflow 0
		.amdhsa_exception_fp_ieee_inexact 0
		.amdhsa_exception_int_div_zero 0
	.end_amdhsa_kernel
	.section	.text._ZN7rocprim17ROCPRIM_400000_NS6detail17trampoline_kernelINS0_14default_configENS1_35adjacent_difference_config_selectorILb0ElEEZNS1_24adjacent_difference_implIS3_Lb0ELb0EPlS7_ZN2at6native12_GLOBAL__N_124unique_dim_cuda_templateIjEESt5tupleIJNS8_6TensorESD_SD_EERKSD_lbbbEUlllE1_EE10hipError_tPvRmT2_T3_mT4_P12ihipStream_tbEUlT_E_NS1_11comp_targetILNS1_3genE5ELNS1_11target_archE942ELNS1_3gpuE9ELNS1_3repE0EEENS1_30default_config_static_selectorELNS0_4arch9wavefront6targetE1EEEvT1_,"axG",@progbits,_ZN7rocprim17ROCPRIM_400000_NS6detail17trampoline_kernelINS0_14default_configENS1_35adjacent_difference_config_selectorILb0ElEEZNS1_24adjacent_difference_implIS3_Lb0ELb0EPlS7_ZN2at6native12_GLOBAL__N_124unique_dim_cuda_templateIjEESt5tupleIJNS8_6TensorESD_SD_EERKSD_lbbbEUlllE1_EE10hipError_tPvRmT2_T3_mT4_P12ihipStream_tbEUlT_E_NS1_11comp_targetILNS1_3genE5ELNS1_11target_archE942ELNS1_3gpuE9ELNS1_3repE0EEENS1_30default_config_static_selectorELNS0_4arch9wavefront6targetE1EEEvT1_,comdat
.Lfunc_end1518:
	.size	_ZN7rocprim17ROCPRIM_400000_NS6detail17trampoline_kernelINS0_14default_configENS1_35adjacent_difference_config_selectorILb0ElEEZNS1_24adjacent_difference_implIS3_Lb0ELb0EPlS7_ZN2at6native12_GLOBAL__N_124unique_dim_cuda_templateIjEESt5tupleIJNS8_6TensorESD_SD_EERKSD_lbbbEUlllE1_EE10hipError_tPvRmT2_T3_mT4_P12ihipStream_tbEUlT_E_NS1_11comp_targetILNS1_3genE5ELNS1_11target_archE942ELNS1_3gpuE9ELNS1_3repE0EEENS1_30default_config_static_selectorELNS0_4arch9wavefront6targetE1EEEvT1_, .Lfunc_end1518-_ZN7rocprim17ROCPRIM_400000_NS6detail17trampoline_kernelINS0_14default_configENS1_35adjacent_difference_config_selectorILb0ElEEZNS1_24adjacent_difference_implIS3_Lb0ELb0EPlS7_ZN2at6native12_GLOBAL__N_124unique_dim_cuda_templateIjEESt5tupleIJNS8_6TensorESD_SD_EERKSD_lbbbEUlllE1_EE10hipError_tPvRmT2_T3_mT4_P12ihipStream_tbEUlT_E_NS1_11comp_targetILNS1_3genE5ELNS1_11target_archE942ELNS1_3gpuE9ELNS1_3repE0EEENS1_30default_config_static_selectorELNS0_4arch9wavefront6targetE1EEEvT1_
                                        ; -- End function
	.set _ZN7rocprim17ROCPRIM_400000_NS6detail17trampoline_kernelINS0_14default_configENS1_35adjacent_difference_config_selectorILb0ElEEZNS1_24adjacent_difference_implIS3_Lb0ELb0EPlS7_ZN2at6native12_GLOBAL__N_124unique_dim_cuda_templateIjEESt5tupleIJNS8_6TensorESD_SD_EERKSD_lbbbEUlllE1_EE10hipError_tPvRmT2_T3_mT4_P12ihipStream_tbEUlT_E_NS1_11comp_targetILNS1_3genE5ELNS1_11target_archE942ELNS1_3gpuE9ELNS1_3repE0EEENS1_30default_config_static_selectorELNS0_4arch9wavefront6targetE1EEEvT1_.num_vgpr, 0
	.set _ZN7rocprim17ROCPRIM_400000_NS6detail17trampoline_kernelINS0_14default_configENS1_35adjacent_difference_config_selectorILb0ElEEZNS1_24adjacent_difference_implIS3_Lb0ELb0EPlS7_ZN2at6native12_GLOBAL__N_124unique_dim_cuda_templateIjEESt5tupleIJNS8_6TensorESD_SD_EERKSD_lbbbEUlllE1_EE10hipError_tPvRmT2_T3_mT4_P12ihipStream_tbEUlT_E_NS1_11comp_targetILNS1_3genE5ELNS1_11target_archE942ELNS1_3gpuE9ELNS1_3repE0EEENS1_30default_config_static_selectorELNS0_4arch9wavefront6targetE1EEEvT1_.num_agpr, 0
	.set _ZN7rocprim17ROCPRIM_400000_NS6detail17trampoline_kernelINS0_14default_configENS1_35adjacent_difference_config_selectorILb0ElEEZNS1_24adjacent_difference_implIS3_Lb0ELb0EPlS7_ZN2at6native12_GLOBAL__N_124unique_dim_cuda_templateIjEESt5tupleIJNS8_6TensorESD_SD_EERKSD_lbbbEUlllE1_EE10hipError_tPvRmT2_T3_mT4_P12ihipStream_tbEUlT_E_NS1_11comp_targetILNS1_3genE5ELNS1_11target_archE942ELNS1_3gpuE9ELNS1_3repE0EEENS1_30default_config_static_selectorELNS0_4arch9wavefront6targetE1EEEvT1_.numbered_sgpr, 0
	.set _ZN7rocprim17ROCPRIM_400000_NS6detail17trampoline_kernelINS0_14default_configENS1_35adjacent_difference_config_selectorILb0ElEEZNS1_24adjacent_difference_implIS3_Lb0ELb0EPlS7_ZN2at6native12_GLOBAL__N_124unique_dim_cuda_templateIjEESt5tupleIJNS8_6TensorESD_SD_EERKSD_lbbbEUlllE1_EE10hipError_tPvRmT2_T3_mT4_P12ihipStream_tbEUlT_E_NS1_11comp_targetILNS1_3genE5ELNS1_11target_archE942ELNS1_3gpuE9ELNS1_3repE0EEENS1_30default_config_static_selectorELNS0_4arch9wavefront6targetE1EEEvT1_.num_named_barrier, 0
	.set _ZN7rocprim17ROCPRIM_400000_NS6detail17trampoline_kernelINS0_14default_configENS1_35adjacent_difference_config_selectorILb0ElEEZNS1_24adjacent_difference_implIS3_Lb0ELb0EPlS7_ZN2at6native12_GLOBAL__N_124unique_dim_cuda_templateIjEESt5tupleIJNS8_6TensorESD_SD_EERKSD_lbbbEUlllE1_EE10hipError_tPvRmT2_T3_mT4_P12ihipStream_tbEUlT_E_NS1_11comp_targetILNS1_3genE5ELNS1_11target_archE942ELNS1_3gpuE9ELNS1_3repE0EEENS1_30default_config_static_selectorELNS0_4arch9wavefront6targetE1EEEvT1_.private_seg_size, 0
	.set _ZN7rocprim17ROCPRIM_400000_NS6detail17trampoline_kernelINS0_14default_configENS1_35adjacent_difference_config_selectorILb0ElEEZNS1_24adjacent_difference_implIS3_Lb0ELb0EPlS7_ZN2at6native12_GLOBAL__N_124unique_dim_cuda_templateIjEESt5tupleIJNS8_6TensorESD_SD_EERKSD_lbbbEUlllE1_EE10hipError_tPvRmT2_T3_mT4_P12ihipStream_tbEUlT_E_NS1_11comp_targetILNS1_3genE5ELNS1_11target_archE942ELNS1_3gpuE9ELNS1_3repE0EEENS1_30default_config_static_selectorELNS0_4arch9wavefront6targetE1EEEvT1_.uses_vcc, 0
	.set _ZN7rocprim17ROCPRIM_400000_NS6detail17trampoline_kernelINS0_14default_configENS1_35adjacent_difference_config_selectorILb0ElEEZNS1_24adjacent_difference_implIS3_Lb0ELb0EPlS7_ZN2at6native12_GLOBAL__N_124unique_dim_cuda_templateIjEESt5tupleIJNS8_6TensorESD_SD_EERKSD_lbbbEUlllE1_EE10hipError_tPvRmT2_T3_mT4_P12ihipStream_tbEUlT_E_NS1_11comp_targetILNS1_3genE5ELNS1_11target_archE942ELNS1_3gpuE9ELNS1_3repE0EEENS1_30default_config_static_selectorELNS0_4arch9wavefront6targetE1EEEvT1_.uses_flat_scratch, 0
	.set _ZN7rocprim17ROCPRIM_400000_NS6detail17trampoline_kernelINS0_14default_configENS1_35adjacent_difference_config_selectorILb0ElEEZNS1_24adjacent_difference_implIS3_Lb0ELb0EPlS7_ZN2at6native12_GLOBAL__N_124unique_dim_cuda_templateIjEESt5tupleIJNS8_6TensorESD_SD_EERKSD_lbbbEUlllE1_EE10hipError_tPvRmT2_T3_mT4_P12ihipStream_tbEUlT_E_NS1_11comp_targetILNS1_3genE5ELNS1_11target_archE942ELNS1_3gpuE9ELNS1_3repE0EEENS1_30default_config_static_selectorELNS0_4arch9wavefront6targetE1EEEvT1_.has_dyn_sized_stack, 0
	.set _ZN7rocprim17ROCPRIM_400000_NS6detail17trampoline_kernelINS0_14default_configENS1_35adjacent_difference_config_selectorILb0ElEEZNS1_24adjacent_difference_implIS3_Lb0ELb0EPlS7_ZN2at6native12_GLOBAL__N_124unique_dim_cuda_templateIjEESt5tupleIJNS8_6TensorESD_SD_EERKSD_lbbbEUlllE1_EE10hipError_tPvRmT2_T3_mT4_P12ihipStream_tbEUlT_E_NS1_11comp_targetILNS1_3genE5ELNS1_11target_archE942ELNS1_3gpuE9ELNS1_3repE0EEENS1_30default_config_static_selectorELNS0_4arch9wavefront6targetE1EEEvT1_.has_recursion, 0
	.set _ZN7rocprim17ROCPRIM_400000_NS6detail17trampoline_kernelINS0_14default_configENS1_35adjacent_difference_config_selectorILb0ElEEZNS1_24adjacent_difference_implIS3_Lb0ELb0EPlS7_ZN2at6native12_GLOBAL__N_124unique_dim_cuda_templateIjEESt5tupleIJNS8_6TensorESD_SD_EERKSD_lbbbEUlllE1_EE10hipError_tPvRmT2_T3_mT4_P12ihipStream_tbEUlT_E_NS1_11comp_targetILNS1_3genE5ELNS1_11target_archE942ELNS1_3gpuE9ELNS1_3repE0EEENS1_30default_config_static_selectorELNS0_4arch9wavefront6targetE1EEEvT1_.has_indirect_call, 0
	.section	.AMDGPU.csdata,"",@progbits
; Kernel info:
; codeLenInByte = 0
; TotalNumSgprs: 6
; NumVgprs: 0
; NumAgprs: 0
; TotalNumVgprs: 0
; ScratchSize: 0
; MemoryBound: 0
; FloatMode: 240
; IeeeMode: 1
; LDSByteSize: 0 bytes/workgroup (compile time only)
; SGPRBlocks: 0
; VGPRBlocks: 0
; NumSGPRsForWavesPerEU: 6
; NumVGPRsForWavesPerEU: 1
; AccumOffset: 4
; Occupancy: 8
; WaveLimiterHint : 0
; COMPUTE_PGM_RSRC2:SCRATCH_EN: 0
; COMPUTE_PGM_RSRC2:USER_SGPR: 2
; COMPUTE_PGM_RSRC2:TRAP_HANDLER: 0
; COMPUTE_PGM_RSRC2:TGID_X_EN: 1
; COMPUTE_PGM_RSRC2:TGID_Y_EN: 0
; COMPUTE_PGM_RSRC2:TGID_Z_EN: 0
; COMPUTE_PGM_RSRC2:TIDIG_COMP_CNT: 0
; COMPUTE_PGM_RSRC3_GFX90A:ACCUM_OFFSET: 0
; COMPUTE_PGM_RSRC3_GFX90A:TG_SPLIT: 0
	.section	.text._ZN7rocprim17ROCPRIM_400000_NS6detail17trampoline_kernelINS0_14default_configENS1_35adjacent_difference_config_selectorILb0ElEEZNS1_24adjacent_difference_implIS3_Lb0ELb0EPlS7_ZN2at6native12_GLOBAL__N_124unique_dim_cuda_templateIjEESt5tupleIJNS8_6TensorESD_SD_EERKSD_lbbbEUlllE1_EE10hipError_tPvRmT2_T3_mT4_P12ihipStream_tbEUlT_E_NS1_11comp_targetILNS1_3genE4ELNS1_11target_archE910ELNS1_3gpuE8ELNS1_3repE0EEENS1_30default_config_static_selectorELNS0_4arch9wavefront6targetE1EEEvT1_,"axG",@progbits,_ZN7rocprim17ROCPRIM_400000_NS6detail17trampoline_kernelINS0_14default_configENS1_35adjacent_difference_config_selectorILb0ElEEZNS1_24adjacent_difference_implIS3_Lb0ELb0EPlS7_ZN2at6native12_GLOBAL__N_124unique_dim_cuda_templateIjEESt5tupleIJNS8_6TensorESD_SD_EERKSD_lbbbEUlllE1_EE10hipError_tPvRmT2_T3_mT4_P12ihipStream_tbEUlT_E_NS1_11comp_targetILNS1_3genE4ELNS1_11target_archE910ELNS1_3gpuE8ELNS1_3repE0EEENS1_30default_config_static_selectorELNS0_4arch9wavefront6targetE1EEEvT1_,comdat
	.globl	_ZN7rocprim17ROCPRIM_400000_NS6detail17trampoline_kernelINS0_14default_configENS1_35adjacent_difference_config_selectorILb0ElEEZNS1_24adjacent_difference_implIS3_Lb0ELb0EPlS7_ZN2at6native12_GLOBAL__N_124unique_dim_cuda_templateIjEESt5tupleIJNS8_6TensorESD_SD_EERKSD_lbbbEUlllE1_EE10hipError_tPvRmT2_T3_mT4_P12ihipStream_tbEUlT_E_NS1_11comp_targetILNS1_3genE4ELNS1_11target_archE910ELNS1_3gpuE8ELNS1_3repE0EEENS1_30default_config_static_selectorELNS0_4arch9wavefront6targetE1EEEvT1_ ; -- Begin function _ZN7rocprim17ROCPRIM_400000_NS6detail17trampoline_kernelINS0_14default_configENS1_35adjacent_difference_config_selectorILb0ElEEZNS1_24adjacent_difference_implIS3_Lb0ELb0EPlS7_ZN2at6native12_GLOBAL__N_124unique_dim_cuda_templateIjEESt5tupleIJNS8_6TensorESD_SD_EERKSD_lbbbEUlllE1_EE10hipError_tPvRmT2_T3_mT4_P12ihipStream_tbEUlT_E_NS1_11comp_targetILNS1_3genE4ELNS1_11target_archE910ELNS1_3gpuE8ELNS1_3repE0EEENS1_30default_config_static_selectorELNS0_4arch9wavefront6targetE1EEEvT1_
	.p2align	8
	.type	_ZN7rocprim17ROCPRIM_400000_NS6detail17trampoline_kernelINS0_14default_configENS1_35adjacent_difference_config_selectorILb0ElEEZNS1_24adjacent_difference_implIS3_Lb0ELb0EPlS7_ZN2at6native12_GLOBAL__N_124unique_dim_cuda_templateIjEESt5tupleIJNS8_6TensorESD_SD_EERKSD_lbbbEUlllE1_EE10hipError_tPvRmT2_T3_mT4_P12ihipStream_tbEUlT_E_NS1_11comp_targetILNS1_3genE4ELNS1_11target_archE910ELNS1_3gpuE8ELNS1_3repE0EEENS1_30default_config_static_selectorELNS0_4arch9wavefront6targetE1EEEvT1_,@function
_ZN7rocprim17ROCPRIM_400000_NS6detail17trampoline_kernelINS0_14default_configENS1_35adjacent_difference_config_selectorILb0ElEEZNS1_24adjacent_difference_implIS3_Lb0ELb0EPlS7_ZN2at6native12_GLOBAL__N_124unique_dim_cuda_templateIjEESt5tupleIJNS8_6TensorESD_SD_EERKSD_lbbbEUlllE1_EE10hipError_tPvRmT2_T3_mT4_P12ihipStream_tbEUlT_E_NS1_11comp_targetILNS1_3genE4ELNS1_11target_archE910ELNS1_3gpuE8ELNS1_3repE0EEENS1_30default_config_static_selectorELNS0_4arch9wavefront6targetE1EEEvT1_: ; @_ZN7rocprim17ROCPRIM_400000_NS6detail17trampoline_kernelINS0_14default_configENS1_35adjacent_difference_config_selectorILb0ElEEZNS1_24adjacent_difference_implIS3_Lb0ELb0EPlS7_ZN2at6native12_GLOBAL__N_124unique_dim_cuda_templateIjEESt5tupleIJNS8_6TensorESD_SD_EERKSD_lbbbEUlllE1_EE10hipError_tPvRmT2_T3_mT4_P12ihipStream_tbEUlT_E_NS1_11comp_targetILNS1_3genE4ELNS1_11target_archE910ELNS1_3gpuE8ELNS1_3repE0EEENS1_30default_config_static_selectorELNS0_4arch9wavefront6targetE1EEEvT1_
; %bb.0:
	.section	.rodata,"a",@progbits
	.p2align	6, 0x0
	.amdhsa_kernel _ZN7rocprim17ROCPRIM_400000_NS6detail17trampoline_kernelINS0_14default_configENS1_35adjacent_difference_config_selectorILb0ElEEZNS1_24adjacent_difference_implIS3_Lb0ELb0EPlS7_ZN2at6native12_GLOBAL__N_124unique_dim_cuda_templateIjEESt5tupleIJNS8_6TensorESD_SD_EERKSD_lbbbEUlllE1_EE10hipError_tPvRmT2_T3_mT4_P12ihipStream_tbEUlT_E_NS1_11comp_targetILNS1_3genE4ELNS1_11target_archE910ELNS1_3gpuE8ELNS1_3repE0EEENS1_30default_config_static_selectorELNS0_4arch9wavefront6targetE1EEEvT1_
		.amdhsa_group_segment_fixed_size 0
		.amdhsa_private_segment_fixed_size 0
		.amdhsa_kernarg_size 64
		.amdhsa_user_sgpr_count 2
		.amdhsa_user_sgpr_dispatch_ptr 0
		.amdhsa_user_sgpr_queue_ptr 0
		.amdhsa_user_sgpr_kernarg_segment_ptr 1
		.amdhsa_user_sgpr_dispatch_id 0
		.amdhsa_user_sgpr_kernarg_preload_length 0
		.amdhsa_user_sgpr_kernarg_preload_offset 0
		.amdhsa_user_sgpr_private_segment_size 0
		.amdhsa_uses_dynamic_stack 0
		.amdhsa_enable_private_segment 0
		.amdhsa_system_sgpr_workgroup_id_x 1
		.amdhsa_system_sgpr_workgroup_id_y 0
		.amdhsa_system_sgpr_workgroup_id_z 0
		.amdhsa_system_sgpr_workgroup_info 0
		.amdhsa_system_vgpr_workitem_id 0
		.amdhsa_next_free_vgpr 1
		.amdhsa_next_free_sgpr 0
		.amdhsa_accum_offset 4
		.amdhsa_reserve_vcc 0
		.amdhsa_float_round_mode_32 0
		.amdhsa_float_round_mode_16_64 0
		.amdhsa_float_denorm_mode_32 3
		.amdhsa_float_denorm_mode_16_64 3
		.amdhsa_dx10_clamp 1
		.amdhsa_ieee_mode 1
		.amdhsa_fp16_overflow 0
		.amdhsa_tg_split 0
		.amdhsa_exception_fp_ieee_invalid_op 0
		.amdhsa_exception_fp_denorm_src 0
		.amdhsa_exception_fp_ieee_div_zero 0
		.amdhsa_exception_fp_ieee_overflow 0
		.amdhsa_exception_fp_ieee_underflow 0
		.amdhsa_exception_fp_ieee_inexact 0
		.amdhsa_exception_int_div_zero 0
	.end_amdhsa_kernel
	.section	.text._ZN7rocprim17ROCPRIM_400000_NS6detail17trampoline_kernelINS0_14default_configENS1_35adjacent_difference_config_selectorILb0ElEEZNS1_24adjacent_difference_implIS3_Lb0ELb0EPlS7_ZN2at6native12_GLOBAL__N_124unique_dim_cuda_templateIjEESt5tupleIJNS8_6TensorESD_SD_EERKSD_lbbbEUlllE1_EE10hipError_tPvRmT2_T3_mT4_P12ihipStream_tbEUlT_E_NS1_11comp_targetILNS1_3genE4ELNS1_11target_archE910ELNS1_3gpuE8ELNS1_3repE0EEENS1_30default_config_static_selectorELNS0_4arch9wavefront6targetE1EEEvT1_,"axG",@progbits,_ZN7rocprim17ROCPRIM_400000_NS6detail17trampoline_kernelINS0_14default_configENS1_35adjacent_difference_config_selectorILb0ElEEZNS1_24adjacent_difference_implIS3_Lb0ELb0EPlS7_ZN2at6native12_GLOBAL__N_124unique_dim_cuda_templateIjEESt5tupleIJNS8_6TensorESD_SD_EERKSD_lbbbEUlllE1_EE10hipError_tPvRmT2_T3_mT4_P12ihipStream_tbEUlT_E_NS1_11comp_targetILNS1_3genE4ELNS1_11target_archE910ELNS1_3gpuE8ELNS1_3repE0EEENS1_30default_config_static_selectorELNS0_4arch9wavefront6targetE1EEEvT1_,comdat
.Lfunc_end1519:
	.size	_ZN7rocprim17ROCPRIM_400000_NS6detail17trampoline_kernelINS0_14default_configENS1_35adjacent_difference_config_selectorILb0ElEEZNS1_24adjacent_difference_implIS3_Lb0ELb0EPlS7_ZN2at6native12_GLOBAL__N_124unique_dim_cuda_templateIjEESt5tupleIJNS8_6TensorESD_SD_EERKSD_lbbbEUlllE1_EE10hipError_tPvRmT2_T3_mT4_P12ihipStream_tbEUlT_E_NS1_11comp_targetILNS1_3genE4ELNS1_11target_archE910ELNS1_3gpuE8ELNS1_3repE0EEENS1_30default_config_static_selectorELNS0_4arch9wavefront6targetE1EEEvT1_, .Lfunc_end1519-_ZN7rocprim17ROCPRIM_400000_NS6detail17trampoline_kernelINS0_14default_configENS1_35adjacent_difference_config_selectorILb0ElEEZNS1_24adjacent_difference_implIS3_Lb0ELb0EPlS7_ZN2at6native12_GLOBAL__N_124unique_dim_cuda_templateIjEESt5tupleIJNS8_6TensorESD_SD_EERKSD_lbbbEUlllE1_EE10hipError_tPvRmT2_T3_mT4_P12ihipStream_tbEUlT_E_NS1_11comp_targetILNS1_3genE4ELNS1_11target_archE910ELNS1_3gpuE8ELNS1_3repE0EEENS1_30default_config_static_selectorELNS0_4arch9wavefront6targetE1EEEvT1_
                                        ; -- End function
	.set _ZN7rocprim17ROCPRIM_400000_NS6detail17trampoline_kernelINS0_14default_configENS1_35adjacent_difference_config_selectorILb0ElEEZNS1_24adjacent_difference_implIS3_Lb0ELb0EPlS7_ZN2at6native12_GLOBAL__N_124unique_dim_cuda_templateIjEESt5tupleIJNS8_6TensorESD_SD_EERKSD_lbbbEUlllE1_EE10hipError_tPvRmT2_T3_mT4_P12ihipStream_tbEUlT_E_NS1_11comp_targetILNS1_3genE4ELNS1_11target_archE910ELNS1_3gpuE8ELNS1_3repE0EEENS1_30default_config_static_selectorELNS0_4arch9wavefront6targetE1EEEvT1_.num_vgpr, 0
	.set _ZN7rocprim17ROCPRIM_400000_NS6detail17trampoline_kernelINS0_14default_configENS1_35adjacent_difference_config_selectorILb0ElEEZNS1_24adjacent_difference_implIS3_Lb0ELb0EPlS7_ZN2at6native12_GLOBAL__N_124unique_dim_cuda_templateIjEESt5tupleIJNS8_6TensorESD_SD_EERKSD_lbbbEUlllE1_EE10hipError_tPvRmT2_T3_mT4_P12ihipStream_tbEUlT_E_NS1_11comp_targetILNS1_3genE4ELNS1_11target_archE910ELNS1_3gpuE8ELNS1_3repE0EEENS1_30default_config_static_selectorELNS0_4arch9wavefront6targetE1EEEvT1_.num_agpr, 0
	.set _ZN7rocprim17ROCPRIM_400000_NS6detail17trampoline_kernelINS0_14default_configENS1_35adjacent_difference_config_selectorILb0ElEEZNS1_24adjacent_difference_implIS3_Lb0ELb0EPlS7_ZN2at6native12_GLOBAL__N_124unique_dim_cuda_templateIjEESt5tupleIJNS8_6TensorESD_SD_EERKSD_lbbbEUlllE1_EE10hipError_tPvRmT2_T3_mT4_P12ihipStream_tbEUlT_E_NS1_11comp_targetILNS1_3genE4ELNS1_11target_archE910ELNS1_3gpuE8ELNS1_3repE0EEENS1_30default_config_static_selectorELNS0_4arch9wavefront6targetE1EEEvT1_.numbered_sgpr, 0
	.set _ZN7rocprim17ROCPRIM_400000_NS6detail17trampoline_kernelINS0_14default_configENS1_35adjacent_difference_config_selectorILb0ElEEZNS1_24adjacent_difference_implIS3_Lb0ELb0EPlS7_ZN2at6native12_GLOBAL__N_124unique_dim_cuda_templateIjEESt5tupleIJNS8_6TensorESD_SD_EERKSD_lbbbEUlllE1_EE10hipError_tPvRmT2_T3_mT4_P12ihipStream_tbEUlT_E_NS1_11comp_targetILNS1_3genE4ELNS1_11target_archE910ELNS1_3gpuE8ELNS1_3repE0EEENS1_30default_config_static_selectorELNS0_4arch9wavefront6targetE1EEEvT1_.num_named_barrier, 0
	.set _ZN7rocprim17ROCPRIM_400000_NS6detail17trampoline_kernelINS0_14default_configENS1_35adjacent_difference_config_selectorILb0ElEEZNS1_24adjacent_difference_implIS3_Lb0ELb0EPlS7_ZN2at6native12_GLOBAL__N_124unique_dim_cuda_templateIjEESt5tupleIJNS8_6TensorESD_SD_EERKSD_lbbbEUlllE1_EE10hipError_tPvRmT2_T3_mT4_P12ihipStream_tbEUlT_E_NS1_11comp_targetILNS1_3genE4ELNS1_11target_archE910ELNS1_3gpuE8ELNS1_3repE0EEENS1_30default_config_static_selectorELNS0_4arch9wavefront6targetE1EEEvT1_.private_seg_size, 0
	.set _ZN7rocprim17ROCPRIM_400000_NS6detail17trampoline_kernelINS0_14default_configENS1_35adjacent_difference_config_selectorILb0ElEEZNS1_24adjacent_difference_implIS3_Lb0ELb0EPlS7_ZN2at6native12_GLOBAL__N_124unique_dim_cuda_templateIjEESt5tupleIJNS8_6TensorESD_SD_EERKSD_lbbbEUlllE1_EE10hipError_tPvRmT2_T3_mT4_P12ihipStream_tbEUlT_E_NS1_11comp_targetILNS1_3genE4ELNS1_11target_archE910ELNS1_3gpuE8ELNS1_3repE0EEENS1_30default_config_static_selectorELNS0_4arch9wavefront6targetE1EEEvT1_.uses_vcc, 0
	.set _ZN7rocprim17ROCPRIM_400000_NS6detail17trampoline_kernelINS0_14default_configENS1_35adjacent_difference_config_selectorILb0ElEEZNS1_24adjacent_difference_implIS3_Lb0ELb0EPlS7_ZN2at6native12_GLOBAL__N_124unique_dim_cuda_templateIjEESt5tupleIJNS8_6TensorESD_SD_EERKSD_lbbbEUlllE1_EE10hipError_tPvRmT2_T3_mT4_P12ihipStream_tbEUlT_E_NS1_11comp_targetILNS1_3genE4ELNS1_11target_archE910ELNS1_3gpuE8ELNS1_3repE0EEENS1_30default_config_static_selectorELNS0_4arch9wavefront6targetE1EEEvT1_.uses_flat_scratch, 0
	.set _ZN7rocprim17ROCPRIM_400000_NS6detail17trampoline_kernelINS0_14default_configENS1_35adjacent_difference_config_selectorILb0ElEEZNS1_24adjacent_difference_implIS3_Lb0ELb0EPlS7_ZN2at6native12_GLOBAL__N_124unique_dim_cuda_templateIjEESt5tupleIJNS8_6TensorESD_SD_EERKSD_lbbbEUlllE1_EE10hipError_tPvRmT2_T3_mT4_P12ihipStream_tbEUlT_E_NS1_11comp_targetILNS1_3genE4ELNS1_11target_archE910ELNS1_3gpuE8ELNS1_3repE0EEENS1_30default_config_static_selectorELNS0_4arch9wavefront6targetE1EEEvT1_.has_dyn_sized_stack, 0
	.set _ZN7rocprim17ROCPRIM_400000_NS6detail17trampoline_kernelINS0_14default_configENS1_35adjacent_difference_config_selectorILb0ElEEZNS1_24adjacent_difference_implIS3_Lb0ELb0EPlS7_ZN2at6native12_GLOBAL__N_124unique_dim_cuda_templateIjEESt5tupleIJNS8_6TensorESD_SD_EERKSD_lbbbEUlllE1_EE10hipError_tPvRmT2_T3_mT4_P12ihipStream_tbEUlT_E_NS1_11comp_targetILNS1_3genE4ELNS1_11target_archE910ELNS1_3gpuE8ELNS1_3repE0EEENS1_30default_config_static_selectorELNS0_4arch9wavefront6targetE1EEEvT1_.has_recursion, 0
	.set _ZN7rocprim17ROCPRIM_400000_NS6detail17trampoline_kernelINS0_14default_configENS1_35adjacent_difference_config_selectorILb0ElEEZNS1_24adjacent_difference_implIS3_Lb0ELb0EPlS7_ZN2at6native12_GLOBAL__N_124unique_dim_cuda_templateIjEESt5tupleIJNS8_6TensorESD_SD_EERKSD_lbbbEUlllE1_EE10hipError_tPvRmT2_T3_mT4_P12ihipStream_tbEUlT_E_NS1_11comp_targetILNS1_3genE4ELNS1_11target_archE910ELNS1_3gpuE8ELNS1_3repE0EEENS1_30default_config_static_selectorELNS0_4arch9wavefront6targetE1EEEvT1_.has_indirect_call, 0
	.section	.AMDGPU.csdata,"",@progbits
; Kernel info:
; codeLenInByte = 0
; TotalNumSgprs: 6
; NumVgprs: 0
; NumAgprs: 0
; TotalNumVgprs: 0
; ScratchSize: 0
; MemoryBound: 0
; FloatMode: 240
; IeeeMode: 1
; LDSByteSize: 0 bytes/workgroup (compile time only)
; SGPRBlocks: 0
; VGPRBlocks: 0
; NumSGPRsForWavesPerEU: 6
; NumVGPRsForWavesPerEU: 1
; AccumOffset: 4
; Occupancy: 8
; WaveLimiterHint : 0
; COMPUTE_PGM_RSRC2:SCRATCH_EN: 0
; COMPUTE_PGM_RSRC2:USER_SGPR: 2
; COMPUTE_PGM_RSRC2:TRAP_HANDLER: 0
; COMPUTE_PGM_RSRC2:TGID_X_EN: 1
; COMPUTE_PGM_RSRC2:TGID_Y_EN: 0
; COMPUTE_PGM_RSRC2:TGID_Z_EN: 0
; COMPUTE_PGM_RSRC2:TIDIG_COMP_CNT: 0
; COMPUTE_PGM_RSRC3_GFX90A:ACCUM_OFFSET: 0
; COMPUTE_PGM_RSRC3_GFX90A:TG_SPLIT: 0
	.section	.text._ZN7rocprim17ROCPRIM_400000_NS6detail17trampoline_kernelINS0_14default_configENS1_35adjacent_difference_config_selectorILb0ElEEZNS1_24adjacent_difference_implIS3_Lb0ELb0EPlS7_ZN2at6native12_GLOBAL__N_124unique_dim_cuda_templateIjEESt5tupleIJNS8_6TensorESD_SD_EERKSD_lbbbEUlllE1_EE10hipError_tPvRmT2_T3_mT4_P12ihipStream_tbEUlT_E_NS1_11comp_targetILNS1_3genE3ELNS1_11target_archE908ELNS1_3gpuE7ELNS1_3repE0EEENS1_30default_config_static_selectorELNS0_4arch9wavefront6targetE1EEEvT1_,"axG",@progbits,_ZN7rocprim17ROCPRIM_400000_NS6detail17trampoline_kernelINS0_14default_configENS1_35adjacent_difference_config_selectorILb0ElEEZNS1_24adjacent_difference_implIS3_Lb0ELb0EPlS7_ZN2at6native12_GLOBAL__N_124unique_dim_cuda_templateIjEESt5tupleIJNS8_6TensorESD_SD_EERKSD_lbbbEUlllE1_EE10hipError_tPvRmT2_T3_mT4_P12ihipStream_tbEUlT_E_NS1_11comp_targetILNS1_3genE3ELNS1_11target_archE908ELNS1_3gpuE7ELNS1_3repE0EEENS1_30default_config_static_selectorELNS0_4arch9wavefront6targetE1EEEvT1_,comdat
	.globl	_ZN7rocprim17ROCPRIM_400000_NS6detail17trampoline_kernelINS0_14default_configENS1_35adjacent_difference_config_selectorILb0ElEEZNS1_24adjacent_difference_implIS3_Lb0ELb0EPlS7_ZN2at6native12_GLOBAL__N_124unique_dim_cuda_templateIjEESt5tupleIJNS8_6TensorESD_SD_EERKSD_lbbbEUlllE1_EE10hipError_tPvRmT2_T3_mT4_P12ihipStream_tbEUlT_E_NS1_11comp_targetILNS1_3genE3ELNS1_11target_archE908ELNS1_3gpuE7ELNS1_3repE0EEENS1_30default_config_static_selectorELNS0_4arch9wavefront6targetE1EEEvT1_ ; -- Begin function _ZN7rocprim17ROCPRIM_400000_NS6detail17trampoline_kernelINS0_14default_configENS1_35adjacent_difference_config_selectorILb0ElEEZNS1_24adjacent_difference_implIS3_Lb0ELb0EPlS7_ZN2at6native12_GLOBAL__N_124unique_dim_cuda_templateIjEESt5tupleIJNS8_6TensorESD_SD_EERKSD_lbbbEUlllE1_EE10hipError_tPvRmT2_T3_mT4_P12ihipStream_tbEUlT_E_NS1_11comp_targetILNS1_3genE3ELNS1_11target_archE908ELNS1_3gpuE7ELNS1_3repE0EEENS1_30default_config_static_selectorELNS0_4arch9wavefront6targetE1EEEvT1_
	.p2align	8
	.type	_ZN7rocprim17ROCPRIM_400000_NS6detail17trampoline_kernelINS0_14default_configENS1_35adjacent_difference_config_selectorILb0ElEEZNS1_24adjacent_difference_implIS3_Lb0ELb0EPlS7_ZN2at6native12_GLOBAL__N_124unique_dim_cuda_templateIjEESt5tupleIJNS8_6TensorESD_SD_EERKSD_lbbbEUlllE1_EE10hipError_tPvRmT2_T3_mT4_P12ihipStream_tbEUlT_E_NS1_11comp_targetILNS1_3genE3ELNS1_11target_archE908ELNS1_3gpuE7ELNS1_3repE0EEENS1_30default_config_static_selectorELNS0_4arch9wavefront6targetE1EEEvT1_,@function
_ZN7rocprim17ROCPRIM_400000_NS6detail17trampoline_kernelINS0_14default_configENS1_35adjacent_difference_config_selectorILb0ElEEZNS1_24adjacent_difference_implIS3_Lb0ELb0EPlS7_ZN2at6native12_GLOBAL__N_124unique_dim_cuda_templateIjEESt5tupleIJNS8_6TensorESD_SD_EERKSD_lbbbEUlllE1_EE10hipError_tPvRmT2_T3_mT4_P12ihipStream_tbEUlT_E_NS1_11comp_targetILNS1_3genE3ELNS1_11target_archE908ELNS1_3gpuE7ELNS1_3repE0EEENS1_30default_config_static_selectorELNS0_4arch9wavefront6targetE1EEEvT1_: ; @_ZN7rocprim17ROCPRIM_400000_NS6detail17trampoline_kernelINS0_14default_configENS1_35adjacent_difference_config_selectorILb0ElEEZNS1_24adjacent_difference_implIS3_Lb0ELb0EPlS7_ZN2at6native12_GLOBAL__N_124unique_dim_cuda_templateIjEESt5tupleIJNS8_6TensorESD_SD_EERKSD_lbbbEUlllE1_EE10hipError_tPvRmT2_T3_mT4_P12ihipStream_tbEUlT_E_NS1_11comp_targetILNS1_3genE3ELNS1_11target_archE908ELNS1_3gpuE7ELNS1_3repE0EEENS1_30default_config_static_selectorELNS0_4arch9wavefront6targetE1EEEvT1_
; %bb.0:
	.section	.rodata,"a",@progbits
	.p2align	6, 0x0
	.amdhsa_kernel _ZN7rocprim17ROCPRIM_400000_NS6detail17trampoline_kernelINS0_14default_configENS1_35adjacent_difference_config_selectorILb0ElEEZNS1_24adjacent_difference_implIS3_Lb0ELb0EPlS7_ZN2at6native12_GLOBAL__N_124unique_dim_cuda_templateIjEESt5tupleIJNS8_6TensorESD_SD_EERKSD_lbbbEUlllE1_EE10hipError_tPvRmT2_T3_mT4_P12ihipStream_tbEUlT_E_NS1_11comp_targetILNS1_3genE3ELNS1_11target_archE908ELNS1_3gpuE7ELNS1_3repE0EEENS1_30default_config_static_selectorELNS0_4arch9wavefront6targetE1EEEvT1_
		.amdhsa_group_segment_fixed_size 0
		.amdhsa_private_segment_fixed_size 0
		.amdhsa_kernarg_size 64
		.amdhsa_user_sgpr_count 2
		.amdhsa_user_sgpr_dispatch_ptr 0
		.amdhsa_user_sgpr_queue_ptr 0
		.amdhsa_user_sgpr_kernarg_segment_ptr 1
		.amdhsa_user_sgpr_dispatch_id 0
		.amdhsa_user_sgpr_kernarg_preload_length 0
		.amdhsa_user_sgpr_kernarg_preload_offset 0
		.amdhsa_user_sgpr_private_segment_size 0
		.amdhsa_uses_dynamic_stack 0
		.amdhsa_enable_private_segment 0
		.amdhsa_system_sgpr_workgroup_id_x 1
		.amdhsa_system_sgpr_workgroup_id_y 0
		.amdhsa_system_sgpr_workgroup_id_z 0
		.amdhsa_system_sgpr_workgroup_info 0
		.amdhsa_system_vgpr_workitem_id 0
		.amdhsa_next_free_vgpr 1
		.amdhsa_next_free_sgpr 0
		.amdhsa_accum_offset 4
		.amdhsa_reserve_vcc 0
		.amdhsa_float_round_mode_32 0
		.amdhsa_float_round_mode_16_64 0
		.amdhsa_float_denorm_mode_32 3
		.amdhsa_float_denorm_mode_16_64 3
		.amdhsa_dx10_clamp 1
		.amdhsa_ieee_mode 1
		.amdhsa_fp16_overflow 0
		.amdhsa_tg_split 0
		.amdhsa_exception_fp_ieee_invalid_op 0
		.amdhsa_exception_fp_denorm_src 0
		.amdhsa_exception_fp_ieee_div_zero 0
		.amdhsa_exception_fp_ieee_overflow 0
		.amdhsa_exception_fp_ieee_underflow 0
		.amdhsa_exception_fp_ieee_inexact 0
		.amdhsa_exception_int_div_zero 0
	.end_amdhsa_kernel
	.section	.text._ZN7rocprim17ROCPRIM_400000_NS6detail17trampoline_kernelINS0_14default_configENS1_35adjacent_difference_config_selectorILb0ElEEZNS1_24adjacent_difference_implIS3_Lb0ELb0EPlS7_ZN2at6native12_GLOBAL__N_124unique_dim_cuda_templateIjEESt5tupleIJNS8_6TensorESD_SD_EERKSD_lbbbEUlllE1_EE10hipError_tPvRmT2_T3_mT4_P12ihipStream_tbEUlT_E_NS1_11comp_targetILNS1_3genE3ELNS1_11target_archE908ELNS1_3gpuE7ELNS1_3repE0EEENS1_30default_config_static_selectorELNS0_4arch9wavefront6targetE1EEEvT1_,"axG",@progbits,_ZN7rocprim17ROCPRIM_400000_NS6detail17trampoline_kernelINS0_14default_configENS1_35adjacent_difference_config_selectorILb0ElEEZNS1_24adjacent_difference_implIS3_Lb0ELb0EPlS7_ZN2at6native12_GLOBAL__N_124unique_dim_cuda_templateIjEESt5tupleIJNS8_6TensorESD_SD_EERKSD_lbbbEUlllE1_EE10hipError_tPvRmT2_T3_mT4_P12ihipStream_tbEUlT_E_NS1_11comp_targetILNS1_3genE3ELNS1_11target_archE908ELNS1_3gpuE7ELNS1_3repE0EEENS1_30default_config_static_selectorELNS0_4arch9wavefront6targetE1EEEvT1_,comdat
.Lfunc_end1520:
	.size	_ZN7rocprim17ROCPRIM_400000_NS6detail17trampoline_kernelINS0_14default_configENS1_35adjacent_difference_config_selectorILb0ElEEZNS1_24adjacent_difference_implIS3_Lb0ELb0EPlS7_ZN2at6native12_GLOBAL__N_124unique_dim_cuda_templateIjEESt5tupleIJNS8_6TensorESD_SD_EERKSD_lbbbEUlllE1_EE10hipError_tPvRmT2_T3_mT4_P12ihipStream_tbEUlT_E_NS1_11comp_targetILNS1_3genE3ELNS1_11target_archE908ELNS1_3gpuE7ELNS1_3repE0EEENS1_30default_config_static_selectorELNS0_4arch9wavefront6targetE1EEEvT1_, .Lfunc_end1520-_ZN7rocprim17ROCPRIM_400000_NS6detail17trampoline_kernelINS0_14default_configENS1_35adjacent_difference_config_selectorILb0ElEEZNS1_24adjacent_difference_implIS3_Lb0ELb0EPlS7_ZN2at6native12_GLOBAL__N_124unique_dim_cuda_templateIjEESt5tupleIJNS8_6TensorESD_SD_EERKSD_lbbbEUlllE1_EE10hipError_tPvRmT2_T3_mT4_P12ihipStream_tbEUlT_E_NS1_11comp_targetILNS1_3genE3ELNS1_11target_archE908ELNS1_3gpuE7ELNS1_3repE0EEENS1_30default_config_static_selectorELNS0_4arch9wavefront6targetE1EEEvT1_
                                        ; -- End function
	.set _ZN7rocprim17ROCPRIM_400000_NS6detail17trampoline_kernelINS0_14default_configENS1_35adjacent_difference_config_selectorILb0ElEEZNS1_24adjacent_difference_implIS3_Lb0ELb0EPlS7_ZN2at6native12_GLOBAL__N_124unique_dim_cuda_templateIjEESt5tupleIJNS8_6TensorESD_SD_EERKSD_lbbbEUlllE1_EE10hipError_tPvRmT2_T3_mT4_P12ihipStream_tbEUlT_E_NS1_11comp_targetILNS1_3genE3ELNS1_11target_archE908ELNS1_3gpuE7ELNS1_3repE0EEENS1_30default_config_static_selectorELNS0_4arch9wavefront6targetE1EEEvT1_.num_vgpr, 0
	.set _ZN7rocprim17ROCPRIM_400000_NS6detail17trampoline_kernelINS0_14default_configENS1_35adjacent_difference_config_selectorILb0ElEEZNS1_24adjacent_difference_implIS3_Lb0ELb0EPlS7_ZN2at6native12_GLOBAL__N_124unique_dim_cuda_templateIjEESt5tupleIJNS8_6TensorESD_SD_EERKSD_lbbbEUlllE1_EE10hipError_tPvRmT2_T3_mT4_P12ihipStream_tbEUlT_E_NS1_11comp_targetILNS1_3genE3ELNS1_11target_archE908ELNS1_3gpuE7ELNS1_3repE0EEENS1_30default_config_static_selectorELNS0_4arch9wavefront6targetE1EEEvT1_.num_agpr, 0
	.set _ZN7rocprim17ROCPRIM_400000_NS6detail17trampoline_kernelINS0_14default_configENS1_35adjacent_difference_config_selectorILb0ElEEZNS1_24adjacent_difference_implIS3_Lb0ELb0EPlS7_ZN2at6native12_GLOBAL__N_124unique_dim_cuda_templateIjEESt5tupleIJNS8_6TensorESD_SD_EERKSD_lbbbEUlllE1_EE10hipError_tPvRmT2_T3_mT4_P12ihipStream_tbEUlT_E_NS1_11comp_targetILNS1_3genE3ELNS1_11target_archE908ELNS1_3gpuE7ELNS1_3repE0EEENS1_30default_config_static_selectorELNS0_4arch9wavefront6targetE1EEEvT1_.numbered_sgpr, 0
	.set _ZN7rocprim17ROCPRIM_400000_NS6detail17trampoline_kernelINS0_14default_configENS1_35adjacent_difference_config_selectorILb0ElEEZNS1_24adjacent_difference_implIS3_Lb0ELb0EPlS7_ZN2at6native12_GLOBAL__N_124unique_dim_cuda_templateIjEESt5tupleIJNS8_6TensorESD_SD_EERKSD_lbbbEUlllE1_EE10hipError_tPvRmT2_T3_mT4_P12ihipStream_tbEUlT_E_NS1_11comp_targetILNS1_3genE3ELNS1_11target_archE908ELNS1_3gpuE7ELNS1_3repE0EEENS1_30default_config_static_selectorELNS0_4arch9wavefront6targetE1EEEvT1_.num_named_barrier, 0
	.set _ZN7rocprim17ROCPRIM_400000_NS6detail17trampoline_kernelINS0_14default_configENS1_35adjacent_difference_config_selectorILb0ElEEZNS1_24adjacent_difference_implIS3_Lb0ELb0EPlS7_ZN2at6native12_GLOBAL__N_124unique_dim_cuda_templateIjEESt5tupleIJNS8_6TensorESD_SD_EERKSD_lbbbEUlllE1_EE10hipError_tPvRmT2_T3_mT4_P12ihipStream_tbEUlT_E_NS1_11comp_targetILNS1_3genE3ELNS1_11target_archE908ELNS1_3gpuE7ELNS1_3repE0EEENS1_30default_config_static_selectorELNS0_4arch9wavefront6targetE1EEEvT1_.private_seg_size, 0
	.set _ZN7rocprim17ROCPRIM_400000_NS6detail17trampoline_kernelINS0_14default_configENS1_35adjacent_difference_config_selectorILb0ElEEZNS1_24adjacent_difference_implIS3_Lb0ELb0EPlS7_ZN2at6native12_GLOBAL__N_124unique_dim_cuda_templateIjEESt5tupleIJNS8_6TensorESD_SD_EERKSD_lbbbEUlllE1_EE10hipError_tPvRmT2_T3_mT4_P12ihipStream_tbEUlT_E_NS1_11comp_targetILNS1_3genE3ELNS1_11target_archE908ELNS1_3gpuE7ELNS1_3repE0EEENS1_30default_config_static_selectorELNS0_4arch9wavefront6targetE1EEEvT1_.uses_vcc, 0
	.set _ZN7rocprim17ROCPRIM_400000_NS6detail17trampoline_kernelINS0_14default_configENS1_35adjacent_difference_config_selectorILb0ElEEZNS1_24adjacent_difference_implIS3_Lb0ELb0EPlS7_ZN2at6native12_GLOBAL__N_124unique_dim_cuda_templateIjEESt5tupleIJNS8_6TensorESD_SD_EERKSD_lbbbEUlllE1_EE10hipError_tPvRmT2_T3_mT4_P12ihipStream_tbEUlT_E_NS1_11comp_targetILNS1_3genE3ELNS1_11target_archE908ELNS1_3gpuE7ELNS1_3repE0EEENS1_30default_config_static_selectorELNS0_4arch9wavefront6targetE1EEEvT1_.uses_flat_scratch, 0
	.set _ZN7rocprim17ROCPRIM_400000_NS6detail17trampoline_kernelINS0_14default_configENS1_35adjacent_difference_config_selectorILb0ElEEZNS1_24adjacent_difference_implIS3_Lb0ELb0EPlS7_ZN2at6native12_GLOBAL__N_124unique_dim_cuda_templateIjEESt5tupleIJNS8_6TensorESD_SD_EERKSD_lbbbEUlllE1_EE10hipError_tPvRmT2_T3_mT4_P12ihipStream_tbEUlT_E_NS1_11comp_targetILNS1_3genE3ELNS1_11target_archE908ELNS1_3gpuE7ELNS1_3repE0EEENS1_30default_config_static_selectorELNS0_4arch9wavefront6targetE1EEEvT1_.has_dyn_sized_stack, 0
	.set _ZN7rocprim17ROCPRIM_400000_NS6detail17trampoline_kernelINS0_14default_configENS1_35adjacent_difference_config_selectorILb0ElEEZNS1_24adjacent_difference_implIS3_Lb0ELb0EPlS7_ZN2at6native12_GLOBAL__N_124unique_dim_cuda_templateIjEESt5tupleIJNS8_6TensorESD_SD_EERKSD_lbbbEUlllE1_EE10hipError_tPvRmT2_T3_mT4_P12ihipStream_tbEUlT_E_NS1_11comp_targetILNS1_3genE3ELNS1_11target_archE908ELNS1_3gpuE7ELNS1_3repE0EEENS1_30default_config_static_selectorELNS0_4arch9wavefront6targetE1EEEvT1_.has_recursion, 0
	.set _ZN7rocprim17ROCPRIM_400000_NS6detail17trampoline_kernelINS0_14default_configENS1_35adjacent_difference_config_selectorILb0ElEEZNS1_24adjacent_difference_implIS3_Lb0ELb0EPlS7_ZN2at6native12_GLOBAL__N_124unique_dim_cuda_templateIjEESt5tupleIJNS8_6TensorESD_SD_EERKSD_lbbbEUlllE1_EE10hipError_tPvRmT2_T3_mT4_P12ihipStream_tbEUlT_E_NS1_11comp_targetILNS1_3genE3ELNS1_11target_archE908ELNS1_3gpuE7ELNS1_3repE0EEENS1_30default_config_static_selectorELNS0_4arch9wavefront6targetE1EEEvT1_.has_indirect_call, 0
	.section	.AMDGPU.csdata,"",@progbits
; Kernel info:
; codeLenInByte = 0
; TotalNumSgprs: 6
; NumVgprs: 0
; NumAgprs: 0
; TotalNumVgprs: 0
; ScratchSize: 0
; MemoryBound: 0
; FloatMode: 240
; IeeeMode: 1
; LDSByteSize: 0 bytes/workgroup (compile time only)
; SGPRBlocks: 0
; VGPRBlocks: 0
; NumSGPRsForWavesPerEU: 6
; NumVGPRsForWavesPerEU: 1
; AccumOffset: 4
; Occupancy: 8
; WaveLimiterHint : 0
; COMPUTE_PGM_RSRC2:SCRATCH_EN: 0
; COMPUTE_PGM_RSRC2:USER_SGPR: 2
; COMPUTE_PGM_RSRC2:TRAP_HANDLER: 0
; COMPUTE_PGM_RSRC2:TGID_X_EN: 1
; COMPUTE_PGM_RSRC2:TGID_Y_EN: 0
; COMPUTE_PGM_RSRC2:TGID_Z_EN: 0
; COMPUTE_PGM_RSRC2:TIDIG_COMP_CNT: 0
; COMPUTE_PGM_RSRC3_GFX90A:ACCUM_OFFSET: 0
; COMPUTE_PGM_RSRC3_GFX90A:TG_SPLIT: 0
	.section	.text._ZN7rocprim17ROCPRIM_400000_NS6detail17trampoline_kernelINS0_14default_configENS1_35adjacent_difference_config_selectorILb0ElEEZNS1_24adjacent_difference_implIS3_Lb0ELb0EPlS7_ZN2at6native12_GLOBAL__N_124unique_dim_cuda_templateIjEESt5tupleIJNS8_6TensorESD_SD_EERKSD_lbbbEUlllE1_EE10hipError_tPvRmT2_T3_mT4_P12ihipStream_tbEUlT_E_NS1_11comp_targetILNS1_3genE2ELNS1_11target_archE906ELNS1_3gpuE6ELNS1_3repE0EEENS1_30default_config_static_selectorELNS0_4arch9wavefront6targetE1EEEvT1_,"axG",@progbits,_ZN7rocprim17ROCPRIM_400000_NS6detail17trampoline_kernelINS0_14default_configENS1_35adjacent_difference_config_selectorILb0ElEEZNS1_24adjacent_difference_implIS3_Lb0ELb0EPlS7_ZN2at6native12_GLOBAL__N_124unique_dim_cuda_templateIjEESt5tupleIJNS8_6TensorESD_SD_EERKSD_lbbbEUlllE1_EE10hipError_tPvRmT2_T3_mT4_P12ihipStream_tbEUlT_E_NS1_11comp_targetILNS1_3genE2ELNS1_11target_archE906ELNS1_3gpuE6ELNS1_3repE0EEENS1_30default_config_static_selectorELNS0_4arch9wavefront6targetE1EEEvT1_,comdat
	.globl	_ZN7rocprim17ROCPRIM_400000_NS6detail17trampoline_kernelINS0_14default_configENS1_35adjacent_difference_config_selectorILb0ElEEZNS1_24adjacent_difference_implIS3_Lb0ELb0EPlS7_ZN2at6native12_GLOBAL__N_124unique_dim_cuda_templateIjEESt5tupleIJNS8_6TensorESD_SD_EERKSD_lbbbEUlllE1_EE10hipError_tPvRmT2_T3_mT4_P12ihipStream_tbEUlT_E_NS1_11comp_targetILNS1_3genE2ELNS1_11target_archE906ELNS1_3gpuE6ELNS1_3repE0EEENS1_30default_config_static_selectorELNS0_4arch9wavefront6targetE1EEEvT1_ ; -- Begin function _ZN7rocprim17ROCPRIM_400000_NS6detail17trampoline_kernelINS0_14default_configENS1_35adjacent_difference_config_selectorILb0ElEEZNS1_24adjacent_difference_implIS3_Lb0ELb0EPlS7_ZN2at6native12_GLOBAL__N_124unique_dim_cuda_templateIjEESt5tupleIJNS8_6TensorESD_SD_EERKSD_lbbbEUlllE1_EE10hipError_tPvRmT2_T3_mT4_P12ihipStream_tbEUlT_E_NS1_11comp_targetILNS1_3genE2ELNS1_11target_archE906ELNS1_3gpuE6ELNS1_3repE0EEENS1_30default_config_static_selectorELNS0_4arch9wavefront6targetE1EEEvT1_
	.p2align	8
	.type	_ZN7rocprim17ROCPRIM_400000_NS6detail17trampoline_kernelINS0_14default_configENS1_35adjacent_difference_config_selectorILb0ElEEZNS1_24adjacent_difference_implIS3_Lb0ELb0EPlS7_ZN2at6native12_GLOBAL__N_124unique_dim_cuda_templateIjEESt5tupleIJNS8_6TensorESD_SD_EERKSD_lbbbEUlllE1_EE10hipError_tPvRmT2_T3_mT4_P12ihipStream_tbEUlT_E_NS1_11comp_targetILNS1_3genE2ELNS1_11target_archE906ELNS1_3gpuE6ELNS1_3repE0EEENS1_30default_config_static_selectorELNS0_4arch9wavefront6targetE1EEEvT1_,@function
_ZN7rocprim17ROCPRIM_400000_NS6detail17trampoline_kernelINS0_14default_configENS1_35adjacent_difference_config_selectorILb0ElEEZNS1_24adjacent_difference_implIS3_Lb0ELb0EPlS7_ZN2at6native12_GLOBAL__N_124unique_dim_cuda_templateIjEESt5tupleIJNS8_6TensorESD_SD_EERKSD_lbbbEUlllE1_EE10hipError_tPvRmT2_T3_mT4_P12ihipStream_tbEUlT_E_NS1_11comp_targetILNS1_3genE2ELNS1_11target_archE906ELNS1_3gpuE6ELNS1_3repE0EEENS1_30default_config_static_selectorELNS0_4arch9wavefront6targetE1EEEvT1_: ; @_ZN7rocprim17ROCPRIM_400000_NS6detail17trampoline_kernelINS0_14default_configENS1_35adjacent_difference_config_selectorILb0ElEEZNS1_24adjacent_difference_implIS3_Lb0ELb0EPlS7_ZN2at6native12_GLOBAL__N_124unique_dim_cuda_templateIjEESt5tupleIJNS8_6TensorESD_SD_EERKSD_lbbbEUlllE1_EE10hipError_tPvRmT2_T3_mT4_P12ihipStream_tbEUlT_E_NS1_11comp_targetILNS1_3genE2ELNS1_11target_archE906ELNS1_3gpuE6ELNS1_3repE0EEENS1_30default_config_static_selectorELNS0_4arch9wavefront6targetE1EEEvT1_
; %bb.0:
	.section	.rodata,"a",@progbits
	.p2align	6, 0x0
	.amdhsa_kernel _ZN7rocprim17ROCPRIM_400000_NS6detail17trampoline_kernelINS0_14default_configENS1_35adjacent_difference_config_selectorILb0ElEEZNS1_24adjacent_difference_implIS3_Lb0ELb0EPlS7_ZN2at6native12_GLOBAL__N_124unique_dim_cuda_templateIjEESt5tupleIJNS8_6TensorESD_SD_EERKSD_lbbbEUlllE1_EE10hipError_tPvRmT2_T3_mT4_P12ihipStream_tbEUlT_E_NS1_11comp_targetILNS1_3genE2ELNS1_11target_archE906ELNS1_3gpuE6ELNS1_3repE0EEENS1_30default_config_static_selectorELNS0_4arch9wavefront6targetE1EEEvT1_
		.amdhsa_group_segment_fixed_size 0
		.amdhsa_private_segment_fixed_size 0
		.amdhsa_kernarg_size 64
		.amdhsa_user_sgpr_count 2
		.amdhsa_user_sgpr_dispatch_ptr 0
		.amdhsa_user_sgpr_queue_ptr 0
		.amdhsa_user_sgpr_kernarg_segment_ptr 1
		.amdhsa_user_sgpr_dispatch_id 0
		.amdhsa_user_sgpr_kernarg_preload_length 0
		.amdhsa_user_sgpr_kernarg_preload_offset 0
		.amdhsa_user_sgpr_private_segment_size 0
		.amdhsa_uses_dynamic_stack 0
		.amdhsa_enable_private_segment 0
		.amdhsa_system_sgpr_workgroup_id_x 1
		.amdhsa_system_sgpr_workgroup_id_y 0
		.amdhsa_system_sgpr_workgroup_id_z 0
		.amdhsa_system_sgpr_workgroup_info 0
		.amdhsa_system_vgpr_workitem_id 0
		.amdhsa_next_free_vgpr 1
		.amdhsa_next_free_sgpr 0
		.amdhsa_accum_offset 4
		.amdhsa_reserve_vcc 0
		.amdhsa_float_round_mode_32 0
		.amdhsa_float_round_mode_16_64 0
		.amdhsa_float_denorm_mode_32 3
		.amdhsa_float_denorm_mode_16_64 3
		.amdhsa_dx10_clamp 1
		.amdhsa_ieee_mode 1
		.amdhsa_fp16_overflow 0
		.amdhsa_tg_split 0
		.amdhsa_exception_fp_ieee_invalid_op 0
		.amdhsa_exception_fp_denorm_src 0
		.amdhsa_exception_fp_ieee_div_zero 0
		.amdhsa_exception_fp_ieee_overflow 0
		.amdhsa_exception_fp_ieee_underflow 0
		.amdhsa_exception_fp_ieee_inexact 0
		.amdhsa_exception_int_div_zero 0
	.end_amdhsa_kernel
	.section	.text._ZN7rocprim17ROCPRIM_400000_NS6detail17trampoline_kernelINS0_14default_configENS1_35adjacent_difference_config_selectorILb0ElEEZNS1_24adjacent_difference_implIS3_Lb0ELb0EPlS7_ZN2at6native12_GLOBAL__N_124unique_dim_cuda_templateIjEESt5tupleIJNS8_6TensorESD_SD_EERKSD_lbbbEUlllE1_EE10hipError_tPvRmT2_T3_mT4_P12ihipStream_tbEUlT_E_NS1_11comp_targetILNS1_3genE2ELNS1_11target_archE906ELNS1_3gpuE6ELNS1_3repE0EEENS1_30default_config_static_selectorELNS0_4arch9wavefront6targetE1EEEvT1_,"axG",@progbits,_ZN7rocprim17ROCPRIM_400000_NS6detail17trampoline_kernelINS0_14default_configENS1_35adjacent_difference_config_selectorILb0ElEEZNS1_24adjacent_difference_implIS3_Lb0ELb0EPlS7_ZN2at6native12_GLOBAL__N_124unique_dim_cuda_templateIjEESt5tupleIJNS8_6TensorESD_SD_EERKSD_lbbbEUlllE1_EE10hipError_tPvRmT2_T3_mT4_P12ihipStream_tbEUlT_E_NS1_11comp_targetILNS1_3genE2ELNS1_11target_archE906ELNS1_3gpuE6ELNS1_3repE0EEENS1_30default_config_static_selectorELNS0_4arch9wavefront6targetE1EEEvT1_,comdat
.Lfunc_end1521:
	.size	_ZN7rocprim17ROCPRIM_400000_NS6detail17trampoline_kernelINS0_14default_configENS1_35adjacent_difference_config_selectorILb0ElEEZNS1_24adjacent_difference_implIS3_Lb0ELb0EPlS7_ZN2at6native12_GLOBAL__N_124unique_dim_cuda_templateIjEESt5tupleIJNS8_6TensorESD_SD_EERKSD_lbbbEUlllE1_EE10hipError_tPvRmT2_T3_mT4_P12ihipStream_tbEUlT_E_NS1_11comp_targetILNS1_3genE2ELNS1_11target_archE906ELNS1_3gpuE6ELNS1_3repE0EEENS1_30default_config_static_selectorELNS0_4arch9wavefront6targetE1EEEvT1_, .Lfunc_end1521-_ZN7rocprim17ROCPRIM_400000_NS6detail17trampoline_kernelINS0_14default_configENS1_35adjacent_difference_config_selectorILb0ElEEZNS1_24adjacent_difference_implIS3_Lb0ELb0EPlS7_ZN2at6native12_GLOBAL__N_124unique_dim_cuda_templateIjEESt5tupleIJNS8_6TensorESD_SD_EERKSD_lbbbEUlllE1_EE10hipError_tPvRmT2_T3_mT4_P12ihipStream_tbEUlT_E_NS1_11comp_targetILNS1_3genE2ELNS1_11target_archE906ELNS1_3gpuE6ELNS1_3repE0EEENS1_30default_config_static_selectorELNS0_4arch9wavefront6targetE1EEEvT1_
                                        ; -- End function
	.set _ZN7rocprim17ROCPRIM_400000_NS6detail17trampoline_kernelINS0_14default_configENS1_35adjacent_difference_config_selectorILb0ElEEZNS1_24adjacent_difference_implIS3_Lb0ELb0EPlS7_ZN2at6native12_GLOBAL__N_124unique_dim_cuda_templateIjEESt5tupleIJNS8_6TensorESD_SD_EERKSD_lbbbEUlllE1_EE10hipError_tPvRmT2_T3_mT4_P12ihipStream_tbEUlT_E_NS1_11comp_targetILNS1_3genE2ELNS1_11target_archE906ELNS1_3gpuE6ELNS1_3repE0EEENS1_30default_config_static_selectorELNS0_4arch9wavefront6targetE1EEEvT1_.num_vgpr, 0
	.set _ZN7rocprim17ROCPRIM_400000_NS6detail17trampoline_kernelINS0_14default_configENS1_35adjacent_difference_config_selectorILb0ElEEZNS1_24adjacent_difference_implIS3_Lb0ELb0EPlS7_ZN2at6native12_GLOBAL__N_124unique_dim_cuda_templateIjEESt5tupleIJNS8_6TensorESD_SD_EERKSD_lbbbEUlllE1_EE10hipError_tPvRmT2_T3_mT4_P12ihipStream_tbEUlT_E_NS1_11comp_targetILNS1_3genE2ELNS1_11target_archE906ELNS1_3gpuE6ELNS1_3repE0EEENS1_30default_config_static_selectorELNS0_4arch9wavefront6targetE1EEEvT1_.num_agpr, 0
	.set _ZN7rocprim17ROCPRIM_400000_NS6detail17trampoline_kernelINS0_14default_configENS1_35adjacent_difference_config_selectorILb0ElEEZNS1_24adjacent_difference_implIS3_Lb0ELb0EPlS7_ZN2at6native12_GLOBAL__N_124unique_dim_cuda_templateIjEESt5tupleIJNS8_6TensorESD_SD_EERKSD_lbbbEUlllE1_EE10hipError_tPvRmT2_T3_mT4_P12ihipStream_tbEUlT_E_NS1_11comp_targetILNS1_3genE2ELNS1_11target_archE906ELNS1_3gpuE6ELNS1_3repE0EEENS1_30default_config_static_selectorELNS0_4arch9wavefront6targetE1EEEvT1_.numbered_sgpr, 0
	.set _ZN7rocprim17ROCPRIM_400000_NS6detail17trampoline_kernelINS0_14default_configENS1_35adjacent_difference_config_selectorILb0ElEEZNS1_24adjacent_difference_implIS3_Lb0ELb0EPlS7_ZN2at6native12_GLOBAL__N_124unique_dim_cuda_templateIjEESt5tupleIJNS8_6TensorESD_SD_EERKSD_lbbbEUlllE1_EE10hipError_tPvRmT2_T3_mT4_P12ihipStream_tbEUlT_E_NS1_11comp_targetILNS1_3genE2ELNS1_11target_archE906ELNS1_3gpuE6ELNS1_3repE0EEENS1_30default_config_static_selectorELNS0_4arch9wavefront6targetE1EEEvT1_.num_named_barrier, 0
	.set _ZN7rocprim17ROCPRIM_400000_NS6detail17trampoline_kernelINS0_14default_configENS1_35adjacent_difference_config_selectorILb0ElEEZNS1_24adjacent_difference_implIS3_Lb0ELb0EPlS7_ZN2at6native12_GLOBAL__N_124unique_dim_cuda_templateIjEESt5tupleIJNS8_6TensorESD_SD_EERKSD_lbbbEUlllE1_EE10hipError_tPvRmT2_T3_mT4_P12ihipStream_tbEUlT_E_NS1_11comp_targetILNS1_3genE2ELNS1_11target_archE906ELNS1_3gpuE6ELNS1_3repE0EEENS1_30default_config_static_selectorELNS0_4arch9wavefront6targetE1EEEvT1_.private_seg_size, 0
	.set _ZN7rocprim17ROCPRIM_400000_NS6detail17trampoline_kernelINS0_14default_configENS1_35adjacent_difference_config_selectorILb0ElEEZNS1_24adjacent_difference_implIS3_Lb0ELb0EPlS7_ZN2at6native12_GLOBAL__N_124unique_dim_cuda_templateIjEESt5tupleIJNS8_6TensorESD_SD_EERKSD_lbbbEUlllE1_EE10hipError_tPvRmT2_T3_mT4_P12ihipStream_tbEUlT_E_NS1_11comp_targetILNS1_3genE2ELNS1_11target_archE906ELNS1_3gpuE6ELNS1_3repE0EEENS1_30default_config_static_selectorELNS0_4arch9wavefront6targetE1EEEvT1_.uses_vcc, 0
	.set _ZN7rocprim17ROCPRIM_400000_NS6detail17trampoline_kernelINS0_14default_configENS1_35adjacent_difference_config_selectorILb0ElEEZNS1_24adjacent_difference_implIS3_Lb0ELb0EPlS7_ZN2at6native12_GLOBAL__N_124unique_dim_cuda_templateIjEESt5tupleIJNS8_6TensorESD_SD_EERKSD_lbbbEUlllE1_EE10hipError_tPvRmT2_T3_mT4_P12ihipStream_tbEUlT_E_NS1_11comp_targetILNS1_3genE2ELNS1_11target_archE906ELNS1_3gpuE6ELNS1_3repE0EEENS1_30default_config_static_selectorELNS0_4arch9wavefront6targetE1EEEvT1_.uses_flat_scratch, 0
	.set _ZN7rocprim17ROCPRIM_400000_NS6detail17trampoline_kernelINS0_14default_configENS1_35adjacent_difference_config_selectorILb0ElEEZNS1_24adjacent_difference_implIS3_Lb0ELb0EPlS7_ZN2at6native12_GLOBAL__N_124unique_dim_cuda_templateIjEESt5tupleIJNS8_6TensorESD_SD_EERKSD_lbbbEUlllE1_EE10hipError_tPvRmT2_T3_mT4_P12ihipStream_tbEUlT_E_NS1_11comp_targetILNS1_3genE2ELNS1_11target_archE906ELNS1_3gpuE6ELNS1_3repE0EEENS1_30default_config_static_selectorELNS0_4arch9wavefront6targetE1EEEvT1_.has_dyn_sized_stack, 0
	.set _ZN7rocprim17ROCPRIM_400000_NS6detail17trampoline_kernelINS0_14default_configENS1_35adjacent_difference_config_selectorILb0ElEEZNS1_24adjacent_difference_implIS3_Lb0ELb0EPlS7_ZN2at6native12_GLOBAL__N_124unique_dim_cuda_templateIjEESt5tupleIJNS8_6TensorESD_SD_EERKSD_lbbbEUlllE1_EE10hipError_tPvRmT2_T3_mT4_P12ihipStream_tbEUlT_E_NS1_11comp_targetILNS1_3genE2ELNS1_11target_archE906ELNS1_3gpuE6ELNS1_3repE0EEENS1_30default_config_static_selectorELNS0_4arch9wavefront6targetE1EEEvT1_.has_recursion, 0
	.set _ZN7rocprim17ROCPRIM_400000_NS6detail17trampoline_kernelINS0_14default_configENS1_35adjacent_difference_config_selectorILb0ElEEZNS1_24adjacent_difference_implIS3_Lb0ELb0EPlS7_ZN2at6native12_GLOBAL__N_124unique_dim_cuda_templateIjEESt5tupleIJNS8_6TensorESD_SD_EERKSD_lbbbEUlllE1_EE10hipError_tPvRmT2_T3_mT4_P12ihipStream_tbEUlT_E_NS1_11comp_targetILNS1_3genE2ELNS1_11target_archE906ELNS1_3gpuE6ELNS1_3repE0EEENS1_30default_config_static_selectorELNS0_4arch9wavefront6targetE1EEEvT1_.has_indirect_call, 0
	.section	.AMDGPU.csdata,"",@progbits
; Kernel info:
; codeLenInByte = 0
; TotalNumSgprs: 6
; NumVgprs: 0
; NumAgprs: 0
; TotalNumVgprs: 0
; ScratchSize: 0
; MemoryBound: 0
; FloatMode: 240
; IeeeMode: 1
; LDSByteSize: 0 bytes/workgroup (compile time only)
; SGPRBlocks: 0
; VGPRBlocks: 0
; NumSGPRsForWavesPerEU: 6
; NumVGPRsForWavesPerEU: 1
; AccumOffset: 4
; Occupancy: 8
; WaveLimiterHint : 0
; COMPUTE_PGM_RSRC2:SCRATCH_EN: 0
; COMPUTE_PGM_RSRC2:USER_SGPR: 2
; COMPUTE_PGM_RSRC2:TRAP_HANDLER: 0
; COMPUTE_PGM_RSRC2:TGID_X_EN: 1
; COMPUTE_PGM_RSRC2:TGID_Y_EN: 0
; COMPUTE_PGM_RSRC2:TGID_Z_EN: 0
; COMPUTE_PGM_RSRC2:TIDIG_COMP_CNT: 0
; COMPUTE_PGM_RSRC3_GFX90A:ACCUM_OFFSET: 0
; COMPUTE_PGM_RSRC3_GFX90A:TG_SPLIT: 0
	.section	.text._ZN7rocprim17ROCPRIM_400000_NS6detail17trampoline_kernelINS0_14default_configENS1_35adjacent_difference_config_selectorILb0ElEEZNS1_24adjacent_difference_implIS3_Lb0ELb0EPlS7_ZN2at6native12_GLOBAL__N_124unique_dim_cuda_templateIjEESt5tupleIJNS8_6TensorESD_SD_EERKSD_lbbbEUlllE1_EE10hipError_tPvRmT2_T3_mT4_P12ihipStream_tbEUlT_E_NS1_11comp_targetILNS1_3genE9ELNS1_11target_archE1100ELNS1_3gpuE3ELNS1_3repE0EEENS1_30default_config_static_selectorELNS0_4arch9wavefront6targetE1EEEvT1_,"axG",@progbits,_ZN7rocprim17ROCPRIM_400000_NS6detail17trampoline_kernelINS0_14default_configENS1_35adjacent_difference_config_selectorILb0ElEEZNS1_24adjacent_difference_implIS3_Lb0ELb0EPlS7_ZN2at6native12_GLOBAL__N_124unique_dim_cuda_templateIjEESt5tupleIJNS8_6TensorESD_SD_EERKSD_lbbbEUlllE1_EE10hipError_tPvRmT2_T3_mT4_P12ihipStream_tbEUlT_E_NS1_11comp_targetILNS1_3genE9ELNS1_11target_archE1100ELNS1_3gpuE3ELNS1_3repE0EEENS1_30default_config_static_selectorELNS0_4arch9wavefront6targetE1EEEvT1_,comdat
	.globl	_ZN7rocprim17ROCPRIM_400000_NS6detail17trampoline_kernelINS0_14default_configENS1_35adjacent_difference_config_selectorILb0ElEEZNS1_24adjacent_difference_implIS3_Lb0ELb0EPlS7_ZN2at6native12_GLOBAL__N_124unique_dim_cuda_templateIjEESt5tupleIJNS8_6TensorESD_SD_EERKSD_lbbbEUlllE1_EE10hipError_tPvRmT2_T3_mT4_P12ihipStream_tbEUlT_E_NS1_11comp_targetILNS1_3genE9ELNS1_11target_archE1100ELNS1_3gpuE3ELNS1_3repE0EEENS1_30default_config_static_selectorELNS0_4arch9wavefront6targetE1EEEvT1_ ; -- Begin function _ZN7rocprim17ROCPRIM_400000_NS6detail17trampoline_kernelINS0_14default_configENS1_35adjacent_difference_config_selectorILb0ElEEZNS1_24adjacent_difference_implIS3_Lb0ELb0EPlS7_ZN2at6native12_GLOBAL__N_124unique_dim_cuda_templateIjEESt5tupleIJNS8_6TensorESD_SD_EERKSD_lbbbEUlllE1_EE10hipError_tPvRmT2_T3_mT4_P12ihipStream_tbEUlT_E_NS1_11comp_targetILNS1_3genE9ELNS1_11target_archE1100ELNS1_3gpuE3ELNS1_3repE0EEENS1_30default_config_static_selectorELNS0_4arch9wavefront6targetE1EEEvT1_
	.p2align	8
	.type	_ZN7rocprim17ROCPRIM_400000_NS6detail17trampoline_kernelINS0_14default_configENS1_35adjacent_difference_config_selectorILb0ElEEZNS1_24adjacent_difference_implIS3_Lb0ELb0EPlS7_ZN2at6native12_GLOBAL__N_124unique_dim_cuda_templateIjEESt5tupleIJNS8_6TensorESD_SD_EERKSD_lbbbEUlllE1_EE10hipError_tPvRmT2_T3_mT4_P12ihipStream_tbEUlT_E_NS1_11comp_targetILNS1_3genE9ELNS1_11target_archE1100ELNS1_3gpuE3ELNS1_3repE0EEENS1_30default_config_static_selectorELNS0_4arch9wavefront6targetE1EEEvT1_,@function
_ZN7rocprim17ROCPRIM_400000_NS6detail17trampoline_kernelINS0_14default_configENS1_35adjacent_difference_config_selectorILb0ElEEZNS1_24adjacent_difference_implIS3_Lb0ELb0EPlS7_ZN2at6native12_GLOBAL__N_124unique_dim_cuda_templateIjEESt5tupleIJNS8_6TensorESD_SD_EERKSD_lbbbEUlllE1_EE10hipError_tPvRmT2_T3_mT4_P12ihipStream_tbEUlT_E_NS1_11comp_targetILNS1_3genE9ELNS1_11target_archE1100ELNS1_3gpuE3ELNS1_3repE0EEENS1_30default_config_static_selectorELNS0_4arch9wavefront6targetE1EEEvT1_: ; @_ZN7rocprim17ROCPRIM_400000_NS6detail17trampoline_kernelINS0_14default_configENS1_35adjacent_difference_config_selectorILb0ElEEZNS1_24adjacent_difference_implIS3_Lb0ELb0EPlS7_ZN2at6native12_GLOBAL__N_124unique_dim_cuda_templateIjEESt5tupleIJNS8_6TensorESD_SD_EERKSD_lbbbEUlllE1_EE10hipError_tPvRmT2_T3_mT4_P12ihipStream_tbEUlT_E_NS1_11comp_targetILNS1_3genE9ELNS1_11target_archE1100ELNS1_3gpuE3ELNS1_3repE0EEENS1_30default_config_static_selectorELNS0_4arch9wavefront6targetE1EEEvT1_
; %bb.0:
	.section	.rodata,"a",@progbits
	.p2align	6, 0x0
	.amdhsa_kernel _ZN7rocprim17ROCPRIM_400000_NS6detail17trampoline_kernelINS0_14default_configENS1_35adjacent_difference_config_selectorILb0ElEEZNS1_24adjacent_difference_implIS3_Lb0ELb0EPlS7_ZN2at6native12_GLOBAL__N_124unique_dim_cuda_templateIjEESt5tupleIJNS8_6TensorESD_SD_EERKSD_lbbbEUlllE1_EE10hipError_tPvRmT2_T3_mT4_P12ihipStream_tbEUlT_E_NS1_11comp_targetILNS1_3genE9ELNS1_11target_archE1100ELNS1_3gpuE3ELNS1_3repE0EEENS1_30default_config_static_selectorELNS0_4arch9wavefront6targetE1EEEvT1_
		.amdhsa_group_segment_fixed_size 0
		.amdhsa_private_segment_fixed_size 0
		.amdhsa_kernarg_size 64
		.amdhsa_user_sgpr_count 2
		.amdhsa_user_sgpr_dispatch_ptr 0
		.amdhsa_user_sgpr_queue_ptr 0
		.amdhsa_user_sgpr_kernarg_segment_ptr 1
		.amdhsa_user_sgpr_dispatch_id 0
		.amdhsa_user_sgpr_kernarg_preload_length 0
		.amdhsa_user_sgpr_kernarg_preload_offset 0
		.amdhsa_user_sgpr_private_segment_size 0
		.amdhsa_uses_dynamic_stack 0
		.amdhsa_enable_private_segment 0
		.amdhsa_system_sgpr_workgroup_id_x 1
		.amdhsa_system_sgpr_workgroup_id_y 0
		.amdhsa_system_sgpr_workgroup_id_z 0
		.amdhsa_system_sgpr_workgroup_info 0
		.amdhsa_system_vgpr_workitem_id 0
		.amdhsa_next_free_vgpr 1
		.amdhsa_next_free_sgpr 0
		.amdhsa_accum_offset 4
		.amdhsa_reserve_vcc 0
		.amdhsa_float_round_mode_32 0
		.amdhsa_float_round_mode_16_64 0
		.amdhsa_float_denorm_mode_32 3
		.amdhsa_float_denorm_mode_16_64 3
		.amdhsa_dx10_clamp 1
		.amdhsa_ieee_mode 1
		.amdhsa_fp16_overflow 0
		.amdhsa_tg_split 0
		.amdhsa_exception_fp_ieee_invalid_op 0
		.amdhsa_exception_fp_denorm_src 0
		.amdhsa_exception_fp_ieee_div_zero 0
		.amdhsa_exception_fp_ieee_overflow 0
		.amdhsa_exception_fp_ieee_underflow 0
		.amdhsa_exception_fp_ieee_inexact 0
		.amdhsa_exception_int_div_zero 0
	.end_amdhsa_kernel
	.section	.text._ZN7rocprim17ROCPRIM_400000_NS6detail17trampoline_kernelINS0_14default_configENS1_35adjacent_difference_config_selectorILb0ElEEZNS1_24adjacent_difference_implIS3_Lb0ELb0EPlS7_ZN2at6native12_GLOBAL__N_124unique_dim_cuda_templateIjEESt5tupleIJNS8_6TensorESD_SD_EERKSD_lbbbEUlllE1_EE10hipError_tPvRmT2_T3_mT4_P12ihipStream_tbEUlT_E_NS1_11comp_targetILNS1_3genE9ELNS1_11target_archE1100ELNS1_3gpuE3ELNS1_3repE0EEENS1_30default_config_static_selectorELNS0_4arch9wavefront6targetE1EEEvT1_,"axG",@progbits,_ZN7rocprim17ROCPRIM_400000_NS6detail17trampoline_kernelINS0_14default_configENS1_35adjacent_difference_config_selectorILb0ElEEZNS1_24adjacent_difference_implIS3_Lb0ELb0EPlS7_ZN2at6native12_GLOBAL__N_124unique_dim_cuda_templateIjEESt5tupleIJNS8_6TensorESD_SD_EERKSD_lbbbEUlllE1_EE10hipError_tPvRmT2_T3_mT4_P12ihipStream_tbEUlT_E_NS1_11comp_targetILNS1_3genE9ELNS1_11target_archE1100ELNS1_3gpuE3ELNS1_3repE0EEENS1_30default_config_static_selectorELNS0_4arch9wavefront6targetE1EEEvT1_,comdat
.Lfunc_end1522:
	.size	_ZN7rocprim17ROCPRIM_400000_NS6detail17trampoline_kernelINS0_14default_configENS1_35adjacent_difference_config_selectorILb0ElEEZNS1_24adjacent_difference_implIS3_Lb0ELb0EPlS7_ZN2at6native12_GLOBAL__N_124unique_dim_cuda_templateIjEESt5tupleIJNS8_6TensorESD_SD_EERKSD_lbbbEUlllE1_EE10hipError_tPvRmT2_T3_mT4_P12ihipStream_tbEUlT_E_NS1_11comp_targetILNS1_3genE9ELNS1_11target_archE1100ELNS1_3gpuE3ELNS1_3repE0EEENS1_30default_config_static_selectorELNS0_4arch9wavefront6targetE1EEEvT1_, .Lfunc_end1522-_ZN7rocprim17ROCPRIM_400000_NS6detail17trampoline_kernelINS0_14default_configENS1_35adjacent_difference_config_selectorILb0ElEEZNS1_24adjacent_difference_implIS3_Lb0ELb0EPlS7_ZN2at6native12_GLOBAL__N_124unique_dim_cuda_templateIjEESt5tupleIJNS8_6TensorESD_SD_EERKSD_lbbbEUlllE1_EE10hipError_tPvRmT2_T3_mT4_P12ihipStream_tbEUlT_E_NS1_11comp_targetILNS1_3genE9ELNS1_11target_archE1100ELNS1_3gpuE3ELNS1_3repE0EEENS1_30default_config_static_selectorELNS0_4arch9wavefront6targetE1EEEvT1_
                                        ; -- End function
	.set _ZN7rocprim17ROCPRIM_400000_NS6detail17trampoline_kernelINS0_14default_configENS1_35adjacent_difference_config_selectorILb0ElEEZNS1_24adjacent_difference_implIS3_Lb0ELb0EPlS7_ZN2at6native12_GLOBAL__N_124unique_dim_cuda_templateIjEESt5tupleIJNS8_6TensorESD_SD_EERKSD_lbbbEUlllE1_EE10hipError_tPvRmT2_T3_mT4_P12ihipStream_tbEUlT_E_NS1_11comp_targetILNS1_3genE9ELNS1_11target_archE1100ELNS1_3gpuE3ELNS1_3repE0EEENS1_30default_config_static_selectorELNS0_4arch9wavefront6targetE1EEEvT1_.num_vgpr, 0
	.set _ZN7rocprim17ROCPRIM_400000_NS6detail17trampoline_kernelINS0_14default_configENS1_35adjacent_difference_config_selectorILb0ElEEZNS1_24adjacent_difference_implIS3_Lb0ELb0EPlS7_ZN2at6native12_GLOBAL__N_124unique_dim_cuda_templateIjEESt5tupleIJNS8_6TensorESD_SD_EERKSD_lbbbEUlllE1_EE10hipError_tPvRmT2_T3_mT4_P12ihipStream_tbEUlT_E_NS1_11comp_targetILNS1_3genE9ELNS1_11target_archE1100ELNS1_3gpuE3ELNS1_3repE0EEENS1_30default_config_static_selectorELNS0_4arch9wavefront6targetE1EEEvT1_.num_agpr, 0
	.set _ZN7rocprim17ROCPRIM_400000_NS6detail17trampoline_kernelINS0_14default_configENS1_35adjacent_difference_config_selectorILb0ElEEZNS1_24adjacent_difference_implIS3_Lb0ELb0EPlS7_ZN2at6native12_GLOBAL__N_124unique_dim_cuda_templateIjEESt5tupleIJNS8_6TensorESD_SD_EERKSD_lbbbEUlllE1_EE10hipError_tPvRmT2_T3_mT4_P12ihipStream_tbEUlT_E_NS1_11comp_targetILNS1_3genE9ELNS1_11target_archE1100ELNS1_3gpuE3ELNS1_3repE0EEENS1_30default_config_static_selectorELNS0_4arch9wavefront6targetE1EEEvT1_.numbered_sgpr, 0
	.set _ZN7rocprim17ROCPRIM_400000_NS6detail17trampoline_kernelINS0_14default_configENS1_35adjacent_difference_config_selectorILb0ElEEZNS1_24adjacent_difference_implIS3_Lb0ELb0EPlS7_ZN2at6native12_GLOBAL__N_124unique_dim_cuda_templateIjEESt5tupleIJNS8_6TensorESD_SD_EERKSD_lbbbEUlllE1_EE10hipError_tPvRmT2_T3_mT4_P12ihipStream_tbEUlT_E_NS1_11comp_targetILNS1_3genE9ELNS1_11target_archE1100ELNS1_3gpuE3ELNS1_3repE0EEENS1_30default_config_static_selectorELNS0_4arch9wavefront6targetE1EEEvT1_.num_named_barrier, 0
	.set _ZN7rocprim17ROCPRIM_400000_NS6detail17trampoline_kernelINS0_14default_configENS1_35adjacent_difference_config_selectorILb0ElEEZNS1_24adjacent_difference_implIS3_Lb0ELb0EPlS7_ZN2at6native12_GLOBAL__N_124unique_dim_cuda_templateIjEESt5tupleIJNS8_6TensorESD_SD_EERKSD_lbbbEUlllE1_EE10hipError_tPvRmT2_T3_mT4_P12ihipStream_tbEUlT_E_NS1_11comp_targetILNS1_3genE9ELNS1_11target_archE1100ELNS1_3gpuE3ELNS1_3repE0EEENS1_30default_config_static_selectorELNS0_4arch9wavefront6targetE1EEEvT1_.private_seg_size, 0
	.set _ZN7rocprim17ROCPRIM_400000_NS6detail17trampoline_kernelINS0_14default_configENS1_35adjacent_difference_config_selectorILb0ElEEZNS1_24adjacent_difference_implIS3_Lb0ELb0EPlS7_ZN2at6native12_GLOBAL__N_124unique_dim_cuda_templateIjEESt5tupleIJNS8_6TensorESD_SD_EERKSD_lbbbEUlllE1_EE10hipError_tPvRmT2_T3_mT4_P12ihipStream_tbEUlT_E_NS1_11comp_targetILNS1_3genE9ELNS1_11target_archE1100ELNS1_3gpuE3ELNS1_3repE0EEENS1_30default_config_static_selectorELNS0_4arch9wavefront6targetE1EEEvT1_.uses_vcc, 0
	.set _ZN7rocprim17ROCPRIM_400000_NS6detail17trampoline_kernelINS0_14default_configENS1_35adjacent_difference_config_selectorILb0ElEEZNS1_24adjacent_difference_implIS3_Lb0ELb0EPlS7_ZN2at6native12_GLOBAL__N_124unique_dim_cuda_templateIjEESt5tupleIJNS8_6TensorESD_SD_EERKSD_lbbbEUlllE1_EE10hipError_tPvRmT2_T3_mT4_P12ihipStream_tbEUlT_E_NS1_11comp_targetILNS1_3genE9ELNS1_11target_archE1100ELNS1_3gpuE3ELNS1_3repE0EEENS1_30default_config_static_selectorELNS0_4arch9wavefront6targetE1EEEvT1_.uses_flat_scratch, 0
	.set _ZN7rocprim17ROCPRIM_400000_NS6detail17trampoline_kernelINS0_14default_configENS1_35adjacent_difference_config_selectorILb0ElEEZNS1_24adjacent_difference_implIS3_Lb0ELb0EPlS7_ZN2at6native12_GLOBAL__N_124unique_dim_cuda_templateIjEESt5tupleIJNS8_6TensorESD_SD_EERKSD_lbbbEUlllE1_EE10hipError_tPvRmT2_T3_mT4_P12ihipStream_tbEUlT_E_NS1_11comp_targetILNS1_3genE9ELNS1_11target_archE1100ELNS1_3gpuE3ELNS1_3repE0EEENS1_30default_config_static_selectorELNS0_4arch9wavefront6targetE1EEEvT1_.has_dyn_sized_stack, 0
	.set _ZN7rocprim17ROCPRIM_400000_NS6detail17trampoline_kernelINS0_14default_configENS1_35adjacent_difference_config_selectorILb0ElEEZNS1_24adjacent_difference_implIS3_Lb0ELb0EPlS7_ZN2at6native12_GLOBAL__N_124unique_dim_cuda_templateIjEESt5tupleIJNS8_6TensorESD_SD_EERKSD_lbbbEUlllE1_EE10hipError_tPvRmT2_T3_mT4_P12ihipStream_tbEUlT_E_NS1_11comp_targetILNS1_3genE9ELNS1_11target_archE1100ELNS1_3gpuE3ELNS1_3repE0EEENS1_30default_config_static_selectorELNS0_4arch9wavefront6targetE1EEEvT1_.has_recursion, 0
	.set _ZN7rocprim17ROCPRIM_400000_NS6detail17trampoline_kernelINS0_14default_configENS1_35adjacent_difference_config_selectorILb0ElEEZNS1_24adjacent_difference_implIS3_Lb0ELb0EPlS7_ZN2at6native12_GLOBAL__N_124unique_dim_cuda_templateIjEESt5tupleIJNS8_6TensorESD_SD_EERKSD_lbbbEUlllE1_EE10hipError_tPvRmT2_T3_mT4_P12ihipStream_tbEUlT_E_NS1_11comp_targetILNS1_3genE9ELNS1_11target_archE1100ELNS1_3gpuE3ELNS1_3repE0EEENS1_30default_config_static_selectorELNS0_4arch9wavefront6targetE1EEEvT1_.has_indirect_call, 0
	.section	.AMDGPU.csdata,"",@progbits
; Kernel info:
; codeLenInByte = 0
; TotalNumSgprs: 6
; NumVgprs: 0
; NumAgprs: 0
; TotalNumVgprs: 0
; ScratchSize: 0
; MemoryBound: 0
; FloatMode: 240
; IeeeMode: 1
; LDSByteSize: 0 bytes/workgroup (compile time only)
; SGPRBlocks: 0
; VGPRBlocks: 0
; NumSGPRsForWavesPerEU: 6
; NumVGPRsForWavesPerEU: 1
; AccumOffset: 4
; Occupancy: 8
; WaveLimiterHint : 0
; COMPUTE_PGM_RSRC2:SCRATCH_EN: 0
; COMPUTE_PGM_RSRC2:USER_SGPR: 2
; COMPUTE_PGM_RSRC2:TRAP_HANDLER: 0
; COMPUTE_PGM_RSRC2:TGID_X_EN: 1
; COMPUTE_PGM_RSRC2:TGID_Y_EN: 0
; COMPUTE_PGM_RSRC2:TGID_Z_EN: 0
; COMPUTE_PGM_RSRC2:TIDIG_COMP_CNT: 0
; COMPUTE_PGM_RSRC3_GFX90A:ACCUM_OFFSET: 0
; COMPUTE_PGM_RSRC3_GFX90A:TG_SPLIT: 0
	.section	.text._ZN7rocprim17ROCPRIM_400000_NS6detail17trampoline_kernelINS0_14default_configENS1_35adjacent_difference_config_selectorILb0ElEEZNS1_24adjacent_difference_implIS3_Lb0ELb0EPlS7_ZN2at6native12_GLOBAL__N_124unique_dim_cuda_templateIjEESt5tupleIJNS8_6TensorESD_SD_EERKSD_lbbbEUlllE1_EE10hipError_tPvRmT2_T3_mT4_P12ihipStream_tbEUlT_E_NS1_11comp_targetILNS1_3genE8ELNS1_11target_archE1030ELNS1_3gpuE2ELNS1_3repE0EEENS1_30default_config_static_selectorELNS0_4arch9wavefront6targetE1EEEvT1_,"axG",@progbits,_ZN7rocprim17ROCPRIM_400000_NS6detail17trampoline_kernelINS0_14default_configENS1_35adjacent_difference_config_selectorILb0ElEEZNS1_24adjacent_difference_implIS3_Lb0ELb0EPlS7_ZN2at6native12_GLOBAL__N_124unique_dim_cuda_templateIjEESt5tupleIJNS8_6TensorESD_SD_EERKSD_lbbbEUlllE1_EE10hipError_tPvRmT2_T3_mT4_P12ihipStream_tbEUlT_E_NS1_11comp_targetILNS1_3genE8ELNS1_11target_archE1030ELNS1_3gpuE2ELNS1_3repE0EEENS1_30default_config_static_selectorELNS0_4arch9wavefront6targetE1EEEvT1_,comdat
	.globl	_ZN7rocprim17ROCPRIM_400000_NS6detail17trampoline_kernelINS0_14default_configENS1_35adjacent_difference_config_selectorILb0ElEEZNS1_24adjacent_difference_implIS3_Lb0ELb0EPlS7_ZN2at6native12_GLOBAL__N_124unique_dim_cuda_templateIjEESt5tupleIJNS8_6TensorESD_SD_EERKSD_lbbbEUlllE1_EE10hipError_tPvRmT2_T3_mT4_P12ihipStream_tbEUlT_E_NS1_11comp_targetILNS1_3genE8ELNS1_11target_archE1030ELNS1_3gpuE2ELNS1_3repE0EEENS1_30default_config_static_selectorELNS0_4arch9wavefront6targetE1EEEvT1_ ; -- Begin function _ZN7rocprim17ROCPRIM_400000_NS6detail17trampoline_kernelINS0_14default_configENS1_35adjacent_difference_config_selectorILb0ElEEZNS1_24adjacent_difference_implIS3_Lb0ELb0EPlS7_ZN2at6native12_GLOBAL__N_124unique_dim_cuda_templateIjEESt5tupleIJNS8_6TensorESD_SD_EERKSD_lbbbEUlllE1_EE10hipError_tPvRmT2_T3_mT4_P12ihipStream_tbEUlT_E_NS1_11comp_targetILNS1_3genE8ELNS1_11target_archE1030ELNS1_3gpuE2ELNS1_3repE0EEENS1_30default_config_static_selectorELNS0_4arch9wavefront6targetE1EEEvT1_
	.p2align	8
	.type	_ZN7rocprim17ROCPRIM_400000_NS6detail17trampoline_kernelINS0_14default_configENS1_35adjacent_difference_config_selectorILb0ElEEZNS1_24adjacent_difference_implIS3_Lb0ELb0EPlS7_ZN2at6native12_GLOBAL__N_124unique_dim_cuda_templateIjEESt5tupleIJNS8_6TensorESD_SD_EERKSD_lbbbEUlllE1_EE10hipError_tPvRmT2_T3_mT4_P12ihipStream_tbEUlT_E_NS1_11comp_targetILNS1_3genE8ELNS1_11target_archE1030ELNS1_3gpuE2ELNS1_3repE0EEENS1_30default_config_static_selectorELNS0_4arch9wavefront6targetE1EEEvT1_,@function
_ZN7rocprim17ROCPRIM_400000_NS6detail17trampoline_kernelINS0_14default_configENS1_35adjacent_difference_config_selectorILb0ElEEZNS1_24adjacent_difference_implIS3_Lb0ELb0EPlS7_ZN2at6native12_GLOBAL__N_124unique_dim_cuda_templateIjEESt5tupleIJNS8_6TensorESD_SD_EERKSD_lbbbEUlllE1_EE10hipError_tPvRmT2_T3_mT4_P12ihipStream_tbEUlT_E_NS1_11comp_targetILNS1_3genE8ELNS1_11target_archE1030ELNS1_3gpuE2ELNS1_3repE0EEENS1_30default_config_static_selectorELNS0_4arch9wavefront6targetE1EEEvT1_: ; @_ZN7rocprim17ROCPRIM_400000_NS6detail17trampoline_kernelINS0_14default_configENS1_35adjacent_difference_config_selectorILb0ElEEZNS1_24adjacent_difference_implIS3_Lb0ELb0EPlS7_ZN2at6native12_GLOBAL__N_124unique_dim_cuda_templateIjEESt5tupleIJNS8_6TensorESD_SD_EERKSD_lbbbEUlllE1_EE10hipError_tPvRmT2_T3_mT4_P12ihipStream_tbEUlT_E_NS1_11comp_targetILNS1_3genE8ELNS1_11target_archE1030ELNS1_3gpuE2ELNS1_3repE0EEENS1_30default_config_static_selectorELNS0_4arch9wavefront6targetE1EEEvT1_
; %bb.0:
	.section	.rodata,"a",@progbits
	.p2align	6, 0x0
	.amdhsa_kernel _ZN7rocprim17ROCPRIM_400000_NS6detail17trampoline_kernelINS0_14default_configENS1_35adjacent_difference_config_selectorILb0ElEEZNS1_24adjacent_difference_implIS3_Lb0ELb0EPlS7_ZN2at6native12_GLOBAL__N_124unique_dim_cuda_templateIjEESt5tupleIJNS8_6TensorESD_SD_EERKSD_lbbbEUlllE1_EE10hipError_tPvRmT2_T3_mT4_P12ihipStream_tbEUlT_E_NS1_11comp_targetILNS1_3genE8ELNS1_11target_archE1030ELNS1_3gpuE2ELNS1_3repE0EEENS1_30default_config_static_selectorELNS0_4arch9wavefront6targetE1EEEvT1_
		.amdhsa_group_segment_fixed_size 0
		.amdhsa_private_segment_fixed_size 0
		.amdhsa_kernarg_size 64
		.amdhsa_user_sgpr_count 2
		.amdhsa_user_sgpr_dispatch_ptr 0
		.amdhsa_user_sgpr_queue_ptr 0
		.amdhsa_user_sgpr_kernarg_segment_ptr 1
		.amdhsa_user_sgpr_dispatch_id 0
		.amdhsa_user_sgpr_kernarg_preload_length 0
		.amdhsa_user_sgpr_kernarg_preload_offset 0
		.amdhsa_user_sgpr_private_segment_size 0
		.amdhsa_uses_dynamic_stack 0
		.amdhsa_enable_private_segment 0
		.amdhsa_system_sgpr_workgroup_id_x 1
		.amdhsa_system_sgpr_workgroup_id_y 0
		.amdhsa_system_sgpr_workgroup_id_z 0
		.amdhsa_system_sgpr_workgroup_info 0
		.amdhsa_system_vgpr_workitem_id 0
		.amdhsa_next_free_vgpr 1
		.amdhsa_next_free_sgpr 0
		.amdhsa_accum_offset 4
		.amdhsa_reserve_vcc 0
		.amdhsa_float_round_mode_32 0
		.amdhsa_float_round_mode_16_64 0
		.amdhsa_float_denorm_mode_32 3
		.amdhsa_float_denorm_mode_16_64 3
		.amdhsa_dx10_clamp 1
		.amdhsa_ieee_mode 1
		.amdhsa_fp16_overflow 0
		.amdhsa_tg_split 0
		.amdhsa_exception_fp_ieee_invalid_op 0
		.amdhsa_exception_fp_denorm_src 0
		.amdhsa_exception_fp_ieee_div_zero 0
		.amdhsa_exception_fp_ieee_overflow 0
		.amdhsa_exception_fp_ieee_underflow 0
		.amdhsa_exception_fp_ieee_inexact 0
		.amdhsa_exception_int_div_zero 0
	.end_amdhsa_kernel
	.section	.text._ZN7rocprim17ROCPRIM_400000_NS6detail17trampoline_kernelINS0_14default_configENS1_35adjacent_difference_config_selectorILb0ElEEZNS1_24adjacent_difference_implIS3_Lb0ELb0EPlS7_ZN2at6native12_GLOBAL__N_124unique_dim_cuda_templateIjEESt5tupleIJNS8_6TensorESD_SD_EERKSD_lbbbEUlllE1_EE10hipError_tPvRmT2_T3_mT4_P12ihipStream_tbEUlT_E_NS1_11comp_targetILNS1_3genE8ELNS1_11target_archE1030ELNS1_3gpuE2ELNS1_3repE0EEENS1_30default_config_static_selectorELNS0_4arch9wavefront6targetE1EEEvT1_,"axG",@progbits,_ZN7rocprim17ROCPRIM_400000_NS6detail17trampoline_kernelINS0_14default_configENS1_35adjacent_difference_config_selectorILb0ElEEZNS1_24adjacent_difference_implIS3_Lb0ELb0EPlS7_ZN2at6native12_GLOBAL__N_124unique_dim_cuda_templateIjEESt5tupleIJNS8_6TensorESD_SD_EERKSD_lbbbEUlllE1_EE10hipError_tPvRmT2_T3_mT4_P12ihipStream_tbEUlT_E_NS1_11comp_targetILNS1_3genE8ELNS1_11target_archE1030ELNS1_3gpuE2ELNS1_3repE0EEENS1_30default_config_static_selectorELNS0_4arch9wavefront6targetE1EEEvT1_,comdat
.Lfunc_end1523:
	.size	_ZN7rocprim17ROCPRIM_400000_NS6detail17trampoline_kernelINS0_14default_configENS1_35adjacent_difference_config_selectorILb0ElEEZNS1_24adjacent_difference_implIS3_Lb0ELb0EPlS7_ZN2at6native12_GLOBAL__N_124unique_dim_cuda_templateIjEESt5tupleIJNS8_6TensorESD_SD_EERKSD_lbbbEUlllE1_EE10hipError_tPvRmT2_T3_mT4_P12ihipStream_tbEUlT_E_NS1_11comp_targetILNS1_3genE8ELNS1_11target_archE1030ELNS1_3gpuE2ELNS1_3repE0EEENS1_30default_config_static_selectorELNS0_4arch9wavefront6targetE1EEEvT1_, .Lfunc_end1523-_ZN7rocprim17ROCPRIM_400000_NS6detail17trampoline_kernelINS0_14default_configENS1_35adjacent_difference_config_selectorILb0ElEEZNS1_24adjacent_difference_implIS3_Lb0ELb0EPlS7_ZN2at6native12_GLOBAL__N_124unique_dim_cuda_templateIjEESt5tupleIJNS8_6TensorESD_SD_EERKSD_lbbbEUlllE1_EE10hipError_tPvRmT2_T3_mT4_P12ihipStream_tbEUlT_E_NS1_11comp_targetILNS1_3genE8ELNS1_11target_archE1030ELNS1_3gpuE2ELNS1_3repE0EEENS1_30default_config_static_selectorELNS0_4arch9wavefront6targetE1EEEvT1_
                                        ; -- End function
	.set _ZN7rocprim17ROCPRIM_400000_NS6detail17trampoline_kernelINS0_14default_configENS1_35adjacent_difference_config_selectorILb0ElEEZNS1_24adjacent_difference_implIS3_Lb0ELb0EPlS7_ZN2at6native12_GLOBAL__N_124unique_dim_cuda_templateIjEESt5tupleIJNS8_6TensorESD_SD_EERKSD_lbbbEUlllE1_EE10hipError_tPvRmT2_T3_mT4_P12ihipStream_tbEUlT_E_NS1_11comp_targetILNS1_3genE8ELNS1_11target_archE1030ELNS1_3gpuE2ELNS1_3repE0EEENS1_30default_config_static_selectorELNS0_4arch9wavefront6targetE1EEEvT1_.num_vgpr, 0
	.set _ZN7rocprim17ROCPRIM_400000_NS6detail17trampoline_kernelINS0_14default_configENS1_35adjacent_difference_config_selectorILb0ElEEZNS1_24adjacent_difference_implIS3_Lb0ELb0EPlS7_ZN2at6native12_GLOBAL__N_124unique_dim_cuda_templateIjEESt5tupleIJNS8_6TensorESD_SD_EERKSD_lbbbEUlllE1_EE10hipError_tPvRmT2_T3_mT4_P12ihipStream_tbEUlT_E_NS1_11comp_targetILNS1_3genE8ELNS1_11target_archE1030ELNS1_3gpuE2ELNS1_3repE0EEENS1_30default_config_static_selectorELNS0_4arch9wavefront6targetE1EEEvT1_.num_agpr, 0
	.set _ZN7rocprim17ROCPRIM_400000_NS6detail17trampoline_kernelINS0_14default_configENS1_35adjacent_difference_config_selectorILb0ElEEZNS1_24adjacent_difference_implIS3_Lb0ELb0EPlS7_ZN2at6native12_GLOBAL__N_124unique_dim_cuda_templateIjEESt5tupleIJNS8_6TensorESD_SD_EERKSD_lbbbEUlllE1_EE10hipError_tPvRmT2_T3_mT4_P12ihipStream_tbEUlT_E_NS1_11comp_targetILNS1_3genE8ELNS1_11target_archE1030ELNS1_3gpuE2ELNS1_3repE0EEENS1_30default_config_static_selectorELNS0_4arch9wavefront6targetE1EEEvT1_.numbered_sgpr, 0
	.set _ZN7rocprim17ROCPRIM_400000_NS6detail17trampoline_kernelINS0_14default_configENS1_35adjacent_difference_config_selectorILb0ElEEZNS1_24adjacent_difference_implIS3_Lb0ELb0EPlS7_ZN2at6native12_GLOBAL__N_124unique_dim_cuda_templateIjEESt5tupleIJNS8_6TensorESD_SD_EERKSD_lbbbEUlllE1_EE10hipError_tPvRmT2_T3_mT4_P12ihipStream_tbEUlT_E_NS1_11comp_targetILNS1_3genE8ELNS1_11target_archE1030ELNS1_3gpuE2ELNS1_3repE0EEENS1_30default_config_static_selectorELNS0_4arch9wavefront6targetE1EEEvT1_.num_named_barrier, 0
	.set _ZN7rocprim17ROCPRIM_400000_NS6detail17trampoline_kernelINS0_14default_configENS1_35adjacent_difference_config_selectorILb0ElEEZNS1_24adjacent_difference_implIS3_Lb0ELb0EPlS7_ZN2at6native12_GLOBAL__N_124unique_dim_cuda_templateIjEESt5tupleIJNS8_6TensorESD_SD_EERKSD_lbbbEUlllE1_EE10hipError_tPvRmT2_T3_mT4_P12ihipStream_tbEUlT_E_NS1_11comp_targetILNS1_3genE8ELNS1_11target_archE1030ELNS1_3gpuE2ELNS1_3repE0EEENS1_30default_config_static_selectorELNS0_4arch9wavefront6targetE1EEEvT1_.private_seg_size, 0
	.set _ZN7rocprim17ROCPRIM_400000_NS6detail17trampoline_kernelINS0_14default_configENS1_35adjacent_difference_config_selectorILb0ElEEZNS1_24adjacent_difference_implIS3_Lb0ELb0EPlS7_ZN2at6native12_GLOBAL__N_124unique_dim_cuda_templateIjEESt5tupleIJNS8_6TensorESD_SD_EERKSD_lbbbEUlllE1_EE10hipError_tPvRmT2_T3_mT4_P12ihipStream_tbEUlT_E_NS1_11comp_targetILNS1_3genE8ELNS1_11target_archE1030ELNS1_3gpuE2ELNS1_3repE0EEENS1_30default_config_static_selectorELNS0_4arch9wavefront6targetE1EEEvT1_.uses_vcc, 0
	.set _ZN7rocprim17ROCPRIM_400000_NS6detail17trampoline_kernelINS0_14default_configENS1_35adjacent_difference_config_selectorILb0ElEEZNS1_24adjacent_difference_implIS3_Lb0ELb0EPlS7_ZN2at6native12_GLOBAL__N_124unique_dim_cuda_templateIjEESt5tupleIJNS8_6TensorESD_SD_EERKSD_lbbbEUlllE1_EE10hipError_tPvRmT2_T3_mT4_P12ihipStream_tbEUlT_E_NS1_11comp_targetILNS1_3genE8ELNS1_11target_archE1030ELNS1_3gpuE2ELNS1_3repE0EEENS1_30default_config_static_selectorELNS0_4arch9wavefront6targetE1EEEvT1_.uses_flat_scratch, 0
	.set _ZN7rocprim17ROCPRIM_400000_NS6detail17trampoline_kernelINS0_14default_configENS1_35adjacent_difference_config_selectorILb0ElEEZNS1_24adjacent_difference_implIS3_Lb0ELb0EPlS7_ZN2at6native12_GLOBAL__N_124unique_dim_cuda_templateIjEESt5tupleIJNS8_6TensorESD_SD_EERKSD_lbbbEUlllE1_EE10hipError_tPvRmT2_T3_mT4_P12ihipStream_tbEUlT_E_NS1_11comp_targetILNS1_3genE8ELNS1_11target_archE1030ELNS1_3gpuE2ELNS1_3repE0EEENS1_30default_config_static_selectorELNS0_4arch9wavefront6targetE1EEEvT1_.has_dyn_sized_stack, 0
	.set _ZN7rocprim17ROCPRIM_400000_NS6detail17trampoline_kernelINS0_14default_configENS1_35adjacent_difference_config_selectorILb0ElEEZNS1_24adjacent_difference_implIS3_Lb0ELb0EPlS7_ZN2at6native12_GLOBAL__N_124unique_dim_cuda_templateIjEESt5tupleIJNS8_6TensorESD_SD_EERKSD_lbbbEUlllE1_EE10hipError_tPvRmT2_T3_mT4_P12ihipStream_tbEUlT_E_NS1_11comp_targetILNS1_3genE8ELNS1_11target_archE1030ELNS1_3gpuE2ELNS1_3repE0EEENS1_30default_config_static_selectorELNS0_4arch9wavefront6targetE1EEEvT1_.has_recursion, 0
	.set _ZN7rocprim17ROCPRIM_400000_NS6detail17trampoline_kernelINS0_14default_configENS1_35adjacent_difference_config_selectorILb0ElEEZNS1_24adjacent_difference_implIS3_Lb0ELb0EPlS7_ZN2at6native12_GLOBAL__N_124unique_dim_cuda_templateIjEESt5tupleIJNS8_6TensorESD_SD_EERKSD_lbbbEUlllE1_EE10hipError_tPvRmT2_T3_mT4_P12ihipStream_tbEUlT_E_NS1_11comp_targetILNS1_3genE8ELNS1_11target_archE1030ELNS1_3gpuE2ELNS1_3repE0EEENS1_30default_config_static_selectorELNS0_4arch9wavefront6targetE1EEEvT1_.has_indirect_call, 0
	.section	.AMDGPU.csdata,"",@progbits
; Kernel info:
; codeLenInByte = 0
; TotalNumSgprs: 6
; NumVgprs: 0
; NumAgprs: 0
; TotalNumVgprs: 0
; ScratchSize: 0
; MemoryBound: 0
; FloatMode: 240
; IeeeMode: 1
; LDSByteSize: 0 bytes/workgroup (compile time only)
; SGPRBlocks: 0
; VGPRBlocks: 0
; NumSGPRsForWavesPerEU: 6
; NumVGPRsForWavesPerEU: 1
; AccumOffset: 4
; Occupancy: 8
; WaveLimiterHint : 0
; COMPUTE_PGM_RSRC2:SCRATCH_EN: 0
; COMPUTE_PGM_RSRC2:USER_SGPR: 2
; COMPUTE_PGM_RSRC2:TRAP_HANDLER: 0
; COMPUTE_PGM_RSRC2:TGID_X_EN: 1
; COMPUTE_PGM_RSRC2:TGID_Y_EN: 0
; COMPUTE_PGM_RSRC2:TGID_Z_EN: 0
; COMPUTE_PGM_RSRC2:TIDIG_COMP_CNT: 0
; COMPUTE_PGM_RSRC3_GFX90A:ACCUM_OFFSET: 0
; COMPUTE_PGM_RSRC3_GFX90A:TG_SPLIT: 0
	.section	.text._ZN7rocprim17ROCPRIM_400000_NS6detail17trampoline_kernelINS0_14default_configENS1_25transform_config_selectorIlLb0EEEZNS1_14transform_implILb0ES3_S5_NS0_18transform_iteratorINS0_17counting_iteratorImlEEZNS1_24adjacent_difference_implIS3_Lb1ELb0EPlSB_ZN2at6native12_GLOBAL__N_124unique_dim_cuda_templateIjEESt5tupleIJNSC_6TensorESH_SH_EERKSH_lbbbEUlllE1_EE10hipError_tPvRmT2_T3_mT4_P12ihipStream_tbEUlmE_lEESB_NS0_8identityIvEEEESM_SP_SQ_mSR_ST_bEUlT_E_NS1_11comp_targetILNS1_3genE0ELNS1_11target_archE4294967295ELNS1_3gpuE0ELNS1_3repE0EEENS1_30default_config_static_selectorELNS0_4arch9wavefront6targetE1EEEvT1_,"axG",@progbits,_ZN7rocprim17ROCPRIM_400000_NS6detail17trampoline_kernelINS0_14default_configENS1_25transform_config_selectorIlLb0EEEZNS1_14transform_implILb0ES3_S5_NS0_18transform_iteratorINS0_17counting_iteratorImlEEZNS1_24adjacent_difference_implIS3_Lb1ELb0EPlSB_ZN2at6native12_GLOBAL__N_124unique_dim_cuda_templateIjEESt5tupleIJNSC_6TensorESH_SH_EERKSH_lbbbEUlllE1_EE10hipError_tPvRmT2_T3_mT4_P12ihipStream_tbEUlmE_lEESB_NS0_8identityIvEEEESM_SP_SQ_mSR_ST_bEUlT_E_NS1_11comp_targetILNS1_3genE0ELNS1_11target_archE4294967295ELNS1_3gpuE0ELNS1_3repE0EEENS1_30default_config_static_selectorELNS0_4arch9wavefront6targetE1EEEvT1_,comdat
	.globl	_ZN7rocprim17ROCPRIM_400000_NS6detail17trampoline_kernelINS0_14default_configENS1_25transform_config_selectorIlLb0EEEZNS1_14transform_implILb0ES3_S5_NS0_18transform_iteratorINS0_17counting_iteratorImlEEZNS1_24adjacent_difference_implIS3_Lb1ELb0EPlSB_ZN2at6native12_GLOBAL__N_124unique_dim_cuda_templateIjEESt5tupleIJNSC_6TensorESH_SH_EERKSH_lbbbEUlllE1_EE10hipError_tPvRmT2_T3_mT4_P12ihipStream_tbEUlmE_lEESB_NS0_8identityIvEEEESM_SP_SQ_mSR_ST_bEUlT_E_NS1_11comp_targetILNS1_3genE0ELNS1_11target_archE4294967295ELNS1_3gpuE0ELNS1_3repE0EEENS1_30default_config_static_selectorELNS0_4arch9wavefront6targetE1EEEvT1_ ; -- Begin function _ZN7rocprim17ROCPRIM_400000_NS6detail17trampoline_kernelINS0_14default_configENS1_25transform_config_selectorIlLb0EEEZNS1_14transform_implILb0ES3_S5_NS0_18transform_iteratorINS0_17counting_iteratorImlEEZNS1_24adjacent_difference_implIS3_Lb1ELb0EPlSB_ZN2at6native12_GLOBAL__N_124unique_dim_cuda_templateIjEESt5tupleIJNSC_6TensorESH_SH_EERKSH_lbbbEUlllE1_EE10hipError_tPvRmT2_T3_mT4_P12ihipStream_tbEUlmE_lEESB_NS0_8identityIvEEEESM_SP_SQ_mSR_ST_bEUlT_E_NS1_11comp_targetILNS1_3genE0ELNS1_11target_archE4294967295ELNS1_3gpuE0ELNS1_3repE0EEENS1_30default_config_static_selectorELNS0_4arch9wavefront6targetE1EEEvT1_
	.p2align	8
	.type	_ZN7rocprim17ROCPRIM_400000_NS6detail17trampoline_kernelINS0_14default_configENS1_25transform_config_selectorIlLb0EEEZNS1_14transform_implILb0ES3_S5_NS0_18transform_iteratorINS0_17counting_iteratorImlEEZNS1_24adjacent_difference_implIS3_Lb1ELb0EPlSB_ZN2at6native12_GLOBAL__N_124unique_dim_cuda_templateIjEESt5tupleIJNSC_6TensorESH_SH_EERKSH_lbbbEUlllE1_EE10hipError_tPvRmT2_T3_mT4_P12ihipStream_tbEUlmE_lEESB_NS0_8identityIvEEEESM_SP_SQ_mSR_ST_bEUlT_E_NS1_11comp_targetILNS1_3genE0ELNS1_11target_archE4294967295ELNS1_3gpuE0ELNS1_3repE0EEENS1_30default_config_static_selectorELNS0_4arch9wavefront6targetE1EEEvT1_,@function
_ZN7rocprim17ROCPRIM_400000_NS6detail17trampoline_kernelINS0_14default_configENS1_25transform_config_selectorIlLb0EEEZNS1_14transform_implILb0ES3_S5_NS0_18transform_iteratorINS0_17counting_iteratorImlEEZNS1_24adjacent_difference_implIS3_Lb1ELb0EPlSB_ZN2at6native12_GLOBAL__N_124unique_dim_cuda_templateIjEESt5tupleIJNSC_6TensorESH_SH_EERKSH_lbbbEUlllE1_EE10hipError_tPvRmT2_T3_mT4_P12ihipStream_tbEUlmE_lEESB_NS0_8identityIvEEEESM_SP_SQ_mSR_ST_bEUlT_E_NS1_11comp_targetILNS1_3genE0ELNS1_11target_archE4294967295ELNS1_3gpuE0ELNS1_3repE0EEENS1_30default_config_static_selectorELNS0_4arch9wavefront6targetE1EEEvT1_: ; @_ZN7rocprim17ROCPRIM_400000_NS6detail17trampoline_kernelINS0_14default_configENS1_25transform_config_selectorIlLb0EEEZNS1_14transform_implILb0ES3_S5_NS0_18transform_iteratorINS0_17counting_iteratorImlEEZNS1_24adjacent_difference_implIS3_Lb1ELb0EPlSB_ZN2at6native12_GLOBAL__N_124unique_dim_cuda_templateIjEESt5tupleIJNSC_6TensorESH_SH_EERKSH_lbbbEUlllE1_EE10hipError_tPvRmT2_T3_mT4_P12ihipStream_tbEUlmE_lEESB_NS0_8identityIvEEEESM_SP_SQ_mSR_ST_bEUlT_E_NS1_11comp_targetILNS1_3genE0ELNS1_11target_archE4294967295ELNS1_3gpuE0ELNS1_3repE0EEENS1_30default_config_static_selectorELNS0_4arch9wavefront6targetE1EEEvT1_
; %bb.0:
	s_load_dword s3, s[0:1], 0x38
	s_load_dword s5, s[0:1], 0x20
	s_lshl_b32 s4, s2, 7
	s_waitcnt lgkmcnt(0)
	s_add_i32 s3, s3, -1
	s_cmp_lg_u32 s2, s3
	s_cselect_b64 s[2:3], -1, 0
	s_sub_i32 s5, s5, s4
	v_cmp_gt_u32_e32 vcc, s5, v0
	s_or_b64 s[2:3], s[2:3], vcc
	s_and_saveexec_b64 s[6:7], s[2:3]
	s_cbranch_execz .LBB1524_2
; %bb.1:
	s_load_dwordx2 s[2:3], s[0:1], 0x18
	s_load_dwordx4 s[8:11], s[0:1], 0x0
	s_load_dwordx2 s[6:7], s[0:1], 0x28
	s_load_dword s5, s[0:1], 0x10
	v_mov_b32_e32 v1, 0
	s_waitcnt lgkmcnt(0)
	s_lshl_b64 s[0:1], s[2:3], 3
	v_mov_b32_e32 v2, s10
	s_add_u32 s6, s6, s0
	s_addc_u32 s7, s7, s1
	s_add_u32 s0, s8, s2
	s_addc_u32 s1, s9, s3
	s_add_u32 s0, s0, s4
	s_addc_u32 s1, s1, 0
	v_lshl_add_u64 v[4:5], s[0:1], 0, v[0:1]
	v_mad_u64_u32 v[6:7], s[0:1], v4, s5, 0
	v_mov_b32_e32 v4, v7
	v_mad_u64_u32 v[4:5], s[0:1], v5, s5, v[4:5]
	v_mov_b32_e32 v3, s11
	v_mov_b32_e32 v7, v4
	v_lshl_add_u64 v[2:3], v[6:7], 3, v[2:3]
	global_load_dwordx2 v[2:3], v[2:3], off
	s_mov_b32 s5, 0
	s_lshl_b64 s[0:1], s[4:5], 3
	s_add_u32 s0, s6, s0
	s_addc_u32 s1, s7, s1
	v_lshl_add_u64 v[0:1], v[0:1], 3, s[0:1]
	s_waitcnt vmcnt(0)
	global_store_dwordx2 v[0:1], v[2:3], off
.LBB1524_2:
	s_endpgm
	.section	.rodata,"a",@progbits
	.p2align	6, 0x0
	.amdhsa_kernel _ZN7rocprim17ROCPRIM_400000_NS6detail17trampoline_kernelINS0_14default_configENS1_25transform_config_selectorIlLb0EEEZNS1_14transform_implILb0ES3_S5_NS0_18transform_iteratorINS0_17counting_iteratorImlEEZNS1_24adjacent_difference_implIS3_Lb1ELb0EPlSB_ZN2at6native12_GLOBAL__N_124unique_dim_cuda_templateIjEESt5tupleIJNSC_6TensorESH_SH_EERKSH_lbbbEUlllE1_EE10hipError_tPvRmT2_T3_mT4_P12ihipStream_tbEUlmE_lEESB_NS0_8identityIvEEEESM_SP_SQ_mSR_ST_bEUlT_E_NS1_11comp_targetILNS1_3genE0ELNS1_11target_archE4294967295ELNS1_3gpuE0ELNS1_3repE0EEENS1_30default_config_static_selectorELNS0_4arch9wavefront6targetE1EEEvT1_
		.amdhsa_group_segment_fixed_size 0
		.amdhsa_private_segment_fixed_size 0
		.amdhsa_kernarg_size 312
		.amdhsa_user_sgpr_count 2
		.amdhsa_user_sgpr_dispatch_ptr 0
		.amdhsa_user_sgpr_queue_ptr 0
		.amdhsa_user_sgpr_kernarg_segment_ptr 1
		.amdhsa_user_sgpr_dispatch_id 0
		.amdhsa_user_sgpr_kernarg_preload_length 0
		.amdhsa_user_sgpr_kernarg_preload_offset 0
		.amdhsa_user_sgpr_private_segment_size 0
		.amdhsa_uses_dynamic_stack 0
		.amdhsa_enable_private_segment 0
		.amdhsa_system_sgpr_workgroup_id_x 1
		.amdhsa_system_sgpr_workgroup_id_y 0
		.amdhsa_system_sgpr_workgroup_id_z 0
		.amdhsa_system_sgpr_workgroup_info 0
		.amdhsa_system_vgpr_workitem_id 0
		.amdhsa_next_free_vgpr 8
		.amdhsa_next_free_sgpr 12
		.amdhsa_accum_offset 8
		.amdhsa_reserve_vcc 1
		.amdhsa_float_round_mode_32 0
		.amdhsa_float_round_mode_16_64 0
		.amdhsa_float_denorm_mode_32 3
		.amdhsa_float_denorm_mode_16_64 3
		.amdhsa_dx10_clamp 1
		.amdhsa_ieee_mode 1
		.amdhsa_fp16_overflow 0
		.amdhsa_tg_split 0
		.amdhsa_exception_fp_ieee_invalid_op 0
		.amdhsa_exception_fp_denorm_src 0
		.amdhsa_exception_fp_ieee_div_zero 0
		.amdhsa_exception_fp_ieee_overflow 0
		.amdhsa_exception_fp_ieee_underflow 0
		.amdhsa_exception_fp_ieee_inexact 0
		.amdhsa_exception_int_div_zero 0
	.end_amdhsa_kernel
	.section	.text._ZN7rocprim17ROCPRIM_400000_NS6detail17trampoline_kernelINS0_14default_configENS1_25transform_config_selectorIlLb0EEEZNS1_14transform_implILb0ES3_S5_NS0_18transform_iteratorINS0_17counting_iteratorImlEEZNS1_24adjacent_difference_implIS3_Lb1ELb0EPlSB_ZN2at6native12_GLOBAL__N_124unique_dim_cuda_templateIjEESt5tupleIJNSC_6TensorESH_SH_EERKSH_lbbbEUlllE1_EE10hipError_tPvRmT2_T3_mT4_P12ihipStream_tbEUlmE_lEESB_NS0_8identityIvEEEESM_SP_SQ_mSR_ST_bEUlT_E_NS1_11comp_targetILNS1_3genE0ELNS1_11target_archE4294967295ELNS1_3gpuE0ELNS1_3repE0EEENS1_30default_config_static_selectorELNS0_4arch9wavefront6targetE1EEEvT1_,"axG",@progbits,_ZN7rocprim17ROCPRIM_400000_NS6detail17trampoline_kernelINS0_14default_configENS1_25transform_config_selectorIlLb0EEEZNS1_14transform_implILb0ES3_S5_NS0_18transform_iteratorINS0_17counting_iteratorImlEEZNS1_24adjacent_difference_implIS3_Lb1ELb0EPlSB_ZN2at6native12_GLOBAL__N_124unique_dim_cuda_templateIjEESt5tupleIJNSC_6TensorESH_SH_EERKSH_lbbbEUlllE1_EE10hipError_tPvRmT2_T3_mT4_P12ihipStream_tbEUlmE_lEESB_NS0_8identityIvEEEESM_SP_SQ_mSR_ST_bEUlT_E_NS1_11comp_targetILNS1_3genE0ELNS1_11target_archE4294967295ELNS1_3gpuE0ELNS1_3repE0EEENS1_30default_config_static_selectorELNS0_4arch9wavefront6targetE1EEEvT1_,comdat
.Lfunc_end1524:
	.size	_ZN7rocprim17ROCPRIM_400000_NS6detail17trampoline_kernelINS0_14default_configENS1_25transform_config_selectorIlLb0EEEZNS1_14transform_implILb0ES3_S5_NS0_18transform_iteratorINS0_17counting_iteratorImlEEZNS1_24adjacent_difference_implIS3_Lb1ELb0EPlSB_ZN2at6native12_GLOBAL__N_124unique_dim_cuda_templateIjEESt5tupleIJNSC_6TensorESH_SH_EERKSH_lbbbEUlllE1_EE10hipError_tPvRmT2_T3_mT4_P12ihipStream_tbEUlmE_lEESB_NS0_8identityIvEEEESM_SP_SQ_mSR_ST_bEUlT_E_NS1_11comp_targetILNS1_3genE0ELNS1_11target_archE4294967295ELNS1_3gpuE0ELNS1_3repE0EEENS1_30default_config_static_selectorELNS0_4arch9wavefront6targetE1EEEvT1_, .Lfunc_end1524-_ZN7rocprim17ROCPRIM_400000_NS6detail17trampoline_kernelINS0_14default_configENS1_25transform_config_selectorIlLb0EEEZNS1_14transform_implILb0ES3_S5_NS0_18transform_iteratorINS0_17counting_iteratorImlEEZNS1_24adjacent_difference_implIS3_Lb1ELb0EPlSB_ZN2at6native12_GLOBAL__N_124unique_dim_cuda_templateIjEESt5tupleIJNSC_6TensorESH_SH_EERKSH_lbbbEUlllE1_EE10hipError_tPvRmT2_T3_mT4_P12ihipStream_tbEUlmE_lEESB_NS0_8identityIvEEEESM_SP_SQ_mSR_ST_bEUlT_E_NS1_11comp_targetILNS1_3genE0ELNS1_11target_archE4294967295ELNS1_3gpuE0ELNS1_3repE0EEENS1_30default_config_static_selectorELNS0_4arch9wavefront6targetE1EEEvT1_
                                        ; -- End function
	.set _ZN7rocprim17ROCPRIM_400000_NS6detail17trampoline_kernelINS0_14default_configENS1_25transform_config_selectorIlLb0EEEZNS1_14transform_implILb0ES3_S5_NS0_18transform_iteratorINS0_17counting_iteratorImlEEZNS1_24adjacent_difference_implIS3_Lb1ELb0EPlSB_ZN2at6native12_GLOBAL__N_124unique_dim_cuda_templateIjEESt5tupleIJNSC_6TensorESH_SH_EERKSH_lbbbEUlllE1_EE10hipError_tPvRmT2_T3_mT4_P12ihipStream_tbEUlmE_lEESB_NS0_8identityIvEEEESM_SP_SQ_mSR_ST_bEUlT_E_NS1_11comp_targetILNS1_3genE0ELNS1_11target_archE4294967295ELNS1_3gpuE0ELNS1_3repE0EEENS1_30default_config_static_selectorELNS0_4arch9wavefront6targetE1EEEvT1_.num_vgpr, 8
	.set _ZN7rocprim17ROCPRIM_400000_NS6detail17trampoline_kernelINS0_14default_configENS1_25transform_config_selectorIlLb0EEEZNS1_14transform_implILb0ES3_S5_NS0_18transform_iteratorINS0_17counting_iteratorImlEEZNS1_24adjacent_difference_implIS3_Lb1ELb0EPlSB_ZN2at6native12_GLOBAL__N_124unique_dim_cuda_templateIjEESt5tupleIJNSC_6TensorESH_SH_EERKSH_lbbbEUlllE1_EE10hipError_tPvRmT2_T3_mT4_P12ihipStream_tbEUlmE_lEESB_NS0_8identityIvEEEESM_SP_SQ_mSR_ST_bEUlT_E_NS1_11comp_targetILNS1_3genE0ELNS1_11target_archE4294967295ELNS1_3gpuE0ELNS1_3repE0EEENS1_30default_config_static_selectorELNS0_4arch9wavefront6targetE1EEEvT1_.num_agpr, 0
	.set _ZN7rocprim17ROCPRIM_400000_NS6detail17trampoline_kernelINS0_14default_configENS1_25transform_config_selectorIlLb0EEEZNS1_14transform_implILb0ES3_S5_NS0_18transform_iteratorINS0_17counting_iteratorImlEEZNS1_24adjacent_difference_implIS3_Lb1ELb0EPlSB_ZN2at6native12_GLOBAL__N_124unique_dim_cuda_templateIjEESt5tupleIJNSC_6TensorESH_SH_EERKSH_lbbbEUlllE1_EE10hipError_tPvRmT2_T3_mT4_P12ihipStream_tbEUlmE_lEESB_NS0_8identityIvEEEESM_SP_SQ_mSR_ST_bEUlT_E_NS1_11comp_targetILNS1_3genE0ELNS1_11target_archE4294967295ELNS1_3gpuE0ELNS1_3repE0EEENS1_30default_config_static_selectorELNS0_4arch9wavefront6targetE1EEEvT1_.numbered_sgpr, 12
	.set _ZN7rocprim17ROCPRIM_400000_NS6detail17trampoline_kernelINS0_14default_configENS1_25transform_config_selectorIlLb0EEEZNS1_14transform_implILb0ES3_S5_NS0_18transform_iteratorINS0_17counting_iteratorImlEEZNS1_24adjacent_difference_implIS3_Lb1ELb0EPlSB_ZN2at6native12_GLOBAL__N_124unique_dim_cuda_templateIjEESt5tupleIJNSC_6TensorESH_SH_EERKSH_lbbbEUlllE1_EE10hipError_tPvRmT2_T3_mT4_P12ihipStream_tbEUlmE_lEESB_NS0_8identityIvEEEESM_SP_SQ_mSR_ST_bEUlT_E_NS1_11comp_targetILNS1_3genE0ELNS1_11target_archE4294967295ELNS1_3gpuE0ELNS1_3repE0EEENS1_30default_config_static_selectorELNS0_4arch9wavefront6targetE1EEEvT1_.num_named_barrier, 0
	.set _ZN7rocprim17ROCPRIM_400000_NS6detail17trampoline_kernelINS0_14default_configENS1_25transform_config_selectorIlLb0EEEZNS1_14transform_implILb0ES3_S5_NS0_18transform_iteratorINS0_17counting_iteratorImlEEZNS1_24adjacent_difference_implIS3_Lb1ELb0EPlSB_ZN2at6native12_GLOBAL__N_124unique_dim_cuda_templateIjEESt5tupleIJNSC_6TensorESH_SH_EERKSH_lbbbEUlllE1_EE10hipError_tPvRmT2_T3_mT4_P12ihipStream_tbEUlmE_lEESB_NS0_8identityIvEEEESM_SP_SQ_mSR_ST_bEUlT_E_NS1_11comp_targetILNS1_3genE0ELNS1_11target_archE4294967295ELNS1_3gpuE0ELNS1_3repE0EEENS1_30default_config_static_selectorELNS0_4arch9wavefront6targetE1EEEvT1_.private_seg_size, 0
	.set _ZN7rocprim17ROCPRIM_400000_NS6detail17trampoline_kernelINS0_14default_configENS1_25transform_config_selectorIlLb0EEEZNS1_14transform_implILb0ES3_S5_NS0_18transform_iteratorINS0_17counting_iteratorImlEEZNS1_24adjacent_difference_implIS3_Lb1ELb0EPlSB_ZN2at6native12_GLOBAL__N_124unique_dim_cuda_templateIjEESt5tupleIJNSC_6TensorESH_SH_EERKSH_lbbbEUlllE1_EE10hipError_tPvRmT2_T3_mT4_P12ihipStream_tbEUlmE_lEESB_NS0_8identityIvEEEESM_SP_SQ_mSR_ST_bEUlT_E_NS1_11comp_targetILNS1_3genE0ELNS1_11target_archE4294967295ELNS1_3gpuE0ELNS1_3repE0EEENS1_30default_config_static_selectorELNS0_4arch9wavefront6targetE1EEEvT1_.uses_vcc, 1
	.set _ZN7rocprim17ROCPRIM_400000_NS6detail17trampoline_kernelINS0_14default_configENS1_25transform_config_selectorIlLb0EEEZNS1_14transform_implILb0ES3_S5_NS0_18transform_iteratorINS0_17counting_iteratorImlEEZNS1_24adjacent_difference_implIS3_Lb1ELb0EPlSB_ZN2at6native12_GLOBAL__N_124unique_dim_cuda_templateIjEESt5tupleIJNSC_6TensorESH_SH_EERKSH_lbbbEUlllE1_EE10hipError_tPvRmT2_T3_mT4_P12ihipStream_tbEUlmE_lEESB_NS0_8identityIvEEEESM_SP_SQ_mSR_ST_bEUlT_E_NS1_11comp_targetILNS1_3genE0ELNS1_11target_archE4294967295ELNS1_3gpuE0ELNS1_3repE0EEENS1_30default_config_static_selectorELNS0_4arch9wavefront6targetE1EEEvT1_.uses_flat_scratch, 0
	.set _ZN7rocprim17ROCPRIM_400000_NS6detail17trampoline_kernelINS0_14default_configENS1_25transform_config_selectorIlLb0EEEZNS1_14transform_implILb0ES3_S5_NS0_18transform_iteratorINS0_17counting_iteratorImlEEZNS1_24adjacent_difference_implIS3_Lb1ELb0EPlSB_ZN2at6native12_GLOBAL__N_124unique_dim_cuda_templateIjEESt5tupleIJNSC_6TensorESH_SH_EERKSH_lbbbEUlllE1_EE10hipError_tPvRmT2_T3_mT4_P12ihipStream_tbEUlmE_lEESB_NS0_8identityIvEEEESM_SP_SQ_mSR_ST_bEUlT_E_NS1_11comp_targetILNS1_3genE0ELNS1_11target_archE4294967295ELNS1_3gpuE0ELNS1_3repE0EEENS1_30default_config_static_selectorELNS0_4arch9wavefront6targetE1EEEvT1_.has_dyn_sized_stack, 0
	.set _ZN7rocprim17ROCPRIM_400000_NS6detail17trampoline_kernelINS0_14default_configENS1_25transform_config_selectorIlLb0EEEZNS1_14transform_implILb0ES3_S5_NS0_18transform_iteratorINS0_17counting_iteratorImlEEZNS1_24adjacent_difference_implIS3_Lb1ELb0EPlSB_ZN2at6native12_GLOBAL__N_124unique_dim_cuda_templateIjEESt5tupleIJNSC_6TensorESH_SH_EERKSH_lbbbEUlllE1_EE10hipError_tPvRmT2_T3_mT4_P12ihipStream_tbEUlmE_lEESB_NS0_8identityIvEEEESM_SP_SQ_mSR_ST_bEUlT_E_NS1_11comp_targetILNS1_3genE0ELNS1_11target_archE4294967295ELNS1_3gpuE0ELNS1_3repE0EEENS1_30default_config_static_selectorELNS0_4arch9wavefront6targetE1EEEvT1_.has_recursion, 0
	.set _ZN7rocprim17ROCPRIM_400000_NS6detail17trampoline_kernelINS0_14default_configENS1_25transform_config_selectorIlLb0EEEZNS1_14transform_implILb0ES3_S5_NS0_18transform_iteratorINS0_17counting_iteratorImlEEZNS1_24adjacent_difference_implIS3_Lb1ELb0EPlSB_ZN2at6native12_GLOBAL__N_124unique_dim_cuda_templateIjEESt5tupleIJNSC_6TensorESH_SH_EERKSH_lbbbEUlllE1_EE10hipError_tPvRmT2_T3_mT4_P12ihipStream_tbEUlmE_lEESB_NS0_8identityIvEEEESM_SP_SQ_mSR_ST_bEUlT_E_NS1_11comp_targetILNS1_3genE0ELNS1_11target_archE4294967295ELNS1_3gpuE0ELNS1_3repE0EEENS1_30default_config_static_selectorELNS0_4arch9wavefront6targetE1EEEvT1_.has_indirect_call, 0
	.section	.AMDGPU.csdata,"",@progbits
; Kernel info:
; codeLenInByte = 220
; TotalNumSgprs: 18
; NumVgprs: 8
; NumAgprs: 0
; TotalNumVgprs: 8
; ScratchSize: 0
; MemoryBound: 0
; FloatMode: 240
; IeeeMode: 1
; LDSByteSize: 0 bytes/workgroup (compile time only)
; SGPRBlocks: 2
; VGPRBlocks: 0
; NumSGPRsForWavesPerEU: 18
; NumVGPRsForWavesPerEU: 8
; AccumOffset: 8
; Occupancy: 8
; WaveLimiterHint : 0
; COMPUTE_PGM_RSRC2:SCRATCH_EN: 0
; COMPUTE_PGM_RSRC2:USER_SGPR: 2
; COMPUTE_PGM_RSRC2:TRAP_HANDLER: 0
; COMPUTE_PGM_RSRC2:TGID_X_EN: 1
; COMPUTE_PGM_RSRC2:TGID_Y_EN: 0
; COMPUTE_PGM_RSRC2:TGID_Z_EN: 0
; COMPUTE_PGM_RSRC2:TIDIG_COMP_CNT: 0
; COMPUTE_PGM_RSRC3_GFX90A:ACCUM_OFFSET: 1
; COMPUTE_PGM_RSRC3_GFX90A:TG_SPLIT: 0
	.section	.text._ZN7rocprim17ROCPRIM_400000_NS6detail17trampoline_kernelINS0_14default_configENS1_25transform_config_selectorIlLb0EEEZNS1_14transform_implILb0ES3_S5_NS0_18transform_iteratorINS0_17counting_iteratorImlEEZNS1_24adjacent_difference_implIS3_Lb1ELb0EPlSB_ZN2at6native12_GLOBAL__N_124unique_dim_cuda_templateIjEESt5tupleIJNSC_6TensorESH_SH_EERKSH_lbbbEUlllE1_EE10hipError_tPvRmT2_T3_mT4_P12ihipStream_tbEUlmE_lEESB_NS0_8identityIvEEEESM_SP_SQ_mSR_ST_bEUlT_E_NS1_11comp_targetILNS1_3genE5ELNS1_11target_archE942ELNS1_3gpuE9ELNS1_3repE0EEENS1_30default_config_static_selectorELNS0_4arch9wavefront6targetE1EEEvT1_,"axG",@progbits,_ZN7rocprim17ROCPRIM_400000_NS6detail17trampoline_kernelINS0_14default_configENS1_25transform_config_selectorIlLb0EEEZNS1_14transform_implILb0ES3_S5_NS0_18transform_iteratorINS0_17counting_iteratorImlEEZNS1_24adjacent_difference_implIS3_Lb1ELb0EPlSB_ZN2at6native12_GLOBAL__N_124unique_dim_cuda_templateIjEESt5tupleIJNSC_6TensorESH_SH_EERKSH_lbbbEUlllE1_EE10hipError_tPvRmT2_T3_mT4_P12ihipStream_tbEUlmE_lEESB_NS0_8identityIvEEEESM_SP_SQ_mSR_ST_bEUlT_E_NS1_11comp_targetILNS1_3genE5ELNS1_11target_archE942ELNS1_3gpuE9ELNS1_3repE0EEENS1_30default_config_static_selectorELNS0_4arch9wavefront6targetE1EEEvT1_,comdat
	.globl	_ZN7rocprim17ROCPRIM_400000_NS6detail17trampoline_kernelINS0_14default_configENS1_25transform_config_selectorIlLb0EEEZNS1_14transform_implILb0ES3_S5_NS0_18transform_iteratorINS0_17counting_iteratorImlEEZNS1_24adjacent_difference_implIS3_Lb1ELb0EPlSB_ZN2at6native12_GLOBAL__N_124unique_dim_cuda_templateIjEESt5tupleIJNSC_6TensorESH_SH_EERKSH_lbbbEUlllE1_EE10hipError_tPvRmT2_T3_mT4_P12ihipStream_tbEUlmE_lEESB_NS0_8identityIvEEEESM_SP_SQ_mSR_ST_bEUlT_E_NS1_11comp_targetILNS1_3genE5ELNS1_11target_archE942ELNS1_3gpuE9ELNS1_3repE0EEENS1_30default_config_static_selectorELNS0_4arch9wavefront6targetE1EEEvT1_ ; -- Begin function _ZN7rocprim17ROCPRIM_400000_NS6detail17trampoline_kernelINS0_14default_configENS1_25transform_config_selectorIlLb0EEEZNS1_14transform_implILb0ES3_S5_NS0_18transform_iteratorINS0_17counting_iteratorImlEEZNS1_24adjacent_difference_implIS3_Lb1ELb0EPlSB_ZN2at6native12_GLOBAL__N_124unique_dim_cuda_templateIjEESt5tupleIJNSC_6TensorESH_SH_EERKSH_lbbbEUlllE1_EE10hipError_tPvRmT2_T3_mT4_P12ihipStream_tbEUlmE_lEESB_NS0_8identityIvEEEESM_SP_SQ_mSR_ST_bEUlT_E_NS1_11comp_targetILNS1_3genE5ELNS1_11target_archE942ELNS1_3gpuE9ELNS1_3repE0EEENS1_30default_config_static_selectorELNS0_4arch9wavefront6targetE1EEEvT1_
	.p2align	8
	.type	_ZN7rocprim17ROCPRIM_400000_NS6detail17trampoline_kernelINS0_14default_configENS1_25transform_config_selectorIlLb0EEEZNS1_14transform_implILb0ES3_S5_NS0_18transform_iteratorINS0_17counting_iteratorImlEEZNS1_24adjacent_difference_implIS3_Lb1ELb0EPlSB_ZN2at6native12_GLOBAL__N_124unique_dim_cuda_templateIjEESt5tupleIJNSC_6TensorESH_SH_EERKSH_lbbbEUlllE1_EE10hipError_tPvRmT2_T3_mT4_P12ihipStream_tbEUlmE_lEESB_NS0_8identityIvEEEESM_SP_SQ_mSR_ST_bEUlT_E_NS1_11comp_targetILNS1_3genE5ELNS1_11target_archE942ELNS1_3gpuE9ELNS1_3repE0EEENS1_30default_config_static_selectorELNS0_4arch9wavefront6targetE1EEEvT1_,@function
_ZN7rocprim17ROCPRIM_400000_NS6detail17trampoline_kernelINS0_14default_configENS1_25transform_config_selectorIlLb0EEEZNS1_14transform_implILb0ES3_S5_NS0_18transform_iteratorINS0_17counting_iteratorImlEEZNS1_24adjacent_difference_implIS3_Lb1ELb0EPlSB_ZN2at6native12_GLOBAL__N_124unique_dim_cuda_templateIjEESt5tupleIJNSC_6TensorESH_SH_EERKSH_lbbbEUlllE1_EE10hipError_tPvRmT2_T3_mT4_P12ihipStream_tbEUlmE_lEESB_NS0_8identityIvEEEESM_SP_SQ_mSR_ST_bEUlT_E_NS1_11comp_targetILNS1_3genE5ELNS1_11target_archE942ELNS1_3gpuE9ELNS1_3repE0EEENS1_30default_config_static_selectorELNS0_4arch9wavefront6targetE1EEEvT1_: ; @_ZN7rocprim17ROCPRIM_400000_NS6detail17trampoline_kernelINS0_14default_configENS1_25transform_config_selectorIlLb0EEEZNS1_14transform_implILb0ES3_S5_NS0_18transform_iteratorINS0_17counting_iteratorImlEEZNS1_24adjacent_difference_implIS3_Lb1ELb0EPlSB_ZN2at6native12_GLOBAL__N_124unique_dim_cuda_templateIjEESt5tupleIJNSC_6TensorESH_SH_EERKSH_lbbbEUlllE1_EE10hipError_tPvRmT2_T3_mT4_P12ihipStream_tbEUlmE_lEESB_NS0_8identityIvEEEESM_SP_SQ_mSR_ST_bEUlT_E_NS1_11comp_targetILNS1_3genE5ELNS1_11target_archE942ELNS1_3gpuE9ELNS1_3repE0EEENS1_30default_config_static_selectorELNS0_4arch9wavefront6targetE1EEEvT1_
; %bb.0:
	.section	.rodata,"a",@progbits
	.p2align	6, 0x0
	.amdhsa_kernel _ZN7rocprim17ROCPRIM_400000_NS6detail17trampoline_kernelINS0_14default_configENS1_25transform_config_selectorIlLb0EEEZNS1_14transform_implILb0ES3_S5_NS0_18transform_iteratorINS0_17counting_iteratorImlEEZNS1_24adjacent_difference_implIS3_Lb1ELb0EPlSB_ZN2at6native12_GLOBAL__N_124unique_dim_cuda_templateIjEESt5tupleIJNSC_6TensorESH_SH_EERKSH_lbbbEUlllE1_EE10hipError_tPvRmT2_T3_mT4_P12ihipStream_tbEUlmE_lEESB_NS0_8identityIvEEEESM_SP_SQ_mSR_ST_bEUlT_E_NS1_11comp_targetILNS1_3genE5ELNS1_11target_archE942ELNS1_3gpuE9ELNS1_3repE0EEENS1_30default_config_static_selectorELNS0_4arch9wavefront6targetE1EEEvT1_
		.amdhsa_group_segment_fixed_size 0
		.amdhsa_private_segment_fixed_size 0
		.amdhsa_kernarg_size 56
		.amdhsa_user_sgpr_count 2
		.amdhsa_user_sgpr_dispatch_ptr 0
		.amdhsa_user_sgpr_queue_ptr 0
		.amdhsa_user_sgpr_kernarg_segment_ptr 1
		.amdhsa_user_sgpr_dispatch_id 0
		.amdhsa_user_sgpr_kernarg_preload_length 0
		.amdhsa_user_sgpr_kernarg_preload_offset 0
		.amdhsa_user_sgpr_private_segment_size 0
		.amdhsa_uses_dynamic_stack 0
		.amdhsa_enable_private_segment 0
		.amdhsa_system_sgpr_workgroup_id_x 1
		.amdhsa_system_sgpr_workgroup_id_y 0
		.amdhsa_system_sgpr_workgroup_id_z 0
		.amdhsa_system_sgpr_workgroup_info 0
		.amdhsa_system_vgpr_workitem_id 0
		.amdhsa_next_free_vgpr 1
		.amdhsa_next_free_sgpr 0
		.amdhsa_accum_offset 4
		.amdhsa_reserve_vcc 0
		.amdhsa_float_round_mode_32 0
		.amdhsa_float_round_mode_16_64 0
		.amdhsa_float_denorm_mode_32 3
		.amdhsa_float_denorm_mode_16_64 3
		.amdhsa_dx10_clamp 1
		.amdhsa_ieee_mode 1
		.amdhsa_fp16_overflow 0
		.amdhsa_tg_split 0
		.amdhsa_exception_fp_ieee_invalid_op 0
		.amdhsa_exception_fp_denorm_src 0
		.amdhsa_exception_fp_ieee_div_zero 0
		.amdhsa_exception_fp_ieee_overflow 0
		.amdhsa_exception_fp_ieee_underflow 0
		.amdhsa_exception_fp_ieee_inexact 0
		.amdhsa_exception_int_div_zero 0
	.end_amdhsa_kernel
	.section	.text._ZN7rocprim17ROCPRIM_400000_NS6detail17trampoline_kernelINS0_14default_configENS1_25transform_config_selectorIlLb0EEEZNS1_14transform_implILb0ES3_S5_NS0_18transform_iteratorINS0_17counting_iteratorImlEEZNS1_24adjacent_difference_implIS3_Lb1ELb0EPlSB_ZN2at6native12_GLOBAL__N_124unique_dim_cuda_templateIjEESt5tupleIJNSC_6TensorESH_SH_EERKSH_lbbbEUlllE1_EE10hipError_tPvRmT2_T3_mT4_P12ihipStream_tbEUlmE_lEESB_NS0_8identityIvEEEESM_SP_SQ_mSR_ST_bEUlT_E_NS1_11comp_targetILNS1_3genE5ELNS1_11target_archE942ELNS1_3gpuE9ELNS1_3repE0EEENS1_30default_config_static_selectorELNS0_4arch9wavefront6targetE1EEEvT1_,"axG",@progbits,_ZN7rocprim17ROCPRIM_400000_NS6detail17trampoline_kernelINS0_14default_configENS1_25transform_config_selectorIlLb0EEEZNS1_14transform_implILb0ES3_S5_NS0_18transform_iteratorINS0_17counting_iteratorImlEEZNS1_24adjacent_difference_implIS3_Lb1ELb0EPlSB_ZN2at6native12_GLOBAL__N_124unique_dim_cuda_templateIjEESt5tupleIJNSC_6TensorESH_SH_EERKSH_lbbbEUlllE1_EE10hipError_tPvRmT2_T3_mT4_P12ihipStream_tbEUlmE_lEESB_NS0_8identityIvEEEESM_SP_SQ_mSR_ST_bEUlT_E_NS1_11comp_targetILNS1_3genE5ELNS1_11target_archE942ELNS1_3gpuE9ELNS1_3repE0EEENS1_30default_config_static_selectorELNS0_4arch9wavefront6targetE1EEEvT1_,comdat
.Lfunc_end1525:
	.size	_ZN7rocprim17ROCPRIM_400000_NS6detail17trampoline_kernelINS0_14default_configENS1_25transform_config_selectorIlLb0EEEZNS1_14transform_implILb0ES3_S5_NS0_18transform_iteratorINS0_17counting_iteratorImlEEZNS1_24adjacent_difference_implIS3_Lb1ELb0EPlSB_ZN2at6native12_GLOBAL__N_124unique_dim_cuda_templateIjEESt5tupleIJNSC_6TensorESH_SH_EERKSH_lbbbEUlllE1_EE10hipError_tPvRmT2_T3_mT4_P12ihipStream_tbEUlmE_lEESB_NS0_8identityIvEEEESM_SP_SQ_mSR_ST_bEUlT_E_NS1_11comp_targetILNS1_3genE5ELNS1_11target_archE942ELNS1_3gpuE9ELNS1_3repE0EEENS1_30default_config_static_selectorELNS0_4arch9wavefront6targetE1EEEvT1_, .Lfunc_end1525-_ZN7rocprim17ROCPRIM_400000_NS6detail17trampoline_kernelINS0_14default_configENS1_25transform_config_selectorIlLb0EEEZNS1_14transform_implILb0ES3_S5_NS0_18transform_iteratorINS0_17counting_iteratorImlEEZNS1_24adjacent_difference_implIS3_Lb1ELb0EPlSB_ZN2at6native12_GLOBAL__N_124unique_dim_cuda_templateIjEESt5tupleIJNSC_6TensorESH_SH_EERKSH_lbbbEUlllE1_EE10hipError_tPvRmT2_T3_mT4_P12ihipStream_tbEUlmE_lEESB_NS0_8identityIvEEEESM_SP_SQ_mSR_ST_bEUlT_E_NS1_11comp_targetILNS1_3genE5ELNS1_11target_archE942ELNS1_3gpuE9ELNS1_3repE0EEENS1_30default_config_static_selectorELNS0_4arch9wavefront6targetE1EEEvT1_
                                        ; -- End function
	.set _ZN7rocprim17ROCPRIM_400000_NS6detail17trampoline_kernelINS0_14default_configENS1_25transform_config_selectorIlLb0EEEZNS1_14transform_implILb0ES3_S5_NS0_18transform_iteratorINS0_17counting_iteratorImlEEZNS1_24adjacent_difference_implIS3_Lb1ELb0EPlSB_ZN2at6native12_GLOBAL__N_124unique_dim_cuda_templateIjEESt5tupleIJNSC_6TensorESH_SH_EERKSH_lbbbEUlllE1_EE10hipError_tPvRmT2_T3_mT4_P12ihipStream_tbEUlmE_lEESB_NS0_8identityIvEEEESM_SP_SQ_mSR_ST_bEUlT_E_NS1_11comp_targetILNS1_3genE5ELNS1_11target_archE942ELNS1_3gpuE9ELNS1_3repE0EEENS1_30default_config_static_selectorELNS0_4arch9wavefront6targetE1EEEvT1_.num_vgpr, 0
	.set _ZN7rocprim17ROCPRIM_400000_NS6detail17trampoline_kernelINS0_14default_configENS1_25transform_config_selectorIlLb0EEEZNS1_14transform_implILb0ES3_S5_NS0_18transform_iteratorINS0_17counting_iteratorImlEEZNS1_24adjacent_difference_implIS3_Lb1ELb0EPlSB_ZN2at6native12_GLOBAL__N_124unique_dim_cuda_templateIjEESt5tupleIJNSC_6TensorESH_SH_EERKSH_lbbbEUlllE1_EE10hipError_tPvRmT2_T3_mT4_P12ihipStream_tbEUlmE_lEESB_NS0_8identityIvEEEESM_SP_SQ_mSR_ST_bEUlT_E_NS1_11comp_targetILNS1_3genE5ELNS1_11target_archE942ELNS1_3gpuE9ELNS1_3repE0EEENS1_30default_config_static_selectorELNS0_4arch9wavefront6targetE1EEEvT1_.num_agpr, 0
	.set _ZN7rocprim17ROCPRIM_400000_NS6detail17trampoline_kernelINS0_14default_configENS1_25transform_config_selectorIlLb0EEEZNS1_14transform_implILb0ES3_S5_NS0_18transform_iteratorINS0_17counting_iteratorImlEEZNS1_24adjacent_difference_implIS3_Lb1ELb0EPlSB_ZN2at6native12_GLOBAL__N_124unique_dim_cuda_templateIjEESt5tupleIJNSC_6TensorESH_SH_EERKSH_lbbbEUlllE1_EE10hipError_tPvRmT2_T3_mT4_P12ihipStream_tbEUlmE_lEESB_NS0_8identityIvEEEESM_SP_SQ_mSR_ST_bEUlT_E_NS1_11comp_targetILNS1_3genE5ELNS1_11target_archE942ELNS1_3gpuE9ELNS1_3repE0EEENS1_30default_config_static_selectorELNS0_4arch9wavefront6targetE1EEEvT1_.numbered_sgpr, 0
	.set _ZN7rocprim17ROCPRIM_400000_NS6detail17trampoline_kernelINS0_14default_configENS1_25transform_config_selectorIlLb0EEEZNS1_14transform_implILb0ES3_S5_NS0_18transform_iteratorINS0_17counting_iteratorImlEEZNS1_24adjacent_difference_implIS3_Lb1ELb0EPlSB_ZN2at6native12_GLOBAL__N_124unique_dim_cuda_templateIjEESt5tupleIJNSC_6TensorESH_SH_EERKSH_lbbbEUlllE1_EE10hipError_tPvRmT2_T3_mT4_P12ihipStream_tbEUlmE_lEESB_NS0_8identityIvEEEESM_SP_SQ_mSR_ST_bEUlT_E_NS1_11comp_targetILNS1_3genE5ELNS1_11target_archE942ELNS1_3gpuE9ELNS1_3repE0EEENS1_30default_config_static_selectorELNS0_4arch9wavefront6targetE1EEEvT1_.num_named_barrier, 0
	.set _ZN7rocprim17ROCPRIM_400000_NS6detail17trampoline_kernelINS0_14default_configENS1_25transform_config_selectorIlLb0EEEZNS1_14transform_implILb0ES3_S5_NS0_18transform_iteratorINS0_17counting_iteratorImlEEZNS1_24adjacent_difference_implIS3_Lb1ELb0EPlSB_ZN2at6native12_GLOBAL__N_124unique_dim_cuda_templateIjEESt5tupleIJNSC_6TensorESH_SH_EERKSH_lbbbEUlllE1_EE10hipError_tPvRmT2_T3_mT4_P12ihipStream_tbEUlmE_lEESB_NS0_8identityIvEEEESM_SP_SQ_mSR_ST_bEUlT_E_NS1_11comp_targetILNS1_3genE5ELNS1_11target_archE942ELNS1_3gpuE9ELNS1_3repE0EEENS1_30default_config_static_selectorELNS0_4arch9wavefront6targetE1EEEvT1_.private_seg_size, 0
	.set _ZN7rocprim17ROCPRIM_400000_NS6detail17trampoline_kernelINS0_14default_configENS1_25transform_config_selectorIlLb0EEEZNS1_14transform_implILb0ES3_S5_NS0_18transform_iteratorINS0_17counting_iteratorImlEEZNS1_24adjacent_difference_implIS3_Lb1ELb0EPlSB_ZN2at6native12_GLOBAL__N_124unique_dim_cuda_templateIjEESt5tupleIJNSC_6TensorESH_SH_EERKSH_lbbbEUlllE1_EE10hipError_tPvRmT2_T3_mT4_P12ihipStream_tbEUlmE_lEESB_NS0_8identityIvEEEESM_SP_SQ_mSR_ST_bEUlT_E_NS1_11comp_targetILNS1_3genE5ELNS1_11target_archE942ELNS1_3gpuE9ELNS1_3repE0EEENS1_30default_config_static_selectorELNS0_4arch9wavefront6targetE1EEEvT1_.uses_vcc, 0
	.set _ZN7rocprim17ROCPRIM_400000_NS6detail17trampoline_kernelINS0_14default_configENS1_25transform_config_selectorIlLb0EEEZNS1_14transform_implILb0ES3_S5_NS0_18transform_iteratorINS0_17counting_iteratorImlEEZNS1_24adjacent_difference_implIS3_Lb1ELb0EPlSB_ZN2at6native12_GLOBAL__N_124unique_dim_cuda_templateIjEESt5tupleIJNSC_6TensorESH_SH_EERKSH_lbbbEUlllE1_EE10hipError_tPvRmT2_T3_mT4_P12ihipStream_tbEUlmE_lEESB_NS0_8identityIvEEEESM_SP_SQ_mSR_ST_bEUlT_E_NS1_11comp_targetILNS1_3genE5ELNS1_11target_archE942ELNS1_3gpuE9ELNS1_3repE0EEENS1_30default_config_static_selectorELNS0_4arch9wavefront6targetE1EEEvT1_.uses_flat_scratch, 0
	.set _ZN7rocprim17ROCPRIM_400000_NS6detail17trampoline_kernelINS0_14default_configENS1_25transform_config_selectorIlLb0EEEZNS1_14transform_implILb0ES3_S5_NS0_18transform_iteratorINS0_17counting_iteratorImlEEZNS1_24adjacent_difference_implIS3_Lb1ELb0EPlSB_ZN2at6native12_GLOBAL__N_124unique_dim_cuda_templateIjEESt5tupleIJNSC_6TensorESH_SH_EERKSH_lbbbEUlllE1_EE10hipError_tPvRmT2_T3_mT4_P12ihipStream_tbEUlmE_lEESB_NS0_8identityIvEEEESM_SP_SQ_mSR_ST_bEUlT_E_NS1_11comp_targetILNS1_3genE5ELNS1_11target_archE942ELNS1_3gpuE9ELNS1_3repE0EEENS1_30default_config_static_selectorELNS0_4arch9wavefront6targetE1EEEvT1_.has_dyn_sized_stack, 0
	.set _ZN7rocprim17ROCPRIM_400000_NS6detail17trampoline_kernelINS0_14default_configENS1_25transform_config_selectorIlLb0EEEZNS1_14transform_implILb0ES3_S5_NS0_18transform_iteratorINS0_17counting_iteratorImlEEZNS1_24adjacent_difference_implIS3_Lb1ELb0EPlSB_ZN2at6native12_GLOBAL__N_124unique_dim_cuda_templateIjEESt5tupleIJNSC_6TensorESH_SH_EERKSH_lbbbEUlllE1_EE10hipError_tPvRmT2_T3_mT4_P12ihipStream_tbEUlmE_lEESB_NS0_8identityIvEEEESM_SP_SQ_mSR_ST_bEUlT_E_NS1_11comp_targetILNS1_3genE5ELNS1_11target_archE942ELNS1_3gpuE9ELNS1_3repE0EEENS1_30default_config_static_selectorELNS0_4arch9wavefront6targetE1EEEvT1_.has_recursion, 0
	.set _ZN7rocprim17ROCPRIM_400000_NS6detail17trampoline_kernelINS0_14default_configENS1_25transform_config_selectorIlLb0EEEZNS1_14transform_implILb0ES3_S5_NS0_18transform_iteratorINS0_17counting_iteratorImlEEZNS1_24adjacent_difference_implIS3_Lb1ELb0EPlSB_ZN2at6native12_GLOBAL__N_124unique_dim_cuda_templateIjEESt5tupleIJNSC_6TensorESH_SH_EERKSH_lbbbEUlllE1_EE10hipError_tPvRmT2_T3_mT4_P12ihipStream_tbEUlmE_lEESB_NS0_8identityIvEEEESM_SP_SQ_mSR_ST_bEUlT_E_NS1_11comp_targetILNS1_3genE5ELNS1_11target_archE942ELNS1_3gpuE9ELNS1_3repE0EEENS1_30default_config_static_selectorELNS0_4arch9wavefront6targetE1EEEvT1_.has_indirect_call, 0
	.section	.AMDGPU.csdata,"",@progbits
; Kernel info:
; codeLenInByte = 0
; TotalNumSgprs: 6
; NumVgprs: 0
; NumAgprs: 0
; TotalNumVgprs: 0
; ScratchSize: 0
; MemoryBound: 0
; FloatMode: 240
; IeeeMode: 1
; LDSByteSize: 0 bytes/workgroup (compile time only)
; SGPRBlocks: 0
; VGPRBlocks: 0
; NumSGPRsForWavesPerEU: 6
; NumVGPRsForWavesPerEU: 1
; AccumOffset: 4
; Occupancy: 8
; WaveLimiterHint : 0
; COMPUTE_PGM_RSRC2:SCRATCH_EN: 0
; COMPUTE_PGM_RSRC2:USER_SGPR: 2
; COMPUTE_PGM_RSRC2:TRAP_HANDLER: 0
; COMPUTE_PGM_RSRC2:TGID_X_EN: 1
; COMPUTE_PGM_RSRC2:TGID_Y_EN: 0
; COMPUTE_PGM_RSRC2:TGID_Z_EN: 0
; COMPUTE_PGM_RSRC2:TIDIG_COMP_CNT: 0
; COMPUTE_PGM_RSRC3_GFX90A:ACCUM_OFFSET: 0
; COMPUTE_PGM_RSRC3_GFX90A:TG_SPLIT: 0
	.section	.text._ZN7rocprim17ROCPRIM_400000_NS6detail17trampoline_kernelINS0_14default_configENS1_25transform_config_selectorIlLb0EEEZNS1_14transform_implILb0ES3_S5_NS0_18transform_iteratorINS0_17counting_iteratorImlEEZNS1_24adjacent_difference_implIS3_Lb1ELb0EPlSB_ZN2at6native12_GLOBAL__N_124unique_dim_cuda_templateIjEESt5tupleIJNSC_6TensorESH_SH_EERKSH_lbbbEUlllE1_EE10hipError_tPvRmT2_T3_mT4_P12ihipStream_tbEUlmE_lEESB_NS0_8identityIvEEEESM_SP_SQ_mSR_ST_bEUlT_E_NS1_11comp_targetILNS1_3genE4ELNS1_11target_archE910ELNS1_3gpuE8ELNS1_3repE0EEENS1_30default_config_static_selectorELNS0_4arch9wavefront6targetE1EEEvT1_,"axG",@progbits,_ZN7rocprim17ROCPRIM_400000_NS6detail17trampoline_kernelINS0_14default_configENS1_25transform_config_selectorIlLb0EEEZNS1_14transform_implILb0ES3_S5_NS0_18transform_iteratorINS0_17counting_iteratorImlEEZNS1_24adjacent_difference_implIS3_Lb1ELb0EPlSB_ZN2at6native12_GLOBAL__N_124unique_dim_cuda_templateIjEESt5tupleIJNSC_6TensorESH_SH_EERKSH_lbbbEUlllE1_EE10hipError_tPvRmT2_T3_mT4_P12ihipStream_tbEUlmE_lEESB_NS0_8identityIvEEEESM_SP_SQ_mSR_ST_bEUlT_E_NS1_11comp_targetILNS1_3genE4ELNS1_11target_archE910ELNS1_3gpuE8ELNS1_3repE0EEENS1_30default_config_static_selectorELNS0_4arch9wavefront6targetE1EEEvT1_,comdat
	.globl	_ZN7rocprim17ROCPRIM_400000_NS6detail17trampoline_kernelINS0_14default_configENS1_25transform_config_selectorIlLb0EEEZNS1_14transform_implILb0ES3_S5_NS0_18transform_iteratorINS0_17counting_iteratorImlEEZNS1_24adjacent_difference_implIS3_Lb1ELb0EPlSB_ZN2at6native12_GLOBAL__N_124unique_dim_cuda_templateIjEESt5tupleIJNSC_6TensorESH_SH_EERKSH_lbbbEUlllE1_EE10hipError_tPvRmT2_T3_mT4_P12ihipStream_tbEUlmE_lEESB_NS0_8identityIvEEEESM_SP_SQ_mSR_ST_bEUlT_E_NS1_11comp_targetILNS1_3genE4ELNS1_11target_archE910ELNS1_3gpuE8ELNS1_3repE0EEENS1_30default_config_static_selectorELNS0_4arch9wavefront6targetE1EEEvT1_ ; -- Begin function _ZN7rocprim17ROCPRIM_400000_NS6detail17trampoline_kernelINS0_14default_configENS1_25transform_config_selectorIlLb0EEEZNS1_14transform_implILb0ES3_S5_NS0_18transform_iteratorINS0_17counting_iteratorImlEEZNS1_24adjacent_difference_implIS3_Lb1ELb0EPlSB_ZN2at6native12_GLOBAL__N_124unique_dim_cuda_templateIjEESt5tupleIJNSC_6TensorESH_SH_EERKSH_lbbbEUlllE1_EE10hipError_tPvRmT2_T3_mT4_P12ihipStream_tbEUlmE_lEESB_NS0_8identityIvEEEESM_SP_SQ_mSR_ST_bEUlT_E_NS1_11comp_targetILNS1_3genE4ELNS1_11target_archE910ELNS1_3gpuE8ELNS1_3repE0EEENS1_30default_config_static_selectorELNS0_4arch9wavefront6targetE1EEEvT1_
	.p2align	8
	.type	_ZN7rocprim17ROCPRIM_400000_NS6detail17trampoline_kernelINS0_14default_configENS1_25transform_config_selectorIlLb0EEEZNS1_14transform_implILb0ES3_S5_NS0_18transform_iteratorINS0_17counting_iteratorImlEEZNS1_24adjacent_difference_implIS3_Lb1ELb0EPlSB_ZN2at6native12_GLOBAL__N_124unique_dim_cuda_templateIjEESt5tupleIJNSC_6TensorESH_SH_EERKSH_lbbbEUlllE1_EE10hipError_tPvRmT2_T3_mT4_P12ihipStream_tbEUlmE_lEESB_NS0_8identityIvEEEESM_SP_SQ_mSR_ST_bEUlT_E_NS1_11comp_targetILNS1_3genE4ELNS1_11target_archE910ELNS1_3gpuE8ELNS1_3repE0EEENS1_30default_config_static_selectorELNS0_4arch9wavefront6targetE1EEEvT1_,@function
_ZN7rocprim17ROCPRIM_400000_NS6detail17trampoline_kernelINS0_14default_configENS1_25transform_config_selectorIlLb0EEEZNS1_14transform_implILb0ES3_S5_NS0_18transform_iteratorINS0_17counting_iteratorImlEEZNS1_24adjacent_difference_implIS3_Lb1ELb0EPlSB_ZN2at6native12_GLOBAL__N_124unique_dim_cuda_templateIjEESt5tupleIJNSC_6TensorESH_SH_EERKSH_lbbbEUlllE1_EE10hipError_tPvRmT2_T3_mT4_P12ihipStream_tbEUlmE_lEESB_NS0_8identityIvEEEESM_SP_SQ_mSR_ST_bEUlT_E_NS1_11comp_targetILNS1_3genE4ELNS1_11target_archE910ELNS1_3gpuE8ELNS1_3repE0EEENS1_30default_config_static_selectorELNS0_4arch9wavefront6targetE1EEEvT1_: ; @_ZN7rocprim17ROCPRIM_400000_NS6detail17trampoline_kernelINS0_14default_configENS1_25transform_config_selectorIlLb0EEEZNS1_14transform_implILb0ES3_S5_NS0_18transform_iteratorINS0_17counting_iteratorImlEEZNS1_24adjacent_difference_implIS3_Lb1ELb0EPlSB_ZN2at6native12_GLOBAL__N_124unique_dim_cuda_templateIjEESt5tupleIJNSC_6TensorESH_SH_EERKSH_lbbbEUlllE1_EE10hipError_tPvRmT2_T3_mT4_P12ihipStream_tbEUlmE_lEESB_NS0_8identityIvEEEESM_SP_SQ_mSR_ST_bEUlT_E_NS1_11comp_targetILNS1_3genE4ELNS1_11target_archE910ELNS1_3gpuE8ELNS1_3repE0EEENS1_30default_config_static_selectorELNS0_4arch9wavefront6targetE1EEEvT1_
; %bb.0:
	.section	.rodata,"a",@progbits
	.p2align	6, 0x0
	.amdhsa_kernel _ZN7rocprim17ROCPRIM_400000_NS6detail17trampoline_kernelINS0_14default_configENS1_25transform_config_selectorIlLb0EEEZNS1_14transform_implILb0ES3_S5_NS0_18transform_iteratorINS0_17counting_iteratorImlEEZNS1_24adjacent_difference_implIS3_Lb1ELb0EPlSB_ZN2at6native12_GLOBAL__N_124unique_dim_cuda_templateIjEESt5tupleIJNSC_6TensorESH_SH_EERKSH_lbbbEUlllE1_EE10hipError_tPvRmT2_T3_mT4_P12ihipStream_tbEUlmE_lEESB_NS0_8identityIvEEEESM_SP_SQ_mSR_ST_bEUlT_E_NS1_11comp_targetILNS1_3genE4ELNS1_11target_archE910ELNS1_3gpuE8ELNS1_3repE0EEENS1_30default_config_static_selectorELNS0_4arch9wavefront6targetE1EEEvT1_
		.amdhsa_group_segment_fixed_size 0
		.amdhsa_private_segment_fixed_size 0
		.amdhsa_kernarg_size 56
		.amdhsa_user_sgpr_count 2
		.amdhsa_user_sgpr_dispatch_ptr 0
		.amdhsa_user_sgpr_queue_ptr 0
		.amdhsa_user_sgpr_kernarg_segment_ptr 1
		.amdhsa_user_sgpr_dispatch_id 0
		.amdhsa_user_sgpr_kernarg_preload_length 0
		.amdhsa_user_sgpr_kernarg_preload_offset 0
		.amdhsa_user_sgpr_private_segment_size 0
		.amdhsa_uses_dynamic_stack 0
		.amdhsa_enable_private_segment 0
		.amdhsa_system_sgpr_workgroup_id_x 1
		.amdhsa_system_sgpr_workgroup_id_y 0
		.amdhsa_system_sgpr_workgroup_id_z 0
		.amdhsa_system_sgpr_workgroup_info 0
		.amdhsa_system_vgpr_workitem_id 0
		.amdhsa_next_free_vgpr 1
		.amdhsa_next_free_sgpr 0
		.amdhsa_accum_offset 4
		.amdhsa_reserve_vcc 0
		.amdhsa_float_round_mode_32 0
		.amdhsa_float_round_mode_16_64 0
		.amdhsa_float_denorm_mode_32 3
		.amdhsa_float_denorm_mode_16_64 3
		.amdhsa_dx10_clamp 1
		.amdhsa_ieee_mode 1
		.amdhsa_fp16_overflow 0
		.amdhsa_tg_split 0
		.amdhsa_exception_fp_ieee_invalid_op 0
		.amdhsa_exception_fp_denorm_src 0
		.amdhsa_exception_fp_ieee_div_zero 0
		.amdhsa_exception_fp_ieee_overflow 0
		.amdhsa_exception_fp_ieee_underflow 0
		.amdhsa_exception_fp_ieee_inexact 0
		.amdhsa_exception_int_div_zero 0
	.end_amdhsa_kernel
	.section	.text._ZN7rocprim17ROCPRIM_400000_NS6detail17trampoline_kernelINS0_14default_configENS1_25transform_config_selectorIlLb0EEEZNS1_14transform_implILb0ES3_S5_NS0_18transform_iteratorINS0_17counting_iteratorImlEEZNS1_24adjacent_difference_implIS3_Lb1ELb0EPlSB_ZN2at6native12_GLOBAL__N_124unique_dim_cuda_templateIjEESt5tupleIJNSC_6TensorESH_SH_EERKSH_lbbbEUlllE1_EE10hipError_tPvRmT2_T3_mT4_P12ihipStream_tbEUlmE_lEESB_NS0_8identityIvEEEESM_SP_SQ_mSR_ST_bEUlT_E_NS1_11comp_targetILNS1_3genE4ELNS1_11target_archE910ELNS1_3gpuE8ELNS1_3repE0EEENS1_30default_config_static_selectorELNS0_4arch9wavefront6targetE1EEEvT1_,"axG",@progbits,_ZN7rocprim17ROCPRIM_400000_NS6detail17trampoline_kernelINS0_14default_configENS1_25transform_config_selectorIlLb0EEEZNS1_14transform_implILb0ES3_S5_NS0_18transform_iteratorINS0_17counting_iteratorImlEEZNS1_24adjacent_difference_implIS3_Lb1ELb0EPlSB_ZN2at6native12_GLOBAL__N_124unique_dim_cuda_templateIjEESt5tupleIJNSC_6TensorESH_SH_EERKSH_lbbbEUlllE1_EE10hipError_tPvRmT2_T3_mT4_P12ihipStream_tbEUlmE_lEESB_NS0_8identityIvEEEESM_SP_SQ_mSR_ST_bEUlT_E_NS1_11comp_targetILNS1_3genE4ELNS1_11target_archE910ELNS1_3gpuE8ELNS1_3repE0EEENS1_30default_config_static_selectorELNS0_4arch9wavefront6targetE1EEEvT1_,comdat
.Lfunc_end1526:
	.size	_ZN7rocprim17ROCPRIM_400000_NS6detail17trampoline_kernelINS0_14default_configENS1_25transform_config_selectorIlLb0EEEZNS1_14transform_implILb0ES3_S5_NS0_18transform_iteratorINS0_17counting_iteratorImlEEZNS1_24adjacent_difference_implIS3_Lb1ELb0EPlSB_ZN2at6native12_GLOBAL__N_124unique_dim_cuda_templateIjEESt5tupleIJNSC_6TensorESH_SH_EERKSH_lbbbEUlllE1_EE10hipError_tPvRmT2_T3_mT4_P12ihipStream_tbEUlmE_lEESB_NS0_8identityIvEEEESM_SP_SQ_mSR_ST_bEUlT_E_NS1_11comp_targetILNS1_3genE4ELNS1_11target_archE910ELNS1_3gpuE8ELNS1_3repE0EEENS1_30default_config_static_selectorELNS0_4arch9wavefront6targetE1EEEvT1_, .Lfunc_end1526-_ZN7rocprim17ROCPRIM_400000_NS6detail17trampoline_kernelINS0_14default_configENS1_25transform_config_selectorIlLb0EEEZNS1_14transform_implILb0ES3_S5_NS0_18transform_iteratorINS0_17counting_iteratorImlEEZNS1_24adjacent_difference_implIS3_Lb1ELb0EPlSB_ZN2at6native12_GLOBAL__N_124unique_dim_cuda_templateIjEESt5tupleIJNSC_6TensorESH_SH_EERKSH_lbbbEUlllE1_EE10hipError_tPvRmT2_T3_mT4_P12ihipStream_tbEUlmE_lEESB_NS0_8identityIvEEEESM_SP_SQ_mSR_ST_bEUlT_E_NS1_11comp_targetILNS1_3genE4ELNS1_11target_archE910ELNS1_3gpuE8ELNS1_3repE0EEENS1_30default_config_static_selectorELNS0_4arch9wavefront6targetE1EEEvT1_
                                        ; -- End function
	.set _ZN7rocprim17ROCPRIM_400000_NS6detail17trampoline_kernelINS0_14default_configENS1_25transform_config_selectorIlLb0EEEZNS1_14transform_implILb0ES3_S5_NS0_18transform_iteratorINS0_17counting_iteratorImlEEZNS1_24adjacent_difference_implIS3_Lb1ELb0EPlSB_ZN2at6native12_GLOBAL__N_124unique_dim_cuda_templateIjEESt5tupleIJNSC_6TensorESH_SH_EERKSH_lbbbEUlllE1_EE10hipError_tPvRmT2_T3_mT4_P12ihipStream_tbEUlmE_lEESB_NS0_8identityIvEEEESM_SP_SQ_mSR_ST_bEUlT_E_NS1_11comp_targetILNS1_3genE4ELNS1_11target_archE910ELNS1_3gpuE8ELNS1_3repE0EEENS1_30default_config_static_selectorELNS0_4arch9wavefront6targetE1EEEvT1_.num_vgpr, 0
	.set _ZN7rocprim17ROCPRIM_400000_NS6detail17trampoline_kernelINS0_14default_configENS1_25transform_config_selectorIlLb0EEEZNS1_14transform_implILb0ES3_S5_NS0_18transform_iteratorINS0_17counting_iteratorImlEEZNS1_24adjacent_difference_implIS3_Lb1ELb0EPlSB_ZN2at6native12_GLOBAL__N_124unique_dim_cuda_templateIjEESt5tupleIJNSC_6TensorESH_SH_EERKSH_lbbbEUlllE1_EE10hipError_tPvRmT2_T3_mT4_P12ihipStream_tbEUlmE_lEESB_NS0_8identityIvEEEESM_SP_SQ_mSR_ST_bEUlT_E_NS1_11comp_targetILNS1_3genE4ELNS1_11target_archE910ELNS1_3gpuE8ELNS1_3repE0EEENS1_30default_config_static_selectorELNS0_4arch9wavefront6targetE1EEEvT1_.num_agpr, 0
	.set _ZN7rocprim17ROCPRIM_400000_NS6detail17trampoline_kernelINS0_14default_configENS1_25transform_config_selectorIlLb0EEEZNS1_14transform_implILb0ES3_S5_NS0_18transform_iteratorINS0_17counting_iteratorImlEEZNS1_24adjacent_difference_implIS3_Lb1ELb0EPlSB_ZN2at6native12_GLOBAL__N_124unique_dim_cuda_templateIjEESt5tupleIJNSC_6TensorESH_SH_EERKSH_lbbbEUlllE1_EE10hipError_tPvRmT2_T3_mT4_P12ihipStream_tbEUlmE_lEESB_NS0_8identityIvEEEESM_SP_SQ_mSR_ST_bEUlT_E_NS1_11comp_targetILNS1_3genE4ELNS1_11target_archE910ELNS1_3gpuE8ELNS1_3repE0EEENS1_30default_config_static_selectorELNS0_4arch9wavefront6targetE1EEEvT1_.numbered_sgpr, 0
	.set _ZN7rocprim17ROCPRIM_400000_NS6detail17trampoline_kernelINS0_14default_configENS1_25transform_config_selectorIlLb0EEEZNS1_14transform_implILb0ES3_S5_NS0_18transform_iteratorINS0_17counting_iteratorImlEEZNS1_24adjacent_difference_implIS3_Lb1ELb0EPlSB_ZN2at6native12_GLOBAL__N_124unique_dim_cuda_templateIjEESt5tupleIJNSC_6TensorESH_SH_EERKSH_lbbbEUlllE1_EE10hipError_tPvRmT2_T3_mT4_P12ihipStream_tbEUlmE_lEESB_NS0_8identityIvEEEESM_SP_SQ_mSR_ST_bEUlT_E_NS1_11comp_targetILNS1_3genE4ELNS1_11target_archE910ELNS1_3gpuE8ELNS1_3repE0EEENS1_30default_config_static_selectorELNS0_4arch9wavefront6targetE1EEEvT1_.num_named_barrier, 0
	.set _ZN7rocprim17ROCPRIM_400000_NS6detail17trampoline_kernelINS0_14default_configENS1_25transform_config_selectorIlLb0EEEZNS1_14transform_implILb0ES3_S5_NS0_18transform_iteratorINS0_17counting_iteratorImlEEZNS1_24adjacent_difference_implIS3_Lb1ELb0EPlSB_ZN2at6native12_GLOBAL__N_124unique_dim_cuda_templateIjEESt5tupleIJNSC_6TensorESH_SH_EERKSH_lbbbEUlllE1_EE10hipError_tPvRmT2_T3_mT4_P12ihipStream_tbEUlmE_lEESB_NS0_8identityIvEEEESM_SP_SQ_mSR_ST_bEUlT_E_NS1_11comp_targetILNS1_3genE4ELNS1_11target_archE910ELNS1_3gpuE8ELNS1_3repE0EEENS1_30default_config_static_selectorELNS0_4arch9wavefront6targetE1EEEvT1_.private_seg_size, 0
	.set _ZN7rocprim17ROCPRIM_400000_NS6detail17trampoline_kernelINS0_14default_configENS1_25transform_config_selectorIlLb0EEEZNS1_14transform_implILb0ES3_S5_NS0_18transform_iteratorINS0_17counting_iteratorImlEEZNS1_24adjacent_difference_implIS3_Lb1ELb0EPlSB_ZN2at6native12_GLOBAL__N_124unique_dim_cuda_templateIjEESt5tupleIJNSC_6TensorESH_SH_EERKSH_lbbbEUlllE1_EE10hipError_tPvRmT2_T3_mT4_P12ihipStream_tbEUlmE_lEESB_NS0_8identityIvEEEESM_SP_SQ_mSR_ST_bEUlT_E_NS1_11comp_targetILNS1_3genE4ELNS1_11target_archE910ELNS1_3gpuE8ELNS1_3repE0EEENS1_30default_config_static_selectorELNS0_4arch9wavefront6targetE1EEEvT1_.uses_vcc, 0
	.set _ZN7rocprim17ROCPRIM_400000_NS6detail17trampoline_kernelINS0_14default_configENS1_25transform_config_selectorIlLb0EEEZNS1_14transform_implILb0ES3_S5_NS0_18transform_iteratorINS0_17counting_iteratorImlEEZNS1_24adjacent_difference_implIS3_Lb1ELb0EPlSB_ZN2at6native12_GLOBAL__N_124unique_dim_cuda_templateIjEESt5tupleIJNSC_6TensorESH_SH_EERKSH_lbbbEUlllE1_EE10hipError_tPvRmT2_T3_mT4_P12ihipStream_tbEUlmE_lEESB_NS0_8identityIvEEEESM_SP_SQ_mSR_ST_bEUlT_E_NS1_11comp_targetILNS1_3genE4ELNS1_11target_archE910ELNS1_3gpuE8ELNS1_3repE0EEENS1_30default_config_static_selectorELNS0_4arch9wavefront6targetE1EEEvT1_.uses_flat_scratch, 0
	.set _ZN7rocprim17ROCPRIM_400000_NS6detail17trampoline_kernelINS0_14default_configENS1_25transform_config_selectorIlLb0EEEZNS1_14transform_implILb0ES3_S5_NS0_18transform_iteratorINS0_17counting_iteratorImlEEZNS1_24adjacent_difference_implIS3_Lb1ELb0EPlSB_ZN2at6native12_GLOBAL__N_124unique_dim_cuda_templateIjEESt5tupleIJNSC_6TensorESH_SH_EERKSH_lbbbEUlllE1_EE10hipError_tPvRmT2_T3_mT4_P12ihipStream_tbEUlmE_lEESB_NS0_8identityIvEEEESM_SP_SQ_mSR_ST_bEUlT_E_NS1_11comp_targetILNS1_3genE4ELNS1_11target_archE910ELNS1_3gpuE8ELNS1_3repE0EEENS1_30default_config_static_selectorELNS0_4arch9wavefront6targetE1EEEvT1_.has_dyn_sized_stack, 0
	.set _ZN7rocprim17ROCPRIM_400000_NS6detail17trampoline_kernelINS0_14default_configENS1_25transform_config_selectorIlLb0EEEZNS1_14transform_implILb0ES3_S5_NS0_18transform_iteratorINS0_17counting_iteratorImlEEZNS1_24adjacent_difference_implIS3_Lb1ELb0EPlSB_ZN2at6native12_GLOBAL__N_124unique_dim_cuda_templateIjEESt5tupleIJNSC_6TensorESH_SH_EERKSH_lbbbEUlllE1_EE10hipError_tPvRmT2_T3_mT4_P12ihipStream_tbEUlmE_lEESB_NS0_8identityIvEEEESM_SP_SQ_mSR_ST_bEUlT_E_NS1_11comp_targetILNS1_3genE4ELNS1_11target_archE910ELNS1_3gpuE8ELNS1_3repE0EEENS1_30default_config_static_selectorELNS0_4arch9wavefront6targetE1EEEvT1_.has_recursion, 0
	.set _ZN7rocprim17ROCPRIM_400000_NS6detail17trampoline_kernelINS0_14default_configENS1_25transform_config_selectorIlLb0EEEZNS1_14transform_implILb0ES3_S5_NS0_18transform_iteratorINS0_17counting_iteratorImlEEZNS1_24adjacent_difference_implIS3_Lb1ELb0EPlSB_ZN2at6native12_GLOBAL__N_124unique_dim_cuda_templateIjEESt5tupleIJNSC_6TensorESH_SH_EERKSH_lbbbEUlllE1_EE10hipError_tPvRmT2_T3_mT4_P12ihipStream_tbEUlmE_lEESB_NS0_8identityIvEEEESM_SP_SQ_mSR_ST_bEUlT_E_NS1_11comp_targetILNS1_3genE4ELNS1_11target_archE910ELNS1_3gpuE8ELNS1_3repE0EEENS1_30default_config_static_selectorELNS0_4arch9wavefront6targetE1EEEvT1_.has_indirect_call, 0
	.section	.AMDGPU.csdata,"",@progbits
; Kernel info:
; codeLenInByte = 0
; TotalNumSgprs: 6
; NumVgprs: 0
; NumAgprs: 0
; TotalNumVgprs: 0
; ScratchSize: 0
; MemoryBound: 0
; FloatMode: 240
; IeeeMode: 1
; LDSByteSize: 0 bytes/workgroup (compile time only)
; SGPRBlocks: 0
; VGPRBlocks: 0
; NumSGPRsForWavesPerEU: 6
; NumVGPRsForWavesPerEU: 1
; AccumOffset: 4
; Occupancy: 8
; WaveLimiterHint : 0
; COMPUTE_PGM_RSRC2:SCRATCH_EN: 0
; COMPUTE_PGM_RSRC2:USER_SGPR: 2
; COMPUTE_PGM_RSRC2:TRAP_HANDLER: 0
; COMPUTE_PGM_RSRC2:TGID_X_EN: 1
; COMPUTE_PGM_RSRC2:TGID_Y_EN: 0
; COMPUTE_PGM_RSRC2:TGID_Z_EN: 0
; COMPUTE_PGM_RSRC2:TIDIG_COMP_CNT: 0
; COMPUTE_PGM_RSRC3_GFX90A:ACCUM_OFFSET: 0
; COMPUTE_PGM_RSRC3_GFX90A:TG_SPLIT: 0
	.section	.text._ZN7rocprim17ROCPRIM_400000_NS6detail17trampoline_kernelINS0_14default_configENS1_25transform_config_selectorIlLb0EEEZNS1_14transform_implILb0ES3_S5_NS0_18transform_iteratorINS0_17counting_iteratorImlEEZNS1_24adjacent_difference_implIS3_Lb1ELb0EPlSB_ZN2at6native12_GLOBAL__N_124unique_dim_cuda_templateIjEESt5tupleIJNSC_6TensorESH_SH_EERKSH_lbbbEUlllE1_EE10hipError_tPvRmT2_T3_mT4_P12ihipStream_tbEUlmE_lEESB_NS0_8identityIvEEEESM_SP_SQ_mSR_ST_bEUlT_E_NS1_11comp_targetILNS1_3genE3ELNS1_11target_archE908ELNS1_3gpuE7ELNS1_3repE0EEENS1_30default_config_static_selectorELNS0_4arch9wavefront6targetE1EEEvT1_,"axG",@progbits,_ZN7rocprim17ROCPRIM_400000_NS6detail17trampoline_kernelINS0_14default_configENS1_25transform_config_selectorIlLb0EEEZNS1_14transform_implILb0ES3_S5_NS0_18transform_iteratorINS0_17counting_iteratorImlEEZNS1_24adjacent_difference_implIS3_Lb1ELb0EPlSB_ZN2at6native12_GLOBAL__N_124unique_dim_cuda_templateIjEESt5tupleIJNSC_6TensorESH_SH_EERKSH_lbbbEUlllE1_EE10hipError_tPvRmT2_T3_mT4_P12ihipStream_tbEUlmE_lEESB_NS0_8identityIvEEEESM_SP_SQ_mSR_ST_bEUlT_E_NS1_11comp_targetILNS1_3genE3ELNS1_11target_archE908ELNS1_3gpuE7ELNS1_3repE0EEENS1_30default_config_static_selectorELNS0_4arch9wavefront6targetE1EEEvT1_,comdat
	.globl	_ZN7rocprim17ROCPRIM_400000_NS6detail17trampoline_kernelINS0_14default_configENS1_25transform_config_selectorIlLb0EEEZNS1_14transform_implILb0ES3_S5_NS0_18transform_iteratorINS0_17counting_iteratorImlEEZNS1_24adjacent_difference_implIS3_Lb1ELb0EPlSB_ZN2at6native12_GLOBAL__N_124unique_dim_cuda_templateIjEESt5tupleIJNSC_6TensorESH_SH_EERKSH_lbbbEUlllE1_EE10hipError_tPvRmT2_T3_mT4_P12ihipStream_tbEUlmE_lEESB_NS0_8identityIvEEEESM_SP_SQ_mSR_ST_bEUlT_E_NS1_11comp_targetILNS1_3genE3ELNS1_11target_archE908ELNS1_3gpuE7ELNS1_3repE0EEENS1_30default_config_static_selectorELNS0_4arch9wavefront6targetE1EEEvT1_ ; -- Begin function _ZN7rocprim17ROCPRIM_400000_NS6detail17trampoline_kernelINS0_14default_configENS1_25transform_config_selectorIlLb0EEEZNS1_14transform_implILb0ES3_S5_NS0_18transform_iteratorINS0_17counting_iteratorImlEEZNS1_24adjacent_difference_implIS3_Lb1ELb0EPlSB_ZN2at6native12_GLOBAL__N_124unique_dim_cuda_templateIjEESt5tupleIJNSC_6TensorESH_SH_EERKSH_lbbbEUlllE1_EE10hipError_tPvRmT2_T3_mT4_P12ihipStream_tbEUlmE_lEESB_NS0_8identityIvEEEESM_SP_SQ_mSR_ST_bEUlT_E_NS1_11comp_targetILNS1_3genE3ELNS1_11target_archE908ELNS1_3gpuE7ELNS1_3repE0EEENS1_30default_config_static_selectorELNS0_4arch9wavefront6targetE1EEEvT1_
	.p2align	8
	.type	_ZN7rocprim17ROCPRIM_400000_NS6detail17trampoline_kernelINS0_14default_configENS1_25transform_config_selectorIlLb0EEEZNS1_14transform_implILb0ES3_S5_NS0_18transform_iteratorINS0_17counting_iteratorImlEEZNS1_24adjacent_difference_implIS3_Lb1ELb0EPlSB_ZN2at6native12_GLOBAL__N_124unique_dim_cuda_templateIjEESt5tupleIJNSC_6TensorESH_SH_EERKSH_lbbbEUlllE1_EE10hipError_tPvRmT2_T3_mT4_P12ihipStream_tbEUlmE_lEESB_NS0_8identityIvEEEESM_SP_SQ_mSR_ST_bEUlT_E_NS1_11comp_targetILNS1_3genE3ELNS1_11target_archE908ELNS1_3gpuE7ELNS1_3repE0EEENS1_30default_config_static_selectorELNS0_4arch9wavefront6targetE1EEEvT1_,@function
_ZN7rocprim17ROCPRIM_400000_NS6detail17trampoline_kernelINS0_14default_configENS1_25transform_config_selectorIlLb0EEEZNS1_14transform_implILb0ES3_S5_NS0_18transform_iteratorINS0_17counting_iteratorImlEEZNS1_24adjacent_difference_implIS3_Lb1ELb0EPlSB_ZN2at6native12_GLOBAL__N_124unique_dim_cuda_templateIjEESt5tupleIJNSC_6TensorESH_SH_EERKSH_lbbbEUlllE1_EE10hipError_tPvRmT2_T3_mT4_P12ihipStream_tbEUlmE_lEESB_NS0_8identityIvEEEESM_SP_SQ_mSR_ST_bEUlT_E_NS1_11comp_targetILNS1_3genE3ELNS1_11target_archE908ELNS1_3gpuE7ELNS1_3repE0EEENS1_30default_config_static_selectorELNS0_4arch9wavefront6targetE1EEEvT1_: ; @_ZN7rocprim17ROCPRIM_400000_NS6detail17trampoline_kernelINS0_14default_configENS1_25transform_config_selectorIlLb0EEEZNS1_14transform_implILb0ES3_S5_NS0_18transform_iteratorINS0_17counting_iteratorImlEEZNS1_24adjacent_difference_implIS3_Lb1ELb0EPlSB_ZN2at6native12_GLOBAL__N_124unique_dim_cuda_templateIjEESt5tupleIJNSC_6TensorESH_SH_EERKSH_lbbbEUlllE1_EE10hipError_tPvRmT2_T3_mT4_P12ihipStream_tbEUlmE_lEESB_NS0_8identityIvEEEESM_SP_SQ_mSR_ST_bEUlT_E_NS1_11comp_targetILNS1_3genE3ELNS1_11target_archE908ELNS1_3gpuE7ELNS1_3repE0EEENS1_30default_config_static_selectorELNS0_4arch9wavefront6targetE1EEEvT1_
; %bb.0:
	.section	.rodata,"a",@progbits
	.p2align	6, 0x0
	.amdhsa_kernel _ZN7rocprim17ROCPRIM_400000_NS6detail17trampoline_kernelINS0_14default_configENS1_25transform_config_selectorIlLb0EEEZNS1_14transform_implILb0ES3_S5_NS0_18transform_iteratorINS0_17counting_iteratorImlEEZNS1_24adjacent_difference_implIS3_Lb1ELb0EPlSB_ZN2at6native12_GLOBAL__N_124unique_dim_cuda_templateIjEESt5tupleIJNSC_6TensorESH_SH_EERKSH_lbbbEUlllE1_EE10hipError_tPvRmT2_T3_mT4_P12ihipStream_tbEUlmE_lEESB_NS0_8identityIvEEEESM_SP_SQ_mSR_ST_bEUlT_E_NS1_11comp_targetILNS1_3genE3ELNS1_11target_archE908ELNS1_3gpuE7ELNS1_3repE0EEENS1_30default_config_static_selectorELNS0_4arch9wavefront6targetE1EEEvT1_
		.amdhsa_group_segment_fixed_size 0
		.amdhsa_private_segment_fixed_size 0
		.amdhsa_kernarg_size 56
		.amdhsa_user_sgpr_count 2
		.amdhsa_user_sgpr_dispatch_ptr 0
		.amdhsa_user_sgpr_queue_ptr 0
		.amdhsa_user_sgpr_kernarg_segment_ptr 1
		.amdhsa_user_sgpr_dispatch_id 0
		.amdhsa_user_sgpr_kernarg_preload_length 0
		.amdhsa_user_sgpr_kernarg_preload_offset 0
		.amdhsa_user_sgpr_private_segment_size 0
		.amdhsa_uses_dynamic_stack 0
		.amdhsa_enable_private_segment 0
		.amdhsa_system_sgpr_workgroup_id_x 1
		.amdhsa_system_sgpr_workgroup_id_y 0
		.amdhsa_system_sgpr_workgroup_id_z 0
		.amdhsa_system_sgpr_workgroup_info 0
		.amdhsa_system_vgpr_workitem_id 0
		.amdhsa_next_free_vgpr 1
		.amdhsa_next_free_sgpr 0
		.amdhsa_accum_offset 4
		.amdhsa_reserve_vcc 0
		.amdhsa_float_round_mode_32 0
		.amdhsa_float_round_mode_16_64 0
		.amdhsa_float_denorm_mode_32 3
		.amdhsa_float_denorm_mode_16_64 3
		.amdhsa_dx10_clamp 1
		.amdhsa_ieee_mode 1
		.amdhsa_fp16_overflow 0
		.amdhsa_tg_split 0
		.amdhsa_exception_fp_ieee_invalid_op 0
		.amdhsa_exception_fp_denorm_src 0
		.amdhsa_exception_fp_ieee_div_zero 0
		.amdhsa_exception_fp_ieee_overflow 0
		.amdhsa_exception_fp_ieee_underflow 0
		.amdhsa_exception_fp_ieee_inexact 0
		.amdhsa_exception_int_div_zero 0
	.end_amdhsa_kernel
	.section	.text._ZN7rocprim17ROCPRIM_400000_NS6detail17trampoline_kernelINS0_14default_configENS1_25transform_config_selectorIlLb0EEEZNS1_14transform_implILb0ES3_S5_NS0_18transform_iteratorINS0_17counting_iteratorImlEEZNS1_24adjacent_difference_implIS3_Lb1ELb0EPlSB_ZN2at6native12_GLOBAL__N_124unique_dim_cuda_templateIjEESt5tupleIJNSC_6TensorESH_SH_EERKSH_lbbbEUlllE1_EE10hipError_tPvRmT2_T3_mT4_P12ihipStream_tbEUlmE_lEESB_NS0_8identityIvEEEESM_SP_SQ_mSR_ST_bEUlT_E_NS1_11comp_targetILNS1_3genE3ELNS1_11target_archE908ELNS1_3gpuE7ELNS1_3repE0EEENS1_30default_config_static_selectorELNS0_4arch9wavefront6targetE1EEEvT1_,"axG",@progbits,_ZN7rocprim17ROCPRIM_400000_NS6detail17trampoline_kernelINS0_14default_configENS1_25transform_config_selectorIlLb0EEEZNS1_14transform_implILb0ES3_S5_NS0_18transform_iteratorINS0_17counting_iteratorImlEEZNS1_24adjacent_difference_implIS3_Lb1ELb0EPlSB_ZN2at6native12_GLOBAL__N_124unique_dim_cuda_templateIjEESt5tupleIJNSC_6TensorESH_SH_EERKSH_lbbbEUlllE1_EE10hipError_tPvRmT2_T3_mT4_P12ihipStream_tbEUlmE_lEESB_NS0_8identityIvEEEESM_SP_SQ_mSR_ST_bEUlT_E_NS1_11comp_targetILNS1_3genE3ELNS1_11target_archE908ELNS1_3gpuE7ELNS1_3repE0EEENS1_30default_config_static_selectorELNS0_4arch9wavefront6targetE1EEEvT1_,comdat
.Lfunc_end1527:
	.size	_ZN7rocprim17ROCPRIM_400000_NS6detail17trampoline_kernelINS0_14default_configENS1_25transform_config_selectorIlLb0EEEZNS1_14transform_implILb0ES3_S5_NS0_18transform_iteratorINS0_17counting_iteratorImlEEZNS1_24adjacent_difference_implIS3_Lb1ELb0EPlSB_ZN2at6native12_GLOBAL__N_124unique_dim_cuda_templateIjEESt5tupleIJNSC_6TensorESH_SH_EERKSH_lbbbEUlllE1_EE10hipError_tPvRmT2_T3_mT4_P12ihipStream_tbEUlmE_lEESB_NS0_8identityIvEEEESM_SP_SQ_mSR_ST_bEUlT_E_NS1_11comp_targetILNS1_3genE3ELNS1_11target_archE908ELNS1_3gpuE7ELNS1_3repE0EEENS1_30default_config_static_selectorELNS0_4arch9wavefront6targetE1EEEvT1_, .Lfunc_end1527-_ZN7rocprim17ROCPRIM_400000_NS6detail17trampoline_kernelINS0_14default_configENS1_25transform_config_selectorIlLb0EEEZNS1_14transform_implILb0ES3_S5_NS0_18transform_iteratorINS0_17counting_iteratorImlEEZNS1_24adjacent_difference_implIS3_Lb1ELb0EPlSB_ZN2at6native12_GLOBAL__N_124unique_dim_cuda_templateIjEESt5tupleIJNSC_6TensorESH_SH_EERKSH_lbbbEUlllE1_EE10hipError_tPvRmT2_T3_mT4_P12ihipStream_tbEUlmE_lEESB_NS0_8identityIvEEEESM_SP_SQ_mSR_ST_bEUlT_E_NS1_11comp_targetILNS1_3genE3ELNS1_11target_archE908ELNS1_3gpuE7ELNS1_3repE0EEENS1_30default_config_static_selectorELNS0_4arch9wavefront6targetE1EEEvT1_
                                        ; -- End function
	.set _ZN7rocprim17ROCPRIM_400000_NS6detail17trampoline_kernelINS0_14default_configENS1_25transform_config_selectorIlLb0EEEZNS1_14transform_implILb0ES3_S5_NS0_18transform_iteratorINS0_17counting_iteratorImlEEZNS1_24adjacent_difference_implIS3_Lb1ELb0EPlSB_ZN2at6native12_GLOBAL__N_124unique_dim_cuda_templateIjEESt5tupleIJNSC_6TensorESH_SH_EERKSH_lbbbEUlllE1_EE10hipError_tPvRmT2_T3_mT4_P12ihipStream_tbEUlmE_lEESB_NS0_8identityIvEEEESM_SP_SQ_mSR_ST_bEUlT_E_NS1_11comp_targetILNS1_3genE3ELNS1_11target_archE908ELNS1_3gpuE7ELNS1_3repE0EEENS1_30default_config_static_selectorELNS0_4arch9wavefront6targetE1EEEvT1_.num_vgpr, 0
	.set _ZN7rocprim17ROCPRIM_400000_NS6detail17trampoline_kernelINS0_14default_configENS1_25transform_config_selectorIlLb0EEEZNS1_14transform_implILb0ES3_S5_NS0_18transform_iteratorINS0_17counting_iteratorImlEEZNS1_24adjacent_difference_implIS3_Lb1ELb0EPlSB_ZN2at6native12_GLOBAL__N_124unique_dim_cuda_templateIjEESt5tupleIJNSC_6TensorESH_SH_EERKSH_lbbbEUlllE1_EE10hipError_tPvRmT2_T3_mT4_P12ihipStream_tbEUlmE_lEESB_NS0_8identityIvEEEESM_SP_SQ_mSR_ST_bEUlT_E_NS1_11comp_targetILNS1_3genE3ELNS1_11target_archE908ELNS1_3gpuE7ELNS1_3repE0EEENS1_30default_config_static_selectorELNS0_4arch9wavefront6targetE1EEEvT1_.num_agpr, 0
	.set _ZN7rocprim17ROCPRIM_400000_NS6detail17trampoline_kernelINS0_14default_configENS1_25transform_config_selectorIlLb0EEEZNS1_14transform_implILb0ES3_S5_NS0_18transform_iteratorINS0_17counting_iteratorImlEEZNS1_24adjacent_difference_implIS3_Lb1ELb0EPlSB_ZN2at6native12_GLOBAL__N_124unique_dim_cuda_templateIjEESt5tupleIJNSC_6TensorESH_SH_EERKSH_lbbbEUlllE1_EE10hipError_tPvRmT2_T3_mT4_P12ihipStream_tbEUlmE_lEESB_NS0_8identityIvEEEESM_SP_SQ_mSR_ST_bEUlT_E_NS1_11comp_targetILNS1_3genE3ELNS1_11target_archE908ELNS1_3gpuE7ELNS1_3repE0EEENS1_30default_config_static_selectorELNS0_4arch9wavefront6targetE1EEEvT1_.numbered_sgpr, 0
	.set _ZN7rocprim17ROCPRIM_400000_NS6detail17trampoline_kernelINS0_14default_configENS1_25transform_config_selectorIlLb0EEEZNS1_14transform_implILb0ES3_S5_NS0_18transform_iteratorINS0_17counting_iteratorImlEEZNS1_24adjacent_difference_implIS3_Lb1ELb0EPlSB_ZN2at6native12_GLOBAL__N_124unique_dim_cuda_templateIjEESt5tupleIJNSC_6TensorESH_SH_EERKSH_lbbbEUlllE1_EE10hipError_tPvRmT2_T3_mT4_P12ihipStream_tbEUlmE_lEESB_NS0_8identityIvEEEESM_SP_SQ_mSR_ST_bEUlT_E_NS1_11comp_targetILNS1_3genE3ELNS1_11target_archE908ELNS1_3gpuE7ELNS1_3repE0EEENS1_30default_config_static_selectorELNS0_4arch9wavefront6targetE1EEEvT1_.num_named_barrier, 0
	.set _ZN7rocprim17ROCPRIM_400000_NS6detail17trampoline_kernelINS0_14default_configENS1_25transform_config_selectorIlLb0EEEZNS1_14transform_implILb0ES3_S5_NS0_18transform_iteratorINS0_17counting_iteratorImlEEZNS1_24adjacent_difference_implIS3_Lb1ELb0EPlSB_ZN2at6native12_GLOBAL__N_124unique_dim_cuda_templateIjEESt5tupleIJNSC_6TensorESH_SH_EERKSH_lbbbEUlllE1_EE10hipError_tPvRmT2_T3_mT4_P12ihipStream_tbEUlmE_lEESB_NS0_8identityIvEEEESM_SP_SQ_mSR_ST_bEUlT_E_NS1_11comp_targetILNS1_3genE3ELNS1_11target_archE908ELNS1_3gpuE7ELNS1_3repE0EEENS1_30default_config_static_selectorELNS0_4arch9wavefront6targetE1EEEvT1_.private_seg_size, 0
	.set _ZN7rocprim17ROCPRIM_400000_NS6detail17trampoline_kernelINS0_14default_configENS1_25transform_config_selectorIlLb0EEEZNS1_14transform_implILb0ES3_S5_NS0_18transform_iteratorINS0_17counting_iteratorImlEEZNS1_24adjacent_difference_implIS3_Lb1ELb0EPlSB_ZN2at6native12_GLOBAL__N_124unique_dim_cuda_templateIjEESt5tupleIJNSC_6TensorESH_SH_EERKSH_lbbbEUlllE1_EE10hipError_tPvRmT2_T3_mT4_P12ihipStream_tbEUlmE_lEESB_NS0_8identityIvEEEESM_SP_SQ_mSR_ST_bEUlT_E_NS1_11comp_targetILNS1_3genE3ELNS1_11target_archE908ELNS1_3gpuE7ELNS1_3repE0EEENS1_30default_config_static_selectorELNS0_4arch9wavefront6targetE1EEEvT1_.uses_vcc, 0
	.set _ZN7rocprim17ROCPRIM_400000_NS6detail17trampoline_kernelINS0_14default_configENS1_25transform_config_selectorIlLb0EEEZNS1_14transform_implILb0ES3_S5_NS0_18transform_iteratorINS0_17counting_iteratorImlEEZNS1_24adjacent_difference_implIS3_Lb1ELb0EPlSB_ZN2at6native12_GLOBAL__N_124unique_dim_cuda_templateIjEESt5tupleIJNSC_6TensorESH_SH_EERKSH_lbbbEUlllE1_EE10hipError_tPvRmT2_T3_mT4_P12ihipStream_tbEUlmE_lEESB_NS0_8identityIvEEEESM_SP_SQ_mSR_ST_bEUlT_E_NS1_11comp_targetILNS1_3genE3ELNS1_11target_archE908ELNS1_3gpuE7ELNS1_3repE0EEENS1_30default_config_static_selectorELNS0_4arch9wavefront6targetE1EEEvT1_.uses_flat_scratch, 0
	.set _ZN7rocprim17ROCPRIM_400000_NS6detail17trampoline_kernelINS0_14default_configENS1_25transform_config_selectorIlLb0EEEZNS1_14transform_implILb0ES3_S5_NS0_18transform_iteratorINS0_17counting_iteratorImlEEZNS1_24adjacent_difference_implIS3_Lb1ELb0EPlSB_ZN2at6native12_GLOBAL__N_124unique_dim_cuda_templateIjEESt5tupleIJNSC_6TensorESH_SH_EERKSH_lbbbEUlllE1_EE10hipError_tPvRmT2_T3_mT4_P12ihipStream_tbEUlmE_lEESB_NS0_8identityIvEEEESM_SP_SQ_mSR_ST_bEUlT_E_NS1_11comp_targetILNS1_3genE3ELNS1_11target_archE908ELNS1_3gpuE7ELNS1_3repE0EEENS1_30default_config_static_selectorELNS0_4arch9wavefront6targetE1EEEvT1_.has_dyn_sized_stack, 0
	.set _ZN7rocprim17ROCPRIM_400000_NS6detail17trampoline_kernelINS0_14default_configENS1_25transform_config_selectorIlLb0EEEZNS1_14transform_implILb0ES3_S5_NS0_18transform_iteratorINS0_17counting_iteratorImlEEZNS1_24adjacent_difference_implIS3_Lb1ELb0EPlSB_ZN2at6native12_GLOBAL__N_124unique_dim_cuda_templateIjEESt5tupleIJNSC_6TensorESH_SH_EERKSH_lbbbEUlllE1_EE10hipError_tPvRmT2_T3_mT4_P12ihipStream_tbEUlmE_lEESB_NS0_8identityIvEEEESM_SP_SQ_mSR_ST_bEUlT_E_NS1_11comp_targetILNS1_3genE3ELNS1_11target_archE908ELNS1_3gpuE7ELNS1_3repE0EEENS1_30default_config_static_selectorELNS0_4arch9wavefront6targetE1EEEvT1_.has_recursion, 0
	.set _ZN7rocprim17ROCPRIM_400000_NS6detail17trampoline_kernelINS0_14default_configENS1_25transform_config_selectorIlLb0EEEZNS1_14transform_implILb0ES3_S5_NS0_18transform_iteratorINS0_17counting_iteratorImlEEZNS1_24adjacent_difference_implIS3_Lb1ELb0EPlSB_ZN2at6native12_GLOBAL__N_124unique_dim_cuda_templateIjEESt5tupleIJNSC_6TensorESH_SH_EERKSH_lbbbEUlllE1_EE10hipError_tPvRmT2_T3_mT4_P12ihipStream_tbEUlmE_lEESB_NS0_8identityIvEEEESM_SP_SQ_mSR_ST_bEUlT_E_NS1_11comp_targetILNS1_3genE3ELNS1_11target_archE908ELNS1_3gpuE7ELNS1_3repE0EEENS1_30default_config_static_selectorELNS0_4arch9wavefront6targetE1EEEvT1_.has_indirect_call, 0
	.section	.AMDGPU.csdata,"",@progbits
; Kernel info:
; codeLenInByte = 0
; TotalNumSgprs: 6
; NumVgprs: 0
; NumAgprs: 0
; TotalNumVgprs: 0
; ScratchSize: 0
; MemoryBound: 0
; FloatMode: 240
; IeeeMode: 1
; LDSByteSize: 0 bytes/workgroup (compile time only)
; SGPRBlocks: 0
; VGPRBlocks: 0
; NumSGPRsForWavesPerEU: 6
; NumVGPRsForWavesPerEU: 1
; AccumOffset: 4
; Occupancy: 8
; WaveLimiterHint : 0
; COMPUTE_PGM_RSRC2:SCRATCH_EN: 0
; COMPUTE_PGM_RSRC2:USER_SGPR: 2
; COMPUTE_PGM_RSRC2:TRAP_HANDLER: 0
; COMPUTE_PGM_RSRC2:TGID_X_EN: 1
; COMPUTE_PGM_RSRC2:TGID_Y_EN: 0
; COMPUTE_PGM_RSRC2:TGID_Z_EN: 0
; COMPUTE_PGM_RSRC2:TIDIG_COMP_CNT: 0
; COMPUTE_PGM_RSRC3_GFX90A:ACCUM_OFFSET: 0
; COMPUTE_PGM_RSRC3_GFX90A:TG_SPLIT: 0
	.section	.text._ZN7rocprim17ROCPRIM_400000_NS6detail17trampoline_kernelINS0_14default_configENS1_25transform_config_selectorIlLb0EEEZNS1_14transform_implILb0ES3_S5_NS0_18transform_iteratorINS0_17counting_iteratorImlEEZNS1_24adjacent_difference_implIS3_Lb1ELb0EPlSB_ZN2at6native12_GLOBAL__N_124unique_dim_cuda_templateIjEESt5tupleIJNSC_6TensorESH_SH_EERKSH_lbbbEUlllE1_EE10hipError_tPvRmT2_T3_mT4_P12ihipStream_tbEUlmE_lEESB_NS0_8identityIvEEEESM_SP_SQ_mSR_ST_bEUlT_E_NS1_11comp_targetILNS1_3genE2ELNS1_11target_archE906ELNS1_3gpuE6ELNS1_3repE0EEENS1_30default_config_static_selectorELNS0_4arch9wavefront6targetE1EEEvT1_,"axG",@progbits,_ZN7rocprim17ROCPRIM_400000_NS6detail17trampoline_kernelINS0_14default_configENS1_25transform_config_selectorIlLb0EEEZNS1_14transform_implILb0ES3_S5_NS0_18transform_iteratorINS0_17counting_iteratorImlEEZNS1_24adjacent_difference_implIS3_Lb1ELb0EPlSB_ZN2at6native12_GLOBAL__N_124unique_dim_cuda_templateIjEESt5tupleIJNSC_6TensorESH_SH_EERKSH_lbbbEUlllE1_EE10hipError_tPvRmT2_T3_mT4_P12ihipStream_tbEUlmE_lEESB_NS0_8identityIvEEEESM_SP_SQ_mSR_ST_bEUlT_E_NS1_11comp_targetILNS1_3genE2ELNS1_11target_archE906ELNS1_3gpuE6ELNS1_3repE0EEENS1_30default_config_static_selectorELNS0_4arch9wavefront6targetE1EEEvT1_,comdat
	.globl	_ZN7rocprim17ROCPRIM_400000_NS6detail17trampoline_kernelINS0_14default_configENS1_25transform_config_selectorIlLb0EEEZNS1_14transform_implILb0ES3_S5_NS0_18transform_iteratorINS0_17counting_iteratorImlEEZNS1_24adjacent_difference_implIS3_Lb1ELb0EPlSB_ZN2at6native12_GLOBAL__N_124unique_dim_cuda_templateIjEESt5tupleIJNSC_6TensorESH_SH_EERKSH_lbbbEUlllE1_EE10hipError_tPvRmT2_T3_mT4_P12ihipStream_tbEUlmE_lEESB_NS0_8identityIvEEEESM_SP_SQ_mSR_ST_bEUlT_E_NS1_11comp_targetILNS1_3genE2ELNS1_11target_archE906ELNS1_3gpuE6ELNS1_3repE0EEENS1_30default_config_static_selectorELNS0_4arch9wavefront6targetE1EEEvT1_ ; -- Begin function _ZN7rocprim17ROCPRIM_400000_NS6detail17trampoline_kernelINS0_14default_configENS1_25transform_config_selectorIlLb0EEEZNS1_14transform_implILb0ES3_S5_NS0_18transform_iteratorINS0_17counting_iteratorImlEEZNS1_24adjacent_difference_implIS3_Lb1ELb0EPlSB_ZN2at6native12_GLOBAL__N_124unique_dim_cuda_templateIjEESt5tupleIJNSC_6TensorESH_SH_EERKSH_lbbbEUlllE1_EE10hipError_tPvRmT2_T3_mT4_P12ihipStream_tbEUlmE_lEESB_NS0_8identityIvEEEESM_SP_SQ_mSR_ST_bEUlT_E_NS1_11comp_targetILNS1_3genE2ELNS1_11target_archE906ELNS1_3gpuE6ELNS1_3repE0EEENS1_30default_config_static_selectorELNS0_4arch9wavefront6targetE1EEEvT1_
	.p2align	8
	.type	_ZN7rocprim17ROCPRIM_400000_NS6detail17trampoline_kernelINS0_14default_configENS1_25transform_config_selectorIlLb0EEEZNS1_14transform_implILb0ES3_S5_NS0_18transform_iteratorINS0_17counting_iteratorImlEEZNS1_24adjacent_difference_implIS3_Lb1ELb0EPlSB_ZN2at6native12_GLOBAL__N_124unique_dim_cuda_templateIjEESt5tupleIJNSC_6TensorESH_SH_EERKSH_lbbbEUlllE1_EE10hipError_tPvRmT2_T3_mT4_P12ihipStream_tbEUlmE_lEESB_NS0_8identityIvEEEESM_SP_SQ_mSR_ST_bEUlT_E_NS1_11comp_targetILNS1_3genE2ELNS1_11target_archE906ELNS1_3gpuE6ELNS1_3repE0EEENS1_30default_config_static_selectorELNS0_4arch9wavefront6targetE1EEEvT1_,@function
_ZN7rocprim17ROCPRIM_400000_NS6detail17trampoline_kernelINS0_14default_configENS1_25transform_config_selectorIlLb0EEEZNS1_14transform_implILb0ES3_S5_NS0_18transform_iteratorINS0_17counting_iteratorImlEEZNS1_24adjacent_difference_implIS3_Lb1ELb0EPlSB_ZN2at6native12_GLOBAL__N_124unique_dim_cuda_templateIjEESt5tupleIJNSC_6TensorESH_SH_EERKSH_lbbbEUlllE1_EE10hipError_tPvRmT2_T3_mT4_P12ihipStream_tbEUlmE_lEESB_NS0_8identityIvEEEESM_SP_SQ_mSR_ST_bEUlT_E_NS1_11comp_targetILNS1_3genE2ELNS1_11target_archE906ELNS1_3gpuE6ELNS1_3repE0EEENS1_30default_config_static_selectorELNS0_4arch9wavefront6targetE1EEEvT1_: ; @_ZN7rocprim17ROCPRIM_400000_NS6detail17trampoline_kernelINS0_14default_configENS1_25transform_config_selectorIlLb0EEEZNS1_14transform_implILb0ES3_S5_NS0_18transform_iteratorINS0_17counting_iteratorImlEEZNS1_24adjacent_difference_implIS3_Lb1ELb0EPlSB_ZN2at6native12_GLOBAL__N_124unique_dim_cuda_templateIjEESt5tupleIJNSC_6TensorESH_SH_EERKSH_lbbbEUlllE1_EE10hipError_tPvRmT2_T3_mT4_P12ihipStream_tbEUlmE_lEESB_NS0_8identityIvEEEESM_SP_SQ_mSR_ST_bEUlT_E_NS1_11comp_targetILNS1_3genE2ELNS1_11target_archE906ELNS1_3gpuE6ELNS1_3repE0EEENS1_30default_config_static_selectorELNS0_4arch9wavefront6targetE1EEEvT1_
; %bb.0:
	.section	.rodata,"a",@progbits
	.p2align	6, 0x0
	.amdhsa_kernel _ZN7rocprim17ROCPRIM_400000_NS6detail17trampoline_kernelINS0_14default_configENS1_25transform_config_selectorIlLb0EEEZNS1_14transform_implILb0ES3_S5_NS0_18transform_iteratorINS0_17counting_iteratorImlEEZNS1_24adjacent_difference_implIS3_Lb1ELb0EPlSB_ZN2at6native12_GLOBAL__N_124unique_dim_cuda_templateIjEESt5tupleIJNSC_6TensorESH_SH_EERKSH_lbbbEUlllE1_EE10hipError_tPvRmT2_T3_mT4_P12ihipStream_tbEUlmE_lEESB_NS0_8identityIvEEEESM_SP_SQ_mSR_ST_bEUlT_E_NS1_11comp_targetILNS1_3genE2ELNS1_11target_archE906ELNS1_3gpuE6ELNS1_3repE0EEENS1_30default_config_static_selectorELNS0_4arch9wavefront6targetE1EEEvT1_
		.amdhsa_group_segment_fixed_size 0
		.amdhsa_private_segment_fixed_size 0
		.amdhsa_kernarg_size 56
		.amdhsa_user_sgpr_count 2
		.amdhsa_user_sgpr_dispatch_ptr 0
		.amdhsa_user_sgpr_queue_ptr 0
		.amdhsa_user_sgpr_kernarg_segment_ptr 1
		.amdhsa_user_sgpr_dispatch_id 0
		.amdhsa_user_sgpr_kernarg_preload_length 0
		.amdhsa_user_sgpr_kernarg_preload_offset 0
		.amdhsa_user_sgpr_private_segment_size 0
		.amdhsa_uses_dynamic_stack 0
		.amdhsa_enable_private_segment 0
		.amdhsa_system_sgpr_workgroup_id_x 1
		.amdhsa_system_sgpr_workgroup_id_y 0
		.amdhsa_system_sgpr_workgroup_id_z 0
		.amdhsa_system_sgpr_workgroup_info 0
		.amdhsa_system_vgpr_workitem_id 0
		.amdhsa_next_free_vgpr 1
		.amdhsa_next_free_sgpr 0
		.amdhsa_accum_offset 4
		.amdhsa_reserve_vcc 0
		.amdhsa_float_round_mode_32 0
		.amdhsa_float_round_mode_16_64 0
		.amdhsa_float_denorm_mode_32 3
		.amdhsa_float_denorm_mode_16_64 3
		.amdhsa_dx10_clamp 1
		.amdhsa_ieee_mode 1
		.amdhsa_fp16_overflow 0
		.amdhsa_tg_split 0
		.amdhsa_exception_fp_ieee_invalid_op 0
		.amdhsa_exception_fp_denorm_src 0
		.amdhsa_exception_fp_ieee_div_zero 0
		.amdhsa_exception_fp_ieee_overflow 0
		.amdhsa_exception_fp_ieee_underflow 0
		.amdhsa_exception_fp_ieee_inexact 0
		.amdhsa_exception_int_div_zero 0
	.end_amdhsa_kernel
	.section	.text._ZN7rocprim17ROCPRIM_400000_NS6detail17trampoline_kernelINS0_14default_configENS1_25transform_config_selectorIlLb0EEEZNS1_14transform_implILb0ES3_S5_NS0_18transform_iteratorINS0_17counting_iteratorImlEEZNS1_24adjacent_difference_implIS3_Lb1ELb0EPlSB_ZN2at6native12_GLOBAL__N_124unique_dim_cuda_templateIjEESt5tupleIJNSC_6TensorESH_SH_EERKSH_lbbbEUlllE1_EE10hipError_tPvRmT2_T3_mT4_P12ihipStream_tbEUlmE_lEESB_NS0_8identityIvEEEESM_SP_SQ_mSR_ST_bEUlT_E_NS1_11comp_targetILNS1_3genE2ELNS1_11target_archE906ELNS1_3gpuE6ELNS1_3repE0EEENS1_30default_config_static_selectorELNS0_4arch9wavefront6targetE1EEEvT1_,"axG",@progbits,_ZN7rocprim17ROCPRIM_400000_NS6detail17trampoline_kernelINS0_14default_configENS1_25transform_config_selectorIlLb0EEEZNS1_14transform_implILb0ES3_S5_NS0_18transform_iteratorINS0_17counting_iteratorImlEEZNS1_24adjacent_difference_implIS3_Lb1ELb0EPlSB_ZN2at6native12_GLOBAL__N_124unique_dim_cuda_templateIjEESt5tupleIJNSC_6TensorESH_SH_EERKSH_lbbbEUlllE1_EE10hipError_tPvRmT2_T3_mT4_P12ihipStream_tbEUlmE_lEESB_NS0_8identityIvEEEESM_SP_SQ_mSR_ST_bEUlT_E_NS1_11comp_targetILNS1_3genE2ELNS1_11target_archE906ELNS1_3gpuE6ELNS1_3repE0EEENS1_30default_config_static_selectorELNS0_4arch9wavefront6targetE1EEEvT1_,comdat
.Lfunc_end1528:
	.size	_ZN7rocprim17ROCPRIM_400000_NS6detail17trampoline_kernelINS0_14default_configENS1_25transform_config_selectorIlLb0EEEZNS1_14transform_implILb0ES3_S5_NS0_18transform_iteratorINS0_17counting_iteratorImlEEZNS1_24adjacent_difference_implIS3_Lb1ELb0EPlSB_ZN2at6native12_GLOBAL__N_124unique_dim_cuda_templateIjEESt5tupleIJNSC_6TensorESH_SH_EERKSH_lbbbEUlllE1_EE10hipError_tPvRmT2_T3_mT4_P12ihipStream_tbEUlmE_lEESB_NS0_8identityIvEEEESM_SP_SQ_mSR_ST_bEUlT_E_NS1_11comp_targetILNS1_3genE2ELNS1_11target_archE906ELNS1_3gpuE6ELNS1_3repE0EEENS1_30default_config_static_selectorELNS0_4arch9wavefront6targetE1EEEvT1_, .Lfunc_end1528-_ZN7rocprim17ROCPRIM_400000_NS6detail17trampoline_kernelINS0_14default_configENS1_25transform_config_selectorIlLb0EEEZNS1_14transform_implILb0ES3_S5_NS0_18transform_iteratorINS0_17counting_iteratorImlEEZNS1_24adjacent_difference_implIS3_Lb1ELb0EPlSB_ZN2at6native12_GLOBAL__N_124unique_dim_cuda_templateIjEESt5tupleIJNSC_6TensorESH_SH_EERKSH_lbbbEUlllE1_EE10hipError_tPvRmT2_T3_mT4_P12ihipStream_tbEUlmE_lEESB_NS0_8identityIvEEEESM_SP_SQ_mSR_ST_bEUlT_E_NS1_11comp_targetILNS1_3genE2ELNS1_11target_archE906ELNS1_3gpuE6ELNS1_3repE0EEENS1_30default_config_static_selectorELNS0_4arch9wavefront6targetE1EEEvT1_
                                        ; -- End function
	.set _ZN7rocprim17ROCPRIM_400000_NS6detail17trampoline_kernelINS0_14default_configENS1_25transform_config_selectorIlLb0EEEZNS1_14transform_implILb0ES3_S5_NS0_18transform_iteratorINS0_17counting_iteratorImlEEZNS1_24adjacent_difference_implIS3_Lb1ELb0EPlSB_ZN2at6native12_GLOBAL__N_124unique_dim_cuda_templateIjEESt5tupleIJNSC_6TensorESH_SH_EERKSH_lbbbEUlllE1_EE10hipError_tPvRmT2_T3_mT4_P12ihipStream_tbEUlmE_lEESB_NS0_8identityIvEEEESM_SP_SQ_mSR_ST_bEUlT_E_NS1_11comp_targetILNS1_3genE2ELNS1_11target_archE906ELNS1_3gpuE6ELNS1_3repE0EEENS1_30default_config_static_selectorELNS0_4arch9wavefront6targetE1EEEvT1_.num_vgpr, 0
	.set _ZN7rocprim17ROCPRIM_400000_NS6detail17trampoline_kernelINS0_14default_configENS1_25transform_config_selectorIlLb0EEEZNS1_14transform_implILb0ES3_S5_NS0_18transform_iteratorINS0_17counting_iteratorImlEEZNS1_24adjacent_difference_implIS3_Lb1ELb0EPlSB_ZN2at6native12_GLOBAL__N_124unique_dim_cuda_templateIjEESt5tupleIJNSC_6TensorESH_SH_EERKSH_lbbbEUlllE1_EE10hipError_tPvRmT2_T3_mT4_P12ihipStream_tbEUlmE_lEESB_NS0_8identityIvEEEESM_SP_SQ_mSR_ST_bEUlT_E_NS1_11comp_targetILNS1_3genE2ELNS1_11target_archE906ELNS1_3gpuE6ELNS1_3repE0EEENS1_30default_config_static_selectorELNS0_4arch9wavefront6targetE1EEEvT1_.num_agpr, 0
	.set _ZN7rocprim17ROCPRIM_400000_NS6detail17trampoline_kernelINS0_14default_configENS1_25transform_config_selectorIlLb0EEEZNS1_14transform_implILb0ES3_S5_NS0_18transform_iteratorINS0_17counting_iteratorImlEEZNS1_24adjacent_difference_implIS3_Lb1ELb0EPlSB_ZN2at6native12_GLOBAL__N_124unique_dim_cuda_templateIjEESt5tupleIJNSC_6TensorESH_SH_EERKSH_lbbbEUlllE1_EE10hipError_tPvRmT2_T3_mT4_P12ihipStream_tbEUlmE_lEESB_NS0_8identityIvEEEESM_SP_SQ_mSR_ST_bEUlT_E_NS1_11comp_targetILNS1_3genE2ELNS1_11target_archE906ELNS1_3gpuE6ELNS1_3repE0EEENS1_30default_config_static_selectorELNS0_4arch9wavefront6targetE1EEEvT1_.numbered_sgpr, 0
	.set _ZN7rocprim17ROCPRIM_400000_NS6detail17trampoline_kernelINS0_14default_configENS1_25transform_config_selectorIlLb0EEEZNS1_14transform_implILb0ES3_S5_NS0_18transform_iteratorINS0_17counting_iteratorImlEEZNS1_24adjacent_difference_implIS3_Lb1ELb0EPlSB_ZN2at6native12_GLOBAL__N_124unique_dim_cuda_templateIjEESt5tupleIJNSC_6TensorESH_SH_EERKSH_lbbbEUlllE1_EE10hipError_tPvRmT2_T3_mT4_P12ihipStream_tbEUlmE_lEESB_NS0_8identityIvEEEESM_SP_SQ_mSR_ST_bEUlT_E_NS1_11comp_targetILNS1_3genE2ELNS1_11target_archE906ELNS1_3gpuE6ELNS1_3repE0EEENS1_30default_config_static_selectorELNS0_4arch9wavefront6targetE1EEEvT1_.num_named_barrier, 0
	.set _ZN7rocprim17ROCPRIM_400000_NS6detail17trampoline_kernelINS0_14default_configENS1_25transform_config_selectorIlLb0EEEZNS1_14transform_implILb0ES3_S5_NS0_18transform_iteratorINS0_17counting_iteratorImlEEZNS1_24adjacent_difference_implIS3_Lb1ELb0EPlSB_ZN2at6native12_GLOBAL__N_124unique_dim_cuda_templateIjEESt5tupleIJNSC_6TensorESH_SH_EERKSH_lbbbEUlllE1_EE10hipError_tPvRmT2_T3_mT4_P12ihipStream_tbEUlmE_lEESB_NS0_8identityIvEEEESM_SP_SQ_mSR_ST_bEUlT_E_NS1_11comp_targetILNS1_3genE2ELNS1_11target_archE906ELNS1_3gpuE6ELNS1_3repE0EEENS1_30default_config_static_selectorELNS0_4arch9wavefront6targetE1EEEvT1_.private_seg_size, 0
	.set _ZN7rocprim17ROCPRIM_400000_NS6detail17trampoline_kernelINS0_14default_configENS1_25transform_config_selectorIlLb0EEEZNS1_14transform_implILb0ES3_S5_NS0_18transform_iteratorINS0_17counting_iteratorImlEEZNS1_24adjacent_difference_implIS3_Lb1ELb0EPlSB_ZN2at6native12_GLOBAL__N_124unique_dim_cuda_templateIjEESt5tupleIJNSC_6TensorESH_SH_EERKSH_lbbbEUlllE1_EE10hipError_tPvRmT2_T3_mT4_P12ihipStream_tbEUlmE_lEESB_NS0_8identityIvEEEESM_SP_SQ_mSR_ST_bEUlT_E_NS1_11comp_targetILNS1_3genE2ELNS1_11target_archE906ELNS1_3gpuE6ELNS1_3repE0EEENS1_30default_config_static_selectorELNS0_4arch9wavefront6targetE1EEEvT1_.uses_vcc, 0
	.set _ZN7rocprim17ROCPRIM_400000_NS6detail17trampoline_kernelINS0_14default_configENS1_25transform_config_selectorIlLb0EEEZNS1_14transform_implILb0ES3_S5_NS0_18transform_iteratorINS0_17counting_iteratorImlEEZNS1_24adjacent_difference_implIS3_Lb1ELb0EPlSB_ZN2at6native12_GLOBAL__N_124unique_dim_cuda_templateIjEESt5tupleIJNSC_6TensorESH_SH_EERKSH_lbbbEUlllE1_EE10hipError_tPvRmT2_T3_mT4_P12ihipStream_tbEUlmE_lEESB_NS0_8identityIvEEEESM_SP_SQ_mSR_ST_bEUlT_E_NS1_11comp_targetILNS1_3genE2ELNS1_11target_archE906ELNS1_3gpuE6ELNS1_3repE0EEENS1_30default_config_static_selectorELNS0_4arch9wavefront6targetE1EEEvT1_.uses_flat_scratch, 0
	.set _ZN7rocprim17ROCPRIM_400000_NS6detail17trampoline_kernelINS0_14default_configENS1_25transform_config_selectorIlLb0EEEZNS1_14transform_implILb0ES3_S5_NS0_18transform_iteratorINS0_17counting_iteratorImlEEZNS1_24adjacent_difference_implIS3_Lb1ELb0EPlSB_ZN2at6native12_GLOBAL__N_124unique_dim_cuda_templateIjEESt5tupleIJNSC_6TensorESH_SH_EERKSH_lbbbEUlllE1_EE10hipError_tPvRmT2_T3_mT4_P12ihipStream_tbEUlmE_lEESB_NS0_8identityIvEEEESM_SP_SQ_mSR_ST_bEUlT_E_NS1_11comp_targetILNS1_3genE2ELNS1_11target_archE906ELNS1_3gpuE6ELNS1_3repE0EEENS1_30default_config_static_selectorELNS0_4arch9wavefront6targetE1EEEvT1_.has_dyn_sized_stack, 0
	.set _ZN7rocprim17ROCPRIM_400000_NS6detail17trampoline_kernelINS0_14default_configENS1_25transform_config_selectorIlLb0EEEZNS1_14transform_implILb0ES3_S5_NS0_18transform_iteratorINS0_17counting_iteratorImlEEZNS1_24adjacent_difference_implIS3_Lb1ELb0EPlSB_ZN2at6native12_GLOBAL__N_124unique_dim_cuda_templateIjEESt5tupleIJNSC_6TensorESH_SH_EERKSH_lbbbEUlllE1_EE10hipError_tPvRmT2_T3_mT4_P12ihipStream_tbEUlmE_lEESB_NS0_8identityIvEEEESM_SP_SQ_mSR_ST_bEUlT_E_NS1_11comp_targetILNS1_3genE2ELNS1_11target_archE906ELNS1_3gpuE6ELNS1_3repE0EEENS1_30default_config_static_selectorELNS0_4arch9wavefront6targetE1EEEvT1_.has_recursion, 0
	.set _ZN7rocprim17ROCPRIM_400000_NS6detail17trampoline_kernelINS0_14default_configENS1_25transform_config_selectorIlLb0EEEZNS1_14transform_implILb0ES3_S5_NS0_18transform_iteratorINS0_17counting_iteratorImlEEZNS1_24adjacent_difference_implIS3_Lb1ELb0EPlSB_ZN2at6native12_GLOBAL__N_124unique_dim_cuda_templateIjEESt5tupleIJNSC_6TensorESH_SH_EERKSH_lbbbEUlllE1_EE10hipError_tPvRmT2_T3_mT4_P12ihipStream_tbEUlmE_lEESB_NS0_8identityIvEEEESM_SP_SQ_mSR_ST_bEUlT_E_NS1_11comp_targetILNS1_3genE2ELNS1_11target_archE906ELNS1_3gpuE6ELNS1_3repE0EEENS1_30default_config_static_selectorELNS0_4arch9wavefront6targetE1EEEvT1_.has_indirect_call, 0
	.section	.AMDGPU.csdata,"",@progbits
; Kernel info:
; codeLenInByte = 0
; TotalNumSgprs: 6
; NumVgprs: 0
; NumAgprs: 0
; TotalNumVgprs: 0
; ScratchSize: 0
; MemoryBound: 0
; FloatMode: 240
; IeeeMode: 1
; LDSByteSize: 0 bytes/workgroup (compile time only)
; SGPRBlocks: 0
; VGPRBlocks: 0
; NumSGPRsForWavesPerEU: 6
; NumVGPRsForWavesPerEU: 1
; AccumOffset: 4
; Occupancy: 8
; WaveLimiterHint : 0
; COMPUTE_PGM_RSRC2:SCRATCH_EN: 0
; COMPUTE_PGM_RSRC2:USER_SGPR: 2
; COMPUTE_PGM_RSRC2:TRAP_HANDLER: 0
; COMPUTE_PGM_RSRC2:TGID_X_EN: 1
; COMPUTE_PGM_RSRC2:TGID_Y_EN: 0
; COMPUTE_PGM_RSRC2:TGID_Z_EN: 0
; COMPUTE_PGM_RSRC2:TIDIG_COMP_CNT: 0
; COMPUTE_PGM_RSRC3_GFX90A:ACCUM_OFFSET: 0
; COMPUTE_PGM_RSRC3_GFX90A:TG_SPLIT: 0
	.section	.text._ZN7rocprim17ROCPRIM_400000_NS6detail17trampoline_kernelINS0_14default_configENS1_25transform_config_selectorIlLb0EEEZNS1_14transform_implILb0ES3_S5_NS0_18transform_iteratorINS0_17counting_iteratorImlEEZNS1_24adjacent_difference_implIS3_Lb1ELb0EPlSB_ZN2at6native12_GLOBAL__N_124unique_dim_cuda_templateIjEESt5tupleIJNSC_6TensorESH_SH_EERKSH_lbbbEUlllE1_EE10hipError_tPvRmT2_T3_mT4_P12ihipStream_tbEUlmE_lEESB_NS0_8identityIvEEEESM_SP_SQ_mSR_ST_bEUlT_E_NS1_11comp_targetILNS1_3genE10ELNS1_11target_archE1201ELNS1_3gpuE5ELNS1_3repE0EEENS1_30default_config_static_selectorELNS0_4arch9wavefront6targetE1EEEvT1_,"axG",@progbits,_ZN7rocprim17ROCPRIM_400000_NS6detail17trampoline_kernelINS0_14default_configENS1_25transform_config_selectorIlLb0EEEZNS1_14transform_implILb0ES3_S5_NS0_18transform_iteratorINS0_17counting_iteratorImlEEZNS1_24adjacent_difference_implIS3_Lb1ELb0EPlSB_ZN2at6native12_GLOBAL__N_124unique_dim_cuda_templateIjEESt5tupleIJNSC_6TensorESH_SH_EERKSH_lbbbEUlllE1_EE10hipError_tPvRmT2_T3_mT4_P12ihipStream_tbEUlmE_lEESB_NS0_8identityIvEEEESM_SP_SQ_mSR_ST_bEUlT_E_NS1_11comp_targetILNS1_3genE10ELNS1_11target_archE1201ELNS1_3gpuE5ELNS1_3repE0EEENS1_30default_config_static_selectorELNS0_4arch9wavefront6targetE1EEEvT1_,comdat
	.globl	_ZN7rocprim17ROCPRIM_400000_NS6detail17trampoline_kernelINS0_14default_configENS1_25transform_config_selectorIlLb0EEEZNS1_14transform_implILb0ES3_S5_NS0_18transform_iteratorINS0_17counting_iteratorImlEEZNS1_24adjacent_difference_implIS3_Lb1ELb0EPlSB_ZN2at6native12_GLOBAL__N_124unique_dim_cuda_templateIjEESt5tupleIJNSC_6TensorESH_SH_EERKSH_lbbbEUlllE1_EE10hipError_tPvRmT2_T3_mT4_P12ihipStream_tbEUlmE_lEESB_NS0_8identityIvEEEESM_SP_SQ_mSR_ST_bEUlT_E_NS1_11comp_targetILNS1_3genE10ELNS1_11target_archE1201ELNS1_3gpuE5ELNS1_3repE0EEENS1_30default_config_static_selectorELNS0_4arch9wavefront6targetE1EEEvT1_ ; -- Begin function _ZN7rocprim17ROCPRIM_400000_NS6detail17trampoline_kernelINS0_14default_configENS1_25transform_config_selectorIlLb0EEEZNS1_14transform_implILb0ES3_S5_NS0_18transform_iteratorINS0_17counting_iteratorImlEEZNS1_24adjacent_difference_implIS3_Lb1ELb0EPlSB_ZN2at6native12_GLOBAL__N_124unique_dim_cuda_templateIjEESt5tupleIJNSC_6TensorESH_SH_EERKSH_lbbbEUlllE1_EE10hipError_tPvRmT2_T3_mT4_P12ihipStream_tbEUlmE_lEESB_NS0_8identityIvEEEESM_SP_SQ_mSR_ST_bEUlT_E_NS1_11comp_targetILNS1_3genE10ELNS1_11target_archE1201ELNS1_3gpuE5ELNS1_3repE0EEENS1_30default_config_static_selectorELNS0_4arch9wavefront6targetE1EEEvT1_
	.p2align	8
	.type	_ZN7rocprim17ROCPRIM_400000_NS6detail17trampoline_kernelINS0_14default_configENS1_25transform_config_selectorIlLb0EEEZNS1_14transform_implILb0ES3_S5_NS0_18transform_iteratorINS0_17counting_iteratorImlEEZNS1_24adjacent_difference_implIS3_Lb1ELb0EPlSB_ZN2at6native12_GLOBAL__N_124unique_dim_cuda_templateIjEESt5tupleIJNSC_6TensorESH_SH_EERKSH_lbbbEUlllE1_EE10hipError_tPvRmT2_T3_mT4_P12ihipStream_tbEUlmE_lEESB_NS0_8identityIvEEEESM_SP_SQ_mSR_ST_bEUlT_E_NS1_11comp_targetILNS1_3genE10ELNS1_11target_archE1201ELNS1_3gpuE5ELNS1_3repE0EEENS1_30default_config_static_selectorELNS0_4arch9wavefront6targetE1EEEvT1_,@function
_ZN7rocprim17ROCPRIM_400000_NS6detail17trampoline_kernelINS0_14default_configENS1_25transform_config_selectorIlLb0EEEZNS1_14transform_implILb0ES3_S5_NS0_18transform_iteratorINS0_17counting_iteratorImlEEZNS1_24adjacent_difference_implIS3_Lb1ELb0EPlSB_ZN2at6native12_GLOBAL__N_124unique_dim_cuda_templateIjEESt5tupleIJNSC_6TensorESH_SH_EERKSH_lbbbEUlllE1_EE10hipError_tPvRmT2_T3_mT4_P12ihipStream_tbEUlmE_lEESB_NS0_8identityIvEEEESM_SP_SQ_mSR_ST_bEUlT_E_NS1_11comp_targetILNS1_3genE10ELNS1_11target_archE1201ELNS1_3gpuE5ELNS1_3repE0EEENS1_30default_config_static_selectorELNS0_4arch9wavefront6targetE1EEEvT1_: ; @_ZN7rocprim17ROCPRIM_400000_NS6detail17trampoline_kernelINS0_14default_configENS1_25transform_config_selectorIlLb0EEEZNS1_14transform_implILb0ES3_S5_NS0_18transform_iteratorINS0_17counting_iteratorImlEEZNS1_24adjacent_difference_implIS3_Lb1ELb0EPlSB_ZN2at6native12_GLOBAL__N_124unique_dim_cuda_templateIjEESt5tupleIJNSC_6TensorESH_SH_EERKSH_lbbbEUlllE1_EE10hipError_tPvRmT2_T3_mT4_P12ihipStream_tbEUlmE_lEESB_NS0_8identityIvEEEESM_SP_SQ_mSR_ST_bEUlT_E_NS1_11comp_targetILNS1_3genE10ELNS1_11target_archE1201ELNS1_3gpuE5ELNS1_3repE0EEENS1_30default_config_static_selectorELNS0_4arch9wavefront6targetE1EEEvT1_
; %bb.0:
	.section	.rodata,"a",@progbits
	.p2align	6, 0x0
	.amdhsa_kernel _ZN7rocprim17ROCPRIM_400000_NS6detail17trampoline_kernelINS0_14default_configENS1_25transform_config_selectorIlLb0EEEZNS1_14transform_implILb0ES3_S5_NS0_18transform_iteratorINS0_17counting_iteratorImlEEZNS1_24adjacent_difference_implIS3_Lb1ELb0EPlSB_ZN2at6native12_GLOBAL__N_124unique_dim_cuda_templateIjEESt5tupleIJNSC_6TensorESH_SH_EERKSH_lbbbEUlllE1_EE10hipError_tPvRmT2_T3_mT4_P12ihipStream_tbEUlmE_lEESB_NS0_8identityIvEEEESM_SP_SQ_mSR_ST_bEUlT_E_NS1_11comp_targetILNS1_3genE10ELNS1_11target_archE1201ELNS1_3gpuE5ELNS1_3repE0EEENS1_30default_config_static_selectorELNS0_4arch9wavefront6targetE1EEEvT1_
		.amdhsa_group_segment_fixed_size 0
		.amdhsa_private_segment_fixed_size 0
		.amdhsa_kernarg_size 56
		.amdhsa_user_sgpr_count 2
		.amdhsa_user_sgpr_dispatch_ptr 0
		.amdhsa_user_sgpr_queue_ptr 0
		.amdhsa_user_sgpr_kernarg_segment_ptr 1
		.amdhsa_user_sgpr_dispatch_id 0
		.amdhsa_user_sgpr_kernarg_preload_length 0
		.amdhsa_user_sgpr_kernarg_preload_offset 0
		.amdhsa_user_sgpr_private_segment_size 0
		.amdhsa_uses_dynamic_stack 0
		.amdhsa_enable_private_segment 0
		.amdhsa_system_sgpr_workgroup_id_x 1
		.amdhsa_system_sgpr_workgroup_id_y 0
		.amdhsa_system_sgpr_workgroup_id_z 0
		.amdhsa_system_sgpr_workgroup_info 0
		.amdhsa_system_vgpr_workitem_id 0
		.amdhsa_next_free_vgpr 1
		.amdhsa_next_free_sgpr 0
		.amdhsa_accum_offset 4
		.amdhsa_reserve_vcc 0
		.amdhsa_float_round_mode_32 0
		.amdhsa_float_round_mode_16_64 0
		.amdhsa_float_denorm_mode_32 3
		.amdhsa_float_denorm_mode_16_64 3
		.amdhsa_dx10_clamp 1
		.amdhsa_ieee_mode 1
		.amdhsa_fp16_overflow 0
		.amdhsa_tg_split 0
		.amdhsa_exception_fp_ieee_invalid_op 0
		.amdhsa_exception_fp_denorm_src 0
		.amdhsa_exception_fp_ieee_div_zero 0
		.amdhsa_exception_fp_ieee_overflow 0
		.amdhsa_exception_fp_ieee_underflow 0
		.amdhsa_exception_fp_ieee_inexact 0
		.amdhsa_exception_int_div_zero 0
	.end_amdhsa_kernel
	.section	.text._ZN7rocprim17ROCPRIM_400000_NS6detail17trampoline_kernelINS0_14default_configENS1_25transform_config_selectorIlLb0EEEZNS1_14transform_implILb0ES3_S5_NS0_18transform_iteratorINS0_17counting_iteratorImlEEZNS1_24adjacent_difference_implIS3_Lb1ELb0EPlSB_ZN2at6native12_GLOBAL__N_124unique_dim_cuda_templateIjEESt5tupleIJNSC_6TensorESH_SH_EERKSH_lbbbEUlllE1_EE10hipError_tPvRmT2_T3_mT4_P12ihipStream_tbEUlmE_lEESB_NS0_8identityIvEEEESM_SP_SQ_mSR_ST_bEUlT_E_NS1_11comp_targetILNS1_3genE10ELNS1_11target_archE1201ELNS1_3gpuE5ELNS1_3repE0EEENS1_30default_config_static_selectorELNS0_4arch9wavefront6targetE1EEEvT1_,"axG",@progbits,_ZN7rocprim17ROCPRIM_400000_NS6detail17trampoline_kernelINS0_14default_configENS1_25transform_config_selectorIlLb0EEEZNS1_14transform_implILb0ES3_S5_NS0_18transform_iteratorINS0_17counting_iteratorImlEEZNS1_24adjacent_difference_implIS3_Lb1ELb0EPlSB_ZN2at6native12_GLOBAL__N_124unique_dim_cuda_templateIjEESt5tupleIJNSC_6TensorESH_SH_EERKSH_lbbbEUlllE1_EE10hipError_tPvRmT2_T3_mT4_P12ihipStream_tbEUlmE_lEESB_NS0_8identityIvEEEESM_SP_SQ_mSR_ST_bEUlT_E_NS1_11comp_targetILNS1_3genE10ELNS1_11target_archE1201ELNS1_3gpuE5ELNS1_3repE0EEENS1_30default_config_static_selectorELNS0_4arch9wavefront6targetE1EEEvT1_,comdat
.Lfunc_end1529:
	.size	_ZN7rocprim17ROCPRIM_400000_NS6detail17trampoline_kernelINS0_14default_configENS1_25transform_config_selectorIlLb0EEEZNS1_14transform_implILb0ES3_S5_NS0_18transform_iteratorINS0_17counting_iteratorImlEEZNS1_24adjacent_difference_implIS3_Lb1ELb0EPlSB_ZN2at6native12_GLOBAL__N_124unique_dim_cuda_templateIjEESt5tupleIJNSC_6TensorESH_SH_EERKSH_lbbbEUlllE1_EE10hipError_tPvRmT2_T3_mT4_P12ihipStream_tbEUlmE_lEESB_NS0_8identityIvEEEESM_SP_SQ_mSR_ST_bEUlT_E_NS1_11comp_targetILNS1_3genE10ELNS1_11target_archE1201ELNS1_3gpuE5ELNS1_3repE0EEENS1_30default_config_static_selectorELNS0_4arch9wavefront6targetE1EEEvT1_, .Lfunc_end1529-_ZN7rocprim17ROCPRIM_400000_NS6detail17trampoline_kernelINS0_14default_configENS1_25transform_config_selectorIlLb0EEEZNS1_14transform_implILb0ES3_S5_NS0_18transform_iteratorINS0_17counting_iteratorImlEEZNS1_24adjacent_difference_implIS3_Lb1ELb0EPlSB_ZN2at6native12_GLOBAL__N_124unique_dim_cuda_templateIjEESt5tupleIJNSC_6TensorESH_SH_EERKSH_lbbbEUlllE1_EE10hipError_tPvRmT2_T3_mT4_P12ihipStream_tbEUlmE_lEESB_NS0_8identityIvEEEESM_SP_SQ_mSR_ST_bEUlT_E_NS1_11comp_targetILNS1_3genE10ELNS1_11target_archE1201ELNS1_3gpuE5ELNS1_3repE0EEENS1_30default_config_static_selectorELNS0_4arch9wavefront6targetE1EEEvT1_
                                        ; -- End function
	.set _ZN7rocprim17ROCPRIM_400000_NS6detail17trampoline_kernelINS0_14default_configENS1_25transform_config_selectorIlLb0EEEZNS1_14transform_implILb0ES3_S5_NS0_18transform_iteratorINS0_17counting_iteratorImlEEZNS1_24adjacent_difference_implIS3_Lb1ELb0EPlSB_ZN2at6native12_GLOBAL__N_124unique_dim_cuda_templateIjEESt5tupleIJNSC_6TensorESH_SH_EERKSH_lbbbEUlllE1_EE10hipError_tPvRmT2_T3_mT4_P12ihipStream_tbEUlmE_lEESB_NS0_8identityIvEEEESM_SP_SQ_mSR_ST_bEUlT_E_NS1_11comp_targetILNS1_3genE10ELNS1_11target_archE1201ELNS1_3gpuE5ELNS1_3repE0EEENS1_30default_config_static_selectorELNS0_4arch9wavefront6targetE1EEEvT1_.num_vgpr, 0
	.set _ZN7rocprim17ROCPRIM_400000_NS6detail17trampoline_kernelINS0_14default_configENS1_25transform_config_selectorIlLb0EEEZNS1_14transform_implILb0ES3_S5_NS0_18transform_iteratorINS0_17counting_iteratorImlEEZNS1_24adjacent_difference_implIS3_Lb1ELb0EPlSB_ZN2at6native12_GLOBAL__N_124unique_dim_cuda_templateIjEESt5tupleIJNSC_6TensorESH_SH_EERKSH_lbbbEUlllE1_EE10hipError_tPvRmT2_T3_mT4_P12ihipStream_tbEUlmE_lEESB_NS0_8identityIvEEEESM_SP_SQ_mSR_ST_bEUlT_E_NS1_11comp_targetILNS1_3genE10ELNS1_11target_archE1201ELNS1_3gpuE5ELNS1_3repE0EEENS1_30default_config_static_selectorELNS0_4arch9wavefront6targetE1EEEvT1_.num_agpr, 0
	.set _ZN7rocprim17ROCPRIM_400000_NS6detail17trampoline_kernelINS0_14default_configENS1_25transform_config_selectorIlLb0EEEZNS1_14transform_implILb0ES3_S5_NS0_18transform_iteratorINS0_17counting_iteratorImlEEZNS1_24adjacent_difference_implIS3_Lb1ELb0EPlSB_ZN2at6native12_GLOBAL__N_124unique_dim_cuda_templateIjEESt5tupleIJNSC_6TensorESH_SH_EERKSH_lbbbEUlllE1_EE10hipError_tPvRmT2_T3_mT4_P12ihipStream_tbEUlmE_lEESB_NS0_8identityIvEEEESM_SP_SQ_mSR_ST_bEUlT_E_NS1_11comp_targetILNS1_3genE10ELNS1_11target_archE1201ELNS1_3gpuE5ELNS1_3repE0EEENS1_30default_config_static_selectorELNS0_4arch9wavefront6targetE1EEEvT1_.numbered_sgpr, 0
	.set _ZN7rocprim17ROCPRIM_400000_NS6detail17trampoline_kernelINS0_14default_configENS1_25transform_config_selectorIlLb0EEEZNS1_14transform_implILb0ES3_S5_NS0_18transform_iteratorINS0_17counting_iteratorImlEEZNS1_24adjacent_difference_implIS3_Lb1ELb0EPlSB_ZN2at6native12_GLOBAL__N_124unique_dim_cuda_templateIjEESt5tupleIJNSC_6TensorESH_SH_EERKSH_lbbbEUlllE1_EE10hipError_tPvRmT2_T3_mT4_P12ihipStream_tbEUlmE_lEESB_NS0_8identityIvEEEESM_SP_SQ_mSR_ST_bEUlT_E_NS1_11comp_targetILNS1_3genE10ELNS1_11target_archE1201ELNS1_3gpuE5ELNS1_3repE0EEENS1_30default_config_static_selectorELNS0_4arch9wavefront6targetE1EEEvT1_.num_named_barrier, 0
	.set _ZN7rocprim17ROCPRIM_400000_NS6detail17trampoline_kernelINS0_14default_configENS1_25transform_config_selectorIlLb0EEEZNS1_14transform_implILb0ES3_S5_NS0_18transform_iteratorINS0_17counting_iteratorImlEEZNS1_24adjacent_difference_implIS3_Lb1ELb0EPlSB_ZN2at6native12_GLOBAL__N_124unique_dim_cuda_templateIjEESt5tupleIJNSC_6TensorESH_SH_EERKSH_lbbbEUlllE1_EE10hipError_tPvRmT2_T3_mT4_P12ihipStream_tbEUlmE_lEESB_NS0_8identityIvEEEESM_SP_SQ_mSR_ST_bEUlT_E_NS1_11comp_targetILNS1_3genE10ELNS1_11target_archE1201ELNS1_3gpuE5ELNS1_3repE0EEENS1_30default_config_static_selectorELNS0_4arch9wavefront6targetE1EEEvT1_.private_seg_size, 0
	.set _ZN7rocprim17ROCPRIM_400000_NS6detail17trampoline_kernelINS0_14default_configENS1_25transform_config_selectorIlLb0EEEZNS1_14transform_implILb0ES3_S5_NS0_18transform_iteratorINS0_17counting_iteratorImlEEZNS1_24adjacent_difference_implIS3_Lb1ELb0EPlSB_ZN2at6native12_GLOBAL__N_124unique_dim_cuda_templateIjEESt5tupleIJNSC_6TensorESH_SH_EERKSH_lbbbEUlllE1_EE10hipError_tPvRmT2_T3_mT4_P12ihipStream_tbEUlmE_lEESB_NS0_8identityIvEEEESM_SP_SQ_mSR_ST_bEUlT_E_NS1_11comp_targetILNS1_3genE10ELNS1_11target_archE1201ELNS1_3gpuE5ELNS1_3repE0EEENS1_30default_config_static_selectorELNS0_4arch9wavefront6targetE1EEEvT1_.uses_vcc, 0
	.set _ZN7rocprim17ROCPRIM_400000_NS6detail17trampoline_kernelINS0_14default_configENS1_25transform_config_selectorIlLb0EEEZNS1_14transform_implILb0ES3_S5_NS0_18transform_iteratorINS0_17counting_iteratorImlEEZNS1_24adjacent_difference_implIS3_Lb1ELb0EPlSB_ZN2at6native12_GLOBAL__N_124unique_dim_cuda_templateIjEESt5tupleIJNSC_6TensorESH_SH_EERKSH_lbbbEUlllE1_EE10hipError_tPvRmT2_T3_mT4_P12ihipStream_tbEUlmE_lEESB_NS0_8identityIvEEEESM_SP_SQ_mSR_ST_bEUlT_E_NS1_11comp_targetILNS1_3genE10ELNS1_11target_archE1201ELNS1_3gpuE5ELNS1_3repE0EEENS1_30default_config_static_selectorELNS0_4arch9wavefront6targetE1EEEvT1_.uses_flat_scratch, 0
	.set _ZN7rocprim17ROCPRIM_400000_NS6detail17trampoline_kernelINS0_14default_configENS1_25transform_config_selectorIlLb0EEEZNS1_14transform_implILb0ES3_S5_NS0_18transform_iteratorINS0_17counting_iteratorImlEEZNS1_24adjacent_difference_implIS3_Lb1ELb0EPlSB_ZN2at6native12_GLOBAL__N_124unique_dim_cuda_templateIjEESt5tupleIJNSC_6TensorESH_SH_EERKSH_lbbbEUlllE1_EE10hipError_tPvRmT2_T3_mT4_P12ihipStream_tbEUlmE_lEESB_NS0_8identityIvEEEESM_SP_SQ_mSR_ST_bEUlT_E_NS1_11comp_targetILNS1_3genE10ELNS1_11target_archE1201ELNS1_3gpuE5ELNS1_3repE0EEENS1_30default_config_static_selectorELNS0_4arch9wavefront6targetE1EEEvT1_.has_dyn_sized_stack, 0
	.set _ZN7rocprim17ROCPRIM_400000_NS6detail17trampoline_kernelINS0_14default_configENS1_25transform_config_selectorIlLb0EEEZNS1_14transform_implILb0ES3_S5_NS0_18transform_iteratorINS0_17counting_iteratorImlEEZNS1_24adjacent_difference_implIS3_Lb1ELb0EPlSB_ZN2at6native12_GLOBAL__N_124unique_dim_cuda_templateIjEESt5tupleIJNSC_6TensorESH_SH_EERKSH_lbbbEUlllE1_EE10hipError_tPvRmT2_T3_mT4_P12ihipStream_tbEUlmE_lEESB_NS0_8identityIvEEEESM_SP_SQ_mSR_ST_bEUlT_E_NS1_11comp_targetILNS1_3genE10ELNS1_11target_archE1201ELNS1_3gpuE5ELNS1_3repE0EEENS1_30default_config_static_selectorELNS0_4arch9wavefront6targetE1EEEvT1_.has_recursion, 0
	.set _ZN7rocprim17ROCPRIM_400000_NS6detail17trampoline_kernelINS0_14default_configENS1_25transform_config_selectorIlLb0EEEZNS1_14transform_implILb0ES3_S5_NS0_18transform_iteratorINS0_17counting_iteratorImlEEZNS1_24adjacent_difference_implIS3_Lb1ELb0EPlSB_ZN2at6native12_GLOBAL__N_124unique_dim_cuda_templateIjEESt5tupleIJNSC_6TensorESH_SH_EERKSH_lbbbEUlllE1_EE10hipError_tPvRmT2_T3_mT4_P12ihipStream_tbEUlmE_lEESB_NS0_8identityIvEEEESM_SP_SQ_mSR_ST_bEUlT_E_NS1_11comp_targetILNS1_3genE10ELNS1_11target_archE1201ELNS1_3gpuE5ELNS1_3repE0EEENS1_30default_config_static_selectorELNS0_4arch9wavefront6targetE1EEEvT1_.has_indirect_call, 0
	.section	.AMDGPU.csdata,"",@progbits
; Kernel info:
; codeLenInByte = 0
; TotalNumSgprs: 6
; NumVgprs: 0
; NumAgprs: 0
; TotalNumVgprs: 0
; ScratchSize: 0
; MemoryBound: 0
; FloatMode: 240
; IeeeMode: 1
; LDSByteSize: 0 bytes/workgroup (compile time only)
; SGPRBlocks: 0
; VGPRBlocks: 0
; NumSGPRsForWavesPerEU: 6
; NumVGPRsForWavesPerEU: 1
; AccumOffset: 4
; Occupancy: 8
; WaveLimiterHint : 0
; COMPUTE_PGM_RSRC2:SCRATCH_EN: 0
; COMPUTE_PGM_RSRC2:USER_SGPR: 2
; COMPUTE_PGM_RSRC2:TRAP_HANDLER: 0
; COMPUTE_PGM_RSRC2:TGID_X_EN: 1
; COMPUTE_PGM_RSRC2:TGID_Y_EN: 0
; COMPUTE_PGM_RSRC2:TGID_Z_EN: 0
; COMPUTE_PGM_RSRC2:TIDIG_COMP_CNT: 0
; COMPUTE_PGM_RSRC3_GFX90A:ACCUM_OFFSET: 0
; COMPUTE_PGM_RSRC3_GFX90A:TG_SPLIT: 0
	.section	.text._ZN7rocprim17ROCPRIM_400000_NS6detail17trampoline_kernelINS0_14default_configENS1_25transform_config_selectorIlLb0EEEZNS1_14transform_implILb0ES3_S5_NS0_18transform_iteratorINS0_17counting_iteratorImlEEZNS1_24adjacent_difference_implIS3_Lb1ELb0EPlSB_ZN2at6native12_GLOBAL__N_124unique_dim_cuda_templateIjEESt5tupleIJNSC_6TensorESH_SH_EERKSH_lbbbEUlllE1_EE10hipError_tPvRmT2_T3_mT4_P12ihipStream_tbEUlmE_lEESB_NS0_8identityIvEEEESM_SP_SQ_mSR_ST_bEUlT_E_NS1_11comp_targetILNS1_3genE10ELNS1_11target_archE1200ELNS1_3gpuE4ELNS1_3repE0EEENS1_30default_config_static_selectorELNS0_4arch9wavefront6targetE1EEEvT1_,"axG",@progbits,_ZN7rocprim17ROCPRIM_400000_NS6detail17trampoline_kernelINS0_14default_configENS1_25transform_config_selectorIlLb0EEEZNS1_14transform_implILb0ES3_S5_NS0_18transform_iteratorINS0_17counting_iteratorImlEEZNS1_24adjacent_difference_implIS3_Lb1ELb0EPlSB_ZN2at6native12_GLOBAL__N_124unique_dim_cuda_templateIjEESt5tupleIJNSC_6TensorESH_SH_EERKSH_lbbbEUlllE1_EE10hipError_tPvRmT2_T3_mT4_P12ihipStream_tbEUlmE_lEESB_NS0_8identityIvEEEESM_SP_SQ_mSR_ST_bEUlT_E_NS1_11comp_targetILNS1_3genE10ELNS1_11target_archE1200ELNS1_3gpuE4ELNS1_3repE0EEENS1_30default_config_static_selectorELNS0_4arch9wavefront6targetE1EEEvT1_,comdat
	.globl	_ZN7rocprim17ROCPRIM_400000_NS6detail17trampoline_kernelINS0_14default_configENS1_25transform_config_selectorIlLb0EEEZNS1_14transform_implILb0ES3_S5_NS0_18transform_iteratorINS0_17counting_iteratorImlEEZNS1_24adjacent_difference_implIS3_Lb1ELb0EPlSB_ZN2at6native12_GLOBAL__N_124unique_dim_cuda_templateIjEESt5tupleIJNSC_6TensorESH_SH_EERKSH_lbbbEUlllE1_EE10hipError_tPvRmT2_T3_mT4_P12ihipStream_tbEUlmE_lEESB_NS0_8identityIvEEEESM_SP_SQ_mSR_ST_bEUlT_E_NS1_11comp_targetILNS1_3genE10ELNS1_11target_archE1200ELNS1_3gpuE4ELNS1_3repE0EEENS1_30default_config_static_selectorELNS0_4arch9wavefront6targetE1EEEvT1_ ; -- Begin function _ZN7rocprim17ROCPRIM_400000_NS6detail17trampoline_kernelINS0_14default_configENS1_25transform_config_selectorIlLb0EEEZNS1_14transform_implILb0ES3_S5_NS0_18transform_iteratorINS0_17counting_iteratorImlEEZNS1_24adjacent_difference_implIS3_Lb1ELb0EPlSB_ZN2at6native12_GLOBAL__N_124unique_dim_cuda_templateIjEESt5tupleIJNSC_6TensorESH_SH_EERKSH_lbbbEUlllE1_EE10hipError_tPvRmT2_T3_mT4_P12ihipStream_tbEUlmE_lEESB_NS0_8identityIvEEEESM_SP_SQ_mSR_ST_bEUlT_E_NS1_11comp_targetILNS1_3genE10ELNS1_11target_archE1200ELNS1_3gpuE4ELNS1_3repE0EEENS1_30default_config_static_selectorELNS0_4arch9wavefront6targetE1EEEvT1_
	.p2align	8
	.type	_ZN7rocprim17ROCPRIM_400000_NS6detail17trampoline_kernelINS0_14default_configENS1_25transform_config_selectorIlLb0EEEZNS1_14transform_implILb0ES3_S5_NS0_18transform_iteratorINS0_17counting_iteratorImlEEZNS1_24adjacent_difference_implIS3_Lb1ELb0EPlSB_ZN2at6native12_GLOBAL__N_124unique_dim_cuda_templateIjEESt5tupleIJNSC_6TensorESH_SH_EERKSH_lbbbEUlllE1_EE10hipError_tPvRmT2_T3_mT4_P12ihipStream_tbEUlmE_lEESB_NS0_8identityIvEEEESM_SP_SQ_mSR_ST_bEUlT_E_NS1_11comp_targetILNS1_3genE10ELNS1_11target_archE1200ELNS1_3gpuE4ELNS1_3repE0EEENS1_30default_config_static_selectorELNS0_4arch9wavefront6targetE1EEEvT1_,@function
_ZN7rocprim17ROCPRIM_400000_NS6detail17trampoline_kernelINS0_14default_configENS1_25transform_config_selectorIlLb0EEEZNS1_14transform_implILb0ES3_S5_NS0_18transform_iteratorINS0_17counting_iteratorImlEEZNS1_24adjacent_difference_implIS3_Lb1ELb0EPlSB_ZN2at6native12_GLOBAL__N_124unique_dim_cuda_templateIjEESt5tupleIJNSC_6TensorESH_SH_EERKSH_lbbbEUlllE1_EE10hipError_tPvRmT2_T3_mT4_P12ihipStream_tbEUlmE_lEESB_NS0_8identityIvEEEESM_SP_SQ_mSR_ST_bEUlT_E_NS1_11comp_targetILNS1_3genE10ELNS1_11target_archE1200ELNS1_3gpuE4ELNS1_3repE0EEENS1_30default_config_static_selectorELNS0_4arch9wavefront6targetE1EEEvT1_: ; @_ZN7rocprim17ROCPRIM_400000_NS6detail17trampoline_kernelINS0_14default_configENS1_25transform_config_selectorIlLb0EEEZNS1_14transform_implILb0ES3_S5_NS0_18transform_iteratorINS0_17counting_iteratorImlEEZNS1_24adjacent_difference_implIS3_Lb1ELb0EPlSB_ZN2at6native12_GLOBAL__N_124unique_dim_cuda_templateIjEESt5tupleIJNSC_6TensorESH_SH_EERKSH_lbbbEUlllE1_EE10hipError_tPvRmT2_T3_mT4_P12ihipStream_tbEUlmE_lEESB_NS0_8identityIvEEEESM_SP_SQ_mSR_ST_bEUlT_E_NS1_11comp_targetILNS1_3genE10ELNS1_11target_archE1200ELNS1_3gpuE4ELNS1_3repE0EEENS1_30default_config_static_selectorELNS0_4arch9wavefront6targetE1EEEvT1_
; %bb.0:
	.section	.rodata,"a",@progbits
	.p2align	6, 0x0
	.amdhsa_kernel _ZN7rocprim17ROCPRIM_400000_NS6detail17trampoline_kernelINS0_14default_configENS1_25transform_config_selectorIlLb0EEEZNS1_14transform_implILb0ES3_S5_NS0_18transform_iteratorINS0_17counting_iteratorImlEEZNS1_24adjacent_difference_implIS3_Lb1ELb0EPlSB_ZN2at6native12_GLOBAL__N_124unique_dim_cuda_templateIjEESt5tupleIJNSC_6TensorESH_SH_EERKSH_lbbbEUlllE1_EE10hipError_tPvRmT2_T3_mT4_P12ihipStream_tbEUlmE_lEESB_NS0_8identityIvEEEESM_SP_SQ_mSR_ST_bEUlT_E_NS1_11comp_targetILNS1_3genE10ELNS1_11target_archE1200ELNS1_3gpuE4ELNS1_3repE0EEENS1_30default_config_static_selectorELNS0_4arch9wavefront6targetE1EEEvT1_
		.amdhsa_group_segment_fixed_size 0
		.amdhsa_private_segment_fixed_size 0
		.amdhsa_kernarg_size 56
		.amdhsa_user_sgpr_count 2
		.amdhsa_user_sgpr_dispatch_ptr 0
		.amdhsa_user_sgpr_queue_ptr 0
		.amdhsa_user_sgpr_kernarg_segment_ptr 1
		.amdhsa_user_sgpr_dispatch_id 0
		.amdhsa_user_sgpr_kernarg_preload_length 0
		.amdhsa_user_sgpr_kernarg_preload_offset 0
		.amdhsa_user_sgpr_private_segment_size 0
		.amdhsa_uses_dynamic_stack 0
		.amdhsa_enable_private_segment 0
		.amdhsa_system_sgpr_workgroup_id_x 1
		.amdhsa_system_sgpr_workgroup_id_y 0
		.amdhsa_system_sgpr_workgroup_id_z 0
		.amdhsa_system_sgpr_workgroup_info 0
		.amdhsa_system_vgpr_workitem_id 0
		.amdhsa_next_free_vgpr 1
		.amdhsa_next_free_sgpr 0
		.amdhsa_accum_offset 4
		.amdhsa_reserve_vcc 0
		.amdhsa_float_round_mode_32 0
		.amdhsa_float_round_mode_16_64 0
		.amdhsa_float_denorm_mode_32 3
		.amdhsa_float_denorm_mode_16_64 3
		.amdhsa_dx10_clamp 1
		.amdhsa_ieee_mode 1
		.amdhsa_fp16_overflow 0
		.amdhsa_tg_split 0
		.amdhsa_exception_fp_ieee_invalid_op 0
		.amdhsa_exception_fp_denorm_src 0
		.amdhsa_exception_fp_ieee_div_zero 0
		.amdhsa_exception_fp_ieee_overflow 0
		.amdhsa_exception_fp_ieee_underflow 0
		.amdhsa_exception_fp_ieee_inexact 0
		.amdhsa_exception_int_div_zero 0
	.end_amdhsa_kernel
	.section	.text._ZN7rocprim17ROCPRIM_400000_NS6detail17trampoline_kernelINS0_14default_configENS1_25transform_config_selectorIlLb0EEEZNS1_14transform_implILb0ES3_S5_NS0_18transform_iteratorINS0_17counting_iteratorImlEEZNS1_24adjacent_difference_implIS3_Lb1ELb0EPlSB_ZN2at6native12_GLOBAL__N_124unique_dim_cuda_templateIjEESt5tupleIJNSC_6TensorESH_SH_EERKSH_lbbbEUlllE1_EE10hipError_tPvRmT2_T3_mT4_P12ihipStream_tbEUlmE_lEESB_NS0_8identityIvEEEESM_SP_SQ_mSR_ST_bEUlT_E_NS1_11comp_targetILNS1_3genE10ELNS1_11target_archE1200ELNS1_3gpuE4ELNS1_3repE0EEENS1_30default_config_static_selectorELNS0_4arch9wavefront6targetE1EEEvT1_,"axG",@progbits,_ZN7rocprim17ROCPRIM_400000_NS6detail17trampoline_kernelINS0_14default_configENS1_25transform_config_selectorIlLb0EEEZNS1_14transform_implILb0ES3_S5_NS0_18transform_iteratorINS0_17counting_iteratorImlEEZNS1_24adjacent_difference_implIS3_Lb1ELb0EPlSB_ZN2at6native12_GLOBAL__N_124unique_dim_cuda_templateIjEESt5tupleIJNSC_6TensorESH_SH_EERKSH_lbbbEUlllE1_EE10hipError_tPvRmT2_T3_mT4_P12ihipStream_tbEUlmE_lEESB_NS0_8identityIvEEEESM_SP_SQ_mSR_ST_bEUlT_E_NS1_11comp_targetILNS1_3genE10ELNS1_11target_archE1200ELNS1_3gpuE4ELNS1_3repE0EEENS1_30default_config_static_selectorELNS0_4arch9wavefront6targetE1EEEvT1_,comdat
.Lfunc_end1530:
	.size	_ZN7rocprim17ROCPRIM_400000_NS6detail17trampoline_kernelINS0_14default_configENS1_25transform_config_selectorIlLb0EEEZNS1_14transform_implILb0ES3_S5_NS0_18transform_iteratorINS0_17counting_iteratorImlEEZNS1_24adjacent_difference_implIS3_Lb1ELb0EPlSB_ZN2at6native12_GLOBAL__N_124unique_dim_cuda_templateIjEESt5tupleIJNSC_6TensorESH_SH_EERKSH_lbbbEUlllE1_EE10hipError_tPvRmT2_T3_mT4_P12ihipStream_tbEUlmE_lEESB_NS0_8identityIvEEEESM_SP_SQ_mSR_ST_bEUlT_E_NS1_11comp_targetILNS1_3genE10ELNS1_11target_archE1200ELNS1_3gpuE4ELNS1_3repE0EEENS1_30default_config_static_selectorELNS0_4arch9wavefront6targetE1EEEvT1_, .Lfunc_end1530-_ZN7rocprim17ROCPRIM_400000_NS6detail17trampoline_kernelINS0_14default_configENS1_25transform_config_selectorIlLb0EEEZNS1_14transform_implILb0ES3_S5_NS0_18transform_iteratorINS0_17counting_iteratorImlEEZNS1_24adjacent_difference_implIS3_Lb1ELb0EPlSB_ZN2at6native12_GLOBAL__N_124unique_dim_cuda_templateIjEESt5tupleIJNSC_6TensorESH_SH_EERKSH_lbbbEUlllE1_EE10hipError_tPvRmT2_T3_mT4_P12ihipStream_tbEUlmE_lEESB_NS0_8identityIvEEEESM_SP_SQ_mSR_ST_bEUlT_E_NS1_11comp_targetILNS1_3genE10ELNS1_11target_archE1200ELNS1_3gpuE4ELNS1_3repE0EEENS1_30default_config_static_selectorELNS0_4arch9wavefront6targetE1EEEvT1_
                                        ; -- End function
	.set _ZN7rocprim17ROCPRIM_400000_NS6detail17trampoline_kernelINS0_14default_configENS1_25transform_config_selectorIlLb0EEEZNS1_14transform_implILb0ES3_S5_NS0_18transform_iteratorINS0_17counting_iteratorImlEEZNS1_24adjacent_difference_implIS3_Lb1ELb0EPlSB_ZN2at6native12_GLOBAL__N_124unique_dim_cuda_templateIjEESt5tupleIJNSC_6TensorESH_SH_EERKSH_lbbbEUlllE1_EE10hipError_tPvRmT2_T3_mT4_P12ihipStream_tbEUlmE_lEESB_NS0_8identityIvEEEESM_SP_SQ_mSR_ST_bEUlT_E_NS1_11comp_targetILNS1_3genE10ELNS1_11target_archE1200ELNS1_3gpuE4ELNS1_3repE0EEENS1_30default_config_static_selectorELNS0_4arch9wavefront6targetE1EEEvT1_.num_vgpr, 0
	.set _ZN7rocprim17ROCPRIM_400000_NS6detail17trampoline_kernelINS0_14default_configENS1_25transform_config_selectorIlLb0EEEZNS1_14transform_implILb0ES3_S5_NS0_18transform_iteratorINS0_17counting_iteratorImlEEZNS1_24adjacent_difference_implIS3_Lb1ELb0EPlSB_ZN2at6native12_GLOBAL__N_124unique_dim_cuda_templateIjEESt5tupleIJNSC_6TensorESH_SH_EERKSH_lbbbEUlllE1_EE10hipError_tPvRmT2_T3_mT4_P12ihipStream_tbEUlmE_lEESB_NS0_8identityIvEEEESM_SP_SQ_mSR_ST_bEUlT_E_NS1_11comp_targetILNS1_3genE10ELNS1_11target_archE1200ELNS1_3gpuE4ELNS1_3repE0EEENS1_30default_config_static_selectorELNS0_4arch9wavefront6targetE1EEEvT1_.num_agpr, 0
	.set _ZN7rocprim17ROCPRIM_400000_NS6detail17trampoline_kernelINS0_14default_configENS1_25transform_config_selectorIlLb0EEEZNS1_14transform_implILb0ES3_S5_NS0_18transform_iteratorINS0_17counting_iteratorImlEEZNS1_24adjacent_difference_implIS3_Lb1ELb0EPlSB_ZN2at6native12_GLOBAL__N_124unique_dim_cuda_templateIjEESt5tupleIJNSC_6TensorESH_SH_EERKSH_lbbbEUlllE1_EE10hipError_tPvRmT2_T3_mT4_P12ihipStream_tbEUlmE_lEESB_NS0_8identityIvEEEESM_SP_SQ_mSR_ST_bEUlT_E_NS1_11comp_targetILNS1_3genE10ELNS1_11target_archE1200ELNS1_3gpuE4ELNS1_3repE0EEENS1_30default_config_static_selectorELNS0_4arch9wavefront6targetE1EEEvT1_.numbered_sgpr, 0
	.set _ZN7rocprim17ROCPRIM_400000_NS6detail17trampoline_kernelINS0_14default_configENS1_25transform_config_selectorIlLb0EEEZNS1_14transform_implILb0ES3_S5_NS0_18transform_iteratorINS0_17counting_iteratorImlEEZNS1_24adjacent_difference_implIS3_Lb1ELb0EPlSB_ZN2at6native12_GLOBAL__N_124unique_dim_cuda_templateIjEESt5tupleIJNSC_6TensorESH_SH_EERKSH_lbbbEUlllE1_EE10hipError_tPvRmT2_T3_mT4_P12ihipStream_tbEUlmE_lEESB_NS0_8identityIvEEEESM_SP_SQ_mSR_ST_bEUlT_E_NS1_11comp_targetILNS1_3genE10ELNS1_11target_archE1200ELNS1_3gpuE4ELNS1_3repE0EEENS1_30default_config_static_selectorELNS0_4arch9wavefront6targetE1EEEvT1_.num_named_barrier, 0
	.set _ZN7rocprim17ROCPRIM_400000_NS6detail17trampoline_kernelINS0_14default_configENS1_25transform_config_selectorIlLb0EEEZNS1_14transform_implILb0ES3_S5_NS0_18transform_iteratorINS0_17counting_iteratorImlEEZNS1_24adjacent_difference_implIS3_Lb1ELb0EPlSB_ZN2at6native12_GLOBAL__N_124unique_dim_cuda_templateIjEESt5tupleIJNSC_6TensorESH_SH_EERKSH_lbbbEUlllE1_EE10hipError_tPvRmT2_T3_mT4_P12ihipStream_tbEUlmE_lEESB_NS0_8identityIvEEEESM_SP_SQ_mSR_ST_bEUlT_E_NS1_11comp_targetILNS1_3genE10ELNS1_11target_archE1200ELNS1_3gpuE4ELNS1_3repE0EEENS1_30default_config_static_selectorELNS0_4arch9wavefront6targetE1EEEvT1_.private_seg_size, 0
	.set _ZN7rocprim17ROCPRIM_400000_NS6detail17trampoline_kernelINS0_14default_configENS1_25transform_config_selectorIlLb0EEEZNS1_14transform_implILb0ES3_S5_NS0_18transform_iteratorINS0_17counting_iteratorImlEEZNS1_24adjacent_difference_implIS3_Lb1ELb0EPlSB_ZN2at6native12_GLOBAL__N_124unique_dim_cuda_templateIjEESt5tupleIJNSC_6TensorESH_SH_EERKSH_lbbbEUlllE1_EE10hipError_tPvRmT2_T3_mT4_P12ihipStream_tbEUlmE_lEESB_NS0_8identityIvEEEESM_SP_SQ_mSR_ST_bEUlT_E_NS1_11comp_targetILNS1_3genE10ELNS1_11target_archE1200ELNS1_3gpuE4ELNS1_3repE0EEENS1_30default_config_static_selectorELNS0_4arch9wavefront6targetE1EEEvT1_.uses_vcc, 0
	.set _ZN7rocprim17ROCPRIM_400000_NS6detail17trampoline_kernelINS0_14default_configENS1_25transform_config_selectorIlLb0EEEZNS1_14transform_implILb0ES3_S5_NS0_18transform_iteratorINS0_17counting_iteratorImlEEZNS1_24adjacent_difference_implIS3_Lb1ELb0EPlSB_ZN2at6native12_GLOBAL__N_124unique_dim_cuda_templateIjEESt5tupleIJNSC_6TensorESH_SH_EERKSH_lbbbEUlllE1_EE10hipError_tPvRmT2_T3_mT4_P12ihipStream_tbEUlmE_lEESB_NS0_8identityIvEEEESM_SP_SQ_mSR_ST_bEUlT_E_NS1_11comp_targetILNS1_3genE10ELNS1_11target_archE1200ELNS1_3gpuE4ELNS1_3repE0EEENS1_30default_config_static_selectorELNS0_4arch9wavefront6targetE1EEEvT1_.uses_flat_scratch, 0
	.set _ZN7rocprim17ROCPRIM_400000_NS6detail17trampoline_kernelINS0_14default_configENS1_25transform_config_selectorIlLb0EEEZNS1_14transform_implILb0ES3_S5_NS0_18transform_iteratorINS0_17counting_iteratorImlEEZNS1_24adjacent_difference_implIS3_Lb1ELb0EPlSB_ZN2at6native12_GLOBAL__N_124unique_dim_cuda_templateIjEESt5tupleIJNSC_6TensorESH_SH_EERKSH_lbbbEUlllE1_EE10hipError_tPvRmT2_T3_mT4_P12ihipStream_tbEUlmE_lEESB_NS0_8identityIvEEEESM_SP_SQ_mSR_ST_bEUlT_E_NS1_11comp_targetILNS1_3genE10ELNS1_11target_archE1200ELNS1_3gpuE4ELNS1_3repE0EEENS1_30default_config_static_selectorELNS0_4arch9wavefront6targetE1EEEvT1_.has_dyn_sized_stack, 0
	.set _ZN7rocprim17ROCPRIM_400000_NS6detail17trampoline_kernelINS0_14default_configENS1_25transform_config_selectorIlLb0EEEZNS1_14transform_implILb0ES3_S5_NS0_18transform_iteratorINS0_17counting_iteratorImlEEZNS1_24adjacent_difference_implIS3_Lb1ELb0EPlSB_ZN2at6native12_GLOBAL__N_124unique_dim_cuda_templateIjEESt5tupleIJNSC_6TensorESH_SH_EERKSH_lbbbEUlllE1_EE10hipError_tPvRmT2_T3_mT4_P12ihipStream_tbEUlmE_lEESB_NS0_8identityIvEEEESM_SP_SQ_mSR_ST_bEUlT_E_NS1_11comp_targetILNS1_3genE10ELNS1_11target_archE1200ELNS1_3gpuE4ELNS1_3repE0EEENS1_30default_config_static_selectorELNS0_4arch9wavefront6targetE1EEEvT1_.has_recursion, 0
	.set _ZN7rocprim17ROCPRIM_400000_NS6detail17trampoline_kernelINS0_14default_configENS1_25transform_config_selectorIlLb0EEEZNS1_14transform_implILb0ES3_S5_NS0_18transform_iteratorINS0_17counting_iteratorImlEEZNS1_24adjacent_difference_implIS3_Lb1ELb0EPlSB_ZN2at6native12_GLOBAL__N_124unique_dim_cuda_templateIjEESt5tupleIJNSC_6TensorESH_SH_EERKSH_lbbbEUlllE1_EE10hipError_tPvRmT2_T3_mT4_P12ihipStream_tbEUlmE_lEESB_NS0_8identityIvEEEESM_SP_SQ_mSR_ST_bEUlT_E_NS1_11comp_targetILNS1_3genE10ELNS1_11target_archE1200ELNS1_3gpuE4ELNS1_3repE0EEENS1_30default_config_static_selectorELNS0_4arch9wavefront6targetE1EEEvT1_.has_indirect_call, 0
	.section	.AMDGPU.csdata,"",@progbits
; Kernel info:
; codeLenInByte = 0
; TotalNumSgprs: 6
; NumVgprs: 0
; NumAgprs: 0
; TotalNumVgprs: 0
; ScratchSize: 0
; MemoryBound: 0
; FloatMode: 240
; IeeeMode: 1
; LDSByteSize: 0 bytes/workgroup (compile time only)
; SGPRBlocks: 0
; VGPRBlocks: 0
; NumSGPRsForWavesPerEU: 6
; NumVGPRsForWavesPerEU: 1
; AccumOffset: 4
; Occupancy: 8
; WaveLimiterHint : 0
; COMPUTE_PGM_RSRC2:SCRATCH_EN: 0
; COMPUTE_PGM_RSRC2:USER_SGPR: 2
; COMPUTE_PGM_RSRC2:TRAP_HANDLER: 0
; COMPUTE_PGM_RSRC2:TGID_X_EN: 1
; COMPUTE_PGM_RSRC2:TGID_Y_EN: 0
; COMPUTE_PGM_RSRC2:TGID_Z_EN: 0
; COMPUTE_PGM_RSRC2:TIDIG_COMP_CNT: 0
; COMPUTE_PGM_RSRC3_GFX90A:ACCUM_OFFSET: 0
; COMPUTE_PGM_RSRC3_GFX90A:TG_SPLIT: 0
	.section	.text._ZN7rocprim17ROCPRIM_400000_NS6detail17trampoline_kernelINS0_14default_configENS1_25transform_config_selectorIlLb0EEEZNS1_14transform_implILb0ES3_S5_NS0_18transform_iteratorINS0_17counting_iteratorImlEEZNS1_24adjacent_difference_implIS3_Lb1ELb0EPlSB_ZN2at6native12_GLOBAL__N_124unique_dim_cuda_templateIjEESt5tupleIJNSC_6TensorESH_SH_EERKSH_lbbbEUlllE1_EE10hipError_tPvRmT2_T3_mT4_P12ihipStream_tbEUlmE_lEESB_NS0_8identityIvEEEESM_SP_SQ_mSR_ST_bEUlT_E_NS1_11comp_targetILNS1_3genE9ELNS1_11target_archE1100ELNS1_3gpuE3ELNS1_3repE0EEENS1_30default_config_static_selectorELNS0_4arch9wavefront6targetE1EEEvT1_,"axG",@progbits,_ZN7rocprim17ROCPRIM_400000_NS6detail17trampoline_kernelINS0_14default_configENS1_25transform_config_selectorIlLb0EEEZNS1_14transform_implILb0ES3_S5_NS0_18transform_iteratorINS0_17counting_iteratorImlEEZNS1_24adjacent_difference_implIS3_Lb1ELb0EPlSB_ZN2at6native12_GLOBAL__N_124unique_dim_cuda_templateIjEESt5tupleIJNSC_6TensorESH_SH_EERKSH_lbbbEUlllE1_EE10hipError_tPvRmT2_T3_mT4_P12ihipStream_tbEUlmE_lEESB_NS0_8identityIvEEEESM_SP_SQ_mSR_ST_bEUlT_E_NS1_11comp_targetILNS1_3genE9ELNS1_11target_archE1100ELNS1_3gpuE3ELNS1_3repE0EEENS1_30default_config_static_selectorELNS0_4arch9wavefront6targetE1EEEvT1_,comdat
	.globl	_ZN7rocprim17ROCPRIM_400000_NS6detail17trampoline_kernelINS0_14default_configENS1_25transform_config_selectorIlLb0EEEZNS1_14transform_implILb0ES3_S5_NS0_18transform_iteratorINS0_17counting_iteratorImlEEZNS1_24adjacent_difference_implIS3_Lb1ELb0EPlSB_ZN2at6native12_GLOBAL__N_124unique_dim_cuda_templateIjEESt5tupleIJNSC_6TensorESH_SH_EERKSH_lbbbEUlllE1_EE10hipError_tPvRmT2_T3_mT4_P12ihipStream_tbEUlmE_lEESB_NS0_8identityIvEEEESM_SP_SQ_mSR_ST_bEUlT_E_NS1_11comp_targetILNS1_3genE9ELNS1_11target_archE1100ELNS1_3gpuE3ELNS1_3repE0EEENS1_30default_config_static_selectorELNS0_4arch9wavefront6targetE1EEEvT1_ ; -- Begin function _ZN7rocprim17ROCPRIM_400000_NS6detail17trampoline_kernelINS0_14default_configENS1_25transform_config_selectorIlLb0EEEZNS1_14transform_implILb0ES3_S5_NS0_18transform_iteratorINS0_17counting_iteratorImlEEZNS1_24adjacent_difference_implIS3_Lb1ELb0EPlSB_ZN2at6native12_GLOBAL__N_124unique_dim_cuda_templateIjEESt5tupleIJNSC_6TensorESH_SH_EERKSH_lbbbEUlllE1_EE10hipError_tPvRmT2_T3_mT4_P12ihipStream_tbEUlmE_lEESB_NS0_8identityIvEEEESM_SP_SQ_mSR_ST_bEUlT_E_NS1_11comp_targetILNS1_3genE9ELNS1_11target_archE1100ELNS1_3gpuE3ELNS1_3repE0EEENS1_30default_config_static_selectorELNS0_4arch9wavefront6targetE1EEEvT1_
	.p2align	8
	.type	_ZN7rocprim17ROCPRIM_400000_NS6detail17trampoline_kernelINS0_14default_configENS1_25transform_config_selectorIlLb0EEEZNS1_14transform_implILb0ES3_S5_NS0_18transform_iteratorINS0_17counting_iteratorImlEEZNS1_24adjacent_difference_implIS3_Lb1ELb0EPlSB_ZN2at6native12_GLOBAL__N_124unique_dim_cuda_templateIjEESt5tupleIJNSC_6TensorESH_SH_EERKSH_lbbbEUlllE1_EE10hipError_tPvRmT2_T3_mT4_P12ihipStream_tbEUlmE_lEESB_NS0_8identityIvEEEESM_SP_SQ_mSR_ST_bEUlT_E_NS1_11comp_targetILNS1_3genE9ELNS1_11target_archE1100ELNS1_3gpuE3ELNS1_3repE0EEENS1_30default_config_static_selectorELNS0_4arch9wavefront6targetE1EEEvT1_,@function
_ZN7rocprim17ROCPRIM_400000_NS6detail17trampoline_kernelINS0_14default_configENS1_25transform_config_selectorIlLb0EEEZNS1_14transform_implILb0ES3_S5_NS0_18transform_iteratorINS0_17counting_iteratorImlEEZNS1_24adjacent_difference_implIS3_Lb1ELb0EPlSB_ZN2at6native12_GLOBAL__N_124unique_dim_cuda_templateIjEESt5tupleIJNSC_6TensorESH_SH_EERKSH_lbbbEUlllE1_EE10hipError_tPvRmT2_T3_mT4_P12ihipStream_tbEUlmE_lEESB_NS0_8identityIvEEEESM_SP_SQ_mSR_ST_bEUlT_E_NS1_11comp_targetILNS1_3genE9ELNS1_11target_archE1100ELNS1_3gpuE3ELNS1_3repE0EEENS1_30default_config_static_selectorELNS0_4arch9wavefront6targetE1EEEvT1_: ; @_ZN7rocprim17ROCPRIM_400000_NS6detail17trampoline_kernelINS0_14default_configENS1_25transform_config_selectorIlLb0EEEZNS1_14transform_implILb0ES3_S5_NS0_18transform_iteratorINS0_17counting_iteratorImlEEZNS1_24adjacent_difference_implIS3_Lb1ELb0EPlSB_ZN2at6native12_GLOBAL__N_124unique_dim_cuda_templateIjEESt5tupleIJNSC_6TensorESH_SH_EERKSH_lbbbEUlllE1_EE10hipError_tPvRmT2_T3_mT4_P12ihipStream_tbEUlmE_lEESB_NS0_8identityIvEEEESM_SP_SQ_mSR_ST_bEUlT_E_NS1_11comp_targetILNS1_3genE9ELNS1_11target_archE1100ELNS1_3gpuE3ELNS1_3repE0EEENS1_30default_config_static_selectorELNS0_4arch9wavefront6targetE1EEEvT1_
; %bb.0:
	.section	.rodata,"a",@progbits
	.p2align	6, 0x0
	.amdhsa_kernel _ZN7rocprim17ROCPRIM_400000_NS6detail17trampoline_kernelINS0_14default_configENS1_25transform_config_selectorIlLb0EEEZNS1_14transform_implILb0ES3_S5_NS0_18transform_iteratorINS0_17counting_iteratorImlEEZNS1_24adjacent_difference_implIS3_Lb1ELb0EPlSB_ZN2at6native12_GLOBAL__N_124unique_dim_cuda_templateIjEESt5tupleIJNSC_6TensorESH_SH_EERKSH_lbbbEUlllE1_EE10hipError_tPvRmT2_T3_mT4_P12ihipStream_tbEUlmE_lEESB_NS0_8identityIvEEEESM_SP_SQ_mSR_ST_bEUlT_E_NS1_11comp_targetILNS1_3genE9ELNS1_11target_archE1100ELNS1_3gpuE3ELNS1_3repE0EEENS1_30default_config_static_selectorELNS0_4arch9wavefront6targetE1EEEvT1_
		.amdhsa_group_segment_fixed_size 0
		.amdhsa_private_segment_fixed_size 0
		.amdhsa_kernarg_size 56
		.amdhsa_user_sgpr_count 2
		.amdhsa_user_sgpr_dispatch_ptr 0
		.amdhsa_user_sgpr_queue_ptr 0
		.amdhsa_user_sgpr_kernarg_segment_ptr 1
		.amdhsa_user_sgpr_dispatch_id 0
		.amdhsa_user_sgpr_kernarg_preload_length 0
		.amdhsa_user_sgpr_kernarg_preload_offset 0
		.amdhsa_user_sgpr_private_segment_size 0
		.amdhsa_uses_dynamic_stack 0
		.amdhsa_enable_private_segment 0
		.amdhsa_system_sgpr_workgroup_id_x 1
		.amdhsa_system_sgpr_workgroup_id_y 0
		.amdhsa_system_sgpr_workgroup_id_z 0
		.amdhsa_system_sgpr_workgroup_info 0
		.amdhsa_system_vgpr_workitem_id 0
		.amdhsa_next_free_vgpr 1
		.amdhsa_next_free_sgpr 0
		.amdhsa_accum_offset 4
		.amdhsa_reserve_vcc 0
		.amdhsa_float_round_mode_32 0
		.amdhsa_float_round_mode_16_64 0
		.amdhsa_float_denorm_mode_32 3
		.amdhsa_float_denorm_mode_16_64 3
		.amdhsa_dx10_clamp 1
		.amdhsa_ieee_mode 1
		.amdhsa_fp16_overflow 0
		.amdhsa_tg_split 0
		.amdhsa_exception_fp_ieee_invalid_op 0
		.amdhsa_exception_fp_denorm_src 0
		.amdhsa_exception_fp_ieee_div_zero 0
		.amdhsa_exception_fp_ieee_overflow 0
		.amdhsa_exception_fp_ieee_underflow 0
		.amdhsa_exception_fp_ieee_inexact 0
		.amdhsa_exception_int_div_zero 0
	.end_amdhsa_kernel
	.section	.text._ZN7rocprim17ROCPRIM_400000_NS6detail17trampoline_kernelINS0_14default_configENS1_25transform_config_selectorIlLb0EEEZNS1_14transform_implILb0ES3_S5_NS0_18transform_iteratorINS0_17counting_iteratorImlEEZNS1_24adjacent_difference_implIS3_Lb1ELb0EPlSB_ZN2at6native12_GLOBAL__N_124unique_dim_cuda_templateIjEESt5tupleIJNSC_6TensorESH_SH_EERKSH_lbbbEUlllE1_EE10hipError_tPvRmT2_T3_mT4_P12ihipStream_tbEUlmE_lEESB_NS0_8identityIvEEEESM_SP_SQ_mSR_ST_bEUlT_E_NS1_11comp_targetILNS1_3genE9ELNS1_11target_archE1100ELNS1_3gpuE3ELNS1_3repE0EEENS1_30default_config_static_selectorELNS0_4arch9wavefront6targetE1EEEvT1_,"axG",@progbits,_ZN7rocprim17ROCPRIM_400000_NS6detail17trampoline_kernelINS0_14default_configENS1_25transform_config_selectorIlLb0EEEZNS1_14transform_implILb0ES3_S5_NS0_18transform_iteratorINS0_17counting_iteratorImlEEZNS1_24adjacent_difference_implIS3_Lb1ELb0EPlSB_ZN2at6native12_GLOBAL__N_124unique_dim_cuda_templateIjEESt5tupleIJNSC_6TensorESH_SH_EERKSH_lbbbEUlllE1_EE10hipError_tPvRmT2_T3_mT4_P12ihipStream_tbEUlmE_lEESB_NS0_8identityIvEEEESM_SP_SQ_mSR_ST_bEUlT_E_NS1_11comp_targetILNS1_3genE9ELNS1_11target_archE1100ELNS1_3gpuE3ELNS1_3repE0EEENS1_30default_config_static_selectorELNS0_4arch9wavefront6targetE1EEEvT1_,comdat
.Lfunc_end1531:
	.size	_ZN7rocprim17ROCPRIM_400000_NS6detail17trampoline_kernelINS0_14default_configENS1_25transform_config_selectorIlLb0EEEZNS1_14transform_implILb0ES3_S5_NS0_18transform_iteratorINS0_17counting_iteratorImlEEZNS1_24adjacent_difference_implIS3_Lb1ELb0EPlSB_ZN2at6native12_GLOBAL__N_124unique_dim_cuda_templateIjEESt5tupleIJNSC_6TensorESH_SH_EERKSH_lbbbEUlllE1_EE10hipError_tPvRmT2_T3_mT4_P12ihipStream_tbEUlmE_lEESB_NS0_8identityIvEEEESM_SP_SQ_mSR_ST_bEUlT_E_NS1_11comp_targetILNS1_3genE9ELNS1_11target_archE1100ELNS1_3gpuE3ELNS1_3repE0EEENS1_30default_config_static_selectorELNS0_4arch9wavefront6targetE1EEEvT1_, .Lfunc_end1531-_ZN7rocprim17ROCPRIM_400000_NS6detail17trampoline_kernelINS0_14default_configENS1_25transform_config_selectorIlLb0EEEZNS1_14transform_implILb0ES3_S5_NS0_18transform_iteratorINS0_17counting_iteratorImlEEZNS1_24adjacent_difference_implIS3_Lb1ELb0EPlSB_ZN2at6native12_GLOBAL__N_124unique_dim_cuda_templateIjEESt5tupleIJNSC_6TensorESH_SH_EERKSH_lbbbEUlllE1_EE10hipError_tPvRmT2_T3_mT4_P12ihipStream_tbEUlmE_lEESB_NS0_8identityIvEEEESM_SP_SQ_mSR_ST_bEUlT_E_NS1_11comp_targetILNS1_3genE9ELNS1_11target_archE1100ELNS1_3gpuE3ELNS1_3repE0EEENS1_30default_config_static_selectorELNS0_4arch9wavefront6targetE1EEEvT1_
                                        ; -- End function
	.set _ZN7rocprim17ROCPRIM_400000_NS6detail17trampoline_kernelINS0_14default_configENS1_25transform_config_selectorIlLb0EEEZNS1_14transform_implILb0ES3_S5_NS0_18transform_iteratorINS0_17counting_iteratorImlEEZNS1_24adjacent_difference_implIS3_Lb1ELb0EPlSB_ZN2at6native12_GLOBAL__N_124unique_dim_cuda_templateIjEESt5tupleIJNSC_6TensorESH_SH_EERKSH_lbbbEUlllE1_EE10hipError_tPvRmT2_T3_mT4_P12ihipStream_tbEUlmE_lEESB_NS0_8identityIvEEEESM_SP_SQ_mSR_ST_bEUlT_E_NS1_11comp_targetILNS1_3genE9ELNS1_11target_archE1100ELNS1_3gpuE3ELNS1_3repE0EEENS1_30default_config_static_selectorELNS0_4arch9wavefront6targetE1EEEvT1_.num_vgpr, 0
	.set _ZN7rocprim17ROCPRIM_400000_NS6detail17trampoline_kernelINS0_14default_configENS1_25transform_config_selectorIlLb0EEEZNS1_14transform_implILb0ES3_S5_NS0_18transform_iteratorINS0_17counting_iteratorImlEEZNS1_24adjacent_difference_implIS3_Lb1ELb0EPlSB_ZN2at6native12_GLOBAL__N_124unique_dim_cuda_templateIjEESt5tupleIJNSC_6TensorESH_SH_EERKSH_lbbbEUlllE1_EE10hipError_tPvRmT2_T3_mT4_P12ihipStream_tbEUlmE_lEESB_NS0_8identityIvEEEESM_SP_SQ_mSR_ST_bEUlT_E_NS1_11comp_targetILNS1_3genE9ELNS1_11target_archE1100ELNS1_3gpuE3ELNS1_3repE0EEENS1_30default_config_static_selectorELNS0_4arch9wavefront6targetE1EEEvT1_.num_agpr, 0
	.set _ZN7rocprim17ROCPRIM_400000_NS6detail17trampoline_kernelINS0_14default_configENS1_25transform_config_selectorIlLb0EEEZNS1_14transform_implILb0ES3_S5_NS0_18transform_iteratorINS0_17counting_iteratorImlEEZNS1_24adjacent_difference_implIS3_Lb1ELb0EPlSB_ZN2at6native12_GLOBAL__N_124unique_dim_cuda_templateIjEESt5tupleIJNSC_6TensorESH_SH_EERKSH_lbbbEUlllE1_EE10hipError_tPvRmT2_T3_mT4_P12ihipStream_tbEUlmE_lEESB_NS0_8identityIvEEEESM_SP_SQ_mSR_ST_bEUlT_E_NS1_11comp_targetILNS1_3genE9ELNS1_11target_archE1100ELNS1_3gpuE3ELNS1_3repE0EEENS1_30default_config_static_selectorELNS0_4arch9wavefront6targetE1EEEvT1_.numbered_sgpr, 0
	.set _ZN7rocprim17ROCPRIM_400000_NS6detail17trampoline_kernelINS0_14default_configENS1_25transform_config_selectorIlLb0EEEZNS1_14transform_implILb0ES3_S5_NS0_18transform_iteratorINS0_17counting_iteratorImlEEZNS1_24adjacent_difference_implIS3_Lb1ELb0EPlSB_ZN2at6native12_GLOBAL__N_124unique_dim_cuda_templateIjEESt5tupleIJNSC_6TensorESH_SH_EERKSH_lbbbEUlllE1_EE10hipError_tPvRmT2_T3_mT4_P12ihipStream_tbEUlmE_lEESB_NS0_8identityIvEEEESM_SP_SQ_mSR_ST_bEUlT_E_NS1_11comp_targetILNS1_3genE9ELNS1_11target_archE1100ELNS1_3gpuE3ELNS1_3repE0EEENS1_30default_config_static_selectorELNS0_4arch9wavefront6targetE1EEEvT1_.num_named_barrier, 0
	.set _ZN7rocprim17ROCPRIM_400000_NS6detail17trampoline_kernelINS0_14default_configENS1_25transform_config_selectorIlLb0EEEZNS1_14transform_implILb0ES3_S5_NS0_18transform_iteratorINS0_17counting_iteratorImlEEZNS1_24adjacent_difference_implIS3_Lb1ELb0EPlSB_ZN2at6native12_GLOBAL__N_124unique_dim_cuda_templateIjEESt5tupleIJNSC_6TensorESH_SH_EERKSH_lbbbEUlllE1_EE10hipError_tPvRmT2_T3_mT4_P12ihipStream_tbEUlmE_lEESB_NS0_8identityIvEEEESM_SP_SQ_mSR_ST_bEUlT_E_NS1_11comp_targetILNS1_3genE9ELNS1_11target_archE1100ELNS1_3gpuE3ELNS1_3repE0EEENS1_30default_config_static_selectorELNS0_4arch9wavefront6targetE1EEEvT1_.private_seg_size, 0
	.set _ZN7rocprim17ROCPRIM_400000_NS6detail17trampoline_kernelINS0_14default_configENS1_25transform_config_selectorIlLb0EEEZNS1_14transform_implILb0ES3_S5_NS0_18transform_iteratorINS0_17counting_iteratorImlEEZNS1_24adjacent_difference_implIS3_Lb1ELb0EPlSB_ZN2at6native12_GLOBAL__N_124unique_dim_cuda_templateIjEESt5tupleIJNSC_6TensorESH_SH_EERKSH_lbbbEUlllE1_EE10hipError_tPvRmT2_T3_mT4_P12ihipStream_tbEUlmE_lEESB_NS0_8identityIvEEEESM_SP_SQ_mSR_ST_bEUlT_E_NS1_11comp_targetILNS1_3genE9ELNS1_11target_archE1100ELNS1_3gpuE3ELNS1_3repE0EEENS1_30default_config_static_selectorELNS0_4arch9wavefront6targetE1EEEvT1_.uses_vcc, 0
	.set _ZN7rocprim17ROCPRIM_400000_NS6detail17trampoline_kernelINS0_14default_configENS1_25transform_config_selectorIlLb0EEEZNS1_14transform_implILb0ES3_S5_NS0_18transform_iteratorINS0_17counting_iteratorImlEEZNS1_24adjacent_difference_implIS3_Lb1ELb0EPlSB_ZN2at6native12_GLOBAL__N_124unique_dim_cuda_templateIjEESt5tupleIJNSC_6TensorESH_SH_EERKSH_lbbbEUlllE1_EE10hipError_tPvRmT2_T3_mT4_P12ihipStream_tbEUlmE_lEESB_NS0_8identityIvEEEESM_SP_SQ_mSR_ST_bEUlT_E_NS1_11comp_targetILNS1_3genE9ELNS1_11target_archE1100ELNS1_3gpuE3ELNS1_3repE0EEENS1_30default_config_static_selectorELNS0_4arch9wavefront6targetE1EEEvT1_.uses_flat_scratch, 0
	.set _ZN7rocprim17ROCPRIM_400000_NS6detail17trampoline_kernelINS0_14default_configENS1_25transform_config_selectorIlLb0EEEZNS1_14transform_implILb0ES3_S5_NS0_18transform_iteratorINS0_17counting_iteratorImlEEZNS1_24adjacent_difference_implIS3_Lb1ELb0EPlSB_ZN2at6native12_GLOBAL__N_124unique_dim_cuda_templateIjEESt5tupleIJNSC_6TensorESH_SH_EERKSH_lbbbEUlllE1_EE10hipError_tPvRmT2_T3_mT4_P12ihipStream_tbEUlmE_lEESB_NS0_8identityIvEEEESM_SP_SQ_mSR_ST_bEUlT_E_NS1_11comp_targetILNS1_3genE9ELNS1_11target_archE1100ELNS1_3gpuE3ELNS1_3repE0EEENS1_30default_config_static_selectorELNS0_4arch9wavefront6targetE1EEEvT1_.has_dyn_sized_stack, 0
	.set _ZN7rocprim17ROCPRIM_400000_NS6detail17trampoline_kernelINS0_14default_configENS1_25transform_config_selectorIlLb0EEEZNS1_14transform_implILb0ES3_S5_NS0_18transform_iteratorINS0_17counting_iteratorImlEEZNS1_24adjacent_difference_implIS3_Lb1ELb0EPlSB_ZN2at6native12_GLOBAL__N_124unique_dim_cuda_templateIjEESt5tupleIJNSC_6TensorESH_SH_EERKSH_lbbbEUlllE1_EE10hipError_tPvRmT2_T3_mT4_P12ihipStream_tbEUlmE_lEESB_NS0_8identityIvEEEESM_SP_SQ_mSR_ST_bEUlT_E_NS1_11comp_targetILNS1_3genE9ELNS1_11target_archE1100ELNS1_3gpuE3ELNS1_3repE0EEENS1_30default_config_static_selectorELNS0_4arch9wavefront6targetE1EEEvT1_.has_recursion, 0
	.set _ZN7rocprim17ROCPRIM_400000_NS6detail17trampoline_kernelINS0_14default_configENS1_25transform_config_selectorIlLb0EEEZNS1_14transform_implILb0ES3_S5_NS0_18transform_iteratorINS0_17counting_iteratorImlEEZNS1_24adjacent_difference_implIS3_Lb1ELb0EPlSB_ZN2at6native12_GLOBAL__N_124unique_dim_cuda_templateIjEESt5tupleIJNSC_6TensorESH_SH_EERKSH_lbbbEUlllE1_EE10hipError_tPvRmT2_T3_mT4_P12ihipStream_tbEUlmE_lEESB_NS0_8identityIvEEEESM_SP_SQ_mSR_ST_bEUlT_E_NS1_11comp_targetILNS1_3genE9ELNS1_11target_archE1100ELNS1_3gpuE3ELNS1_3repE0EEENS1_30default_config_static_selectorELNS0_4arch9wavefront6targetE1EEEvT1_.has_indirect_call, 0
	.section	.AMDGPU.csdata,"",@progbits
; Kernel info:
; codeLenInByte = 0
; TotalNumSgprs: 6
; NumVgprs: 0
; NumAgprs: 0
; TotalNumVgprs: 0
; ScratchSize: 0
; MemoryBound: 0
; FloatMode: 240
; IeeeMode: 1
; LDSByteSize: 0 bytes/workgroup (compile time only)
; SGPRBlocks: 0
; VGPRBlocks: 0
; NumSGPRsForWavesPerEU: 6
; NumVGPRsForWavesPerEU: 1
; AccumOffset: 4
; Occupancy: 8
; WaveLimiterHint : 0
; COMPUTE_PGM_RSRC2:SCRATCH_EN: 0
; COMPUTE_PGM_RSRC2:USER_SGPR: 2
; COMPUTE_PGM_RSRC2:TRAP_HANDLER: 0
; COMPUTE_PGM_RSRC2:TGID_X_EN: 1
; COMPUTE_PGM_RSRC2:TGID_Y_EN: 0
; COMPUTE_PGM_RSRC2:TGID_Z_EN: 0
; COMPUTE_PGM_RSRC2:TIDIG_COMP_CNT: 0
; COMPUTE_PGM_RSRC3_GFX90A:ACCUM_OFFSET: 0
; COMPUTE_PGM_RSRC3_GFX90A:TG_SPLIT: 0
	.section	.text._ZN7rocprim17ROCPRIM_400000_NS6detail17trampoline_kernelINS0_14default_configENS1_25transform_config_selectorIlLb0EEEZNS1_14transform_implILb0ES3_S5_NS0_18transform_iteratorINS0_17counting_iteratorImlEEZNS1_24adjacent_difference_implIS3_Lb1ELb0EPlSB_ZN2at6native12_GLOBAL__N_124unique_dim_cuda_templateIjEESt5tupleIJNSC_6TensorESH_SH_EERKSH_lbbbEUlllE1_EE10hipError_tPvRmT2_T3_mT4_P12ihipStream_tbEUlmE_lEESB_NS0_8identityIvEEEESM_SP_SQ_mSR_ST_bEUlT_E_NS1_11comp_targetILNS1_3genE8ELNS1_11target_archE1030ELNS1_3gpuE2ELNS1_3repE0EEENS1_30default_config_static_selectorELNS0_4arch9wavefront6targetE1EEEvT1_,"axG",@progbits,_ZN7rocprim17ROCPRIM_400000_NS6detail17trampoline_kernelINS0_14default_configENS1_25transform_config_selectorIlLb0EEEZNS1_14transform_implILb0ES3_S5_NS0_18transform_iteratorINS0_17counting_iteratorImlEEZNS1_24adjacent_difference_implIS3_Lb1ELb0EPlSB_ZN2at6native12_GLOBAL__N_124unique_dim_cuda_templateIjEESt5tupleIJNSC_6TensorESH_SH_EERKSH_lbbbEUlllE1_EE10hipError_tPvRmT2_T3_mT4_P12ihipStream_tbEUlmE_lEESB_NS0_8identityIvEEEESM_SP_SQ_mSR_ST_bEUlT_E_NS1_11comp_targetILNS1_3genE8ELNS1_11target_archE1030ELNS1_3gpuE2ELNS1_3repE0EEENS1_30default_config_static_selectorELNS0_4arch9wavefront6targetE1EEEvT1_,comdat
	.globl	_ZN7rocprim17ROCPRIM_400000_NS6detail17trampoline_kernelINS0_14default_configENS1_25transform_config_selectorIlLb0EEEZNS1_14transform_implILb0ES3_S5_NS0_18transform_iteratorINS0_17counting_iteratorImlEEZNS1_24adjacent_difference_implIS3_Lb1ELb0EPlSB_ZN2at6native12_GLOBAL__N_124unique_dim_cuda_templateIjEESt5tupleIJNSC_6TensorESH_SH_EERKSH_lbbbEUlllE1_EE10hipError_tPvRmT2_T3_mT4_P12ihipStream_tbEUlmE_lEESB_NS0_8identityIvEEEESM_SP_SQ_mSR_ST_bEUlT_E_NS1_11comp_targetILNS1_3genE8ELNS1_11target_archE1030ELNS1_3gpuE2ELNS1_3repE0EEENS1_30default_config_static_selectorELNS0_4arch9wavefront6targetE1EEEvT1_ ; -- Begin function _ZN7rocprim17ROCPRIM_400000_NS6detail17trampoline_kernelINS0_14default_configENS1_25transform_config_selectorIlLb0EEEZNS1_14transform_implILb0ES3_S5_NS0_18transform_iteratorINS0_17counting_iteratorImlEEZNS1_24adjacent_difference_implIS3_Lb1ELb0EPlSB_ZN2at6native12_GLOBAL__N_124unique_dim_cuda_templateIjEESt5tupleIJNSC_6TensorESH_SH_EERKSH_lbbbEUlllE1_EE10hipError_tPvRmT2_T3_mT4_P12ihipStream_tbEUlmE_lEESB_NS0_8identityIvEEEESM_SP_SQ_mSR_ST_bEUlT_E_NS1_11comp_targetILNS1_3genE8ELNS1_11target_archE1030ELNS1_3gpuE2ELNS1_3repE0EEENS1_30default_config_static_selectorELNS0_4arch9wavefront6targetE1EEEvT1_
	.p2align	8
	.type	_ZN7rocprim17ROCPRIM_400000_NS6detail17trampoline_kernelINS0_14default_configENS1_25transform_config_selectorIlLb0EEEZNS1_14transform_implILb0ES3_S5_NS0_18transform_iteratorINS0_17counting_iteratorImlEEZNS1_24adjacent_difference_implIS3_Lb1ELb0EPlSB_ZN2at6native12_GLOBAL__N_124unique_dim_cuda_templateIjEESt5tupleIJNSC_6TensorESH_SH_EERKSH_lbbbEUlllE1_EE10hipError_tPvRmT2_T3_mT4_P12ihipStream_tbEUlmE_lEESB_NS0_8identityIvEEEESM_SP_SQ_mSR_ST_bEUlT_E_NS1_11comp_targetILNS1_3genE8ELNS1_11target_archE1030ELNS1_3gpuE2ELNS1_3repE0EEENS1_30default_config_static_selectorELNS0_4arch9wavefront6targetE1EEEvT1_,@function
_ZN7rocprim17ROCPRIM_400000_NS6detail17trampoline_kernelINS0_14default_configENS1_25transform_config_selectorIlLb0EEEZNS1_14transform_implILb0ES3_S5_NS0_18transform_iteratorINS0_17counting_iteratorImlEEZNS1_24adjacent_difference_implIS3_Lb1ELb0EPlSB_ZN2at6native12_GLOBAL__N_124unique_dim_cuda_templateIjEESt5tupleIJNSC_6TensorESH_SH_EERKSH_lbbbEUlllE1_EE10hipError_tPvRmT2_T3_mT4_P12ihipStream_tbEUlmE_lEESB_NS0_8identityIvEEEESM_SP_SQ_mSR_ST_bEUlT_E_NS1_11comp_targetILNS1_3genE8ELNS1_11target_archE1030ELNS1_3gpuE2ELNS1_3repE0EEENS1_30default_config_static_selectorELNS0_4arch9wavefront6targetE1EEEvT1_: ; @_ZN7rocprim17ROCPRIM_400000_NS6detail17trampoline_kernelINS0_14default_configENS1_25transform_config_selectorIlLb0EEEZNS1_14transform_implILb0ES3_S5_NS0_18transform_iteratorINS0_17counting_iteratorImlEEZNS1_24adjacent_difference_implIS3_Lb1ELb0EPlSB_ZN2at6native12_GLOBAL__N_124unique_dim_cuda_templateIjEESt5tupleIJNSC_6TensorESH_SH_EERKSH_lbbbEUlllE1_EE10hipError_tPvRmT2_T3_mT4_P12ihipStream_tbEUlmE_lEESB_NS0_8identityIvEEEESM_SP_SQ_mSR_ST_bEUlT_E_NS1_11comp_targetILNS1_3genE8ELNS1_11target_archE1030ELNS1_3gpuE2ELNS1_3repE0EEENS1_30default_config_static_selectorELNS0_4arch9wavefront6targetE1EEEvT1_
; %bb.0:
	.section	.rodata,"a",@progbits
	.p2align	6, 0x0
	.amdhsa_kernel _ZN7rocprim17ROCPRIM_400000_NS6detail17trampoline_kernelINS0_14default_configENS1_25transform_config_selectorIlLb0EEEZNS1_14transform_implILb0ES3_S5_NS0_18transform_iteratorINS0_17counting_iteratorImlEEZNS1_24adjacent_difference_implIS3_Lb1ELb0EPlSB_ZN2at6native12_GLOBAL__N_124unique_dim_cuda_templateIjEESt5tupleIJNSC_6TensorESH_SH_EERKSH_lbbbEUlllE1_EE10hipError_tPvRmT2_T3_mT4_P12ihipStream_tbEUlmE_lEESB_NS0_8identityIvEEEESM_SP_SQ_mSR_ST_bEUlT_E_NS1_11comp_targetILNS1_3genE8ELNS1_11target_archE1030ELNS1_3gpuE2ELNS1_3repE0EEENS1_30default_config_static_selectorELNS0_4arch9wavefront6targetE1EEEvT1_
		.amdhsa_group_segment_fixed_size 0
		.amdhsa_private_segment_fixed_size 0
		.amdhsa_kernarg_size 56
		.amdhsa_user_sgpr_count 2
		.amdhsa_user_sgpr_dispatch_ptr 0
		.amdhsa_user_sgpr_queue_ptr 0
		.amdhsa_user_sgpr_kernarg_segment_ptr 1
		.amdhsa_user_sgpr_dispatch_id 0
		.amdhsa_user_sgpr_kernarg_preload_length 0
		.amdhsa_user_sgpr_kernarg_preload_offset 0
		.amdhsa_user_sgpr_private_segment_size 0
		.amdhsa_uses_dynamic_stack 0
		.amdhsa_enable_private_segment 0
		.amdhsa_system_sgpr_workgroup_id_x 1
		.amdhsa_system_sgpr_workgroup_id_y 0
		.amdhsa_system_sgpr_workgroup_id_z 0
		.amdhsa_system_sgpr_workgroup_info 0
		.amdhsa_system_vgpr_workitem_id 0
		.amdhsa_next_free_vgpr 1
		.amdhsa_next_free_sgpr 0
		.amdhsa_accum_offset 4
		.amdhsa_reserve_vcc 0
		.amdhsa_float_round_mode_32 0
		.amdhsa_float_round_mode_16_64 0
		.amdhsa_float_denorm_mode_32 3
		.amdhsa_float_denorm_mode_16_64 3
		.amdhsa_dx10_clamp 1
		.amdhsa_ieee_mode 1
		.amdhsa_fp16_overflow 0
		.amdhsa_tg_split 0
		.amdhsa_exception_fp_ieee_invalid_op 0
		.amdhsa_exception_fp_denorm_src 0
		.amdhsa_exception_fp_ieee_div_zero 0
		.amdhsa_exception_fp_ieee_overflow 0
		.amdhsa_exception_fp_ieee_underflow 0
		.amdhsa_exception_fp_ieee_inexact 0
		.amdhsa_exception_int_div_zero 0
	.end_amdhsa_kernel
	.section	.text._ZN7rocprim17ROCPRIM_400000_NS6detail17trampoline_kernelINS0_14default_configENS1_25transform_config_selectorIlLb0EEEZNS1_14transform_implILb0ES3_S5_NS0_18transform_iteratorINS0_17counting_iteratorImlEEZNS1_24adjacent_difference_implIS3_Lb1ELb0EPlSB_ZN2at6native12_GLOBAL__N_124unique_dim_cuda_templateIjEESt5tupleIJNSC_6TensorESH_SH_EERKSH_lbbbEUlllE1_EE10hipError_tPvRmT2_T3_mT4_P12ihipStream_tbEUlmE_lEESB_NS0_8identityIvEEEESM_SP_SQ_mSR_ST_bEUlT_E_NS1_11comp_targetILNS1_3genE8ELNS1_11target_archE1030ELNS1_3gpuE2ELNS1_3repE0EEENS1_30default_config_static_selectorELNS0_4arch9wavefront6targetE1EEEvT1_,"axG",@progbits,_ZN7rocprim17ROCPRIM_400000_NS6detail17trampoline_kernelINS0_14default_configENS1_25transform_config_selectorIlLb0EEEZNS1_14transform_implILb0ES3_S5_NS0_18transform_iteratorINS0_17counting_iteratorImlEEZNS1_24adjacent_difference_implIS3_Lb1ELb0EPlSB_ZN2at6native12_GLOBAL__N_124unique_dim_cuda_templateIjEESt5tupleIJNSC_6TensorESH_SH_EERKSH_lbbbEUlllE1_EE10hipError_tPvRmT2_T3_mT4_P12ihipStream_tbEUlmE_lEESB_NS0_8identityIvEEEESM_SP_SQ_mSR_ST_bEUlT_E_NS1_11comp_targetILNS1_3genE8ELNS1_11target_archE1030ELNS1_3gpuE2ELNS1_3repE0EEENS1_30default_config_static_selectorELNS0_4arch9wavefront6targetE1EEEvT1_,comdat
.Lfunc_end1532:
	.size	_ZN7rocprim17ROCPRIM_400000_NS6detail17trampoline_kernelINS0_14default_configENS1_25transform_config_selectorIlLb0EEEZNS1_14transform_implILb0ES3_S5_NS0_18transform_iteratorINS0_17counting_iteratorImlEEZNS1_24adjacent_difference_implIS3_Lb1ELb0EPlSB_ZN2at6native12_GLOBAL__N_124unique_dim_cuda_templateIjEESt5tupleIJNSC_6TensorESH_SH_EERKSH_lbbbEUlllE1_EE10hipError_tPvRmT2_T3_mT4_P12ihipStream_tbEUlmE_lEESB_NS0_8identityIvEEEESM_SP_SQ_mSR_ST_bEUlT_E_NS1_11comp_targetILNS1_3genE8ELNS1_11target_archE1030ELNS1_3gpuE2ELNS1_3repE0EEENS1_30default_config_static_selectorELNS0_4arch9wavefront6targetE1EEEvT1_, .Lfunc_end1532-_ZN7rocprim17ROCPRIM_400000_NS6detail17trampoline_kernelINS0_14default_configENS1_25transform_config_selectorIlLb0EEEZNS1_14transform_implILb0ES3_S5_NS0_18transform_iteratorINS0_17counting_iteratorImlEEZNS1_24adjacent_difference_implIS3_Lb1ELb0EPlSB_ZN2at6native12_GLOBAL__N_124unique_dim_cuda_templateIjEESt5tupleIJNSC_6TensorESH_SH_EERKSH_lbbbEUlllE1_EE10hipError_tPvRmT2_T3_mT4_P12ihipStream_tbEUlmE_lEESB_NS0_8identityIvEEEESM_SP_SQ_mSR_ST_bEUlT_E_NS1_11comp_targetILNS1_3genE8ELNS1_11target_archE1030ELNS1_3gpuE2ELNS1_3repE0EEENS1_30default_config_static_selectorELNS0_4arch9wavefront6targetE1EEEvT1_
                                        ; -- End function
	.set _ZN7rocprim17ROCPRIM_400000_NS6detail17trampoline_kernelINS0_14default_configENS1_25transform_config_selectorIlLb0EEEZNS1_14transform_implILb0ES3_S5_NS0_18transform_iteratorINS0_17counting_iteratorImlEEZNS1_24adjacent_difference_implIS3_Lb1ELb0EPlSB_ZN2at6native12_GLOBAL__N_124unique_dim_cuda_templateIjEESt5tupleIJNSC_6TensorESH_SH_EERKSH_lbbbEUlllE1_EE10hipError_tPvRmT2_T3_mT4_P12ihipStream_tbEUlmE_lEESB_NS0_8identityIvEEEESM_SP_SQ_mSR_ST_bEUlT_E_NS1_11comp_targetILNS1_3genE8ELNS1_11target_archE1030ELNS1_3gpuE2ELNS1_3repE0EEENS1_30default_config_static_selectorELNS0_4arch9wavefront6targetE1EEEvT1_.num_vgpr, 0
	.set _ZN7rocprim17ROCPRIM_400000_NS6detail17trampoline_kernelINS0_14default_configENS1_25transform_config_selectorIlLb0EEEZNS1_14transform_implILb0ES3_S5_NS0_18transform_iteratorINS0_17counting_iteratorImlEEZNS1_24adjacent_difference_implIS3_Lb1ELb0EPlSB_ZN2at6native12_GLOBAL__N_124unique_dim_cuda_templateIjEESt5tupleIJNSC_6TensorESH_SH_EERKSH_lbbbEUlllE1_EE10hipError_tPvRmT2_T3_mT4_P12ihipStream_tbEUlmE_lEESB_NS0_8identityIvEEEESM_SP_SQ_mSR_ST_bEUlT_E_NS1_11comp_targetILNS1_3genE8ELNS1_11target_archE1030ELNS1_3gpuE2ELNS1_3repE0EEENS1_30default_config_static_selectorELNS0_4arch9wavefront6targetE1EEEvT1_.num_agpr, 0
	.set _ZN7rocprim17ROCPRIM_400000_NS6detail17trampoline_kernelINS0_14default_configENS1_25transform_config_selectorIlLb0EEEZNS1_14transform_implILb0ES3_S5_NS0_18transform_iteratorINS0_17counting_iteratorImlEEZNS1_24adjacent_difference_implIS3_Lb1ELb0EPlSB_ZN2at6native12_GLOBAL__N_124unique_dim_cuda_templateIjEESt5tupleIJNSC_6TensorESH_SH_EERKSH_lbbbEUlllE1_EE10hipError_tPvRmT2_T3_mT4_P12ihipStream_tbEUlmE_lEESB_NS0_8identityIvEEEESM_SP_SQ_mSR_ST_bEUlT_E_NS1_11comp_targetILNS1_3genE8ELNS1_11target_archE1030ELNS1_3gpuE2ELNS1_3repE0EEENS1_30default_config_static_selectorELNS0_4arch9wavefront6targetE1EEEvT1_.numbered_sgpr, 0
	.set _ZN7rocprim17ROCPRIM_400000_NS6detail17trampoline_kernelINS0_14default_configENS1_25transform_config_selectorIlLb0EEEZNS1_14transform_implILb0ES3_S5_NS0_18transform_iteratorINS0_17counting_iteratorImlEEZNS1_24adjacent_difference_implIS3_Lb1ELb0EPlSB_ZN2at6native12_GLOBAL__N_124unique_dim_cuda_templateIjEESt5tupleIJNSC_6TensorESH_SH_EERKSH_lbbbEUlllE1_EE10hipError_tPvRmT2_T3_mT4_P12ihipStream_tbEUlmE_lEESB_NS0_8identityIvEEEESM_SP_SQ_mSR_ST_bEUlT_E_NS1_11comp_targetILNS1_3genE8ELNS1_11target_archE1030ELNS1_3gpuE2ELNS1_3repE0EEENS1_30default_config_static_selectorELNS0_4arch9wavefront6targetE1EEEvT1_.num_named_barrier, 0
	.set _ZN7rocprim17ROCPRIM_400000_NS6detail17trampoline_kernelINS0_14default_configENS1_25transform_config_selectorIlLb0EEEZNS1_14transform_implILb0ES3_S5_NS0_18transform_iteratorINS0_17counting_iteratorImlEEZNS1_24adjacent_difference_implIS3_Lb1ELb0EPlSB_ZN2at6native12_GLOBAL__N_124unique_dim_cuda_templateIjEESt5tupleIJNSC_6TensorESH_SH_EERKSH_lbbbEUlllE1_EE10hipError_tPvRmT2_T3_mT4_P12ihipStream_tbEUlmE_lEESB_NS0_8identityIvEEEESM_SP_SQ_mSR_ST_bEUlT_E_NS1_11comp_targetILNS1_3genE8ELNS1_11target_archE1030ELNS1_3gpuE2ELNS1_3repE0EEENS1_30default_config_static_selectorELNS0_4arch9wavefront6targetE1EEEvT1_.private_seg_size, 0
	.set _ZN7rocprim17ROCPRIM_400000_NS6detail17trampoline_kernelINS0_14default_configENS1_25transform_config_selectorIlLb0EEEZNS1_14transform_implILb0ES3_S5_NS0_18transform_iteratorINS0_17counting_iteratorImlEEZNS1_24adjacent_difference_implIS3_Lb1ELb0EPlSB_ZN2at6native12_GLOBAL__N_124unique_dim_cuda_templateIjEESt5tupleIJNSC_6TensorESH_SH_EERKSH_lbbbEUlllE1_EE10hipError_tPvRmT2_T3_mT4_P12ihipStream_tbEUlmE_lEESB_NS0_8identityIvEEEESM_SP_SQ_mSR_ST_bEUlT_E_NS1_11comp_targetILNS1_3genE8ELNS1_11target_archE1030ELNS1_3gpuE2ELNS1_3repE0EEENS1_30default_config_static_selectorELNS0_4arch9wavefront6targetE1EEEvT1_.uses_vcc, 0
	.set _ZN7rocprim17ROCPRIM_400000_NS6detail17trampoline_kernelINS0_14default_configENS1_25transform_config_selectorIlLb0EEEZNS1_14transform_implILb0ES3_S5_NS0_18transform_iteratorINS0_17counting_iteratorImlEEZNS1_24adjacent_difference_implIS3_Lb1ELb0EPlSB_ZN2at6native12_GLOBAL__N_124unique_dim_cuda_templateIjEESt5tupleIJNSC_6TensorESH_SH_EERKSH_lbbbEUlllE1_EE10hipError_tPvRmT2_T3_mT4_P12ihipStream_tbEUlmE_lEESB_NS0_8identityIvEEEESM_SP_SQ_mSR_ST_bEUlT_E_NS1_11comp_targetILNS1_3genE8ELNS1_11target_archE1030ELNS1_3gpuE2ELNS1_3repE0EEENS1_30default_config_static_selectorELNS0_4arch9wavefront6targetE1EEEvT1_.uses_flat_scratch, 0
	.set _ZN7rocprim17ROCPRIM_400000_NS6detail17trampoline_kernelINS0_14default_configENS1_25transform_config_selectorIlLb0EEEZNS1_14transform_implILb0ES3_S5_NS0_18transform_iteratorINS0_17counting_iteratorImlEEZNS1_24adjacent_difference_implIS3_Lb1ELb0EPlSB_ZN2at6native12_GLOBAL__N_124unique_dim_cuda_templateIjEESt5tupleIJNSC_6TensorESH_SH_EERKSH_lbbbEUlllE1_EE10hipError_tPvRmT2_T3_mT4_P12ihipStream_tbEUlmE_lEESB_NS0_8identityIvEEEESM_SP_SQ_mSR_ST_bEUlT_E_NS1_11comp_targetILNS1_3genE8ELNS1_11target_archE1030ELNS1_3gpuE2ELNS1_3repE0EEENS1_30default_config_static_selectorELNS0_4arch9wavefront6targetE1EEEvT1_.has_dyn_sized_stack, 0
	.set _ZN7rocprim17ROCPRIM_400000_NS6detail17trampoline_kernelINS0_14default_configENS1_25transform_config_selectorIlLb0EEEZNS1_14transform_implILb0ES3_S5_NS0_18transform_iteratorINS0_17counting_iteratorImlEEZNS1_24adjacent_difference_implIS3_Lb1ELb0EPlSB_ZN2at6native12_GLOBAL__N_124unique_dim_cuda_templateIjEESt5tupleIJNSC_6TensorESH_SH_EERKSH_lbbbEUlllE1_EE10hipError_tPvRmT2_T3_mT4_P12ihipStream_tbEUlmE_lEESB_NS0_8identityIvEEEESM_SP_SQ_mSR_ST_bEUlT_E_NS1_11comp_targetILNS1_3genE8ELNS1_11target_archE1030ELNS1_3gpuE2ELNS1_3repE0EEENS1_30default_config_static_selectorELNS0_4arch9wavefront6targetE1EEEvT1_.has_recursion, 0
	.set _ZN7rocprim17ROCPRIM_400000_NS6detail17trampoline_kernelINS0_14default_configENS1_25transform_config_selectorIlLb0EEEZNS1_14transform_implILb0ES3_S5_NS0_18transform_iteratorINS0_17counting_iteratorImlEEZNS1_24adjacent_difference_implIS3_Lb1ELb0EPlSB_ZN2at6native12_GLOBAL__N_124unique_dim_cuda_templateIjEESt5tupleIJNSC_6TensorESH_SH_EERKSH_lbbbEUlllE1_EE10hipError_tPvRmT2_T3_mT4_P12ihipStream_tbEUlmE_lEESB_NS0_8identityIvEEEESM_SP_SQ_mSR_ST_bEUlT_E_NS1_11comp_targetILNS1_3genE8ELNS1_11target_archE1030ELNS1_3gpuE2ELNS1_3repE0EEENS1_30default_config_static_selectorELNS0_4arch9wavefront6targetE1EEEvT1_.has_indirect_call, 0
	.section	.AMDGPU.csdata,"",@progbits
; Kernel info:
; codeLenInByte = 0
; TotalNumSgprs: 6
; NumVgprs: 0
; NumAgprs: 0
; TotalNumVgprs: 0
; ScratchSize: 0
; MemoryBound: 0
; FloatMode: 240
; IeeeMode: 1
; LDSByteSize: 0 bytes/workgroup (compile time only)
; SGPRBlocks: 0
; VGPRBlocks: 0
; NumSGPRsForWavesPerEU: 6
; NumVGPRsForWavesPerEU: 1
; AccumOffset: 4
; Occupancy: 8
; WaveLimiterHint : 0
; COMPUTE_PGM_RSRC2:SCRATCH_EN: 0
; COMPUTE_PGM_RSRC2:USER_SGPR: 2
; COMPUTE_PGM_RSRC2:TRAP_HANDLER: 0
; COMPUTE_PGM_RSRC2:TGID_X_EN: 1
; COMPUTE_PGM_RSRC2:TGID_Y_EN: 0
; COMPUTE_PGM_RSRC2:TGID_Z_EN: 0
; COMPUTE_PGM_RSRC2:TIDIG_COMP_CNT: 0
; COMPUTE_PGM_RSRC3_GFX90A:ACCUM_OFFSET: 0
; COMPUTE_PGM_RSRC3_GFX90A:TG_SPLIT: 0
	.section	.text._ZN7rocprim17ROCPRIM_400000_NS6detail17trampoline_kernelINS0_14default_configENS1_35adjacent_difference_config_selectorILb1ElEEZNS1_24adjacent_difference_implIS3_Lb1ELb0EPlS7_ZN2at6native12_GLOBAL__N_124unique_dim_cuda_templateIjEESt5tupleIJNS8_6TensorESD_SD_EERKSD_lbbbEUlllE1_EE10hipError_tPvRmT2_T3_mT4_P12ihipStream_tbEUlT_E_NS1_11comp_targetILNS1_3genE0ELNS1_11target_archE4294967295ELNS1_3gpuE0ELNS1_3repE0EEENS1_30default_config_static_selectorELNS0_4arch9wavefront6targetE1EEEvT1_,"axG",@progbits,_ZN7rocprim17ROCPRIM_400000_NS6detail17trampoline_kernelINS0_14default_configENS1_35adjacent_difference_config_selectorILb1ElEEZNS1_24adjacent_difference_implIS3_Lb1ELb0EPlS7_ZN2at6native12_GLOBAL__N_124unique_dim_cuda_templateIjEESt5tupleIJNS8_6TensorESD_SD_EERKSD_lbbbEUlllE1_EE10hipError_tPvRmT2_T3_mT4_P12ihipStream_tbEUlT_E_NS1_11comp_targetILNS1_3genE0ELNS1_11target_archE4294967295ELNS1_3gpuE0ELNS1_3repE0EEENS1_30default_config_static_selectorELNS0_4arch9wavefront6targetE1EEEvT1_,comdat
	.globl	_ZN7rocprim17ROCPRIM_400000_NS6detail17trampoline_kernelINS0_14default_configENS1_35adjacent_difference_config_selectorILb1ElEEZNS1_24adjacent_difference_implIS3_Lb1ELb0EPlS7_ZN2at6native12_GLOBAL__N_124unique_dim_cuda_templateIjEESt5tupleIJNS8_6TensorESD_SD_EERKSD_lbbbEUlllE1_EE10hipError_tPvRmT2_T3_mT4_P12ihipStream_tbEUlT_E_NS1_11comp_targetILNS1_3genE0ELNS1_11target_archE4294967295ELNS1_3gpuE0ELNS1_3repE0EEENS1_30default_config_static_selectorELNS0_4arch9wavefront6targetE1EEEvT1_ ; -- Begin function _ZN7rocprim17ROCPRIM_400000_NS6detail17trampoline_kernelINS0_14default_configENS1_35adjacent_difference_config_selectorILb1ElEEZNS1_24adjacent_difference_implIS3_Lb1ELb0EPlS7_ZN2at6native12_GLOBAL__N_124unique_dim_cuda_templateIjEESt5tupleIJNS8_6TensorESD_SD_EERKSD_lbbbEUlllE1_EE10hipError_tPvRmT2_T3_mT4_P12ihipStream_tbEUlT_E_NS1_11comp_targetILNS1_3genE0ELNS1_11target_archE4294967295ELNS1_3gpuE0ELNS1_3repE0EEENS1_30default_config_static_selectorELNS0_4arch9wavefront6targetE1EEEvT1_
	.p2align	8
	.type	_ZN7rocprim17ROCPRIM_400000_NS6detail17trampoline_kernelINS0_14default_configENS1_35adjacent_difference_config_selectorILb1ElEEZNS1_24adjacent_difference_implIS3_Lb1ELb0EPlS7_ZN2at6native12_GLOBAL__N_124unique_dim_cuda_templateIjEESt5tupleIJNS8_6TensorESD_SD_EERKSD_lbbbEUlllE1_EE10hipError_tPvRmT2_T3_mT4_P12ihipStream_tbEUlT_E_NS1_11comp_targetILNS1_3genE0ELNS1_11target_archE4294967295ELNS1_3gpuE0ELNS1_3repE0EEENS1_30default_config_static_selectorELNS0_4arch9wavefront6targetE1EEEvT1_,@function
_ZN7rocprim17ROCPRIM_400000_NS6detail17trampoline_kernelINS0_14default_configENS1_35adjacent_difference_config_selectorILb1ElEEZNS1_24adjacent_difference_implIS3_Lb1ELb0EPlS7_ZN2at6native12_GLOBAL__N_124unique_dim_cuda_templateIjEESt5tupleIJNS8_6TensorESD_SD_EERKSD_lbbbEUlllE1_EE10hipError_tPvRmT2_T3_mT4_P12ihipStream_tbEUlT_E_NS1_11comp_targetILNS1_3genE0ELNS1_11target_archE4294967295ELNS1_3gpuE0ELNS1_3repE0EEENS1_30default_config_static_selectorELNS0_4arch9wavefront6targetE1EEEvT1_: ; @_ZN7rocprim17ROCPRIM_400000_NS6detail17trampoline_kernelINS0_14default_configENS1_35adjacent_difference_config_selectorILb1ElEEZNS1_24adjacent_difference_implIS3_Lb1ELb0EPlS7_ZN2at6native12_GLOBAL__N_124unique_dim_cuda_templateIjEESt5tupleIJNS8_6TensorESD_SD_EERKSD_lbbbEUlllE1_EE10hipError_tPvRmT2_T3_mT4_P12ihipStream_tbEUlT_E_NS1_11comp_targetILNS1_3genE0ELNS1_11target_archE4294967295ELNS1_3gpuE0ELNS1_3repE0EEENS1_30default_config_static_selectorELNS0_4arch9wavefront6targetE1EEEvT1_
; %bb.0:
	s_load_dwordx16 s[4:19], s[0:1], 0x0
	s_mov_b32 s25, 0
	s_mov_b64 s[26:27], -1
	s_waitcnt lgkmcnt(0)
	s_lshl_b64 s[6:7], s[6:7], 3
	s_add_u32 s30, s4, s6
	s_addc_u32 s31, s5, s7
	s_lshl_b32 s4, s2, 10
	s_lshr_b64 s[0:1], s[10:11], 10
	s_and_b32 s24, s10, 0x3ff
	s_cmp_lg_u64 s[24:25], 0
	s_cselect_b64 s[20:21], -1, 0
	v_cndmask_b32_e64 v1, 0, 1, s[20:21]
	s_mov_b32 s24, s2
	v_readfirstlane_b32 s3, v1
	s_add_u32 s22, s0, s3
	s_addc_u32 s23, s1, 0
	s_add_u32 s2, s18, s2
	s_addc_u32 s3, s19, 0
	s_add_u32 s20, s22, -1
	s_addc_u32 s21, s23, -1
	v_mov_b64_e32 v[2:3], s[20:21]
	v_cmp_ge_u64_e64 s[0:1], s[2:3], v[2:3]
	s_and_b64 vcc, exec, s[0:1]
	s_cbranch_vccz .LBB1533_6
; %bb.1:
	s_lshl_b32 s5, s20, 10
	s_sub_i32 s11, s10, s5
	s_mov_b32 s5, s25
	s_lshl_b64 s[26:27], s[4:5], 3
	s_add_u32 s26, s30, s26
	v_mov_b32_e32 v2, 0
	s_addc_u32 s27, s31, s27
	v_cmp_gt_u32_e32 vcc, s11, v0
	v_mov_b32_e32 v3, v2
	v_mov_b32_e32 v4, v2
	;; [unrolled: 1-line block ×3, first 2 shown]
	s_and_saveexec_b64 s[28:29], vcc
	s_cbranch_execz .LBB1533_3
; %bb.2:
	v_lshlrev_b32_e32 v1, 3, v0
	global_load_dwordx2 v[4:5], v1, s[26:27]
	v_mov_b32_e32 v6, v2
	v_mov_b32_e32 v7, v2
	s_waitcnt vmcnt(0)
	v_mov_b64_e32 v[2:3], v[4:5]
	v_mov_b64_e32 v[4:5], v[6:7]
.LBB1533_3:
	s_or_b64 exec, exec, s[28:29]
	v_or_b32_e32 v1, 0x200, v0
	v_cmp_gt_u32_e32 vcc, s11, v1
	s_and_saveexec_b64 s[28:29], vcc
	s_cbranch_execz .LBB1533_5
; %bb.4:
	v_lshlrev_b32_e32 v4, 3, v1
	global_load_dwordx2 v[4:5], v4, s[26:27]
.LBB1533_5:
	s_or_b64 exec, exec, s[28:29]
	v_lshrrev_b32_e32 v6, 2, v0
	v_lshrrev_b32_e32 v1, 2, v1
	v_and_b32_e32 v6, 0x78, v6
	v_lshlrev_b32_e32 v7, 3, v0
	v_and_b32_e32 v1, 0xf8, v1
	v_add_u32_e32 v6, v6, v7
	v_add_u32_e32 v1, v1, v7
	s_mov_b64 s[26:27], 0
	ds_write_b64 v6, v[2:3]
	s_waitcnt vmcnt(0)
	ds_write_b64 v1, v[4:5] offset:4096
	s_waitcnt lgkmcnt(0)
	s_barrier
.LBB1533_6:
	s_and_b64 vcc, exec, s[26:27]
	s_cbranch_vccz .LBB1533_8
; %bb.7:
	s_mov_b32 s5, 0
	s_lshl_b64 s[26:27], s[4:5], 3
	s_add_u32 s26, s30, s26
	s_addc_u32 s27, s31, s27
	v_lshlrev_b32_e32 v2, 3, v0
	v_mov_b32_e32 v3, 0
	v_lshl_add_u64 v[4:5], s[26:27], 0, v[2:3]
	v_add_co_u32_e32 v4, vcc, 0x1000, v4
	v_lshrrev_b32_e32 v1, 2, v0
	s_nop 0
	v_addc_co_u32_e32 v5, vcc, 0, v5, vcc
	global_load_dwordx2 v[6:7], v2, s[26:27]
	global_load_dwordx2 v[8:9], v[4:5], off
	v_or_b32_e32 v3, 0x200, v0
	v_and_b32_e32 v1, 0x78, v1
	v_lshrrev_b32_e32 v3, 2, v3
	v_add_u32_e32 v1, v1, v2
	v_and_b32_e32 v3, 0xf8, v3
	v_add_u32_e32 v2, v3, v2
	s_waitcnt vmcnt(1)
	ds_write_b64 v1, v[6:7]
	s_waitcnt vmcnt(0)
	ds_write_b64 v2, v[8:9] offset:4096
	s_waitcnt lgkmcnt(0)
	s_barrier
.LBB1533_8:
	v_lshrrev_b32_e32 v1, 1, v0
	v_and_b32_e32 v2, 0xf8, v1
	v_lshl_add_u32 v2, v0, 4, v2
	ds_read2_b64 v[2:5], v2 offset1:1
	s_cmp_eq_u64 s[2:3], 0
	s_waitcnt lgkmcnt(0)
	s_barrier
	s_cbranch_scc1 .LBB1533_15
; %bb.9:
	s_lshl_b64 s[18:19], s[18:19], 3
	s_add_u32 s5, s16, s18
	s_addc_u32 s11, s17, s19
	s_lshl_b64 s[16:17], s[24:25], 3
	s_add_u32 s5, s5, s16
	s_addc_u32 s11, s11, s17
	s_add_u32 s16, s5, -8
	s_addc_u32 s17, s11, -1
	s_load_dwordx2 s[16:17], s[16:17], 0x0
	s_cmp_eq_u64 s[2:3], s[20:21]
	s_cbranch_scc1 .LBB1533_16
; %bb.10:
	v_cmp_lt_i64_e64 s[24:25], s[12:13], 1
	v_lshlrev_b32_e32 v12, 3, v0
	v_mov_b64_e32 v[8:9], 0
	v_cmp_gt_i64_e64 s[18:19], s[12:13], 0
	s_and_b64 vcc, exec, s[24:25]
	ds_write_b64 v12, v[4:5]
	s_cbranch_vccnz .LBB1533_18
; %bb.11:
	v_mul_lo_u32 v8, v5, s12
	v_mul_lo_u32 v9, v4, s13
	v_mad_u64_u32 v[6:7], s[24:25], v4, s12, 0
	v_add3_u32 v7, v7, v9, v8
	v_mul_lo_u32 v10, v3, s12
	v_mul_lo_u32 v11, v2, s13
	v_mad_u64_u32 v[8:9], s[24:25], v2, s12, 0
	v_add3_u32 v9, v9, v11, v10
	v_lshl_add_u64 v[6:7], v[6:7], 2, s[14:15]
	v_lshl_add_u64 v[10:11], v[8:9], 2, s[14:15]
	s_mov_b64 s[24:25], 0
	s_mov_b64 s[26:27], s[12:13]
                                        ; implicit-def: $sgpr28_sgpr29
	s_branch .LBB1533_13
.LBB1533_12:                            ;   in Loop: Header=BB1533_13 Depth=1
	s_or_b64 exec, exec, s[30:31]
	s_and_b64 s[30:31], exec, s[28:29]
	s_or_b64 s[24:25], s[30:31], s[24:25]
	s_andn2_b64 exec, exec, s[24:25]
	s_cbranch_execz .LBB1533_17
.LBB1533_13:                            ; =>This Inner Loop Header: Depth=1
	global_load_dword v13, v[6:7], off
	global_load_dword v14, v[10:11], off
	v_mov_b64_e32 v[8:9], 1
	s_or_b64 s[28:29], s[28:29], exec
	s_waitcnt vmcnt(0)
	v_cmp_eq_u32_e32 vcc, v13, v14
	s_and_saveexec_b64 s[30:31], vcc
	s_cbranch_execz .LBB1533_12
; %bb.14:                               ;   in Loop: Header=BB1533_13 Depth=1
	s_add_u32 s26, s26, -1
	s_addc_u32 s27, s27, -1
	s_cmp_eq_u64 s[26:27], 0
	s_cselect_b64 s[34:35], -1, 0
	s_andn2_b64 s[28:29], s[28:29], exec
	s_and_b64 s[34:35], s[34:35], exec
	v_lshl_add_u64 v[6:7], v[6:7], 0, 4
	v_lshl_add_u64 v[10:11], v[10:11], 0, 4
	v_mov_b64_e32 v[8:9], 0
	s_or_b64 s[28:29], s[28:29], s[34:35]
	s_branch .LBB1533_12
.LBB1533_15:
                                        ; implicit-def: $vgpr8_vgpr9
                                        ; implicit-def: $vgpr6_vgpr7
	s_branch .LBB1533_47
.LBB1533_16:
                                        ; implicit-def: $vgpr8_vgpr9
                                        ; implicit-def: $vgpr6_vgpr7
	s_cbranch_execnz .LBB1533_27
	s_branch .LBB1533_46
.LBB1533_17:
	s_or_b64 exec, exec, s[24:25]
.LBB1533_18:
	v_cmp_ne_u32_e32 vcc, 0, v0
	s_waitcnt lgkmcnt(0)
	v_mov_b64_e32 v[6:7], s[16:17]
	s_barrier
	s_and_saveexec_b64 s[24:25], vcc
; %bb.19:
	v_add_u32_e32 v6, -8, v12
	ds_read_b64 v[6:7], v6
; %bb.20:
	s_or_b64 exec, exec, s[24:25]
	s_andn2_b64 vcc, exec, s[18:19]
	s_cbranch_vccnz .LBB1533_26
; %bb.21:
	v_mul_lo_u32 v12, v3, s12
	v_mul_lo_u32 v13, v2, s13
	v_mad_u64_u32 v[10:11], s[18:19], v2, s12, 0
	v_add3_u32 v11, v11, v13, v12
	s_waitcnt lgkmcnt(0)
	v_mul_lo_u32 v12, v7, s12
	v_mul_lo_u32 v13, v6, s13
	v_mad_u64_u32 v[6:7], s[18:19], v6, s12, 0
	v_add3_u32 v7, v7, v13, v12
	v_lshl_add_u64 v[10:11], v[10:11], 2, s[14:15]
	v_lshl_add_u64 v[12:13], v[6:7], 2, s[14:15]
	s_mov_b64 s[18:19], 0
	s_mov_b64 s[24:25], s[12:13]
                                        ; implicit-def: $sgpr26_sgpr27
	s_branch .LBB1533_23
.LBB1533_22:                            ;   in Loop: Header=BB1533_23 Depth=1
	s_or_b64 exec, exec, s[28:29]
	s_and_b64 s[28:29], exec, s[26:27]
	s_or_b64 s[18:19], s[28:29], s[18:19]
	s_andn2_b64 exec, exec, s[18:19]
	s_cbranch_execz .LBB1533_25
.LBB1533_23:                            ; =>This Inner Loop Header: Depth=1
	global_load_dword v14, v[10:11], off
	global_load_dword v15, v[12:13], off
	v_mov_b64_e32 v[6:7], 1
	s_or_b64 s[26:27], s[26:27], exec
	s_waitcnt vmcnt(0)
	v_cmp_eq_u32_e32 vcc, v14, v15
	s_and_saveexec_b64 s[28:29], vcc
	s_cbranch_execz .LBB1533_22
; %bb.24:                               ;   in Loop: Header=BB1533_23 Depth=1
	s_add_u32 s24, s24, -1
	s_addc_u32 s25, s25, -1
	s_cmp_eq_u64 s[24:25], 0
	s_cselect_b64 s[30:31], -1, 0
	s_andn2_b64 s[26:27], s[26:27], exec
	s_and_b64 s[30:31], s[30:31], exec
	v_lshl_add_u64 v[10:11], v[10:11], 0, 4
	v_lshl_add_u64 v[12:13], v[12:13], 0, 4
	v_mov_b64_e32 v[6:7], 0
	s_or_b64 s[26:27], s[26:27], s[30:31]
	s_branch .LBB1533_22
.LBB1533_25:
	s_or_b64 exec, exec, s[18:19]
	s_branch .LBB1533_46
.LBB1533_26:
	s_waitcnt lgkmcnt(0)
	v_mov_b64_e32 v[6:7], 0
	s_branch .LBB1533_46
.LBB1533_27:
	s_lshl_b32 s2, s2, 10
	v_lshlrev_b32_e32 v14, 1, v0
	s_sub_i32 s5, s10, s2
	v_or_b32_e32 v6, 1, v14
	v_lshlrev_b32_e32 v15, 3, v0
	v_cmp_gt_u32_e32 vcc, s5, v6
	v_mov_b64_e32 v[8:9], v[4:5]
	ds_write_b64 v15, v[4:5]
	v_mov_b64_e32 v[6:7], v[2:3]
	s_and_saveexec_b64 s[2:3], vcc
	s_cbranch_execz .LBB1533_35
; %bb.28:
	v_cmp_lt_i64_e64 s[18:19], s[12:13], 1
	s_and_b64 vcc, exec, s[18:19]
	s_cbranch_vccnz .LBB1533_34
; %bb.29:
	v_mul_lo_u32 v8, v5, s12
	v_mul_lo_u32 v9, v4, s13
	v_mad_u64_u32 v[6:7], s[18:19], v4, s12, 0
	v_add3_u32 v7, v7, v9, v8
	v_mul_lo_u32 v10, v3, s12
	v_mul_lo_u32 v11, v2, s13
	v_mad_u64_u32 v[8:9], s[18:19], v2, s12, 0
	v_add3_u32 v9, v9, v11, v10
	v_lshl_add_u64 v[6:7], v[6:7], 2, s[14:15]
	v_lshl_add_u64 v[10:11], v[8:9], 2, s[14:15]
	s_mov_b64 s[18:19], 0
	s_mov_b64 s[24:25], s[12:13]
                                        ; implicit-def: $sgpr26_sgpr27
	s_branch .LBB1533_31
.LBB1533_30:                            ;   in Loop: Header=BB1533_31 Depth=1
	s_or_b64 exec, exec, s[28:29]
	s_and_b64 s[28:29], exec, s[26:27]
	s_or_b64 s[18:19], s[28:29], s[18:19]
	s_andn2_b64 exec, exec, s[18:19]
	s_cbranch_execz .LBB1533_33
.LBB1533_31:                            ; =>This Inner Loop Header: Depth=1
	global_load_dword v12, v[6:7], off
	global_load_dword v13, v[10:11], off
	v_mov_b64_e32 v[8:9], 1
	s_or_b64 s[26:27], s[26:27], exec
	s_waitcnt vmcnt(0)
	v_cmp_eq_u32_e32 vcc, v12, v13
	s_and_saveexec_b64 s[28:29], vcc
	s_cbranch_execz .LBB1533_30
; %bb.32:                               ;   in Loop: Header=BB1533_31 Depth=1
	s_add_u32 s24, s24, -1
	s_addc_u32 s25, s25, -1
	s_cmp_eq_u64 s[24:25], 0
	s_cselect_b64 s[30:31], -1, 0
	s_andn2_b64 s[26:27], s[26:27], exec
	s_and_b64 s[30:31], s[30:31], exec
	v_lshl_add_u64 v[6:7], v[6:7], 0, 4
	v_lshl_add_u64 v[10:11], v[10:11], 0, 4
	v_mov_b64_e32 v[8:9], 0
	s_or_b64 s[26:27], s[26:27], s[30:31]
	s_branch .LBB1533_30
.LBB1533_33:
	s_or_b64 exec, exec, s[18:19]
	s_branch .LBB1533_35
.LBB1533_34:
	v_mov_b64_e32 v[8:9], 0
.LBB1533_35:
	s_or_b64 exec, exec, s[2:3]
	v_cmp_ne_u32_e32 vcc, 0, v0
	s_waitcnt lgkmcnt(0)
	v_mov_b64_e32 v[12:13], s[16:17]
	s_barrier
	s_and_saveexec_b64 s[2:3], vcc
; %bb.36:
	v_add_u32_e32 v6, -8, v15
	ds_read_b64 v[12:13], v6
; %bb.37:
	s_or_b64 exec, exec, s[2:3]
	v_cmp_gt_u32_e32 vcc, s5, v14
	v_mov_b64_e32 v[6:7], v[2:3]
	s_and_saveexec_b64 s[2:3], vcc
	s_cbranch_execz .LBB1533_45
; %bb.38:
	v_cmp_lt_i64_e64 s[16:17], s[12:13], 1
	s_and_b64 vcc, exec, s[16:17]
	s_cbranch_vccnz .LBB1533_44
; %bb.39:
	v_mul_lo_u32 v10, v3, s12
	v_mul_lo_u32 v11, v2, s13
	v_mad_u64_u32 v[6:7], s[16:17], v2, s12, 0
	v_add3_u32 v7, v7, v11, v10
	v_lshl_add_u64 v[10:11], v[6:7], 2, s[14:15]
	s_waitcnt lgkmcnt(0)
	v_mul_lo_u32 v13, v13, s12
	v_mul_lo_u32 v14, v12, s13
	v_mad_u64_u32 v[6:7], s[16:17], v12, s12, 0
	v_add3_u32 v7, v7, v14, v13
	v_lshl_add_u64 v[12:13], v[6:7], 2, s[14:15]
	s_mov_b64 s[16:17], 0
	s_mov_b64 s[18:19], s[12:13]
                                        ; implicit-def: $sgpr24_sgpr25
	s_branch .LBB1533_41
.LBB1533_40:                            ;   in Loop: Header=BB1533_41 Depth=1
	s_or_b64 exec, exec, s[26:27]
	s_and_b64 s[26:27], exec, s[24:25]
	s_or_b64 s[16:17], s[26:27], s[16:17]
	s_andn2_b64 exec, exec, s[16:17]
	s_cbranch_execz .LBB1533_43
.LBB1533_41:                            ; =>This Inner Loop Header: Depth=1
	global_load_dword v14, v[10:11], off
	global_load_dword v15, v[12:13], off
	v_mov_b64_e32 v[6:7], 1
	s_or_b64 s[24:25], s[24:25], exec
	s_waitcnt vmcnt(0)
	v_cmp_eq_u32_e32 vcc, v14, v15
	s_and_saveexec_b64 s[26:27], vcc
	s_cbranch_execz .LBB1533_40
; %bb.42:                               ;   in Loop: Header=BB1533_41 Depth=1
	s_add_u32 s18, s18, -1
	s_addc_u32 s19, s19, -1
	s_cmp_eq_u64 s[18:19], 0
	s_cselect_b64 s[28:29], -1, 0
	s_andn2_b64 s[24:25], s[24:25], exec
	s_and_b64 s[28:29], s[28:29], exec
	v_lshl_add_u64 v[10:11], v[10:11], 0, 4
	v_lshl_add_u64 v[12:13], v[12:13], 0, 4
	v_mov_b64_e32 v[6:7], 0
	s_or_b64 s[24:25], s[24:25], s[28:29]
	s_branch .LBB1533_40
.LBB1533_43:
	s_or_b64 exec, exec, s[16:17]
	s_branch .LBB1533_45
.LBB1533_44:
	v_mov_b64_e32 v[6:7], 0
.LBB1533_45:
	s_or_b64 exec, exec, s[2:3]
.LBB1533_46:
	s_cbranch_execnz .LBB1533_81
.LBB1533_47:
	s_cmp_eq_u64 s[22:23], 1
	s_cbranch_scc1 .LBB1533_53
; %bb.48:
	s_waitcnt lgkmcnt(0)
	v_cmp_lt_i64_e64 s[16:17], s[12:13], 1
	v_lshlrev_b32_e32 v12, 3, v0
	v_mov_b64_e32 v[8:9], 0
	v_cmp_gt_i64_e64 s[2:3], s[12:13], 0
	s_and_b64 vcc, exec, s[16:17]
	ds_write_b64 v12, v[4:5]
	s_cbranch_vccnz .LBB1533_55
; %bb.49:
	v_mul_lo_u32 v8, v5, s12
	v_mul_lo_u32 v9, v4, s13
	v_mad_u64_u32 v[6:7], s[16:17], v4, s12, 0
	v_add3_u32 v7, v7, v9, v8
	v_mul_lo_u32 v10, v3, s12
	v_mul_lo_u32 v11, v2, s13
	v_mad_u64_u32 v[8:9], s[16:17], v2, s12, 0
	v_add3_u32 v9, v9, v11, v10
	v_lshl_add_u64 v[6:7], v[6:7], 2, s[14:15]
	v_lshl_add_u64 v[10:11], v[8:9], 2, s[14:15]
	s_mov_b64 s[16:17], 0
	s_mov_b64 s[18:19], s[12:13]
                                        ; implicit-def: $sgpr22_sgpr23
	s_branch .LBB1533_51
.LBB1533_50:                            ;   in Loop: Header=BB1533_51 Depth=1
	s_or_b64 exec, exec, s[24:25]
	s_and_b64 s[24:25], exec, s[22:23]
	s_or_b64 s[16:17], s[24:25], s[16:17]
	s_andn2_b64 exec, exec, s[16:17]
	s_cbranch_execz .LBB1533_54
.LBB1533_51:                            ; =>This Inner Loop Header: Depth=1
	global_load_dword v13, v[6:7], off
	global_load_dword v14, v[10:11], off
	v_mov_b64_e32 v[8:9], 1
	s_or_b64 s[22:23], s[22:23], exec
	s_waitcnt vmcnt(0)
	v_cmp_eq_u32_e32 vcc, v13, v14
	s_and_saveexec_b64 s[24:25], vcc
	s_cbranch_execz .LBB1533_50
; %bb.52:                               ;   in Loop: Header=BB1533_51 Depth=1
	s_add_u32 s18, s18, -1
	s_addc_u32 s19, s19, -1
	s_cmp_eq_u64 s[18:19], 0
	s_cselect_b64 s[26:27], -1, 0
	s_andn2_b64 s[22:23], s[22:23], exec
	s_and_b64 s[26:27], s[26:27], exec
	v_lshl_add_u64 v[6:7], v[6:7], 0, 4
	v_lshl_add_u64 v[10:11], v[10:11], 0, 4
	v_mov_b64_e32 v[8:9], 0
	s_or_b64 s[22:23], s[22:23], s[26:27]
	s_branch .LBB1533_50
.LBB1533_53:
                                        ; implicit-def: $vgpr8_vgpr9
                                        ; implicit-def: $vgpr6_vgpr7
	s_cbranch_execnz .LBB1533_64
	s_branch .LBB1533_81
.LBB1533_54:
	s_or_b64 exec, exec, s[16:17]
.LBB1533_55:
	v_cmp_ne_u32_e32 vcc, 0, v0
	v_mov_b64_e32 v[6:7], v[2:3]
	s_waitcnt lgkmcnt(0)
	s_barrier
	s_and_saveexec_b64 s[16:17], vcc
	s_cbranch_execz .LBB1533_63
; %bb.56:
	s_andn2_b64 vcc, exec, s[2:3]
	s_cbranch_vccnz .LBB1533_62
; %bb.57:
	v_add_u32_e32 v6, -8, v12
	ds_read_b64 v[6:7], v6
	v_mul_lo_u32 v12, v3, s12
	v_mul_lo_u32 v13, v2, s13
	v_mad_u64_u32 v[10:11], s[2:3], v2, s12, 0
	v_add3_u32 v11, v11, v13, v12
	s_waitcnt lgkmcnt(0)
	v_mul_lo_u32 v12, s13, v6
	v_mul_lo_u32 v13, s12, v7
	v_mad_u64_u32 v[6:7], s[2:3], s12, v6, 0
	v_add3_u32 v7, v7, v13, v12
	v_lshl_add_u64 v[10:11], v[10:11], 2, s[14:15]
	v_lshl_add_u64 v[12:13], v[6:7], 2, s[14:15]
	s_mov_b64 s[2:3], 0
	s_mov_b64 s[18:19], s[12:13]
                                        ; implicit-def: $sgpr22_sgpr23
	s_branch .LBB1533_59
.LBB1533_58:                            ;   in Loop: Header=BB1533_59 Depth=1
	s_or_b64 exec, exec, s[24:25]
	s_and_b64 s[24:25], exec, s[22:23]
	s_or_b64 s[2:3], s[24:25], s[2:3]
	s_andn2_b64 exec, exec, s[2:3]
	s_cbranch_execz .LBB1533_61
.LBB1533_59:                            ; =>This Inner Loop Header: Depth=1
	global_load_dword v14, v[10:11], off
	global_load_dword v15, v[12:13], off
	v_mov_b64_e32 v[6:7], 1
	s_or_b64 s[22:23], s[22:23], exec
	s_waitcnt vmcnt(0)
	v_cmp_eq_u32_e32 vcc, v14, v15
	s_and_saveexec_b64 s[24:25], vcc
	s_cbranch_execz .LBB1533_58
; %bb.60:                               ;   in Loop: Header=BB1533_59 Depth=1
	s_add_u32 s18, s18, -1
	s_addc_u32 s19, s19, -1
	s_cmp_eq_u64 s[18:19], 0
	s_cselect_b64 s[26:27], -1, 0
	s_andn2_b64 s[22:23], s[22:23], exec
	s_and_b64 s[26:27], s[26:27], exec
	v_lshl_add_u64 v[10:11], v[10:11], 0, 4
	v_lshl_add_u64 v[12:13], v[12:13], 0, 4
	v_mov_b64_e32 v[6:7], 0
	s_or_b64 s[22:23], s[22:23], s[26:27]
	s_branch .LBB1533_58
.LBB1533_61:
	s_or_b64 exec, exec, s[2:3]
	s_branch .LBB1533_63
.LBB1533_62:
	v_mov_b64_e32 v[6:7], 0
.LBB1533_63:
	s_or_b64 exec, exec, s[16:17]
	s_branch .LBB1533_81
.LBB1533_64:
	v_lshlrev_b32_e32 v11, 1, v0
	v_or_b32_e32 v6, 1, v11
	v_lshlrev_b32_e32 v10, 3, v0
	v_cmp_gt_u32_e32 vcc, s10, v6
	v_mov_b64_e32 v[8:9], v[4:5]
	ds_write_b64 v10, v[4:5]
	v_mov_b64_e32 v[6:7], v[2:3]
	s_and_saveexec_b64 s[2:3], vcc
	s_cbranch_execz .LBB1533_72
; %bb.65:
	s_waitcnt lgkmcnt(0)
	v_cmp_lt_i64_e64 s[16:17], s[12:13], 1
	s_and_b64 vcc, exec, s[16:17]
	s_cbranch_vccnz .LBB1533_71
; %bb.66:
	v_mul_lo_u32 v6, v5, s12
	v_mul_lo_u32 v7, v4, s13
	v_mad_u64_u32 v[4:5], s[16:17], v4, s12, 0
	v_add3_u32 v5, v5, v7, v6
	v_mul_lo_u32 v8, v3, s12
	v_mul_lo_u32 v9, v2, s13
	v_mad_u64_u32 v[6:7], s[16:17], v2, s12, 0
	v_add3_u32 v7, v7, v9, v8
	v_lshl_add_u64 v[4:5], v[4:5], 2, s[14:15]
	v_lshl_add_u64 v[6:7], v[6:7], 2, s[14:15]
	s_mov_b64 s[16:17], 0
	s_mov_b64 s[18:19], s[12:13]
                                        ; implicit-def: $sgpr22_sgpr23
	s_branch .LBB1533_68
.LBB1533_67:                            ;   in Loop: Header=BB1533_68 Depth=1
	s_or_b64 exec, exec, s[24:25]
	s_and_b64 s[24:25], exec, s[22:23]
	s_or_b64 s[16:17], s[24:25], s[16:17]
	s_andn2_b64 exec, exec, s[16:17]
	s_cbranch_execz .LBB1533_70
.LBB1533_68:                            ; =>This Inner Loop Header: Depth=1
	global_load_dword v12, v[4:5], off
	global_load_dword v13, v[6:7], off
	v_mov_b64_e32 v[8:9], 1
	s_or_b64 s[22:23], s[22:23], exec
	s_waitcnt vmcnt(0)
	v_cmp_eq_u32_e32 vcc, v12, v13
	s_and_saveexec_b64 s[24:25], vcc
	s_cbranch_execz .LBB1533_67
; %bb.69:                               ;   in Loop: Header=BB1533_68 Depth=1
	s_add_u32 s18, s18, -1
	s_addc_u32 s19, s19, -1
	s_cmp_eq_u64 s[18:19], 0
	s_cselect_b64 s[26:27], -1, 0
	s_andn2_b64 s[22:23], s[22:23], exec
	s_and_b64 s[26:27], s[26:27], exec
	v_lshl_add_u64 v[4:5], v[4:5], 0, 4
	v_lshl_add_u64 v[6:7], v[6:7], 0, 4
	v_mov_b64_e32 v[8:9], 0
	s_or_b64 s[22:23], s[22:23], s[26:27]
	s_branch .LBB1533_67
.LBB1533_70:
	s_or_b64 exec, exec, s[16:17]
	s_branch .LBB1533_72
.LBB1533_71:
	v_mov_b64_e32 v[8:9], 0
.LBB1533_72:
	s_or_b64 exec, exec, s[2:3]
	v_cmp_ne_u32_e32 vcc, 0, v0
	v_cmp_gt_u32_e64 s[2:3], s10, v11
	s_waitcnt lgkmcnt(0)
	s_and_b64 s[16:17], vcc, s[2:3]
	s_barrier
	s_and_saveexec_b64 s[2:3], s[16:17]
	s_cbranch_execz .LBB1533_80
; %bb.73:
	v_cmp_lt_i64_e64 s[16:17], s[12:13], 1
	s_and_b64 vcc, exec, s[16:17]
	s_cbranch_vccnz .LBB1533_79
; %bb.74:
	v_add_u32_e32 v4, -8, v10
	ds_read_b64 v[6:7], v4
	v_mul_lo_u32 v4, v3, s12
	v_mul_lo_u32 v5, v2, s13
	v_mad_u64_u32 v[2:3], s[16:17], v2, s12, 0
	v_add3_u32 v3, v3, v5, v4
	v_lshl_add_u64 v[4:5], v[2:3], 2, s[14:15]
	s_waitcnt lgkmcnt(0)
	v_mul_lo_u32 v10, s13, v6
	v_mul_lo_u32 v7, s12, v7
	v_mad_u64_u32 v[2:3], s[16:17], s12, v6, 0
	v_add3_u32 v3, v3, v7, v10
	v_lshl_add_u64 v[6:7], v[2:3], 2, s[14:15]
	s_mov_b64 s[14:15], 0
                                        ; implicit-def: $sgpr16_sgpr17
	s_branch .LBB1533_76
.LBB1533_75:                            ;   in Loop: Header=BB1533_76 Depth=1
	s_or_b64 exec, exec, s[18:19]
	s_and_b64 s[18:19], exec, s[16:17]
	s_or_b64 s[14:15], s[18:19], s[14:15]
	s_andn2_b64 exec, exec, s[14:15]
	s_cbranch_execz .LBB1533_78
.LBB1533_76:                            ; =>This Inner Loop Header: Depth=1
	global_load_dword v10, v[4:5], off
	global_load_dword v11, v[6:7], off
	v_mov_b64_e32 v[2:3], 1
	s_or_b64 s[16:17], s[16:17], exec
	s_waitcnt vmcnt(0)
	v_cmp_eq_u32_e32 vcc, v10, v11
	s_and_saveexec_b64 s[18:19], vcc
	s_cbranch_execz .LBB1533_75
; %bb.77:                               ;   in Loop: Header=BB1533_76 Depth=1
	s_add_u32 s12, s12, -1
	s_addc_u32 s13, s13, -1
	s_cmp_eq_u64 s[12:13], 0
	s_cselect_b64 s[22:23], -1, 0
	s_andn2_b64 s[16:17], s[16:17], exec
	s_and_b64 s[22:23], s[22:23], exec
	v_lshl_add_u64 v[4:5], v[4:5], 0, 4
	v_lshl_add_u64 v[6:7], v[6:7], 0, 4
	v_mov_b64_e32 v[2:3], 0
	s_or_b64 s[16:17], s[16:17], s[22:23]
	s_branch .LBB1533_75
.LBB1533_78:
	s_or_b64 exec, exec, s[14:15]
	s_branch .LBB1533_80
.LBB1533_79:
	v_mov_b64_e32 v[2:3], 0
.LBB1533_80:
	s_or_b64 exec, exec, s[2:3]
	v_mov_b64_e32 v[6:7], v[2:3]
.LBB1533_81:
	s_add_u32 s6, s8, s6
	s_addc_u32 s7, s9, s7
	s_and_b64 vcc, exec, s[0:1]
	s_waitcnt lgkmcnt(0)
	s_barrier
	s_cbranch_vccz .LBB1533_85
; %bb.82:
	v_and_b32_e32 v2, 0xf8, v1
	v_lshl_add_u32 v2, v0, 4, v2
	v_or_b32_e32 v10, 0x200, v0
	ds_write2_b64 v2, v[6:7], v[8:9] offset1:1
	v_lshrrev_b32_e32 v2, 2, v10
	v_and_b32_e32 v2, 0xf8, v2
	v_lshlrev_b32_e32 v4, 3, v0
	v_add_u32_e32 v2, v2, v4
	s_lshl_b32 s0, s20, 10
	s_mov_b32 s5, 0
	s_waitcnt lgkmcnt(0)
	s_barrier
	ds_read_b64 v[2:3], v2 offset:4096
	s_sub_i32 s2, s10, s0
	s_lshl_b64 s[0:1], s[4:5], 3
	s_add_u32 s0, s6, s0
	s_addc_u32 s1, s7, s1
	v_mov_b32_e32 v5, 0
	v_lshl_add_u64 v[4:5], s[0:1], 0, v[4:5]
	v_cmp_gt_u32_e32 vcc, s2, v0
	s_and_saveexec_b64 s[0:1], vcc
	s_cbranch_execz .LBB1533_84
; %bb.83:
	v_lshrrev_b32_e32 v11, 2, v0
	v_and_b32_e32 v11, 0x78, v11
	v_lshl_add_u32 v11, v0, 3, v11
	ds_read_b64 v[12:13], v11
	s_waitcnt lgkmcnt(0)
	global_store_dwordx2 v[4:5], v[12:13], off
.LBB1533_84:
	s_or_b64 exec, exec, s[0:1]
	v_cmp_gt_u32_e64 s[0:1], s2, v10
	s_branch .LBB1533_87
.LBB1533_85:
	s_mov_b64 s[0:1], 0
                                        ; implicit-def: $vgpr2_vgpr3
                                        ; implicit-def: $vgpr4_vgpr5
	s_cbranch_execz .LBB1533_87
; %bb.86:
	v_and_b32_e32 v1, 0xf8, v1
	v_lshl_add_u32 v1, v0, 4, v1
	ds_write2_b64 v1, v[6:7], v[8:9] offset1:1
	v_lshrrev_b32_e32 v1, 2, v0
	v_lshlrev_b32_e32 v6, 3, v0
	v_or_b32_e32 v0, 0x200, v0
	v_lshrrev_b32_e32 v0, 2, v0
	v_and_b32_e32 v1, 0x78, v1
	v_and_b32_e32 v0, 0xf8, v0
	v_add_u32_e32 v1, v1, v6
	v_add_u32_e32 v0, v0, v6
	s_mov_b32 s5, 0
	s_waitcnt lgkmcnt(0)
	s_barrier
	ds_read_b64 v[8:9], v1
	ds_read_b64 v[2:3], v0 offset:4096
	s_lshl_b64 s[2:3], s[4:5], 3
	s_add_u32 s2, s6, s2
	s_addc_u32 s3, s7, s3
	v_mov_b32_e32 v7, 0
	v_lshl_add_u64 v[4:5], s[2:3], 0, v[6:7]
	s_or_b64 s[0:1], s[0:1], exec
	s_waitcnt lgkmcnt(1)
	global_store_dwordx2 v6, v[8:9], s[2:3]
.LBB1533_87:
	s_and_saveexec_b64 s[2:3], s[0:1]
	s_cbranch_execnz .LBB1533_89
; %bb.88:
	s_endpgm
.LBB1533_89:
	v_add_co_u32_e32 v0, vcc, 0x1000, v4
	s_nop 1
	v_addc_co_u32_e32 v1, vcc, 0, v5, vcc
	s_waitcnt lgkmcnt(0)
	global_store_dwordx2 v[0:1], v[2:3], off
	s_endpgm
	.section	.rodata,"a",@progbits
	.p2align	6, 0x0
	.amdhsa_kernel _ZN7rocprim17ROCPRIM_400000_NS6detail17trampoline_kernelINS0_14default_configENS1_35adjacent_difference_config_selectorILb1ElEEZNS1_24adjacent_difference_implIS3_Lb1ELb0EPlS7_ZN2at6native12_GLOBAL__N_124unique_dim_cuda_templateIjEESt5tupleIJNS8_6TensorESD_SD_EERKSD_lbbbEUlllE1_EE10hipError_tPvRmT2_T3_mT4_P12ihipStream_tbEUlT_E_NS1_11comp_targetILNS1_3genE0ELNS1_11target_archE4294967295ELNS1_3gpuE0ELNS1_3repE0EEENS1_30default_config_static_selectorELNS0_4arch9wavefront6targetE1EEEvT1_
		.amdhsa_group_segment_fixed_size 8448
		.amdhsa_private_segment_fixed_size 0
		.amdhsa_kernarg_size 64
		.amdhsa_user_sgpr_count 2
		.amdhsa_user_sgpr_dispatch_ptr 0
		.amdhsa_user_sgpr_queue_ptr 0
		.amdhsa_user_sgpr_kernarg_segment_ptr 1
		.amdhsa_user_sgpr_dispatch_id 0
		.amdhsa_user_sgpr_kernarg_preload_length 0
		.amdhsa_user_sgpr_kernarg_preload_offset 0
		.amdhsa_user_sgpr_private_segment_size 0
		.amdhsa_uses_dynamic_stack 0
		.amdhsa_enable_private_segment 0
		.amdhsa_system_sgpr_workgroup_id_x 1
		.amdhsa_system_sgpr_workgroup_id_y 0
		.amdhsa_system_sgpr_workgroup_id_z 0
		.amdhsa_system_sgpr_workgroup_info 0
		.amdhsa_system_vgpr_workitem_id 0
		.amdhsa_next_free_vgpr 16
		.amdhsa_next_free_sgpr 36
		.amdhsa_accum_offset 16
		.amdhsa_reserve_vcc 1
		.amdhsa_float_round_mode_32 0
		.amdhsa_float_round_mode_16_64 0
		.amdhsa_float_denorm_mode_32 3
		.amdhsa_float_denorm_mode_16_64 3
		.amdhsa_dx10_clamp 1
		.amdhsa_ieee_mode 1
		.amdhsa_fp16_overflow 0
		.amdhsa_tg_split 0
		.amdhsa_exception_fp_ieee_invalid_op 0
		.amdhsa_exception_fp_denorm_src 0
		.amdhsa_exception_fp_ieee_div_zero 0
		.amdhsa_exception_fp_ieee_overflow 0
		.amdhsa_exception_fp_ieee_underflow 0
		.amdhsa_exception_fp_ieee_inexact 0
		.amdhsa_exception_int_div_zero 0
	.end_amdhsa_kernel
	.section	.text._ZN7rocprim17ROCPRIM_400000_NS6detail17trampoline_kernelINS0_14default_configENS1_35adjacent_difference_config_selectorILb1ElEEZNS1_24adjacent_difference_implIS3_Lb1ELb0EPlS7_ZN2at6native12_GLOBAL__N_124unique_dim_cuda_templateIjEESt5tupleIJNS8_6TensorESD_SD_EERKSD_lbbbEUlllE1_EE10hipError_tPvRmT2_T3_mT4_P12ihipStream_tbEUlT_E_NS1_11comp_targetILNS1_3genE0ELNS1_11target_archE4294967295ELNS1_3gpuE0ELNS1_3repE0EEENS1_30default_config_static_selectorELNS0_4arch9wavefront6targetE1EEEvT1_,"axG",@progbits,_ZN7rocprim17ROCPRIM_400000_NS6detail17trampoline_kernelINS0_14default_configENS1_35adjacent_difference_config_selectorILb1ElEEZNS1_24adjacent_difference_implIS3_Lb1ELb0EPlS7_ZN2at6native12_GLOBAL__N_124unique_dim_cuda_templateIjEESt5tupleIJNS8_6TensorESD_SD_EERKSD_lbbbEUlllE1_EE10hipError_tPvRmT2_T3_mT4_P12ihipStream_tbEUlT_E_NS1_11comp_targetILNS1_3genE0ELNS1_11target_archE4294967295ELNS1_3gpuE0ELNS1_3repE0EEENS1_30default_config_static_selectorELNS0_4arch9wavefront6targetE1EEEvT1_,comdat
.Lfunc_end1533:
	.size	_ZN7rocprim17ROCPRIM_400000_NS6detail17trampoline_kernelINS0_14default_configENS1_35adjacent_difference_config_selectorILb1ElEEZNS1_24adjacent_difference_implIS3_Lb1ELb0EPlS7_ZN2at6native12_GLOBAL__N_124unique_dim_cuda_templateIjEESt5tupleIJNS8_6TensorESD_SD_EERKSD_lbbbEUlllE1_EE10hipError_tPvRmT2_T3_mT4_P12ihipStream_tbEUlT_E_NS1_11comp_targetILNS1_3genE0ELNS1_11target_archE4294967295ELNS1_3gpuE0ELNS1_3repE0EEENS1_30default_config_static_selectorELNS0_4arch9wavefront6targetE1EEEvT1_, .Lfunc_end1533-_ZN7rocprim17ROCPRIM_400000_NS6detail17trampoline_kernelINS0_14default_configENS1_35adjacent_difference_config_selectorILb1ElEEZNS1_24adjacent_difference_implIS3_Lb1ELb0EPlS7_ZN2at6native12_GLOBAL__N_124unique_dim_cuda_templateIjEESt5tupleIJNS8_6TensorESD_SD_EERKSD_lbbbEUlllE1_EE10hipError_tPvRmT2_T3_mT4_P12ihipStream_tbEUlT_E_NS1_11comp_targetILNS1_3genE0ELNS1_11target_archE4294967295ELNS1_3gpuE0ELNS1_3repE0EEENS1_30default_config_static_selectorELNS0_4arch9wavefront6targetE1EEEvT1_
                                        ; -- End function
	.set _ZN7rocprim17ROCPRIM_400000_NS6detail17trampoline_kernelINS0_14default_configENS1_35adjacent_difference_config_selectorILb1ElEEZNS1_24adjacent_difference_implIS3_Lb1ELb0EPlS7_ZN2at6native12_GLOBAL__N_124unique_dim_cuda_templateIjEESt5tupleIJNS8_6TensorESD_SD_EERKSD_lbbbEUlllE1_EE10hipError_tPvRmT2_T3_mT4_P12ihipStream_tbEUlT_E_NS1_11comp_targetILNS1_3genE0ELNS1_11target_archE4294967295ELNS1_3gpuE0ELNS1_3repE0EEENS1_30default_config_static_selectorELNS0_4arch9wavefront6targetE1EEEvT1_.num_vgpr, 16
	.set _ZN7rocprim17ROCPRIM_400000_NS6detail17trampoline_kernelINS0_14default_configENS1_35adjacent_difference_config_selectorILb1ElEEZNS1_24adjacent_difference_implIS3_Lb1ELb0EPlS7_ZN2at6native12_GLOBAL__N_124unique_dim_cuda_templateIjEESt5tupleIJNS8_6TensorESD_SD_EERKSD_lbbbEUlllE1_EE10hipError_tPvRmT2_T3_mT4_P12ihipStream_tbEUlT_E_NS1_11comp_targetILNS1_3genE0ELNS1_11target_archE4294967295ELNS1_3gpuE0ELNS1_3repE0EEENS1_30default_config_static_selectorELNS0_4arch9wavefront6targetE1EEEvT1_.num_agpr, 0
	.set _ZN7rocprim17ROCPRIM_400000_NS6detail17trampoline_kernelINS0_14default_configENS1_35adjacent_difference_config_selectorILb1ElEEZNS1_24adjacent_difference_implIS3_Lb1ELb0EPlS7_ZN2at6native12_GLOBAL__N_124unique_dim_cuda_templateIjEESt5tupleIJNS8_6TensorESD_SD_EERKSD_lbbbEUlllE1_EE10hipError_tPvRmT2_T3_mT4_P12ihipStream_tbEUlT_E_NS1_11comp_targetILNS1_3genE0ELNS1_11target_archE4294967295ELNS1_3gpuE0ELNS1_3repE0EEENS1_30default_config_static_selectorELNS0_4arch9wavefront6targetE1EEEvT1_.numbered_sgpr, 36
	.set _ZN7rocprim17ROCPRIM_400000_NS6detail17trampoline_kernelINS0_14default_configENS1_35adjacent_difference_config_selectorILb1ElEEZNS1_24adjacent_difference_implIS3_Lb1ELb0EPlS7_ZN2at6native12_GLOBAL__N_124unique_dim_cuda_templateIjEESt5tupleIJNS8_6TensorESD_SD_EERKSD_lbbbEUlllE1_EE10hipError_tPvRmT2_T3_mT4_P12ihipStream_tbEUlT_E_NS1_11comp_targetILNS1_3genE0ELNS1_11target_archE4294967295ELNS1_3gpuE0ELNS1_3repE0EEENS1_30default_config_static_selectorELNS0_4arch9wavefront6targetE1EEEvT1_.num_named_barrier, 0
	.set _ZN7rocprim17ROCPRIM_400000_NS6detail17trampoline_kernelINS0_14default_configENS1_35adjacent_difference_config_selectorILb1ElEEZNS1_24adjacent_difference_implIS3_Lb1ELb0EPlS7_ZN2at6native12_GLOBAL__N_124unique_dim_cuda_templateIjEESt5tupleIJNS8_6TensorESD_SD_EERKSD_lbbbEUlllE1_EE10hipError_tPvRmT2_T3_mT4_P12ihipStream_tbEUlT_E_NS1_11comp_targetILNS1_3genE0ELNS1_11target_archE4294967295ELNS1_3gpuE0ELNS1_3repE0EEENS1_30default_config_static_selectorELNS0_4arch9wavefront6targetE1EEEvT1_.private_seg_size, 0
	.set _ZN7rocprim17ROCPRIM_400000_NS6detail17trampoline_kernelINS0_14default_configENS1_35adjacent_difference_config_selectorILb1ElEEZNS1_24adjacent_difference_implIS3_Lb1ELb0EPlS7_ZN2at6native12_GLOBAL__N_124unique_dim_cuda_templateIjEESt5tupleIJNS8_6TensorESD_SD_EERKSD_lbbbEUlllE1_EE10hipError_tPvRmT2_T3_mT4_P12ihipStream_tbEUlT_E_NS1_11comp_targetILNS1_3genE0ELNS1_11target_archE4294967295ELNS1_3gpuE0ELNS1_3repE0EEENS1_30default_config_static_selectorELNS0_4arch9wavefront6targetE1EEEvT1_.uses_vcc, 1
	.set _ZN7rocprim17ROCPRIM_400000_NS6detail17trampoline_kernelINS0_14default_configENS1_35adjacent_difference_config_selectorILb1ElEEZNS1_24adjacent_difference_implIS3_Lb1ELb0EPlS7_ZN2at6native12_GLOBAL__N_124unique_dim_cuda_templateIjEESt5tupleIJNS8_6TensorESD_SD_EERKSD_lbbbEUlllE1_EE10hipError_tPvRmT2_T3_mT4_P12ihipStream_tbEUlT_E_NS1_11comp_targetILNS1_3genE0ELNS1_11target_archE4294967295ELNS1_3gpuE0ELNS1_3repE0EEENS1_30default_config_static_selectorELNS0_4arch9wavefront6targetE1EEEvT1_.uses_flat_scratch, 0
	.set _ZN7rocprim17ROCPRIM_400000_NS6detail17trampoline_kernelINS0_14default_configENS1_35adjacent_difference_config_selectorILb1ElEEZNS1_24adjacent_difference_implIS3_Lb1ELb0EPlS7_ZN2at6native12_GLOBAL__N_124unique_dim_cuda_templateIjEESt5tupleIJNS8_6TensorESD_SD_EERKSD_lbbbEUlllE1_EE10hipError_tPvRmT2_T3_mT4_P12ihipStream_tbEUlT_E_NS1_11comp_targetILNS1_3genE0ELNS1_11target_archE4294967295ELNS1_3gpuE0ELNS1_3repE0EEENS1_30default_config_static_selectorELNS0_4arch9wavefront6targetE1EEEvT1_.has_dyn_sized_stack, 0
	.set _ZN7rocprim17ROCPRIM_400000_NS6detail17trampoline_kernelINS0_14default_configENS1_35adjacent_difference_config_selectorILb1ElEEZNS1_24adjacent_difference_implIS3_Lb1ELb0EPlS7_ZN2at6native12_GLOBAL__N_124unique_dim_cuda_templateIjEESt5tupleIJNS8_6TensorESD_SD_EERKSD_lbbbEUlllE1_EE10hipError_tPvRmT2_T3_mT4_P12ihipStream_tbEUlT_E_NS1_11comp_targetILNS1_3genE0ELNS1_11target_archE4294967295ELNS1_3gpuE0ELNS1_3repE0EEENS1_30default_config_static_selectorELNS0_4arch9wavefront6targetE1EEEvT1_.has_recursion, 0
	.set _ZN7rocprim17ROCPRIM_400000_NS6detail17trampoline_kernelINS0_14default_configENS1_35adjacent_difference_config_selectorILb1ElEEZNS1_24adjacent_difference_implIS3_Lb1ELb0EPlS7_ZN2at6native12_GLOBAL__N_124unique_dim_cuda_templateIjEESt5tupleIJNS8_6TensorESD_SD_EERKSD_lbbbEUlllE1_EE10hipError_tPvRmT2_T3_mT4_P12ihipStream_tbEUlT_E_NS1_11comp_targetILNS1_3genE0ELNS1_11target_archE4294967295ELNS1_3gpuE0ELNS1_3repE0EEENS1_30default_config_static_selectorELNS0_4arch9wavefront6targetE1EEEvT1_.has_indirect_call, 0
	.section	.AMDGPU.csdata,"",@progbits
; Kernel info:
; codeLenInByte = 3144
; TotalNumSgprs: 42
; NumVgprs: 16
; NumAgprs: 0
; TotalNumVgprs: 16
; ScratchSize: 0
; MemoryBound: 0
; FloatMode: 240
; IeeeMode: 1
; LDSByteSize: 8448 bytes/workgroup (compile time only)
; SGPRBlocks: 5
; VGPRBlocks: 1
; NumSGPRsForWavesPerEU: 42
; NumVGPRsForWavesPerEU: 16
; AccumOffset: 16
; Occupancy: 8
; WaveLimiterHint : 1
; COMPUTE_PGM_RSRC2:SCRATCH_EN: 0
; COMPUTE_PGM_RSRC2:USER_SGPR: 2
; COMPUTE_PGM_RSRC2:TRAP_HANDLER: 0
; COMPUTE_PGM_RSRC2:TGID_X_EN: 1
; COMPUTE_PGM_RSRC2:TGID_Y_EN: 0
; COMPUTE_PGM_RSRC2:TGID_Z_EN: 0
; COMPUTE_PGM_RSRC2:TIDIG_COMP_CNT: 0
; COMPUTE_PGM_RSRC3_GFX90A:ACCUM_OFFSET: 3
; COMPUTE_PGM_RSRC3_GFX90A:TG_SPLIT: 0
	.section	.text._ZN7rocprim17ROCPRIM_400000_NS6detail17trampoline_kernelINS0_14default_configENS1_35adjacent_difference_config_selectorILb1ElEEZNS1_24adjacent_difference_implIS3_Lb1ELb0EPlS7_ZN2at6native12_GLOBAL__N_124unique_dim_cuda_templateIjEESt5tupleIJNS8_6TensorESD_SD_EERKSD_lbbbEUlllE1_EE10hipError_tPvRmT2_T3_mT4_P12ihipStream_tbEUlT_E_NS1_11comp_targetILNS1_3genE10ELNS1_11target_archE1201ELNS1_3gpuE5ELNS1_3repE0EEENS1_30default_config_static_selectorELNS0_4arch9wavefront6targetE1EEEvT1_,"axG",@progbits,_ZN7rocprim17ROCPRIM_400000_NS6detail17trampoline_kernelINS0_14default_configENS1_35adjacent_difference_config_selectorILb1ElEEZNS1_24adjacent_difference_implIS3_Lb1ELb0EPlS7_ZN2at6native12_GLOBAL__N_124unique_dim_cuda_templateIjEESt5tupleIJNS8_6TensorESD_SD_EERKSD_lbbbEUlllE1_EE10hipError_tPvRmT2_T3_mT4_P12ihipStream_tbEUlT_E_NS1_11comp_targetILNS1_3genE10ELNS1_11target_archE1201ELNS1_3gpuE5ELNS1_3repE0EEENS1_30default_config_static_selectorELNS0_4arch9wavefront6targetE1EEEvT1_,comdat
	.globl	_ZN7rocprim17ROCPRIM_400000_NS6detail17trampoline_kernelINS0_14default_configENS1_35adjacent_difference_config_selectorILb1ElEEZNS1_24adjacent_difference_implIS3_Lb1ELb0EPlS7_ZN2at6native12_GLOBAL__N_124unique_dim_cuda_templateIjEESt5tupleIJNS8_6TensorESD_SD_EERKSD_lbbbEUlllE1_EE10hipError_tPvRmT2_T3_mT4_P12ihipStream_tbEUlT_E_NS1_11comp_targetILNS1_3genE10ELNS1_11target_archE1201ELNS1_3gpuE5ELNS1_3repE0EEENS1_30default_config_static_selectorELNS0_4arch9wavefront6targetE1EEEvT1_ ; -- Begin function _ZN7rocprim17ROCPRIM_400000_NS6detail17trampoline_kernelINS0_14default_configENS1_35adjacent_difference_config_selectorILb1ElEEZNS1_24adjacent_difference_implIS3_Lb1ELb0EPlS7_ZN2at6native12_GLOBAL__N_124unique_dim_cuda_templateIjEESt5tupleIJNS8_6TensorESD_SD_EERKSD_lbbbEUlllE1_EE10hipError_tPvRmT2_T3_mT4_P12ihipStream_tbEUlT_E_NS1_11comp_targetILNS1_3genE10ELNS1_11target_archE1201ELNS1_3gpuE5ELNS1_3repE0EEENS1_30default_config_static_selectorELNS0_4arch9wavefront6targetE1EEEvT1_
	.p2align	8
	.type	_ZN7rocprim17ROCPRIM_400000_NS6detail17trampoline_kernelINS0_14default_configENS1_35adjacent_difference_config_selectorILb1ElEEZNS1_24adjacent_difference_implIS3_Lb1ELb0EPlS7_ZN2at6native12_GLOBAL__N_124unique_dim_cuda_templateIjEESt5tupleIJNS8_6TensorESD_SD_EERKSD_lbbbEUlllE1_EE10hipError_tPvRmT2_T3_mT4_P12ihipStream_tbEUlT_E_NS1_11comp_targetILNS1_3genE10ELNS1_11target_archE1201ELNS1_3gpuE5ELNS1_3repE0EEENS1_30default_config_static_selectorELNS0_4arch9wavefront6targetE1EEEvT1_,@function
_ZN7rocprim17ROCPRIM_400000_NS6detail17trampoline_kernelINS0_14default_configENS1_35adjacent_difference_config_selectorILb1ElEEZNS1_24adjacent_difference_implIS3_Lb1ELb0EPlS7_ZN2at6native12_GLOBAL__N_124unique_dim_cuda_templateIjEESt5tupleIJNS8_6TensorESD_SD_EERKSD_lbbbEUlllE1_EE10hipError_tPvRmT2_T3_mT4_P12ihipStream_tbEUlT_E_NS1_11comp_targetILNS1_3genE10ELNS1_11target_archE1201ELNS1_3gpuE5ELNS1_3repE0EEENS1_30default_config_static_selectorELNS0_4arch9wavefront6targetE1EEEvT1_: ; @_ZN7rocprim17ROCPRIM_400000_NS6detail17trampoline_kernelINS0_14default_configENS1_35adjacent_difference_config_selectorILb1ElEEZNS1_24adjacent_difference_implIS3_Lb1ELb0EPlS7_ZN2at6native12_GLOBAL__N_124unique_dim_cuda_templateIjEESt5tupleIJNS8_6TensorESD_SD_EERKSD_lbbbEUlllE1_EE10hipError_tPvRmT2_T3_mT4_P12ihipStream_tbEUlT_E_NS1_11comp_targetILNS1_3genE10ELNS1_11target_archE1201ELNS1_3gpuE5ELNS1_3repE0EEENS1_30default_config_static_selectorELNS0_4arch9wavefront6targetE1EEEvT1_
; %bb.0:
	.section	.rodata,"a",@progbits
	.p2align	6, 0x0
	.amdhsa_kernel _ZN7rocprim17ROCPRIM_400000_NS6detail17trampoline_kernelINS0_14default_configENS1_35adjacent_difference_config_selectorILb1ElEEZNS1_24adjacent_difference_implIS3_Lb1ELb0EPlS7_ZN2at6native12_GLOBAL__N_124unique_dim_cuda_templateIjEESt5tupleIJNS8_6TensorESD_SD_EERKSD_lbbbEUlllE1_EE10hipError_tPvRmT2_T3_mT4_P12ihipStream_tbEUlT_E_NS1_11comp_targetILNS1_3genE10ELNS1_11target_archE1201ELNS1_3gpuE5ELNS1_3repE0EEENS1_30default_config_static_selectorELNS0_4arch9wavefront6targetE1EEEvT1_
		.amdhsa_group_segment_fixed_size 0
		.amdhsa_private_segment_fixed_size 0
		.amdhsa_kernarg_size 64
		.amdhsa_user_sgpr_count 2
		.amdhsa_user_sgpr_dispatch_ptr 0
		.amdhsa_user_sgpr_queue_ptr 0
		.amdhsa_user_sgpr_kernarg_segment_ptr 1
		.amdhsa_user_sgpr_dispatch_id 0
		.amdhsa_user_sgpr_kernarg_preload_length 0
		.amdhsa_user_sgpr_kernarg_preload_offset 0
		.amdhsa_user_sgpr_private_segment_size 0
		.amdhsa_uses_dynamic_stack 0
		.amdhsa_enable_private_segment 0
		.amdhsa_system_sgpr_workgroup_id_x 1
		.amdhsa_system_sgpr_workgroup_id_y 0
		.amdhsa_system_sgpr_workgroup_id_z 0
		.amdhsa_system_sgpr_workgroup_info 0
		.amdhsa_system_vgpr_workitem_id 0
		.amdhsa_next_free_vgpr 1
		.amdhsa_next_free_sgpr 0
		.amdhsa_accum_offset 4
		.amdhsa_reserve_vcc 0
		.amdhsa_float_round_mode_32 0
		.amdhsa_float_round_mode_16_64 0
		.amdhsa_float_denorm_mode_32 3
		.amdhsa_float_denorm_mode_16_64 3
		.amdhsa_dx10_clamp 1
		.amdhsa_ieee_mode 1
		.amdhsa_fp16_overflow 0
		.amdhsa_tg_split 0
		.amdhsa_exception_fp_ieee_invalid_op 0
		.amdhsa_exception_fp_denorm_src 0
		.amdhsa_exception_fp_ieee_div_zero 0
		.amdhsa_exception_fp_ieee_overflow 0
		.amdhsa_exception_fp_ieee_underflow 0
		.amdhsa_exception_fp_ieee_inexact 0
		.amdhsa_exception_int_div_zero 0
	.end_amdhsa_kernel
	.section	.text._ZN7rocprim17ROCPRIM_400000_NS6detail17trampoline_kernelINS0_14default_configENS1_35adjacent_difference_config_selectorILb1ElEEZNS1_24adjacent_difference_implIS3_Lb1ELb0EPlS7_ZN2at6native12_GLOBAL__N_124unique_dim_cuda_templateIjEESt5tupleIJNS8_6TensorESD_SD_EERKSD_lbbbEUlllE1_EE10hipError_tPvRmT2_T3_mT4_P12ihipStream_tbEUlT_E_NS1_11comp_targetILNS1_3genE10ELNS1_11target_archE1201ELNS1_3gpuE5ELNS1_3repE0EEENS1_30default_config_static_selectorELNS0_4arch9wavefront6targetE1EEEvT1_,"axG",@progbits,_ZN7rocprim17ROCPRIM_400000_NS6detail17trampoline_kernelINS0_14default_configENS1_35adjacent_difference_config_selectorILb1ElEEZNS1_24adjacent_difference_implIS3_Lb1ELb0EPlS7_ZN2at6native12_GLOBAL__N_124unique_dim_cuda_templateIjEESt5tupleIJNS8_6TensorESD_SD_EERKSD_lbbbEUlllE1_EE10hipError_tPvRmT2_T3_mT4_P12ihipStream_tbEUlT_E_NS1_11comp_targetILNS1_3genE10ELNS1_11target_archE1201ELNS1_3gpuE5ELNS1_3repE0EEENS1_30default_config_static_selectorELNS0_4arch9wavefront6targetE1EEEvT1_,comdat
.Lfunc_end1534:
	.size	_ZN7rocprim17ROCPRIM_400000_NS6detail17trampoline_kernelINS0_14default_configENS1_35adjacent_difference_config_selectorILb1ElEEZNS1_24adjacent_difference_implIS3_Lb1ELb0EPlS7_ZN2at6native12_GLOBAL__N_124unique_dim_cuda_templateIjEESt5tupleIJNS8_6TensorESD_SD_EERKSD_lbbbEUlllE1_EE10hipError_tPvRmT2_T3_mT4_P12ihipStream_tbEUlT_E_NS1_11comp_targetILNS1_3genE10ELNS1_11target_archE1201ELNS1_3gpuE5ELNS1_3repE0EEENS1_30default_config_static_selectorELNS0_4arch9wavefront6targetE1EEEvT1_, .Lfunc_end1534-_ZN7rocprim17ROCPRIM_400000_NS6detail17trampoline_kernelINS0_14default_configENS1_35adjacent_difference_config_selectorILb1ElEEZNS1_24adjacent_difference_implIS3_Lb1ELb0EPlS7_ZN2at6native12_GLOBAL__N_124unique_dim_cuda_templateIjEESt5tupleIJNS8_6TensorESD_SD_EERKSD_lbbbEUlllE1_EE10hipError_tPvRmT2_T3_mT4_P12ihipStream_tbEUlT_E_NS1_11comp_targetILNS1_3genE10ELNS1_11target_archE1201ELNS1_3gpuE5ELNS1_3repE0EEENS1_30default_config_static_selectorELNS0_4arch9wavefront6targetE1EEEvT1_
                                        ; -- End function
	.set _ZN7rocprim17ROCPRIM_400000_NS6detail17trampoline_kernelINS0_14default_configENS1_35adjacent_difference_config_selectorILb1ElEEZNS1_24adjacent_difference_implIS3_Lb1ELb0EPlS7_ZN2at6native12_GLOBAL__N_124unique_dim_cuda_templateIjEESt5tupleIJNS8_6TensorESD_SD_EERKSD_lbbbEUlllE1_EE10hipError_tPvRmT2_T3_mT4_P12ihipStream_tbEUlT_E_NS1_11comp_targetILNS1_3genE10ELNS1_11target_archE1201ELNS1_3gpuE5ELNS1_3repE0EEENS1_30default_config_static_selectorELNS0_4arch9wavefront6targetE1EEEvT1_.num_vgpr, 0
	.set _ZN7rocprim17ROCPRIM_400000_NS6detail17trampoline_kernelINS0_14default_configENS1_35adjacent_difference_config_selectorILb1ElEEZNS1_24adjacent_difference_implIS3_Lb1ELb0EPlS7_ZN2at6native12_GLOBAL__N_124unique_dim_cuda_templateIjEESt5tupleIJNS8_6TensorESD_SD_EERKSD_lbbbEUlllE1_EE10hipError_tPvRmT2_T3_mT4_P12ihipStream_tbEUlT_E_NS1_11comp_targetILNS1_3genE10ELNS1_11target_archE1201ELNS1_3gpuE5ELNS1_3repE0EEENS1_30default_config_static_selectorELNS0_4arch9wavefront6targetE1EEEvT1_.num_agpr, 0
	.set _ZN7rocprim17ROCPRIM_400000_NS6detail17trampoline_kernelINS0_14default_configENS1_35adjacent_difference_config_selectorILb1ElEEZNS1_24adjacent_difference_implIS3_Lb1ELb0EPlS7_ZN2at6native12_GLOBAL__N_124unique_dim_cuda_templateIjEESt5tupleIJNS8_6TensorESD_SD_EERKSD_lbbbEUlllE1_EE10hipError_tPvRmT2_T3_mT4_P12ihipStream_tbEUlT_E_NS1_11comp_targetILNS1_3genE10ELNS1_11target_archE1201ELNS1_3gpuE5ELNS1_3repE0EEENS1_30default_config_static_selectorELNS0_4arch9wavefront6targetE1EEEvT1_.numbered_sgpr, 0
	.set _ZN7rocprim17ROCPRIM_400000_NS6detail17trampoline_kernelINS0_14default_configENS1_35adjacent_difference_config_selectorILb1ElEEZNS1_24adjacent_difference_implIS3_Lb1ELb0EPlS7_ZN2at6native12_GLOBAL__N_124unique_dim_cuda_templateIjEESt5tupleIJNS8_6TensorESD_SD_EERKSD_lbbbEUlllE1_EE10hipError_tPvRmT2_T3_mT4_P12ihipStream_tbEUlT_E_NS1_11comp_targetILNS1_3genE10ELNS1_11target_archE1201ELNS1_3gpuE5ELNS1_3repE0EEENS1_30default_config_static_selectorELNS0_4arch9wavefront6targetE1EEEvT1_.num_named_barrier, 0
	.set _ZN7rocprim17ROCPRIM_400000_NS6detail17trampoline_kernelINS0_14default_configENS1_35adjacent_difference_config_selectorILb1ElEEZNS1_24adjacent_difference_implIS3_Lb1ELb0EPlS7_ZN2at6native12_GLOBAL__N_124unique_dim_cuda_templateIjEESt5tupleIJNS8_6TensorESD_SD_EERKSD_lbbbEUlllE1_EE10hipError_tPvRmT2_T3_mT4_P12ihipStream_tbEUlT_E_NS1_11comp_targetILNS1_3genE10ELNS1_11target_archE1201ELNS1_3gpuE5ELNS1_3repE0EEENS1_30default_config_static_selectorELNS0_4arch9wavefront6targetE1EEEvT1_.private_seg_size, 0
	.set _ZN7rocprim17ROCPRIM_400000_NS6detail17trampoline_kernelINS0_14default_configENS1_35adjacent_difference_config_selectorILb1ElEEZNS1_24adjacent_difference_implIS3_Lb1ELb0EPlS7_ZN2at6native12_GLOBAL__N_124unique_dim_cuda_templateIjEESt5tupleIJNS8_6TensorESD_SD_EERKSD_lbbbEUlllE1_EE10hipError_tPvRmT2_T3_mT4_P12ihipStream_tbEUlT_E_NS1_11comp_targetILNS1_3genE10ELNS1_11target_archE1201ELNS1_3gpuE5ELNS1_3repE0EEENS1_30default_config_static_selectorELNS0_4arch9wavefront6targetE1EEEvT1_.uses_vcc, 0
	.set _ZN7rocprim17ROCPRIM_400000_NS6detail17trampoline_kernelINS0_14default_configENS1_35adjacent_difference_config_selectorILb1ElEEZNS1_24adjacent_difference_implIS3_Lb1ELb0EPlS7_ZN2at6native12_GLOBAL__N_124unique_dim_cuda_templateIjEESt5tupleIJNS8_6TensorESD_SD_EERKSD_lbbbEUlllE1_EE10hipError_tPvRmT2_T3_mT4_P12ihipStream_tbEUlT_E_NS1_11comp_targetILNS1_3genE10ELNS1_11target_archE1201ELNS1_3gpuE5ELNS1_3repE0EEENS1_30default_config_static_selectorELNS0_4arch9wavefront6targetE1EEEvT1_.uses_flat_scratch, 0
	.set _ZN7rocprim17ROCPRIM_400000_NS6detail17trampoline_kernelINS0_14default_configENS1_35adjacent_difference_config_selectorILb1ElEEZNS1_24adjacent_difference_implIS3_Lb1ELb0EPlS7_ZN2at6native12_GLOBAL__N_124unique_dim_cuda_templateIjEESt5tupleIJNS8_6TensorESD_SD_EERKSD_lbbbEUlllE1_EE10hipError_tPvRmT2_T3_mT4_P12ihipStream_tbEUlT_E_NS1_11comp_targetILNS1_3genE10ELNS1_11target_archE1201ELNS1_3gpuE5ELNS1_3repE0EEENS1_30default_config_static_selectorELNS0_4arch9wavefront6targetE1EEEvT1_.has_dyn_sized_stack, 0
	.set _ZN7rocprim17ROCPRIM_400000_NS6detail17trampoline_kernelINS0_14default_configENS1_35adjacent_difference_config_selectorILb1ElEEZNS1_24adjacent_difference_implIS3_Lb1ELb0EPlS7_ZN2at6native12_GLOBAL__N_124unique_dim_cuda_templateIjEESt5tupleIJNS8_6TensorESD_SD_EERKSD_lbbbEUlllE1_EE10hipError_tPvRmT2_T3_mT4_P12ihipStream_tbEUlT_E_NS1_11comp_targetILNS1_3genE10ELNS1_11target_archE1201ELNS1_3gpuE5ELNS1_3repE0EEENS1_30default_config_static_selectorELNS0_4arch9wavefront6targetE1EEEvT1_.has_recursion, 0
	.set _ZN7rocprim17ROCPRIM_400000_NS6detail17trampoline_kernelINS0_14default_configENS1_35adjacent_difference_config_selectorILb1ElEEZNS1_24adjacent_difference_implIS3_Lb1ELb0EPlS7_ZN2at6native12_GLOBAL__N_124unique_dim_cuda_templateIjEESt5tupleIJNS8_6TensorESD_SD_EERKSD_lbbbEUlllE1_EE10hipError_tPvRmT2_T3_mT4_P12ihipStream_tbEUlT_E_NS1_11comp_targetILNS1_3genE10ELNS1_11target_archE1201ELNS1_3gpuE5ELNS1_3repE0EEENS1_30default_config_static_selectorELNS0_4arch9wavefront6targetE1EEEvT1_.has_indirect_call, 0
	.section	.AMDGPU.csdata,"",@progbits
; Kernel info:
; codeLenInByte = 0
; TotalNumSgprs: 6
; NumVgprs: 0
; NumAgprs: 0
; TotalNumVgprs: 0
; ScratchSize: 0
; MemoryBound: 0
; FloatMode: 240
; IeeeMode: 1
; LDSByteSize: 0 bytes/workgroup (compile time only)
; SGPRBlocks: 0
; VGPRBlocks: 0
; NumSGPRsForWavesPerEU: 6
; NumVGPRsForWavesPerEU: 1
; AccumOffset: 4
; Occupancy: 8
; WaveLimiterHint : 0
; COMPUTE_PGM_RSRC2:SCRATCH_EN: 0
; COMPUTE_PGM_RSRC2:USER_SGPR: 2
; COMPUTE_PGM_RSRC2:TRAP_HANDLER: 0
; COMPUTE_PGM_RSRC2:TGID_X_EN: 1
; COMPUTE_PGM_RSRC2:TGID_Y_EN: 0
; COMPUTE_PGM_RSRC2:TGID_Z_EN: 0
; COMPUTE_PGM_RSRC2:TIDIG_COMP_CNT: 0
; COMPUTE_PGM_RSRC3_GFX90A:ACCUM_OFFSET: 0
; COMPUTE_PGM_RSRC3_GFX90A:TG_SPLIT: 0
	.section	.text._ZN7rocprim17ROCPRIM_400000_NS6detail17trampoline_kernelINS0_14default_configENS1_35adjacent_difference_config_selectorILb1ElEEZNS1_24adjacent_difference_implIS3_Lb1ELb0EPlS7_ZN2at6native12_GLOBAL__N_124unique_dim_cuda_templateIjEESt5tupleIJNS8_6TensorESD_SD_EERKSD_lbbbEUlllE1_EE10hipError_tPvRmT2_T3_mT4_P12ihipStream_tbEUlT_E_NS1_11comp_targetILNS1_3genE5ELNS1_11target_archE942ELNS1_3gpuE9ELNS1_3repE0EEENS1_30default_config_static_selectorELNS0_4arch9wavefront6targetE1EEEvT1_,"axG",@progbits,_ZN7rocprim17ROCPRIM_400000_NS6detail17trampoline_kernelINS0_14default_configENS1_35adjacent_difference_config_selectorILb1ElEEZNS1_24adjacent_difference_implIS3_Lb1ELb0EPlS7_ZN2at6native12_GLOBAL__N_124unique_dim_cuda_templateIjEESt5tupleIJNS8_6TensorESD_SD_EERKSD_lbbbEUlllE1_EE10hipError_tPvRmT2_T3_mT4_P12ihipStream_tbEUlT_E_NS1_11comp_targetILNS1_3genE5ELNS1_11target_archE942ELNS1_3gpuE9ELNS1_3repE0EEENS1_30default_config_static_selectorELNS0_4arch9wavefront6targetE1EEEvT1_,comdat
	.globl	_ZN7rocprim17ROCPRIM_400000_NS6detail17trampoline_kernelINS0_14default_configENS1_35adjacent_difference_config_selectorILb1ElEEZNS1_24adjacent_difference_implIS3_Lb1ELb0EPlS7_ZN2at6native12_GLOBAL__N_124unique_dim_cuda_templateIjEESt5tupleIJNS8_6TensorESD_SD_EERKSD_lbbbEUlllE1_EE10hipError_tPvRmT2_T3_mT4_P12ihipStream_tbEUlT_E_NS1_11comp_targetILNS1_3genE5ELNS1_11target_archE942ELNS1_3gpuE9ELNS1_3repE0EEENS1_30default_config_static_selectorELNS0_4arch9wavefront6targetE1EEEvT1_ ; -- Begin function _ZN7rocprim17ROCPRIM_400000_NS6detail17trampoline_kernelINS0_14default_configENS1_35adjacent_difference_config_selectorILb1ElEEZNS1_24adjacent_difference_implIS3_Lb1ELb0EPlS7_ZN2at6native12_GLOBAL__N_124unique_dim_cuda_templateIjEESt5tupleIJNS8_6TensorESD_SD_EERKSD_lbbbEUlllE1_EE10hipError_tPvRmT2_T3_mT4_P12ihipStream_tbEUlT_E_NS1_11comp_targetILNS1_3genE5ELNS1_11target_archE942ELNS1_3gpuE9ELNS1_3repE0EEENS1_30default_config_static_selectorELNS0_4arch9wavefront6targetE1EEEvT1_
	.p2align	8
	.type	_ZN7rocprim17ROCPRIM_400000_NS6detail17trampoline_kernelINS0_14default_configENS1_35adjacent_difference_config_selectorILb1ElEEZNS1_24adjacent_difference_implIS3_Lb1ELb0EPlS7_ZN2at6native12_GLOBAL__N_124unique_dim_cuda_templateIjEESt5tupleIJNS8_6TensorESD_SD_EERKSD_lbbbEUlllE1_EE10hipError_tPvRmT2_T3_mT4_P12ihipStream_tbEUlT_E_NS1_11comp_targetILNS1_3genE5ELNS1_11target_archE942ELNS1_3gpuE9ELNS1_3repE0EEENS1_30default_config_static_selectorELNS0_4arch9wavefront6targetE1EEEvT1_,@function
_ZN7rocprim17ROCPRIM_400000_NS6detail17trampoline_kernelINS0_14default_configENS1_35adjacent_difference_config_selectorILb1ElEEZNS1_24adjacent_difference_implIS3_Lb1ELb0EPlS7_ZN2at6native12_GLOBAL__N_124unique_dim_cuda_templateIjEESt5tupleIJNS8_6TensorESD_SD_EERKSD_lbbbEUlllE1_EE10hipError_tPvRmT2_T3_mT4_P12ihipStream_tbEUlT_E_NS1_11comp_targetILNS1_3genE5ELNS1_11target_archE942ELNS1_3gpuE9ELNS1_3repE0EEENS1_30default_config_static_selectorELNS0_4arch9wavefront6targetE1EEEvT1_: ; @_ZN7rocprim17ROCPRIM_400000_NS6detail17trampoline_kernelINS0_14default_configENS1_35adjacent_difference_config_selectorILb1ElEEZNS1_24adjacent_difference_implIS3_Lb1ELb0EPlS7_ZN2at6native12_GLOBAL__N_124unique_dim_cuda_templateIjEESt5tupleIJNS8_6TensorESD_SD_EERKSD_lbbbEUlllE1_EE10hipError_tPvRmT2_T3_mT4_P12ihipStream_tbEUlT_E_NS1_11comp_targetILNS1_3genE5ELNS1_11target_archE942ELNS1_3gpuE9ELNS1_3repE0EEENS1_30default_config_static_selectorELNS0_4arch9wavefront6targetE1EEEvT1_
; %bb.0:
	.section	.rodata,"a",@progbits
	.p2align	6, 0x0
	.amdhsa_kernel _ZN7rocprim17ROCPRIM_400000_NS6detail17trampoline_kernelINS0_14default_configENS1_35adjacent_difference_config_selectorILb1ElEEZNS1_24adjacent_difference_implIS3_Lb1ELb0EPlS7_ZN2at6native12_GLOBAL__N_124unique_dim_cuda_templateIjEESt5tupleIJNS8_6TensorESD_SD_EERKSD_lbbbEUlllE1_EE10hipError_tPvRmT2_T3_mT4_P12ihipStream_tbEUlT_E_NS1_11comp_targetILNS1_3genE5ELNS1_11target_archE942ELNS1_3gpuE9ELNS1_3repE0EEENS1_30default_config_static_selectorELNS0_4arch9wavefront6targetE1EEEvT1_
		.amdhsa_group_segment_fixed_size 0
		.amdhsa_private_segment_fixed_size 0
		.amdhsa_kernarg_size 64
		.amdhsa_user_sgpr_count 2
		.amdhsa_user_sgpr_dispatch_ptr 0
		.amdhsa_user_sgpr_queue_ptr 0
		.amdhsa_user_sgpr_kernarg_segment_ptr 1
		.amdhsa_user_sgpr_dispatch_id 0
		.amdhsa_user_sgpr_kernarg_preload_length 0
		.amdhsa_user_sgpr_kernarg_preload_offset 0
		.amdhsa_user_sgpr_private_segment_size 0
		.amdhsa_uses_dynamic_stack 0
		.amdhsa_enable_private_segment 0
		.amdhsa_system_sgpr_workgroup_id_x 1
		.amdhsa_system_sgpr_workgroup_id_y 0
		.amdhsa_system_sgpr_workgroup_id_z 0
		.amdhsa_system_sgpr_workgroup_info 0
		.amdhsa_system_vgpr_workitem_id 0
		.amdhsa_next_free_vgpr 1
		.amdhsa_next_free_sgpr 0
		.amdhsa_accum_offset 4
		.amdhsa_reserve_vcc 0
		.amdhsa_float_round_mode_32 0
		.amdhsa_float_round_mode_16_64 0
		.amdhsa_float_denorm_mode_32 3
		.amdhsa_float_denorm_mode_16_64 3
		.amdhsa_dx10_clamp 1
		.amdhsa_ieee_mode 1
		.amdhsa_fp16_overflow 0
		.amdhsa_tg_split 0
		.amdhsa_exception_fp_ieee_invalid_op 0
		.amdhsa_exception_fp_denorm_src 0
		.amdhsa_exception_fp_ieee_div_zero 0
		.amdhsa_exception_fp_ieee_overflow 0
		.amdhsa_exception_fp_ieee_underflow 0
		.amdhsa_exception_fp_ieee_inexact 0
		.amdhsa_exception_int_div_zero 0
	.end_amdhsa_kernel
	.section	.text._ZN7rocprim17ROCPRIM_400000_NS6detail17trampoline_kernelINS0_14default_configENS1_35adjacent_difference_config_selectorILb1ElEEZNS1_24adjacent_difference_implIS3_Lb1ELb0EPlS7_ZN2at6native12_GLOBAL__N_124unique_dim_cuda_templateIjEESt5tupleIJNS8_6TensorESD_SD_EERKSD_lbbbEUlllE1_EE10hipError_tPvRmT2_T3_mT4_P12ihipStream_tbEUlT_E_NS1_11comp_targetILNS1_3genE5ELNS1_11target_archE942ELNS1_3gpuE9ELNS1_3repE0EEENS1_30default_config_static_selectorELNS0_4arch9wavefront6targetE1EEEvT1_,"axG",@progbits,_ZN7rocprim17ROCPRIM_400000_NS6detail17trampoline_kernelINS0_14default_configENS1_35adjacent_difference_config_selectorILb1ElEEZNS1_24adjacent_difference_implIS3_Lb1ELb0EPlS7_ZN2at6native12_GLOBAL__N_124unique_dim_cuda_templateIjEESt5tupleIJNS8_6TensorESD_SD_EERKSD_lbbbEUlllE1_EE10hipError_tPvRmT2_T3_mT4_P12ihipStream_tbEUlT_E_NS1_11comp_targetILNS1_3genE5ELNS1_11target_archE942ELNS1_3gpuE9ELNS1_3repE0EEENS1_30default_config_static_selectorELNS0_4arch9wavefront6targetE1EEEvT1_,comdat
.Lfunc_end1535:
	.size	_ZN7rocprim17ROCPRIM_400000_NS6detail17trampoline_kernelINS0_14default_configENS1_35adjacent_difference_config_selectorILb1ElEEZNS1_24adjacent_difference_implIS3_Lb1ELb0EPlS7_ZN2at6native12_GLOBAL__N_124unique_dim_cuda_templateIjEESt5tupleIJNS8_6TensorESD_SD_EERKSD_lbbbEUlllE1_EE10hipError_tPvRmT2_T3_mT4_P12ihipStream_tbEUlT_E_NS1_11comp_targetILNS1_3genE5ELNS1_11target_archE942ELNS1_3gpuE9ELNS1_3repE0EEENS1_30default_config_static_selectorELNS0_4arch9wavefront6targetE1EEEvT1_, .Lfunc_end1535-_ZN7rocprim17ROCPRIM_400000_NS6detail17trampoline_kernelINS0_14default_configENS1_35adjacent_difference_config_selectorILb1ElEEZNS1_24adjacent_difference_implIS3_Lb1ELb0EPlS7_ZN2at6native12_GLOBAL__N_124unique_dim_cuda_templateIjEESt5tupleIJNS8_6TensorESD_SD_EERKSD_lbbbEUlllE1_EE10hipError_tPvRmT2_T3_mT4_P12ihipStream_tbEUlT_E_NS1_11comp_targetILNS1_3genE5ELNS1_11target_archE942ELNS1_3gpuE9ELNS1_3repE0EEENS1_30default_config_static_selectorELNS0_4arch9wavefront6targetE1EEEvT1_
                                        ; -- End function
	.set _ZN7rocprim17ROCPRIM_400000_NS6detail17trampoline_kernelINS0_14default_configENS1_35adjacent_difference_config_selectorILb1ElEEZNS1_24adjacent_difference_implIS3_Lb1ELb0EPlS7_ZN2at6native12_GLOBAL__N_124unique_dim_cuda_templateIjEESt5tupleIJNS8_6TensorESD_SD_EERKSD_lbbbEUlllE1_EE10hipError_tPvRmT2_T3_mT4_P12ihipStream_tbEUlT_E_NS1_11comp_targetILNS1_3genE5ELNS1_11target_archE942ELNS1_3gpuE9ELNS1_3repE0EEENS1_30default_config_static_selectorELNS0_4arch9wavefront6targetE1EEEvT1_.num_vgpr, 0
	.set _ZN7rocprim17ROCPRIM_400000_NS6detail17trampoline_kernelINS0_14default_configENS1_35adjacent_difference_config_selectorILb1ElEEZNS1_24adjacent_difference_implIS3_Lb1ELb0EPlS7_ZN2at6native12_GLOBAL__N_124unique_dim_cuda_templateIjEESt5tupleIJNS8_6TensorESD_SD_EERKSD_lbbbEUlllE1_EE10hipError_tPvRmT2_T3_mT4_P12ihipStream_tbEUlT_E_NS1_11comp_targetILNS1_3genE5ELNS1_11target_archE942ELNS1_3gpuE9ELNS1_3repE0EEENS1_30default_config_static_selectorELNS0_4arch9wavefront6targetE1EEEvT1_.num_agpr, 0
	.set _ZN7rocprim17ROCPRIM_400000_NS6detail17trampoline_kernelINS0_14default_configENS1_35adjacent_difference_config_selectorILb1ElEEZNS1_24adjacent_difference_implIS3_Lb1ELb0EPlS7_ZN2at6native12_GLOBAL__N_124unique_dim_cuda_templateIjEESt5tupleIJNS8_6TensorESD_SD_EERKSD_lbbbEUlllE1_EE10hipError_tPvRmT2_T3_mT4_P12ihipStream_tbEUlT_E_NS1_11comp_targetILNS1_3genE5ELNS1_11target_archE942ELNS1_3gpuE9ELNS1_3repE0EEENS1_30default_config_static_selectorELNS0_4arch9wavefront6targetE1EEEvT1_.numbered_sgpr, 0
	.set _ZN7rocprim17ROCPRIM_400000_NS6detail17trampoline_kernelINS0_14default_configENS1_35adjacent_difference_config_selectorILb1ElEEZNS1_24adjacent_difference_implIS3_Lb1ELb0EPlS7_ZN2at6native12_GLOBAL__N_124unique_dim_cuda_templateIjEESt5tupleIJNS8_6TensorESD_SD_EERKSD_lbbbEUlllE1_EE10hipError_tPvRmT2_T3_mT4_P12ihipStream_tbEUlT_E_NS1_11comp_targetILNS1_3genE5ELNS1_11target_archE942ELNS1_3gpuE9ELNS1_3repE0EEENS1_30default_config_static_selectorELNS0_4arch9wavefront6targetE1EEEvT1_.num_named_barrier, 0
	.set _ZN7rocprim17ROCPRIM_400000_NS6detail17trampoline_kernelINS0_14default_configENS1_35adjacent_difference_config_selectorILb1ElEEZNS1_24adjacent_difference_implIS3_Lb1ELb0EPlS7_ZN2at6native12_GLOBAL__N_124unique_dim_cuda_templateIjEESt5tupleIJNS8_6TensorESD_SD_EERKSD_lbbbEUlllE1_EE10hipError_tPvRmT2_T3_mT4_P12ihipStream_tbEUlT_E_NS1_11comp_targetILNS1_3genE5ELNS1_11target_archE942ELNS1_3gpuE9ELNS1_3repE0EEENS1_30default_config_static_selectorELNS0_4arch9wavefront6targetE1EEEvT1_.private_seg_size, 0
	.set _ZN7rocprim17ROCPRIM_400000_NS6detail17trampoline_kernelINS0_14default_configENS1_35adjacent_difference_config_selectorILb1ElEEZNS1_24adjacent_difference_implIS3_Lb1ELb0EPlS7_ZN2at6native12_GLOBAL__N_124unique_dim_cuda_templateIjEESt5tupleIJNS8_6TensorESD_SD_EERKSD_lbbbEUlllE1_EE10hipError_tPvRmT2_T3_mT4_P12ihipStream_tbEUlT_E_NS1_11comp_targetILNS1_3genE5ELNS1_11target_archE942ELNS1_3gpuE9ELNS1_3repE0EEENS1_30default_config_static_selectorELNS0_4arch9wavefront6targetE1EEEvT1_.uses_vcc, 0
	.set _ZN7rocprim17ROCPRIM_400000_NS6detail17trampoline_kernelINS0_14default_configENS1_35adjacent_difference_config_selectorILb1ElEEZNS1_24adjacent_difference_implIS3_Lb1ELb0EPlS7_ZN2at6native12_GLOBAL__N_124unique_dim_cuda_templateIjEESt5tupleIJNS8_6TensorESD_SD_EERKSD_lbbbEUlllE1_EE10hipError_tPvRmT2_T3_mT4_P12ihipStream_tbEUlT_E_NS1_11comp_targetILNS1_3genE5ELNS1_11target_archE942ELNS1_3gpuE9ELNS1_3repE0EEENS1_30default_config_static_selectorELNS0_4arch9wavefront6targetE1EEEvT1_.uses_flat_scratch, 0
	.set _ZN7rocprim17ROCPRIM_400000_NS6detail17trampoline_kernelINS0_14default_configENS1_35adjacent_difference_config_selectorILb1ElEEZNS1_24adjacent_difference_implIS3_Lb1ELb0EPlS7_ZN2at6native12_GLOBAL__N_124unique_dim_cuda_templateIjEESt5tupleIJNS8_6TensorESD_SD_EERKSD_lbbbEUlllE1_EE10hipError_tPvRmT2_T3_mT4_P12ihipStream_tbEUlT_E_NS1_11comp_targetILNS1_3genE5ELNS1_11target_archE942ELNS1_3gpuE9ELNS1_3repE0EEENS1_30default_config_static_selectorELNS0_4arch9wavefront6targetE1EEEvT1_.has_dyn_sized_stack, 0
	.set _ZN7rocprim17ROCPRIM_400000_NS6detail17trampoline_kernelINS0_14default_configENS1_35adjacent_difference_config_selectorILb1ElEEZNS1_24adjacent_difference_implIS3_Lb1ELb0EPlS7_ZN2at6native12_GLOBAL__N_124unique_dim_cuda_templateIjEESt5tupleIJNS8_6TensorESD_SD_EERKSD_lbbbEUlllE1_EE10hipError_tPvRmT2_T3_mT4_P12ihipStream_tbEUlT_E_NS1_11comp_targetILNS1_3genE5ELNS1_11target_archE942ELNS1_3gpuE9ELNS1_3repE0EEENS1_30default_config_static_selectorELNS0_4arch9wavefront6targetE1EEEvT1_.has_recursion, 0
	.set _ZN7rocprim17ROCPRIM_400000_NS6detail17trampoline_kernelINS0_14default_configENS1_35adjacent_difference_config_selectorILb1ElEEZNS1_24adjacent_difference_implIS3_Lb1ELb0EPlS7_ZN2at6native12_GLOBAL__N_124unique_dim_cuda_templateIjEESt5tupleIJNS8_6TensorESD_SD_EERKSD_lbbbEUlllE1_EE10hipError_tPvRmT2_T3_mT4_P12ihipStream_tbEUlT_E_NS1_11comp_targetILNS1_3genE5ELNS1_11target_archE942ELNS1_3gpuE9ELNS1_3repE0EEENS1_30default_config_static_selectorELNS0_4arch9wavefront6targetE1EEEvT1_.has_indirect_call, 0
	.section	.AMDGPU.csdata,"",@progbits
; Kernel info:
; codeLenInByte = 0
; TotalNumSgprs: 6
; NumVgprs: 0
; NumAgprs: 0
; TotalNumVgprs: 0
; ScratchSize: 0
; MemoryBound: 0
; FloatMode: 240
; IeeeMode: 1
; LDSByteSize: 0 bytes/workgroup (compile time only)
; SGPRBlocks: 0
; VGPRBlocks: 0
; NumSGPRsForWavesPerEU: 6
; NumVGPRsForWavesPerEU: 1
; AccumOffset: 4
; Occupancy: 8
; WaveLimiterHint : 0
; COMPUTE_PGM_RSRC2:SCRATCH_EN: 0
; COMPUTE_PGM_RSRC2:USER_SGPR: 2
; COMPUTE_PGM_RSRC2:TRAP_HANDLER: 0
; COMPUTE_PGM_RSRC2:TGID_X_EN: 1
; COMPUTE_PGM_RSRC2:TGID_Y_EN: 0
; COMPUTE_PGM_RSRC2:TGID_Z_EN: 0
; COMPUTE_PGM_RSRC2:TIDIG_COMP_CNT: 0
; COMPUTE_PGM_RSRC3_GFX90A:ACCUM_OFFSET: 0
; COMPUTE_PGM_RSRC3_GFX90A:TG_SPLIT: 0
	.section	.text._ZN7rocprim17ROCPRIM_400000_NS6detail17trampoline_kernelINS0_14default_configENS1_35adjacent_difference_config_selectorILb1ElEEZNS1_24adjacent_difference_implIS3_Lb1ELb0EPlS7_ZN2at6native12_GLOBAL__N_124unique_dim_cuda_templateIjEESt5tupleIJNS8_6TensorESD_SD_EERKSD_lbbbEUlllE1_EE10hipError_tPvRmT2_T3_mT4_P12ihipStream_tbEUlT_E_NS1_11comp_targetILNS1_3genE4ELNS1_11target_archE910ELNS1_3gpuE8ELNS1_3repE0EEENS1_30default_config_static_selectorELNS0_4arch9wavefront6targetE1EEEvT1_,"axG",@progbits,_ZN7rocprim17ROCPRIM_400000_NS6detail17trampoline_kernelINS0_14default_configENS1_35adjacent_difference_config_selectorILb1ElEEZNS1_24adjacent_difference_implIS3_Lb1ELb0EPlS7_ZN2at6native12_GLOBAL__N_124unique_dim_cuda_templateIjEESt5tupleIJNS8_6TensorESD_SD_EERKSD_lbbbEUlllE1_EE10hipError_tPvRmT2_T3_mT4_P12ihipStream_tbEUlT_E_NS1_11comp_targetILNS1_3genE4ELNS1_11target_archE910ELNS1_3gpuE8ELNS1_3repE0EEENS1_30default_config_static_selectorELNS0_4arch9wavefront6targetE1EEEvT1_,comdat
	.globl	_ZN7rocprim17ROCPRIM_400000_NS6detail17trampoline_kernelINS0_14default_configENS1_35adjacent_difference_config_selectorILb1ElEEZNS1_24adjacent_difference_implIS3_Lb1ELb0EPlS7_ZN2at6native12_GLOBAL__N_124unique_dim_cuda_templateIjEESt5tupleIJNS8_6TensorESD_SD_EERKSD_lbbbEUlllE1_EE10hipError_tPvRmT2_T3_mT4_P12ihipStream_tbEUlT_E_NS1_11comp_targetILNS1_3genE4ELNS1_11target_archE910ELNS1_3gpuE8ELNS1_3repE0EEENS1_30default_config_static_selectorELNS0_4arch9wavefront6targetE1EEEvT1_ ; -- Begin function _ZN7rocprim17ROCPRIM_400000_NS6detail17trampoline_kernelINS0_14default_configENS1_35adjacent_difference_config_selectorILb1ElEEZNS1_24adjacent_difference_implIS3_Lb1ELb0EPlS7_ZN2at6native12_GLOBAL__N_124unique_dim_cuda_templateIjEESt5tupleIJNS8_6TensorESD_SD_EERKSD_lbbbEUlllE1_EE10hipError_tPvRmT2_T3_mT4_P12ihipStream_tbEUlT_E_NS1_11comp_targetILNS1_3genE4ELNS1_11target_archE910ELNS1_3gpuE8ELNS1_3repE0EEENS1_30default_config_static_selectorELNS0_4arch9wavefront6targetE1EEEvT1_
	.p2align	8
	.type	_ZN7rocprim17ROCPRIM_400000_NS6detail17trampoline_kernelINS0_14default_configENS1_35adjacent_difference_config_selectorILb1ElEEZNS1_24adjacent_difference_implIS3_Lb1ELb0EPlS7_ZN2at6native12_GLOBAL__N_124unique_dim_cuda_templateIjEESt5tupleIJNS8_6TensorESD_SD_EERKSD_lbbbEUlllE1_EE10hipError_tPvRmT2_T3_mT4_P12ihipStream_tbEUlT_E_NS1_11comp_targetILNS1_3genE4ELNS1_11target_archE910ELNS1_3gpuE8ELNS1_3repE0EEENS1_30default_config_static_selectorELNS0_4arch9wavefront6targetE1EEEvT1_,@function
_ZN7rocprim17ROCPRIM_400000_NS6detail17trampoline_kernelINS0_14default_configENS1_35adjacent_difference_config_selectorILb1ElEEZNS1_24adjacent_difference_implIS3_Lb1ELb0EPlS7_ZN2at6native12_GLOBAL__N_124unique_dim_cuda_templateIjEESt5tupleIJNS8_6TensorESD_SD_EERKSD_lbbbEUlllE1_EE10hipError_tPvRmT2_T3_mT4_P12ihipStream_tbEUlT_E_NS1_11comp_targetILNS1_3genE4ELNS1_11target_archE910ELNS1_3gpuE8ELNS1_3repE0EEENS1_30default_config_static_selectorELNS0_4arch9wavefront6targetE1EEEvT1_: ; @_ZN7rocprim17ROCPRIM_400000_NS6detail17trampoline_kernelINS0_14default_configENS1_35adjacent_difference_config_selectorILb1ElEEZNS1_24adjacent_difference_implIS3_Lb1ELb0EPlS7_ZN2at6native12_GLOBAL__N_124unique_dim_cuda_templateIjEESt5tupleIJNS8_6TensorESD_SD_EERKSD_lbbbEUlllE1_EE10hipError_tPvRmT2_T3_mT4_P12ihipStream_tbEUlT_E_NS1_11comp_targetILNS1_3genE4ELNS1_11target_archE910ELNS1_3gpuE8ELNS1_3repE0EEENS1_30default_config_static_selectorELNS0_4arch9wavefront6targetE1EEEvT1_
; %bb.0:
	.section	.rodata,"a",@progbits
	.p2align	6, 0x0
	.amdhsa_kernel _ZN7rocprim17ROCPRIM_400000_NS6detail17trampoline_kernelINS0_14default_configENS1_35adjacent_difference_config_selectorILb1ElEEZNS1_24adjacent_difference_implIS3_Lb1ELb0EPlS7_ZN2at6native12_GLOBAL__N_124unique_dim_cuda_templateIjEESt5tupleIJNS8_6TensorESD_SD_EERKSD_lbbbEUlllE1_EE10hipError_tPvRmT2_T3_mT4_P12ihipStream_tbEUlT_E_NS1_11comp_targetILNS1_3genE4ELNS1_11target_archE910ELNS1_3gpuE8ELNS1_3repE0EEENS1_30default_config_static_selectorELNS0_4arch9wavefront6targetE1EEEvT1_
		.amdhsa_group_segment_fixed_size 0
		.amdhsa_private_segment_fixed_size 0
		.amdhsa_kernarg_size 64
		.amdhsa_user_sgpr_count 2
		.amdhsa_user_sgpr_dispatch_ptr 0
		.amdhsa_user_sgpr_queue_ptr 0
		.amdhsa_user_sgpr_kernarg_segment_ptr 1
		.amdhsa_user_sgpr_dispatch_id 0
		.amdhsa_user_sgpr_kernarg_preload_length 0
		.amdhsa_user_sgpr_kernarg_preload_offset 0
		.amdhsa_user_sgpr_private_segment_size 0
		.amdhsa_uses_dynamic_stack 0
		.amdhsa_enable_private_segment 0
		.amdhsa_system_sgpr_workgroup_id_x 1
		.amdhsa_system_sgpr_workgroup_id_y 0
		.amdhsa_system_sgpr_workgroup_id_z 0
		.amdhsa_system_sgpr_workgroup_info 0
		.amdhsa_system_vgpr_workitem_id 0
		.amdhsa_next_free_vgpr 1
		.amdhsa_next_free_sgpr 0
		.amdhsa_accum_offset 4
		.amdhsa_reserve_vcc 0
		.amdhsa_float_round_mode_32 0
		.amdhsa_float_round_mode_16_64 0
		.amdhsa_float_denorm_mode_32 3
		.amdhsa_float_denorm_mode_16_64 3
		.amdhsa_dx10_clamp 1
		.amdhsa_ieee_mode 1
		.amdhsa_fp16_overflow 0
		.amdhsa_tg_split 0
		.amdhsa_exception_fp_ieee_invalid_op 0
		.amdhsa_exception_fp_denorm_src 0
		.amdhsa_exception_fp_ieee_div_zero 0
		.amdhsa_exception_fp_ieee_overflow 0
		.amdhsa_exception_fp_ieee_underflow 0
		.amdhsa_exception_fp_ieee_inexact 0
		.amdhsa_exception_int_div_zero 0
	.end_amdhsa_kernel
	.section	.text._ZN7rocprim17ROCPRIM_400000_NS6detail17trampoline_kernelINS0_14default_configENS1_35adjacent_difference_config_selectorILb1ElEEZNS1_24adjacent_difference_implIS3_Lb1ELb0EPlS7_ZN2at6native12_GLOBAL__N_124unique_dim_cuda_templateIjEESt5tupleIJNS8_6TensorESD_SD_EERKSD_lbbbEUlllE1_EE10hipError_tPvRmT2_T3_mT4_P12ihipStream_tbEUlT_E_NS1_11comp_targetILNS1_3genE4ELNS1_11target_archE910ELNS1_3gpuE8ELNS1_3repE0EEENS1_30default_config_static_selectorELNS0_4arch9wavefront6targetE1EEEvT1_,"axG",@progbits,_ZN7rocprim17ROCPRIM_400000_NS6detail17trampoline_kernelINS0_14default_configENS1_35adjacent_difference_config_selectorILb1ElEEZNS1_24adjacent_difference_implIS3_Lb1ELb0EPlS7_ZN2at6native12_GLOBAL__N_124unique_dim_cuda_templateIjEESt5tupleIJNS8_6TensorESD_SD_EERKSD_lbbbEUlllE1_EE10hipError_tPvRmT2_T3_mT4_P12ihipStream_tbEUlT_E_NS1_11comp_targetILNS1_3genE4ELNS1_11target_archE910ELNS1_3gpuE8ELNS1_3repE0EEENS1_30default_config_static_selectorELNS0_4arch9wavefront6targetE1EEEvT1_,comdat
.Lfunc_end1536:
	.size	_ZN7rocprim17ROCPRIM_400000_NS6detail17trampoline_kernelINS0_14default_configENS1_35adjacent_difference_config_selectorILb1ElEEZNS1_24adjacent_difference_implIS3_Lb1ELb0EPlS7_ZN2at6native12_GLOBAL__N_124unique_dim_cuda_templateIjEESt5tupleIJNS8_6TensorESD_SD_EERKSD_lbbbEUlllE1_EE10hipError_tPvRmT2_T3_mT4_P12ihipStream_tbEUlT_E_NS1_11comp_targetILNS1_3genE4ELNS1_11target_archE910ELNS1_3gpuE8ELNS1_3repE0EEENS1_30default_config_static_selectorELNS0_4arch9wavefront6targetE1EEEvT1_, .Lfunc_end1536-_ZN7rocprim17ROCPRIM_400000_NS6detail17trampoline_kernelINS0_14default_configENS1_35adjacent_difference_config_selectorILb1ElEEZNS1_24adjacent_difference_implIS3_Lb1ELb0EPlS7_ZN2at6native12_GLOBAL__N_124unique_dim_cuda_templateIjEESt5tupleIJNS8_6TensorESD_SD_EERKSD_lbbbEUlllE1_EE10hipError_tPvRmT2_T3_mT4_P12ihipStream_tbEUlT_E_NS1_11comp_targetILNS1_3genE4ELNS1_11target_archE910ELNS1_3gpuE8ELNS1_3repE0EEENS1_30default_config_static_selectorELNS0_4arch9wavefront6targetE1EEEvT1_
                                        ; -- End function
	.set _ZN7rocprim17ROCPRIM_400000_NS6detail17trampoline_kernelINS0_14default_configENS1_35adjacent_difference_config_selectorILb1ElEEZNS1_24adjacent_difference_implIS3_Lb1ELb0EPlS7_ZN2at6native12_GLOBAL__N_124unique_dim_cuda_templateIjEESt5tupleIJNS8_6TensorESD_SD_EERKSD_lbbbEUlllE1_EE10hipError_tPvRmT2_T3_mT4_P12ihipStream_tbEUlT_E_NS1_11comp_targetILNS1_3genE4ELNS1_11target_archE910ELNS1_3gpuE8ELNS1_3repE0EEENS1_30default_config_static_selectorELNS0_4arch9wavefront6targetE1EEEvT1_.num_vgpr, 0
	.set _ZN7rocprim17ROCPRIM_400000_NS6detail17trampoline_kernelINS0_14default_configENS1_35adjacent_difference_config_selectorILb1ElEEZNS1_24adjacent_difference_implIS3_Lb1ELb0EPlS7_ZN2at6native12_GLOBAL__N_124unique_dim_cuda_templateIjEESt5tupleIJNS8_6TensorESD_SD_EERKSD_lbbbEUlllE1_EE10hipError_tPvRmT2_T3_mT4_P12ihipStream_tbEUlT_E_NS1_11comp_targetILNS1_3genE4ELNS1_11target_archE910ELNS1_3gpuE8ELNS1_3repE0EEENS1_30default_config_static_selectorELNS0_4arch9wavefront6targetE1EEEvT1_.num_agpr, 0
	.set _ZN7rocprim17ROCPRIM_400000_NS6detail17trampoline_kernelINS0_14default_configENS1_35adjacent_difference_config_selectorILb1ElEEZNS1_24adjacent_difference_implIS3_Lb1ELb0EPlS7_ZN2at6native12_GLOBAL__N_124unique_dim_cuda_templateIjEESt5tupleIJNS8_6TensorESD_SD_EERKSD_lbbbEUlllE1_EE10hipError_tPvRmT2_T3_mT4_P12ihipStream_tbEUlT_E_NS1_11comp_targetILNS1_3genE4ELNS1_11target_archE910ELNS1_3gpuE8ELNS1_3repE0EEENS1_30default_config_static_selectorELNS0_4arch9wavefront6targetE1EEEvT1_.numbered_sgpr, 0
	.set _ZN7rocprim17ROCPRIM_400000_NS6detail17trampoline_kernelINS0_14default_configENS1_35adjacent_difference_config_selectorILb1ElEEZNS1_24adjacent_difference_implIS3_Lb1ELb0EPlS7_ZN2at6native12_GLOBAL__N_124unique_dim_cuda_templateIjEESt5tupleIJNS8_6TensorESD_SD_EERKSD_lbbbEUlllE1_EE10hipError_tPvRmT2_T3_mT4_P12ihipStream_tbEUlT_E_NS1_11comp_targetILNS1_3genE4ELNS1_11target_archE910ELNS1_3gpuE8ELNS1_3repE0EEENS1_30default_config_static_selectorELNS0_4arch9wavefront6targetE1EEEvT1_.num_named_barrier, 0
	.set _ZN7rocprim17ROCPRIM_400000_NS6detail17trampoline_kernelINS0_14default_configENS1_35adjacent_difference_config_selectorILb1ElEEZNS1_24adjacent_difference_implIS3_Lb1ELb0EPlS7_ZN2at6native12_GLOBAL__N_124unique_dim_cuda_templateIjEESt5tupleIJNS8_6TensorESD_SD_EERKSD_lbbbEUlllE1_EE10hipError_tPvRmT2_T3_mT4_P12ihipStream_tbEUlT_E_NS1_11comp_targetILNS1_3genE4ELNS1_11target_archE910ELNS1_3gpuE8ELNS1_3repE0EEENS1_30default_config_static_selectorELNS0_4arch9wavefront6targetE1EEEvT1_.private_seg_size, 0
	.set _ZN7rocprim17ROCPRIM_400000_NS6detail17trampoline_kernelINS0_14default_configENS1_35adjacent_difference_config_selectorILb1ElEEZNS1_24adjacent_difference_implIS3_Lb1ELb0EPlS7_ZN2at6native12_GLOBAL__N_124unique_dim_cuda_templateIjEESt5tupleIJNS8_6TensorESD_SD_EERKSD_lbbbEUlllE1_EE10hipError_tPvRmT2_T3_mT4_P12ihipStream_tbEUlT_E_NS1_11comp_targetILNS1_3genE4ELNS1_11target_archE910ELNS1_3gpuE8ELNS1_3repE0EEENS1_30default_config_static_selectorELNS0_4arch9wavefront6targetE1EEEvT1_.uses_vcc, 0
	.set _ZN7rocprim17ROCPRIM_400000_NS6detail17trampoline_kernelINS0_14default_configENS1_35adjacent_difference_config_selectorILb1ElEEZNS1_24adjacent_difference_implIS3_Lb1ELb0EPlS7_ZN2at6native12_GLOBAL__N_124unique_dim_cuda_templateIjEESt5tupleIJNS8_6TensorESD_SD_EERKSD_lbbbEUlllE1_EE10hipError_tPvRmT2_T3_mT4_P12ihipStream_tbEUlT_E_NS1_11comp_targetILNS1_3genE4ELNS1_11target_archE910ELNS1_3gpuE8ELNS1_3repE0EEENS1_30default_config_static_selectorELNS0_4arch9wavefront6targetE1EEEvT1_.uses_flat_scratch, 0
	.set _ZN7rocprim17ROCPRIM_400000_NS6detail17trampoline_kernelINS0_14default_configENS1_35adjacent_difference_config_selectorILb1ElEEZNS1_24adjacent_difference_implIS3_Lb1ELb0EPlS7_ZN2at6native12_GLOBAL__N_124unique_dim_cuda_templateIjEESt5tupleIJNS8_6TensorESD_SD_EERKSD_lbbbEUlllE1_EE10hipError_tPvRmT2_T3_mT4_P12ihipStream_tbEUlT_E_NS1_11comp_targetILNS1_3genE4ELNS1_11target_archE910ELNS1_3gpuE8ELNS1_3repE0EEENS1_30default_config_static_selectorELNS0_4arch9wavefront6targetE1EEEvT1_.has_dyn_sized_stack, 0
	.set _ZN7rocprim17ROCPRIM_400000_NS6detail17trampoline_kernelINS0_14default_configENS1_35adjacent_difference_config_selectorILb1ElEEZNS1_24adjacent_difference_implIS3_Lb1ELb0EPlS7_ZN2at6native12_GLOBAL__N_124unique_dim_cuda_templateIjEESt5tupleIJNS8_6TensorESD_SD_EERKSD_lbbbEUlllE1_EE10hipError_tPvRmT2_T3_mT4_P12ihipStream_tbEUlT_E_NS1_11comp_targetILNS1_3genE4ELNS1_11target_archE910ELNS1_3gpuE8ELNS1_3repE0EEENS1_30default_config_static_selectorELNS0_4arch9wavefront6targetE1EEEvT1_.has_recursion, 0
	.set _ZN7rocprim17ROCPRIM_400000_NS6detail17trampoline_kernelINS0_14default_configENS1_35adjacent_difference_config_selectorILb1ElEEZNS1_24adjacent_difference_implIS3_Lb1ELb0EPlS7_ZN2at6native12_GLOBAL__N_124unique_dim_cuda_templateIjEESt5tupleIJNS8_6TensorESD_SD_EERKSD_lbbbEUlllE1_EE10hipError_tPvRmT2_T3_mT4_P12ihipStream_tbEUlT_E_NS1_11comp_targetILNS1_3genE4ELNS1_11target_archE910ELNS1_3gpuE8ELNS1_3repE0EEENS1_30default_config_static_selectorELNS0_4arch9wavefront6targetE1EEEvT1_.has_indirect_call, 0
	.section	.AMDGPU.csdata,"",@progbits
; Kernel info:
; codeLenInByte = 0
; TotalNumSgprs: 6
; NumVgprs: 0
; NumAgprs: 0
; TotalNumVgprs: 0
; ScratchSize: 0
; MemoryBound: 0
; FloatMode: 240
; IeeeMode: 1
; LDSByteSize: 0 bytes/workgroup (compile time only)
; SGPRBlocks: 0
; VGPRBlocks: 0
; NumSGPRsForWavesPerEU: 6
; NumVGPRsForWavesPerEU: 1
; AccumOffset: 4
; Occupancy: 8
; WaveLimiterHint : 0
; COMPUTE_PGM_RSRC2:SCRATCH_EN: 0
; COMPUTE_PGM_RSRC2:USER_SGPR: 2
; COMPUTE_PGM_RSRC2:TRAP_HANDLER: 0
; COMPUTE_PGM_RSRC2:TGID_X_EN: 1
; COMPUTE_PGM_RSRC2:TGID_Y_EN: 0
; COMPUTE_PGM_RSRC2:TGID_Z_EN: 0
; COMPUTE_PGM_RSRC2:TIDIG_COMP_CNT: 0
; COMPUTE_PGM_RSRC3_GFX90A:ACCUM_OFFSET: 0
; COMPUTE_PGM_RSRC3_GFX90A:TG_SPLIT: 0
	.section	.text._ZN7rocprim17ROCPRIM_400000_NS6detail17trampoline_kernelINS0_14default_configENS1_35adjacent_difference_config_selectorILb1ElEEZNS1_24adjacent_difference_implIS3_Lb1ELb0EPlS7_ZN2at6native12_GLOBAL__N_124unique_dim_cuda_templateIjEESt5tupleIJNS8_6TensorESD_SD_EERKSD_lbbbEUlllE1_EE10hipError_tPvRmT2_T3_mT4_P12ihipStream_tbEUlT_E_NS1_11comp_targetILNS1_3genE3ELNS1_11target_archE908ELNS1_3gpuE7ELNS1_3repE0EEENS1_30default_config_static_selectorELNS0_4arch9wavefront6targetE1EEEvT1_,"axG",@progbits,_ZN7rocprim17ROCPRIM_400000_NS6detail17trampoline_kernelINS0_14default_configENS1_35adjacent_difference_config_selectorILb1ElEEZNS1_24adjacent_difference_implIS3_Lb1ELb0EPlS7_ZN2at6native12_GLOBAL__N_124unique_dim_cuda_templateIjEESt5tupleIJNS8_6TensorESD_SD_EERKSD_lbbbEUlllE1_EE10hipError_tPvRmT2_T3_mT4_P12ihipStream_tbEUlT_E_NS1_11comp_targetILNS1_3genE3ELNS1_11target_archE908ELNS1_3gpuE7ELNS1_3repE0EEENS1_30default_config_static_selectorELNS0_4arch9wavefront6targetE1EEEvT1_,comdat
	.globl	_ZN7rocprim17ROCPRIM_400000_NS6detail17trampoline_kernelINS0_14default_configENS1_35adjacent_difference_config_selectorILb1ElEEZNS1_24adjacent_difference_implIS3_Lb1ELb0EPlS7_ZN2at6native12_GLOBAL__N_124unique_dim_cuda_templateIjEESt5tupleIJNS8_6TensorESD_SD_EERKSD_lbbbEUlllE1_EE10hipError_tPvRmT2_T3_mT4_P12ihipStream_tbEUlT_E_NS1_11comp_targetILNS1_3genE3ELNS1_11target_archE908ELNS1_3gpuE7ELNS1_3repE0EEENS1_30default_config_static_selectorELNS0_4arch9wavefront6targetE1EEEvT1_ ; -- Begin function _ZN7rocprim17ROCPRIM_400000_NS6detail17trampoline_kernelINS0_14default_configENS1_35adjacent_difference_config_selectorILb1ElEEZNS1_24adjacent_difference_implIS3_Lb1ELb0EPlS7_ZN2at6native12_GLOBAL__N_124unique_dim_cuda_templateIjEESt5tupleIJNS8_6TensorESD_SD_EERKSD_lbbbEUlllE1_EE10hipError_tPvRmT2_T3_mT4_P12ihipStream_tbEUlT_E_NS1_11comp_targetILNS1_3genE3ELNS1_11target_archE908ELNS1_3gpuE7ELNS1_3repE0EEENS1_30default_config_static_selectorELNS0_4arch9wavefront6targetE1EEEvT1_
	.p2align	8
	.type	_ZN7rocprim17ROCPRIM_400000_NS6detail17trampoline_kernelINS0_14default_configENS1_35adjacent_difference_config_selectorILb1ElEEZNS1_24adjacent_difference_implIS3_Lb1ELb0EPlS7_ZN2at6native12_GLOBAL__N_124unique_dim_cuda_templateIjEESt5tupleIJNS8_6TensorESD_SD_EERKSD_lbbbEUlllE1_EE10hipError_tPvRmT2_T3_mT4_P12ihipStream_tbEUlT_E_NS1_11comp_targetILNS1_3genE3ELNS1_11target_archE908ELNS1_3gpuE7ELNS1_3repE0EEENS1_30default_config_static_selectorELNS0_4arch9wavefront6targetE1EEEvT1_,@function
_ZN7rocprim17ROCPRIM_400000_NS6detail17trampoline_kernelINS0_14default_configENS1_35adjacent_difference_config_selectorILb1ElEEZNS1_24adjacent_difference_implIS3_Lb1ELb0EPlS7_ZN2at6native12_GLOBAL__N_124unique_dim_cuda_templateIjEESt5tupleIJNS8_6TensorESD_SD_EERKSD_lbbbEUlllE1_EE10hipError_tPvRmT2_T3_mT4_P12ihipStream_tbEUlT_E_NS1_11comp_targetILNS1_3genE3ELNS1_11target_archE908ELNS1_3gpuE7ELNS1_3repE0EEENS1_30default_config_static_selectorELNS0_4arch9wavefront6targetE1EEEvT1_: ; @_ZN7rocprim17ROCPRIM_400000_NS6detail17trampoline_kernelINS0_14default_configENS1_35adjacent_difference_config_selectorILb1ElEEZNS1_24adjacent_difference_implIS3_Lb1ELb0EPlS7_ZN2at6native12_GLOBAL__N_124unique_dim_cuda_templateIjEESt5tupleIJNS8_6TensorESD_SD_EERKSD_lbbbEUlllE1_EE10hipError_tPvRmT2_T3_mT4_P12ihipStream_tbEUlT_E_NS1_11comp_targetILNS1_3genE3ELNS1_11target_archE908ELNS1_3gpuE7ELNS1_3repE0EEENS1_30default_config_static_selectorELNS0_4arch9wavefront6targetE1EEEvT1_
; %bb.0:
	.section	.rodata,"a",@progbits
	.p2align	6, 0x0
	.amdhsa_kernel _ZN7rocprim17ROCPRIM_400000_NS6detail17trampoline_kernelINS0_14default_configENS1_35adjacent_difference_config_selectorILb1ElEEZNS1_24adjacent_difference_implIS3_Lb1ELb0EPlS7_ZN2at6native12_GLOBAL__N_124unique_dim_cuda_templateIjEESt5tupleIJNS8_6TensorESD_SD_EERKSD_lbbbEUlllE1_EE10hipError_tPvRmT2_T3_mT4_P12ihipStream_tbEUlT_E_NS1_11comp_targetILNS1_3genE3ELNS1_11target_archE908ELNS1_3gpuE7ELNS1_3repE0EEENS1_30default_config_static_selectorELNS0_4arch9wavefront6targetE1EEEvT1_
		.amdhsa_group_segment_fixed_size 0
		.amdhsa_private_segment_fixed_size 0
		.amdhsa_kernarg_size 64
		.amdhsa_user_sgpr_count 2
		.amdhsa_user_sgpr_dispatch_ptr 0
		.amdhsa_user_sgpr_queue_ptr 0
		.amdhsa_user_sgpr_kernarg_segment_ptr 1
		.amdhsa_user_sgpr_dispatch_id 0
		.amdhsa_user_sgpr_kernarg_preload_length 0
		.amdhsa_user_sgpr_kernarg_preload_offset 0
		.amdhsa_user_sgpr_private_segment_size 0
		.amdhsa_uses_dynamic_stack 0
		.amdhsa_enable_private_segment 0
		.amdhsa_system_sgpr_workgroup_id_x 1
		.amdhsa_system_sgpr_workgroup_id_y 0
		.amdhsa_system_sgpr_workgroup_id_z 0
		.amdhsa_system_sgpr_workgroup_info 0
		.amdhsa_system_vgpr_workitem_id 0
		.amdhsa_next_free_vgpr 1
		.amdhsa_next_free_sgpr 0
		.amdhsa_accum_offset 4
		.amdhsa_reserve_vcc 0
		.amdhsa_float_round_mode_32 0
		.amdhsa_float_round_mode_16_64 0
		.amdhsa_float_denorm_mode_32 3
		.amdhsa_float_denorm_mode_16_64 3
		.amdhsa_dx10_clamp 1
		.amdhsa_ieee_mode 1
		.amdhsa_fp16_overflow 0
		.amdhsa_tg_split 0
		.amdhsa_exception_fp_ieee_invalid_op 0
		.amdhsa_exception_fp_denorm_src 0
		.amdhsa_exception_fp_ieee_div_zero 0
		.amdhsa_exception_fp_ieee_overflow 0
		.amdhsa_exception_fp_ieee_underflow 0
		.amdhsa_exception_fp_ieee_inexact 0
		.amdhsa_exception_int_div_zero 0
	.end_amdhsa_kernel
	.section	.text._ZN7rocprim17ROCPRIM_400000_NS6detail17trampoline_kernelINS0_14default_configENS1_35adjacent_difference_config_selectorILb1ElEEZNS1_24adjacent_difference_implIS3_Lb1ELb0EPlS7_ZN2at6native12_GLOBAL__N_124unique_dim_cuda_templateIjEESt5tupleIJNS8_6TensorESD_SD_EERKSD_lbbbEUlllE1_EE10hipError_tPvRmT2_T3_mT4_P12ihipStream_tbEUlT_E_NS1_11comp_targetILNS1_3genE3ELNS1_11target_archE908ELNS1_3gpuE7ELNS1_3repE0EEENS1_30default_config_static_selectorELNS0_4arch9wavefront6targetE1EEEvT1_,"axG",@progbits,_ZN7rocprim17ROCPRIM_400000_NS6detail17trampoline_kernelINS0_14default_configENS1_35adjacent_difference_config_selectorILb1ElEEZNS1_24adjacent_difference_implIS3_Lb1ELb0EPlS7_ZN2at6native12_GLOBAL__N_124unique_dim_cuda_templateIjEESt5tupleIJNS8_6TensorESD_SD_EERKSD_lbbbEUlllE1_EE10hipError_tPvRmT2_T3_mT4_P12ihipStream_tbEUlT_E_NS1_11comp_targetILNS1_3genE3ELNS1_11target_archE908ELNS1_3gpuE7ELNS1_3repE0EEENS1_30default_config_static_selectorELNS0_4arch9wavefront6targetE1EEEvT1_,comdat
.Lfunc_end1537:
	.size	_ZN7rocprim17ROCPRIM_400000_NS6detail17trampoline_kernelINS0_14default_configENS1_35adjacent_difference_config_selectorILb1ElEEZNS1_24adjacent_difference_implIS3_Lb1ELb0EPlS7_ZN2at6native12_GLOBAL__N_124unique_dim_cuda_templateIjEESt5tupleIJNS8_6TensorESD_SD_EERKSD_lbbbEUlllE1_EE10hipError_tPvRmT2_T3_mT4_P12ihipStream_tbEUlT_E_NS1_11comp_targetILNS1_3genE3ELNS1_11target_archE908ELNS1_3gpuE7ELNS1_3repE0EEENS1_30default_config_static_selectorELNS0_4arch9wavefront6targetE1EEEvT1_, .Lfunc_end1537-_ZN7rocprim17ROCPRIM_400000_NS6detail17trampoline_kernelINS0_14default_configENS1_35adjacent_difference_config_selectorILb1ElEEZNS1_24adjacent_difference_implIS3_Lb1ELb0EPlS7_ZN2at6native12_GLOBAL__N_124unique_dim_cuda_templateIjEESt5tupleIJNS8_6TensorESD_SD_EERKSD_lbbbEUlllE1_EE10hipError_tPvRmT2_T3_mT4_P12ihipStream_tbEUlT_E_NS1_11comp_targetILNS1_3genE3ELNS1_11target_archE908ELNS1_3gpuE7ELNS1_3repE0EEENS1_30default_config_static_selectorELNS0_4arch9wavefront6targetE1EEEvT1_
                                        ; -- End function
	.set _ZN7rocprim17ROCPRIM_400000_NS6detail17trampoline_kernelINS0_14default_configENS1_35adjacent_difference_config_selectorILb1ElEEZNS1_24adjacent_difference_implIS3_Lb1ELb0EPlS7_ZN2at6native12_GLOBAL__N_124unique_dim_cuda_templateIjEESt5tupleIJNS8_6TensorESD_SD_EERKSD_lbbbEUlllE1_EE10hipError_tPvRmT2_T3_mT4_P12ihipStream_tbEUlT_E_NS1_11comp_targetILNS1_3genE3ELNS1_11target_archE908ELNS1_3gpuE7ELNS1_3repE0EEENS1_30default_config_static_selectorELNS0_4arch9wavefront6targetE1EEEvT1_.num_vgpr, 0
	.set _ZN7rocprim17ROCPRIM_400000_NS6detail17trampoline_kernelINS0_14default_configENS1_35adjacent_difference_config_selectorILb1ElEEZNS1_24adjacent_difference_implIS3_Lb1ELb0EPlS7_ZN2at6native12_GLOBAL__N_124unique_dim_cuda_templateIjEESt5tupleIJNS8_6TensorESD_SD_EERKSD_lbbbEUlllE1_EE10hipError_tPvRmT2_T3_mT4_P12ihipStream_tbEUlT_E_NS1_11comp_targetILNS1_3genE3ELNS1_11target_archE908ELNS1_3gpuE7ELNS1_3repE0EEENS1_30default_config_static_selectorELNS0_4arch9wavefront6targetE1EEEvT1_.num_agpr, 0
	.set _ZN7rocprim17ROCPRIM_400000_NS6detail17trampoline_kernelINS0_14default_configENS1_35adjacent_difference_config_selectorILb1ElEEZNS1_24adjacent_difference_implIS3_Lb1ELb0EPlS7_ZN2at6native12_GLOBAL__N_124unique_dim_cuda_templateIjEESt5tupleIJNS8_6TensorESD_SD_EERKSD_lbbbEUlllE1_EE10hipError_tPvRmT2_T3_mT4_P12ihipStream_tbEUlT_E_NS1_11comp_targetILNS1_3genE3ELNS1_11target_archE908ELNS1_3gpuE7ELNS1_3repE0EEENS1_30default_config_static_selectorELNS0_4arch9wavefront6targetE1EEEvT1_.numbered_sgpr, 0
	.set _ZN7rocprim17ROCPRIM_400000_NS6detail17trampoline_kernelINS0_14default_configENS1_35adjacent_difference_config_selectorILb1ElEEZNS1_24adjacent_difference_implIS3_Lb1ELb0EPlS7_ZN2at6native12_GLOBAL__N_124unique_dim_cuda_templateIjEESt5tupleIJNS8_6TensorESD_SD_EERKSD_lbbbEUlllE1_EE10hipError_tPvRmT2_T3_mT4_P12ihipStream_tbEUlT_E_NS1_11comp_targetILNS1_3genE3ELNS1_11target_archE908ELNS1_3gpuE7ELNS1_3repE0EEENS1_30default_config_static_selectorELNS0_4arch9wavefront6targetE1EEEvT1_.num_named_barrier, 0
	.set _ZN7rocprim17ROCPRIM_400000_NS6detail17trampoline_kernelINS0_14default_configENS1_35adjacent_difference_config_selectorILb1ElEEZNS1_24adjacent_difference_implIS3_Lb1ELb0EPlS7_ZN2at6native12_GLOBAL__N_124unique_dim_cuda_templateIjEESt5tupleIJNS8_6TensorESD_SD_EERKSD_lbbbEUlllE1_EE10hipError_tPvRmT2_T3_mT4_P12ihipStream_tbEUlT_E_NS1_11comp_targetILNS1_3genE3ELNS1_11target_archE908ELNS1_3gpuE7ELNS1_3repE0EEENS1_30default_config_static_selectorELNS0_4arch9wavefront6targetE1EEEvT1_.private_seg_size, 0
	.set _ZN7rocprim17ROCPRIM_400000_NS6detail17trampoline_kernelINS0_14default_configENS1_35adjacent_difference_config_selectorILb1ElEEZNS1_24adjacent_difference_implIS3_Lb1ELb0EPlS7_ZN2at6native12_GLOBAL__N_124unique_dim_cuda_templateIjEESt5tupleIJNS8_6TensorESD_SD_EERKSD_lbbbEUlllE1_EE10hipError_tPvRmT2_T3_mT4_P12ihipStream_tbEUlT_E_NS1_11comp_targetILNS1_3genE3ELNS1_11target_archE908ELNS1_3gpuE7ELNS1_3repE0EEENS1_30default_config_static_selectorELNS0_4arch9wavefront6targetE1EEEvT1_.uses_vcc, 0
	.set _ZN7rocprim17ROCPRIM_400000_NS6detail17trampoline_kernelINS0_14default_configENS1_35adjacent_difference_config_selectorILb1ElEEZNS1_24adjacent_difference_implIS3_Lb1ELb0EPlS7_ZN2at6native12_GLOBAL__N_124unique_dim_cuda_templateIjEESt5tupleIJNS8_6TensorESD_SD_EERKSD_lbbbEUlllE1_EE10hipError_tPvRmT2_T3_mT4_P12ihipStream_tbEUlT_E_NS1_11comp_targetILNS1_3genE3ELNS1_11target_archE908ELNS1_3gpuE7ELNS1_3repE0EEENS1_30default_config_static_selectorELNS0_4arch9wavefront6targetE1EEEvT1_.uses_flat_scratch, 0
	.set _ZN7rocprim17ROCPRIM_400000_NS6detail17trampoline_kernelINS0_14default_configENS1_35adjacent_difference_config_selectorILb1ElEEZNS1_24adjacent_difference_implIS3_Lb1ELb0EPlS7_ZN2at6native12_GLOBAL__N_124unique_dim_cuda_templateIjEESt5tupleIJNS8_6TensorESD_SD_EERKSD_lbbbEUlllE1_EE10hipError_tPvRmT2_T3_mT4_P12ihipStream_tbEUlT_E_NS1_11comp_targetILNS1_3genE3ELNS1_11target_archE908ELNS1_3gpuE7ELNS1_3repE0EEENS1_30default_config_static_selectorELNS0_4arch9wavefront6targetE1EEEvT1_.has_dyn_sized_stack, 0
	.set _ZN7rocprim17ROCPRIM_400000_NS6detail17trampoline_kernelINS0_14default_configENS1_35adjacent_difference_config_selectorILb1ElEEZNS1_24adjacent_difference_implIS3_Lb1ELb0EPlS7_ZN2at6native12_GLOBAL__N_124unique_dim_cuda_templateIjEESt5tupleIJNS8_6TensorESD_SD_EERKSD_lbbbEUlllE1_EE10hipError_tPvRmT2_T3_mT4_P12ihipStream_tbEUlT_E_NS1_11comp_targetILNS1_3genE3ELNS1_11target_archE908ELNS1_3gpuE7ELNS1_3repE0EEENS1_30default_config_static_selectorELNS0_4arch9wavefront6targetE1EEEvT1_.has_recursion, 0
	.set _ZN7rocprim17ROCPRIM_400000_NS6detail17trampoline_kernelINS0_14default_configENS1_35adjacent_difference_config_selectorILb1ElEEZNS1_24adjacent_difference_implIS3_Lb1ELb0EPlS7_ZN2at6native12_GLOBAL__N_124unique_dim_cuda_templateIjEESt5tupleIJNS8_6TensorESD_SD_EERKSD_lbbbEUlllE1_EE10hipError_tPvRmT2_T3_mT4_P12ihipStream_tbEUlT_E_NS1_11comp_targetILNS1_3genE3ELNS1_11target_archE908ELNS1_3gpuE7ELNS1_3repE0EEENS1_30default_config_static_selectorELNS0_4arch9wavefront6targetE1EEEvT1_.has_indirect_call, 0
	.section	.AMDGPU.csdata,"",@progbits
; Kernel info:
; codeLenInByte = 0
; TotalNumSgprs: 6
; NumVgprs: 0
; NumAgprs: 0
; TotalNumVgprs: 0
; ScratchSize: 0
; MemoryBound: 0
; FloatMode: 240
; IeeeMode: 1
; LDSByteSize: 0 bytes/workgroup (compile time only)
; SGPRBlocks: 0
; VGPRBlocks: 0
; NumSGPRsForWavesPerEU: 6
; NumVGPRsForWavesPerEU: 1
; AccumOffset: 4
; Occupancy: 8
; WaveLimiterHint : 0
; COMPUTE_PGM_RSRC2:SCRATCH_EN: 0
; COMPUTE_PGM_RSRC2:USER_SGPR: 2
; COMPUTE_PGM_RSRC2:TRAP_HANDLER: 0
; COMPUTE_PGM_RSRC2:TGID_X_EN: 1
; COMPUTE_PGM_RSRC2:TGID_Y_EN: 0
; COMPUTE_PGM_RSRC2:TGID_Z_EN: 0
; COMPUTE_PGM_RSRC2:TIDIG_COMP_CNT: 0
; COMPUTE_PGM_RSRC3_GFX90A:ACCUM_OFFSET: 0
; COMPUTE_PGM_RSRC3_GFX90A:TG_SPLIT: 0
	.section	.text._ZN7rocprim17ROCPRIM_400000_NS6detail17trampoline_kernelINS0_14default_configENS1_35adjacent_difference_config_selectorILb1ElEEZNS1_24adjacent_difference_implIS3_Lb1ELb0EPlS7_ZN2at6native12_GLOBAL__N_124unique_dim_cuda_templateIjEESt5tupleIJNS8_6TensorESD_SD_EERKSD_lbbbEUlllE1_EE10hipError_tPvRmT2_T3_mT4_P12ihipStream_tbEUlT_E_NS1_11comp_targetILNS1_3genE2ELNS1_11target_archE906ELNS1_3gpuE6ELNS1_3repE0EEENS1_30default_config_static_selectorELNS0_4arch9wavefront6targetE1EEEvT1_,"axG",@progbits,_ZN7rocprim17ROCPRIM_400000_NS6detail17trampoline_kernelINS0_14default_configENS1_35adjacent_difference_config_selectorILb1ElEEZNS1_24adjacent_difference_implIS3_Lb1ELb0EPlS7_ZN2at6native12_GLOBAL__N_124unique_dim_cuda_templateIjEESt5tupleIJNS8_6TensorESD_SD_EERKSD_lbbbEUlllE1_EE10hipError_tPvRmT2_T3_mT4_P12ihipStream_tbEUlT_E_NS1_11comp_targetILNS1_3genE2ELNS1_11target_archE906ELNS1_3gpuE6ELNS1_3repE0EEENS1_30default_config_static_selectorELNS0_4arch9wavefront6targetE1EEEvT1_,comdat
	.globl	_ZN7rocprim17ROCPRIM_400000_NS6detail17trampoline_kernelINS0_14default_configENS1_35adjacent_difference_config_selectorILb1ElEEZNS1_24adjacent_difference_implIS3_Lb1ELb0EPlS7_ZN2at6native12_GLOBAL__N_124unique_dim_cuda_templateIjEESt5tupleIJNS8_6TensorESD_SD_EERKSD_lbbbEUlllE1_EE10hipError_tPvRmT2_T3_mT4_P12ihipStream_tbEUlT_E_NS1_11comp_targetILNS1_3genE2ELNS1_11target_archE906ELNS1_3gpuE6ELNS1_3repE0EEENS1_30default_config_static_selectorELNS0_4arch9wavefront6targetE1EEEvT1_ ; -- Begin function _ZN7rocprim17ROCPRIM_400000_NS6detail17trampoline_kernelINS0_14default_configENS1_35adjacent_difference_config_selectorILb1ElEEZNS1_24adjacent_difference_implIS3_Lb1ELb0EPlS7_ZN2at6native12_GLOBAL__N_124unique_dim_cuda_templateIjEESt5tupleIJNS8_6TensorESD_SD_EERKSD_lbbbEUlllE1_EE10hipError_tPvRmT2_T3_mT4_P12ihipStream_tbEUlT_E_NS1_11comp_targetILNS1_3genE2ELNS1_11target_archE906ELNS1_3gpuE6ELNS1_3repE0EEENS1_30default_config_static_selectorELNS0_4arch9wavefront6targetE1EEEvT1_
	.p2align	8
	.type	_ZN7rocprim17ROCPRIM_400000_NS6detail17trampoline_kernelINS0_14default_configENS1_35adjacent_difference_config_selectorILb1ElEEZNS1_24adjacent_difference_implIS3_Lb1ELb0EPlS7_ZN2at6native12_GLOBAL__N_124unique_dim_cuda_templateIjEESt5tupleIJNS8_6TensorESD_SD_EERKSD_lbbbEUlllE1_EE10hipError_tPvRmT2_T3_mT4_P12ihipStream_tbEUlT_E_NS1_11comp_targetILNS1_3genE2ELNS1_11target_archE906ELNS1_3gpuE6ELNS1_3repE0EEENS1_30default_config_static_selectorELNS0_4arch9wavefront6targetE1EEEvT1_,@function
_ZN7rocprim17ROCPRIM_400000_NS6detail17trampoline_kernelINS0_14default_configENS1_35adjacent_difference_config_selectorILb1ElEEZNS1_24adjacent_difference_implIS3_Lb1ELb0EPlS7_ZN2at6native12_GLOBAL__N_124unique_dim_cuda_templateIjEESt5tupleIJNS8_6TensorESD_SD_EERKSD_lbbbEUlllE1_EE10hipError_tPvRmT2_T3_mT4_P12ihipStream_tbEUlT_E_NS1_11comp_targetILNS1_3genE2ELNS1_11target_archE906ELNS1_3gpuE6ELNS1_3repE0EEENS1_30default_config_static_selectorELNS0_4arch9wavefront6targetE1EEEvT1_: ; @_ZN7rocprim17ROCPRIM_400000_NS6detail17trampoline_kernelINS0_14default_configENS1_35adjacent_difference_config_selectorILb1ElEEZNS1_24adjacent_difference_implIS3_Lb1ELb0EPlS7_ZN2at6native12_GLOBAL__N_124unique_dim_cuda_templateIjEESt5tupleIJNS8_6TensorESD_SD_EERKSD_lbbbEUlllE1_EE10hipError_tPvRmT2_T3_mT4_P12ihipStream_tbEUlT_E_NS1_11comp_targetILNS1_3genE2ELNS1_11target_archE906ELNS1_3gpuE6ELNS1_3repE0EEENS1_30default_config_static_selectorELNS0_4arch9wavefront6targetE1EEEvT1_
; %bb.0:
	.section	.rodata,"a",@progbits
	.p2align	6, 0x0
	.amdhsa_kernel _ZN7rocprim17ROCPRIM_400000_NS6detail17trampoline_kernelINS0_14default_configENS1_35adjacent_difference_config_selectorILb1ElEEZNS1_24adjacent_difference_implIS3_Lb1ELb0EPlS7_ZN2at6native12_GLOBAL__N_124unique_dim_cuda_templateIjEESt5tupleIJNS8_6TensorESD_SD_EERKSD_lbbbEUlllE1_EE10hipError_tPvRmT2_T3_mT4_P12ihipStream_tbEUlT_E_NS1_11comp_targetILNS1_3genE2ELNS1_11target_archE906ELNS1_3gpuE6ELNS1_3repE0EEENS1_30default_config_static_selectorELNS0_4arch9wavefront6targetE1EEEvT1_
		.amdhsa_group_segment_fixed_size 0
		.amdhsa_private_segment_fixed_size 0
		.amdhsa_kernarg_size 64
		.amdhsa_user_sgpr_count 2
		.amdhsa_user_sgpr_dispatch_ptr 0
		.amdhsa_user_sgpr_queue_ptr 0
		.amdhsa_user_sgpr_kernarg_segment_ptr 1
		.amdhsa_user_sgpr_dispatch_id 0
		.amdhsa_user_sgpr_kernarg_preload_length 0
		.amdhsa_user_sgpr_kernarg_preload_offset 0
		.amdhsa_user_sgpr_private_segment_size 0
		.amdhsa_uses_dynamic_stack 0
		.amdhsa_enable_private_segment 0
		.amdhsa_system_sgpr_workgroup_id_x 1
		.amdhsa_system_sgpr_workgroup_id_y 0
		.amdhsa_system_sgpr_workgroup_id_z 0
		.amdhsa_system_sgpr_workgroup_info 0
		.amdhsa_system_vgpr_workitem_id 0
		.amdhsa_next_free_vgpr 1
		.amdhsa_next_free_sgpr 0
		.amdhsa_accum_offset 4
		.amdhsa_reserve_vcc 0
		.amdhsa_float_round_mode_32 0
		.amdhsa_float_round_mode_16_64 0
		.amdhsa_float_denorm_mode_32 3
		.amdhsa_float_denorm_mode_16_64 3
		.amdhsa_dx10_clamp 1
		.amdhsa_ieee_mode 1
		.amdhsa_fp16_overflow 0
		.amdhsa_tg_split 0
		.amdhsa_exception_fp_ieee_invalid_op 0
		.amdhsa_exception_fp_denorm_src 0
		.amdhsa_exception_fp_ieee_div_zero 0
		.amdhsa_exception_fp_ieee_overflow 0
		.amdhsa_exception_fp_ieee_underflow 0
		.amdhsa_exception_fp_ieee_inexact 0
		.amdhsa_exception_int_div_zero 0
	.end_amdhsa_kernel
	.section	.text._ZN7rocprim17ROCPRIM_400000_NS6detail17trampoline_kernelINS0_14default_configENS1_35adjacent_difference_config_selectorILb1ElEEZNS1_24adjacent_difference_implIS3_Lb1ELb0EPlS7_ZN2at6native12_GLOBAL__N_124unique_dim_cuda_templateIjEESt5tupleIJNS8_6TensorESD_SD_EERKSD_lbbbEUlllE1_EE10hipError_tPvRmT2_T3_mT4_P12ihipStream_tbEUlT_E_NS1_11comp_targetILNS1_3genE2ELNS1_11target_archE906ELNS1_3gpuE6ELNS1_3repE0EEENS1_30default_config_static_selectorELNS0_4arch9wavefront6targetE1EEEvT1_,"axG",@progbits,_ZN7rocprim17ROCPRIM_400000_NS6detail17trampoline_kernelINS0_14default_configENS1_35adjacent_difference_config_selectorILb1ElEEZNS1_24adjacent_difference_implIS3_Lb1ELb0EPlS7_ZN2at6native12_GLOBAL__N_124unique_dim_cuda_templateIjEESt5tupleIJNS8_6TensorESD_SD_EERKSD_lbbbEUlllE1_EE10hipError_tPvRmT2_T3_mT4_P12ihipStream_tbEUlT_E_NS1_11comp_targetILNS1_3genE2ELNS1_11target_archE906ELNS1_3gpuE6ELNS1_3repE0EEENS1_30default_config_static_selectorELNS0_4arch9wavefront6targetE1EEEvT1_,comdat
.Lfunc_end1538:
	.size	_ZN7rocprim17ROCPRIM_400000_NS6detail17trampoline_kernelINS0_14default_configENS1_35adjacent_difference_config_selectorILb1ElEEZNS1_24adjacent_difference_implIS3_Lb1ELb0EPlS7_ZN2at6native12_GLOBAL__N_124unique_dim_cuda_templateIjEESt5tupleIJNS8_6TensorESD_SD_EERKSD_lbbbEUlllE1_EE10hipError_tPvRmT2_T3_mT4_P12ihipStream_tbEUlT_E_NS1_11comp_targetILNS1_3genE2ELNS1_11target_archE906ELNS1_3gpuE6ELNS1_3repE0EEENS1_30default_config_static_selectorELNS0_4arch9wavefront6targetE1EEEvT1_, .Lfunc_end1538-_ZN7rocprim17ROCPRIM_400000_NS6detail17trampoline_kernelINS0_14default_configENS1_35adjacent_difference_config_selectorILb1ElEEZNS1_24adjacent_difference_implIS3_Lb1ELb0EPlS7_ZN2at6native12_GLOBAL__N_124unique_dim_cuda_templateIjEESt5tupleIJNS8_6TensorESD_SD_EERKSD_lbbbEUlllE1_EE10hipError_tPvRmT2_T3_mT4_P12ihipStream_tbEUlT_E_NS1_11comp_targetILNS1_3genE2ELNS1_11target_archE906ELNS1_3gpuE6ELNS1_3repE0EEENS1_30default_config_static_selectorELNS0_4arch9wavefront6targetE1EEEvT1_
                                        ; -- End function
	.set _ZN7rocprim17ROCPRIM_400000_NS6detail17trampoline_kernelINS0_14default_configENS1_35adjacent_difference_config_selectorILb1ElEEZNS1_24adjacent_difference_implIS3_Lb1ELb0EPlS7_ZN2at6native12_GLOBAL__N_124unique_dim_cuda_templateIjEESt5tupleIJNS8_6TensorESD_SD_EERKSD_lbbbEUlllE1_EE10hipError_tPvRmT2_T3_mT4_P12ihipStream_tbEUlT_E_NS1_11comp_targetILNS1_3genE2ELNS1_11target_archE906ELNS1_3gpuE6ELNS1_3repE0EEENS1_30default_config_static_selectorELNS0_4arch9wavefront6targetE1EEEvT1_.num_vgpr, 0
	.set _ZN7rocprim17ROCPRIM_400000_NS6detail17trampoline_kernelINS0_14default_configENS1_35adjacent_difference_config_selectorILb1ElEEZNS1_24adjacent_difference_implIS3_Lb1ELb0EPlS7_ZN2at6native12_GLOBAL__N_124unique_dim_cuda_templateIjEESt5tupleIJNS8_6TensorESD_SD_EERKSD_lbbbEUlllE1_EE10hipError_tPvRmT2_T3_mT4_P12ihipStream_tbEUlT_E_NS1_11comp_targetILNS1_3genE2ELNS1_11target_archE906ELNS1_3gpuE6ELNS1_3repE0EEENS1_30default_config_static_selectorELNS0_4arch9wavefront6targetE1EEEvT1_.num_agpr, 0
	.set _ZN7rocprim17ROCPRIM_400000_NS6detail17trampoline_kernelINS0_14default_configENS1_35adjacent_difference_config_selectorILb1ElEEZNS1_24adjacent_difference_implIS3_Lb1ELb0EPlS7_ZN2at6native12_GLOBAL__N_124unique_dim_cuda_templateIjEESt5tupleIJNS8_6TensorESD_SD_EERKSD_lbbbEUlllE1_EE10hipError_tPvRmT2_T3_mT4_P12ihipStream_tbEUlT_E_NS1_11comp_targetILNS1_3genE2ELNS1_11target_archE906ELNS1_3gpuE6ELNS1_3repE0EEENS1_30default_config_static_selectorELNS0_4arch9wavefront6targetE1EEEvT1_.numbered_sgpr, 0
	.set _ZN7rocprim17ROCPRIM_400000_NS6detail17trampoline_kernelINS0_14default_configENS1_35adjacent_difference_config_selectorILb1ElEEZNS1_24adjacent_difference_implIS3_Lb1ELb0EPlS7_ZN2at6native12_GLOBAL__N_124unique_dim_cuda_templateIjEESt5tupleIJNS8_6TensorESD_SD_EERKSD_lbbbEUlllE1_EE10hipError_tPvRmT2_T3_mT4_P12ihipStream_tbEUlT_E_NS1_11comp_targetILNS1_3genE2ELNS1_11target_archE906ELNS1_3gpuE6ELNS1_3repE0EEENS1_30default_config_static_selectorELNS0_4arch9wavefront6targetE1EEEvT1_.num_named_barrier, 0
	.set _ZN7rocprim17ROCPRIM_400000_NS6detail17trampoline_kernelINS0_14default_configENS1_35adjacent_difference_config_selectorILb1ElEEZNS1_24adjacent_difference_implIS3_Lb1ELb0EPlS7_ZN2at6native12_GLOBAL__N_124unique_dim_cuda_templateIjEESt5tupleIJNS8_6TensorESD_SD_EERKSD_lbbbEUlllE1_EE10hipError_tPvRmT2_T3_mT4_P12ihipStream_tbEUlT_E_NS1_11comp_targetILNS1_3genE2ELNS1_11target_archE906ELNS1_3gpuE6ELNS1_3repE0EEENS1_30default_config_static_selectorELNS0_4arch9wavefront6targetE1EEEvT1_.private_seg_size, 0
	.set _ZN7rocprim17ROCPRIM_400000_NS6detail17trampoline_kernelINS0_14default_configENS1_35adjacent_difference_config_selectorILb1ElEEZNS1_24adjacent_difference_implIS3_Lb1ELb0EPlS7_ZN2at6native12_GLOBAL__N_124unique_dim_cuda_templateIjEESt5tupleIJNS8_6TensorESD_SD_EERKSD_lbbbEUlllE1_EE10hipError_tPvRmT2_T3_mT4_P12ihipStream_tbEUlT_E_NS1_11comp_targetILNS1_3genE2ELNS1_11target_archE906ELNS1_3gpuE6ELNS1_3repE0EEENS1_30default_config_static_selectorELNS0_4arch9wavefront6targetE1EEEvT1_.uses_vcc, 0
	.set _ZN7rocprim17ROCPRIM_400000_NS6detail17trampoline_kernelINS0_14default_configENS1_35adjacent_difference_config_selectorILb1ElEEZNS1_24adjacent_difference_implIS3_Lb1ELb0EPlS7_ZN2at6native12_GLOBAL__N_124unique_dim_cuda_templateIjEESt5tupleIJNS8_6TensorESD_SD_EERKSD_lbbbEUlllE1_EE10hipError_tPvRmT2_T3_mT4_P12ihipStream_tbEUlT_E_NS1_11comp_targetILNS1_3genE2ELNS1_11target_archE906ELNS1_3gpuE6ELNS1_3repE0EEENS1_30default_config_static_selectorELNS0_4arch9wavefront6targetE1EEEvT1_.uses_flat_scratch, 0
	.set _ZN7rocprim17ROCPRIM_400000_NS6detail17trampoline_kernelINS0_14default_configENS1_35adjacent_difference_config_selectorILb1ElEEZNS1_24adjacent_difference_implIS3_Lb1ELb0EPlS7_ZN2at6native12_GLOBAL__N_124unique_dim_cuda_templateIjEESt5tupleIJNS8_6TensorESD_SD_EERKSD_lbbbEUlllE1_EE10hipError_tPvRmT2_T3_mT4_P12ihipStream_tbEUlT_E_NS1_11comp_targetILNS1_3genE2ELNS1_11target_archE906ELNS1_3gpuE6ELNS1_3repE0EEENS1_30default_config_static_selectorELNS0_4arch9wavefront6targetE1EEEvT1_.has_dyn_sized_stack, 0
	.set _ZN7rocprim17ROCPRIM_400000_NS6detail17trampoline_kernelINS0_14default_configENS1_35adjacent_difference_config_selectorILb1ElEEZNS1_24adjacent_difference_implIS3_Lb1ELb0EPlS7_ZN2at6native12_GLOBAL__N_124unique_dim_cuda_templateIjEESt5tupleIJNS8_6TensorESD_SD_EERKSD_lbbbEUlllE1_EE10hipError_tPvRmT2_T3_mT4_P12ihipStream_tbEUlT_E_NS1_11comp_targetILNS1_3genE2ELNS1_11target_archE906ELNS1_3gpuE6ELNS1_3repE0EEENS1_30default_config_static_selectorELNS0_4arch9wavefront6targetE1EEEvT1_.has_recursion, 0
	.set _ZN7rocprim17ROCPRIM_400000_NS6detail17trampoline_kernelINS0_14default_configENS1_35adjacent_difference_config_selectorILb1ElEEZNS1_24adjacent_difference_implIS3_Lb1ELb0EPlS7_ZN2at6native12_GLOBAL__N_124unique_dim_cuda_templateIjEESt5tupleIJNS8_6TensorESD_SD_EERKSD_lbbbEUlllE1_EE10hipError_tPvRmT2_T3_mT4_P12ihipStream_tbEUlT_E_NS1_11comp_targetILNS1_3genE2ELNS1_11target_archE906ELNS1_3gpuE6ELNS1_3repE0EEENS1_30default_config_static_selectorELNS0_4arch9wavefront6targetE1EEEvT1_.has_indirect_call, 0
	.section	.AMDGPU.csdata,"",@progbits
; Kernel info:
; codeLenInByte = 0
; TotalNumSgprs: 6
; NumVgprs: 0
; NumAgprs: 0
; TotalNumVgprs: 0
; ScratchSize: 0
; MemoryBound: 0
; FloatMode: 240
; IeeeMode: 1
; LDSByteSize: 0 bytes/workgroup (compile time only)
; SGPRBlocks: 0
; VGPRBlocks: 0
; NumSGPRsForWavesPerEU: 6
; NumVGPRsForWavesPerEU: 1
; AccumOffset: 4
; Occupancy: 8
; WaveLimiterHint : 0
; COMPUTE_PGM_RSRC2:SCRATCH_EN: 0
; COMPUTE_PGM_RSRC2:USER_SGPR: 2
; COMPUTE_PGM_RSRC2:TRAP_HANDLER: 0
; COMPUTE_PGM_RSRC2:TGID_X_EN: 1
; COMPUTE_PGM_RSRC2:TGID_Y_EN: 0
; COMPUTE_PGM_RSRC2:TGID_Z_EN: 0
; COMPUTE_PGM_RSRC2:TIDIG_COMP_CNT: 0
; COMPUTE_PGM_RSRC3_GFX90A:ACCUM_OFFSET: 0
; COMPUTE_PGM_RSRC3_GFX90A:TG_SPLIT: 0
	.section	.text._ZN7rocprim17ROCPRIM_400000_NS6detail17trampoline_kernelINS0_14default_configENS1_35adjacent_difference_config_selectorILb1ElEEZNS1_24adjacent_difference_implIS3_Lb1ELb0EPlS7_ZN2at6native12_GLOBAL__N_124unique_dim_cuda_templateIjEESt5tupleIJNS8_6TensorESD_SD_EERKSD_lbbbEUlllE1_EE10hipError_tPvRmT2_T3_mT4_P12ihipStream_tbEUlT_E_NS1_11comp_targetILNS1_3genE9ELNS1_11target_archE1100ELNS1_3gpuE3ELNS1_3repE0EEENS1_30default_config_static_selectorELNS0_4arch9wavefront6targetE1EEEvT1_,"axG",@progbits,_ZN7rocprim17ROCPRIM_400000_NS6detail17trampoline_kernelINS0_14default_configENS1_35adjacent_difference_config_selectorILb1ElEEZNS1_24adjacent_difference_implIS3_Lb1ELb0EPlS7_ZN2at6native12_GLOBAL__N_124unique_dim_cuda_templateIjEESt5tupleIJNS8_6TensorESD_SD_EERKSD_lbbbEUlllE1_EE10hipError_tPvRmT2_T3_mT4_P12ihipStream_tbEUlT_E_NS1_11comp_targetILNS1_3genE9ELNS1_11target_archE1100ELNS1_3gpuE3ELNS1_3repE0EEENS1_30default_config_static_selectorELNS0_4arch9wavefront6targetE1EEEvT1_,comdat
	.globl	_ZN7rocprim17ROCPRIM_400000_NS6detail17trampoline_kernelINS0_14default_configENS1_35adjacent_difference_config_selectorILb1ElEEZNS1_24adjacent_difference_implIS3_Lb1ELb0EPlS7_ZN2at6native12_GLOBAL__N_124unique_dim_cuda_templateIjEESt5tupleIJNS8_6TensorESD_SD_EERKSD_lbbbEUlllE1_EE10hipError_tPvRmT2_T3_mT4_P12ihipStream_tbEUlT_E_NS1_11comp_targetILNS1_3genE9ELNS1_11target_archE1100ELNS1_3gpuE3ELNS1_3repE0EEENS1_30default_config_static_selectorELNS0_4arch9wavefront6targetE1EEEvT1_ ; -- Begin function _ZN7rocprim17ROCPRIM_400000_NS6detail17trampoline_kernelINS0_14default_configENS1_35adjacent_difference_config_selectorILb1ElEEZNS1_24adjacent_difference_implIS3_Lb1ELb0EPlS7_ZN2at6native12_GLOBAL__N_124unique_dim_cuda_templateIjEESt5tupleIJNS8_6TensorESD_SD_EERKSD_lbbbEUlllE1_EE10hipError_tPvRmT2_T3_mT4_P12ihipStream_tbEUlT_E_NS1_11comp_targetILNS1_3genE9ELNS1_11target_archE1100ELNS1_3gpuE3ELNS1_3repE0EEENS1_30default_config_static_selectorELNS0_4arch9wavefront6targetE1EEEvT1_
	.p2align	8
	.type	_ZN7rocprim17ROCPRIM_400000_NS6detail17trampoline_kernelINS0_14default_configENS1_35adjacent_difference_config_selectorILb1ElEEZNS1_24adjacent_difference_implIS3_Lb1ELb0EPlS7_ZN2at6native12_GLOBAL__N_124unique_dim_cuda_templateIjEESt5tupleIJNS8_6TensorESD_SD_EERKSD_lbbbEUlllE1_EE10hipError_tPvRmT2_T3_mT4_P12ihipStream_tbEUlT_E_NS1_11comp_targetILNS1_3genE9ELNS1_11target_archE1100ELNS1_3gpuE3ELNS1_3repE0EEENS1_30default_config_static_selectorELNS0_4arch9wavefront6targetE1EEEvT1_,@function
_ZN7rocprim17ROCPRIM_400000_NS6detail17trampoline_kernelINS0_14default_configENS1_35adjacent_difference_config_selectorILb1ElEEZNS1_24adjacent_difference_implIS3_Lb1ELb0EPlS7_ZN2at6native12_GLOBAL__N_124unique_dim_cuda_templateIjEESt5tupleIJNS8_6TensorESD_SD_EERKSD_lbbbEUlllE1_EE10hipError_tPvRmT2_T3_mT4_P12ihipStream_tbEUlT_E_NS1_11comp_targetILNS1_3genE9ELNS1_11target_archE1100ELNS1_3gpuE3ELNS1_3repE0EEENS1_30default_config_static_selectorELNS0_4arch9wavefront6targetE1EEEvT1_: ; @_ZN7rocprim17ROCPRIM_400000_NS6detail17trampoline_kernelINS0_14default_configENS1_35adjacent_difference_config_selectorILb1ElEEZNS1_24adjacent_difference_implIS3_Lb1ELb0EPlS7_ZN2at6native12_GLOBAL__N_124unique_dim_cuda_templateIjEESt5tupleIJNS8_6TensorESD_SD_EERKSD_lbbbEUlllE1_EE10hipError_tPvRmT2_T3_mT4_P12ihipStream_tbEUlT_E_NS1_11comp_targetILNS1_3genE9ELNS1_11target_archE1100ELNS1_3gpuE3ELNS1_3repE0EEENS1_30default_config_static_selectorELNS0_4arch9wavefront6targetE1EEEvT1_
; %bb.0:
	.section	.rodata,"a",@progbits
	.p2align	6, 0x0
	.amdhsa_kernel _ZN7rocprim17ROCPRIM_400000_NS6detail17trampoline_kernelINS0_14default_configENS1_35adjacent_difference_config_selectorILb1ElEEZNS1_24adjacent_difference_implIS3_Lb1ELb0EPlS7_ZN2at6native12_GLOBAL__N_124unique_dim_cuda_templateIjEESt5tupleIJNS8_6TensorESD_SD_EERKSD_lbbbEUlllE1_EE10hipError_tPvRmT2_T3_mT4_P12ihipStream_tbEUlT_E_NS1_11comp_targetILNS1_3genE9ELNS1_11target_archE1100ELNS1_3gpuE3ELNS1_3repE0EEENS1_30default_config_static_selectorELNS0_4arch9wavefront6targetE1EEEvT1_
		.amdhsa_group_segment_fixed_size 0
		.amdhsa_private_segment_fixed_size 0
		.amdhsa_kernarg_size 64
		.amdhsa_user_sgpr_count 2
		.amdhsa_user_sgpr_dispatch_ptr 0
		.amdhsa_user_sgpr_queue_ptr 0
		.amdhsa_user_sgpr_kernarg_segment_ptr 1
		.amdhsa_user_sgpr_dispatch_id 0
		.amdhsa_user_sgpr_kernarg_preload_length 0
		.amdhsa_user_sgpr_kernarg_preload_offset 0
		.amdhsa_user_sgpr_private_segment_size 0
		.amdhsa_uses_dynamic_stack 0
		.amdhsa_enable_private_segment 0
		.amdhsa_system_sgpr_workgroup_id_x 1
		.amdhsa_system_sgpr_workgroup_id_y 0
		.amdhsa_system_sgpr_workgroup_id_z 0
		.amdhsa_system_sgpr_workgroup_info 0
		.amdhsa_system_vgpr_workitem_id 0
		.amdhsa_next_free_vgpr 1
		.amdhsa_next_free_sgpr 0
		.amdhsa_accum_offset 4
		.amdhsa_reserve_vcc 0
		.amdhsa_float_round_mode_32 0
		.amdhsa_float_round_mode_16_64 0
		.amdhsa_float_denorm_mode_32 3
		.amdhsa_float_denorm_mode_16_64 3
		.amdhsa_dx10_clamp 1
		.amdhsa_ieee_mode 1
		.amdhsa_fp16_overflow 0
		.amdhsa_tg_split 0
		.amdhsa_exception_fp_ieee_invalid_op 0
		.amdhsa_exception_fp_denorm_src 0
		.amdhsa_exception_fp_ieee_div_zero 0
		.amdhsa_exception_fp_ieee_overflow 0
		.amdhsa_exception_fp_ieee_underflow 0
		.amdhsa_exception_fp_ieee_inexact 0
		.amdhsa_exception_int_div_zero 0
	.end_amdhsa_kernel
	.section	.text._ZN7rocprim17ROCPRIM_400000_NS6detail17trampoline_kernelINS0_14default_configENS1_35adjacent_difference_config_selectorILb1ElEEZNS1_24adjacent_difference_implIS3_Lb1ELb0EPlS7_ZN2at6native12_GLOBAL__N_124unique_dim_cuda_templateIjEESt5tupleIJNS8_6TensorESD_SD_EERKSD_lbbbEUlllE1_EE10hipError_tPvRmT2_T3_mT4_P12ihipStream_tbEUlT_E_NS1_11comp_targetILNS1_3genE9ELNS1_11target_archE1100ELNS1_3gpuE3ELNS1_3repE0EEENS1_30default_config_static_selectorELNS0_4arch9wavefront6targetE1EEEvT1_,"axG",@progbits,_ZN7rocprim17ROCPRIM_400000_NS6detail17trampoline_kernelINS0_14default_configENS1_35adjacent_difference_config_selectorILb1ElEEZNS1_24adjacent_difference_implIS3_Lb1ELb0EPlS7_ZN2at6native12_GLOBAL__N_124unique_dim_cuda_templateIjEESt5tupleIJNS8_6TensorESD_SD_EERKSD_lbbbEUlllE1_EE10hipError_tPvRmT2_T3_mT4_P12ihipStream_tbEUlT_E_NS1_11comp_targetILNS1_3genE9ELNS1_11target_archE1100ELNS1_3gpuE3ELNS1_3repE0EEENS1_30default_config_static_selectorELNS0_4arch9wavefront6targetE1EEEvT1_,comdat
.Lfunc_end1539:
	.size	_ZN7rocprim17ROCPRIM_400000_NS6detail17trampoline_kernelINS0_14default_configENS1_35adjacent_difference_config_selectorILb1ElEEZNS1_24adjacent_difference_implIS3_Lb1ELb0EPlS7_ZN2at6native12_GLOBAL__N_124unique_dim_cuda_templateIjEESt5tupleIJNS8_6TensorESD_SD_EERKSD_lbbbEUlllE1_EE10hipError_tPvRmT2_T3_mT4_P12ihipStream_tbEUlT_E_NS1_11comp_targetILNS1_3genE9ELNS1_11target_archE1100ELNS1_3gpuE3ELNS1_3repE0EEENS1_30default_config_static_selectorELNS0_4arch9wavefront6targetE1EEEvT1_, .Lfunc_end1539-_ZN7rocprim17ROCPRIM_400000_NS6detail17trampoline_kernelINS0_14default_configENS1_35adjacent_difference_config_selectorILb1ElEEZNS1_24adjacent_difference_implIS3_Lb1ELb0EPlS7_ZN2at6native12_GLOBAL__N_124unique_dim_cuda_templateIjEESt5tupleIJNS8_6TensorESD_SD_EERKSD_lbbbEUlllE1_EE10hipError_tPvRmT2_T3_mT4_P12ihipStream_tbEUlT_E_NS1_11comp_targetILNS1_3genE9ELNS1_11target_archE1100ELNS1_3gpuE3ELNS1_3repE0EEENS1_30default_config_static_selectorELNS0_4arch9wavefront6targetE1EEEvT1_
                                        ; -- End function
	.set _ZN7rocprim17ROCPRIM_400000_NS6detail17trampoline_kernelINS0_14default_configENS1_35adjacent_difference_config_selectorILb1ElEEZNS1_24adjacent_difference_implIS3_Lb1ELb0EPlS7_ZN2at6native12_GLOBAL__N_124unique_dim_cuda_templateIjEESt5tupleIJNS8_6TensorESD_SD_EERKSD_lbbbEUlllE1_EE10hipError_tPvRmT2_T3_mT4_P12ihipStream_tbEUlT_E_NS1_11comp_targetILNS1_3genE9ELNS1_11target_archE1100ELNS1_3gpuE3ELNS1_3repE0EEENS1_30default_config_static_selectorELNS0_4arch9wavefront6targetE1EEEvT1_.num_vgpr, 0
	.set _ZN7rocprim17ROCPRIM_400000_NS6detail17trampoline_kernelINS0_14default_configENS1_35adjacent_difference_config_selectorILb1ElEEZNS1_24adjacent_difference_implIS3_Lb1ELb0EPlS7_ZN2at6native12_GLOBAL__N_124unique_dim_cuda_templateIjEESt5tupleIJNS8_6TensorESD_SD_EERKSD_lbbbEUlllE1_EE10hipError_tPvRmT2_T3_mT4_P12ihipStream_tbEUlT_E_NS1_11comp_targetILNS1_3genE9ELNS1_11target_archE1100ELNS1_3gpuE3ELNS1_3repE0EEENS1_30default_config_static_selectorELNS0_4arch9wavefront6targetE1EEEvT1_.num_agpr, 0
	.set _ZN7rocprim17ROCPRIM_400000_NS6detail17trampoline_kernelINS0_14default_configENS1_35adjacent_difference_config_selectorILb1ElEEZNS1_24adjacent_difference_implIS3_Lb1ELb0EPlS7_ZN2at6native12_GLOBAL__N_124unique_dim_cuda_templateIjEESt5tupleIJNS8_6TensorESD_SD_EERKSD_lbbbEUlllE1_EE10hipError_tPvRmT2_T3_mT4_P12ihipStream_tbEUlT_E_NS1_11comp_targetILNS1_3genE9ELNS1_11target_archE1100ELNS1_3gpuE3ELNS1_3repE0EEENS1_30default_config_static_selectorELNS0_4arch9wavefront6targetE1EEEvT1_.numbered_sgpr, 0
	.set _ZN7rocprim17ROCPRIM_400000_NS6detail17trampoline_kernelINS0_14default_configENS1_35adjacent_difference_config_selectorILb1ElEEZNS1_24adjacent_difference_implIS3_Lb1ELb0EPlS7_ZN2at6native12_GLOBAL__N_124unique_dim_cuda_templateIjEESt5tupleIJNS8_6TensorESD_SD_EERKSD_lbbbEUlllE1_EE10hipError_tPvRmT2_T3_mT4_P12ihipStream_tbEUlT_E_NS1_11comp_targetILNS1_3genE9ELNS1_11target_archE1100ELNS1_3gpuE3ELNS1_3repE0EEENS1_30default_config_static_selectorELNS0_4arch9wavefront6targetE1EEEvT1_.num_named_barrier, 0
	.set _ZN7rocprim17ROCPRIM_400000_NS6detail17trampoline_kernelINS0_14default_configENS1_35adjacent_difference_config_selectorILb1ElEEZNS1_24adjacent_difference_implIS3_Lb1ELb0EPlS7_ZN2at6native12_GLOBAL__N_124unique_dim_cuda_templateIjEESt5tupleIJNS8_6TensorESD_SD_EERKSD_lbbbEUlllE1_EE10hipError_tPvRmT2_T3_mT4_P12ihipStream_tbEUlT_E_NS1_11comp_targetILNS1_3genE9ELNS1_11target_archE1100ELNS1_3gpuE3ELNS1_3repE0EEENS1_30default_config_static_selectorELNS0_4arch9wavefront6targetE1EEEvT1_.private_seg_size, 0
	.set _ZN7rocprim17ROCPRIM_400000_NS6detail17trampoline_kernelINS0_14default_configENS1_35adjacent_difference_config_selectorILb1ElEEZNS1_24adjacent_difference_implIS3_Lb1ELb0EPlS7_ZN2at6native12_GLOBAL__N_124unique_dim_cuda_templateIjEESt5tupleIJNS8_6TensorESD_SD_EERKSD_lbbbEUlllE1_EE10hipError_tPvRmT2_T3_mT4_P12ihipStream_tbEUlT_E_NS1_11comp_targetILNS1_3genE9ELNS1_11target_archE1100ELNS1_3gpuE3ELNS1_3repE0EEENS1_30default_config_static_selectorELNS0_4arch9wavefront6targetE1EEEvT1_.uses_vcc, 0
	.set _ZN7rocprim17ROCPRIM_400000_NS6detail17trampoline_kernelINS0_14default_configENS1_35adjacent_difference_config_selectorILb1ElEEZNS1_24adjacent_difference_implIS3_Lb1ELb0EPlS7_ZN2at6native12_GLOBAL__N_124unique_dim_cuda_templateIjEESt5tupleIJNS8_6TensorESD_SD_EERKSD_lbbbEUlllE1_EE10hipError_tPvRmT2_T3_mT4_P12ihipStream_tbEUlT_E_NS1_11comp_targetILNS1_3genE9ELNS1_11target_archE1100ELNS1_3gpuE3ELNS1_3repE0EEENS1_30default_config_static_selectorELNS0_4arch9wavefront6targetE1EEEvT1_.uses_flat_scratch, 0
	.set _ZN7rocprim17ROCPRIM_400000_NS6detail17trampoline_kernelINS0_14default_configENS1_35adjacent_difference_config_selectorILb1ElEEZNS1_24adjacent_difference_implIS3_Lb1ELb0EPlS7_ZN2at6native12_GLOBAL__N_124unique_dim_cuda_templateIjEESt5tupleIJNS8_6TensorESD_SD_EERKSD_lbbbEUlllE1_EE10hipError_tPvRmT2_T3_mT4_P12ihipStream_tbEUlT_E_NS1_11comp_targetILNS1_3genE9ELNS1_11target_archE1100ELNS1_3gpuE3ELNS1_3repE0EEENS1_30default_config_static_selectorELNS0_4arch9wavefront6targetE1EEEvT1_.has_dyn_sized_stack, 0
	.set _ZN7rocprim17ROCPRIM_400000_NS6detail17trampoline_kernelINS0_14default_configENS1_35adjacent_difference_config_selectorILb1ElEEZNS1_24adjacent_difference_implIS3_Lb1ELb0EPlS7_ZN2at6native12_GLOBAL__N_124unique_dim_cuda_templateIjEESt5tupleIJNS8_6TensorESD_SD_EERKSD_lbbbEUlllE1_EE10hipError_tPvRmT2_T3_mT4_P12ihipStream_tbEUlT_E_NS1_11comp_targetILNS1_3genE9ELNS1_11target_archE1100ELNS1_3gpuE3ELNS1_3repE0EEENS1_30default_config_static_selectorELNS0_4arch9wavefront6targetE1EEEvT1_.has_recursion, 0
	.set _ZN7rocprim17ROCPRIM_400000_NS6detail17trampoline_kernelINS0_14default_configENS1_35adjacent_difference_config_selectorILb1ElEEZNS1_24adjacent_difference_implIS3_Lb1ELb0EPlS7_ZN2at6native12_GLOBAL__N_124unique_dim_cuda_templateIjEESt5tupleIJNS8_6TensorESD_SD_EERKSD_lbbbEUlllE1_EE10hipError_tPvRmT2_T3_mT4_P12ihipStream_tbEUlT_E_NS1_11comp_targetILNS1_3genE9ELNS1_11target_archE1100ELNS1_3gpuE3ELNS1_3repE0EEENS1_30default_config_static_selectorELNS0_4arch9wavefront6targetE1EEEvT1_.has_indirect_call, 0
	.section	.AMDGPU.csdata,"",@progbits
; Kernel info:
; codeLenInByte = 0
; TotalNumSgprs: 6
; NumVgprs: 0
; NumAgprs: 0
; TotalNumVgprs: 0
; ScratchSize: 0
; MemoryBound: 0
; FloatMode: 240
; IeeeMode: 1
; LDSByteSize: 0 bytes/workgroup (compile time only)
; SGPRBlocks: 0
; VGPRBlocks: 0
; NumSGPRsForWavesPerEU: 6
; NumVGPRsForWavesPerEU: 1
; AccumOffset: 4
; Occupancy: 8
; WaveLimiterHint : 0
; COMPUTE_PGM_RSRC2:SCRATCH_EN: 0
; COMPUTE_PGM_RSRC2:USER_SGPR: 2
; COMPUTE_PGM_RSRC2:TRAP_HANDLER: 0
; COMPUTE_PGM_RSRC2:TGID_X_EN: 1
; COMPUTE_PGM_RSRC2:TGID_Y_EN: 0
; COMPUTE_PGM_RSRC2:TGID_Z_EN: 0
; COMPUTE_PGM_RSRC2:TIDIG_COMP_CNT: 0
; COMPUTE_PGM_RSRC3_GFX90A:ACCUM_OFFSET: 0
; COMPUTE_PGM_RSRC3_GFX90A:TG_SPLIT: 0
	.section	.text._ZN7rocprim17ROCPRIM_400000_NS6detail17trampoline_kernelINS0_14default_configENS1_35adjacent_difference_config_selectorILb1ElEEZNS1_24adjacent_difference_implIS3_Lb1ELb0EPlS7_ZN2at6native12_GLOBAL__N_124unique_dim_cuda_templateIjEESt5tupleIJNS8_6TensorESD_SD_EERKSD_lbbbEUlllE1_EE10hipError_tPvRmT2_T3_mT4_P12ihipStream_tbEUlT_E_NS1_11comp_targetILNS1_3genE8ELNS1_11target_archE1030ELNS1_3gpuE2ELNS1_3repE0EEENS1_30default_config_static_selectorELNS0_4arch9wavefront6targetE1EEEvT1_,"axG",@progbits,_ZN7rocprim17ROCPRIM_400000_NS6detail17trampoline_kernelINS0_14default_configENS1_35adjacent_difference_config_selectorILb1ElEEZNS1_24adjacent_difference_implIS3_Lb1ELb0EPlS7_ZN2at6native12_GLOBAL__N_124unique_dim_cuda_templateIjEESt5tupleIJNS8_6TensorESD_SD_EERKSD_lbbbEUlllE1_EE10hipError_tPvRmT2_T3_mT4_P12ihipStream_tbEUlT_E_NS1_11comp_targetILNS1_3genE8ELNS1_11target_archE1030ELNS1_3gpuE2ELNS1_3repE0EEENS1_30default_config_static_selectorELNS0_4arch9wavefront6targetE1EEEvT1_,comdat
	.globl	_ZN7rocprim17ROCPRIM_400000_NS6detail17trampoline_kernelINS0_14default_configENS1_35adjacent_difference_config_selectorILb1ElEEZNS1_24adjacent_difference_implIS3_Lb1ELb0EPlS7_ZN2at6native12_GLOBAL__N_124unique_dim_cuda_templateIjEESt5tupleIJNS8_6TensorESD_SD_EERKSD_lbbbEUlllE1_EE10hipError_tPvRmT2_T3_mT4_P12ihipStream_tbEUlT_E_NS1_11comp_targetILNS1_3genE8ELNS1_11target_archE1030ELNS1_3gpuE2ELNS1_3repE0EEENS1_30default_config_static_selectorELNS0_4arch9wavefront6targetE1EEEvT1_ ; -- Begin function _ZN7rocprim17ROCPRIM_400000_NS6detail17trampoline_kernelINS0_14default_configENS1_35adjacent_difference_config_selectorILb1ElEEZNS1_24adjacent_difference_implIS3_Lb1ELb0EPlS7_ZN2at6native12_GLOBAL__N_124unique_dim_cuda_templateIjEESt5tupleIJNS8_6TensorESD_SD_EERKSD_lbbbEUlllE1_EE10hipError_tPvRmT2_T3_mT4_P12ihipStream_tbEUlT_E_NS1_11comp_targetILNS1_3genE8ELNS1_11target_archE1030ELNS1_3gpuE2ELNS1_3repE0EEENS1_30default_config_static_selectorELNS0_4arch9wavefront6targetE1EEEvT1_
	.p2align	8
	.type	_ZN7rocprim17ROCPRIM_400000_NS6detail17trampoline_kernelINS0_14default_configENS1_35adjacent_difference_config_selectorILb1ElEEZNS1_24adjacent_difference_implIS3_Lb1ELb0EPlS7_ZN2at6native12_GLOBAL__N_124unique_dim_cuda_templateIjEESt5tupleIJNS8_6TensorESD_SD_EERKSD_lbbbEUlllE1_EE10hipError_tPvRmT2_T3_mT4_P12ihipStream_tbEUlT_E_NS1_11comp_targetILNS1_3genE8ELNS1_11target_archE1030ELNS1_3gpuE2ELNS1_3repE0EEENS1_30default_config_static_selectorELNS0_4arch9wavefront6targetE1EEEvT1_,@function
_ZN7rocprim17ROCPRIM_400000_NS6detail17trampoline_kernelINS0_14default_configENS1_35adjacent_difference_config_selectorILb1ElEEZNS1_24adjacent_difference_implIS3_Lb1ELb0EPlS7_ZN2at6native12_GLOBAL__N_124unique_dim_cuda_templateIjEESt5tupleIJNS8_6TensorESD_SD_EERKSD_lbbbEUlllE1_EE10hipError_tPvRmT2_T3_mT4_P12ihipStream_tbEUlT_E_NS1_11comp_targetILNS1_3genE8ELNS1_11target_archE1030ELNS1_3gpuE2ELNS1_3repE0EEENS1_30default_config_static_selectorELNS0_4arch9wavefront6targetE1EEEvT1_: ; @_ZN7rocprim17ROCPRIM_400000_NS6detail17trampoline_kernelINS0_14default_configENS1_35adjacent_difference_config_selectorILb1ElEEZNS1_24adjacent_difference_implIS3_Lb1ELb0EPlS7_ZN2at6native12_GLOBAL__N_124unique_dim_cuda_templateIjEESt5tupleIJNS8_6TensorESD_SD_EERKSD_lbbbEUlllE1_EE10hipError_tPvRmT2_T3_mT4_P12ihipStream_tbEUlT_E_NS1_11comp_targetILNS1_3genE8ELNS1_11target_archE1030ELNS1_3gpuE2ELNS1_3repE0EEENS1_30default_config_static_selectorELNS0_4arch9wavefront6targetE1EEEvT1_
; %bb.0:
	.section	.rodata,"a",@progbits
	.p2align	6, 0x0
	.amdhsa_kernel _ZN7rocprim17ROCPRIM_400000_NS6detail17trampoline_kernelINS0_14default_configENS1_35adjacent_difference_config_selectorILb1ElEEZNS1_24adjacent_difference_implIS3_Lb1ELb0EPlS7_ZN2at6native12_GLOBAL__N_124unique_dim_cuda_templateIjEESt5tupleIJNS8_6TensorESD_SD_EERKSD_lbbbEUlllE1_EE10hipError_tPvRmT2_T3_mT4_P12ihipStream_tbEUlT_E_NS1_11comp_targetILNS1_3genE8ELNS1_11target_archE1030ELNS1_3gpuE2ELNS1_3repE0EEENS1_30default_config_static_selectorELNS0_4arch9wavefront6targetE1EEEvT1_
		.amdhsa_group_segment_fixed_size 0
		.amdhsa_private_segment_fixed_size 0
		.amdhsa_kernarg_size 64
		.amdhsa_user_sgpr_count 2
		.amdhsa_user_sgpr_dispatch_ptr 0
		.amdhsa_user_sgpr_queue_ptr 0
		.amdhsa_user_sgpr_kernarg_segment_ptr 1
		.amdhsa_user_sgpr_dispatch_id 0
		.amdhsa_user_sgpr_kernarg_preload_length 0
		.amdhsa_user_sgpr_kernarg_preload_offset 0
		.amdhsa_user_sgpr_private_segment_size 0
		.amdhsa_uses_dynamic_stack 0
		.amdhsa_enable_private_segment 0
		.amdhsa_system_sgpr_workgroup_id_x 1
		.amdhsa_system_sgpr_workgroup_id_y 0
		.amdhsa_system_sgpr_workgroup_id_z 0
		.amdhsa_system_sgpr_workgroup_info 0
		.amdhsa_system_vgpr_workitem_id 0
		.amdhsa_next_free_vgpr 1
		.amdhsa_next_free_sgpr 0
		.amdhsa_accum_offset 4
		.amdhsa_reserve_vcc 0
		.amdhsa_float_round_mode_32 0
		.amdhsa_float_round_mode_16_64 0
		.amdhsa_float_denorm_mode_32 3
		.amdhsa_float_denorm_mode_16_64 3
		.amdhsa_dx10_clamp 1
		.amdhsa_ieee_mode 1
		.amdhsa_fp16_overflow 0
		.amdhsa_tg_split 0
		.amdhsa_exception_fp_ieee_invalid_op 0
		.amdhsa_exception_fp_denorm_src 0
		.amdhsa_exception_fp_ieee_div_zero 0
		.amdhsa_exception_fp_ieee_overflow 0
		.amdhsa_exception_fp_ieee_underflow 0
		.amdhsa_exception_fp_ieee_inexact 0
		.amdhsa_exception_int_div_zero 0
	.end_amdhsa_kernel
	.section	.text._ZN7rocprim17ROCPRIM_400000_NS6detail17trampoline_kernelINS0_14default_configENS1_35adjacent_difference_config_selectorILb1ElEEZNS1_24adjacent_difference_implIS3_Lb1ELb0EPlS7_ZN2at6native12_GLOBAL__N_124unique_dim_cuda_templateIjEESt5tupleIJNS8_6TensorESD_SD_EERKSD_lbbbEUlllE1_EE10hipError_tPvRmT2_T3_mT4_P12ihipStream_tbEUlT_E_NS1_11comp_targetILNS1_3genE8ELNS1_11target_archE1030ELNS1_3gpuE2ELNS1_3repE0EEENS1_30default_config_static_selectorELNS0_4arch9wavefront6targetE1EEEvT1_,"axG",@progbits,_ZN7rocprim17ROCPRIM_400000_NS6detail17trampoline_kernelINS0_14default_configENS1_35adjacent_difference_config_selectorILb1ElEEZNS1_24adjacent_difference_implIS3_Lb1ELb0EPlS7_ZN2at6native12_GLOBAL__N_124unique_dim_cuda_templateIjEESt5tupleIJNS8_6TensorESD_SD_EERKSD_lbbbEUlllE1_EE10hipError_tPvRmT2_T3_mT4_P12ihipStream_tbEUlT_E_NS1_11comp_targetILNS1_3genE8ELNS1_11target_archE1030ELNS1_3gpuE2ELNS1_3repE0EEENS1_30default_config_static_selectorELNS0_4arch9wavefront6targetE1EEEvT1_,comdat
.Lfunc_end1540:
	.size	_ZN7rocprim17ROCPRIM_400000_NS6detail17trampoline_kernelINS0_14default_configENS1_35adjacent_difference_config_selectorILb1ElEEZNS1_24adjacent_difference_implIS3_Lb1ELb0EPlS7_ZN2at6native12_GLOBAL__N_124unique_dim_cuda_templateIjEESt5tupleIJNS8_6TensorESD_SD_EERKSD_lbbbEUlllE1_EE10hipError_tPvRmT2_T3_mT4_P12ihipStream_tbEUlT_E_NS1_11comp_targetILNS1_3genE8ELNS1_11target_archE1030ELNS1_3gpuE2ELNS1_3repE0EEENS1_30default_config_static_selectorELNS0_4arch9wavefront6targetE1EEEvT1_, .Lfunc_end1540-_ZN7rocprim17ROCPRIM_400000_NS6detail17trampoline_kernelINS0_14default_configENS1_35adjacent_difference_config_selectorILb1ElEEZNS1_24adjacent_difference_implIS3_Lb1ELb0EPlS7_ZN2at6native12_GLOBAL__N_124unique_dim_cuda_templateIjEESt5tupleIJNS8_6TensorESD_SD_EERKSD_lbbbEUlllE1_EE10hipError_tPvRmT2_T3_mT4_P12ihipStream_tbEUlT_E_NS1_11comp_targetILNS1_3genE8ELNS1_11target_archE1030ELNS1_3gpuE2ELNS1_3repE0EEENS1_30default_config_static_selectorELNS0_4arch9wavefront6targetE1EEEvT1_
                                        ; -- End function
	.set _ZN7rocprim17ROCPRIM_400000_NS6detail17trampoline_kernelINS0_14default_configENS1_35adjacent_difference_config_selectorILb1ElEEZNS1_24adjacent_difference_implIS3_Lb1ELb0EPlS7_ZN2at6native12_GLOBAL__N_124unique_dim_cuda_templateIjEESt5tupleIJNS8_6TensorESD_SD_EERKSD_lbbbEUlllE1_EE10hipError_tPvRmT2_T3_mT4_P12ihipStream_tbEUlT_E_NS1_11comp_targetILNS1_3genE8ELNS1_11target_archE1030ELNS1_3gpuE2ELNS1_3repE0EEENS1_30default_config_static_selectorELNS0_4arch9wavefront6targetE1EEEvT1_.num_vgpr, 0
	.set _ZN7rocprim17ROCPRIM_400000_NS6detail17trampoline_kernelINS0_14default_configENS1_35adjacent_difference_config_selectorILb1ElEEZNS1_24adjacent_difference_implIS3_Lb1ELb0EPlS7_ZN2at6native12_GLOBAL__N_124unique_dim_cuda_templateIjEESt5tupleIJNS8_6TensorESD_SD_EERKSD_lbbbEUlllE1_EE10hipError_tPvRmT2_T3_mT4_P12ihipStream_tbEUlT_E_NS1_11comp_targetILNS1_3genE8ELNS1_11target_archE1030ELNS1_3gpuE2ELNS1_3repE0EEENS1_30default_config_static_selectorELNS0_4arch9wavefront6targetE1EEEvT1_.num_agpr, 0
	.set _ZN7rocprim17ROCPRIM_400000_NS6detail17trampoline_kernelINS0_14default_configENS1_35adjacent_difference_config_selectorILb1ElEEZNS1_24adjacent_difference_implIS3_Lb1ELb0EPlS7_ZN2at6native12_GLOBAL__N_124unique_dim_cuda_templateIjEESt5tupleIJNS8_6TensorESD_SD_EERKSD_lbbbEUlllE1_EE10hipError_tPvRmT2_T3_mT4_P12ihipStream_tbEUlT_E_NS1_11comp_targetILNS1_3genE8ELNS1_11target_archE1030ELNS1_3gpuE2ELNS1_3repE0EEENS1_30default_config_static_selectorELNS0_4arch9wavefront6targetE1EEEvT1_.numbered_sgpr, 0
	.set _ZN7rocprim17ROCPRIM_400000_NS6detail17trampoline_kernelINS0_14default_configENS1_35adjacent_difference_config_selectorILb1ElEEZNS1_24adjacent_difference_implIS3_Lb1ELb0EPlS7_ZN2at6native12_GLOBAL__N_124unique_dim_cuda_templateIjEESt5tupleIJNS8_6TensorESD_SD_EERKSD_lbbbEUlllE1_EE10hipError_tPvRmT2_T3_mT4_P12ihipStream_tbEUlT_E_NS1_11comp_targetILNS1_3genE8ELNS1_11target_archE1030ELNS1_3gpuE2ELNS1_3repE0EEENS1_30default_config_static_selectorELNS0_4arch9wavefront6targetE1EEEvT1_.num_named_barrier, 0
	.set _ZN7rocprim17ROCPRIM_400000_NS6detail17trampoline_kernelINS0_14default_configENS1_35adjacent_difference_config_selectorILb1ElEEZNS1_24adjacent_difference_implIS3_Lb1ELb0EPlS7_ZN2at6native12_GLOBAL__N_124unique_dim_cuda_templateIjEESt5tupleIJNS8_6TensorESD_SD_EERKSD_lbbbEUlllE1_EE10hipError_tPvRmT2_T3_mT4_P12ihipStream_tbEUlT_E_NS1_11comp_targetILNS1_3genE8ELNS1_11target_archE1030ELNS1_3gpuE2ELNS1_3repE0EEENS1_30default_config_static_selectorELNS0_4arch9wavefront6targetE1EEEvT1_.private_seg_size, 0
	.set _ZN7rocprim17ROCPRIM_400000_NS6detail17trampoline_kernelINS0_14default_configENS1_35adjacent_difference_config_selectorILb1ElEEZNS1_24adjacent_difference_implIS3_Lb1ELb0EPlS7_ZN2at6native12_GLOBAL__N_124unique_dim_cuda_templateIjEESt5tupleIJNS8_6TensorESD_SD_EERKSD_lbbbEUlllE1_EE10hipError_tPvRmT2_T3_mT4_P12ihipStream_tbEUlT_E_NS1_11comp_targetILNS1_3genE8ELNS1_11target_archE1030ELNS1_3gpuE2ELNS1_3repE0EEENS1_30default_config_static_selectorELNS0_4arch9wavefront6targetE1EEEvT1_.uses_vcc, 0
	.set _ZN7rocprim17ROCPRIM_400000_NS6detail17trampoline_kernelINS0_14default_configENS1_35adjacent_difference_config_selectorILb1ElEEZNS1_24adjacent_difference_implIS3_Lb1ELb0EPlS7_ZN2at6native12_GLOBAL__N_124unique_dim_cuda_templateIjEESt5tupleIJNS8_6TensorESD_SD_EERKSD_lbbbEUlllE1_EE10hipError_tPvRmT2_T3_mT4_P12ihipStream_tbEUlT_E_NS1_11comp_targetILNS1_3genE8ELNS1_11target_archE1030ELNS1_3gpuE2ELNS1_3repE0EEENS1_30default_config_static_selectorELNS0_4arch9wavefront6targetE1EEEvT1_.uses_flat_scratch, 0
	.set _ZN7rocprim17ROCPRIM_400000_NS6detail17trampoline_kernelINS0_14default_configENS1_35adjacent_difference_config_selectorILb1ElEEZNS1_24adjacent_difference_implIS3_Lb1ELb0EPlS7_ZN2at6native12_GLOBAL__N_124unique_dim_cuda_templateIjEESt5tupleIJNS8_6TensorESD_SD_EERKSD_lbbbEUlllE1_EE10hipError_tPvRmT2_T3_mT4_P12ihipStream_tbEUlT_E_NS1_11comp_targetILNS1_3genE8ELNS1_11target_archE1030ELNS1_3gpuE2ELNS1_3repE0EEENS1_30default_config_static_selectorELNS0_4arch9wavefront6targetE1EEEvT1_.has_dyn_sized_stack, 0
	.set _ZN7rocprim17ROCPRIM_400000_NS6detail17trampoline_kernelINS0_14default_configENS1_35adjacent_difference_config_selectorILb1ElEEZNS1_24adjacent_difference_implIS3_Lb1ELb0EPlS7_ZN2at6native12_GLOBAL__N_124unique_dim_cuda_templateIjEESt5tupleIJNS8_6TensorESD_SD_EERKSD_lbbbEUlllE1_EE10hipError_tPvRmT2_T3_mT4_P12ihipStream_tbEUlT_E_NS1_11comp_targetILNS1_3genE8ELNS1_11target_archE1030ELNS1_3gpuE2ELNS1_3repE0EEENS1_30default_config_static_selectorELNS0_4arch9wavefront6targetE1EEEvT1_.has_recursion, 0
	.set _ZN7rocprim17ROCPRIM_400000_NS6detail17trampoline_kernelINS0_14default_configENS1_35adjacent_difference_config_selectorILb1ElEEZNS1_24adjacent_difference_implIS3_Lb1ELb0EPlS7_ZN2at6native12_GLOBAL__N_124unique_dim_cuda_templateIjEESt5tupleIJNS8_6TensorESD_SD_EERKSD_lbbbEUlllE1_EE10hipError_tPvRmT2_T3_mT4_P12ihipStream_tbEUlT_E_NS1_11comp_targetILNS1_3genE8ELNS1_11target_archE1030ELNS1_3gpuE2ELNS1_3repE0EEENS1_30default_config_static_selectorELNS0_4arch9wavefront6targetE1EEEvT1_.has_indirect_call, 0
	.section	.AMDGPU.csdata,"",@progbits
; Kernel info:
; codeLenInByte = 0
; TotalNumSgprs: 6
; NumVgprs: 0
; NumAgprs: 0
; TotalNumVgprs: 0
; ScratchSize: 0
; MemoryBound: 0
; FloatMode: 240
; IeeeMode: 1
; LDSByteSize: 0 bytes/workgroup (compile time only)
; SGPRBlocks: 0
; VGPRBlocks: 0
; NumSGPRsForWavesPerEU: 6
; NumVGPRsForWavesPerEU: 1
; AccumOffset: 4
; Occupancy: 8
; WaveLimiterHint : 0
; COMPUTE_PGM_RSRC2:SCRATCH_EN: 0
; COMPUTE_PGM_RSRC2:USER_SGPR: 2
; COMPUTE_PGM_RSRC2:TRAP_HANDLER: 0
; COMPUTE_PGM_RSRC2:TGID_X_EN: 1
; COMPUTE_PGM_RSRC2:TGID_Y_EN: 0
; COMPUTE_PGM_RSRC2:TGID_Z_EN: 0
; COMPUTE_PGM_RSRC2:TIDIG_COMP_CNT: 0
; COMPUTE_PGM_RSRC3_GFX90A:ACCUM_OFFSET: 0
; COMPUTE_PGM_RSRC3_GFX90A:TG_SPLIT: 0
	.section	.text._ZN7rocprim17ROCPRIM_400000_NS6detail17trampoline_kernelINS0_14default_configENS1_25partition_config_selectorILNS1_17partition_subalgoE8ElNS0_10empty_typeEbEEZZNS1_14partition_implILS5_8ELb0ES3_jPlPS6_PKS6_NS0_5tupleIJS9_S6_EEENSD_IJSA_SA_EEENS0_18inequality_wrapperIZN2at6native12_GLOBAL__N_124unique_dim_cuda_templateIjEESt5tupleIJNSH_6TensorESM_SM_EERKSM_lbbbEUlllE0_EEPmJS6_EEE10hipError_tPvRmT3_T4_T5_T6_T7_T9_mT8_P12ihipStream_tbDpT10_ENKUlT_T0_E_clISt17integral_constantIbLb0EES1C_EEDaS17_S18_EUlS17_E_NS1_11comp_targetILNS1_3genE0ELNS1_11target_archE4294967295ELNS1_3gpuE0ELNS1_3repE0EEENS1_30default_config_static_selectorELNS0_4arch9wavefront6targetE1EEEvT1_,"axG",@progbits,_ZN7rocprim17ROCPRIM_400000_NS6detail17trampoline_kernelINS0_14default_configENS1_25partition_config_selectorILNS1_17partition_subalgoE8ElNS0_10empty_typeEbEEZZNS1_14partition_implILS5_8ELb0ES3_jPlPS6_PKS6_NS0_5tupleIJS9_S6_EEENSD_IJSA_SA_EEENS0_18inequality_wrapperIZN2at6native12_GLOBAL__N_124unique_dim_cuda_templateIjEESt5tupleIJNSH_6TensorESM_SM_EERKSM_lbbbEUlllE0_EEPmJS6_EEE10hipError_tPvRmT3_T4_T5_T6_T7_T9_mT8_P12ihipStream_tbDpT10_ENKUlT_T0_E_clISt17integral_constantIbLb0EES1C_EEDaS17_S18_EUlS17_E_NS1_11comp_targetILNS1_3genE0ELNS1_11target_archE4294967295ELNS1_3gpuE0ELNS1_3repE0EEENS1_30default_config_static_selectorELNS0_4arch9wavefront6targetE1EEEvT1_,comdat
	.globl	_ZN7rocprim17ROCPRIM_400000_NS6detail17trampoline_kernelINS0_14default_configENS1_25partition_config_selectorILNS1_17partition_subalgoE8ElNS0_10empty_typeEbEEZZNS1_14partition_implILS5_8ELb0ES3_jPlPS6_PKS6_NS0_5tupleIJS9_S6_EEENSD_IJSA_SA_EEENS0_18inequality_wrapperIZN2at6native12_GLOBAL__N_124unique_dim_cuda_templateIjEESt5tupleIJNSH_6TensorESM_SM_EERKSM_lbbbEUlllE0_EEPmJS6_EEE10hipError_tPvRmT3_T4_T5_T6_T7_T9_mT8_P12ihipStream_tbDpT10_ENKUlT_T0_E_clISt17integral_constantIbLb0EES1C_EEDaS17_S18_EUlS17_E_NS1_11comp_targetILNS1_3genE0ELNS1_11target_archE4294967295ELNS1_3gpuE0ELNS1_3repE0EEENS1_30default_config_static_selectorELNS0_4arch9wavefront6targetE1EEEvT1_ ; -- Begin function _ZN7rocprim17ROCPRIM_400000_NS6detail17trampoline_kernelINS0_14default_configENS1_25partition_config_selectorILNS1_17partition_subalgoE8ElNS0_10empty_typeEbEEZZNS1_14partition_implILS5_8ELb0ES3_jPlPS6_PKS6_NS0_5tupleIJS9_S6_EEENSD_IJSA_SA_EEENS0_18inequality_wrapperIZN2at6native12_GLOBAL__N_124unique_dim_cuda_templateIjEESt5tupleIJNSH_6TensorESM_SM_EERKSM_lbbbEUlllE0_EEPmJS6_EEE10hipError_tPvRmT3_T4_T5_T6_T7_T9_mT8_P12ihipStream_tbDpT10_ENKUlT_T0_E_clISt17integral_constantIbLb0EES1C_EEDaS17_S18_EUlS17_E_NS1_11comp_targetILNS1_3genE0ELNS1_11target_archE4294967295ELNS1_3gpuE0ELNS1_3repE0EEENS1_30default_config_static_selectorELNS0_4arch9wavefront6targetE1EEEvT1_
	.p2align	8
	.type	_ZN7rocprim17ROCPRIM_400000_NS6detail17trampoline_kernelINS0_14default_configENS1_25partition_config_selectorILNS1_17partition_subalgoE8ElNS0_10empty_typeEbEEZZNS1_14partition_implILS5_8ELb0ES3_jPlPS6_PKS6_NS0_5tupleIJS9_S6_EEENSD_IJSA_SA_EEENS0_18inequality_wrapperIZN2at6native12_GLOBAL__N_124unique_dim_cuda_templateIjEESt5tupleIJNSH_6TensorESM_SM_EERKSM_lbbbEUlllE0_EEPmJS6_EEE10hipError_tPvRmT3_T4_T5_T6_T7_T9_mT8_P12ihipStream_tbDpT10_ENKUlT_T0_E_clISt17integral_constantIbLb0EES1C_EEDaS17_S18_EUlS17_E_NS1_11comp_targetILNS1_3genE0ELNS1_11target_archE4294967295ELNS1_3gpuE0ELNS1_3repE0EEENS1_30default_config_static_selectorELNS0_4arch9wavefront6targetE1EEEvT1_,@function
_ZN7rocprim17ROCPRIM_400000_NS6detail17trampoline_kernelINS0_14default_configENS1_25partition_config_selectorILNS1_17partition_subalgoE8ElNS0_10empty_typeEbEEZZNS1_14partition_implILS5_8ELb0ES3_jPlPS6_PKS6_NS0_5tupleIJS9_S6_EEENSD_IJSA_SA_EEENS0_18inequality_wrapperIZN2at6native12_GLOBAL__N_124unique_dim_cuda_templateIjEESt5tupleIJNSH_6TensorESM_SM_EERKSM_lbbbEUlllE0_EEPmJS6_EEE10hipError_tPvRmT3_T4_T5_T6_T7_T9_mT8_P12ihipStream_tbDpT10_ENKUlT_T0_E_clISt17integral_constantIbLb0EES1C_EEDaS17_S18_EUlS17_E_NS1_11comp_targetILNS1_3genE0ELNS1_11target_archE4294967295ELNS1_3gpuE0ELNS1_3repE0EEENS1_30default_config_static_selectorELNS0_4arch9wavefront6targetE1EEEvT1_: ; @_ZN7rocprim17ROCPRIM_400000_NS6detail17trampoline_kernelINS0_14default_configENS1_25partition_config_selectorILNS1_17partition_subalgoE8ElNS0_10empty_typeEbEEZZNS1_14partition_implILS5_8ELb0ES3_jPlPS6_PKS6_NS0_5tupleIJS9_S6_EEENSD_IJSA_SA_EEENS0_18inequality_wrapperIZN2at6native12_GLOBAL__N_124unique_dim_cuda_templateIjEESt5tupleIJNSH_6TensorESM_SM_EERKSM_lbbbEUlllE0_EEPmJS6_EEE10hipError_tPvRmT3_T4_T5_T6_T7_T9_mT8_P12ihipStream_tbDpT10_ENKUlT_T0_E_clISt17integral_constantIbLb0EES1C_EEDaS17_S18_EUlS17_E_NS1_11comp_targetILNS1_3genE0ELNS1_11target_archE4294967295ELNS1_3gpuE0ELNS1_3repE0EEENS1_30default_config_static_selectorELNS0_4arch9wavefront6targetE1EEEvT1_
; %bb.0:
	s_load_dwordx4 s[4:7], s[0:1], 0x8
	s_load_dwordx8 s[24:31], s[0:1], 0x40
	s_load_dwordx4 s[20:23], s[0:1], 0x60
	s_load_dword s3, s[0:1], 0x70
	v_lshlrev_b32_e32 v18, 3, v0
	s_waitcnt lgkmcnt(0)
	s_lshl_b64 s[8:9], s[6:7], 3
	s_add_u32 s12, s4, s8
	s_addc_u32 s13, s5, s9
	s_mul_i32 s8, s3, 0xe00
	s_add_i32 s10, s3, -1
	s_add_i32 s3, s8, s6
	s_sub_i32 s3, s28, s3
	s_add_u32 s8, s6, s8
	s_addc_u32 s9, s7, 0
	v_mov_b64_e32 v[2:3], s[8:9]
	s_cmp_eq_u32 s2, s10
	s_load_dwordx2 s[26:27], s[26:27], 0x0
	v_cmp_le_u64_e32 vcc, s[28:29], v[2:3]
	s_cselect_b64 s[28:29], -1, 0
	s_mul_i32 s4, s2, 0xe00
	s_mov_b32 s5, 0
	s_and_b64 s[8:9], s[28:29], vcc
	s_xor_b64 s[34:35], s[8:9], -1
	s_lshl_b64 s[4:5], s[4:5], 3
	s_add_u32 s4, s12, s4
	s_mov_b64 s[10:11], -1
	s_addc_u32 s5, s13, s5
	s_and_b64 vcc, exec, s[34:35]
	s_cbranch_vccz .LBB1541_2
; %bb.1:
	v_lshlrev_b32_e32 v2, 3, v0
	v_mov_b32_e32 v3, 0
	v_lshl_add_u64 v[4:5], s[4:5], 0, v[2:3]
	v_add_co_u32_e32 v8, vcc, 0x1000, v4
	global_load_dwordx2 v[6:7], v2, s[4:5]
	s_nop 0
	v_addc_co_u32_e32 v9, vcc, 0, v5, vcc
	v_add_co_u32_e32 v10, vcc, 0x2000, v4
	s_mov_b64 s[10:11], 0
	s_nop 0
	v_addc_co_u32_e32 v11, vcc, 0, v5, vcc
	v_add_co_u32_e32 v12, vcc, 0x3000, v4
	s_nop 1
	v_addc_co_u32_e32 v13, vcc, 0, v5, vcc
	v_add_co_u32_e32 v14, vcc, 0x4000, v4
	s_nop 1
	v_addc_co_u32_e32 v15, vcc, 0, v5, vcc
	global_load_dwordx2 v[16:17], v[8:9], off
	global_load_dwordx2 v[20:21], v[10:11], off
	;; [unrolled: 1-line block ×4, first 2 shown]
	v_add_co_u32_e32 v8, vcc, 0x5000, v4
	s_nop 1
	v_addc_co_u32_e32 v9, vcc, 0, v5, vcc
	v_add_co_u32_e32 v4, vcc, 0x6000, v4
	s_nop 1
	v_addc_co_u32_e32 v5, vcc, 0, v5, vcc
	global_load_dwordx2 v[10:11], v[8:9], off
	global_load_dwordx2 v[12:13], v[4:5], off
	s_waitcnt vmcnt(5)
	ds_write2st64_b64 v2, v[6:7], v[16:17] offset1:8
	s_waitcnt vmcnt(3)
	ds_write2st64_b64 v2, v[20:21], v[22:23] offset0:16 offset1:24
	s_waitcnt vmcnt(1)
	ds_write2st64_b64 v2, v[24:25], v[10:11] offset0:32 offset1:40
	s_waitcnt vmcnt(0)
	ds_write_b64 v2, v[12:13] offset:24576
	s_waitcnt lgkmcnt(0)
	s_barrier
.LBB1541_2:
	s_andn2_b64 vcc, exec, s[10:11]
	s_addk_i32 s3, 0xe00
	s_cbranch_vccnz .LBB1541_18
; %bb.3:
	v_mov_b32_e32 v2, 0
	v_cmp_gt_u32_e32 vcc, s3, v0
	v_mov_b32_e32 v3, v2
	v_mov_b32_e32 v4, v2
	;; [unrolled: 1-line block ×13, first 2 shown]
	s_and_saveexec_b64 s[10:11], vcc
	s_cbranch_execz .LBB1541_5
; %bb.4:
	v_lshlrev_b32_e32 v1, 3, v0
	global_load_dwordx2 v[4:5], v1, s[4:5]
	v_mov_b32_e32 v6, v2
	v_mov_b32_e32 v7, v2
	;; [unrolled: 1-line block ×12, first 2 shown]
	s_waitcnt vmcnt(0)
	v_mov_b64_e32 v[2:3], v[4:5]
	v_mov_b64_e32 v[4:5], v[6:7]
	;; [unrolled: 1-line block ×8, first 2 shown]
.LBB1541_5:
	s_or_b64 exec, exec, s[10:11]
	v_or_b32_e32 v1, 0x200, v0
	v_cmp_gt_u32_e32 vcc, s3, v1
	s_and_saveexec_b64 s[10:11], vcc
	s_cbranch_execz .LBB1541_7
; %bb.6:
	v_lshlrev_b32_e32 v1, 3, v1
	global_load_dwordx2 v[4:5], v1, s[4:5]
.LBB1541_7:
	s_or_b64 exec, exec, s[10:11]
	v_or_b32_e32 v1, 0x400, v0
	v_cmp_gt_u32_e32 vcc, s3, v1
	s_and_saveexec_b64 s[10:11], vcc
	s_cbranch_execz .LBB1541_9
; %bb.8:
	v_lshlrev_b32_e32 v1, 3, v1
	global_load_dwordx2 v[6:7], v1, s[4:5]
.LBB1541_9:
	;; [unrolled: 9-line block ×6, first 2 shown]
	s_or_b64 exec, exec, s[10:11]
	v_lshlrev_b32_e32 v1, 3, v0
	s_waitcnt vmcnt(0)
	ds_write2st64_b64 v1, v[2:3], v[4:5] offset1:8
	ds_write2st64_b64 v1, v[6:7], v[8:9] offset0:16 offset1:24
	ds_write2st64_b64 v1, v[10:11], v[12:13] offset0:32 offset1:40
	ds_write_b64 v1, v[14:15] offset:24576
	s_waitcnt lgkmcnt(0)
	s_barrier
.LBB1541_18:
	v_mul_u32_u24_e32 v1, 7, v0
	v_lshlrev_b32_e32 v24, 3, v1
	s_waitcnt lgkmcnt(0)
	ds_read2_b64 v[10:13], v24 offset1:1
	ds_read2_b64 v[6:9], v24 offset0:2 offset1:3
	ds_read2_b64 v[2:5], v24 offset0:4 offset1:5
	ds_read_b64 v[14:15], v24 offset:48
	s_cmp_lg_u32 s2, 0
	s_cselect_b64 s[16:17], -1, 0
	s_cmp_lg_u64 s[6:7], 0
	s_cselect_b64 s[6:7], -1, 0
	s_or_b64 s[6:7], s[16:17], s[6:7]
	s_mov_b64 s[10:11], 0
	s_and_b64 vcc, exec, s[6:7]
	v_cmp_gt_i64_e64 s[12:13], s[30:31], 0
	s_waitcnt lgkmcnt(0)
	s_barrier
	s_cbranch_vccz .LBB1541_34
; %bb.19:
	s_add_u32 s4, s4, -8
	s_addc_u32 s5, s5, -1
	s_load_dwordx2 s[10:11], s[4:5], 0x0
	v_cndmask_b32_e64 v16, 0, 1, s[12:13]
	v_lshlrev_b32_e32 v25, 3, v0
	s_mov_b64 s[6:7], 0
	s_and_b64 vcc, exec, s[34:35]
	v_cmp_ne_u32_e64 s[4:5], 1, v16
	ds_write_b64 v25, v[14:15]
	s_cbranch_vccz .LBB1541_36
; %bb.20:
	s_and_b64 vcc, exec, s[4:5]
	s_cbranch_vccnz .LBB1541_37
; %bb.21:
	v_mul_lo_u32 v19, v5, s30
	v_mul_lo_u32 v20, v4, s31
	v_mad_u64_u32 v[16:17], s[6:7], v4, s30, 0
	v_add3_u32 v17, v17, v20, v19
	v_mul_lo_u32 v19, v15, s30
	v_mul_lo_u32 v22, v14, s31
	v_mad_u64_u32 v[20:21], s[6:7], v14, s30, 0
	s_add_u32 s14, s30, -1
	v_lshl_add_u64 v[16:17], v[16:17], 2, s[20:21]
	v_add3_u32 v21, v21, v22, v19
	s_addc_u32 s15, s31, -1
	v_lshl_add_u64 v[20:21], v[20:21], 2, s[20:21]
	s_mov_b64 s[18:19], 0
	s_mov_b64 s[36:37], s[14:15]
	v_mov_b64_e32 v[22:23], v[16:17]
                                        ; implicit-def: $sgpr12_sgpr13
.LBB1541_22:                            ; =>This Inner Loop Header: Depth=1
	global_load_dword v19, v[22:23], off
	global_load_dword v26, v[20:21], off
	s_add_u32 s6, s36, -1
	s_addc_u32 s7, s37, -1
	s_cmp_eq_u64 s[36:37], 0
	s_mov_b64 s[36:37], s[6:7]
	s_cselect_b64 s[38:39], -1, 0
	v_lshl_add_u64 v[22:23], v[22:23], 0, 4
	v_lshl_add_u64 v[20:21], v[20:21], 0, 4
	s_waitcnt vmcnt(0)
	v_cmp_ne_u32_e64 s[6:7], v19, v26
	s_or_b64 s[6:7], s[6:7], s[38:39]
	s_and_b64 s[6:7], exec, s[6:7]
	v_cmp_eq_u32_e32 vcc, v19, v26
	s_or_b64 s[18:19], s[6:7], s[18:19]
	s_andn2_b64 s[6:7], s[12:13], exec
	s_and_b64 s[12:13], vcc, exec
	s_or_b64 s[12:13], s[6:7], s[12:13]
	s_andn2_b64 exec, exec, s[18:19]
	s_cbranch_execnz .LBB1541_22
; %bb.23:
	s_or_b64 exec, exec, s[18:19]
	v_mul_lo_u32 v19, v3, s30
	v_mul_lo_u32 v22, v2, s31
	v_mad_u64_u32 v[20:21], s[6:7], v2, s30, 0
	v_add3_u32 v21, v21, v22, v19
	v_lshl_add_u64 v[20:21], v[20:21], 2, s[20:21]
	s_mov_b64 s[36:37], 0
	s_mov_b64 s[38:39], s[14:15]
	v_mov_b64_e32 v[22:23], v[20:21]
                                        ; implicit-def: $sgpr18_sgpr19
.LBB1541_24:                            ; =>This Inner Loop Header: Depth=1
	global_load_dword v19, v[22:23], off
	global_load_dword v26, v[16:17], off
	s_add_u32 s6, s38, -1
	s_addc_u32 s7, s39, -1
	s_cmp_eq_u64 s[38:39], 0
	s_mov_b64 s[38:39], s[6:7]
	s_cselect_b64 s[40:41], -1, 0
	v_lshl_add_u64 v[22:23], v[22:23], 0, 4
	v_lshl_add_u64 v[16:17], v[16:17], 0, 4
	s_waitcnt vmcnt(0)
	v_cmp_ne_u32_e64 s[6:7], v19, v26
	s_or_b64 s[6:7], s[6:7], s[40:41]
	s_and_b64 s[6:7], exec, s[6:7]
	v_cmp_eq_u32_e32 vcc, v19, v26
	s_or_b64 s[36:37], s[6:7], s[36:37]
	s_andn2_b64 s[6:7], s[18:19], exec
	s_and_b64 s[18:19], vcc, exec
	s_or_b64 s[18:19], s[6:7], s[18:19]
	s_andn2_b64 exec, exec, s[36:37]
	s_cbranch_execnz .LBB1541_24
; %bb.25:
	s_or_b64 exec, exec, s[36:37]
	v_mul_lo_u32 v19, v9, s30
	v_mul_lo_u32 v22, v8, s31
	v_mad_u64_u32 v[16:17], s[6:7], v8, s30, 0
	v_add3_u32 v17, v17, v22, v19
	v_lshl_add_u64 v[16:17], v[16:17], 2, s[20:21]
	s_mov_b64 s[38:39], 0
	s_mov_b64 s[40:41], s[14:15]
	v_mov_b64_e32 v[22:23], v[16:17]
                                        ; implicit-def: $sgpr36_sgpr37
.LBB1541_26:                            ; =>This Inner Loop Header: Depth=1
	global_load_dword v19, v[22:23], off
	global_load_dword v26, v[20:21], off
	s_add_u32 s6, s40, -1
	s_addc_u32 s7, s41, -1
	s_cmp_eq_u64 s[40:41], 0
	s_mov_b64 s[40:41], s[6:7]
	s_cselect_b64 s[42:43], -1, 0
	v_lshl_add_u64 v[22:23], v[22:23], 0, 4
	v_lshl_add_u64 v[20:21], v[20:21], 0, 4
	s_waitcnt vmcnt(0)
	v_cmp_ne_u32_e64 s[6:7], v19, v26
	s_or_b64 s[6:7], s[6:7], s[42:43]
	s_and_b64 s[6:7], exec, s[6:7]
	v_cmp_eq_u32_e32 vcc, v19, v26
	s_or_b64 s[38:39], s[6:7], s[38:39]
	s_andn2_b64 s[6:7], s[36:37], exec
	s_and_b64 s[36:37], vcc, exec
	s_or_b64 s[36:37], s[6:7], s[36:37]
	s_andn2_b64 exec, exec, s[38:39]
	s_cbranch_execnz .LBB1541_26
; %bb.27:
	s_or_b64 exec, exec, s[38:39]
	v_mul_lo_u32 v19, v7, s30
	v_mul_lo_u32 v22, v6, s31
	v_mad_u64_u32 v[20:21], s[6:7], v6, s30, 0
	v_add3_u32 v21, v21, v22, v19
	v_lshl_add_u64 v[20:21], v[20:21], 2, s[20:21]
	s_mov_b64 s[40:41], 0
	s_mov_b64 s[42:43], s[14:15]
	v_mov_b64_e32 v[22:23], v[20:21]
                                        ; implicit-def: $sgpr38_sgpr39
.LBB1541_28:                            ; =>This Inner Loop Header: Depth=1
	global_load_dword v19, v[22:23], off
	global_load_dword v26, v[16:17], off
	s_add_u32 s6, s42, -1
	s_addc_u32 s7, s43, -1
	s_cmp_eq_u64 s[42:43], 0
	s_mov_b64 s[42:43], s[6:7]
	s_cselect_b64 s[44:45], -1, 0
	v_lshl_add_u64 v[22:23], v[22:23], 0, 4
	v_lshl_add_u64 v[16:17], v[16:17], 0, 4
	s_waitcnt vmcnt(0)
	v_cmp_ne_u32_e64 s[6:7], v19, v26
	s_or_b64 s[6:7], s[6:7], s[44:45]
	s_and_b64 s[6:7], exec, s[6:7]
	v_cmp_eq_u32_e32 vcc, v19, v26
	s_or_b64 s[40:41], s[6:7], s[40:41]
	s_andn2_b64 s[6:7], s[38:39], exec
	s_and_b64 s[38:39], vcc, exec
	s_or_b64 s[38:39], s[6:7], s[38:39]
	s_andn2_b64 exec, exec, s[40:41]
	s_cbranch_execnz .LBB1541_28
; %bb.29:
	s_or_b64 exec, exec, s[40:41]
	v_mul_lo_u32 v19, v13, s30
	v_mul_lo_u32 v22, v12, s31
	v_mad_u64_u32 v[16:17], s[6:7], v12, s30, 0
	v_add3_u32 v17, v17, v22, v19
	v_lshl_add_u64 v[16:17], v[16:17], 2, s[20:21]
	s_mov_b64 s[42:43], 0
	s_mov_b64 s[44:45], s[14:15]
	v_mov_b64_e32 v[22:23], v[16:17]
                                        ; implicit-def: $sgpr40_sgpr41
.LBB1541_30:                            ; =>This Inner Loop Header: Depth=1
	global_load_dword v19, v[22:23], off
	global_load_dword v26, v[20:21], off
	s_add_u32 s6, s44, -1
	s_addc_u32 s7, s45, -1
	s_cmp_eq_u64 s[44:45], 0
	s_mov_b64 s[44:45], s[6:7]
	s_cselect_b64 s[46:47], -1, 0
	v_lshl_add_u64 v[22:23], v[22:23], 0, 4
	v_lshl_add_u64 v[20:21], v[20:21], 0, 4
	s_waitcnt vmcnt(0)
	v_cmp_ne_u32_e64 s[6:7], v19, v26
	s_or_b64 s[6:7], s[6:7], s[46:47]
	s_and_b64 s[6:7], exec, s[6:7]
	v_cmp_eq_u32_e32 vcc, v19, v26
	s_or_b64 s[42:43], s[6:7], s[42:43]
	s_andn2_b64 s[6:7], s[40:41], exec
	s_and_b64 s[40:41], vcc, exec
	s_or_b64 s[40:41], s[6:7], s[40:41]
	s_andn2_b64 exec, exec, s[42:43]
	s_cbranch_execnz .LBB1541_30
; %bb.31:
	s_or_b64 exec, exec, s[42:43]
	v_mul_lo_u32 v19, v11, s30
	v_mul_lo_u32 v22, v10, s31
	v_mad_u64_u32 v[20:21], s[6:7], v10, s30, 0
	v_add3_u32 v21, v21, v22, v19
	v_lshl_add_u64 v[20:21], v[20:21], 2, s[20:21]
	s_mov_b64 s[44:45], 0
                                        ; implicit-def: $sgpr42_sgpr43
.LBB1541_32:                            ; =>This Inner Loop Header: Depth=1
	global_load_dword v19, v[20:21], off
	global_load_dword v22, v[16:17], off
	s_add_u32 s6, s14, -1
	s_addc_u32 s7, s15, -1
	s_cmp_eq_u64 s[14:15], 0
	s_mov_b64 s[14:15], s[6:7]
	s_cselect_b64 s[46:47], -1, 0
	v_lshl_add_u64 v[20:21], v[20:21], 0, 4
	v_lshl_add_u64 v[16:17], v[16:17], 0, 4
	s_waitcnt vmcnt(0)
	v_cmp_ne_u32_e64 s[6:7], v19, v22
	s_or_b64 s[6:7], s[6:7], s[46:47]
	s_and_b64 s[6:7], exec, s[6:7]
	v_cmp_eq_u32_e32 vcc, v19, v22
	s_or_b64 s[44:45], s[6:7], s[44:45]
	s_andn2_b64 s[6:7], s[42:43], exec
	s_and_b64 s[42:43], vcc, exec
	s_or_b64 s[42:43], s[6:7], s[42:43]
	s_andn2_b64 exec, exec, s[44:45]
	s_cbranch_execnz .LBB1541_32
; %bb.33:
	s_or_b64 exec, exec, s[44:45]
	s_xor_b64 s[6:7], s[18:19], -1
	v_cndmask_b32_e64 v40, 0, 1, s[6:7]
	s_xor_b64 s[6:7], s[38:39], -1
	v_cndmask_b32_e64 v16, 0, 1, s[6:7]
	v_lshlrev_b16_e32 v16, 8, v16
	s_xor_b64 s[6:7], s[12:13], -1
	v_lshrrev_b32_e32 v16, 8, v16
	v_mov_b32_e32 v20, 1
	s_xor_b64 s[12:13], s[40:41], -1
	v_cndmask_b32_e64 v19, 0, 1, s[6:7]
	s_xor_b64 s[6:7], s[36:37], -1
	v_and_b32_sdwa v16, v16, v20 dst_sel:BYTE_1 dst_unused:UNUSED_PAD src0_sel:DWORD src1_sel:DWORD
	v_cndmask_b32_e64 v20, 0, 1, s[12:13]
	v_cndmask_b32_e64 v17, 0, 1, s[6:7]
	s_xor_b64 s[6:7], s[42:43], -1
	v_or_b32_sdwa v22, v20, v16 dst_sel:WORD_1 dst_unused:UNUSED_PAD src0_sel:DWORD src1_sel:DWORD
	s_branch .LBB1541_38
.LBB1541_34:
                                        ; implicit-def: $sgpr6_sgpr7
                                        ; implicit-def: $vgpr19
                                        ; implicit-def: $vgpr40
                                        ; implicit-def: $vgpr17
                                        ; implicit-def: $vgpr21
	s_branch .LBB1541_91
.LBB1541_35:
                                        ; implicit-def: $vgpr42
                                        ; implicit-def: $vgpr41
                                        ; implicit-def: $vgpr20
	s_branch .LBB1541_160
.LBB1541_36:
                                        ; implicit-def: $sgpr6_sgpr7
                                        ; implicit-def: $vgpr19
                                        ; implicit-def: $vgpr40
                                        ; implicit-def: $vgpr17
                                        ; implicit-def: $vgpr21
	s_cbranch_execnz .LBB1541_45
	s_branch .LBB1541_90
.LBB1541_37:
	v_mov_b32_e32 v22, 0
	v_mov_b32_e32 v19, 0
	;; [unrolled: 1-line block ×4, first 2 shown]
.LBB1541_38:
	v_cmp_ne_u32_e32 vcc, 0, v0
	s_waitcnt lgkmcnt(0)
	v_mov_b64_e32 v[20:21], s[10:11]
	s_barrier
	s_and_saveexec_b64 s[12:13], vcc
; %bb.39:
	v_add_u32_e32 v16, -8, v25
	ds_read_b64 v[20:21], v16
; %bb.40:
	s_or_b64 exec, exec, s[12:13]
	v_cndmask_b32_e64 v23, 0, 1, s[6:7]
	v_lshrrev_b32_e32 v16, 16, v22
	s_mov_b32 s6, 0xc0c0304
	v_perm_b32 v16, v16, v22, s6
	v_lshlrev_b16_e32 v23, 8, v23
	s_movk_i32 s6, 0xff
	v_bitop3_b16 v22, v22, v23, s6 bitop3:0xec
	v_and_b32_e32 v26, 0xffff, v22
	s_mov_b64 s[12:13], 0
	s_and_b64 vcc, exec, s[4:5]
	s_mov_b64 s[6:7], 0
	s_cbranch_vccnz .LBB1541_44
; %bb.41:
	s_waitcnt lgkmcnt(0)
	v_mul_lo_u32 v22, v21, s30
	v_mul_lo_u32 v23, v20, s31
	v_mad_u64_u32 v[20:21], s[6:7], v20, s30, 0
	v_add3_u32 v21, v21, v23, v22
	v_mul_lo_u32 v27, v11, s30
	v_mul_lo_u32 v28, v10, s31
	v_mad_u64_u32 v[22:23], s[6:7], v10, s30, 0
	v_add3_u32 v23, v23, v28, v27
	s_add_u32 s36, s30, -1
	v_lshl_add_u64 v[20:21], v[20:21], 2, s[20:21]
	v_lshl_add_u64 v[22:23], v[22:23], 2, s[20:21]
	s_addc_u32 s37, s31, -1
	s_mov_b64 s[14:15], 0
                                        ; implicit-def: $sgpr18_sgpr19
.LBB1541_42:                            ; =>This Inner Loop Header: Depth=1
	global_load_dword v27, v[20:21], off
	global_load_dword v28, v[22:23], off
	s_add_u32 s6, s36, -1
	s_addc_u32 s7, s37, -1
	s_cmp_eq_u64 s[36:37], 0
	s_mov_b64 s[36:37], s[6:7]
	s_cselect_b64 s[38:39], -1, 0
	v_lshl_add_u64 v[20:21], v[20:21], 0, 4
	v_lshl_add_u64 v[22:23], v[22:23], 0, 4
	s_waitcnt vmcnt(0)
	v_cmp_ne_u32_e64 s[6:7], v27, v28
	s_or_b64 s[6:7], s[6:7], s[38:39]
	s_and_b64 s[6:7], exec, s[6:7]
	v_cmp_eq_u32_e32 vcc, v27, v28
	s_or_b64 s[14:15], s[6:7], s[14:15]
	s_andn2_b64 s[6:7], s[18:19], exec
	s_and_b64 s[18:19], vcc, exec
	s_or_b64 s[18:19], s[6:7], s[18:19]
	s_andn2_b64 exec, exec, s[14:15]
	s_cbranch_execnz .LBB1541_42
; %bb.43:
	s_or_b64 exec, exec, s[14:15]
	s_xor_b64 s[6:7], s[18:19], -1
.LBB1541_44:
	s_waitcnt lgkmcnt(0)
	v_lshl_or_b32 v21, v16, 16, v26
	s_and_b64 vcc, exec, s[12:13]
	s_cbranch_vccz .LBB1541_90
.LBB1541_45:
	v_add_u32_e32 v16, 6, v1
	v_cmp_gt_u32_e32 vcc, s3, v16
	s_mov_b64 s[14:15], 0
	s_mov_b64 s[12:13], 0
	s_and_saveexec_b64 s[18:19], vcc
	s_cbranch_execz .LBB1541_51
; %bb.46:
	s_and_b64 vcc, exec, s[4:5]
	s_mov_b64 s[6:7], 0
	s_cbranch_vccnz .LBB1541_50
; %bb.47:
	v_mul_lo_u32 v19, v5, s30
	v_mul_lo_u32 v20, v4, s31
	v_mad_u64_u32 v[16:17], s[6:7], v4, s30, 0
	v_add3_u32 v17, v17, v20, v19
	v_mul_lo_u32 v19, v15, s30
	v_mul_lo_u32 v22, v14, s31
	v_mad_u64_u32 v[20:21], s[6:7], v14, s30, 0
	v_add3_u32 v21, v21, v22, v19
	s_add_u32 s38, s30, -1
	v_lshl_add_u64 v[16:17], v[16:17], 2, s[20:21]
	v_lshl_add_u64 v[20:21], v[20:21], 2, s[20:21]
	s_addc_u32 s39, s31, -1
                                        ; implicit-def: $sgpr36_sgpr37
.LBB1541_48:                            ; =>This Inner Loop Header: Depth=1
	global_load_dword v19, v[16:17], off
	global_load_dword v22, v[20:21], off
	s_add_u32 s6, s38, -1
	s_addc_u32 s7, s39, -1
	s_cmp_eq_u64 s[38:39], 0
	s_mov_b64 s[38:39], s[6:7]
	s_cselect_b64 s[40:41], -1, 0
	v_lshl_add_u64 v[16:17], v[16:17], 0, 4
	v_lshl_add_u64 v[20:21], v[20:21], 0, 4
	s_waitcnt vmcnt(0)
	v_cmp_ne_u32_e64 s[6:7], v19, v22
	s_or_b64 s[6:7], s[6:7], s[40:41]
	s_and_b64 s[6:7], exec, s[6:7]
	v_cmp_eq_u32_e32 vcc, v19, v22
	s_or_b64 s[12:13], s[6:7], s[12:13]
	s_andn2_b64 s[6:7], s[36:37], exec
	s_and_b64 s[36:37], vcc, exec
	s_or_b64 s[36:37], s[6:7], s[36:37]
	s_andn2_b64 exec, exec, s[12:13]
	s_cbranch_execnz .LBB1541_48
; %bb.49:
	s_or_b64 exec, exec, s[12:13]
	s_xor_b64 s[6:7], s[36:37], -1
.LBB1541_50:
	s_and_b64 s[12:13], s[6:7], exec
.LBB1541_51:
	s_or_b64 exec, exec, s[18:19]
	v_add_u32_e32 v16, 5, v1
	v_cmp_gt_u32_e32 vcc, s3, v16
	s_and_saveexec_b64 s[18:19], vcc
	s_cbranch_execz .LBB1541_57
; %bb.52:
	s_and_b64 vcc, exec, s[4:5]
	s_mov_b64 s[6:7], 0
	s_cbranch_vccnz .LBB1541_56
; %bb.53:
	v_mul_lo_u32 v19, v3, s30
	v_mul_lo_u32 v20, v2, s31
	v_mad_u64_u32 v[16:17], s[6:7], v2, s30, 0
	v_add3_u32 v17, v17, v20, v19
	v_mul_lo_u32 v19, v5, s30
	v_mul_lo_u32 v22, v4, s31
	v_mad_u64_u32 v[20:21], s[6:7], v4, s30, 0
	v_add3_u32 v21, v21, v22, v19
	s_add_u32 s38, s30, -1
	v_lshl_add_u64 v[16:17], v[16:17], 2, s[20:21]
	v_lshl_add_u64 v[20:21], v[20:21], 2, s[20:21]
	s_addc_u32 s39, s31, -1
	s_mov_b64 s[14:15], 0
                                        ; implicit-def: $sgpr36_sgpr37
.LBB1541_54:                            ; =>This Inner Loop Header: Depth=1
	global_load_dword v19, v[16:17], off
	global_load_dword v22, v[20:21], off
	s_add_u32 s6, s38, -1
	s_addc_u32 s7, s39, -1
	s_cmp_eq_u64 s[38:39], 0
	s_mov_b64 s[38:39], s[6:7]
	s_cselect_b64 s[40:41], -1, 0
	v_lshl_add_u64 v[16:17], v[16:17], 0, 4
	v_lshl_add_u64 v[20:21], v[20:21], 0, 4
	s_waitcnt vmcnt(0)
	v_cmp_ne_u32_e64 s[6:7], v19, v22
	s_or_b64 s[6:7], s[6:7], s[40:41]
	s_and_b64 s[6:7], exec, s[6:7]
	v_cmp_eq_u32_e32 vcc, v19, v22
	s_or_b64 s[14:15], s[6:7], s[14:15]
	s_andn2_b64 s[6:7], s[36:37], exec
	s_and_b64 s[36:37], vcc, exec
	s_or_b64 s[36:37], s[6:7], s[36:37]
	s_andn2_b64 exec, exec, s[14:15]
	s_cbranch_execnz .LBB1541_54
; %bb.55:
	s_or_b64 exec, exec, s[14:15]
	s_xor_b64 s[6:7], s[36:37], -1
.LBB1541_56:
	s_and_b64 s[14:15], s[6:7], exec
.LBB1541_57:
	s_or_b64 exec, exec, s[18:19]
	v_add_u32_e32 v16, 4, v1
	v_cmp_gt_u32_e32 vcc, s3, v16
	s_mov_b64 s[36:37], 0
	s_mov_b64 s[18:19], 0
	s_and_saveexec_b64 s[38:39], vcc
	s_cbranch_execz .LBB1541_63
; %bb.58:
	s_and_b64 vcc, exec, s[4:5]
	s_mov_b64 s[6:7], 0
	s_cbranch_vccnz .LBB1541_62
; %bb.59:
	v_mul_lo_u32 v19, v9, s30
	v_mul_lo_u32 v20, v8, s31
	v_mad_u64_u32 v[16:17], s[6:7], v8, s30, 0
	v_add3_u32 v17, v17, v20, v19
	v_mul_lo_u32 v19, v3, s30
	v_mul_lo_u32 v22, v2, s31
	v_mad_u64_u32 v[20:21], s[6:7], v2, s30, 0
	v_add3_u32 v21, v21, v22, v19
	s_add_u32 s42, s30, -1
	v_lshl_add_u64 v[16:17], v[16:17], 2, s[20:21]
	v_lshl_add_u64 v[20:21], v[20:21], 2, s[20:21]
	s_addc_u32 s43, s31, -1
                                        ; implicit-def: $sgpr40_sgpr41
.LBB1541_60:                            ; =>This Inner Loop Header: Depth=1
	global_load_dword v19, v[16:17], off
	global_load_dword v22, v[20:21], off
	s_add_u32 s6, s42, -1
	s_addc_u32 s7, s43, -1
	s_cmp_eq_u64 s[42:43], 0
	s_mov_b64 s[42:43], s[6:7]
	s_cselect_b64 s[44:45], -1, 0
	v_lshl_add_u64 v[16:17], v[16:17], 0, 4
	v_lshl_add_u64 v[20:21], v[20:21], 0, 4
	s_waitcnt vmcnt(0)
	v_cmp_ne_u32_e64 s[6:7], v19, v22
	s_or_b64 s[6:7], s[6:7], s[44:45]
	s_and_b64 s[6:7], exec, s[6:7]
	v_cmp_eq_u32_e32 vcc, v19, v22
	s_or_b64 s[18:19], s[6:7], s[18:19]
	s_andn2_b64 s[6:7], s[40:41], exec
	s_and_b64 s[40:41], vcc, exec
	s_or_b64 s[40:41], s[6:7], s[40:41]
	s_andn2_b64 exec, exec, s[18:19]
	s_cbranch_execnz .LBB1541_60
; %bb.61:
	s_or_b64 exec, exec, s[18:19]
	s_xor_b64 s[6:7], s[40:41], -1
.LBB1541_62:
	s_and_b64 s[18:19], s[6:7], exec
.LBB1541_63:
	s_or_b64 exec, exec, s[38:39]
	v_add_u32_e32 v16, 3, v1
	v_cmp_gt_u32_e32 vcc, s3, v16
	s_and_saveexec_b64 s[38:39], vcc
	s_cbranch_execz .LBB1541_69
; %bb.64:
	s_and_b64 vcc, exec, s[4:5]
	s_mov_b64 s[6:7], 0
	s_cbranch_vccnz .LBB1541_68
; %bb.65:
	v_mul_lo_u32 v19, v7, s30
	v_mul_lo_u32 v20, v6, s31
	v_mad_u64_u32 v[16:17], s[6:7], v6, s30, 0
	v_add3_u32 v17, v17, v20, v19
	v_mul_lo_u32 v19, v9, s30
	v_mul_lo_u32 v22, v8, s31
	v_mad_u64_u32 v[20:21], s[6:7], v8, s30, 0
	v_add3_u32 v21, v21, v22, v19
	s_add_u32 s42, s30, -1
	v_lshl_add_u64 v[16:17], v[16:17], 2, s[20:21]
	v_lshl_add_u64 v[20:21], v[20:21], 2, s[20:21]
	s_addc_u32 s43, s31, -1
	s_mov_b64 s[36:37], 0
                                        ; implicit-def: $sgpr40_sgpr41
.LBB1541_66:                            ; =>This Inner Loop Header: Depth=1
	global_load_dword v19, v[16:17], off
	global_load_dword v22, v[20:21], off
	s_add_u32 s6, s42, -1
	s_addc_u32 s7, s43, -1
	s_cmp_eq_u64 s[42:43], 0
	s_mov_b64 s[42:43], s[6:7]
	s_cselect_b64 s[44:45], -1, 0
	v_lshl_add_u64 v[16:17], v[16:17], 0, 4
	v_lshl_add_u64 v[20:21], v[20:21], 0, 4
	s_waitcnt vmcnt(0)
	v_cmp_ne_u32_e64 s[6:7], v19, v22
	s_or_b64 s[6:7], s[6:7], s[44:45]
	s_and_b64 s[6:7], exec, s[6:7]
	v_cmp_eq_u32_e32 vcc, v19, v22
	s_or_b64 s[36:37], s[6:7], s[36:37]
	s_andn2_b64 s[6:7], s[40:41], exec
	s_and_b64 s[40:41], vcc, exec
	s_or_b64 s[40:41], s[6:7], s[40:41]
	s_andn2_b64 exec, exec, s[36:37]
	s_cbranch_execnz .LBB1541_66
; %bb.67:
	s_or_b64 exec, exec, s[36:37]
	s_xor_b64 s[6:7], s[40:41], -1
.LBB1541_68:
	s_and_b64 s[36:37], s[6:7], exec
.LBB1541_69:
	s_or_b64 exec, exec, s[38:39]
	v_add_u32_e32 v16, 2, v1
	v_cmp_gt_u32_e32 vcc, s3, v16
	s_mov_b64 s[38:39], 0
	s_mov_b64 s[40:41], 0
	s_and_saveexec_b64 s[42:43], vcc
	s_cbranch_execz .LBB1541_75
; %bb.70:
	s_and_b64 vcc, exec, s[4:5]
	s_mov_b64 s[6:7], 0
	s_cbranch_vccnz .LBB1541_74
; %bb.71:
	v_mul_lo_u32 v19, v13, s30
	v_mul_lo_u32 v20, v12, s31
	v_mad_u64_u32 v[16:17], s[6:7], v12, s30, 0
	v_add3_u32 v17, v17, v20, v19
	v_mul_lo_u32 v19, v7, s30
	v_mul_lo_u32 v22, v6, s31
	v_mad_u64_u32 v[20:21], s[6:7], v6, s30, 0
	v_add3_u32 v21, v21, v22, v19
	s_add_u32 s46, s30, -1
	v_lshl_add_u64 v[16:17], v[16:17], 2, s[20:21]
	v_lshl_add_u64 v[20:21], v[20:21], 2, s[20:21]
	s_addc_u32 s47, s31, -1
                                        ; implicit-def: $sgpr44_sgpr45
.LBB1541_72:                            ; =>This Inner Loop Header: Depth=1
	global_load_dword v19, v[16:17], off
	global_load_dword v22, v[20:21], off
	s_add_u32 s6, s46, -1
	s_addc_u32 s7, s47, -1
	s_cmp_eq_u64 s[46:47], 0
	s_mov_b64 s[46:47], s[6:7]
	s_cselect_b64 s[48:49], -1, 0
	v_lshl_add_u64 v[16:17], v[16:17], 0, 4
	v_lshl_add_u64 v[20:21], v[20:21], 0, 4
	s_waitcnt vmcnt(0)
	v_cmp_ne_u32_e64 s[6:7], v19, v22
	s_or_b64 s[6:7], s[6:7], s[48:49]
	s_and_b64 s[6:7], exec, s[6:7]
	v_cmp_eq_u32_e32 vcc, v19, v22
	s_or_b64 s[40:41], s[6:7], s[40:41]
	s_andn2_b64 s[6:7], s[44:45], exec
	s_and_b64 s[44:45], vcc, exec
	s_or_b64 s[44:45], s[6:7], s[44:45]
	s_andn2_b64 exec, exec, s[40:41]
	s_cbranch_execnz .LBB1541_72
; %bb.73:
	s_or_b64 exec, exec, s[40:41]
	s_xor_b64 s[6:7], s[44:45], -1
.LBB1541_74:
	s_and_b64 s[40:41], s[6:7], exec
.LBB1541_75:
	s_or_b64 exec, exec, s[42:43]
	v_add_u32_e32 v16, 1, v1
	v_cmp_gt_u32_e32 vcc, s3, v16
	s_and_saveexec_b64 s[42:43], vcc
	s_cbranch_execz .LBB1541_81
; %bb.76:
	s_and_b64 vcc, exec, s[4:5]
	s_mov_b64 s[6:7], 0
	s_cbranch_vccnz .LBB1541_80
; %bb.77:
	v_mul_lo_u32 v19, v11, s30
	v_mul_lo_u32 v20, v10, s31
	v_mad_u64_u32 v[16:17], s[6:7], v10, s30, 0
	v_add3_u32 v17, v17, v20, v19
	v_mul_lo_u32 v19, v13, s30
	v_mul_lo_u32 v22, v12, s31
	v_mad_u64_u32 v[20:21], s[6:7], v12, s30, 0
	v_add3_u32 v21, v21, v22, v19
	s_add_u32 s46, s30, -1
	v_lshl_add_u64 v[16:17], v[16:17], 2, s[20:21]
	v_lshl_add_u64 v[20:21], v[20:21], 2, s[20:21]
	s_addc_u32 s47, s31, -1
	s_mov_b64 s[38:39], 0
                                        ; implicit-def: $sgpr44_sgpr45
.LBB1541_78:                            ; =>This Inner Loop Header: Depth=1
	global_load_dword v19, v[16:17], off
	global_load_dword v22, v[20:21], off
	s_add_u32 s6, s46, -1
	s_addc_u32 s7, s47, -1
	s_cmp_eq_u64 s[46:47], 0
	s_mov_b64 s[46:47], s[6:7]
	s_cselect_b64 s[48:49], -1, 0
	v_lshl_add_u64 v[16:17], v[16:17], 0, 4
	v_lshl_add_u64 v[20:21], v[20:21], 0, 4
	s_waitcnt vmcnt(0)
	v_cmp_ne_u32_e64 s[6:7], v19, v22
	s_or_b64 s[6:7], s[6:7], s[48:49]
	s_and_b64 s[6:7], exec, s[6:7]
	v_cmp_eq_u32_e32 vcc, v19, v22
	s_or_b64 s[38:39], s[6:7], s[38:39]
	s_andn2_b64 s[6:7], s[44:45], exec
	s_and_b64 s[44:45], vcc, exec
	s_or_b64 s[44:45], s[6:7], s[44:45]
	s_andn2_b64 exec, exec, s[38:39]
	s_cbranch_execnz .LBB1541_78
; %bb.79:
	s_or_b64 exec, exec, s[38:39]
	s_xor_b64 s[6:7], s[44:45], -1
.LBB1541_80:
	s_and_b64 s[38:39], s[6:7], exec
.LBB1541_81:
	s_or_b64 exec, exec, s[42:43]
	v_cmp_ne_u32_e32 vcc, 0, v0
	s_waitcnt lgkmcnt(0)
	v_mov_b64_e32 v[16:17], s[10:11]
	s_barrier
	s_and_saveexec_b64 s[6:7], vcc
; %bb.82:
	v_add_u32_e32 v16, -8, v25
	ds_read_b64 v[16:17], v16
; %bb.83:
	s_or_b64 exec, exec, s[6:7]
	v_cndmask_b32_e64 v20, 0, 1, s[36:37]
	v_cndmask_b32_e64 v19, 0, 1, s[40:41]
	;; [unrolled: 1-line block ×3, first 2 shown]
	v_lshlrev_b16_e32 v20, 8, v20
	v_cmp_gt_u32_e32 vcc, s3, v1
	v_lshlrev_b16_e32 v22, 8, v21
	v_or_b32_sdwa v23, v19, v20 dst_sel:WORD_1 dst_unused:UNUSED_PAD src0_sel:DWORD src1_sel:DWORD
	s_mov_b64 s[6:7], 0
	s_and_saveexec_b64 s[10:11], vcc
	s_cbranch_execz .LBB1541_89
; %bb.84:
	s_and_b64 vcc, exec, s[4:5]
	s_mov_b64 s[4:5], 0
	s_cbranch_vccnz .LBB1541_88
; %bb.85:
	s_waitcnt lgkmcnt(0)
	v_mul_lo_u32 v19, v17, s30
	v_mul_lo_u32 v20, v16, s31
	v_mad_u64_u32 v[16:17], s[4:5], v16, s30, 0
	v_add3_u32 v17, v17, v20, v19
	v_mul_lo_u32 v19, v11, s30
	v_mul_lo_u32 v25, v10, s31
	v_mad_u64_u32 v[20:21], s[4:5], v10, s30, 0
	v_add3_u32 v21, v21, v25, v19
	s_add_u32 s38, s30, -1
	v_lshl_add_u64 v[16:17], v[16:17], 2, s[20:21]
	v_lshl_add_u64 v[20:21], v[20:21], 2, s[20:21]
	s_addc_u32 s39, s31, -1
                                        ; implicit-def: $sgpr36_sgpr37
.LBB1541_86:                            ; =>This Inner Loop Header: Depth=1
	global_load_dword v19, v[16:17], off
	global_load_dword v25, v[20:21], off
	s_add_u32 s4, s38, -1
	s_addc_u32 s5, s39, -1
	s_cmp_eq_u64 s[38:39], 0
	s_mov_b64 s[38:39], s[4:5]
	s_cselect_b64 s[40:41], -1, 0
	v_lshl_add_u64 v[16:17], v[16:17], 0, 4
	v_lshl_add_u64 v[20:21], v[20:21], 0, 4
	s_waitcnt vmcnt(0)
	v_cmp_ne_u32_e64 s[4:5], v19, v25
	s_or_b64 s[4:5], s[4:5], s[40:41]
	s_and_b64 s[4:5], exec, s[4:5]
	v_cmp_eq_u32_e32 vcc, v19, v25
	s_or_b64 s[6:7], s[4:5], s[6:7]
	s_andn2_b64 s[4:5], s[36:37], exec
	s_and_b64 s[36:37], vcc, exec
	s_or_b64 s[36:37], s[4:5], s[36:37]
	s_andn2_b64 exec, exec, s[6:7]
	s_cbranch_execnz .LBB1541_86
; %bb.87:
	s_or_b64 exec, exec, s[6:7]
	s_xor_b64 s[4:5], s[36:37], -1
.LBB1541_88:
	s_and_b64 s[6:7], s[4:5], exec
.LBB1541_89:
	s_or_b64 exec, exec, s[10:11]
	s_waitcnt lgkmcnt(0)
	v_cndmask_b32_e64 v17, 0, 1, s[18:19]
	v_cndmask_b32_e64 v40, 0, 1, s[14:15]
	;; [unrolled: 1-line block ×3, first 2 shown]
	v_or_b32_e32 v21, v22, v23
.LBB1541_90:
	s_waitcnt lgkmcnt(0)
	s_mov_b64 s[10:11], -1
	s_cbranch_execnz .LBB1541_35
.LBB1541_91:
	s_movk_i32 s4, 0xffd0
	v_mad_i32_i24 v26, v0, s4, v24
	s_mov_b64 s[6:7], 0
	v_cmp_gt_i64_e64 s[12:13], s[30:31], 0
	s_and_b64 vcc, exec, s[34:35]
	ds_write_b64 v26, v[14:15]
	s_cbranch_vccz .LBB1541_106
; %bb.92:
	v_cndmask_b32_e64 v16, 0, 1, s[12:13]
	v_cmp_ne_u32_e64 s[4:5], 1, v16
	s_andn2_b64 vcc, exec, s[12:13]
	s_cbranch_vccnz .LBB1541_107
; %bb.93:
	v_mul_lo_u32 v19, v5, s30
	v_mul_lo_u32 v20, v4, s31
	v_mad_u64_u32 v[16:17], s[6:7], v4, s30, 0
	v_add3_u32 v17, v17, v20, v19
	v_mul_lo_u32 v19, v15, s30
	v_mul_lo_u32 v22, v14, s31
	v_mad_u64_u32 v[20:21], s[6:7], v14, s30, 0
	s_add_u32 s18, s30, -1
	v_lshl_add_u64 v[16:17], v[16:17], 2, s[20:21]
	v_add3_u32 v21, v21, v22, v19
	s_addc_u32 s19, s31, -1
	v_lshl_add_u64 v[20:21], v[20:21], 2, s[20:21]
	s_mov_b64 s[36:37], 0
	s_mov_b64 s[38:39], s[18:19]
	v_mov_b64_e32 v[22:23], v[16:17]
                                        ; implicit-def: $sgpr14_sgpr15
.LBB1541_94:                            ; =>This Inner Loop Header: Depth=1
	global_load_dword v19, v[22:23], off
	global_load_dword v24, v[20:21], off
	s_add_u32 s6, s38, -1
	s_addc_u32 s7, s39, -1
	s_cmp_eq_u64 s[38:39], 0
	s_mov_b64 s[38:39], s[6:7]
	s_cselect_b64 s[40:41], -1, 0
	v_lshl_add_u64 v[22:23], v[22:23], 0, 4
	v_lshl_add_u64 v[20:21], v[20:21], 0, 4
	s_waitcnt vmcnt(0)
	v_cmp_ne_u32_e64 s[6:7], v19, v24
	s_or_b64 s[6:7], s[6:7], s[40:41]
	s_and_b64 s[6:7], exec, s[6:7]
	v_cmp_eq_u32_e32 vcc, v19, v24
	s_or_b64 s[36:37], s[6:7], s[36:37]
	s_andn2_b64 s[6:7], s[14:15], exec
	s_and_b64 s[14:15], vcc, exec
	s_or_b64 s[14:15], s[6:7], s[14:15]
	s_andn2_b64 exec, exec, s[36:37]
	s_cbranch_execnz .LBB1541_94
; %bb.95:
	s_or_b64 exec, exec, s[36:37]
	v_mul_lo_u32 v19, v3, s30
	v_mul_lo_u32 v22, v2, s31
	v_mad_u64_u32 v[20:21], s[6:7], v2, s30, 0
	v_add3_u32 v21, v21, v22, v19
	v_lshl_add_u64 v[20:21], v[20:21], 2, s[20:21]
	s_mov_b64 s[38:39], 0
	s_mov_b64 s[40:41], s[18:19]
	v_mov_b64_e32 v[22:23], v[20:21]
                                        ; implicit-def: $sgpr36_sgpr37
.LBB1541_96:                            ; =>This Inner Loop Header: Depth=1
	global_load_dword v19, v[22:23], off
	global_load_dword v24, v[16:17], off
	s_add_u32 s6, s40, -1
	s_addc_u32 s7, s41, -1
	s_cmp_eq_u64 s[40:41], 0
	s_mov_b64 s[40:41], s[6:7]
	s_cselect_b64 s[42:43], -1, 0
	v_lshl_add_u64 v[22:23], v[22:23], 0, 4
	v_lshl_add_u64 v[16:17], v[16:17], 0, 4
	s_waitcnt vmcnt(0)
	v_cmp_ne_u32_e64 s[6:7], v19, v24
	s_or_b64 s[6:7], s[6:7], s[42:43]
	s_and_b64 s[6:7], exec, s[6:7]
	v_cmp_eq_u32_e32 vcc, v19, v24
	s_or_b64 s[38:39], s[6:7], s[38:39]
	s_andn2_b64 s[6:7], s[36:37], exec
	s_and_b64 s[36:37], vcc, exec
	s_or_b64 s[36:37], s[6:7], s[36:37]
	s_andn2_b64 exec, exec, s[38:39]
	s_cbranch_execnz .LBB1541_96
; %bb.97:
	s_or_b64 exec, exec, s[38:39]
	v_mul_lo_u32 v19, v9, s30
	v_mul_lo_u32 v22, v8, s31
	v_mad_u64_u32 v[16:17], s[6:7], v8, s30, 0
	v_add3_u32 v17, v17, v22, v19
	v_lshl_add_u64 v[16:17], v[16:17], 2, s[20:21]
	s_mov_b64 s[40:41], 0
	s_mov_b64 s[42:43], s[18:19]
	v_mov_b64_e32 v[22:23], v[16:17]
                                        ; implicit-def: $sgpr38_sgpr39
.LBB1541_98:                            ; =>This Inner Loop Header: Depth=1
	global_load_dword v19, v[22:23], off
	global_load_dword v24, v[20:21], off
	s_add_u32 s6, s42, -1
	s_addc_u32 s7, s43, -1
	s_cmp_eq_u64 s[42:43], 0
	s_mov_b64 s[42:43], s[6:7]
	s_cselect_b64 s[44:45], -1, 0
	v_lshl_add_u64 v[22:23], v[22:23], 0, 4
	v_lshl_add_u64 v[20:21], v[20:21], 0, 4
	s_waitcnt vmcnt(0)
	v_cmp_ne_u32_e64 s[6:7], v19, v24
	s_or_b64 s[6:7], s[6:7], s[44:45]
	s_and_b64 s[6:7], exec, s[6:7]
	v_cmp_eq_u32_e32 vcc, v19, v24
	s_or_b64 s[40:41], s[6:7], s[40:41]
	s_andn2_b64 s[6:7], s[38:39], exec
	s_and_b64 s[38:39], vcc, exec
	s_or_b64 s[38:39], s[6:7], s[38:39]
	s_andn2_b64 exec, exec, s[40:41]
	s_cbranch_execnz .LBB1541_98
; %bb.99:
	s_or_b64 exec, exec, s[40:41]
	v_mul_lo_u32 v19, v7, s30
	v_mul_lo_u32 v22, v6, s31
	v_mad_u64_u32 v[20:21], s[6:7], v6, s30, 0
	v_add3_u32 v21, v21, v22, v19
	v_lshl_add_u64 v[20:21], v[20:21], 2, s[20:21]
	s_mov_b64 s[42:43], 0
	s_mov_b64 s[44:45], s[18:19]
	v_mov_b64_e32 v[22:23], v[20:21]
                                        ; implicit-def: $sgpr40_sgpr41
.LBB1541_100:                           ; =>This Inner Loop Header: Depth=1
	global_load_dword v19, v[22:23], off
	global_load_dword v24, v[16:17], off
	s_add_u32 s6, s44, -1
	s_addc_u32 s7, s45, -1
	s_cmp_eq_u64 s[44:45], 0
	s_mov_b64 s[44:45], s[6:7]
	s_cselect_b64 s[46:47], -1, 0
	v_lshl_add_u64 v[22:23], v[22:23], 0, 4
	v_lshl_add_u64 v[16:17], v[16:17], 0, 4
	s_waitcnt vmcnt(0)
	v_cmp_ne_u32_e64 s[6:7], v19, v24
	s_or_b64 s[6:7], s[6:7], s[46:47]
	s_and_b64 s[6:7], exec, s[6:7]
	v_cmp_eq_u32_e32 vcc, v19, v24
	s_or_b64 s[42:43], s[6:7], s[42:43]
	s_andn2_b64 s[6:7], s[40:41], exec
	s_and_b64 s[40:41], vcc, exec
	s_or_b64 s[40:41], s[6:7], s[40:41]
	s_andn2_b64 exec, exec, s[42:43]
	s_cbranch_execnz .LBB1541_100
; %bb.101:
	s_or_b64 exec, exec, s[42:43]
	v_mul_lo_u32 v19, v13, s30
	v_mul_lo_u32 v22, v12, s31
	v_mad_u64_u32 v[16:17], s[6:7], v12, s30, 0
	v_add3_u32 v17, v17, v22, v19
	v_lshl_add_u64 v[16:17], v[16:17], 2, s[20:21]
	s_mov_b64 s[44:45], 0
	s_mov_b64 s[46:47], s[18:19]
	v_mov_b64_e32 v[22:23], v[16:17]
                                        ; implicit-def: $sgpr42_sgpr43
.LBB1541_102:                           ; =>This Inner Loop Header: Depth=1
	global_load_dword v19, v[22:23], off
	global_load_dword v24, v[20:21], off
	s_add_u32 s6, s46, -1
	s_addc_u32 s7, s47, -1
	s_cmp_eq_u64 s[46:47], 0
	s_mov_b64 s[46:47], s[6:7]
	s_cselect_b64 s[48:49], -1, 0
	v_lshl_add_u64 v[22:23], v[22:23], 0, 4
	v_lshl_add_u64 v[20:21], v[20:21], 0, 4
	s_waitcnt vmcnt(0)
	v_cmp_ne_u32_e64 s[6:7], v19, v24
	s_or_b64 s[6:7], s[6:7], s[48:49]
	s_and_b64 s[6:7], exec, s[6:7]
	v_cmp_eq_u32_e32 vcc, v19, v24
	s_or_b64 s[44:45], s[6:7], s[44:45]
	s_andn2_b64 s[6:7], s[42:43], exec
	s_and_b64 s[42:43], vcc, exec
	s_or_b64 s[42:43], s[6:7], s[42:43]
	s_andn2_b64 exec, exec, s[44:45]
	s_cbranch_execnz .LBB1541_102
; %bb.103:
	s_or_b64 exec, exec, s[44:45]
	v_mul_lo_u32 v19, v11, s30
	v_mul_lo_u32 v22, v10, s31
	v_mad_u64_u32 v[20:21], s[6:7], v10, s30, 0
	v_add3_u32 v21, v21, v22, v19
	v_lshl_add_u64 v[20:21], v[20:21], 2, s[20:21]
	s_mov_b64 s[46:47], 0
                                        ; implicit-def: $sgpr44_sgpr45
.LBB1541_104:                           ; =>This Inner Loop Header: Depth=1
	global_load_dword v19, v[20:21], off
	global_load_dword v22, v[16:17], off
	s_add_u32 s6, s18, -1
	s_addc_u32 s7, s19, -1
	s_cmp_eq_u64 s[18:19], 0
	s_mov_b64 s[18:19], s[6:7]
	s_cselect_b64 s[48:49], -1, 0
	v_lshl_add_u64 v[20:21], v[20:21], 0, 4
	v_lshl_add_u64 v[16:17], v[16:17], 0, 4
	s_waitcnt vmcnt(0)
	v_cmp_ne_u32_e64 s[6:7], v19, v22
	s_or_b64 s[6:7], s[6:7], s[48:49]
	s_and_b64 s[6:7], exec, s[6:7]
	v_cmp_eq_u32_e32 vcc, v19, v22
	s_or_b64 s[46:47], s[6:7], s[46:47]
	s_andn2_b64 s[6:7], s[44:45], exec
	s_and_b64 s[44:45], vcc, exec
	s_or_b64 s[44:45], s[6:7], s[44:45]
	s_andn2_b64 exec, exec, s[46:47]
	s_cbranch_execnz .LBB1541_104
; %bb.105:
	s_or_b64 exec, exec, s[46:47]
	s_xor_b64 s[6:7], s[36:37], -1
	v_cndmask_b32_e64 v40, 0, 1, s[6:7]
	s_xor_b64 s[6:7], s[40:41], -1
	v_cndmask_b32_e64 v16, 0, 1, s[6:7]
	v_lshlrev_b16_e32 v16, 8, v16
	s_xor_b64 s[6:7], s[14:15], -1
	v_lshrrev_b32_e32 v16, 8, v16
	v_mov_b32_e32 v20, 1
	s_xor_b64 s[14:15], s[42:43], -1
	v_cndmask_b32_e64 v19, 0, 1, s[6:7]
	s_xor_b64 s[6:7], s[38:39], -1
	v_and_b32_sdwa v16, v16, v20 dst_sel:BYTE_1 dst_unused:UNUSED_PAD src0_sel:DWORD src1_sel:DWORD
	v_cndmask_b32_e64 v20, 0, 1, s[14:15]
	v_cndmask_b32_e64 v17, 0, 1, s[6:7]
	s_xor_b64 s[6:7], s[44:45], -1
	v_or_b32_sdwa v16, v20, v16 dst_sel:WORD_1 dst_unused:UNUSED_PAD src0_sel:DWORD src1_sel:DWORD
	s_branch .LBB1541_108
.LBB1541_106:
                                        ; implicit-def: $sgpr6_sgpr7
                                        ; implicit-def: $vgpr19
                                        ; implicit-def: $vgpr40
                                        ; implicit-def: $vgpr17
                                        ; implicit-def: $vgpr21
                                        ; implicit-def: $vgpr42
                                        ; implicit-def: $vgpr41
                                        ; implicit-def: $vgpr20
	s_cbranch_execnz .LBB1541_115
	s_branch .LBB1541_160
.LBB1541_107:
	v_mov_b32_e32 v16, 0
	v_mov_b32_e32 v19, 0
	;; [unrolled: 1-line block ×4, first 2 shown]
.LBB1541_108:
	v_lshrrev_b32_e32 v41, 16, v16
	v_lshrrev_b32_e32 v20, 24, v16
	v_cndmask_b32_e64 v42, 0, 1, s[6:7]
	v_mov_b32_e32 v16, 1
	v_cmp_ne_u32_e32 vcc, 0, v0
	s_waitcnt lgkmcnt(0)
	s_barrier
                                        ; implicit-def: $sgpr6_sgpr7
                                        ; implicit-def: $vgpr21
	s_and_saveexec_b64 s[14:15], vcc
	s_xor_b64 s[14:15], exec, s[14:15]
	s_cbranch_execz .LBB1541_114
; %bb.109:
	v_lshlrev_b16_e32 v21, 8, v20
	s_movk_i32 s6, 0xff
	v_bitop3_b16 v21, v41, v21, s6 bitop3:0xec
	v_lshlrev_b16_e32 v22, 8, v42
	v_lshlrev_b32_e32 v21, 16, v21
	v_or_b32_e32 v22, 1, v22
	v_or_b32_sdwa v21, v22, v21 dst_sel:DWORD dst_unused:UNUSED_PAD src0_sel:WORD_0 src1_sel:DWORD
	s_mov_b32 s33, 0x3020104
	s_and_b64 vcc, exec, s[4:5]
	s_mov_b64 s[6:7], 0
	s_cbranch_vccnz .LBB1541_113
; %bb.110:
	v_add_u32_e32 v22, -8, v26
	ds_read_b64 v[22:23], v22
	v_mul_lo_u32 v27, v11, s30
	v_mul_lo_u32 v28, v10, s31
	s_add_u32 s36, s30, -1
	s_addc_u32 s37, s31, -1
	s_waitcnt lgkmcnt(0)
	v_mul_lo_u32 v24, v23, s30
	v_mul_lo_u32 v25, v22, s31
	v_mad_u64_u32 v[22:23], s[4:5], v22, s30, 0
	v_add3_u32 v23, v23, v25, v24
	v_mad_u64_u32 v[24:25], s[4:5], v10, s30, 0
	v_add3_u32 v25, v25, v28, v27
	v_lshl_add_u64 v[22:23], v[22:23], 2, s[20:21]
	v_lshl_add_u64 v[24:25], v[24:25], 2, s[20:21]
                                        ; implicit-def: $sgpr18_sgpr19
.LBB1541_111:                           ; =>This Inner Loop Header: Depth=1
	global_load_dword v27, v[22:23], off
	global_load_dword v28, v[24:25], off
	s_add_u32 s4, s36, -1
	s_addc_u32 s5, s37, -1
	s_cmp_eq_u64 s[36:37], 0
	s_mov_b64 s[36:37], s[4:5]
	s_cselect_b64 s[38:39], -1, 0
	v_lshl_add_u64 v[22:23], v[22:23], 0, 4
	v_lshl_add_u64 v[24:25], v[24:25], 0, 4
	s_waitcnt vmcnt(0)
	v_cmp_ne_u32_e64 s[4:5], v27, v28
	s_or_b64 s[4:5], s[4:5], s[38:39]
	s_and_b64 s[4:5], exec, s[4:5]
	v_cmp_eq_u32_e32 vcc, v27, v28
	s_or_b64 s[6:7], s[4:5], s[6:7]
	s_andn2_b64 s[4:5], s[18:19], exec
	s_and_b64 s[18:19], vcc, exec
	s_or_b64 s[18:19], s[4:5], s[18:19]
	s_andn2_b64 exec, exec, s[6:7]
	s_cbranch_execnz .LBB1541_111
; %bb.112:
	s_or_b64 exec, exec, s[6:7]
	s_xor_b64 s[6:7], s[18:19], -1
.LBB1541_113:
	v_perm_b32 v21, v21, v21, s33
	s_or_b64 s[10:11], s[10:11], exec
.LBB1541_114:
	s_or_b64 exec, exec, s[14:15]
	s_branch .LBB1541_160
.LBB1541_115:
	v_add_u32_e32 v16, 6, v1
	v_cmp_gt_u32_e32 vcc, s3, v16
	s_mov_b64 s[14:15], 0
	s_mov_b64 s[6:7], 0
	s_and_saveexec_b64 s[18:19], vcc
	s_cbranch_execz .LBB1541_121
; %bb.116:
	s_andn2_b64 vcc, exec, s[12:13]
	s_mov_b64 s[4:5], 0
	s_cbranch_vccnz .LBB1541_120
; %bb.117:
	v_mul_lo_u32 v19, v5, s30
	v_mul_lo_u32 v20, v4, s31
	v_mad_u64_u32 v[16:17], s[4:5], v4, s30, 0
	v_add3_u32 v17, v17, v20, v19
	v_mul_lo_u32 v19, v15, s30
	v_mul_lo_u32 v22, v14, s31
	v_mad_u64_u32 v[20:21], s[4:5], v14, s30, 0
	v_add3_u32 v21, v21, v22, v19
	s_add_u32 s38, s30, -1
	v_lshl_add_u64 v[16:17], v[16:17], 2, s[20:21]
	v_lshl_add_u64 v[20:21], v[20:21], 2, s[20:21]
	s_addc_u32 s39, s31, -1
                                        ; implicit-def: $sgpr36_sgpr37
.LBB1541_118:                           ; =>This Inner Loop Header: Depth=1
	global_load_dword v19, v[16:17], off
	global_load_dword v22, v[20:21], off
	s_add_u32 s4, s38, -1
	s_addc_u32 s5, s39, -1
	s_cmp_eq_u64 s[38:39], 0
	s_mov_b64 s[38:39], s[4:5]
	s_cselect_b64 s[40:41], -1, 0
	v_lshl_add_u64 v[16:17], v[16:17], 0, 4
	v_lshl_add_u64 v[20:21], v[20:21], 0, 4
	s_waitcnt vmcnt(0)
	v_cmp_ne_u32_e64 s[4:5], v19, v22
	s_or_b64 s[4:5], s[4:5], s[40:41]
	s_and_b64 s[4:5], exec, s[4:5]
	v_cmp_eq_u32_e32 vcc, v19, v22
	s_or_b64 s[6:7], s[4:5], s[6:7]
	s_andn2_b64 s[4:5], s[36:37], exec
	s_and_b64 s[36:37], vcc, exec
	s_or_b64 s[36:37], s[4:5], s[36:37]
	s_andn2_b64 exec, exec, s[6:7]
	s_cbranch_execnz .LBB1541_118
; %bb.119:
	s_or_b64 exec, exec, s[6:7]
	s_xor_b64 s[4:5], s[36:37], -1
.LBB1541_120:
	s_and_b64 s[6:7], s[4:5], exec
.LBB1541_121:
	s_or_b64 exec, exec, s[18:19]
	v_add_u32_e32 v16, 5, v1
	v_cmp_gt_u32_e32 vcc, s3, v16
	s_and_saveexec_b64 s[18:19], vcc
	s_cbranch_execz .LBB1541_127
; %bb.122:
	s_andn2_b64 vcc, exec, s[12:13]
	s_mov_b64 s[4:5], 0
	s_cbranch_vccnz .LBB1541_126
; %bb.123:
	v_mul_lo_u32 v19, v3, s30
	v_mul_lo_u32 v20, v2, s31
	v_mad_u64_u32 v[16:17], s[4:5], v2, s30, 0
	v_add3_u32 v17, v17, v20, v19
	v_mul_lo_u32 v19, v5, s30
	v_mul_lo_u32 v22, v4, s31
	v_mad_u64_u32 v[20:21], s[4:5], v4, s30, 0
	v_add3_u32 v21, v21, v22, v19
	s_add_u32 s38, s30, -1
	v_lshl_add_u64 v[16:17], v[16:17], 2, s[20:21]
	v_lshl_add_u64 v[20:21], v[20:21], 2, s[20:21]
	s_addc_u32 s39, s31, -1
	s_mov_b64 s[14:15], 0
                                        ; implicit-def: $sgpr36_sgpr37
.LBB1541_124:                           ; =>This Inner Loop Header: Depth=1
	global_load_dword v19, v[16:17], off
	global_load_dword v22, v[20:21], off
	s_add_u32 s4, s38, -1
	s_addc_u32 s5, s39, -1
	s_cmp_eq_u64 s[38:39], 0
	s_mov_b64 s[38:39], s[4:5]
	s_cselect_b64 s[40:41], -1, 0
	v_lshl_add_u64 v[16:17], v[16:17], 0, 4
	v_lshl_add_u64 v[20:21], v[20:21], 0, 4
	s_waitcnt vmcnt(0)
	v_cmp_ne_u32_e64 s[4:5], v19, v22
	s_or_b64 s[4:5], s[4:5], s[40:41]
	s_and_b64 s[4:5], exec, s[4:5]
	v_cmp_eq_u32_e32 vcc, v19, v22
	s_or_b64 s[14:15], s[4:5], s[14:15]
	s_andn2_b64 s[4:5], s[36:37], exec
	s_and_b64 s[36:37], vcc, exec
	s_or_b64 s[36:37], s[4:5], s[36:37]
	s_andn2_b64 exec, exec, s[14:15]
	s_cbranch_execnz .LBB1541_124
; %bb.125:
	s_or_b64 exec, exec, s[14:15]
	s_xor_b64 s[4:5], s[36:37], -1
.LBB1541_126:
	s_and_b64 s[14:15], s[4:5], exec
.LBB1541_127:
	s_or_b64 exec, exec, s[18:19]
	v_add_u32_e32 v16, 4, v1
	v_cmp_gt_u32_e32 vcc, s3, v16
	s_mov_b64 s[18:19], 0
	s_mov_b64 s[36:37], 0
	s_and_saveexec_b64 s[38:39], vcc
	s_cbranch_execz .LBB1541_133
; %bb.128:
	s_andn2_b64 vcc, exec, s[12:13]
	s_mov_b64 s[4:5], 0
	s_cbranch_vccnz .LBB1541_132
; %bb.129:
	v_mul_lo_u32 v19, v9, s30
	v_mul_lo_u32 v20, v8, s31
	v_mad_u64_u32 v[16:17], s[4:5], v8, s30, 0
	v_add3_u32 v17, v17, v20, v19
	v_mul_lo_u32 v19, v3, s30
	v_mul_lo_u32 v22, v2, s31
	v_mad_u64_u32 v[20:21], s[4:5], v2, s30, 0
	v_add3_u32 v21, v21, v22, v19
	s_add_u32 s42, s30, -1
	v_lshl_add_u64 v[16:17], v[16:17], 2, s[20:21]
	v_lshl_add_u64 v[20:21], v[20:21], 2, s[20:21]
	s_addc_u32 s43, s31, -1
                                        ; implicit-def: $sgpr40_sgpr41
.LBB1541_130:                           ; =>This Inner Loop Header: Depth=1
	global_load_dword v19, v[16:17], off
	global_load_dword v22, v[20:21], off
	s_add_u32 s4, s42, -1
	s_addc_u32 s5, s43, -1
	s_cmp_eq_u64 s[42:43], 0
	s_mov_b64 s[42:43], s[4:5]
	s_cselect_b64 s[44:45], -1, 0
	v_lshl_add_u64 v[16:17], v[16:17], 0, 4
	v_lshl_add_u64 v[20:21], v[20:21], 0, 4
	s_waitcnt vmcnt(0)
	v_cmp_ne_u32_e64 s[4:5], v19, v22
	s_or_b64 s[4:5], s[4:5], s[44:45]
	s_and_b64 s[4:5], exec, s[4:5]
	v_cmp_eq_u32_e32 vcc, v19, v22
	s_or_b64 s[36:37], s[4:5], s[36:37]
	s_andn2_b64 s[4:5], s[40:41], exec
	s_and_b64 s[40:41], vcc, exec
	s_or_b64 s[40:41], s[4:5], s[40:41]
	s_andn2_b64 exec, exec, s[36:37]
	s_cbranch_execnz .LBB1541_130
; %bb.131:
	s_or_b64 exec, exec, s[36:37]
	s_xor_b64 s[4:5], s[40:41], -1
.LBB1541_132:
	s_and_b64 s[36:37], s[4:5], exec
.LBB1541_133:
	s_or_b64 exec, exec, s[38:39]
	v_add_u32_e32 v16, 3, v1
	v_cmp_gt_u32_e32 vcc, s3, v16
	s_and_saveexec_b64 s[38:39], vcc
	s_cbranch_execz .LBB1541_139
; %bb.134:
	s_andn2_b64 vcc, exec, s[12:13]
	s_mov_b64 s[4:5], 0
	s_cbranch_vccnz .LBB1541_138
; %bb.135:
	v_mul_lo_u32 v19, v7, s30
	v_mul_lo_u32 v20, v6, s31
	v_mad_u64_u32 v[16:17], s[4:5], v6, s30, 0
	v_add3_u32 v17, v17, v20, v19
	v_mul_lo_u32 v19, v9, s30
	v_mul_lo_u32 v22, v8, s31
	v_mad_u64_u32 v[20:21], s[4:5], v8, s30, 0
	v_add3_u32 v21, v21, v22, v19
	s_add_u32 s42, s30, -1
	v_lshl_add_u64 v[16:17], v[16:17], 2, s[20:21]
	v_lshl_add_u64 v[20:21], v[20:21], 2, s[20:21]
	s_addc_u32 s43, s31, -1
	s_mov_b64 s[18:19], 0
                                        ; implicit-def: $sgpr40_sgpr41
.LBB1541_136:                           ; =>This Inner Loop Header: Depth=1
	global_load_dword v19, v[16:17], off
	global_load_dword v22, v[20:21], off
	s_add_u32 s4, s42, -1
	s_addc_u32 s5, s43, -1
	s_cmp_eq_u64 s[42:43], 0
	s_mov_b64 s[42:43], s[4:5]
	s_cselect_b64 s[44:45], -1, 0
	v_lshl_add_u64 v[16:17], v[16:17], 0, 4
	v_lshl_add_u64 v[20:21], v[20:21], 0, 4
	s_waitcnt vmcnt(0)
	v_cmp_ne_u32_e64 s[4:5], v19, v22
	s_or_b64 s[4:5], s[4:5], s[44:45]
	s_and_b64 s[4:5], exec, s[4:5]
	v_cmp_eq_u32_e32 vcc, v19, v22
	s_or_b64 s[18:19], s[4:5], s[18:19]
	s_andn2_b64 s[4:5], s[40:41], exec
	s_and_b64 s[40:41], vcc, exec
	s_or_b64 s[40:41], s[4:5], s[40:41]
	s_andn2_b64 exec, exec, s[18:19]
	s_cbranch_execnz .LBB1541_136
; %bb.137:
	s_or_b64 exec, exec, s[18:19]
	s_xor_b64 s[4:5], s[40:41], -1
.LBB1541_138:
	s_and_b64 s[18:19], s[4:5], exec
.LBB1541_139:
	s_or_b64 exec, exec, s[38:39]
	v_add_u32_e32 v16, 2, v1
	v_cmp_gt_u32_e32 vcc, s3, v16
	s_mov_b64 s[38:39], 0
	s_mov_b64 s[40:41], 0
	s_and_saveexec_b64 s[42:43], vcc
	s_cbranch_execz .LBB1541_145
; %bb.140:
	s_andn2_b64 vcc, exec, s[12:13]
	s_mov_b64 s[4:5], 0
	s_cbranch_vccnz .LBB1541_144
; %bb.141:
	v_mul_lo_u32 v19, v13, s30
	v_mul_lo_u32 v20, v12, s31
	v_mad_u64_u32 v[16:17], s[4:5], v12, s30, 0
	v_add3_u32 v17, v17, v20, v19
	v_mul_lo_u32 v19, v7, s30
	v_mul_lo_u32 v22, v6, s31
	v_mad_u64_u32 v[20:21], s[4:5], v6, s30, 0
	v_add3_u32 v21, v21, v22, v19
	s_add_u32 s46, s30, -1
	v_lshl_add_u64 v[16:17], v[16:17], 2, s[20:21]
	v_lshl_add_u64 v[20:21], v[20:21], 2, s[20:21]
	s_addc_u32 s47, s31, -1
                                        ; implicit-def: $sgpr44_sgpr45
.LBB1541_142:                           ; =>This Inner Loop Header: Depth=1
	global_load_dword v19, v[16:17], off
	global_load_dword v22, v[20:21], off
	s_add_u32 s4, s46, -1
	s_addc_u32 s5, s47, -1
	s_cmp_eq_u64 s[46:47], 0
	s_mov_b64 s[46:47], s[4:5]
	s_cselect_b64 s[48:49], -1, 0
	v_lshl_add_u64 v[16:17], v[16:17], 0, 4
	v_lshl_add_u64 v[20:21], v[20:21], 0, 4
	s_waitcnt vmcnt(0)
	v_cmp_ne_u32_e64 s[4:5], v19, v22
	s_or_b64 s[4:5], s[4:5], s[48:49]
	s_and_b64 s[4:5], exec, s[4:5]
	v_cmp_eq_u32_e32 vcc, v19, v22
	s_or_b64 s[40:41], s[4:5], s[40:41]
	s_andn2_b64 s[4:5], s[44:45], exec
	s_and_b64 s[44:45], vcc, exec
	s_or_b64 s[44:45], s[4:5], s[44:45]
	s_andn2_b64 exec, exec, s[40:41]
	s_cbranch_execnz .LBB1541_142
; %bb.143:
	s_or_b64 exec, exec, s[40:41]
	s_xor_b64 s[4:5], s[44:45], -1
.LBB1541_144:
	s_and_b64 s[40:41], s[4:5], exec
.LBB1541_145:
	s_or_b64 exec, exec, s[42:43]
	v_add_u32_e32 v16, 1, v1
	v_cmp_gt_u32_e32 vcc, s3, v16
	s_and_saveexec_b64 s[42:43], vcc
	s_cbranch_execz .LBB1541_151
; %bb.146:
	s_andn2_b64 vcc, exec, s[12:13]
	s_mov_b64 s[4:5], 0
	s_cbranch_vccnz .LBB1541_150
; %bb.147:
	v_mul_lo_u32 v19, v11, s30
	v_mul_lo_u32 v20, v10, s31
	v_mad_u64_u32 v[16:17], s[4:5], v10, s30, 0
	v_add3_u32 v17, v17, v20, v19
	v_mul_lo_u32 v19, v13, s30
	v_mul_lo_u32 v22, v12, s31
	v_mad_u64_u32 v[20:21], s[4:5], v12, s30, 0
	v_add3_u32 v21, v21, v22, v19
	s_add_u32 s46, s30, -1
	v_lshl_add_u64 v[16:17], v[16:17], 2, s[20:21]
	v_lshl_add_u64 v[20:21], v[20:21], 2, s[20:21]
	s_addc_u32 s47, s31, -1
	s_mov_b64 s[38:39], 0
                                        ; implicit-def: $sgpr44_sgpr45
.LBB1541_148:                           ; =>This Inner Loop Header: Depth=1
	global_load_dword v19, v[16:17], off
	global_load_dword v22, v[20:21], off
	s_add_u32 s4, s46, -1
	s_addc_u32 s5, s47, -1
	s_cmp_eq_u64 s[46:47], 0
	s_mov_b64 s[46:47], s[4:5]
	s_cselect_b64 s[48:49], -1, 0
	v_lshl_add_u64 v[16:17], v[16:17], 0, 4
	v_lshl_add_u64 v[20:21], v[20:21], 0, 4
	s_waitcnt vmcnt(0)
	v_cmp_ne_u32_e64 s[4:5], v19, v22
	s_or_b64 s[4:5], s[4:5], s[48:49]
	s_and_b64 s[4:5], exec, s[4:5]
	v_cmp_eq_u32_e32 vcc, v19, v22
	s_or_b64 s[38:39], s[4:5], s[38:39]
	s_andn2_b64 s[4:5], s[44:45], exec
	s_and_b64 s[44:45], vcc, exec
	s_or_b64 s[44:45], s[4:5], s[44:45]
	s_andn2_b64 exec, exec, s[38:39]
	s_cbranch_execnz .LBB1541_148
; %bb.149:
	s_or_b64 exec, exec, s[38:39]
	s_xor_b64 s[4:5], s[44:45], -1
.LBB1541_150:
	s_and_b64 s[38:39], s[4:5], exec
.LBB1541_151:
	s_or_b64 exec, exec, s[42:43]
	v_cndmask_b32_e64 v17, 0, 1, s[36:37]
	v_cndmask_b32_e64 v40, 0, 1, s[14:15]
	;; [unrolled: 1-line block ×6, first 2 shown]
	v_mov_b32_e32 v16, 1
	v_cmp_ne_u32_e32 vcc, 0, v0
	s_waitcnt lgkmcnt(0)
	s_barrier
                                        ; implicit-def: $sgpr6_sgpr7
                                        ; implicit-def: $vgpr21
	s_and_saveexec_b64 s[14:15], vcc
	s_cbranch_execz .LBB1541_159
; %bb.152:
	v_lshlrev_b16_e32 v21, 8, v42
	v_lshlrev_b16_e32 v22, 8, v20
	v_or_b32_e32 v21, 1, v21
	v_or_b32_sdwa v22, v41, v22 dst_sel:WORD_1 dst_unused:UNUSED_PAD src0_sel:DWORD src1_sel:DWORD
	v_cmp_gt_u32_e32 vcc, s3, v1
	v_or_b32_sdwa v21, v21, v22 dst_sel:DWORD dst_unused:UNUSED_PAD src0_sel:WORD_0 src1_sel:DWORD
	s_mov_b32 s33, 0x3020104
	s_mov_b64 s[6:7], 0
	s_and_saveexec_b64 s[18:19], vcc
	s_cbranch_execz .LBB1541_158
; %bb.153:
	s_andn2_b64 vcc, exec, s[12:13]
	s_mov_b64 s[4:5], 0
	s_cbranch_vccnz .LBB1541_157
; %bb.154:
	v_add_u32_e32 v22, -8, v26
	ds_read_b64 v[22:23], v22
	v_mul_lo_u32 v26, v11, s30
	v_mul_lo_u32 v27, v10, s31
                                        ; implicit-def: $sgpr12_sgpr13
	s_waitcnt lgkmcnt(0)
	v_mul_lo_u32 v24, v23, s30
	v_mul_lo_u32 v25, v22, s31
	v_mad_u64_u32 v[22:23], s[4:5], v22, s30, 0
	v_add3_u32 v23, v23, v25, v24
	v_mad_u64_u32 v[24:25], s[4:5], v10, s30, 0
	v_add3_u32 v25, v25, v27, v26
	v_lshl_add_u64 v[22:23], v[22:23], 2, s[20:21]
	v_lshl_add_u64 v[24:25], v[24:25], 2, s[20:21]
	s_add_u32 s20, s30, -1
	s_addc_u32 s21, s31, -1
.LBB1541_155:                           ; =>This Inner Loop Header: Depth=1
	global_load_dword v26, v[22:23], off
	global_load_dword v27, v[24:25], off
	s_add_u32 s4, s20, -1
	s_addc_u32 s5, s21, -1
	s_cmp_eq_u64 s[20:21], 0
	s_mov_b64 s[20:21], s[4:5]
	s_cselect_b64 s[30:31], -1, 0
	v_lshl_add_u64 v[22:23], v[22:23], 0, 4
	v_lshl_add_u64 v[24:25], v[24:25], 0, 4
	s_waitcnt vmcnt(0)
	v_cmp_ne_u32_e64 s[4:5], v26, v27
	s_or_b64 s[4:5], s[4:5], s[30:31]
	s_and_b64 s[4:5], exec, s[4:5]
	v_cmp_eq_u32_e32 vcc, v26, v27
	s_or_b64 s[6:7], s[4:5], s[6:7]
	s_andn2_b64 s[4:5], s[12:13], exec
	s_and_b64 s[12:13], vcc, exec
	s_or_b64 s[12:13], s[4:5], s[12:13]
	s_andn2_b64 exec, exec, s[6:7]
	s_cbranch_execnz .LBB1541_155
; %bb.156:
	s_or_b64 exec, exec, s[6:7]
	s_xor_b64 s[4:5], s[12:13], -1
.LBB1541_157:
	s_and_b64 s[6:7], s[4:5], exec
.LBB1541_158:
	s_or_b64 exec, exec, s[18:19]
	v_perm_b32 v21, v21, v21, s33
	s_or_b64 s[10:11], s[10:11], exec
.LBB1541_159:
	s_or_b64 exec, exec, s[14:15]
.LBB1541_160:
	s_and_saveexec_b64 s[4:5], s[10:11]
; %bb.161:
	v_lshrrev_b32_e32 v20, 24, v21
	v_lshrrev_b32_e32 v41, 16, v21
	;; [unrolled: 1-line block ×3, first 2 shown]
	v_cndmask_b32_e64 v16, 0, 1, s[6:7]
; %bb.162:
	s_or_b64 exec, exec, s[4:5]
	s_andn2_b64 vcc, exec, s[8:9]
	s_cbranch_vccnz .LBB1541_166
; %bb.163:
	s_mov_b32 s4, 0xc0c0004
	v_perm_b32 v20, v41, v20, s4
	v_perm_b32 v16, v16, v42, s4
	v_lshlrev_b32_e32 v20, 16, v20
	v_or_b32_e32 v16, v16, v20
	v_cmp_gt_u32_e32 vcc, s3, v1
	v_add_u32_e32 v22, 1, v1
	v_perm_b32 v17, v17, v40, s4
	v_cndmask_b32_e32 v20, v20, v16, vcc
	v_and_b32_e32 v20, 0xffff00ff, v20
	v_cmp_gt_u32_e32 vcc, s3, v22
	v_add_u32_e32 v22, 2, v1
	s_mov_b32 s4, 0x40c0100
	v_cndmask_b32_e32 v20, v20, v16, vcc
	v_lshrrev_b32_e32 v23, 24, v20
	v_and_b32_e32 v19, 0xff, v19
	v_perm_b32 v20, v23, v20, s4
	v_cmp_gt_u32_e32 vcc, s3, v22
	v_lshlrev_b32_e32 v19, 16, v19
	v_add_u32_e32 v22, 3, v1
	v_cndmask_b32_e32 v20, v20, v16, vcc
	s_mov_b32 s4, 0xffff00
	v_or_b32_e32 v21, v17, v19
	v_and_b32_e32 v20, 0xffffff, v20
	v_cmp_gt_u32_e32 vcc, s3, v22
	v_bitop3_b32 v17, v17, s4, v19 bitop3:0xc8
	v_add_u32_e32 v19, 4, v1
	v_cndmask_b32_e32 v20, v20, v16, vcc
	v_cmp_gt_u32_e32 vcc, s3, v19
	v_add_u32_e32 v19, 5, v1
	v_cmp_gt_u32_e64 s[4:5], s3, v19
	v_cndmask_b32_e32 v17, v17, v21, vcc
	v_and_b32_e32 v17, 0xffff00ff, v17
	s_or_b64 vcc, s[4:5], vcc
	v_cndmask_b32_e64 v17, v17, v21, s[4:5]
	v_cndmask_b32_e32 v16, v20, v16, vcc
	v_add_u32_e32 v1, 6, v1
	v_lshrrev_b32_e32 v41, 16, v16
	v_lshrrev_b32_e32 v42, 8, v16
	v_lshrrev_b64 v[20:21], 24, v[16:17]
	v_lshrrev_b32_e32 v19, 16, v17
	v_lshrrev_b32_e32 v40, 8, v17
	v_cmp_le_u32_e32 vcc, s3, v1
	s_and_saveexec_b64 s[4:5], vcc
; %bb.164:
	v_mov_b32_e32 v19, 0
; %bb.165:
	s_or_b64 exec, exec, s[4:5]
.LBB1541_166:
	v_and_b32_e32 v1, 0xff, v16
	v_and_b32_e32 v21, 0xff, v42
	;; [unrolled: 1-line block ×5, first 2 shown]
	v_add3_u32 v23, v21, v1, v33
	v_and_b32_e32 v39, 0xff, v40
	v_and_b32_e32 v22, 0xff, v19
	v_add3_u32 v23, v23, v35, v37
	v_add3_u32 v45, v23, v39, v22
	v_mbcnt_lo_u32_b32 v22, -1, 0
	v_mbcnt_hi_u32_b32 v43, -1, v22
	v_and_b32_e32 v22, 15, v43
	v_cmp_eq_u32_e64 s[14:15], 0, v22
	v_cmp_lt_u32_e64 s[12:13], 1, v22
	v_cmp_lt_u32_e64 s[10:11], 3, v22
	;; [unrolled: 1-line block ×3, first 2 shown]
	v_and_b32_e32 v22, 16, v43
	v_cmp_eq_u32_e64 s[6:7], 0, v22
	v_or_b32_e32 v22, 63, v0
	v_cmp_lt_u32_e64 s[18:19], 31, v43
	v_lshrrev_b32_e32 v44, 6, v0
	v_cmp_eq_u32_e64 s[4:5], v0, v22
	s_and_b64 vcc, exec, s[16:17]
	s_waitcnt lgkmcnt(0)
	s_barrier
	s_cbranch_vccz .LBB1541_188
; %bb.167:
	v_mov_b32_dpp v22, v45 row_shr:1 row_mask:0xf bank_mask:0xf
	v_cndmask_b32_e64 v22, v22, 0, s[14:15]
	v_add_u32_e32 v22, v22, v45
	s_nop 1
	v_mov_b32_dpp v23, v22 row_shr:2 row_mask:0xf bank_mask:0xf
	v_cndmask_b32_e64 v23, 0, v23, s[12:13]
	v_add_u32_e32 v22, v22, v23
	s_nop 1
	;; [unrolled: 4-line block ×4, first 2 shown]
	v_mov_b32_dpp v23, v22 row_bcast:15 row_mask:0xf bank_mask:0xf
	v_cndmask_b32_e64 v23, v23, 0, s[6:7]
	v_add_u32_e32 v22, v22, v23
	s_nop 1
	v_mov_b32_dpp v23, v22 row_bcast:31 row_mask:0xf bank_mask:0xf
	v_cndmask_b32_e64 v23, 0, v23, s[18:19]
	v_add_u32_e32 v22, v22, v23
	s_and_saveexec_b64 s[16:17], s[4:5]
; %bb.168:
	v_lshlrev_b32_e32 v23, 2, v44
	ds_write_b32 v23, v22
; %bb.169:
	s_or_b64 exec, exec, s[16:17]
	v_cmp_gt_u32_e32 vcc, 8, v0
	s_waitcnt lgkmcnt(0)
	s_barrier
	s_and_saveexec_b64 s[16:17], vcc
	s_cbranch_execz .LBB1541_171
; %bb.170:
	v_lshlrev_b32_e32 v23, 2, v0
	ds_read_b32 v24, v23
	v_and_b32_e32 v25, 7, v43
	v_cmp_ne_u32_e32 vcc, 0, v25
	s_waitcnt lgkmcnt(0)
	v_mov_b32_dpp v26, v24 row_shr:1 row_mask:0xf bank_mask:0xf
	v_cndmask_b32_e32 v26, 0, v26, vcc
	v_add_u32_e32 v24, v26, v24
	v_cmp_lt_u32_e32 vcc, 1, v25
	s_nop 0
	v_mov_b32_dpp v26, v24 row_shr:2 row_mask:0xf bank_mask:0xf
	v_cndmask_b32_e32 v26, 0, v26, vcc
	v_add_u32_e32 v24, v24, v26
	v_cmp_lt_u32_e32 vcc, 3, v25
	s_nop 0
	v_mov_b32_dpp v26, v24 row_shr:4 row_mask:0xf bank_mask:0xf
	v_cndmask_b32_e32 v25, 0, v26, vcc
	v_add_u32_e32 v24, v24, v25
	ds_write_b32 v23, v24
.LBB1541_171:
	s_or_b64 exec, exec, s[16:17]
	v_cmp_gt_u32_e32 vcc, 64, v0
	v_cmp_lt_u32_e64 s[16:17], 63, v0
	s_waitcnt lgkmcnt(0)
	s_barrier
                                        ; implicit-def: $vgpr32
	s_and_saveexec_b64 s[20:21], s[16:17]
	s_cbranch_execz .LBB1541_173
; %bb.172:
	v_lshl_add_u32 v23, v44, 2, -4
	ds_read_b32 v32, v23
	s_waitcnt lgkmcnt(0)
	v_add_u32_e32 v22, v32, v22
.LBB1541_173:
	s_or_b64 exec, exec, s[20:21]
	v_subrev_co_u32_e64 v23, s[16:17], 1, v43
	v_and_b32_e32 v24, 64, v43
	v_cmp_lt_i32_e64 s[20:21], v23, v24
	s_nop 1
	v_cndmask_b32_e64 v23, v23, v43, s[20:21]
	v_lshlrev_b32_e32 v23, 2, v23
	ds_bpermute_b32 v34, v23, v22
	s_and_saveexec_b64 s[20:21], vcc
	s_cbranch_execz .LBB1541_193
; %bb.174:
	v_mov_b32_e32 v29, 0
	ds_read_b32 v22, v29 offset:28
	s_and_saveexec_b64 s[30:31], s[16:17]
	s_cbranch_execz .LBB1541_176
; %bb.175:
	s_add_i32 s36, s2, 64
	s_mov_b32 s37, 0
	s_lshl_b64 s[36:37], s[36:37], 3
	s_add_u32 s36, s22, s36
	v_mov_b32_e32 v23, 1
	s_addc_u32 s37, s23, s37
	s_waitcnt lgkmcnt(0)
	global_store_dwordx2 v29, v[22:23], s[36:37] sc1
.LBB1541_176:
	s_or_b64 exec, exec, s[30:31]
	v_xad_u32 v24, v43, -1, s2
	v_add_u32_e32 v28, 64, v24
	v_lshl_add_u64 v[30:31], v[28:29], 3, s[22:23]
	global_load_dwordx2 v[26:27], v[30:31], off sc1
	s_waitcnt vmcnt(0)
	v_cmp_eq_u16_sdwa s[36:37], v27, v29 src0_sel:BYTE_0 src1_sel:DWORD
	s_and_saveexec_b64 s[30:31], s[36:37]
	s_cbranch_execz .LBB1541_180
; %bb.177:
	s_mov_b64 s[36:37], 0
	v_mov_b32_e32 v23, 0
.LBB1541_178:                           ; =>This Inner Loop Header: Depth=1
	global_load_dwordx2 v[26:27], v[30:31], off sc1
	s_waitcnt vmcnt(0)
	v_cmp_ne_u16_sdwa s[38:39], v27, v23 src0_sel:BYTE_0 src1_sel:DWORD
	s_or_b64 s[36:37], s[38:39], s[36:37]
	s_andn2_b64 exec, exec, s[36:37]
	s_cbranch_execnz .LBB1541_178
; %bb.179:
	s_or_b64 exec, exec, s[36:37]
.LBB1541_180:
	s_or_b64 exec, exec, s[30:31]
	v_and_b32_e32 v38, 63, v43
	v_mov_b32_e32 v36, 2
	v_cmp_ne_u32_e32 vcc, 63, v38
	v_cmp_eq_u16_sdwa s[30:31], v27, v36 src0_sel:BYTE_0 src1_sel:DWORD
	v_lshlrev_b64 v[28:29], v43, -1
	v_addc_co_u32_e32 v30, vcc, 0, v43, vcc
	v_and_b32_e32 v23, s31, v29
	v_lshlrev_b32_e32 v46, 2, v30
	v_or_b32_e32 v23, 0x80000000, v23
	ds_bpermute_b32 v30, v46, v26
	v_and_b32_e32 v25, s30, v28
	v_ffbl_b32_e32 v23, v23
	v_add_u32_e32 v23, 32, v23
	v_ffbl_b32_e32 v25, v25
	v_min_u32_e32 v23, v25, v23
	v_cmp_lt_u32_e32 vcc, v38, v23
	v_add_u32_e32 v48, 2, v38
	v_add_u32_e32 v50, 4, v38
	s_waitcnt lgkmcnt(0)
	v_cndmask_b32_e32 v25, 0, v30, vcc
	v_cmp_gt_u32_e32 vcc, 62, v38
	v_add_u32_e32 v25, v25, v26
	v_add_u32_e32 v52, 8, v38
	v_cndmask_b32_e64 v26, 0, 2, vcc
	v_add_lshl_u32 v47, v26, v43, 2
	ds_bpermute_b32 v26, v47, v25
	v_cmp_le_u32_e32 vcc, v48, v23
	v_add_u32_e32 v54, 16, v38
	v_add_u32_e32 v56, 32, v38
	s_waitcnt lgkmcnt(0)
	v_cndmask_b32_e32 v26, 0, v26, vcc
	v_cmp_gt_u32_e32 vcc, 60, v38
	v_add_u32_e32 v25, v25, v26
	s_nop 0
	v_cndmask_b32_e64 v26, 0, 4, vcc
	v_add_lshl_u32 v49, v26, v43, 2
	ds_bpermute_b32 v26, v49, v25
	v_cmp_le_u32_e32 vcc, v50, v23
	s_waitcnt lgkmcnt(0)
	s_nop 0
	v_cndmask_b32_e32 v26, 0, v26, vcc
	v_cmp_gt_u32_e32 vcc, 56, v38
	v_add_u32_e32 v25, v25, v26
	s_nop 0
	v_cndmask_b32_e64 v26, 0, 8, vcc
	v_add_lshl_u32 v51, v26, v43, 2
	ds_bpermute_b32 v26, v51, v25
	v_cmp_le_u32_e32 vcc, v52, v23
	s_waitcnt lgkmcnt(0)
	s_nop 0
	;; [unrolled: 10-line block ×3, first 2 shown]
	v_cndmask_b32_e32 v26, 0, v26, vcc
	v_add_u32_e32 v25, v25, v26
	v_mov_b32_e32 v26, 0x80
	v_lshl_or_b32 v55, v43, 2, v26
	ds_bpermute_b32 v26, v55, v25
	v_cmp_le_u32_e32 vcc, v56, v23
	s_waitcnt lgkmcnt(0)
	s_nop 0
	v_cndmask_b32_e32 v23, 0, v26, vcc
	v_add_u32_e32 v26, v25, v23
	v_mov_b32_e32 v25, 0
	s_branch .LBB1541_183
.LBB1541_181:                           ;   in Loop: Header=BB1541_183 Depth=1
	s_or_b64 exec, exec, s[30:31]
	v_cmp_eq_u16_sdwa s[30:31], v27, v36 src0_sel:BYTE_0 src1_sel:DWORD
	ds_bpermute_b32 v57, v46, v26
	v_subrev_u32_e32 v24, 64, v24
	v_and_b32_e32 v30, s31, v29
	v_or_b32_e32 v30, 0x80000000, v30
	v_and_b32_e32 v31, s30, v28
	v_ffbl_b32_e32 v30, v30
	v_add_u32_e32 v30, 32, v30
	v_ffbl_b32_e32 v31, v31
	v_min_u32_e32 v30, v31, v30
	v_cmp_lt_u32_e32 vcc, v38, v30
	s_mov_b64 s[30:31], 0
	s_waitcnt lgkmcnt(0)
	v_cndmask_b32_e32 v31, 0, v57, vcc
	v_add_u32_e32 v26, v31, v26
	ds_bpermute_b32 v31, v47, v26
	v_cmp_le_u32_e32 vcc, v48, v30
	s_waitcnt lgkmcnt(0)
	s_nop 0
	v_cndmask_b32_e32 v31, 0, v31, vcc
	v_add_u32_e32 v26, v26, v31
	ds_bpermute_b32 v31, v49, v26
	v_cmp_le_u32_e32 vcc, v50, v30
	s_waitcnt lgkmcnt(0)
	s_nop 0
	;; [unrolled: 6-line block ×5, first 2 shown]
	v_cndmask_b32_e32 v30, 0, v31, vcc
	v_add3_u32 v26, v30, v23, v26
.LBB1541_182:                           ;   in Loop: Header=BB1541_183 Depth=1
	s_and_b64 vcc, exec, s[30:31]
	s_cbranch_vccnz .LBB1541_189
.LBB1541_183:                           ; =>This Loop Header: Depth=1
                                        ;     Child Loop BB1541_186 Depth 2
	v_cmp_ne_u16_sdwa s[30:31], v27, v36 src0_sel:BYTE_0 src1_sel:DWORD
	v_mov_b32_e32 v23, v26
	s_cmp_lg_u64 s[30:31], exec
	s_mov_b64 s[30:31], -1
                                        ; implicit-def: $vgpr26
                                        ; implicit-def: $vgpr27
	s_cbranch_scc1 .LBB1541_182
; %bb.184:                              ;   in Loop: Header=BB1541_183 Depth=1
	v_lshl_add_u64 v[30:31], v[24:25], 3, s[22:23]
	global_load_dwordx2 v[26:27], v[30:31], off sc1
	s_waitcnt vmcnt(0)
	v_cmp_eq_u16_sdwa s[36:37], v27, v25 src0_sel:BYTE_0 src1_sel:DWORD
	s_and_saveexec_b64 s[30:31], s[36:37]
	s_cbranch_execz .LBB1541_181
; %bb.185:                              ;   in Loop: Header=BB1541_183 Depth=1
	s_mov_b64 s[36:37], 0
.LBB1541_186:                           ;   Parent Loop BB1541_183 Depth=1
                                        ; =>  This Inner Loop Header: Depth=2
	global_load_dwordx2 v[26:27], v[30:31], off sc1
	s_waitcnt vmcnt(0)
	v_cmp_ne_u16_sdwa s[38:39], v27, v25 src0_sel:BYTE_0 src1_sel:DWORD
	s_or_b64 s[36:37], s[38:39], s[36:37]
	s_andn2_b64 exec, exec, s[36:37]
	s_cbranch_execnz .LBB1541_186
; %bb.187:                              ;   in Loop: Header=BB1541_183 Depth=1
	s_or_b64 exec, exec, s[36:37]
	s_branch .LBB1541_181
.LBB1541_188:
                                        ; implicit-def: $vgpr26
                                        ; implicit-def: $vgpr28
                                        ; implicit-def: $vgpr30
                                        ; implicit-def: $vgpr32
                                        ; implicit-def: $vgpr34
                                        ; implicit-def: $vgpr36
                                        ; implicit-def: $vgpr38
                                        ; implicit-def: $vgpr24
                                        ; implicit-def: $vgpr22
	s_load_dwordx2 s[2:3], s[0:1], 0x28
	s_cbranch_execnz .LBB1541_194
	s_branch .LBB1541_203
.LBB1541_189:
	s_and_saveexec_b64 s[30:31], s[16:17]
	s_cbranch_execz .LBB1541_191
; %bb.190:
	s_add_i32 s2, s2, 64
	s_mov_b32 s3, 0
	s_lshl_b64 s[2:3], s[2:3], 3
	s_add_u32 s2, s22, s2
	v_add_u32_e32 v24, v23, v22
	v_mov_b32_e32 v25, 2
	s_addc_u32 s3, s23, s3
	v_mov_b32_e32 v26, 0
	global_store_dwordx2 v26, v[24:25], s[2:3] sc1
	ds_write_b64 v26, v[22:23] offset:28672
.LBB1541_191:
	s_or_b64 exec, exec, s[30:31]
	v_cmp_eq_u32_e32 vcc, 0, v0
	s_and_b64 exec, exec, vcc
; %bb.192:
	v_mov_b32_e32 v22, 0
	ds_write_b32 v22, v23 offset:28
.LBB1541_193:
	s_or_b64 exec, exec, s[20:21]
	v_mov_b32_e32 v22, 0
	s_waitcnt lgkmcnt(0)
	s_barrier
	ds_read_b32 v23, v22 offset:28
	v_cndmask_b32_e64 v24, v34, v32, s[16:17]
	v_cmp_ne_u32_e32 vcc, 0, v0
	s_waitcnt lgkmcnt(0)
	s_barrier
	v_cndmask_b32_e32 v24, 0, v24, vcc
	v_add_u32_e32 v38, v23, v24
	v_add_u32_e32 v36, v38, v1
	ds_read_b64 v[22:23], v22 offset:28672
	v_add_u32_e32 v34, v36, v21
	v_add_u32_e32 v32, v34, v33
	v_add_u32_e32 v30, v32, v35
	v_add_u32_e32 v28, v30, v37
	v_add_u32_e32 v26, v28, v39
	s_waitcnt lgkmcnt(0)
	v_mov_b32_e32 v24, v23
	s_load_dwordx2 s[2:3], s[0:1], 0x28
	s_branch .LBB1541_203
.LBB1541_194:
	v_mov_b32_dpp v22, v45 row_shr:1 row_mask:0xf bank_mask:0xf
	v_cndmask_b32_e64 v22, v22, 0, s[14:15]
	v_add_u32_e32 v22, v22, v45
	s_nop 1
	v_mov_b32_dpp v23, v22 row_shr:2 row_mask:0xf bank_mask:0xf
	v_cndmask_b32_e64 v23, 0, v23, s[12:13]
	v_add_u32_e32 v22, v22, v23
	s_nop 1
	;; [unrolled: 4-line block ×4, first 2 shown]
	v_mov_b32_dpp v23, v22 row_bcast:15 row_mask:0xf bank_mask:0xf
	v_cndmask_b32_e64 v23, v23, 0, s[6:7]
	v_add_u32_e32 v22, v22, v23
	s_nop 1
	v_mov_b32_dpp v23, v22 row_bcast:31 row_mask:0xf bank_mask:0xf
	v_cndmask_b32_e64 v23, 0, v23, s[18:19]
	v_add_u32_e32 v22, v22, v23
	s_and_saveexec_b64 s[0:1], s[4:5]
; %bb.195:
	v_lshlrev_b32_e32 v23, 2, v44
	ds_write_b32 v23, v22
; %bb.196:
	s_or_b64 exec, exec, s[0:1]
	v_cmp_gt_u32_e32 vcc, 8, v0
	s_waitcnt lgkmcnt(0)
	s_barrier
	s_and_saveexec_b64 s[0:1], vcc
	s_cbranch_execz .LBB1541_198
; %bb.197:
	v_lshlrev_b32_e32 v23, 2, v0
	ds_read_b32 v24, v23
	v_and_b32_e32 v25, 7, v43
	v_cmp_ne_u32_e32 vcc, 0, v25
	s_waitcnt lgkmcnt(0)
	v_mov_b32_dpp v26, v24 row_shr:1 row_mask:0xf bank_mask:0xf
	v_cndmask_b32_e32 v26, 0, v26, vcc
	v_add_u32_e32 v24, v26, v24
	v_cmp_lt_u32_e32 vcc, 1, v25
	s_nop 0
	v_mov_b32_dpp v26, v24 row_shr:2 row_mask:0xf bank_mask:0xf
	v_cndmask_b32_e32 v26, 0, v26, vcc
	v_add_u32_e32 v24, v24, v26
	v_cmp_lt_u32_e32 vcc, 3, v25
	s_nop 0
	v_mov_b32_dpp v26, v24 row_shr:4 row_mask:0xf bank_mask:0xf
	v_cndmask_b32_e32 v25, 0, v26, vcc
	v_add_u32_e32 v24, v24, v25
	ds_write_b32 v23, v24
.LBB1541_198:
	s_or_b64 exec, exec, s[0:1]
	v_cmp_lt_u32_e32 vcc, 63, v0
	v_mov_b32_e32 v23, 0
	v_mov_b32_e32 v24, 0
	s_waitcnt lgkmcnt(0)
	s_barrier
	s_and_saveexec_b64 s[0:1], vcc
; %bb.199:
	v_lshl_add_u32 v24, v44, 2, -4
	ds_read_b32 v24, v24
; %bb.200:
	s_or_b64 exec, exec, s[0:1]
	v_subrev_co_u32_e32 v25, vcc, 1, v43
	v_and_b32_e32 v26, 64, v43
	v_cmp_lt_i32_e64 s[0:1], v25, v26
	s_waitcnt lgkmcnt(0)
	v_add_u32_e32 v22, v24, v22
	v_cndmask_b32_e64 v25, v25, v43, s[0:1]
	v_lshlrev_b32_e32 v25, 2, v25
	ds_bpermute_b32 v25, v25, v22
	ds_read_b32 v22, v23 offset:28
	v_cmp_eq_u32_e64 s[0:1], 0, v0
	s_and_saveexec_b64 s[4:5], s[0:1]
	s_cbranch_execz .LBB1541_202
; %bb.201:
	v_mov_b32_e32 v26, 0
	v_mov_b32_e32 v23, 2
	s_waitcnt lgkmcnt(0)
	global_store_dwordx2 v26, v[22:23], s[22:23] offset:512 sc1
.LBB1541_202:
	s_or_b64 exec, exec, s[4:5]
	s_waitcnt lgkmcnt(1)
	v_cndmask_b32_e32 v23, v25, v24, vcc
	v_cndmask_b32_e64 v38, v23, 0, s[0:1]
	v_add_u32_e32 v36, v38, v1
	v_add_u32_e32 v34, v36, v21
	;; [unrolled: 1-line block ×6, first 2 shown]
	s_waitcnt lgkmcnt(0)
	s_barrier
	v_mov_b32_e32 v24, 0
.LBB1541_203:
	s_movk_i32 s0, 0x201
	v_cmp_gt_u32_e32 vcc, s0, v22
	v_and_b32_e32 v1, 1, v16
	s_mov_b64 s[4:5], -1
	v_cmp_eq_u32_e64 s[0:1], 1, v1
	s_cbranch_vccnz .LBB1541_207
; %bb.204:
	s_and_b64 vcc, exec, s[4:5]
	s_cbranch_vccnz .LBB1541_222
.LBB1541_205:
	v_cmp_eq_u32_e32 vcc, 0, v0
	s_and_b64 s[0:1], vcc, s[28:29]
	s_waitcnt lgkmcnt(0)
	s_and_saveexec_b64 s[2:3], s[0:1]
	s_cbranch_execnz .LBB1541_239
.LBB1541_206:
	s_endpgm
.LBB1541_207:
	v_add_u32_e32 v16, v24, v22
	v_cmp_lt_u32_e32 vcc, v38, v16
	s_or_b64 s[4:5], s[34:35], vcc
	s_and_b64 s[4:5], s[4:5], s[0:1]
	s_and_saveexec_b64 s[0:1], s[4:5]
	s_cbranch_execz .LBB1541_209
; %bb.208:
	s_lshl_b64 s[4:5], s[26:27], 3
	s_waitcnt lgkmcnt(0)
	s_add_u32 s4, s2, s4
	s_addc_u32 s5, s3, s5
	v_mov_b32_e32 v39, 0
	v_lshl_add_u64 v[44:45], v[38:39], 3, s[4:5]
	global_store_dwordx2 v[44:45], v[10:11], off
.LBB1541_209:
	s_or_b64 exec, exec, s[0:1]
	v_cmp_lt_u32_e32 vcc, v36, v16
	v_and_b32_e32 v21, 1, v42
	s_or_b64 s[0:1], s[34:35], vcc
	v_cmp_eq_u32_e32 vcc, 1, v21
	s_and_b64 s[4:5], s[0:1], vcc
	s_and_saveexec_b64 s[0:1], s[4:5]
	s_cbranch_execz .LBB1541_211
; %bb.210:
	s_lshl_b64 s[4:5], s[26:27], 3
	s_waitcnt lgkmcnt(0)
	s_add_u32 s4, s2, s4
	s_addc_u32 s5, s3, s5
	v_mov_b32_e32 v37, 0
	v_lshl_add_u64 v[44:45], v[36:37], 3, s[4:5]
	global_store_dwordx2 v[44:45], v[12:13], off
.LBB1541_211:
	s_or_b64 exec, exec, s[0:1]
	v_cmp_lt_u32_e32 vcc, v34, v16
	v_and_b32_e32 v21, 1, v41
	s_or_b64 s[0:1], s[34:35], vcc
	v_cmp_eq_u32_e32 vcc, 1, v21
	s_and_b64 s[4:5], s[0:1], vcc
	;; [unrolled: 17-line block ×6, first 2 shown]
	s_and_saveexec_b64 s[0:1], s[4:5]
	s_cbranch_execz .LBB1541_221
; %bb.220:
	s_lshl_b64 s[4:5], s[26:27], 3
	s_waitcnt lgkmcnt(0)
	s_add_u32 s4, s2, s4
	s_addc_u32 s5, s3, s5
	v_mov_b32_e32 v27, 0
	v_lshl_add_u64 v[44:45], v[26:27], 3, s[4:5]
	global_store_dwordx2 v[44:45], v[14:15], off
.LBB1541_221:
	s_or_b64 exec, exec, s[0:1]
	s_branch .LBB1541_205
.LBB1541_222:
	v_cmp_eq_u32_e32 vcc, 1, v1
	s_and_saveexec_b64 s[0:1], vcc
; %bb.223:
	v_sub_u32_e32 v1, v38, v24
	v_lshlrev_b32_e32 v1, 3, v1
	ds_write_b64 v1, v[10:11]
; %bb.224:
	s_or_b64 exec, exec, s[0:1]
	v_and_b32_e32 v1, 1, v42
	v_cmp_eq_u32_e32 vcc, 1, v1
	s_and_saveexec_b64 s[0:1], vcc
; %bb.225:
	v_sub_u32_e32 v1, v36, v24
	v_lshlrev_b32_e32 v1, 3, v1
	ds_write_b64 v1, v[12:13]
; %bb.226:
	s_or_b64 exec, exec, s[0:1]
	v_and_b32_e32 v1, 1, v41
	;; [unrolled: 9-line block ×6, first 2 shown]
	v_cmp_eq_u32_e32 vcc, 1, v1
	s_and_saveexec_b64 s[0:1], vcc
; %bb.235:
	v_sub_u32_e32 v1, v26, v24
	v_lshlrev_b32_e32 v1, 3, v1
	ds_write_b64 v1, v[14:15]
; %bb.236:
	s_or_b64 exec, exec, s[0:1]
	v_mov_b32_e32 v25, 0
	s_lshl_b64 s[0:1], s[26:27], 3
	v_lshlrev_b64 v[2:3], 3, v[24:25]
	v_lshl_add_u64 v[2:3], s[0:1], 0, v[2:3]
	v_mov_b32_e32 v19, v25
	s_waitcnt lgkmcnt(0)
	v_lshl_add_u64 v[2:3], s[2:3], 0, v[2:3]
	v_lshl_add_u64 v[2:3], v[2:3], 0, v[18:19]
	s_mov_b64 s[0:1], 0
	s_mov_b64 s[2:3], 0x1000
	v_mov_b32_e32 v1, v0
	s_barrier
.LBB1541_237:                           ; =>This Inner Loop Header: Depth=1
	ds_read_b64 v[4:5], v18
	v_add_u32_e32 v1, 0x200, v1
	v_cmp_ge_u32_e32 vcc, v1, v22
	v_add_u32_e32 v18, 0x1000, v18
	s_or_b64 s[0:1], vcc, s[0:1]
	s_waitcnt lgkmcnt(0)
	global_store_dwordx2 v[2:3], v[4:5], off
	v_lshl_add_u64 v[2:3], v[2:3], 0, s[2:3]
	s_andn2_b64 exec, exec, s[0:1]
	s_cbranch_execnz .LBB1541_237
; %bb.238:
	s_or_b64 exec, exec, s[0:1]
	v_cmp_eq_u32_e32 vcc, 0, v0
	s_and_b64 s[0:1], vcc, s[28:29]
	s_and_saveexec_b64 s[2:3], s[0:1]
	s_cbranch_execz .LBB1541_206
.LBB1541_239:
	v_mov_b32_e32 v23, 0
	v_lshl_add_u64 v[0:1], s[26:27], 0, v[22:23]
	v_mov_b32_e32 v25, v23
	v_lshl_add_u64 v[0:1], v[0:1], 0, v[24:25]
	global_store_dwordx2 v23, v[0:1], s[24:25]
	s_endpgm
	.section	.rodata,"a",@progbits
	.p2align	6, 0x0
	.amdhsa_kernel _ZN7rocprim17ROCPRIM_400000_NS6detail17trampoline_kernelINS0_14default_configENS1_25partition_config_selectorILNS1_17partition_subalgoE8ElNS0_10empty_typeEbEEZZNS1_14partition_implILS5_8ELb0ES3_jPlPS6_PKS6_NS0_5tupleIJS9_S6_EEENSD_IJSA_SA_EEENS0_18inequality_wrapperIZN2at6native12_GLOBAL__N_124unique_dim_cuda_templateIjEESt5tupleIJNSH_6TensorESM_SM_EERKSM_lbbbEUlllE0_EEPmJS6_EEE10hipError_tPvRmT3_T4_T5_T6_T7_T9_mT8_P12ihipStream_tbDpT10_ENKUlT_T0_E_clISt17integral_constantIbLb0EES1C_EEDaS17_S18_EUlS17_E_NS1_11comp_targetILNS1_3genE0ELNS1_11target_archE4294967295ELNS1_3gpuE0ELNS1_3repE0EEENS1_30default_config_static_selectorELNS0_4arch9wavefront6targetE1EEEvT1_
		.amdhsa_group_segment_fixed_size 28680
		.amdhsa_private_segment_fixed_size 0
		.amdhsa_kernarg_size 120
		.amdhsa_user_sgpr_count 2
		.amdhsa_user_sgpr_dispatch_ptr 0
		.amdhsa_user_sgpr_queue_ptr 0
		.amdhsa_user_sgpr_kernarg_segment_ptr 1
		.amdhsa_user_sgpr_dispatch_id 0
		.amdhsa_user_sgpr_kernarg_preload_length 0
		.amdhsa_user_sgpr_kernarg_preload_offset 0
		.amdhsa_user_sgpr_private_segment_size 0
		.amdhsa_uses_dynamic_stack 0
		.amdhsa_enable_private_segment 0
		.amdhsa_system_sgpr_workgroup_id_x 1
		.amdhsa_system_sgpr_workgroup_id_y 0
		.amdhsa_system_sgpr_workgroup_id_z 0
		.amdhsa_system_sgpr_workgroup_info 0
		.amdhsa_system_vgpr_workitem_id 0
		.amdhsa_next_free_vgpr 58
		.amdhsa_next_free_sgpr 50
		.amdhsa_accum_offset 60
		.amdhsa_reserve_vcc 1
		.amdhsa_float_round_mode_32 0
		.amdhsa_float_round_mode_16_64 0
		.amdhsa_float_denorm_mode_32 3
		.amdhsa_float_denorm_mode_16_64 3
		.amdhsa_dx10_clamp 1
		.amdhsa_ieee_mode 1
		.amdhsa_fp16_overflow 0
		.amdhsa_tg_split 0
		.amdhsa_exception_fp_ieee_invalid_op 0
		.amdhsa_exception_fp_denorm_src 0
		.amdhsa_exception_fp_ieee_div_zero 0
		.amdhsa_exception_fp_ieee_overflow 0
		.amdhsa_exception_fp_ieee_underflow 0
		.amdhsa_exception_fp_ieee_inexact 0
		.amdhsa_exception_int_div_zero 0
	.end_amdhsa_kernel
	.section	.text._ZN7rocprim17ROCPRIM_400000_NS6detail17trampoline_kernelINS0_14default_configENS1_25partition_config_selectorILNS1_17partition_subalgoE8ElNS0_10empty_typeEbEEZZNS1_14partition_implILS5_8ELb0ES3_jPlPS6_PKS6_NS0_5tupleIJS9_S6_EEENSD_IJSA_SA_EEENS0_18inequality_wrapperIZN2at6native12_GLOBAL__N_124unique_dim_cuda_templateIjEESt5tupleIJNSH_6TensorESM_SM_EERKSM_lbbbEUlllE0_EEPmJS6_EEE10hipError_tPvRmT3_T4_T5_T6_T7_T9_mT8_P12ihipStream_tbDpT10_ENKUlT_T0_E_clISt17integral_constantIbLb0EES1C_EEDaS17_S18_EUlS17_E_NS1_11comp_targetILNS1_3genE0ELNS1_11target_archE4294967295ELNS1_3gpuE0ELNS1_3repE0EEENS1_30default_config_static_selectorELNS0_4arch9wavefront6targetE1EEEvT1_,"axG",@progbits,_ZN7rocprim17ROCPRIM_400000_NS6detail17trampoline_kernelINS0_14default_configENS1_25partition_config_selectorILNS1_17partition_subalgoE8ElNS0_10empty_typeEbEEZZNS1_14partition_implILS5_8ELb0ES3_jPlPS6_PKS6_NS0_5tupleIJS9_S6_EEENSD_IJSA_SA_EEENS0_18inequality_wrapperIZN2at6native12_GLOBAL__N_124unique_dim_cuda_templateIjEESt5tupleIJNSH_6TensorESM_SM_EERKSM_lbbbEUlllE0_EEPmJS6_EEE10hipError_tPvRmT3_T4_T5_T6_T7_T9_mT8_P12ihipStream_tbDpT10_ENKUlT_T0_E_clISt17integral_constantIbLb0EES1C_EEDaS17_S18_EUlS17_E_NS1_11comp_targetILNS1_3genE0ELNS1_11target_archE4294967295ELNS1_3gpuE0ELNS1_3repE0EEENS1_30default_config_static_selectorELNS0_4arch9wavefront6targetE1EEEvT1_,comdat
.Lfunc_end1541:
	.size	_ZN7rocprim17ROCPRIM_400000_NS6detail17trampoline_kernelINS0_14default_configENS1_25partition_config_selectorILNS1_17partition_subalgoE8ElNS0_10empty_typeEbEEZZNS1_14partition_implILS5_8ELb0ES3_jPlPS6_PKS6_NS0_5tupleIJS9_S6_EEENSD_IJSA_SA_EEENS0_18inequality_wrapperIZN2at6native12_GLOBAL__N_124unique_dim_cuda_templateIjEESt5tupleIJNSH_6TensorESM_SM_EERKSM_lbbbEUlllE0_EEPmJS6_EEE10hipError_tPvRmT3_T4_T5_T6_T7_T9_mT8_P12ihipStream_tbDpT10_ENKUlT_T0_E_clISt17integral_constantIbLb0EES1C_EEDaS17_S18_EUlS17_E_NS1_11comp_targetILNS1_3genE0ELNS1_11target_archE4294967295ELNS1_3gpuE0ELNS1_3repE0EEENS1_30default_config_static_selectorELNS0_4arch9wavefront6targetE1EEEvT1_, .Lfunc_end1541-_ZN7rocprim17ROCPRIM_400000_NS6detail17trampoline_kernelINS0_14default_configENS1_25partition_config_selectorILNS1_17partition_subalgoE8ElNS0_10empty_typeEbEEZZNS1_14partition_implILS5_8ELb0ES3_jPlPS6_PKS6_NS0_5tupleIJS9_S6_EEENSD_IJSA_SA_EEENS0_18inequality_wrapperIZN2at6native12_GLOBAL__N_124unique_dim_cuda_templateIjEESt5tupleIJNSH_6TensorESM_SM_EERKSM_lbbbEUlllE0_EEPmJS6_EEE10hipError_tPvRmT3_T4_T5_T6_T7_T9_mT8_P12ihipStream_tbDpT10_ENKUlT_T0_E_clISt17integral_constantIbLb0EES1C_EEDaS17_S18_EUlS17_E_NS1_11comp_targetILNS1_3genE0ELNS1_11target_archE4294967295ELNS1_3gpuE0ELNS1_3repE0EEENS1_30default_config_static_selectorELNS0_4arch9wavefront6targetE1EEEvT1_
                                        ; -- End function
	.set _ZN7rocprim17ROCPRIM_400000_NS6detail17trampoline_kernelINS0_14default_configENS1_25partition_config_selectorILNS1_17partition_subalgoE8ElNS0_10empty_typeEbEEZZNS1_14partition_implILS5_8ELb0ES3_jPlPS6_PKS6_NS0_5tupleIJS9_S6_EEENSD_IJSA_SA_EEENS0_18inequality_wrapperIZN2at6native12_GLOBAL__N_124unique_dim_cuda_templateIjEESt5tupleIJNSH_6TensorESM_SM_EERKSM_lbbbEUlllE0_EEPmJS6_EEE10hipError_tPvRmT3_T4_T5_T6_T7_T9_mT8_P12ihipStream_tbDpT10_ENKUlT_T0_E_clISt17integral_constantIbLb0EES1C_EEDaS17_S18_EUlS17_E_NS1_11comp_targetILNS1_3genE0ELNS1_11target_archE4294967295ELNS1_3gpuE0ELNS1_3repE0EEENS1_30default_config_static_selectorELNS0_4arch9wavefront6targetE1EEEvT1_.num_vgpr, 58
	.set _ZN7rocprim17ROCPRIM_400000_NS6detail17trampoline_kernelINS0_14default_configENS1_25partition_config_selectorILNS1_17partition_subalgoE8ElNS0_10empty_typeEbEEZZNS1_14partition_implILS5_8ELb0ES3_jPlPS6_PKS6_NS0_5tupleIJS9_S6_EEENSD_IJSA_SA_EEENS0_18inequality_wrapperIZN2at6native12_GLOBAL__N_124unique_dim_cuda_templateIjEESt5tupleIJNSH_6TensorESM_SM_EERKSM_lbbbEUlllE0_EEPmJS6_EEE10hipError_tPvRmT3_T4_T5_T6_T7_T9_mT8_P12ihipStream_tbDpT10_ENKUlT_T0_E_clISt17integral_constantIbLb0EES1C_EEDaS17_S18_EUlS17_E_NS1_11comp_targetILNS1_3genE0ELNS1_11target_archE4294967295ELNS1_3gpuE0ELNS1_3repE0EEENS1_30default_config_static_selectorELNS0_4arch9wavefront6targetE1EEEvT1_.num_agpr, 0
	.set _ZN7rocprim17ROCPRIM_400000_NS6detail17trampoline_kernelINS0_14default_configENS1_25partition_config_selectorILNS1_17partition_subalgoE8ElNS0_10empty_typeEbEEZZNS1_14partition_implILS5_8ELb0ES3_jPlPS6_PKS6_NS0_5tupleIJS9_S6_EEENSD_IJSA_SA_EEENS0_18inequality_wrapperIZN2at6native12_GLOBAL__N_124unique_dim_cuda_templateIjEESt5tupleIJNSH_6TensorESM_SM_EERKSM_lbbbEUlllE0_EEPmJS6_EEE10hipError_tPvRmT3_T4_T5_T6_T7_T9_mT8_P12ihipStream_tbDpT10_ENKUlT_T0_E_clISt17integral_constantIbLb0EES1C_EEDaS17_S18_EUlS17_E_NS1_11comp_targetILNS1_3genE0ELNS1_11target_archE4294967295ELNS1_3gpuE0ELNS1_3repE0EEENS1_30default_config_static_selectorELNS0_4arch9wavefront6targetE1EEEvT1_.numbered_sgpr, 50
	.set _ZN7rocprim17ROCPRIM_400000_NS6detail17trampoline_kernelINS0_14default_configENS1_25partition_config_selectorILNS1_17partition_subalgoE8ElNS0_10empty_typeEbEEZZNS1_14partition_implILS5_8ELb0ES3_jPlPS6_PKS6_NS0_5tupleIJS9_S6_EEENSD_IJSA_SA_EEENS0_18inequality_wrapperIZN2at6native12_GLOBAL__N_124unique_dim_cuda_templateIjEESt5tupleIJNSH_6TensorESM_SM_EERKSM_lbbbEUlllE0_EEPmJS6_EEE10hipError_tPvRmT3_T4_T5_T6_T7_T9_mT8_P12ihipStream_tbDpT10_ENKUlT_T0_E_clISt17integral_constantIbLb0EES1C_EEDaS17_S18_EUlS17_E_NS1_11comp_targetILNS1_3genE0ELNS1_11target_archE4294967295ELNS1_3gpuE0ELNS1_3repE0EEENS1_30default_config_static_selectorELNS0_4arch9wavefront6targetE1EEEvT1_.num_named_barrier, 0
	.set _ZN7rocprim17ROCPRIM_400000_NS6detail17trampoline_kernelINS0_14default_configENS1_25partition_config_selectorILNS1_17partition_subalgoE8ElNS0_10empty_typeEbEEZZNS1_14partition_implILS5_8ELb0ES3_jPlPS6_PKS6_NS0_5tupleIJS9_S6_EEENSD_IJSA_SA_EEENS0_18inequality_wrapperIZN2at6native12_GLOBAL__N_124unique_dim_cuda_templateIjEESt5tupleIJNSH_6TensorESM_SM_EERKSM_lbbbEUlllE0_EEPmJS6_EEE10hipError_tPvRmT3_T4_T5_T6_T7_T9_mT8_P12ihipStream_tbDpT10_ENKUlT_T0_E_clISt17integral_constantIbLb0EES1C_EEDaS17_S18_EUlS17_E_NS1_11comp_targetILNS1_3genE0ELNS1_11target_archE4294967295ELNS1_3gpuE0ELNS1_3repE0EEENS1_30default_config_static_selectorELNS0_4arch9wavefront6targetE1EEEvT1_.private_seg_size, 0
	.set _ZN7rocprim17ROCPRIM_400000_NS6detail17trampoline_kernelINS0_14default_configENS1_25partition_config_selectorILNS1_17partition_subalgoE8ElNS0_10empty_typeEbEEZZNS1_14partition_implILS5_8ELb0ES3_jPlPS6_PKS6_NS0_5tupleIJS9_S6_EEENSD_IJSA_SA_EEENS0_18inequality_wrapperIZN2at6native12_GLOBAL__N_124unique_dim_cuda_templateIjEESt5tupleIJNSH_6TensorESM_SM_EERKSM_lbbbEUlllE0_EEPmJS6_EEE10hipError_tPvRmT3_T4_T5_T6_T7_T9_mT8_P12ihipStream_tbDpT10_ENKUlT_T0_E_clISt17integral_constantIbLb0EES1C_EEDaS17_S18_EUlS17_E_NS1_11comp_targetILNS1_3genE0ELNS1_11target_archE4294967295ELNS1_3gpuE0ELNS1_3repE0EEENS1_30default_config_static_selectorELNS0_4arch9wavefront6targetE1EEEvT1_.uses_vcc, 1
	.set _ZN7rocprim17ROCPRIM_400000_NS6detail17trampoline_kernelINS0_14default_configENS1_25partition_config_selectorILNS1_17partition_subalgoE8ElNS0_10empty_typeEbEEZZNS1_14partition_implILS5_8ELb0ES3_jPlPS6_PKS6_NS0_5tupleIJS9_S6_EEENSD_IJSA_SA_EEENS0_18inequality_wrapperIZN2at6native12_GLOBAL__N_124unique_dim_cuda_templateIjEESt5tupleIJNSH_6TensorESM_SM_EERKSM_lbbbEUlllE0_EEPmJS6_EEE10hipError_tPvRmT3_T4_T5_T6_T7_T9_mT8_P12ihipStream_tbDpT10_ENKUlT_T0_E_clISt17integral_constantIbLb0EES1C_EEDaS17_S18_EUlS17_E_NS1_11comp_targetILNS1_3genE0ELNS1_11target_archE4294967295ELNS1_3gpuE0ELNS1_3repE0EEENS1_30default_config_static_selectorELNS0_4arch9wavefront6targetE1EEEvT1_.uses_flat_scratch, 0
	.set _ZN7rocprim17ROCPRIM_400000_NS6detail17trampoline_kernelINS0_14default_configENS1_25partition_config_selectorILNS1_17partition_subalgoE8ElNS0_10empty_typeEbEEZZNS1_14partition_implILS5_8ELb0ES3_jPlPS6_PKS6_NS0_5tupleIJS9_S6_EEENSD_IJSA_SA_EEENS0_18inequality_wrapperIZN2at6native12_GLOBAL__N_124unique_dim_cuda_templateIjEESt5tupleIJNSH_6TensorESM_SM_EERKSM_lbbbEUlllE0_EEPmJS6_EEE10hipError_tPvRmT3_T4_T5_T6_T7_T9_mT8_P12ihipStream_tbDpT10_ENKUlT_T0_E_clISt17integral_constantIbLb0EES1C_EEDaS17_S18_EUlS17_E_NS1_11comp_targetILNS1_3genE0ELNS1_11target_archE4294967295ELNS1_3gpuE0ELNS1_3repE0EEENS1_30default_config_static_selectorELNS0_4arch9wavefront6targetE1EEEvT1_.has_dyn_sized_stack, 0
	.set _ZN7rocprim17ROCPRIM_400000_NS6detail17trampoline_kernelINS0_14default_configENS1_25partition_config_selectorILNS1_17partition_subalgoE8ElNS0_10empty_typeEbEEZZNS1_14partition_implILS5_8ELb0ES3_jPlPS6_PKS6_NS0_5tupleIJS9_S6_EEENSD_IJSA_SA_EEENS0_18inequality_wrapperIZN2at6native12_GLOBAL__N_124unique_dim_cuda_templateIjEESt5tupleIJNSH_6TensorESM_SM_EERKSM_lbbbEUlllE0_EEPmJS6_EEE10hipError_tPvRmT3_T4_T5_T6_T7_T9_mT8_P12ihipStream_tbDpT10_ENKUlT_T0_E_clISt17integral_constantIbLb0EES1C_EEDaS17_S18_EUlS17_E_NS1_11comp_targetILNS1_3genE0ELNS1_11target_archE4294967295ELNS1_3gpuE0ELNS1_3repE0EEENS1_30default_config_static_selectorELNS0_4arch9wavefront6targetE1EEEvT1_.has_recursion, 0
	.set _ZN7rocprim17ROCPRIM_400000_NS6detail17trampoline_kernelINS0_14default_configENS1_25partition_config_selectorILNS1_17partition_subalgoE8ElNS0_10empty_typeEbEEZZNS1_14partition_implILS5_8ELb0ES3_jPlPS6_PKS6_NS0_5tupleIJS9_S6_EEENSD_IJSA_SA_EEENS0_18inequality_wrapperIZN2at6native12_GLOBAL__N_124unique_dim_cuda_templateIjEESt5tupleIJNSH_6TensorESM_SM_EERKSM_lbbbEUlllE0_EEPmJS6_EEE10hipError_tPvRmT3_T4_T5_T6_T7_T9_mT8_P12ihipStream_tbDpT10_ENKUlT_T0_E_clISt17integral_constantIbLb0EES1C_EEDaS17_S18_EUlS17_E_NS1_11comp_targetILNS1_3genE0ELNS1_11target_archE4294967295ELNS1_3gpuE0ELNS1_3repE0EEENS1_30default_config_static_selectorELNS0_4arch9wavefront6targetE1EEEvT1_.has_indirect_call, 0
	.section	.AMDGPU.csdata,"",@progbits
; Kernel info:
; codeLenInByte = 10796
; TotalNumSgprs: 56
; NumVgprs: 58
; NumAgprs: 0
; TotalNumVgprs: 58
; ScratchSize: 0
; MemoryBound: 0
; FloatMode: 240
; IeeeMode: 1
; LDSByteSize: 28680 bytes/workgroup (compile time only)
; SGPRBlocks: 6
; VGPRBlocks: 7
; NumSGPRsForWavesPerEU: 56
; NumVGPRsForWavesPerEU: 58
; AccumOffset: 60
; Occupancy: 8
; WaveLimiterHint : 1
; COMPUTE_PGM_RSRC2:SCRATCH_EN: 0
; COMPUTE_PGM_RSRC2:USER_SGPR: 2
; COMPUTE_PGM_RSRC2:TRAP_HANDLER: 0
; COMPUTE_PGM_RSRC2:TGID_X_EN: 1
; COMPUTE_PGM_RSRC2:TGID_Y_EN: 0
; COMPUTE_PGM_RSRC2:TGID_Z_EN: 0
; COMPUTE_PGM_RSRC2:TIDIG_COMP_CNT: 0
; COMPUTE_PGM_RSRC3_GFX90A:ACCUM_OFFSET: 14
; COMPUTE_PGM_RSRC3_GFX90A:TG_SPLIT: 0
	.section	.text._ZN7rocprim17ROCPRIM_400000_NS6detail17trampoline_kernelINS0_14default_configENS1_25partition_config_selectorILNS1_17partition_subalgoE8ElNS0_10empty_typeEbEEZZNS1_14partition_implILS5_8ELb0ES3_jPlPS6_PKS6_NS0_5tupleIJS9_S6_EEENSD_IJSA_SA_EEENS0_18inequality_wrapperIZN2at6native12_GLOBAL__N_124unique_dim_cuda_templateIjEESt5tupleIJNSH_6TensorESM_SM_EERKSM_lbbbEUlllE0_EEPmJS6_EEE10hipError_tPvRmT3_T4_T5_T6_T7_T9_mT8_P12ihipStream_tbDpT10_ENKUlT_T0_E_clISt17integral_constantIbLb0EES1C_EEDaS17_S18_EUlS17_E_NS1_11comp_targetILNS1_3genE5ELNS1_11target_archE942ELNS1_3gpuE9ELNS1_3repE0EEENS1_30default_config_static_selectorELNS0_4arch9wavefront6targetE1EEEvT1_,"axG",@progbits,_ZN7rocprim17ROCPRIM_400000_NS6detail17trampoline_kernelINS0_14default_configENS1_25partition_config_selectorILNS1_17partition_subalgoE8ElNS0_10empty_typeEbEEZZNS1_14partition_implILS5_8ELb0ES3_jPlPS6_PKS6_NS0_5tupleIJS9_S6_EEENSD_IJSA_SA_EEENS0_18inequality_wrapperIZN2at6native12_GLOBAL__N_124unique_dim_cuda_templateIjEESt5tupleIJNSH_6TensorESM_SM_EERKSM_lbbbEUlllE0_EEPmJS6_EEE10hipError_tPvRmT3_T4_T5_T6_T7_T9_mT8_P12ihipStream_tbDpT10_ENKUlT_T0_E_clISt17integral_constantIbLb0EES1C_EEDaS17_S18_EUlS17_E_NS1_11comp_targetILNS1_3genE5ELNS1_11target_archE942ELNS1_3gpuE9ELNS1_3repE0EEENS1_30default_config_static_selectorELNS0_4arch9wavefront6targetE1EEEvT1_,comdat
	.globl	_ZN7rocprim17ROCPRIM_400000_NS6detail17trampoline_kernelINS0_14default_configENS1_25partition_config_selectorILNS1_17partition_subalgoE8ElNS0_10empty_typeEbEEZZNS1_14partition_implILS5_8ELb0ES3_jPlPS6_PKS6_NS0_5tupleIJS9_S6_EEENSD_IJSA_SA_EEENS0_18inequality_wrapperIZN2at6native12_GLOBAL__N_124unique_dim_cuda_templateIjEESt5tupleIJNSH_6TensorESM_SM_EERKSM_lbbbEUlllE0_EEPmJS6_EEE10hipError_tPvRmT3_T4_T5_T6_T7_T9_mT8_P12ihipStream_tbDpT10_ENKUlT_T0_E_clISt17integral_constantIbLb0EES1C_EEDaS17_S18_EUlS17_E_NS1_11comp_targetILNS1_3genE5ELNS1_11target_archE942ELNS1_3gpuE9ELNS1_3repE0EEENS1_30default_config_static_selectorELNS0_4arch9wavefront6targetE1EEEvT1_ ; -- Begin function _ZN7rocprim17ROCPRIM_400000_NS6detail17trampoline_kernelINS0_14default_configENS1_25partition_config_selectorILNS1_17partition_subalgoE8ElNS0_10empty_typeEbEEZZNS1_14partition_implILS5_8ELb0ES3_jPlPS6_PKS6_NS0_5tupleIJS9_S6_EEENSD_IJSA_SA_EEENS0_18inequality_wrapperIZN2at6native12_GLOBAL__N_124unique_dim_cuda_templateIjEESt5tupleIJNSH_6TensorESM_SM_EERKSM_lbbbEUlllE0_EEPmJS6_EEE10hipError_tPvRmT3_T4_T5_T6_T7_T9_mT8_P12ihipStream_tbDpT10_ENKUlT_T0_E_clISt17integral_constantIbLb0EES1C_EEDaS17_S18_EUlS17_E_NS1_11comp_targetILNS1_3genE5ELNS1_11target_archE942ELNS1_3gpuE9ELNS1_3repE0EEENS1_30default_config_static_selectorELNS0_4arch9wavefront6targetE1EEEvT1_
	.p2align	8
	.type	_ZN7rocprim17ROCPRIM_400000_NS6detail17trampoline_kernelINS0_14default_configENS1_25partition_config_selectorILNS1_17partition_subalgoE8ElNS0_10empty_typeEbEEZZNS1_14partition_implILS5_8ELb0ES3_jPlPS6_PKS6_NS0_5tupleIJS9_S6_EEENSD_IJSA_SA_EEENS0_18inequality_wrapperIZN2at6native12_GLOBAL__N_124unique_dim_cuda_templateIjEESt5tupleIJNSH_6TensorESM_SM_EERKSM_lbbbEUlllE0_EEPmJS6_EEE10hipError_tPvRmT3_T4_T5_T6_T7_T9_mT8_P12ihipStream_tbDpT10_ENKUlT_T0_E_clISt17integral_constantIbLb0EES1C_EEDaS17_S18_EUlS17_E_NS1_11comp_targetILNS1_3genE5ELNS1_11target_archE942ELNS1_3gpuE9ELNS1_3repE0EEENS1_30default_config_static_selectorELNS0_4arch9wavefront6targetE1EEEvT1_,@function
_ZN7rocprim17ROCPRIM_400000_NS6detail17trampoline_kernelINS0_14default_configENS1_25partition_config_selectorILNS1_17partition_subalgoE8ElNS0_10empty_typeEbEEZZNS1_14partition_implILS5_8ELb0ES3_jPlPS6_PKS6_NS0_5tupleIJS9_S6_EEENSD_IJSA_SA_EEENS0_18inequality_wrapperIZN2at6native12_GLOBAL__N_124unique_dim_cuda_templateIjEESt5tupleIJNSH_6TensorESM_SM_EERKSM_lbbbEUlllE0_EEPmJS6_EEE10hipError_tPvRmT3_T4_T5_T6_T7_T9_mT8_P12ihipStream_tbDpT10_ENKUlT_T0_E_clISt17integral_constantIbLb0EES1C_EEDaS17_S18_EUlS17_E_NS1_11comp_targetILNS1_3genE5ELNS1_11target_archE942ELNS1_3gpuE9ELNS1_3repE0EEENS1_30default_config_static_selectorELNS0_4arch9wavefront6targetE1EEEvT1_: ; @_ZN7rocprim17ROCPRIM_400000_NS6detail17trampoline_kernelINS0_14default_configENS1_25partition_config_selectorILNS1_17partition_subalgoE8ElNS0_10empty_typeEbEEZZNS1_14partition_implILS5_8ELb0ES3_jPlPS6_PKS6_NS0_5tupleIJS9_S6_EEENSD_IJSA_SA_EEENS0_18inequality_wrapperIZN2at6native12_GLOBAL__N_124unique_dim_cuda_templateIjEESt5tupleIJNSH_6TensorESM_SM_EERKSM_lbbbEUlllE0_EEPmJS6_EEE10hipError_tPvRmT3_T4_T5_T6_T7_T9_mT8_P12ihipStream_tbDpT10_ENKUlT_T0_E_clISt17integral_constantIbLb0EES1C_EEDaS17_S18_EUlS17_E_NS1_11comp_targetILNS1_3genE5ELNS1_11target_archE942ELNS1_3gpuE9ELNS1_3repE0EEENS1_30default_config_static_selectorELNS0_4arch9wavefront6targetE1EEEvT1_
; %bb.0:
	.section	.rodata,"a",@progbits
	.p2align	6, 0x0
	.amdhsa_kernel _ZN7rocprim17ROCPRIM_400000_NS6detail17trampoline_kernelINS0_14default_configENS1_25partition_config_selectorILNS1_17partition_subalgoE8ElNS0_10empty_typeEbEEZZNS1_14partition_implILS5_8ELb0ES3_jPlPS6_PKS6_NS0_5tupleIJS9_S6_EEENSD_IJSA_SA_EEENS0_18inequality_wrapperIZN2at6native12_GLOBAL__N_124unique_dim_cuda_templateIjEESt5tupleIJNSH_6TensorESM_SM_EERKSM_lbbbEUlllE0_EEPmJS6_EEE10hipError_tPvRmT3_T4_T5_T6_T7_T9_mT8_P12ihipStream_tbDpT10_ENKUlT_T0_E_clISt17integral_constantIbLb0EES1C_EEDaS17_S18_EUlS17_E_NS1_11comp_targetILNS1_3genE5ELNS1_11target_archE942ELNS1_3gpuE9ELNS1_3repE0EEENS1_30default_config_static_selectorELNS0_4arch9wavefront6targetE1EEEvT1_
		.amdhsa_group_segment_fixed_size 0
		.amdhsa_private_segment_fixed_size 0
		.amdhsa_kernarg_size 120
		.amdhsa_user_sgpr_count 2
		.amdhsa_user_sgpr_dispatch_ptr 0
		.amdhsa_user_sgpr_queue_ptr 0
		.amdhsa_user_sgpr_kernarg_segment_ptr 1
		.amdhsa_user_sgpr_dispatch_id 0
		.amdhsa_user_sgpr_kernarg_preload_length 0
		.amdhsa_user_sgpr_kernarg_preload_offset 0
		.amdhsa_user_sgpr_private_segment_size 0
		.amdhsa_uses_dynamic_stack 0
		.amdhsa_enable_private_segment 0
		.amdhsa_system_sgpr_workgroup_id_x 1
		.amdhsa_system_sgpr_workgroup_id_y 0
		.amdhsa_system_sgpr_workgroup_id_z 0
		.amdhsa_system_sgpr_workgroup_info 0
		.amdhsa_system_vgpr_workitem_id 0
		.amdhsa_next_free_vgpr 1
		.amdhsa_next_free_sgpr 0
		.amdhsa_accum_offset 4
		.amdhsa_reserve_vcc 0
		.amdhsa_float_round_mode_32 0
		.amdhsa_float_round_mode_16_64 0
		.amdhsa_float_denorm_mode_32 3
		.amdhsa_float_denorm_mode_16_64 3
		.amdhsa_dx10_clamp 1
		.amdhsa_ieee_mode 1
		.amdhsa_fp16_overflow 0
		.amdhsa_tg_split 0
		.amdhsa_exception_fp_ieee_invalid_op 0
		.amdhsa_exception_fp_denorm_src 0
		.amdhsa_exception_fp_ieee_div_zero 0
		.amdhsa_exception_fp_ieee_overflow 0
		.amdhsa_exception_fp_ieee_underflow 0
		.amdhsa_exception_fp_ieee_inexact 0
		.amdhsa_exception_int_div_zero 0
	.end_amdhsa_kernel
	.section	.text._ZN7rocprim17ROCPRIM_400000_NS6detail17trampoline_kernelINS0_14default_configENS1_25partition_config_selectorILNS1_17partition_subalgoE8ElNS0_10empty_typeEbEEZZNS1_14partition_implILS5_8ELb0ES3_jPlPS6_PKS6_NS0_5tupleIJS9_S6_EEENSD_IJSA_SA_EEENS0_18inequality_wrapperIZN2at6native12_GLOBAL__N_124unique_dim_cuda_templateIjEESt5tupleIJNSH_6TensorESM_SM_EERKSM_lbbbEUlllE0_EEPmJS6_EEE10hipError_tPvRmT3_T4_T5_T6_T7_T9_mT8_P12ihipStream_tbDpT10_ENKUlT_T0_E_clISt17integral_constantIbLb0EES1C_EEDaS17_S18_EUlS17_E_NS1_11comp_targetILNS1_3genE5ELNS1_11target_archE942ELNS1_3gpuE9ELNS1_3repE0EEENS1_30default_config_static_selectorELNS0_4arch9wavefront6targetE1EEEvT1_,"axG",@progbits,_ZN7rocprim17ROCPRIM_400000_NS6detail17trampoline_kernelINS0_14default_configENS1_25partition_config_selectorILNS1_17partition_subalgoE8ElNS0_10empty_typeEbEEZZNS1_14partition_implILS5_8ELb0ES3_jPlPS6_PKS6_NS0_5tupleIJS9_S6_EEENSD_IJSA_SA_EEENS0_18inequality_wrapperIZN2at6native12_GLOBAL__N_124unique_dim_cuda_templateIjEESt5tupleIJNSH_6TensorESM_SM_EERKSM_lbbbEUlllE0_EEPmJS6_EEE10hipError_tPvRmT3_T4_T5_T6_T7_T9_mT8_P12ihipStream_tbDpT10_ENKUlT_T0_E_clISt17integral_constantIbLb0EES1C_EEDaS17_S18_EUlS17_E_NS1_11comp_targetILNS1_3genE5ELNS1_11target_archE942ELNS1_3gpuE9ELNS1_3repE0EEENS1_30default_config_static_selectorELNS0_4arch9wavefront6targetE1EEEvT1_,comdat
.Lfunc_end1542:
	.size	_ZN7rocprim17ROCPRIM_400000_NS6detail17trampoline_kernelINS0_14default_configENS1_25partition_config_selectorILNS1_17partition_subalgoE8ElNS0_10empty_typeEbEEZZNS1_14partition_implILS5_8ELb0ES3_jPlPS6_PKS6_NS0_5tupleIJS9_S6_EEENSD_IJSA_SA_EEENS0_18inequality_wrapperIZN2at6native12_GLOBAL__N_124unique_dim_cuda_templateIjEESt5tupleIJNSH_6TensorESM_SM_EERKSM_lbbbEUlllE0_EEPmJS6_EEE10hipError_tPvRmT3_T4_T5_T6_T7_T9_mT8_P12ihipStream_tbDpT10_ENKUlT_T0_E_clISt17integral_constantIbLb0EES1C_EEDaS17_S18_EUlS17_E_NS1_11comp_targetILNS1_3genE5ELNS1_11target_archE942ELNS1_3gpuE9ELNS1_3repE0EEENS1_30default_config_static_selectorELNS0_4arch9wavefront6targetE1EEEvT1_, .Lfunc_end1542-_ZN7rocprim17ROCPRIM_400000_NS6detail17trampoline_kernelINS0_14default_configENS1_25partition_config_selectorILNS1_17partition_subalgoE8ElNS0_10empty_typeEbEEZZNS1_14partition_implILS5_8ELb0ES3_jPlPS6_PKS6_NS0_5tupleIJS9_S6_EEENSD_IJSA_SA_EEENS0_18inequality_wrapperIZN2at6native12_GLOBAL__N_124unique_dim_cuda_templateIjEESt5tupleIJNSH_6TensorESM_SM_EERKSM_lbbbEUlllE0_EEPmJS6_EEE10hipError_tPvRmT3_T4_T5_T6_T7_T9_mT8_P12ihipStream_tbDpT10_ENKUlT_T0_E_clISt17integral_constantIbLb0EES1C_EEDaS17_S18_EUlS17_E_NS1_11comp_targetILNS1_3genE5ELNS1_11target_archE942ELNS1_3gpuE9ELNS1_3repE0EEENS1_30default_config_static_selectorELNS0_4arch9wavefront6targetE1EEEvT1_
                                        ; -- End function
	.set _ZN7rocprim17ROCPRIM_400000_NS6detail17trampoline_kernelINS0_14default_configENS1_25partition_config_selectorILNS1_17partition_subalgoE8ElNS0_10empty_typeEbEEZZNS1_14partition_implILS5_8ELb0ES3_jPlPS6_PKS6_NS0_5tupleIJS9_S6_EEENSD_IJSA_SA_EEENS0_18inequality_wrapperIZN2at6native12_GLOBAL__N_124unique_dim_cuda_templateIjEESt5tupleIJNSH_6TensorESM_SM_EERKSM_lbbbEUlllE0_EEPmJS6_EEE10hipError_tPvRmT3_T4_T5_T6_T7_T9_mT8_P12ihipStream_tbDpT10_ENKUlT_T0_E_clISt17integral_constantIbLb0EES1C_EEDaS17_S18_EUlS17_E_NS1_11comp_targetILNS1_3genE5ELNS1_11target_archE942ELNS1_3gpuE9ELNS1_3repE0EEENS1_30default_config_static_selectorELNS0_4arch9wavefront6targetE1EEEvT1_.num_vgpr, 0
	.set _ZN7rocprim17ROCPRIM_400000_NS6detail17trampoline_kernelINS0_14default_configENS1_25partition_config_selectorILNS1_17partition_subalgoE8ElNS0_10empty_typeEbEEZZNS1_14partition_implILS5_8ELb0ES3_jPlPS6_PKS6_NS0_5tupleIJS9_S6_EEENSD_IJSA_SA_EEENS0_18inequality_wrapperIZN2at6native12_GLOBAL__N_124unique_dim_cuda_templateIjEESt5tupleIJNSH_6TensorESM_SM_EERKSM_lbbbEUlllE0_EEPmJS6_EEE10hipError_tPvRmT3_T4_T5_T6_T7_T9_mT8_P12ihipStream_tbDpT10_ENKUlT_T0_E_clISt17integral_constantIbLb0EES1C_EEDaS17_S18_EUlS17_E_NS1_11comp_targetILNS1_3genE5ELNS1_11target_archE942ELNS1_3gpuE9ELNS1_3repE0EEENS1_30default_config_static_selectorELNS0_4arch9wavefront6targetE1EEEvT1_.num_agpr, 0
	.set _ZN7rocprim17ROCPRIM_400000_NS6detail17trampoline_kernelINS0_14default_configENS1_25partition_config_selectorILNS1_17partition_subalgoE8ElNS0_10empty_typeEbEEZZNS1_14partition_implILS5_8ELb0ES3_jPlPS6_PKS6_NS0_5tupleIJS9_S6_EEENSD_IJSA_SA_EEENS0_18inequality_wrapperIZN2at6native12_GLOBAL__N_124unique_dim_cuda_templateIjEESt5tupleIJNSH_6TensorESM_SM_EERKSM_lbbbEUlllE0_EEPmJS6_EEE10hipError_tPvRmT3_T4_T5_T6_T7_T9_mT8_P12ihipStream_tbDpT10_ENKUlT_T0_E_clISt17integral_constantIbLb0EES1C_EEDaS17_S18_EUlS17_E_NS1_11comp_targetILNS1_3genE5ELNS1_11target_archE942ELNS1_3gpuE9ELNS1_3repE0EEENS1_30default_config_static_selectorELNS0_4arch9wavefront6targetE1EEEvT1_.numbered_sgpr, 0
	.set _ZN7rocprim17ROCPRIM_400000_NS6detail17trampoline_kernelINS0_14default_configENS1_25partition_config_selectorILNS1_17partition_subalgoE8ElNS0_10empty_typeEbEEZZNS1_14partition_implILS5_8ELb0ES3_jPlPS6_PKS6_NS0_5tupleIJS9_S6_EEENSD_IJSA_SA_EEENS0_18inequality_wrapperIZN2at6native12_GLOBAL__N_124unique_dim_cuda_templateIjEESt5tupleIJNSH_6TensorESM_SM_EERKSM_lbbbEUlllE0_EEPmJS6_EEE10hipError_tPvRmT3_T4_T5_T6_T7_T9_mT8_P12ihipStream_tbDpT10_ENKUlT_T0_E_clISt17integral_constantIbLb0EES1C_EEDaS17_S18_EUlS17_E_NS1_11comp_targetILNS1_3genE5ELNS1_11target_archE942ELNS1_3gpuE9ELNS1_3repE0EEENS1_30default_config_static_selectorELNS0_4arch9wavefront6targetE1EEEvT1_.num_named_barrier, 0
	.set _ZN7rocprim17ROCPRIM_400000_NS6detail17trampoline_kernelINS0_14default_configENS1_25partition_config_selectorILNS1_17partition_subalgoE8ElNS0_10empty_typeEbEEZZNS1_14partition_implILS5_8ELb0ES3_jPlPS6_PKS6_NS0_5tupleIJS9_S6_EEENSD_IJSA_SA_EEENS0_18inequality_wrapperIZN2at6native12_GLOBAL__N_124unique_dim_cuda_templateIjEESt5tupleIJNSH_6TensorESM_SM_EERKSM_lbbbEUlllE0_EEPmJS6_EEE10hipError_tPvRmT3_T4_T5_T6_T7_T9_mT8_P12ihipStream_tbDpT10_ENKUlT_T0_E_clISt17integral_constantIbLb0EES1C_EEDaS17_S18_EUlS17_E_NS1_11comp_targetILNS1_3genE5ELNS1_11target_archE942ELNS1_3gpuE9ELNS1_3repE0EEENS1_30default_config_static_selectorELNS0_4arch9wavefront6targetE1EEEvT1_.private_seg_size, 0
	.set _ZN7rocprim17ROCPRIM_400000_NS6detail17trampoline_kernelINS0_14default_configENS1_25partition_config_selectorILNS1_17partition_subalgoE8ElNS0_10empty_typeEbEEZZNS1_14partition_implILS5_8ELb0ES3_jPlPS6_PKS6_NS0_5tupleIJS9_S6_EEENSD_IJSA_SA_EEENS0_18inequality_wrapperIZN2at6native12_GLOBAL__N_124unique_dim_cuda_templateIjEESt5tupleIJNSH_6TensorESM_SM_EERKSM_lbbbEUlllE0_EEPmJS6_EEE10hipError_tPvRmT3_T4_T5_T6_T7_T9_mT8_P12ihipStream_tbDpT10_ENKUlT_T0_E_clISt17integral_constantIbLb0EES1C_EEDaS17_S18_EUlS17_E_NS1_11comp_targetILNS1_3genE5ELNS1_11target_archE942ELNS1_3gpuE9ELNS1_3repE0EEENS1_30default_config_static_selectorELNS0_4arch9wavefront6targetE1EEEvT1_.uses_vcc, 0
	.set _ZN7rocprim17ROCPRIM_400000_NS6detail17trampoline_kernelINS0_14default_configENS1_25partition_config_selectorILNS1_17partition_subalgoE8ElNS0_10empty_typeEbEEZZNS1_14partition_implILS5_8ELb0ES3_jPlPS6_PKS6_NS0_5tupleIJS9_S6_EEENSD_IJSA_SA_EEENS0_18inequality_wrapperIZN2at6native12_GLOBAL__N_124unique_dim_cuda_templateIjEESt5tupleIJNSH_6TensorESM_SM_EERKSM_lbbbEUlllE0_EEPmJS6_EEE10hipError_tPvRmT3_T4_T5_T6_T7_T9_mT8_P12ihipStream_tbDpT10_ENKUlT_T0_E_clISt17integral_constantIbLb0EES1C_EEDaS17_S18_EUlS17_E_NS1_11comp_targetILNS1_3genE5ELNS1_11target_archE942ELNS1_3gpuE9ELNS1_3repE0EEENS1_30default_config_static_selectorELNS0_4arch9wavefront6targetE1EEEvT1_.uses_flat_scratch, 0
	.set _ZN7rocprim17ROCPRIM_400000_NS6detail17trampoline_kernelINS0_14default_configENS1_25partition_config_selectorILNS1_17partition_subalgoE8ElNS0_10empty_typeEbEEZZNS1_14partition_implILS5_8ELb0ES3_jPlPS6_PKS6_NS0_5tupleIJS9_S6_EEENSD_IJSA_SA_EEENS0_18inequality_wrapperIZN2at6native12_GLOBAL__N_124unique_dim_cuda_templateIjEESt5tupleIJNSH_6TensorESM_SM_EERKSM_lbbbEUlllE0_EEPmJS6_EEE10hipError_tPvRmT3_T4_T5_T6_T7_T9_mT8_P12ihipStream_tbDpT10_ENKUlT_T0_E_clISt17integral_constantIbLb0EES1C_EEDaS17_S18_EUlS17_E_NS1_11comp_targetILNS1_3genE5ELNS1_11target_archE942ELNS1_3gpuE9ELNS1_3repE0EEENS1_30default_config_static_selectorELNS0_4arch9wavefront6targetE1EEEvT1_.has_dyn_sized_stack, 0
	.set _ZN7rocprim17ROCPRIM_400000_NS6detail17trampoline_kernelINS0_14default_configENS1_25partition_config_selectorILNS1_17partition_subalgoE8ElNS0_10empty_typeEbEEZZNS1_14partition_implILS5_8ELb0ES3_jPlPS6_PKS6_NS0_5tupleIJS9_S6_EEENSD_IJSA_SA_EEENS0_18inequality_wrapperIZN2at6native12_GLOBAL__N_124unique_dim_cuda_templateIjEESt5tupleIJNSH_6TensorESM_SM_EERKSM_lbbbEUlllE0_EEPmJS6_EEE10hipError_tPvRmT3_T4_T5_T6_T7_T9_mT8_P12ihipStream_tbDpT10_ENKUlT_T0_E_clISt17integral_constantIbLb0EES1C_EEDaS17_S18_EUlS17_E_NS1_11comp_targetILNS1_3genE5ELNS1_11target_archE942ELNS1_3gpuE9ELNS1_3repE0EEENS1_30default_config_static_selectorELNS0_4arch9wavefront6targetE1EEEvT1_.has_recursion, 0
	.set _ZN7rocprim17ROCPRIM_400000_NS6detail17trampoline_kernelINS0_14default_configENS1_25partition_config_selectorILNS1_17partition_subalgoE8ElNS0_10empty_typeEbEEZZNS1_14partition_implILS5_8ELb0ES3_jPlPS6_PKS6_NS0_5tupleIJS9_S6_EEENSD_IJSA_SA_EEENS0_18inequality_wrapperIZN2at6native12_GLOBAL__N_124unique_dim_cuda_templateIjEESt5tupleIJNSH_6TensorESM_SM_EERKSM_lbbbEUlllE0_EEPmJS6_EEE10hipError_tPvRmT3_T4_T5_T6_T7_T9_mT8_P12ihipStream_tbDpT10_ENKUlT_T0_E_clISt17integral_constantIbLb0EES1C_EEDaS17_S18_EUlS17_E_NS1_11comp_targetILNS1_3genE5ELNS1_11target_archE942ELNS1_3gpuE9ELNS1_3repE0EEENS1_30default_config_static_selectorELNS0_4arch9wavefront6targetE1EEEvT1_.has_indirect_call, 0
	.section	.AMDGPU.csdata,"",@progbits
; Kernel info:
; codeLenInByte = 0
; TotalNumSgprs: 6
; NumVgprs: 0
; NumAgprs: 0
; TotalNumVgprs: 0
; ScratchSize: 0
; MemoryBound: 0
; FloatMode: 240
; IeeeMode: 1
; LDSByteSize: 0 bytes/workgroup (compile time only)
; SGPRBlocks: 0
; VGPRBlocks: 0
; NumSGPRsForWavesPerEU: 6
; NumVGPRsForWavesPerEU: 1
; AccumOffset: 4
; Occupancy: 8
; WaveLimiterHint : 0
; COMPUTE_PGM_RSRC2:SCRATCH_EN: 0
; COMPUTE_PGM_RSRC2:USER_SGPR: 2
; COMPUTE_PGM_RSRC2:TRAP_HANDLER: 0
; COMPUTE_PGM_RSRC2:TGID_X_EN: 1
; COMPUTE_PGM_RSRC2:TGID_Y_EN: 0
; COMPUTE_PGM_RSRC2:TGID_Z_EN: 0
; COMPUTE_PGM_RSRC2:TIDIG_COMP_CNT: 0
; COMPUTE_PGM_RSRC3_GFX90A:ACCUM_OFFSET: 0
; COMPUTE_PGM_RSRC3_GFX90A:TG_SPLIT: 0
	.section	.text._ZN7rocprim17ROCPRIM_400000_NS6detail17trampoline_kernelINS0_14default_configENS1_25partition_config_selectorILNS1_17partition_subalgoE8ElNS0_10empty_typeEbEEZZNS1_14partition_implILS5_8ELb0ES3_jPlPS6_PKS6_NS0_5tupleIJS9_S6_EEENSD_IJSA_SA_EEENS0_18inequality_wrapperIZN2at6native12_GLOBAL__N_124unique_dim_cuda_templateIjEESt5tupleIJNSH_6TensorESM_SM_EERKSM_lbbbEUlllE0_EEPmJS6_EEE10hipError_tPvRmT3_T4_T5_T6_T7_T9_mT8_P12ihipStream_tbDpT10_ENKUlT_T0_E_clISt17integral_constantIbLb0EES1C_EEDaS17_S18_EUlS17_E_NS1_11comp_targetILNS1_3genE4ELNS1_11target_archE910ELNS1_3gpuE8ELNS1_3repE0EEENS1_30default_config_static_selectorELNS0_4arch9wavefront6targetE1EEEvT1_,"axG",@progbits,_ZN7rocprim17ROCPRIM_400000_NS6detail17trampoline_kernelINS0_14default_configENS1_25partition_config_selectorILNS1_17partition_subalgoE8ElNS0_10empty_typeEbEEZZNS1_14partition_implILS5_8ELb0ES3_jPlPS6_PKS6_NS0_5tupleIJS9_S6_EEENSD_IJSA_SA_EEENS0_18inequality_wrapperIZN2at6native12_GLOBAL__N_124unique_dim_cuda_templateIjEESt5tupleIJNSH_6TensorESM_SM_EERKSM_lbbbEUlllE0_EEPmJS6_EEE10hipError_tPvRmT3_T4_T5_T6_T7_T9_mT8_P12ihipStream_tbDpT10_ENKUlT_T0_E_clISt17integral_constantIbLb0EES1C_EEDaS17_S18_EUlS17_E_NS1_11comp_targetILNS1_3genE4ELNS1_11target_archE910ELNS1_3gpuE8ELNS1_3repE0EEENS1_30default_config_static_selectorELNS0_4arch9wavefront6targetE1EEEvT1_,comdat
	.globl	_ZN7rocprim17ROCPRIM_400000_NS6detail17trampoline_kernelINS0_14default_configENS1_25partition_config_selectorILNS1_17partition_subalgoE8ElNS0_10empty_typeEbEEZZNS1_14partition_implILS5_8ELb0ES3_jPlPS6_PKS6_NS0_5tupleIJS9_S6_EEENSD_IJSA_SA_EEENS0_18inequality_wrapperIZN2at6native12_GLOBAL__N_124unique_dim_cuda_templateIjEESt5tupleIJNSH_6TensorESM_SM_EERKSM_lbbbEUlllE0_EEPmJS6_EEE10hipError_tPvRmT3_T4_T5_T6_T7_T9_mT8_P12ihipStream_tbDpT10_ENKUlT_T0_E_clISt17integral_constantIbLb0EES1C_EEDaS17_S18_EUlS17_E_NS1_11comp_targetILNS1_3genE4ELNS1_11target_archE910ELNS1_3gpuE8ELNS1_3repE0EEENS1_30default_config_static_selectorELNS0_4arch9wavefront6targetE1EEEvT1_ ; -- Begin function _ZN7rocprim17ROCPRIM_400000_NS6detail17trampoline_kernelINS0_14default_configENS1_25partition_config_selectorILNS1_17partition_subalgoE8ElNS0_10empty_typeEbEEZZNS1_14partition_implILS5_8ELb0ES3_jPlPS6_PKS6_NS0_5tupleIJS9_S6_EEENSD_IJSA_SA_EEENS0_18inequality_wrapperIZN2at6native12_GLOBAL__N_124unique_dim_cuda_templateIjEESt5tupleIJNSH_6TensorESM_SM_EERKSM_lbbbEUlllE0_EEPmJS6_EEE10hipError_tPvRmT3_T4_T5_T6_T7_T9_mT8_P12ihipStream_tbDpT10_ENKUlT_T0_E_clISt17integral_constantIbLb0EES1C_EEDaS17_S18_EUlS17_E_NS1_11comp_targetILNS1_3genE4ELNS1_11target_archE910ELNS1_3gpuE8ELNS1_3repE0EEENS1_30default_config_static_selectorELNS0_4arch9wavefront6targetE1EEEvT1_
	.p2align	8
	.type	_ZN7rocprim17ROCPRIM_400000_NS6detail17trampoline_kernelINS0_14default_configENS1_25partition_config_selectorILNS1_17partition_subalgoE8ElNS0_10empty_typeEbEEZZNS1_14partition_implILS5_8ELb0ES3_jPlPS6_PKS6_NS0_5tupleIJS9_S6_EEENSD_IJSA_SA_EEENS0_18inequality_wrapperIZN2at6native12_GLOBAL__N_124unique_dim_cuda_templateIjEESt5tupleIJNSH_6TensorESM_SM_EERKSM_lbbbEUlllE0_EEPmJS6_EEE10hipError_tPvRmT3_T4_T5_T6_T7_T9_mT8_P12ihipStream_tbDpT10_ENKUlT_T0_E_clISt17integral_constantIbLb0EES1C_EEDaS17_S18_EUlS17_E_NS1_11comp_targetILNS1_3genE4ELNS1_11target_archE910ELNS1_3gpuE8ELNS1_3repE0EEENS1_30default_config_static_selectorELNS0_4arch9wavefront6targetE1EEEvT1_,@function
_ZN7rocprim17ROCPRIM_400000_NS6detail17trampoline_kernelINS0_14default_configENS1_25partition_config_selectorILNS1_17partition_subalgoE8ElNS0_10empty_typeEbEEZZNS1_14partition_implILS5_8ELb0ES3_jPlPS6_PKS6_NS0_5tupleIJS9_S6_EEENSD_IJSA_SA_EEENS0_18inequality_wrapperIZN2at6native12_GLOBAL__N_124unique_dim_cuda_templateIjEESt5tupleIJNSH_6TensorESM_SM_EERKSM_lbbbEUlllE0_EEPmJS6_EEE10hipError_tPvRmT3_T4_T5_T6_T7_T9_mT8_P12ihipStream_tbDpT10_ENKUlT_T0_E_clISt17integral_constantIbLb0EES1C_EEDaS17_S18_EUlS17_E_NS1_11comp_targetILNS1_3genE4ELNS1_11target_archE910ELNS1_3gpuE8ELNS1_3repE0EEENS1_30default_config_static_selectorELNS0_4arch9wavefront6targetE1EEEvT1_: ; @_ZN7rocprim17ROCPRIM_400000_NS6detail17trampoline_kernelINS0_14default_configENS1_25partition_config_selectorILNS1_17partition_subalgoE8ElNS0_10empty_typeEbEEZZNS1_14partition_implILS5_8ELb0ES3_jPlPS6_PKS6_NS0_5tupleIJS9_S6_EEENSD_IJSA_SA_EEENS0_18inequality_wrapperIZN2at6native12_GLOBAL__N_124unique_dim_cuda_templateIjEESt5tupleIJNSH_6TensorESM_SM_EERKSM_lbbbEUlllE0_EEPmJS6_EEE10hipError_tPvRmT3_T4_T5_T6_T7_T9_mT8_P12ihipStream_tbDpT10_ENKUlT_T0_E_clISt17integral_constantIbLb0EES1C_EEDaS17_S18_EUlS17_E_NS1_11comp_targetILNS1_3genE4ELNS1_11target_archE910ELNS1_3gpuE8ELNS1_3repE0EEENS1_30default_config_static_selectorELNS0_4arch9wavefront6targetE1EEEvT1_
; %bb.0:
	.section	.rodata,"a",@progbits
	.p2align	6, 0x0
	.amdhsa_kernel _ZN7rocprim17ROCPRIM_400000_NS6detail17trampoline_kernelINS0_14default_configENS1_25partition_config_selectorILNS1_17partition_subalgoE8ElNS0_10empty_typeEbEEZZNS1_14partition_implILS5_8ELb0ES3_jPlPS6_PKS6_NS0_5tupleIJS9_S6_EEENSD_IJSA_SA_EEENS0_18inequality_wrapperIZN2at6native12_GLOBAL__N_124unique_dim_cuda_templateIjEESt5tupleIJNSH_6TensorESM_SM_EERKSM_lbbbEUlllE0_EEPmJS6_EEE10hipError_tPvRmT3_T4_T5_T6_T7_T9_mT8_P12ihipStream_tbDpT10_ENKUlT_T0_E_clISt17integral_constantIbLb0EES1C_EEDaS17_S18_EUlS17_E_NS1_11comp_targetILNS1_3genE4ELNS1_11target_archE910ELNS1_3gpuE8ELNS1_3repE0EEENS1_30default_config_static_selectorELNS0_4arch9wavefront6targetE1EEEvT1_
		.amdhsa_group_segment_fixed_size 0
		.amdhsa_private_segment_fixed_size 0
		.amdhsa_kernarg_size 120
		.amdhsa_user_sgpr_count 2
		.amdhsa_user_sgpr_dispatch_ptr 0
		.amdhsa_user_sgpr_queue_ptr 0
		.amdhsa_user_sgpr_kernarg_segment_ptr 1
		.amdhsa_user_sgpr_dispatch_id 0
		.amdhsa_user_sgpr_kernarg_preload_length 0
		.amdhsa_user_sgpr_kernarg_preload_offset 0
		.amdhsa_user_sgpr_private_segment_size 0
		.amdhsa_uses_dynamic_stack 0
		.amdhsa_enable_private_segment 0
		.amdhsa_system_sgpr_workgroup_id_x 1
		.amdhsa_system_sgpr_workgroup_id_y 0
		.amdhsa_system_sgpr_workgroup_id_z 0
		.amdhsa_system_sgpr_workgroup_info 0
		.amdhsa_system_vgpr_workitem_id 0
		.amdhsa_next_free_vgpr 1
		.amdhsa_next_free_sgpr 0
		.amdhsa_accum_offset 4
		.amdhsa_reserve_vcc 0
		.amdhsa_float_round_mode_32 0
		.amdhsa_float_round_mode_16_64 0
		.amdhsa_float_denorm_mode_32 3
		.amdhsa_float_denorm_mode_16_64 3
		.amdhsa_dx10_clamp 1
		.amdhsa_ieee_mode 1
		.amdhsa_fp16_overflow 0
		.amdhsa_tg_split 0
		.amdhsa_exception_fp_ieee_invalid_op 0
		.amdhsa_exception_fp_denorm_src 0
		.amdhsa_exception_fp_ieee_div_zero 0
		.amdhsa_exception_fp_ieee_overflow 0
		.amdhsa_exception_fp_ieee_underflow 0
		.amdhsa_exception_fp_ieee_inexact 0
		.amdhsa_exception_int_div_zero 0
	.end_amdhsa_kernel
	.section	.text._ZN7rocprim17ROCPRIM_400000_NS6detail17trampoline_kernelINS0_14default_configENS1_25partition_config_selectorILNS1_17partition_subalgoE8ElNS0_10empty_typeEbEEZZNS1_14partition_implILS5_8ELb0ES3_jPlPS6_PKS6_NS0_5tupleIJS9_S6_EEENSD_IJSA_SA_EEENS0_18inequality_wrapperIZN2at6native12_GLOBAL__N_124unique_dim_cuda_templateIjEESt5tupleIJNSH_6TensorESM_SM_EERKSM_lbbbEUlllE0_EEPmJS6_EEE10hipError_tPvRmT3_T4_T5_T6_T7_T9_mT8_P12ihipStream_tbDpT10_ENKUlT_T0_E_clISt17integral_constantIbLb0EES1C_EEDaS17_S18_EUlS17_E_NS1_11comp_targetILNS1_3genE4ELNS1_11target_archE910ELNS1_3gpuE8ELNS1_3repE0EEENS1_30default_config_static_selectorELNS0_4arch9wavefront6targetE1EEEvT1_,"axG",@progbits,_ZN7rocprim17ROCPRIM_400000_NS6detail17trampoline_kernelINS0_14default_configENS1_25partition_config_selectorILNS1_17partition_subalgoE8ElNS0_10empty_typeEbEEZZNS1_14partition_implILS5_8ELb0ES3_jPlPS6_PKS6_NS0_5tupleIJS9_S6_EEENSD_IJSA_SA_EEENS0_18inequality_wrapperIZN2at6native12_GLOBAL__N_124unique_dim_cuda_templateIjEESt5tupleIJNSH_6TensorESM_SM_EERKSM_lbbbEUlllE0_EEPmJS6_EEE10hipError_tPvRmT3_T4_T5_T6_T7_T9_mT8_P12ihipStream_tbDpT10_ENKUlT_T0_E_clISt17integral_constantIbLb0EES1C_EEDaS17_S18_EUlS17_E_NS1_11comp_targetILNS1_3genE4ELNS1_11target_archE910ELNS1_3gpuE8ELNS1_3repE0EEENS1_30default_config_static_selectorELNS0_4arch9wavefront6targetE1EEEvT1_,comdat
.Lfunc_end1543:
	.size	_ZN7rocprim17ROCPRIM_400000_NS6detail17trampoline_kernelINS0_14default_configENS1_25partition_config_selectorILNS1_17partition_subalgoE8ElNS0_10empty_typeEbEEZZNS1_14partition_implILS5_8ELb0ES3_jPlPS6_PKS6_NS0_5tupleIJS9_S6_EEENSD_IJSA_SA_EEENS0_18inequality_wrapperIZN2at6native12_GLOBAL__N_124unique_dim_cuda_templateIjEESt5tupleIJNSH_6TensorESM_SM_EERKSM_lbbbEUlllE0_EEPmJS6_EEE10hipError_tPvRmT3_T4_T5_T6_T7_T9_mT8_P12ihipStream_tbDpT10_ENKUlT_T0_E_clISt17integral_constantIbLb0EES1C_EEDaS17_S18_EUlS17_E_NS1_11comp_targetILNS1_3genE4ELNS1_11target_archE910ELNS1_3gpuE8ELNS1_3repE0EEENS1_30default_config_static_selectorELNS0_4arch9wavefront6targetE1EEEvT1_, .Lfunc_end1543-_ZN7rocprim17ROCPRIM_400000_NS6detail17trampoline_kernelINS0_14default_configENS1_25partition_config_selectorILNS1_17partition_subalgoE8ElNS0_10empty_typeEbEEZZNS1_14partition_implILS5_8ELb0ES3_jPlPS6_PKS6_NS0_5tupleIJS9_S6_EEENSD_IJSA_SA_EEENS0_18inequality_wrapperIZN2at6native12_GLOBAL__N_124unique_dim_cuda_templateIjEESt5tupleIJNSH_6TensorESM_SM_EERKSM_lbbbEUlllE0_EEPmJS6_EEE10hipError_tPvRmT3_T4_T5_T6_T7_T9_mT8_P12ihipStream_tbDpT10_ENKUlT_T0_E_clISt17integral_constantIbLb0EES1C_EEDaS17_S18_EUlS17_E_NS1_11comp_targetILNS1_3genE4ELNS1_11target_archE910ELNS1_3gpuE8ELNS1_3repE0EEENS1_30default_config_static_selectorELNS0_4arch9wavefront6targetE1EEEvT1_
                                        ; -- End function
	.set _ZN7rocprim17ROCPRIM_400000_NS6detail17trampoline_kernelINS0_14default_configENS1_25partition_config_selectorILNS1_17partition_subalgoE8ElNS0_10empty_typeEbEEZZNS1_14partition_implILS5_8ELb0ES3_jPlPS6_PKS6_NS0_5tupleIJS9_S6_EEENSD_IJSA_SA_EEENS0_18inequality_wrapperIZN2at6native12_GLOBAL__N_124unique_dim_cuda_templateIjEESt5tupleIJNSH_6TensorESM_SM_EERKSM_lbbbEUlllE0_EEPmJS6_EEE10hipError_tPvRmT3_T4_T5_T6_T7_T9_mT8_P12ihipStream_tbDpT10_ENKUlT_T0_E_clISt17integral_constantIbLb0EES1C_EEDaS17_S18_EUlS17_E_NS1_11comp_targetILNS1_3genE4ELNS1_11target_archE910ELNS1_3gpuE8ELNS1_3repE0EEENS1_30default_config_static_selectorELNS0_4arch9wavefront6targetE1EEEvT1_.num_vgpr, 0
	.set _ZN7rocprim17ROCPRIM_400000_NS6detail17trampoline_kernelINS0_14default_configENS1_25partition_config_selectorILNS1_17partition_subalgoE8ElNS0_10empty_typeEbEEZZNS1_14partition_implILS5_8ELb0ES3_jPlPS6_PKS6_NS0_5tupleIJS9_S6_EEENSD_IJSA_SA_EEENS0_18inequality_wrapperIZN2at6native12_GLOBAL__N_124unique_dim_cuda_templateIjEESt5tupleIJNSH_6TensorESM_SM_EERKSM_lbbbEUlllE0_EEPmJS6_EEE10hipError_tPvRmT3_T4_T5_T6_T7_T9_mT8_P12ihipStream_tbDpT10_ENKUlT_T0_E_clISt17integral_constantIbLb0EES1C_EEDaS17_S18_EUlS17_E_NS1_11comp_targetILNS1_3genE4ELNS1_11target_archE910ELNS1_3gpuE8ELNS1_3repE0EEENS1_30default_config_static_selectorELNS0_4arch9wavefront6targetE1EEEvT1_.num_agpr, 0
	.set _ZN7rocprim17ROCPRIM_400000_NS6detail17trampoline_kernelINS0_14default_configENS1_25partition_config_selectorILNS1_17partition_subalgoE8ElNS0_10empty_typeEbEEZZNS1_14partition_implILS5_8ELb0ES3_jPlPS6_PKS6_NS0_5tupleIJS9_S6_EEENSD_IJSA_SA_EEENS0_18inequality_wrapperIZN2at6native12_GLOBAL__N_124unique_dim_cuda_templateIjEESt5tupleIJNSH_6TensorESM_SM_EERKSM_lbbbEUlllE0_EEPmJS6_EEE10hipError_tPvRmT3_T4_T5_T6_T7_T9_mT8_P12ihipStream_tbDpT10_ENKUlT_T0_E_clISt17integral_constantIbLb0EES1C_EEDaS17_S18_EUlS17_E_NS1_11comp_targetILNS1_3genE4ELNS1_11target_archE910ELNS1_3gpuE8ELNS1_3repE0EEENS1_30default_config_static_selectorELNS0_4arch9wavefront6targetE1EEEvT1_.numbered_sgpr, 0
	.set _ZN7rocprim17ROCPRIM_400000_NS6detail17trampoline_kernelINS0_14default_configENS1_25partition_config_selectorILNS1_17partition_subalgoE8ElNS0_10empty_typeEbEEZZNS1_14partition_implILS5_8ELb0ES3_jPlPS6_PKS6_NS0_5tupleIJS9_S6_EEENSD_IJSA_SA_EEENS0_18inequality_wrapperIZN2at6native12_GLOBAL__N_124unique_dim_cuda_templateIjEESt5tupleIJNSH_6TensorESM_SM_EERKSM_lbbbEUlllE0_EEPmJS6_EEE10hipError_tPvRmT3_T4_T5_T6_T7_T9_mT8_P12ihipStream_tbDpT10_ENKUlT_T0_E_clISt17integral_constantIbLb0EES1C_EEDaS17_S18_EUlS17_E_NS1_11comp_targetILNS1_3genE4ELNS1_11target_archE910ELNS1_3gpuE8ELNS1_3repE0EEENS1_30default_config_static_selectorELNS0_4arch9wavefront6targetE1EEEvT1_.num_named_barrier, 0
	.set _ZN7rocprim17ROCPRIM_400000_NS6detail17trampoline_kernelINS0_14default_configENS1_25partition_config_selectorILNS1_17partition_subalgoE8ElNS0_10empty_typeEbEEZZNS1_14partition_implILS5_8ELb0ES3_jPlPS6_PKS6_NS0_5tupleIJS9_S6_EEENSD_IJSA_SA_EEENS0_18inequality_wrapperIZN2at6native12_GLOBAL__N_124unique_dim_cuda_templateIjEESt5tupleIJNSH_6TensorESM_SM_EERKSM_lbbbEUlllE0_EEPmJS6_EEE10hipError_tPvRmT3_T4_T5_T6_T7_T9_mT8_P12ihipStream_tbDpT10_ENKUlT_T0_E_clISt17integral_constantIbLb0EES1C_EEDaS17_S18_EUlS17_E_NS1_11comp_targetILNS1_3genE4ELNS1_11target_archE910ELNS1_3gpuE8ELNS1_3repE0EEENS1_30default_config_static_selectorELNS0_4arch9wavefront6targetE1EEEvT1_.private_seg_size, 0
	.set _ZN7rocprim17ROCPRIM_400000_NS6detail17trampoline_kernelINS0_14default_configENS1_25partition_config_selectorILNS1_17partition_subalgoE8ElNS0_10empty_typeEbEEZZNS1_14partition_implILS5_8ELb0ES3_jPlPS6_PKS6_NS0_5tupleIJS9_S6_EEENSD_IJSA_SA_EEENS0_18inequality_wrapperIZN2at6native12_GLOBAL__N_124unique_dim_cuda_templateIjEESt5tupleIJNSH_6TensorESM_SM_EERKSM_lbbbEUlllE0_EEPmJS6_EEE10hipError_tPvRmT3_T4_T5_T6_T7_T9_mT8_P12ihipStream_tbDpT10_ENKUlT_T0_E_clISt17integral_constantIbLb0EES1C_EEDaS17_S18_EUlS17_E_NS1_11comp_targetILNS1_3genE4ELNS1_11target_archE910ELNS1_3gpuE8ELNS1_3repE0EEENS1_30default_config_static_selectorELNS0_4arch9wavefront6targetE1EEEvT1_.uses_vcc, 0
	.set _ZN7rocprim17ROCPRIM_400000_NS6detail17trampoline_kernelINS0_14default_configENS1_25partition_config_selectorILNS1_17partition_subalgoE8ElNS0_10empty_typeEbEEZZNS1_14partition_implILS5_8ELb0ES3_jPlPS6_PKS6_NS0_5tupleIJS9_S6_EEENSD_IJSA_SA_EEENS0_18inequality_wrapperIZN2at6native12_GLOBAL__N_124unique_dim_cuda_templateIjEESt5tupleIJNSH_6TensorESM_SM_EERKSM_lbbbEUlllE0_EEPmJS6_EEE10hipError_tPvRmT3_T4_T5_T6_T7_T9_mT8_P12ihipStream_tbDpT10_ENKUlT_T0_E_clISt17integral_constantIbLb0EES1C_EEDaS17_S18_EUlS17_E_NS1_11comp_targetILNS1_3genE4ELNS1_11target_archE910ELNS1_3gpuE8ELNS1_3repE0EEENS1_30default_config_static_selectorELNS0_4arch9wavefront6targetE1EEEvT1_.uses_flat_scratch, 0
	.set _ZN7rocprim17ROCPRIM_400000_NS6detail17trampoline_kernelINS0_14default_configENS1_25partition_config_selectorILNS1_17partition_subalgoE8ElNS0_10empty_typeEbEEZZNS1_14partition_implILS5_8ELb0ES3_jPlPS6_PKS6_NS0_5tupleIJS9_S6_EEENSD_IJSA_SA_EEENS0_18inequality_wrapperIZN2at6native12_GLOBAL__N_124unique_dim_cuda_templateIjEESt5tupleIJNSH_6TensorESM_SM_EERKSM_lbbbEUlllE0_EEPmJS6_EEE10hipError_tPvRmT3_T4_T5_T6_T7_T9_mT8_P12ihipStream_tbDpT10_ENKUlT_T0_E_clISt17integral_constantIbLb0EES1C_EEDaS17_S18_EUlS17_E_NS1_11comp_targetILNS1_3genE4ELNS1_11target_archE910ELNS1_3gpuE8ELNS1_3repE0EEENS1_30default_config_static_selectorELNS0_4arch9wavefront6targetE1EEEvT1_.has_dyn_sized_stack, 0
	.set _ZN7rocprim17ROCPRIM_400000_NS6detail17trampoline_kernelINS0_14default_configENS1_25partition_config_selectorILNS1_17partition_subalgoE8ElNS0_10empty_typeEbEEZZNS1_14partition_implILS5_8ELb0ES3_jPlPS6_PKS6_NS0_5tupleIJS9_S6_EEENSD_IJSA_SA_EEENS0_18inequality_wrapperIZN2at6native12_GLOBAL__N_124unique_dim_cuda_templateIjEESt5tupleIJNSH_6TensorESM_SM_EERKSM_lbbbEUlllE0_EEPmJS6_EEE10hipError_tPvRmT3_T4_T5_T6_T7_T9_mT8_P12ihipStream_tbDpT10_ENKUlT_T0_E_clISt17integral_constantIbLb0EES1C_EEDaS17_S18_EUlS17_E_NS1_11comp_targetILNS1_3genE4ELNS1_11target_archE910ELNS1_3gpuE8ELNS1_3repE0EEENS1_30default_config_static_selectorELNS0_4arch9wavefront6targetE1EEEvT1_.has_recursion, 0
	.set _ZN7rocprim17ROCPRIM_400000_NS6detail17trampoline_kernelINS0_14default_configENS1_25partition_config_selectorILNS1_17partition_subalgoE8ElNS0_10empty_typeEbEEZZNS1_14partition_implILS5_8ELb0ES3_jPlPS6_PKS6_NS0_5tupleIJS9_S6_EEENSD_IJSA_SA_EEENS0_18inequality_wrapperIZN2at6native12_GLOBAL__N_124unique_dim_cuda_templateIjEESt5tupleIJNSH_6TensorESM_SM_EERKSM_lbbbEUlllE0_EEPmJS6_EEE10hipError_tPvRmT3_T4_T5_T6_T7_T9_mT8_P12ihipStream_tbDpT10_ENKUlT_T0_E_clISt17integral_constantIbLb0EES1C_EEDaS17_S18_EUlS17_E_NS1_11comp_targetILNS1_3genE4ELNS1_11target_archE910ELNS1_3gpuE8ELNS1_3repE0EEENS1_30default_config_static_selectorELNS0_4arch9wavefront6targetE1EEEvT1_.has_indirect_call, 0
	.section	.AMDGPU.csdata,"",@progbits
; Kernel info:
; codeLenInByte = 0
; TotalNumSgprs: 6
; NumVgprs: 0
; NumAgprs: 0
; TotalNumVgprs: 0
; ScratchSize: 0
; MemoryBound: 0
; FloatMode: 240
; IeeeMode: 1
; LDSByteSize: 0 bytes/workgroup (compile time only)
; SGPRBlocks: 0
; VGPRBlocks: 0
; NumSGPRsForWavesPerEU: 6
; NumVGPRsForWavesPerEU: 1
; AccumOffset: 4
; Occupancy: 8
; WaveLimiterHint : 0
; COMPUTE_PGM_RSRC2:SCRATCH_EN: 0
; COMPUTE_PGM_RSRC2:USER_SGPR: 2
; COMPUTE_PGM_RSRC2:TRAP_HANDLER: 0
; COMPUTE_PGM_RSRC2:TGID_X_EN: 1
; COMPUTE_PGM_RSRC2:TGID_Y_EN: 0
; COMPUTE_PGM_RSRC2:TGID_Z_EN: 0
; COMPUTE_PGM_RSRC2:TIDIG_COMP_CNT: 0
; COMPUTE_PGM_RSRC3_GFX90A:ACCUM_OFFSET: 0
; COMPUTE_PGM_RSRC3_GFX90A:TG_SPLIT: 0
	.section	.text._ZN7rocprim17ROCPRIM_400000_NS6detail17trampoline_kernelINS0_14default_configENS1_25partition_config_selectorILNS1_17partition_subalgoE8ElNS0_10empty_typeEbEEZZNS1_14partition_implILS5_8ELb0ES3_jPlPS6_PKS6_NS0_5tupleIJS9_S6_EEENSD_IJSA_SA_EEENS0_18inequality_wrapperIZN2at6native12_GLOBAL__N_124unique_dim_cuda_templateIjEESt5tupleIJNSH_6TensorESM_SM_EERKSM_lbbbEUlllE0_EEPmJS6_EEE10hipError_tPvRmT3_T4_T5_T6_T7_T9_mT8_P12ihipStream_tbDpT10_ENKUlT_T0_E_clISt17integral_constantIbLb0EES1C_EEDaS17_S18_EUlS17_E_NS1_11comp_targetILNS1_3genE3ELNS1_11target_archE908ELNS1_3gpuE7ELNS1_3repE0EEENS1_30default_config_static_selectorELNS0_4arch9wavefront6targetE1EEEvT1_,"axG",@progbits,_ZN7rocprim17ROCPRIM_400000_NS6detail17trampoline_kernelINS0_14default_configENS1_25partition_config_selectorILNS1_17partition_subalgoE8ElNS0_10empty_typeEbEEZZNS1_14partition_implILS5_8ELb0ES3_jPlPS6_PKS6_NS0_5tupleIJS9_S6_EEENSD_IJSA_SA_EEENS0_18inequality_wrapperIZN2at6native12_GLOBAL__N_124unique_dim_cuda_templateIjEESt5tupleIJNSH_6TensorESM_SM_EERKSM_lbbbEUlllE0_EEPmJS6_EEE10hipError_tPvRmT3_T4_T5_T6_T7_T9_mT8_P12ihipStream_tbDpT10_ENKUlT_T0_E_clISt17integral_constantIbLb0EES1C_EEDaS17_S18_EUlS17_E_NS1_11comp_targetILNS1_3genE3ELNS1_11target_archE908ELNS1_3gpuE7ELNS1_3repE0EEENS1_30default_config_static_selectorELNS0_4arch9wavefront6targetE1EEEvT1_,comdat
	.globl	_ZN7rocprim17ROCPRIM_400000_NS6detail17trampoline_kernelINS0_14default_configENS1_25partition_config_selectorILNS1_17partition_subalgoE8ElNS0_10empty_typeEbEEZZNS1_14partition_implILS5_8ELb0ES3_jPlPS6_PKS6_NS0_5tupleIJS9_S6_EEENSD_IJSA_SA_EEENS0_18inequality_wrapperIZN2at6native12_GLOBAL__N_124unique_dim_cuda_templateIjEESt5tupleIJNSH_6TensorESM_SM_EERKSM_lbbbEUlllE0_EEPmJS6_EEE10hipError_tPvRmT3_T4_T5_T6_T7_T9_mT8_P12ihipStream_tbDpT10_ENKUlT_T0_E_clISt17integral_constantIbLb0EES1C_EEDaS17_S18_EUlS17_E_NS1_11comp_targetILNS1_3genE3ELNS1_11target_archE908ELNS1_3gpuE7ELNS1_3repE0EEENS1_30default_config_static_selectorELNS0_4arch9wavefront6targetE1EEEvT1_ ; -- Begin function _ZN7rocprim17ROCPRIM_400000_NS6detail17trampoline_kernelINS0_14default_configENS1_25partition_config_selectorILNS1_17partition_subalgoE8ElNS0_10empty_typeEbEEZZNS1_14partition_implILS5_8ELb0ES3_jPlPS6_PKS6_NS0_5tupleIJS9_S6_EEENSD_IJSA_SA_EEENS0_18inequality_wrapperIZN2at6native12_GLOBAL__N_124unique_dim_cuda_templateIjEESt5tupleIJNSH_6TensorESM_SM_EERKSM_lbbbEUlllE0_EEPmJS6_EEE10hipError_tPvRmT3_T4_T5_T6_T7_T9_mT8_P12ihipStream_tbDpT10_ENKUlT_T0_E_clISt17integral_constantIbLb0EES1C_EEDaS17_S18_EUlS17_E_NS1_11comp_targetILNS1_3genE3ELNS1_11target_archE908ELNS1_3gpuE7ELNS1_3repE0EEENS1_30default_config_static_selectorELNS0_4arch9wavefront6targetE1EEEvT1_
	.p2align	8
	.type	_ZN7rocprim17ROCPRIM_400000_NS6detail17trampoline_kernelINS0_14default_configENS1_25partition_config_selectorILNS1_17partition_subalgoE8ElNS0_10empty_typeEbEEZZNS1_14partition_implILS5_8ELb0ES3_jPlPS6_PKS6_NS0_5tupleIJS9_S6_EEENSD_IJSA_SA_EEENS0_18inequality_wrapperIZN2at6native12_GLOBAL__N_124unique_dim_cuda_templateIjEESt5tupleIJNSH_6TensorESM_SM_EERKSM_lbbbEUlllE0_EEPmJS6_EEE10hipError_tPvRmT3_T4_T5_T6_T7_T9_mT8_P12ihipStream_tbDpT10_ENKUlT_T0_E_clISt17integral_constantIbLb0EES1C_EEDaS17_S18_EUlS17_E_NS1_11comp_targetILNS1_3genE3ELNS1_11target_archE908ELNS1_3gpuE7ELNS1_3repE0EEENS1_30default_config_static_selectorELNS0_4arch9wavefront6targetE1EEEvT1_,@function
_ZN7rocprim17ROCPRIM_400000_NS6detail17trampoline_kernelINS0_14default_configENS1_25partition_config_selectorILNS1_17partition_subalgoE8ElNS0_10empty_typeEbEEZZNS1_14partition_implILS5_8ELb0ES3_jPlPS6_PKS6_NS0_5tupleIJS9_S6_EEENSD_IJSA_SA_EEENS0_18inequality_wrapperIZN2at6native12_GLOBAL__N_124unique_dim_cuda_templateIjEESt5tupleIJNSH_6TensorESM_SM_EERKSM_lbbbEUlllE0_EEPmJS6_EEE10hipError_tPvRmT3_T4_T5_T6_T7_T9_mT8_P12ihipStream_tbDpT10_ENKUlT_T0_E_clISt17integral_constantIbLb0EES1C_EEDaS17_S18_EUlS17_E_NS1_11comp_targetILNS1_3genE3ELNS1_11target_archE908ELNS1_3gpuE7ELNS1_3repE0EEENS1_30default_config_static_selectorELNS0_4arch9wavefront6targetE1EEEvT1_: ; @_ZN7rocprim17ROCPRIM_400000_NS6detail17trampoline_kernelINS0_14default_configENS1_25partition_config_selectorILNS1_17partition_subalgoE8ElNS0_10empty_typeEbEEZZNS1_14partition_implILS5_8ELb0ES3_jPlPS6_PKS6_NS0_5tupleIJS9_S6_EEENSD_IJSA_SA_EEENS0_18inequality_wrapperIZN2at6native12_GLOBAL__N_124unique_dim_cuda_templateIjEESt5tupleIJNSH_6TensorESM_SM_EERKSM_lbbbEUlllE0_EEPmJS6_EEE10hipError_tPvRmT3_T4_T5_T6_T7_T9_mT8_P12ihipStream_tbDpT10_ENKUlT_T0_E_clISt17integral_constantIbLb0EES1C_EEDaS17_S18_EUlS17_E_NS1_11comp_targetILNS1_3genE3ELNS1_11target_archE908ELNS1_3gpuE7ELNS1_3repE0EEENS1_30default_config_static_selectorELNS0_4arch9wavefront6targetE1EEEvT1_
; %bb.0:
	.section	.rodata,"a",@progbits
	.p2align	6, 0x0
	.amdhsa_kernel _ZN7rocprim17ROCPRIM_400000_NS6detail17trampoline_kernelINS0_14default_configENS1_25partition_config_selectorILNS1_17partition_subalgoE8ElNS0_10empty_typeEbEEZZNS1_14partition_implILS5_8ELb0ES3_jPlPS6_PKS6_NS0_5tupleIJS9_S6_EEENSD_IJSA_SA_EEENS0_18inequality_wrapperIZN2at6native12_GLOBAL__N_124unique_dim_cuda_templateIjEESt5tupleIJNSH_6TensorESM_SM_EERKSM_lbbbEUlllE0_EEPmJS6_EEE10hipError_tPvRmT3_T4_T5_T6_T7_T9_mT8_P12ihipStream_tbDpT10_ENKUlT_T0_E_clISt17integral_constantIbLb0EES1C_EEDaS17_S18_EUlS17_E_NS1_11comp_targetILNS1_3genE3ELNS1_11target_archE908ELNS1_3gpuE7ELNS1_3repE0EEENS1_30default_config_static_selectorELNS0_4arch9wavefront6targetE1EEEvT1_
		.amdhsa_group_segment_fixed_size 0
		.amdhsa_private_segment_fixed_size 0
		.amdhsa_kernarg_size 120
		.amdhsa_user_sgpr_count 2
		.amdhsa_user_sgpr_dispatch_ptr 0
		.amdhsa_user_sgpr_queue_ptr 0
		.amdhsa_user_sgpr_kernarg_segment_ptr 1
		.amdhsa_user_sgpr_dispatch_id 0
		.amdhsa_user_sgpr_kernarg_preload_length 0
		.amdhsa_user_sgpr_kernarg_preload_offset 0
		.amdhsa_user_sgpr_private_segment_size 0
		.amdhsa_uses_dynamic_stack 0
		.amdhsa_enable_private_segment 0
		.amdhsa_system_sgpr_workgroup_id_x 1
		.amdhsa_system_sgpr_workgroup_id_y 0
		.amdhsa_system_sgpr_workgroup_id_z 0
		.amdhsa_system_sgpr_workgroup_info 0
		.amdhsa_system_vgpr_workitem_id 0
		.amdhsa_next_free_vgpr 1
		.amdhsa_next_free_sgpr 0
		.amdhsa_accum_offset 4
		.amdhsa_reserve_vcc 0
		.amdhsa_float_round_mode_32 0
		.amdhsa_float_round_mode_16_64 0
		.amdhsa_float_denorm_mode_32 3
		.amdhsa_float_denorm_mode_16_64 3
		.amdhsa_dx10_clamp 1
		.amdhsa_ieee_mode 1
		.amdhsa_fp16_overflow 0
		.amdhsa_tg_split 0
		.amdhsa_exception_fp_ieee_invalid_op 0
		.amdhsa_exception_fp_denorm_src 0
		.amdhsa_exception_fp_ieee_div_zero 0
		.amdhsa_exception_fp_ieee_overflow 0
		.amdhsa_exception_fp_ieee_underflow 0
		.amdhsa_exception_fp_ieee_inexact 0
		.amdhsa_exception_int_div_zero 0
	.end_amdhsa_kernel
	.section	.text._ZN7rocprim17ROCPRIM_400000_NS6detail17trampoline_kernelINS0_14default_configENS1_25partition_config_selectorILNS1_17partition_subalgoE8ElNS0_10empty_typeEbEEZZNS1_14partition_implILS5_8ELb0ES3_jPlPS6_PKS6_NS0_5tupleIJS9_S6_EEENSD_IJSA_SA_EEENS0_18inequality_wrapperIZN2at6native12_GLOBAL__N_124unique_dim_cuda_templateIjEESt5tupleIJNSH_6TensorESM_SM_EERKSM_lbbbEUlllE0_EEPmJS6_EEE10hipError_tPvRmT3_T4_T5_T6_T7_T9_mT8_P12ihipStream_tbDpT10_ENKUlT_T0_E_clISt17integral_constantIbLb0EES1C_EEDaS17_S18_EUlS17_E_NS1_11comp_targetILNS1_3genE3ELNS1_11target_archE908ELNS1_3gpuE7ELNS1_3repE0EEENS1_30default_config_static_selectorELNS0_4arch9wavefront6targetE1EEEvT1_,"axG",@progbits,_ZN7rocprim17ROCPRIM_400000_NS6detail17trampoline_kernelINS0_14default_configENS1_25partition_config_selectorILNS1_17partition_subalgoE8ElNS0_10empty_typeEbEEZZNS1_14partition_implILS5_8ELb0ES3_jPlPS6_PKS6_NS0_5tupleIJS9_S6_EEENSD_IJSA_SA_EEENS0_18inequality_wrapperIZN2at6native12_GLOBAL__N_124unique_dim_cuda_templateIjEESt5tupleIJNSH_6TensorESM_SM_EERKSM_lbbbEUlllE0_EEPmJS6_EEE10hipError_tPvRmT3_T4_T5_T6_T7_T9_mT8_P12ihipStream_tbDpT10_ENKUlT_T0_E_clISt17integral_constantIbLb0EES1C_EEDaS17_S18_EUlS17_E_NS1_11comp_targetILNS1_3genE3ELNS1_11target_archE908ELNS1_3gpuE7ELNS1_3repE0EEENS1_30default_config_static_selectorELNS0_4arch9wavefront6targetE1EEEvT1_,comdat
.Lfunc_end1544:
	.size	_ZN7rocprim17ROCPRIM_400000_NS6detail17trampoline_kernelINS0_14default_configENS1_25partition_config_selectorILNS1_17partition_subalgoE8ElNS0_10empty_typeEbEEZZNS1_14partition_implILS5_8ELb0ES3_jPlPS6_PKS6_NS0_5tupleIJS9_S6_EEENSD_IJSA_SA_EEENS0_18inequality_wrapperIZN2at6native12_GLOBAL__N_124unique_dim_cuda_templateIjEESt5tupleIJNSH_6TensorESM_SM_EERKSM_lbbbEUlllE0_EEPmJS6_EEE10hipError_tPvRmT3_T4_T5_T6_T7_T9_mT8_P12ihipStream_tbDpT10_ENKUlT_T0_E_clISt17integral_constantIbLb0EES1C_EEDaS17_S18_EUlS17_E_NS1_11comp_targetILNS1_3genE3ELNS1_11target_archE908ELNS1_3gpuE7ELNS1_3repE0EEENS1_30default_config_static_selectorELNS0_4arch9wavefront6targetE1EEEvT1_, .Lfunc_end1544-_ZN7rocprim17ROCPRIM_400000_NS6detail17trampoline_kernelINS0_14default_configENS1_25partition_config_selectorILNS1_17partition_subalgoE8ElNS0_10empty_typeEbEEZZNS1_14partition_implILS5_8ELb0ES3_jPlPS6_PKS6_NS0_5tupleIJS9_S6_EEENSD_IJSA_SA_EEENS0_18inequality_wrapperIZN2at6native12_GLOBAL__N_124unique_dim_cuda_templateIjEESt5tupleIJNSH_6TensorESM_SM_EERKSM_lbbbEUlllE0_EEPmJS6_EEE10hipError_tPvRmT3_T4_T5_T6_T7_T9_mT8_P12ihipStream_tbDpT10_ENKUlT_T0_E_clISt17integral_constantIbLb0EES1C_EEDaS17_S18_EUlS17_E_NS1_11comp_targetILNS1_3genE3ELNS1_11target_archE908ELNS1_3gpuE7ELNS1_3repE0EEENS1_30default_config_static_selectorELNS0_4arch9wavefront6targetE1EEEvT1_
                                        ; -- End function
	.set _ZN7rocprim17ROCPRIM_400000_NS6detail17trampoline_kernelINS0_14default_configENS1_25partition_config_selectorILNS1_17partition_subalgoE8ElNS0_10empty_typeEbEEZZNS1_14partition_implILS5_8ELb0ES3_jPlPS6_PKS6_NS0_5tupleIJS9_S6_EEENSD_IJSA_SA_EEENS0_18inequality_wrapperIZN2at6native12_GLOBAL__N_124unique_dim_cuda_templateIjEESt5tupleIJNSH_6TensorESM_SM_EERKSM_lbbbEUlllE0_EEPmJS6_EEE10hipError_tPvRmT3_T4_T5_T6_T7_T9_mT8_P12ihipStream_tbDpT10_ENKUlT_T0_E_clISt17integral_constantIbLb0EES1C_EEDaS17_S18_EUlS17_E_NS1_11comp_targetILNS1_3genE3ELNS1_11target_archE908ELNS1_3gpuE7ELNS1_3repE0EEENS1_30default_config_static_selectorELNS0_4arch9wavefront6targetE1EEEvT1_.num_vgpr, 0
	.set _ZN7rocprim17ROCPRIM_400000_NS6detail17trampoline_kernelINS0_14default_configENS1_25partition_config_selectorILNS1_17partition_subalgoE8ElNS0_10empty_typeEbEEZZNS1_14partition_implILS5_8ELb0ES3_jPlPS6_PKS6_NS0_5tupleIJS9_S6_EEENSD_IJSA_SA_EEENS0_18inequality_wrapperIZN2at6native12_GLOBAL__N_124unique_dim_cuda_templateIjEESt5tupleIJNSH_6TensorESM_SM_EERKSM_lbbbEUlllE0_EEPmJS6_EEE10hipError_tPvRmT3_T4_T5_T6_T7_T9_mT8_P12ihipStream_tbDpT10_ENKUlT_T0_E_clISt17integral_constantIbLb0EES1C_EEDaS17_S18_EUlS17_E_NS1_11comp_targetILNS1_3genE3ELNS1_11target_archE908ELNS1_3gpuE7ELNS1_3repE0EEENS1_30default_config_static_selectorELNS0_4arch9wavefront6targetE1EEEvT1_.num_agpr, 0
	.set _ZN7rocprim17ROCPRIM_400000_NS6detail17trampoline_kernelINS0_14default_configENS1_25partition_config_selectorILNS1_17partition_subalgoE8ElNS0_10empty_typeEbEEZZNS1_14partition_implILS5_8ELb0ES3_jPlPS6_PKS6_NS0_5tupleIJS9_S6_EEENSD_IJSA_SA_EEENS0_18inequality_wrapperIZN2at6native12_GLOBAL__N_124unique_dim_cuda_templateIjEESt5tupleIJNSH_6TensorESM_SM_EERKSM_lbbbEUlllE0_EEPmJS6_EEE10hipError_tPvRmT3_T4_T5_T6_T7_T9_mT8_P12ihipStream_tbDpT10_ENKUlT_T0_E_clISt17integral_constantIbLb0EES1C_EEDaS17_S18_EUlS17_E_NS1_11comp_targetILNS1_3genE3ELNS1_11target_archE908ELNS1_3gpuE7ELNS1_3repE0EEENS1_30default_config_static_selectorELNS0_4arch9wavefront6targetE1EEEvT1_.numbered_sgpr, 0
	.set _ZN7rocprim17ROCPRIM_400000_NS6detail17trampoline_kernelINS0_14default_configENS1_25partition_config_selectorILNS1_17partition_subalgoE8ElNS0_10empty_typeEbEEZZNS1_14partition_implILS5_8ELb0ES3_jPlPS6_PKS6_NS0_5tupleIJS9_S6_EEENSD_IJSA_SA_EEENS0_18inequality_wrapperIZN2at6native12_GLOBAL__N_124unique_dim_cuda_templateIjEESt5tupleIJNSH_6TensorESM_SM_EERKSM_lbbbEUlllE0_EEPmJS6_EEE10hipError_tPvRmT3_T4_T5_T6_T7_T9_mT8_P12ihipStream_tbDpT10_ENKUlT_T0_E_clISt17integral_constantIbLb0EES1C_EEDaS17_S18_EUlS17_E_NS1_11comp_targetILNS1_3genE3ELNS1_11target_archE908ELNS1_3gpuE7ELNS1_3repE0EEENS1_30default_config_static_selectorELNS0_4arch9wavefront6targetE1EEEvT1_.num_named_barrier, 0
	.set _ZN7rocprim17ROCPRIM_400000_NS6detail17trampoline_kernelINS0_14default_configENS1_25partition_config_selectorILNS1_17partition_subalgoE8ElNS0_10empty_typeEbEEZZNS1_14partition_implILS5_8ELb0ES3_jPlPS6_PKS6_NS0_5tupleIJS9_S6_EEENSD_IJSA_SA_EEENS0_18inequality_wrapperIZN2at6native12_GLOBAL__N_124unique_dim_cuda_templateIjEESt5tupleIJNSH_6TensorESM_SM_EERKSM_lbbbEUlllE0_EEPmJS6_EEE10hipError_tPvRmT3_T4_T5_T6_T7_T9_mT8_P12ihipStream_tbDpT10_ENKUlT_T0_E_clISt17integral_constantIbLb0EES1C_EEDaS17_S18_EUlS17_E_NS1_11comp_targetILNS1_3genE3ELNS1_11target_archE908ELNS1_3gpuE7ELNS1_3repE0EEENS1_30default_config_static_selectorELNS0_4arch9wavefront6targetE1EEEvT1_.private_seg_size, 0
	.set _ZN7rocprim17ROCPRIM_400000_NS6detail17trampoline_kernelINS0_14default_configENS1_25partition_config_selectorILNS1_17partition_subalgoE8ElNS0_10empty_typeEbEEZZNS1_14partition_implILS5_8ELb0ES3_jPlPS6_PKS6_NS0_5tupleIJS9_S6_EEENSD_IJSA_SA_EEENS0_18inequality_wrapperIZN2at6native12_GLOBAL__N_124unique_dim_cuda_templateIjEESt5tupleIJNSH_6TensorESM_SM_EERKSM_lbbbEUlllE0_EEPmJS6_EEE10hipError_tPvRmT3_T4_T5_T6_T7_T9_mT8_P12ihipStream_tbDpT10_ENKUlT_T0_E_clISt17integral_constantIbLb0EES1C_EEDaS17_S18_EUlS17_E_NS1_11comp_targetILNS1_3genE3ELNS1_11target_archE908ELNS1_3gpuE7ELNS1_3repE0EEENS1_30default_config_static_selectorELNS0_4arch9wavefront6targetE1EEEvT1_.uses_vcc, 0
	.set _ZN7rocprim17ROCPRIM_400000_NS6detail17trampoline_kernelINS0_14default_configENS1_25partition_config_selectorILNS1_17partition_subalgoE8ElNS0_10empty_typeEbEEZZNS1_14partition_implILS5_8ELb0ES3_jPlPS6_PKS6_NS0_5tupleIJS9_S6_EEENSD_IJSA_SA_EEENS0_18inequality_wrapperIZN2at6native12_GLOBAL__N_124unique_dim_cuda_templateIjEESt5tupleIJNSH_6TensorESM_SM_EERKSM_lbbbEUlllE0_EEPmJS6_EEE10hipError_tPvRmT3_T4_T5_T6_T7_T9_mT8_P12ihipStream_tbDpT10_ENKUlT_T0_E_clISt17integral_constantIbLb0EES1C_EEDaS17_S18_EUlS17_E_NS1_11comp_targetILNS1_3genE3ELNS1_11target_archE908ELNS1_3gpuE7ELNS1_3repE0EEENS1_30default_config_static_selectorELNS0_4arch9wavefront6targetE1EEEvT1_.uses_flat_scratch, 0
	.set _ZN7rocprim17ROCPRIM_400000_NS6detail17trampoline_kernelINS0_14default_configENS1_25partition_config_selectorILNS1_17partition_subalgoE8ElNS0_10empty_typeEbEEZZNS1_14partition_implILS5_8ELb0ES3_jPlPS6_PKS6_NS0_5tupleIJS9_S6_EEENSD_IJSA_SA_EEENS0_18inequality_wrapperIZN2at6native12_GLOBAL__N_124unique_dim_cuda_templateIjEESt5tupleIJNSH_6TensorESM_SM_EERKSM_lbbbEUlllE0_EEPmJS6_EEE10hipError_tPvRmT3_T4_T5_T6_T7_T9_mT8_P12ihipStream_tbDpT10_ENKUlT_T0_E_clISt17integral_constantIbLb0EES1C_EEDaS17_S18_EUlS17_E_NS1_11comp_targetILNS1_3genE3ELNS1_11target_archE908ELNS1_3gpuE7ELNS1_3repE0EEENS1_30default_config_static_selectorELNS0_4arch9wavefront6targetE1EEEvT1_.has_dyn_sized_stack, 0
	.set _ZN7rocprim17ROCPRIM_400000_NS6detail17trampoline_kernelINS0_14default_configENS1_25partition_config_selectorILNS1_17partition_subalgoE8ElNS0_10empty_typeEbEEZZNS1_14partition_implILS5_8ELb0ES3_jPlPS6_PKS6_NS0_5tupleIJS9_S6_EEENSD_IJSA_SA_EEENS0_18inequality_wrapperIZN2at6native12_GLOBAL__N_124unique_dim_cuda_templateIjEESt5tupleIJNSH_6TensorESM_SM_EERKSM_lbbbEUlllE0_EEPmJS6_EEE10hipError_tPvRmT3_T4_T5_T6_T7_T9_mT8_P12ihipStream_tbDpT10_ENKUlT_T0_E_clISt17integral_constantIbLb0EES1C_EEDaS17_S18_EUlS17_E_NS1_11comp_targetILNS1_3genE3ELNS1_11target_archE908ELNS1_3gpuE7ELNS1_3repE0EEENS1_30default_config_static_selectorELNS0_4arch9wavefront6targetE1EEEvT1_.has_recursion, 0
	.set _ZN7rocprim17ROCPRIM_400000_NS6detail17trampoline_kernelINS0_14default_configENS1_25partition_config_selectorILNS1_17partition_subalgoE8ElNS0_10empty_typeEbEEZZNS1_14partition_implILS5_8ELb0ES3_jPlPS6_PKS6_NS0_5tupleIJS9_S6_EEENSD_IJSA_SA_EEENS0_18inequality_wrapperIZN2at6native12_GLOBAL__N_124unique_dim_cuda_templateIjEESt5tupleIJNSH_6TensorESM_SM_EERKSM_lbbbEUlllE0_EEPmJS6_EEE10hipError_tPvRmT3_T4_T5_T6_T7_T9_mT8_P12ihipStream_tbDpT10_ENKUlT_T0_E_clISt17integral_constantIbLb0EES1C_EEDaS17_S18_EUlS17_E_NS1_11comp_targetILNS1_3genE3ELNS1_11target_archE908ELNS1_3gpuE7ELNS1_3repE0EEENS1_30default_config_static_selectorELNS0_4arch9wavefront6targetE1EEEvT1_.has_indirect_call, 0
	.section	.AMDGPU.csdata,"",@progbits
; Kernel info:
; codeLenInByte = 0
; TotalNumSgprs: 6
; NumVgprs: 0
; NumAgprs: 0
; TotalNumVgprs: 0
; ScratchSize: 0
; MemoryBound: 0
; FloatMode: 240
; IeeeMode: 1
; LDSByteSize: 0 bytes/workgroup (compile time only)
; SGPRBlocks: 0
; VGPRBlocks: 0
; NumSGPRsForWavesPerEU: 6
; NumVGPRsForWavesPerEU: 1
; AccumOffset: 4
; Occupancy: 8
; WaveLimiterHint : 0
; COMPUTE_PGM_RSRC2:SCRATCH_EN: 0
; COMPUTE_PGM_RSRC2:USER_SGPR: 2
; COMPUTE_PGM_RSRC2:TRAP_HANDLER: 0
; COMPUTE_PGM_RSRC2:TGID_X_EN: 1
; COMPUTE_PGM_RSRC2:TGID_Y_EN: 0
; COMPUTE_PGM_RSRC2:TGID_Z_EN: 0
; COMPUTE_PGM_RSRC2:TIDIG_COMP_CNT: 0
; COMPUTE_PGM_RSRC3_GFX90A:ACCUM_OFFSET: 0
; COMPUTE_PGM_RSRC3_GFX90A:TG_SPLIT: 0
	.section	.text._ZN7rocprim17ROCPRIM_400000_NS6detail17trampoline_kernelINS0_14default_configENS1_25partition_config_selectorILNS1_17partition_subalgoE8ElNS0_10empty_typeEbEEZZNS1_14partition_implILS5_8ELb0ES3_jPlPS6_PKS6_NS0_5tupleIJS9_S6_EEENSD_IJSA_SA_EEENS0_18inequality_wrapperIZN2at6native12_GLOBAL__N_124unique_dim_cuda_templateIjEESt5tupleIJNSH_6TensorESM_SM_EERKSM_lbbbEUlllE0_EEPmJS6_EEE10hipError_tPvRmT3_T4_T5_T6_T7_T9_mT8_P12ihipStream_tbDpT10_ENKUlT_T0_E_clISt17integral_constantIbLb0EES1C_EEDaS17_S18_EUlS17_E_NS1_11comp_targetILNS1_3genE2ELNS1_11target_archE906ELNS1_3gpuE6ELNS1_3repE0EEENS1_30default_config_static_selectorELNS0_4arch9wavefront6targetE1EEEvT1_,"axG",@progbits,_ZN7rocprim17ROCPRIM_400000_NS6detail17trampoline_kernelINS0_14default_configENS1_25partition_config_selectorILNS1_17partition_subalgoE8ElNS0_10empty_typeEbEEZZNS1_14partition_implILS5_8ELb0ES3_jPlPS6_PKS6_NS0_5tupleIJS9_S6_EEENSD_IJSA_SA_EEENS0_18inequality_wrapperIZN2at6native12_GLOBAL__N_124unique_dim_cuda_templateIjEESt5tupleIJNSH_6TensorESM_SM_EERKSM_lbbbEUlllE0_EEPmJS6_EEE10hipError_tPvRmT3_T4_T5_T6_T7_T9_mT8_P12ihipStream_tbDpT10_ENKUlT_T0_E_clISt17integral_constantIbLb0EES1C_EEDaS17_S18_EUlS17_E_NS1_11comp_targetILNS1_3genE2ELNS1_11target_archE906ELNS1_3gpuE6ELNS1_3repE0EEENS1_30default_config_static_selectorELNS0_4arch9wavefront6targetE1EEEvT1_,comdat
	.globl	_ZN7rocprim17ROCPRIM_400000_NS6detail17trampoline_kernelINS0_14default_configENS1_25partition_config_selectorILNS1_17partition_subalgoE8ElNS0_10empty_typeEbEEZZNS1_14partition_implILS5_8ELb0ES3_jPlPS6_PKS6_NS0_5tupleIJS9_S6_EEENSD_IJSA_SA_EEENS0_18inequality_wrapperIZN2at6native12_GLOBAL__N_124unique_dim_cuda_templateIjEESt5tupleIJNSH_6TensorESM_SM_EERKSM_lbbbEUlllE0_EEPmJS6_EEE10hipError_tPvRmT3_T4_T5_T6_T7_T9_mT8_P12ihipStream_tbDpT10_ENKUlT_T0_E_clISt17integral_constantIbLb0EES1C_EEDaS17_S18_EUlS17_E_NS1_11comp_targetILNS1_3genE2ELNS1_11target_archE906ELNS1_3gpuE6ELNS1_3repE0EEENS1_30default_config_static_selectorELNS0_4arch9wavefront6targetE1EEEvT1_ ; -- Begin function _ZN7rocprim17ROCPRIM_400000_NS6detail17trampoline_kernelINS0_14default_configENS1_25partition_config_selectorILNS1_17partition_subalgoE8ElNS0_10empty_typeEbEEZZNS1_14partition_implILS5_8ELb0ES3_jPlPS6_PKS6_NS0_5tupleIJS9_S6_EEENSD_IJSA_SA_EEENS0_18inequality_wrapperIZN2at6native12_GLOBAL__N_124unique_dim_cuda_templateIjEESt5tupleIJNSH_6TensorESM_SM_EERKSM_lbbbEUlllE0_EEPmJS6_EEE10hipError_tPvRmT3_T4_T5_T6_T7_T9_mT8_P12ihipStream_tbDpT10_ENKUlT_T0_E_clISt17integral_constantIbLb0EES1C_EEDaS17_S18_EUlS17_E_NS1_11comp_targetILNS1_3genE2ELNS1_11target_archE906ELNS1_3gpuE6ELNS1_3repE0EEENS1_30default_config_static_selectorELNS0_4arch9wavefront6targetE1EEEvT1_
	.p2align	8
	.type	_ZN7rocprim17ROCPRIM_400000_NS6detail17trampoline_kernelINS0_14default_configENS1_25partition_config_selectorILNS1_17partition_subalgoE8ElNS0_10empty_typeEbEEZZNS1_14partition_implILS5_8ELb0ES3_jPlPS6_PKS6_NS0_5tupleIJS9_S6_EEENSD_IJSA_SA_EEENS0_18inequality_wrapperIZN2at6native12_GLOBAL__N_124unique_dim_cuda_templateIjEESt5tupleIJNSH_6TensorESM_SM_EERKSM_lbbbEUlllE0_EEPmJS6_EEE10hipError_tPvRmT3_T4_T5_T6_T7_T9_mT8_P12ihipStream_tbDpT10_ENKUlT_T0_E_clISt17integral_constantIbLb0EES1C_EEDaS17_S18_EUlS17_E_NS1_11comp_targetILNS1_3genE2ELNS1_11target_archE906ELNS1_3gpuE6ELNS1_3repE0EEENS1_30default_config_static_selectorELNS0_4arch9wavefront6targetE1EEEvT1_,@function
_ZN7rocprim17ROCPRIM_400000_NS6detail17trampoline_kernelINS0_14default_configENS1_25partition_config_selectorILNS1_17partition_subalgoE8ElNS0_10empty_typeEbEEZZNS1_14partition_implILS5_8ELb0ES3_jPlPS6_PKS6_NS0_5tupleIJS9_S6_EEENSD_IJSA_SA_EEENS0_18inequality_wrapperIZN2at6native12_GLOBAL__N_124unique_dim_cuda_templateIjEESt5tupleIJNSH_6TensorESM_SM_EERKSM_lbbbEUlllE0_EEPmJS6_EEE10hipError_tPvRmT3_T4_T5_T6_T7_T9_mT8_P12ihipStream_tbDpT10_ENKUlT_T0_E_clISt17integral_constantIbLb0EES1C_EEDaS17_S18_EUlS17_E_NS1_11comp_targetILNS1_3genE2ELNS1_11target_archE906ELNS1_3gpuE6ELNS1_3repE0EEENS1_30default_config_static_selectorELNS0_4arch9wavefront6targetE1EEEvT1_: ; @_ZN7rocprim17ROCPRIM_400000_NS6detail17trampoline_kernelINS0_14default_configENS1_25partition_config_selectorILNS1_17partition_subalgoE8ElNS0_10empty_typeEbEEZZNS1_14partition_implILS5_8ELb0ES3_jPlPS6_PKS6_NS0_5tupleIJS9_S6_EEENSD_IJSA_SA_EEENS0_18inequality_wrapperIZN2at6native12_GLOBAL__N_124unique_dim_cuda_templateIjEESt5tupleIJNSH_6TensorESM_SM_EERKSM_lbbbEUlllE0_EEPmJS6_EEE10hipError_tPvRmT3_T4_T5_T6_T7_T9_mT8_P12ihipStream_tbDpT10_ENKUlT_T0_E_clISt17integral_constantIbLb0EES1C_EEDaS17_S18_EUlS17_E_NS1_11comp_targetILNS1_3genE2ELNS1_11target_archE906ELNS1_3gpuE6ELNS1_3repE0EEENS1_30default_config_static_selectorELNS0_4arch9wavefront6targetE1EEEvT1_
; %bb.0:
	.section	.rodata,"a",@progbits
	.p2align	6, 0x0
	.amdhsa_kernel _ZN7rocprim17ROCPRIM_400000_NS6detail17trampoline_kernelINS0_14default_configENS1_25partition_config_selectorILNS1_17partition_subalgoE8ElNS0_10empty_typeEbEEZZNS1_14partition_implILS5_8ELb0ES3_jPlPS6_PKS6_NS0_5tupleIJS9_S6_EEENSD_IJSA_SA_EEENS0_18inequality_wrapperIZN2at6native12_GLOBAL__N_124unique_dim_cuda_templateIjEESt5tupleIJNSH_6TensorESM_SM_EERKSM_lbbbEUlllE0_EEPmJS6_EEE10hipError_tPvRmT3_T4_T5_T6_T7_T9_mT8_P12ihipStream_tbDpT10_ENKUlT_T0_E_clISt17integral_constantIbLb0EES1C_EEDaS17_S18_EUlS17_E_NS1_11comp_targetILNS1_3genE2ELNS1_11target_archE906ELNS1_3gpuE6ELNS1_3repE0EEENS1_30default_config_static_selectorELNS0_4arch9wavefront6targetE1EEEvT1_
		.amdhsa_group_segment_fixed_size 0
		.amdhsa_private_segment_fixed_size 0
		.amdhsa_kernarg_size 120
		.amdhsa_user_sgpr_count 2
		.amdhsa_user_sgpr_dispatch_ptr 0
		.amdhsa_user_sgpr_queue_ptr 0
		.amdhsa_user_sgpr_kernarg_segment_ptr 1
		.amdhsa_user_sgpr_dispatch_id 0
		.amdhsa_user_sgpr_kernarg_preload_length 0
		.amdhsa_user_sgpr_kernarg_preload_offset 0
		.amdhsa_user_sgpr_private_segment_size 0
		.amdhsa_uses_dynamic_stack 0
		.amdhsa_enable_private_segment 0
		.amdhsa_system_sgpr_workgroup_id_x 1
		.amdhsa_system_sgpr_workgroup_id_y 0
		.amdhsa_system_sgpr_workgroup_id_z 0
		.amdhsa_system_sgpr_workgroup_info 0
		.amdhsa_system_vgpr_workitem_id 0
		.amdhsa_next_free_vgpr 1
		.amdhsa_next_free_sgpr 0
		.amdhsa_accum_offset 4
		.amdhsa_reserve_vcc 0
		.amdhsa_float_round_mode_32 0
		.amdhsa_float_round_mode_16_64 0
		.amdhsa_float_denorm_mode_32 3
		.amdhsa_float_denorm_mode_16_64 3
		.amdhsa_dx10_clamp 1
		.amdhsa_ieee_mode 1
		.amdhsa_fp16_overflow 0
		.amdhsa_tg_split 0
		.amdhsa_exception_fp_ieee_invalid_op 0
		.amdhsa_exception_fp_denorm_src 0
		.amdhsa_exception_fp_ieee_div_zero 0
		.amdhsa_exception_fp_ieee_overflow 0
		.amdhsa_exception_fp_ieee_underflow 0
		.amdhsa_exception_fp_ieee_inexact 0
		.amdhsa_exception_int_div_zero 0
	.end_amdhsa_kernel
	.section	.text._ZN7rocprim17ROCPRIM_400000_NS6detail17trampoline_kernelINS0_14default_configENS1_25partition_config_selectorILNS1_17partition_subalgoE8ElNS0_10empty_typeEbEEZZNS1_14partition_implILS5_8ELb0ES3_jPlPS6_PKS6_NS0_5tupleIJS9_S6_EEENSD_IJSA_SA_EEENS0_18inequality_wrapperIZN2at6native12_GLOBAL__N_124unique_dim_cuda_templateIjEESt5tupleIJNSH_6TensorESM_SM_EERKSM_lbbbEUlllE0_EEPmJS6_EEE10hipError_tPvRmT3_T4_T5_T6_T7_T9_mT8_P12ihipStream_tbDpT10_ENKUlT_T0_E_clISt17integral_constantIbLb0EES1C_EEDaS17_S18_EUlS17_E_NS1_11comp_targetILNS1_3genE2ELNS1_11target_archE906ELNS1_3gpuE6ELNS1_3repE0EEENS1_30default_config_static_selectorELNS0_4arch9wavefront6targetE1EEEvT1_,"axG",@progbits,_ZN7rocprim17ROCPRIM_400000_NS6detail17trampoline_kernelINS0_14default_configENS1_25partition_config_selectorILNS1_17partition_subalgoE8ElNS0_10empty_typeEbEEZZNS1_14partition_implILS5_8ELb0ES3_jPlPS6_PKS6_NS0_5tupleIJS9_S6_EEENSD_IJSA_SA_EEENS0_18inequality_wrapperIZN2at6native12_GLOBAL__N_124unique_dim_cuda_templateIjEESt5tupleIJNSH_6TensorESM_SM_EERKSM_lbbbEUlllE0_EEPmJS6_EEE10hipError_tPvRmT3_T4_T5_T6_T7_T9_mT8_P12ihipStream_tbDpT10_ENKUlT_T0_E_clISt17integral_constantIbLb0EES1C_EEDaS17_S18_EUlS17_E_NS1_11comp_targetILNS1_3genE2ELNS1_11target_archE906ELNS1_3gpuE6ELNS1_3repE0EEENS1_30default_config_static_selectorELNS0_4arch9wavefront6targetE1EEEvT1_,comdat
.Lfunc_end1545:
	.size	_ZN7rocprim17ROCPRIM_400000_NS6detail17trampoline_kernelINS0_14default_configENS1_25partition_config_selectorILNS1_17partition_subalgoE8ElNS0_10empty_typeEbEEZZNS1_14partition_implILS5_8ELb0ES3_jPlPS6_PKS6_NS0_5tupleIJS9_S6_EEENSD_IJSA_SA_EEENS0_18inequality_wrapperIZN2at6native12_GLOBAL__N_124unique_dim_cuda_templateIjEESt5tupleIJNSH_6TensorESM_SM_EERKSM_lbbbEUlllE0_EEPmJS6_EEE10hipError_tPvRmT3_T4_T5_T6_T7_T9_mT8_P12ihipStream_tbDpT10_ENKUlT_T0_E_clISt17integral_constantIbLb0EES1C_EEDaS17_S18_EUlS17_E_NS1_11comp_targetILNS1_3genE2ELNS1_11target_archE906ELNS1_3gpuE6ELNS1_3repE0EEENS1_30default_config_static_selectorELNS0_4arch9wavefront6targetE1EEEvT1_, .Lfunc_end1545-_ZN7rocprim17ROCPRIM_400000_NS6detail17trampoline_kernelINS0_14default_configENS1_25partition_config_selectorILNS1_17partition_subalgoE8ElNS0_10empty_typeEbEEZZNS1_14partition_implILS5_8ELb0ES3_jPlPS6_PKS6_NS0_5tupleIJS9_S6_EEENSD_IJSA_SA_EEENS0_18inequality_wrapperIZN2at6native12_GLOBAL__N_124unique_dim_cuda_templateIjEESt5tupleIJNSH_6TensorESM_SM_EERKSM_lbbbEUlllE0_EEPmJS6_EEE10hipError_tPvRmT3_T4_T5_T6_T7_T9_mT8_P12ihipStream_tbDpT10_ENKUlT_T0_E_clISt17integral_constantIbLb0EES1C_EEDaS17_S18_EUlS17_E_NS1_11comp_targetILNS1_3genE2ELNS1_11target_archE906ELNS1_3gpuE6ELNS1_3repE0EEENS1_30default_config_static_selectorELNS0_4arch9wavefront6targetE1EEEvT1_
                                        ; -- End function
	.set _ZN7rocprim17ROCPRIM_400000_NS6detail17trampoline_kernelINS0_14default_configENS1_25partition_config_selectorILNS1_17partition_subalgoE8ElNS0_10empty_typeEbEEZZNS1_14partition_implILS5_8ELb0ES3_jPlPS6_PKS6_NS0_5tupleIJS9_S6_EEENSD_IJSA_SA_EEENS0_18inequality_wrapperIZN2at6native12_GLOBAL__N_124unique_dim_cuda_templateIjEESt5tupleIJNSH_6TensorESM_SM_EERKSM_lbbbEUlllE0_EEPmJS6_EEE10hipError_tPvRmT3_T4_T5_T6_T7_T9_mT8_P12ihipStream_tbDpT10_ENKUlT_T0_E_clISt17integral_constantIbLb0EES1C_EEDaS17_S18_EUlS17_E_NS1_11comp_targetILNS1_3genE2ELNS1_11target_archE906ELNS1_3gpuE6ELNS1_3repE0EEENS1_30default_config_static_selectorELNS0_4arch9wavefront6targetE1EEEvT1_.num_vgpr, 0
	.set _ZN7rocprim17ROCPRIM_400000_NS6detail17trampoline_kernelINS0_14default_configENS1_25partition_config_selectorILNS1_17partition_subalgoE8ElNS0_10empty_typeEbEEZZNS1_14partition_implILS5_8ELb0ES3_jPlPS6_PKS6_NS0_5tupleIJS9_S6_EEENSD_IJSA_SA_EEENS0_18inequality_wrapperIZN2at6native12_GLOBAL__N_124unique_dim_cuda_templateIjEESt5tupleIJNSH_6TensorESM_SM_EERKSM_lbbbEUlllE0_EEPmJS6_EEE10hipError_tPvRmT3_T4_T5_T6_T7_T9_mT8_P12ihipStream_tbDpT10_ENKUlT_T0_E_clISt17integral_constantIbLb0EES1C_EEDaS17_S18_EUlS17_E_NS1_11comp_targetILNS1_3genE2ELNS1_11target_archE906ELNS1_3gpuE6ELNS1_3repE0EEENS1_30default_config_static_selectorELNS0_4arch9wavefront6targetE1EEEvT1_.num_agpr, 0
	.set _ZN7rocprim17ROCPRIM_400000_NS6detail17trampoline_kernelINS0_14default_configENS1_25partition_config_selectorILNS1_17partition_subalgoE8ElNS0_10empty_typeEbEEZZNS1_14partition_implILS5_8ELb0ES3_jPlPS6_PKS6_NS0_5tupleIJS9_S6_EEENSD_IJSA_SA_EEENS0_18inequality_wrapperIZN2at6native12_GLOBAL__N_124unique_dim_cuda_templateIjEESt5tupleIJNSH_6TensorESM_SM_EERKSM_lbbbEUlllE0_EEPmJS6_EEE10hipError_tPvRmT3_T4_T5_T6_T7_T9_mT8_P12ihipStream_tbDpT10_ENKUlT_T0_E_clISt17integral_constantIbLb0EES1C_EEDaS17_S18_EUlS17_E_NS1_11comp_targetILNS1_3genE2ELNS1_11target_archE906ELNS1_3gpuE6ELNS1_3repE0EEENS1_30default_config_static_selectorELNS0_4arch9wavefront6targetE1EEEvT1_.numbered_sgpr, 0
	.set _ZN7rocprim17ROCPRIM_400000_NS6detail17trampoline_kernelINS0_14default_configENS1_25partition_config_selectorILNS1_17partition_subalgoE8ElNS0_10empty_typeEbEEZZNS1_14partition_implILS5_8ELb0ES3_jPlPS6_PKS6_NS0_5tupleIJS9_S6_EEENSD_IJSA_SA_EEENS0_18inequality_wrapperIZN2at6native12_GLOBAL__N_124unique_dim_cuda_templateIjEESt5tupleIJNSH_6TensorESM_SM_EERKSM_lbbbEUlllE0_EEPmJS6_EEE10hipError_tPvRmT3_T4_T5_T6_T7_T9_mT8_P12ihipStream_tbDpT10_ENKUlT_T0_E_clISt17integral_constantIbLb0EES1C_EEDaS17_S18_EUlS17_E_NS1_11comp_targetILNS1_3genE2ELNS1_11target_archE906ELNS1_3gpuE6ELNS1_3repE0EEENS1_30default_config_static_selectorELNS0_4arch9wavefront6targetE1EEEvT1_.num_named_barrier, 0
	.set _ZN7rocprim17ROCPRIM_400000_NS6detail17trampoline_kernelINS0_14default_configENS1_25partition_config_selectorILNS1_17partition_subalgoE8ElNS0_10empty_typeEbEEZZNS1_14partition_implILS5_8ELb0ES3_jPlPS6_PKS6_NS0_5tupleIJS9_S6_EEENSD_IJSA_SA_EEENS0_18inequality_wrapperIZN2at6native12_GLOBAL__N_124unique_dim_cuda_templateIjEESt5tupleIJNSH_6TensorESM_SM_EERKSM_lbbbEUlllE0_EEPmJS6_EEE10hipError_tPvRmT3_T4_T5_T6_T7_T9_mT8_P12ihipStream_tbDpT10_ENKUlT_T0_E_clISt17integral_constantIbLb0EES1C_EEDaS17_S18_EUlS17_E_NS1_11comp_targetILNS1_3genE2ELNS1_11target_archE906ELNS1_3gpuE6ELNS1_3repE0EEENS1_30default_config_static_selectorELNS0_4arch9wavefront6targetE1EEEvT1_.private_seg_size, 0
	.set _ZN7rocprim17ROCPRIM_400000_NS6detail17trampoline_kernelINS0_14default_configENS1_25partition_config_selectorILNS1_17partition_subalgoE8ElNS0_10empty_typeEbEEZZNS1_14partition_implILS5_8ELb0ES3_jPlPS6_PKS6_NS0_5tupleIJS9_S6_EEENSD_IJSA_SA_EEENS0_18inequality_wrapperIZN2at6native12_GLOBAL__N_124unique_dim_cuda_templateIjEESt5tupleIJNSH_6TensorESM_SM_EERKSM_lbbbEUlllE0_EEPmJS6_EEE10hipError_tPvRmT3_T4_T5_T6_T7_T9_mT8_P12ihipStream_tbDpT10_ENKUlT_T0_E_clISt17integral_constantIbLb0EES1C_EEDaS17_S18_EUlS17_E_NS1_11comp_targetILNS1_3genE2ELNS1_11target_archE906ELNS1_3gpuE6ELNS1_3repE0EEENS1_30default_config_static_selectorELNS0_4arch9wavefront6targetE1EEEvT1_.uses_vcc, 0
	.set _ZN7rocprim17ROCPRIM_400000_NS6detail17trampoline_kernelINS0_14default_configENS1_25partition_config_selectorILNS1_17partition_subalgoE8ElNS0_10empty_typeEbEEZZNS1_14partition_implILS5_8ELb0ES3_jPlPS6_PKS6_NS0_5tupleIJS9_S6_EEENSD_IJSA_SA_EEENS0_18inequality_wrapperIZN2at6native12_GLOBAL__N_124unique_dim_cuda_templateIjEESt5tupleIJNSH_6TensorESM_SM_EERKSM_lbbbEUlllE0_EEPmJS6_EEE10hipError_tPvRmT3_T4_T5_T6_T7_T9_mT8_P12ihipStream_tbDpT10_ENKUlT_T0_E_clISt17integral_constantIbLb0EES1C_EEDaS17_S18_EUlS17_E_NS1_11comp_targetILNS1_3genE2ELNS1_11target_archE906ELNS1_3gpuE6ELNS1_3repE0EEENS1_30default_config_static_selectorELNS0_4arch9wavefront6targetE1EEEvT1_.uses_flat_scratch, 0
	.set _ZN7rocprim17ROCPRIM_400000_NS6detail17trampoline_kernelINS0_14default_configENS1_25partition_config_selectorILNS1_17partition_subalgoE8ElNS0_10empty_typeEbEEZZNS1_14partition_implILS5_8ELb0ES3_jPlPS6_PKS6_NS0_5tupleIJS9_S6_EEENSD_IJSA_SA_EEENS0_18inequality_wrapperIZN2at6native12_GLOBAL__N_124unique_dim_cuda_templateIjEESt5tupleIJNSH_6TensorESM_SM_EERKSM_lbbbEUlllE0_EEPmJS6_EEE10hipError_tPvRmT3_T4_T5_T6_T7_T9_mT8_P12ihipStream_tbDpT10_ENKUlT_T0_E_clISt17integral_constantIbLb0EES1C_EEDaS17_S18_EUlS17_E_NS1_11comp_targetILNS1_3genE2ELNS1_11target_archE906ELNS1_3gpuE6ELNS1_3repE0EEENS1_30default_config_static_selectorELNS0_4arch9wavefront6targetE1EEEvT1_.has_dyn_sized_stack, 0
	.set _ZN7rocprim17ROCPRIM_400000_NS6detail17trampoline_kernelINS0_14default_configENS1_25partition_config_selectorILNS1_17partition_subalgoE8ElNS0_10empty_typeEbEEZZNS1_14partition_implILS5_8ELb0ES3_jPlPS6_PKS6_NS0_5tupleIJS9_S6_EEENSD_IJSA_SA_EEENS0_18inequality_wrapperIZN2at6native12_GLOBAL__N_124unique_dim_cuda_templateIjEESt5tupleIJNSH_6TensorESM_SM_EERKSM_lbbbEUlllE0_EEPmJS6_EEE10hipError_tPvRmT3_T4_T5_T6_T7_T9_mT8_P12ihipStream_tbDpT10_ENKUlT_T0_E_clISt17integral_constantIbLb0EES1C_EEDaS17_S18_EUlS17_E_NS1_11comp_targetILNS1_3genE2ELNS1_11target_archE906ELNS1_3gpuE6ELNS1_3repE0EEENS1_30default_config_static_selectorELNS0_4arch9wavefront6targetE1EEEvT1_.has_recursion, 0
	.set _ZN7rocprim17ROCPRIM_400000_NS6detail17trampoline_kernelINS0_14default_configENS1_25partition_config_selectorILNS1_17partition_subalgoE8ElNS0_10empty_typeEbEEZZNS1_14partition_implILS5_8ELb0ES3_jPlPS6_PKS6_NS0_5tupleIJS9_S6_EEENSD_IJSA_SA_EEENS0_18inequality_wrapperIZN2at6native12_GLOBAL__N_124unique_dim_cuda_templateIjEESt5tupleIJNSH_6TensorESM_SM_EERKSM_lbbbEUlllE0_EEPmJS6_EEE10hipError_tPvRmT3_T4_T5_T6_T7_T9_mT8_P12ihipStream_tbDpT10_ENKUlT_T0_E_clISt17integral_constantIbLb0EES1C_EEDaS17_S18_EUlS17_E_NS1_11comp_targetILNS1_3genE2ELNS1_11target_archE906ELNS1_3gpuE6ELNS1_3repE0EEENS1_30default_config_static_selectorELNS0_4arch9wavefront6targetE1EEEvT1_.has_indirect_call, 0
	.section	.AMDGPU.csdata,"",@progbits
; Kernel info:
; codeLenInByte = 0
; TotalNumSgprs: 6
; NumVgprs: 0
; NumAgprs: 0
; TotalNumVgprs: 0
; ScratchSize: 0
; MemoryBound: 0
; FloatMode: 240
; IeeeMode: 1
; LDSByteSize: 0 bytes/workgroup (compile time only)
; SGPRBlocks: 0
; VGPRBlocks: 0
; NumSGPRsForWavesPerEU: 6
; NumVGPRsForWavesPerEU: 1
; AccumOffset: 4
; Occupancy: 8
; WaveLimiterHint : 0
; COMPUTE_PGM_RSRC2:SCRATCH_EN: 0
; COMPUTE_PGM_RSRC2:USER_SGPR: 2
; COMPUTE_PGM_RSRC2:TRAP_HANDLER: 0
; COMPUTE_PGM_RSRC2:TGID_X_EN: 1
; COMPUTE_PGM_RSRC2:TGID_Y_EN: 0
; COMPUTE_PGM_RSRC2:TGID_Z_EN: 0
; COMPUTE_PGM_RSRC2:TIDIG_COMP_CNT: 0
; COMPUTE_PGM_RSRC3_GFX90A:ACCUM_OFFSET: 0
; COMPUTE_PGM_RSRC3_GFX90A:TG_SPLIT: 0
	.section	.text._ZN7rocprim17ROCPRIM_400000_NS6detail17trampoline_kernelINS0_14default_configENS1_25partition_config_selectorILNS1_17partition_subalgoE8ElNS0_10empty_typeEbEEZZNS1_14partition_implILS5_8ELb0ES3_jPlPS6_PKS6_NS0_5tupleIJS9_S6_EEENSD_IJSA_SA_EEENS0_18inequality_wrapperIZN2at6native12_GLOBAL__N_124unique_dim_cuda_templateIjEESt5tupleIJNSH_6TensorESM_SM_EERKSM_lbbbEUlllE0_EEPmJS6_EEE10hipError_tPvRmT3_T4_T5_T6_T7_T9_mT8_P12ihipStream_tbDpT10_ENKUlT_T0_E_clISt17integral_constantIbLb0EES1C_EEDaS17_S18_EUlS17_E_NS1_11comp_targetILNS1_3genE10ELNS1_11target_archE1200ELNS1_3gpuE4ELNS1_3repE0EEENS1_30default_config_static_selectorELNS0_4arch9wavefront6targetE1EEEvT1_,"axG",@progbits,_ZN7rocprim17ROCPRIM_400000_NS6detail17trampoline_kernelINS0_14default_configENS1_25partition_config_selectorILNS1_17partition_subalgoE8ElNS0_10empty_typeEbEEZZNS1_14partition_implILS5_8ELb0ES3_jPlPS6_PKS6_NS0_5tupleIJS9_S6_EEENSD_IJSA_SA_EEENS0_18inequality_wrapperIZN2at6native12_GLOBAL__N_124unique_dim_cuda_templateIjEESt5tupleIJNSH_6TensorESM_SM_EERKSM_lbbbEUlllE0_EEPmJS6_EEE10hipError_tPvRmT3_T4_T5_T6_T7_T9_mT8_P12ihipStream_tbDpT10_ENKUlT_T0_E_clISt17integral_constantIbLb0EES1C_EEDaS17_S18_EUlS17_E_NS1_11comp_targetILNS1_3genE10ELNS1_11target_archE1200ELNS1_3gpuE4ELNS1_3repE0EEENS1_30default_config_static_selectorELNS0_4arch9wavefront6targetE1EEEvT1_,comdat
	.globl	_ZN7rocprim17ROCPRIM_400000_NS6detail17trampoline_kernelINS0_14default_configENS1_25partition_config_selectorILNS1_17partition_subalgoE8ElNS0_10empty_typeEbEEZZNS1_14partition_implILS5_8ELb0ES3_jPlPS6_PKS6_NS0_5tupleIJS9_S6_EEENSD_IJSA_SA_EEENS0_18inequality_wrapperIZN2at6native12_GLOBAL__N_124unique_dim_cuda_templateIjEESt5tupleIJNSH_6TensorESM_SM_EERKSM_lbbbEUlllE0_EEPmJS6_EEE10hipError_tPvRmT3_T4_T5_T6_T7_T9_mT8_P12ihipStream_tbDpT10_ENKUlT_T0_E_clISt17integral_constantIbLb0EES1C_EEDaS17_S18_EUlS17_E_NS1_11comp_targetILNS1_3genE10ELNS1_11target_archE1200ELNS1_3gpuE4ELNS1_3repE0EEENS1_30default_config_static_selectorELNS0_4arch9wavefront6targetE1EEEvT1_ ; -- Begin function _ZN7rocprim17ROCPRIM_400000_NS6detail17trampoline_kernelINS0_14default_configENS1_25partition_config_selectorILNS1_17partition_subalgoE8ElNS0_10empty_typeEbEEZZNS1_14partition_implILS5_8ELb0ES3_jPlPS6_PKS6_NS0_5tupleIJS9_S6_EEENSD_IJSA_SA_EEENS0_18inequality_wrapperIZN2at6native12_GLOBAL__N_124unique_dim_cuda_templateIjEESt5tupleIJNSH_6TensorESM_SM_EERKSM_lbbbEUlllE0_EEPmJS6_EEE10hipError_tPvRmT3_T4_T5_T6_T7_T9_mT8_P12ihipStream_tbDpT10_ENKUlT_T0_E_clISt17integral_constantIbLb0EES1C_EEDaS17_S18_EUlS17_E_NS1_11comp_targetILNS1_3genE10ELNS1_11target_archE1200ELNS1_3gpuE4ELNS1_3repE0EEENS1_30default_config_static_selectorELNS0_4arch9wavefront6targetE1EEEvT1_
	.p2align	8
	.type	_ZN7rocprim17ROCPRIM_400000_NS6detail17trampoline_kernelINS0_14default_configENS1_25partition_config_selectorILNS1_17partition_subalgoE8ElNS0_10empty_typeEbEEZZNS1_14partition_implILS5_8ELb0ES3_jPlPS6_PKS6_NS0_5tupleIJS9_S6_EEENSD_IJSA_SA_EEENS0_18inequality_wrapperIZN2at6native12_GLOBAL__N_124unique_dim_cuda_templateIjEESt5tupleIJNSH_6TensorESM_SM_EERKSM_lbbbEUlllE0_EEPmJS6_EEE10hipError_tPvRmT3_T4_T5_T6_T7_T9_mT8_P12ihipStream_tbDpT10_ENKUlT_T0_E_clISt17integral_constantIbLb0EES1C_EEDaS17_S18_EUlS17_E_NS1_11comp_targetILNS1_3genE10ELNS1_11target_archE1200ELNS1_3gpuE4ELNS1_3repE0EEENS1_30default_config_static_selectorELNS0_4arch9wavefront6targetE1EEEvT1_,@function
_ZN7rocprim17ROCPRIM_400000_NS6detail17trampoline_kernelINS0_14default_configENS1_25partition_config_selectorILNS1_17partition_subalgoE8ElNS0_10empty_typeEbEEZZNS1_14partition_implILS5_8ELb0ES3_jPlPS6_PKS6_NS0_5tupleIJS9_S6_EEENSD_IJSA_SA_EEENS0_18inequality_wrapperIZN2at6native12_GLOBAL__N_124unique_dim_cuda_templateIjEESt5tupleIJNSH_6TensorESM_SM_EERKSM_lbbbEUlllE0_EEPmJS6_EEE10hipError_tPvRmT3_T4_T5_T6_T7_T9_mT8_P12ihipStream_tbDpT10_ENKUlT_T0_E_clISt17integral_constantIbLb0EES1C_EEDaS17_S18_EUlS17_E_NS1_11comp_targetILNS1_3genE10ELNS1_11target_archE1200ELNS1_3gpuE4ELNS1_3repE0EEENS1_30default_config_static_selectorELNS0_4arch9wavefront6targetE1EEEvT1_: ; @_ZN7rocprim17ROCPRIM_400000_NS6detail17trampoline_kernelINS0_14default_configENS1_25partition_config_selectorILNS1_17partition_subalgoE8ElNS0_10empty_typeEbEEZZNS1_14partition_implILS5_8ELb0ES3_jPlPS6_PKS6_NS0_5tupleIJS9_S6_EEENSD_IJSA_SA_EEENS0_18inequality_wrapperIZN2at6native12_GLOBAL__N_124unique_dim_cuda_templateIjEESt5tupleIJNSH_6TensorESM_SM_EERKSM_lbbbEUlllE0_EEPmJS6_EEE10hipError_tPvRmT3_T4_T5_T6_T7_T9_mT8_P12ihipStream_tbDpT10_ENKUlT_T0_E_clISt17integral_constantIbLb0EES1C_EEDaS17_S18_EUlS17_E_NS1_11comp_targetILNS1_3genE10ELNS1_11target_archE1200ELNS1_3gpuE4ELNS1_3repE0EEENS1_30default_config_static_selectorELNS0_4arch9wavefront6targetE1EEEvT1_
; %bb.0:
	.section	.rodata,"a",@progbits
	.p2align	6, 0x0
	.amdhsa_kernel _ZN7rocprim17ROCPRIM_400000_NS6detail17trampoline_kernelINS0_14default_configENS1_25partition_config_selectorILNS1_17partition_subalgoE8ElNS0_10empty_typeEbEEZZNS1_14partition_implILS5_8ELb0ES3_jPlPS6_PKS6_NS0_5tupleIJS9_S6_EEENSD_IJSA_SA_EEENS0_18inequality_wrapperIZN2at6native12_GLOBAL__N_124unique_dim_cuda_templateIjEESt5tupleIJNSH_6TensorESM_SM_EERKSM_lbbbEUlllE0_EEPmJS6_EEE10hipError_tPvRmT3_T4_T5_T6_T7_T9_mT8_P12ihipStream_tbDpT10_ENKUlT_T0_E_clISt17integral_constantIbLb0EES1C_EEDaS17_S18_EUlS17_E_NS1_11comp_targetILNS1_3genE10ELNS1_11target_archE1200ELNS1_3gpuE4ELNS1_3repE0EEENS1_30default_config_static_selectorELNS0_4arch9wavefront6targetE1EEEvT1_
		.amdhsa_group_segment_fixed_size 0
		.amdhsa_private_segment_fixed_size 0
		.amdhsa_kernarg_size 120
		.amdhsa_user_sgpr_count 2
		.amdhsa_user_sgpr_dispatch_ptr 0
		.amdhsa_user_sgpr_queue_ptr 0
		.amdhsa_user_sgpr_kernarg_segment_ptr 1
		.amdhsa_user_sgpr_dispatch_id 0
		.amdhsa_user_sgpr_kernarg_preload_length 0
		.amdhsa_user_sgpr_kernarg_preload_offset 0
		.amdhsa_user_sgpr_private_segment_size 0
		.amdhsa_uses_dynamic_stack 0
		.amdhsa_enable_private_segment 0
		.amdhsa_system_sgpr_workgroup_id_x 1
		.amdhsa_system_sgpr_workgroup_id_y 0
		.amdhsa_system_sgpr_workgroup_id_z 0
		.amdhsa_system_sgpr_workgroup_info 0
		.amdhsa_system_vgpr_workitem_id 0
		.amdhsa_next_free_vgpr 1
		.amdhsa_next_free_sgpr 0
		.amdhsa_accum_offset 4
		.amdhsa_reserve_vcc 0
		.amdhsa_float_round_mode_32 0
		.amdhsa_float_round_mode_16_64 0
		.amdhsa_float_denorm_mode_32 3
		.amdhsa_float_denorm_mode_16_64 3
		.amdhsa_dx10_clamp 1
		.amdhsa_ieee_mode 1
		.amdhsa_fp16_overflow 0
		.amdhsa_tg_split 0
		.amdhsa_exception_fp_ieee_invalid_op 0
		.amdhsa_exception_fp_denorm_src 0
		.amdhsa_exception_fp_ieee_div_zero 0
		.amdhsa_exception_fp_ieee_overflow 0
		.amdhsa_exception_fp_ieee_underflow 0
		.amdhsa_exception_fp_ieee_inexact 0
		.amdhsa_exception_int_div_zero 0
	.end_amdhsa_kernel
	.section	.text._ZN7rocprim17ROCPRIM_400000_NS6detail17trampoline_kernelINS0_14default_configENS1_25partition_config_selectorILNS1_17partition_subalgoE8ElNS0_10empty_typeEbEEZZNS1_14partition_implILS5_8ELb0ES3_jPlPS6_PKS6_NS0_5tupleIJS9_S6_EEENSD_IJSA_SA_EEENS0_18inequality_wrapperIZN2at6native12_GLOBAL__N_124unique_dim_cuda_templateIjEESt5tupleIJNSH_6TensorESM_SM_EERKSM_lbbbEUlllE0_EEPmJS6_EEE10hipError_tPvRmT3_T4_T5_T6_T7_T9_mT8_P12ihipStream_tbDpT10_ENKUlT_T0_E_clISt17integral_constantIbLb0EES1C_EEDaS17_S18_EUlS17_E_NS1_11comp_targetILNS1_3genE10ELNS1_11target_archE1200ELNS1_3gpuE4ELNS1_3repE0EEENS1_30default_config_static_selectorELNS0_4arch9wavefront6targetE1EEEvT1_,"axG",@progbits,_ZN7rocprim17ROCPRIM_400000_NS6detail17trampoline_kernelINS0_14default_configENS1_25partition_config_selectorILNS1_17partition_subalgoE8ElNS0_10empty_typeEbEEZZNS1_14partition_implILS5_8ELb0ES3_jPlPS6_PKS6_NS0_5tupleIJS9_S6_EEENSD_IJSA_SA_EEENS0_18inequality_wrapperIZN2at6native12_GLOBAL__N_124unique_dim_cuda_templateIjEESt5tupleIJNSH_6TensorESM_SM_EERKSM_lbbbEUlllE0_EEPmJS6_EEE10hipError_tPvRmT3_T4_T5_T6_T7_T9_mT8_P12ihipStream_tbDpT10_ENKUlT_T0_E_clISt17integral_constantIbLb0EES1C_EEDaS17_S18_EUlS17_E_NS1_11comp_targetILNS1_3genE10ELNS1_11target_archE1200ELNS1_3gpuE4ELNS1_3repE0EEENS1_30default_config_static_selectorELNS0_4arch9wavefront6targetE1EEEvT1_,comdat
.Lfunc_end1546:
	.size	_ZN7rocprim17ROCPRIM_400000_NS6detail17trampoline_kernelINS0_14default_configENS1_25partition_config_selectorILNS1_17partition_subalgoE8ElNS0_10empty_typeEbEEZZNS1_14partition_implILS5_8ELb0ES3_jPlPS6_PKS6_NS0_5tupleIJS9_S6_EEENSD_IJSA_SA_EEENS0_18inequality_wrapperIZN2at6native12_GLOBAL__N_124unique_dim_cuda_templateIjEESt5tupleIJNSH_6TensorESM_SM_EERKSM_lbbbEUlllE0_EEPmJS6_EEE10hipError_tPvRmT3_T4_T5_T6_T7_T9_mT8_P12ihipStream_tbDpT10_ENKUlT_T0_E_clISt17integral_constantIbLb0EES1C_EEDaS17_S18_EUlS17_E_NS1_11comp_targetILNS1_3genE10ELNS1_11target_archE1200ELNS1_3gpuE4ELNS1_3repE0EEENS1_30default_config_static_selectorELNS0_4arch9wavefront6targetE1EEEvT1_, .Lfunc_end1546-_ZN7rocprim17ROCPRIM_400000_NS6detail17trampoline_kernelINS0_14default_configENS1_25partition_config_selectorILNS1_17partition_subalgoE8ElNS0_10empty_typeEbEEZZNS1_14partition_implILS5_8ELb0ES3_jPlPS6_PKS6_NS0_5tupleIJS9_S6_EEENSD_IJSA_SA_EEENS0_18inequality_wrapperIZN2at6native12_GLOBAL__N_124unique_dim_cuda_templateIjEESt5tupleIJNSH_6TensorESM_SM_EERKSM_lbbbEUlllE0_EEPmJS6_EEE10hipError_tPvRmT3_T4_T5_T6_T7_T9_mT8_P12ihipStream_tbDpT10_ENKUlT_T0_E_clISt17integral_constantIbLb0EES1C_EEDaS17_S18_EUlS17_E_NS1_11comp_targetILNS1_3genE10ELNS1_11target_archE1200ELNS1_3gpuE4ELNS1_3repE0EEENS1_30default_config_static_selectorELNS0_4arch9wavefront6targetE1EEEvT1_
                                        ; -- End function
	.set _ZN7rocprim17ROCPRIM_400000_NS6detail17trampoline_kernelINS0_14default_configENS1_25partition_config_selectorILNS1_17partition_subalgoE8ElNS0_10empty_typeEbEEZZNS1_14partition_implILS5_8ELb0ES3_jPlPS6_PKS6_NS0_5tupleIJS9_S6_EEENSD_IJSA_SA_EEENS0_18inequality_wrapperIZN2at6native12_GLOBAL__N_124unique_dim_cuda_templateIjEESt5tupleIJNSH_6TensorESM_SM_EERKSM_lbbbEUlllE0_EEPmJS6_EEE10hipError_tPvRmT3_T4_T5_T6_T7_T9_mT8_P12ihipStream_tbDpT10_ENKUlT_T0_E_clISt17integral_constantIbLb0EES1C_EEDaS17_S18_EUlS17_E_NS1_11comp_targetILNS1_3genE10ELNS1_11target_archE1200ELNS1_3gpuE4ELNS1_3repE0EEENS1_30default_config_static_selectorELNS0_4arch9wavefront6targetE1EEEvT1_.num_vgpr, 0
	.set _ZN7rocprim17ROCPRIM_400000_NS6detail17trampoline_kernelINS0_14default_configENS1_25partition_config_selectorILNS1_17partition_subalgoE8ElNS0_10empty_typeEbEEZZNS1_14partition_implILS5_8ELb0ES3_jPlPS6_PKS6_NS0_5tupleIJS9_S6_EEENSD_IJSA_SA_EEENS0_18inequality_wrapperIZN2at6native12_GLOBAL__N_124unique_dim_cuda_templateIjEESt5tupleIJNSH_6TensorESM_SM_EERKSM_lbbbEUlllE0_EEPmJS6_EEE10hipError_tPvRmT3_T4_T5_T6_T7_T9_mT8_P12ihipStream_tbDpT10_ENKUlT_T0_E_clISt17integral_constantIbLb0EES1C_EEDaS17_S18_EUlS17_E_NS1_11comp_targetILNS1_3genE10ELNS1_11target_archE1200ELNS1_3gpuE4ELNS1_3repE0EEENS1_30default_config_static_selectorELNS0_4arch9wavefront6targetE1EEEvT1_.num_agpr, 0
	.set _ZN7rocprim17ROCPRIM_400000_NS6detail17trampoline_kernelINS0_14default_configENS1_25partition_config_selectorILNS1_17partition_subalgoE8ElNS0_10empty_typeEbEEZZNS1_14partition_implILS5_8ELb0ES3_jPlPS6_PKS6_NS0_5tupleIJS9_S6_EEENSD_IJSA_SA_EEENS0_18inequality_wrapperIZN2at6native12_GLOBAL__N_124unique_dim_cuda_templateIjEESt5tupleIJNSH_6TensorESM_SM_EERKSM_lbbbEUlllE0_EEPmJS6_EEE10hipError_tPvRmT3_T4_T5_T6_T7_T9_mT8_P12ihipStream_tbDpT10_ENKUlT_T0_E_clISt17integral_constantIbLb0EES1C_EEDaS17_S18_EUlS17_E_NS1_11comp_targetILNS1_3genE10ELNS1_11target_archE1200ELNS1_3gpuE4ELNS1_3repE0EEENS1_30default_config_static_selectorELNS0_4arch9wavefront6targetE1EEEvT1_.numbered_sgpr, 0
	.set _ZN7rocprim17ROCPRIM_400000_NS6detail17trampoline_kernelINS0_14default_configENS1_25partition_config_selectorILNS1_17partition_subalgoE8ElNS0_10empty_typeEbEEZZNS1_14partition_implILS5_8ELb0ES3_jPlPS6_PKS6_NS0_5tupleIJS9_S6_EEENSD_IJSA_SA_EEENS0_18inequality_wrapperIZN2at6native12_GLOBAL__N_124unique_dim_cuda_templateIjEESt5tupleIJNSH_6TensorESM_SM_EERKSM_lbbbEUlllE0_EEPmJS6_EEE10hipError_tPvRmT3_T4_T5_T6_T7_T9_mT8_P12ihipStream_tbDpT10_ENKUlT_T0_E_clISt17integral_constantIbLb0EES1C_EEDaS17_S18_EUlS17_E_NS1_11comp_targetILNS1_3genE10ELNS1_11target_archE1200ELNS1_3gpuE4ELNS1_3repE0EEENS1_30default_config_static_selectorELNS0_4arch9wavefront6targetE1EEEvT1_.num_named_barrier, 0
	.set _ZN7rocprim17ROCPRIM_400000_NS6detail17trampoline_kernelINS0_14default_configENS1_25partition_config_selectorILNS1_17partition_subalgoE8ElNS0_10empty_typeEbEEZZNS1_14partition_implILS5_8ELb0ES3_jPlPS6_PKS6_NS0_5tupleIJS9_S6_EEENSD_IJSA_SA_EEENS0_18inequality_wrapperIZN2at6native12_GLOBAL__N_124unique_dim_cuda_templateIjEESt5tupleIJNSH_6TensorESM_SM_EERKSM_lbbbEUlllE0_EEPmJS6_EEE10hipError_tPvRmT3_T4_T5_T6_T7_T9_mT8_P12ihipStream_tbDpT10_ENKUlT_T0_E_clISt17integral_constantIbLb0EES1C_EEDaS17_S18_EUlS17_E_NS1_11comp_targetILNS1_3genE10ELNS1_11target_archE1200ELNS1_3gpuE4ELNS1_3repE0EEENS1_30default_config_static_selectorELNS0_4arch9wavefront6targetE1EEEvT1_.private_seg_size, 0
	.set _ZN7rocprim17ROCPRIM_400000_NS6detail17trampoline_kernelINS0_14default_configENS1_25partition_config_selectorILNS1_17partition_subalgoE8ElNS0_10empty_typeEbEEZZNS1_14partition_implILS5_8ELb0ES3_jPlPS6_PKS6_NS0_5tupleIJS9_S6_EEENSD_IJSA_SA_EEENS0_18inequality_wrapperIZN2at6native12_GLOBAL__N_124unique_dim_cuda_templateIjEESt5tupleIJNSH_6TensorESM_SM_EERKSM_lbbbEUlllE0_EEPmJS6_EEE10hipError_tPvRmT3_T4_T5_T6_T7_T9_mT8_P12ihipStream_tbDpT10_ENKUlT_T0_E_clISt17integral_constantIbLb0EES1C_EEDaS17_S18_EUlS17_E_NS1_11comp_targetILNS1_3genE10ELNS1_11target_archE1200ELNS1_3gpuE4ELNS1_3repE0EEENS1_30default_config_static_selectorELNS0_4arch9wavefront6targetE1EEEvT1_.uses_vcc, 0
	.set _ZN7rocprim17ROCPRIM_400000_NS6detail17trampoline_kernelINS0_14default_configENS1_25partition_config_selectorILNS1_17partition_subalgoE8ElNS0_10empty_typeEbEEZZNS1_14partition_implILS5_8ELb0ES3_jPlPS6_PKS6_NS0_5tupleIJS9_S6_EEENSD_IJSA_SA_EEENS0_18inequality_wrapperIZN2at6native12_GLOBAL__N_124unique_dim_cuda_templateIjEESt5tupleIJNSH_6TensorESM_SM_EERKSM_lbbbEUlllE0_EEPmJS6_EEE10hipError_tPvRmT3_T4_T5_T6_T7_T9_mT8_P12ihipStream_tbDpT10_ENKUlT_T0_E_clISt17integral_constantIbLb0EES1C_EEDaS17_S18_EUlS17_E_NS1_11comp_targetILNS1_3genE10ELNS1_11target_archE1200ELNS1_3gpuE4ELNS1_3repE0EEENS1_30default_config_static_selectorELNS0_4arch9wavefront6targetE1EEEvT1_.uses_flat_scratch, 0
	.set _ZN7rocprim17ROCPRIM_400000_NS6detail17trampoline_kernelINS0_14default_configENS1_25partition_config_selectorILNS1_17partition_subalgoE8ElNS0_10empty_typeEbEEZZNS1_14partition_implILS5_8ELb0ES3_jPlPS6_PKS6_NS0_5tupleIJS9_S6_EEENSD_IJSA_SA_EEENS0_18inequality_wrapperIZN2at6native12_GLOBAL__N_124unique_dim_cuda_templateIjEESt5tupleIJNSH_6TensorESM_SM_EERKSM_lbbbEUlllE0_EEPmJS6_EEE10hipError_tPvRmT3_T4_T5_T6_T7_T9_mT8_P12ihipStream_tbDpT10_ENKUlT_T0_E_clISt17integral_constantIbLb0EES1C_EEDaS17_S18_EUlS17_E_NS1_11comp_targetILNS1_3genE10ELNS1_11target_archE1200ELNS1_3gpuE4ELNS1_3repE0EEENS1_30default_config_static_selectorELNS0_4arch9wavefront6targetE1EEEvT1_.has_dyn_sized_stack, 0
	.set _ZN7rocprim17ROCPRIM_400000_NS6detail17trampoline_kernelINS0_14default_configENS1_25partition_config_selectorILNS1_17partition_subalgoE8ElNS0_10empty_typeEbEEZZNS1_14partition_implILS5_8ELb0ES3_jPlPS6_PKS6_NS0_5tupleIJS9_S6_EEENSD_IJSA_SA_EEENS0_18inequality_wrapperIZN2at6native12_GLOBAL__N_124unique_dim_cuda_templateIjEESt5tupleIJNSH_6TensorESM_SM_EERKSM_lbbbEUlllE0_EEPmJS6_EEE10hipError_tPvRmT3_T4_T5_T6_T7_T9_mT8_P12ihipStream_tbDpT10_ENKUlT_T0_E_clISt17integral_constantIbLb0EES1C_EEDaS17_S18_EUlS17_E_NS1_11comp_targetILNS1_3genE10ELNS1_11target_archE1200ELNS1_3gpuE4ELNS1_3repE0EEENS1_30default_config_static_selectorELNS0_4arch9wavefront6targetE1EEEvT1_.has_recursion, 0
	.set _ZN7rocprim17ROCPRIM_400000_NS6detail17trampoline_kernelINS0_14default_configENS1_25partition_config_selectorILNS1_17partition_subalgoE8ElNS0_10empty_typeEbEEZZNS1_14partition_implILS5_8ELb0ES3_jPlPS6_PKS6_NS0_5tupleIJS9_S6_EEENSD_IJSA_SA_EEENS0_18inequality_wrapperIZN2at6native12_GLOBAL__N_124unique_dim_cuda_templateIjEESt5tupleIJNSH_6TensorESM_SM_EERKSM_lbbbEUlllE0_EEPmJS6_EEE10hipError_tPvRmT3_T4_T5_T6_T7_T9_mT8_P12ihipStream_tbDpT10_ENKUlT_T0_E_clISt17integral_constantIbLb0EES1C_EEDaS17_S18_EUlS17_E_NS1_11comp_targetILNS1_3genE10ELNS1_11target_archE1200ELNS1_3gpuE4ELNS1_3repE0EEENS1_30default_config_static_selectorELNS0_4arch9wavefront6targetE1EEEvT1_.has_indirect_call, 0
	.section	.AMDGPU.csdata,"",@progbits
; Kernel info:
; codeLenInByte = 0
; TotalNumSgprs: 6
; NumVgprs: 0
; NumAgprs: 0
; TotalNumVgprs: 0
; ScratchSize: 0
; MemoryBound: 0
; FloatMode: 240
; IeeeMode: 1
; LDSByteSize: 0 bytes/workgroup (compile time only)
; SGPRBlocks: 0
; VGPRBlocks: 0
; NumSGPRsForWavesPerEU: 6
; NumVGPRsForWavesPerEU: 1
; AccumOffset: 4
; Occupancy: 8
; WaveLimiterHint : 0
; COMPUTE_PGM_RSRC2:SCRATCH_EN: 0
; COMPUTE_PGM_RSRC2:USER_SGPR: 2
; COMPUTE_PGM_RSRC2:TRAP_HANDLER: 0
; COMPUTE_PGM_RSRC2:TGID_X_EN: 1
; COMPUTE_PGM_RSRC2:TGID_Y_EN: 0
; COMPUTE_PGM_RSRC2:TGID_Z_EN: 0
; COMPUTE_PGM_RSRC2:TIDIG_COMP_CNT: 0
; COMPUTE_PGM_RSRC3_GFX90A:ACCUM_OFFSET: 0
; COMPUTE_PGM_RSRC3_GFX90A:TG_SPLIT: 0
	.section	.text._ZN7rocprim17ROCPRIM_400000_NS6detail17trampoline_kernelINS0_14default_configENS1_25partition_config_selectorILNS1_17partition_subalgoE8ElNS0_10empty_typeEbEEZZNS1_14partition_implILS5_8ELb0ES3_jPlPS6_PKS6_NS0_5tupleIJS9_S6_EEENSD_IJSA_SA_EEENS0_18inequality_wrapperIZN2at6native12_GLOBAL__N_124unique_dim_cuda_templateIjEESt5tupleIJNSH_6TensorESM_SM_EERKSM_lbbbEUlllE0_EEPmJS6_EEE10hipError_tPvRmT3_T4_T5_T6_T7_T9_mT8_P12ihipStream_tbDpT10_ENKUlT_T0_E_clISt17integral_constantIbLb0EES1C_EEDaS17_S18_EUlS17_E_NS1_11comp_targetILNS1_3genE9ELNS1_11target_archE1100ELNS1_3gpuE3ELNS1_3repE0EEENS1_30default_config_static_selectorELNS0_4arch9wavefront6targetE1EEEvT1_,"axG",@progbits,_ZN7rocprim17ROCPRIM_400000_NS6detail17trampoline_kernelINS0_14default_configENS1_25partition_config_selectorILNS1_17partition_subalgoE8ElNS0_10empty_typeEbEEZZNS1_14partition_implILS5_8ELb0ES3_jPlPS6_PKS6_NS0_5tupleIJS9_S6_EEENSD_IJSA_SA_EEENS0_18inequality_wrapperIZN2at6native12_GLOBAL__N_124unique_dim_cuda_templateIjEESt5tupleIJNSH_6TensorESM_SM_EERKSM_lbbbEUlllE0_EEPmJS6_EEE10hipError_tPvRmT3_T4_T5_T6_T7_T9_mT8_P12ihipStream_tbDpT10_ENKUlT_T0_E_clISt17integral_constantIbLb0EES1C_EEDaS17_S18_EUlS17_E_NS1_11comp_targetILNS1_3genE9ELNS1_11target_archE1100ELNS1_3gpuE3ELNS1_3repE0EEENS1_30default_config_static_selectorELNS0_4arch9wavefront6targetE1EEEvT1_,comdat
	.globl	_ZN7rocprim17ROCPRIM_400000_NS6detail17trampoline_kernelINS0_14default_configENS1_25partition_config_selectorILNS1_17partition_subalgoE8ElNS0_10empty_typeEbEEZZNS1_14partition_implILS5_8ELb0ES3_jPlPS6_PKS6_NS0_5tupleIJS9_S6_EEENSD_IJSA_SA_EEENS0_18inequality_wrapperIZN2at6native12_GLOBAL__N_124unique_dim_cuda_templateIjEESt5tupleIJNSH_6TensorESM_SM_EERKSM_lbbbEUlllE0_EEPmJS6_EEE10hipError_tPvRmT3_T4_T5_T6_T7_T9_mT8_P12ihipStream_tbDpT10_ENKUlT_T0_E_clISt17integral_constantIbLb0EES1C_EEDaS17_S18_EUlS17_E_NS1_11comp_targetILNS1_3genE9ELNS1_11target_archE1100ELNS1_3gpuE3ELNS1_3repE0EEENS1_30default_config_static_selectorELNS0_4arch9wavefront6targetE1EEEvT1_ ; -- Begin function _ZN7rocprim17ROCPRIM_400000_NS6detail17trampoline_kernelINS0_14default_configENS1_25partition_config_selectorILNS1_17partition_subalgoE8ElNS0_10empty_typeEbEEZZNS1_14partition_implILS5_8ELb0ES3_jPlPS6_PKS6_NS0_5tupleIJS9_S6_EEENSD_IJSA_SA_EEENS0_18inequality_wrapperIZN2at6native12_GLOBAL__N_124unique_dim_cuda_templateIjEESt5tupleIJNSH_6TensorESM_SM_EERKSM_lbbbEUlllE0_EEPmJS6_EEE10hipError_tPvRmT3_T4_T5_T6_T7_T9_mT8_P12ihipStream_tbDpT10_ENKUlT_T0_E_clISt17integral_constantIbLb0EES1C_EEDaS17_S18_EUlS17_E_NS1_11comp_targetILNS1_3genE9ELNS1_11target_archE1100ELNS1_3gpuE3ELNS1_3repE0EEENS1_30default_config_static_selectorELNS0_4arch9wavefront6targetE1EEEvT1_
	.p2align	8
	.type	_ZN7rocprim17ROCPRIM_400000_NS6detail17trampoline_kernelINS0_14default_configENS1_25partition_config_selectorILNS1_17partition_subalgoE8ElNS0_10empty_typeEbEEZZNS1_14partition_implILS5_8ELb0ES3_jPlPS6_PKS6_NS0_5tupleIJS9_S6_EEENSD_IJSA_SA_EEENS0_18inequality_wrapperIZN2at6native12_GLOBAL__N_124unique_dim_cuda_templateIjEESt5tupleIJNSH_6TensorESM_SM_EERKSM_lbbbEUlllE0_EEPmJS6_EEE10hipError_tPvRmT3_T4_T5_T6_T7_T9_mT8_P12ihipStream_tbDpT10_ENKUlT_T0_E_clISt17integral_constantIbLb0EES1C_EEDaS17_S18_EUlS17_E_NS1_11comp_targetILNS1_3genE9ELNS1_11target_archE1100ELNS1_3gpuE3ELNS1_3repE0EEENS1_30default_config_static_selectorELNS0_4arch9wavefront6targetE1EEEvT1_,@function
_ZN7rocprim17ROCPRIM_400000_NS6detail17trampoline_kernelINS0_14default_configENS1_25partition_config_selectorILNS1_17partition_subalgoE8ElNS0_10empty_typeEbEEZZNS1_14partition_implILS5_8ELb0ES3_jPlPS6_PKS6_NS0_5tupleIJS9_S6_EEENSD_IJSA_SA_EEENS0_18inequality_wrapperIZN2at6native12_GLOBAL__N_124unique_dim_cuda_templateIjEESt5tupleIJNSH_6TensorESM_SM_EERKSM_lbbbEUlllE0_EEPmJS6_EEE10hipError_tPvRmT3_T4_T5_T6_T7_T9_mT8_P12ihipStream_tbDpT10_ENKUlT_T0_E_clISt17integral_constantIbLb0EES1C_EEDaS17_S18_EUlS17_E_NS1_11comp_targetILNS1_3genE9ELNS1_11target_archE1100ELNS1_3gpuE3ELNS1_3repE0EEENS1_30default_config_static_selectorELNS0_4arch9wavefront6targetE1EEEvT1_: ; @_ZN7rocprim17ROCPRIM_400000_NS6detail17trampoline_kernelINS0_14default_configENS1_25partition_config_selectorILNS1_17partition_subalgoE8ElNS0_10empty_typeEbEEZZNS1_14partition_implILS5_8ELb0ES3_jPlPS6_PKS6_NS0_5tupleIJS9_S6_EEENSD_IJSA_SA_EEENS0_18inequality_wrapperIZN2at6native12_GLOBAL__N_124unique_dim_cuda_templateIjEESt5tupleIJNSH_6TensorESM_SM_EERKSM_lbbbEUlllE0_EEPmJS6_EEE10hipError_tPvRmT3_T4_T5_T6_T7_T9_mT8_P12ihipStream_tbDpT10_ENKUlT_T0_E_clISt17integral_constantIbLb0EES1C_EEDaS17_S18_EUlS17_E_NS1_11comp_targetILNS1_3genE9ELNS1_11target_archE1100ELNS1_3gpuE3ELNS1_3repE0EEENS1_30default_config_static_selectorELNS0_4arch9wavefront6targetE1EEEvT1_
; %bb.0:
	.section	.rodata,"a",@progbits
	.p2align	6, 0x0
	.amdhsa_kernel _ZN7rocprim17ROCPRIM_400000_NS6detail17trampoline_kernelINS0_14default_configENS1_25partition_config_selectorILNS1_17partition_subalgoE8ElNS0_10empty_typeEbEEZZNS1_14partition_implILS5_8ELb0ES3_jPlPS6_PKS6_NS0_5tupleIJS9_S6_EEENSD_IJSA_SA_EEENS0_18inequality_wrapperIZN2at6native12_GLOBAL__N_124unique_dim_cuda_templateIjEESt5tupleIJNSH_6TensorESM_SM_EERKSM_lbbbEUlllE0_EEPmJS6_EEE10hipError_tPvRmT3_T4_T5_T6_T7_T9_mT8_P12ihipStream_tbDpT10_ENKUlT_T0_E_clISt17integral_constantIbLb0EES1C_EEDaS17_S18_EUlS17_E_NS1_11comp_targetILNS1_3genE9ELNS1_11target_archE1100ELNS1_3gpuE3ELNS1_3repE0EEENS1_30default_config_static_selectorELNS0_4arch9wavefront6targetE1EEEvT1_
		.amdhsa_group_segment_fixed_size 0
		.amdhsa_private_segment_fixed_size 0
		.amdhsa_kernarg_size 120
		.amdhsa_user_sgpr_count 2
		.amdhsa_user_sgpr_dispatch_ptr 0
		.amdhsa_user_sgpr_queue_ptr 0
		.amdhsa_user_sgpr_kernarg_segment_ptr 1
		.amdhsa_user_sgpr_dispatch_id 0
		.amdhsa_user_sgpr_kernarg_preload_length 0
		.amdhsa_user_sgpr_kernarg_preload_offset 0
		.amdhsa_user_sgpr_private_segment_size 0
		.amdhsa_uses_dynamic_stack 0
		.amdhsa_enable_private_segment 0
		.amdhsa_system_sgpr_workgroup_id_x 1
		.amdhsa_system_sgpr_workgroup_id_y 0
		.amdhsa_system_sgpr_workgroup_id_z 0
		.amdhsa_system_sgpr_workgroup_info 0
		.amdhsa_system_vgpr_workitem_id 0
		.amdhsa_next_free_vgpr 1
		.amdhsa_next_free_sgpr 0
		.amdhsa_accum_offset 4
		.amdhsa_reserve_vcc 0
		.amdhsa_float_round_mode_32 0
		.amdhsa_float_round_mode_16_64 0
		.amdhsa_float_denorm_mode_32 3
		.amdhsa_float_denorm_mode_16_64 3
		.amdhsa_dx10_clamp 1
		.amdhsa_ieee_mode 1
		.amdhsa_fp16_overflow 0
		.amdhsa_tg_split 0
		.amdhsa_exception_fp_ieee_invalid_op 0
		.amdhsa_exception_fp_denorm_src 0
		.amdhsa_exception_fp_ieee_div_zero 0
		.amdhsa_exception_fp_ieee_overflow 0
		.amdhsa_exception_fp_ieee_underflow 0
		.amdhsa_exception_fp_ieee_inexact 0
		.amdhsa_exception_int_div_zero 0
	.end_amdhsa_kernel
	.section	.text._ZN7rocprim17ROCPRIM_400000_NS6detail17trampoline_kernelINS0_14default_configENS1_25partition_config_selectorILNS1_17partition_subalgoE8ElNS0_10empty_typeEbEEZZNS1_14partition_implILS5_8ELb0ES3_jPlPS6_PKS6_NS0_5tupleIJS9_S6_EEENSD_IJSA_SA_EEENS0_18inequality_wrapperIZN2at6native12_GLOBAL__N_124unique_dim_cuda_templateIjEESt5tupleIJNSH_6TensorESM_SM_EERKSM_lbbbEUlllE0_EEPmJS6_EEE10hipError_tPvRmT3_T4_T5_T6_T7_T9_mT8_P12ihipStream_tbDpT10_ENKUlT_T0_E_clISt17integral_constantIbLb0EES1C_EEDaS17_S18_EUlS17_E_NS1_11comp_targetILNS1_3genE9ELNS1_11target_archE1100ELNS1_3gpuE3ELNS1_3repE0EEENS1_30default_config_static_selectorELNS0_4arch9wavefront6targetE1EEEvT1_,"axG",@progbits,_ZN7rocprim17ROCPRIM_400000_NS6detail17trampoline_kernelINS0_14default_configENS1_25partition_config_selectorILNS1_17partition_subalgoE8ElNS0_10empty_typeEbEEZZNS1_14partition_implILS5_8ELb0ES3_jPlPS6_PKS6_NS0_5tupleIJS9_S6_EEENSD_IJSA_SA_EEENS0_18inequality_wrapperIZN2at6native12_GLOBAL__N_124unique_dim_cuda_templateIjEESt5tupleIJNSH_6TensorESM_SM_EERKSM_lbbbEUlllE0_EEPmJS6_EEE10hipError_tPvRmT3_T4_T5_T6_T7_T9_mT8_P12ihipStream_tbDpT10_ENKUlT_T0_E_clISt17integral_constantIbLb0EES1C_EEDaS17_S18_EUlS17_E_NS1_11comp_targetILNS1_3genE9ELNS1_11target_archE1100ELNS1_3gpuE3ELNS1_3repE0EEENS1_30default_config_static_selectorELNS0_4arch9wavefront6targetE1EEEvT1_,comdat
.Lfunc_end1547:
	.size	_ZN7rocprim17ROCPRIM_400000_NS6detail17trampoline_kernelINS0_14default_configENS1_25partition_config_selectorILNS1_17partition_subalgoE8ElNS0_10empty_typeEbEEZZNS1_14partition_implILS5_8ELb0ES3_jPlPS6_PKS6_NS0_5tupleIJS9_S6_EEENSD_IJSA_SA_EEENS0_18inequality_wrapperIZN2at6native12_GLOBAL__N_124unique_dim_cuda_templateIjEESt5tupleIJNSH_6TensorESM_SM_EERKSM_lbbbEUlllE0_EEPmJS6_EEE10hipError_tPvRmT3_T4_T5_T6_T7_T9_mT8_P12ihipStream_tbDpT10_ENKUlT_T0_E_clISt17integral_constantIbLb0EES1C_EEDaS17_S18_EUlS17_E_NS1_11comp_targetILNS1_3genE9ELNS1_11target_archE1100ELNS1_3gpuE3ELNS1_3repE0EEENS1_30default_config_static_selectorELNS0_4arch9wavefront6targetE1EEEvT1_, .Lfunc_end1547-_ZN7rocprim17ROCPRIM_400000_NS6detail17trampoline_kernelINS0_14default_configENS1_25partition_config_selectorILNS1_17partition_subalgoE8ElNS0_10empty_typeEbEEZZNS1_14partition_implILS5_8ELb0ES3_jPlPS6_PKS6_NS0_5tupleIJS9_S6_EEENSD_IJSA_SA_EEENS0_18inequality_wrapperIZN2at6native12_GLOBAL__N_124unique_dim_cuda_templateIjEESt5tupleIJNSH_6TensorESM_SM_EERKSM_lbbbEUlllE0_EEPmJS6_EEE10hipError_tPvRmT3_T4_T5_T6_T7_T9_mT8_P12ihipStream_tbDpT10_ENKUlT_T0_E_clISt17integral_constantIbLb0EES1C_EEDaS17_S18_EUlS17_E_NS1_11comp_targetILNS1_3genE9ELNS1_11target_archE1100ELNS1_3gpuE3ELNS1_3repE0EEENS1_30default_config_static_selectorELNS0_4arch9wavefront6targetE1EEEvT1_
                                        ; -- End function
	.set _ZN7rocprim17ROCPRIM_400000_NS6detail17trampoline_kernelINS0_14default_configENS1_25partition_config_selectorILNS1_17partition_subalgoE8ElNS0_10empty_typeEbEEZZNS1_14partition_implILS5_8ELb0ES3_jPlPS6_PKS6_NS0_5tupleIJS9_S6_EEENSD_IJSA_SA_EEENS0_18inequality_wrapperIZN2at6native12_GLOBAL__N_124unique_dim_cuda_templateIjEESt5tupleIJNSH_6TensorESM_SM_EERKSM_lbbbEUlllE0_EEPmJS6_EEE10hipError_tPvRmT3_T4_T5_T6_T7_T9_mT8_P12ihipStream_tbDpT10_ENKUlT_T0_E_clISt17integral_constantIbLb0EES1C_EEDaS17_S18_EUlS17_E_NS1_11comp_targetILNS1_3genE9ELNS1_11target_archE1100ELNS1_3gpuE3ELNS1_3repE0EEENS1_30default_config_static_selectorELNS0_4arch9wavefront6targetE1EEEvT1_.num_vgpr, 0
	.set _ZN7rocprim17ROCPRIM_400000_NS6detail17trampoline_kernelINS0_14default_configENS1_25partition_config_selectorILNS1_17partition_subalgoE8ElNS0_10empty_typeEbEEZZNS1_14partition_implILS5_8ELb0ES3_jPlPS6_PKS6_NS0_5tupleIJS9_S6_EEENSD_IJSA_SA_EEENS0_18inequality_wrapperIZN2at6native12_GLOBAL__N_124unique_dim_cuda_templateIjEESt5tupleIJNSH_6TensorESM_SM_EERKSM_lbbbEUlllE0_EEPmJS6_EEE10hipError_tPvRmT3_T4_T5_T6_T7_T9_mT8_P12ihipStream_tbDpT10_ENKUlT_T0_E_clISt17integral_constantIbLb0EES1C_EEDaS17_S18_EUlS17_E_NS1_11comp_targetILNS1_3genE9ELNS1_11target_archE1100ELNS1_3gpuE3ELNS1_3repE0EEENS1_30default_config_static_selectorELNS0_4arch9wavefront6targetE1EEEvT1_.num_agpr, 0
	.set _ZN7rocprim17ROCPRIM_400000_NS6detail17trampoline_kernelINS0_14default_configENS1_25partition_config_selectorILNS1_17partition_subalgoE8ElNS0_10empty_typeEbEEZZNS1_14partition_implILS5_8ELb0ES3_jPlPS6_PKS6_NS0_5tupleIJS9_S6_EEENSD_IJSA_SA_EEENS0_18inequality_wrapperIZN2at6native12_GLOBAL__N_124unique_dim_cuda_templateIjEESt5tupleIJNSH_6TensorESM_SM_EERKSM_lbbbEUlllE0_EEPmJS6_EEE10hipError_tPvRmT3_T4_T5_T6_T7_T9_mT8_P12ihipStream_tbDpT10_ENKUlT_T0_E_clISt17integral_constantIbLb0EES1C_EEDaS17_S18_EUlS17_E_NS1_11comp_targetILNS1_3genE9ELNS1_11target_archE1100ELNS1_3gpuE3ELNS1_3repE0EEENS1_30default_config_static_selectorELNS0_4arch9wavefront6targetE1EEEvT1_.numbered_sgpr, 0
	.set _ZN7rocprim17ROCPRIM_400000_NS6detail17trampoline_kernelINS0_14default_configENS1_25partition_config_selectorILNS1_17partition_subalgoE8ElNS0_10empty_typeEbEEZZNS1_14partition_implILS5_8ELb0ES3_jPlPS6_PKS6_NS0_5tupleIJS9_S6_EEENSD_IJSA_SA_EEENS0_18inequality_wrapperIZN2at6native12_GLOBAL__N_124unique_dim_cuda_templateIjEESt5tupleIJNSH_6TensorESM_SM_EERKSM_lbbbEUlllE0_EEPmJS6_EEE10hipError_tPvRmT3_T4_T5_T6_T7_T9_mT8_P12ihipStream_tbDpT10_ENKUlT_T0_E_clISt17integral_constantIbLb0EES1C_EEDaS17_S18_EUlS17_E_NS1_11comp_targetILNS1_3genE9ELNS1_11target_archE1100ELNS1_3gpuE3ELNS1_3repE0EEENS1_30default_config_static_selectorELNS0_4arch9wavefront6targetE1EEEvT1_.num_named_barrier, 0
	.set _ZN7rocprim17ROCPRIM_400000_NS6detail17trampoline_kernelINS0_14default_configENS1_25partition_config_selectorILNS1_17partition_subalgoE8ElNS0_10empty_typeEbEEZZNS1_14partition_implILS5_8ELb0ES3_jPlPS6_PKS6_NS0_5tupleIJS9_S6_EEENSD_IJSA_SA_EEENS0_18inequality_wrapperIZN2at6native12_GLOBAL__N_124unique_dim_cuda_templateIjEESt5tupleIJNSH_6TensorESM_SM_EERKSM_lbbbEUlllE0_EEPmJS6_EEE10hipError_tPvRmT3_T4_T5_T6_T7_T9_mT8_P12ihipStream_tbDpT10_ENKUlT_T0_E_clISt17integral_constantIbLb0EES1C_EEDaS17_S18_EUlS17_E_NS1_11comp_targetILNS1_3genE9ELNS1_11target_archE1100ELNS1_3gpuE3ELNS1_3repE0EEENS1_30default_config_static_selectorELNS0_4arch9wavefront6targetE1EEEvT1_.private_seg_size, 0
	.set _ZN7rocprim17ROCPRIM_400000_NS6detail17trampoline_kernelINS0_14default_configENS1_25partition_config_selectorILNS1_17partition_subalgoE8ElNS0_10empty_typeEbEEZZNS1_14partition_implILS5_8ELb0ES3_jPlPS6_PKS6_NS0_5tupleIJS9_S6_EEENSD_IJSA_SA_EEENS0_18inequality_wrapperIZN2at6native12_GLOBAL__N_124unique_dim_cuda_templateIjEESt5tupleIJNSH_6TensorESM_SM_EERKSM_lbbbEUlllE0_EEPmJS6_EEE10hipError_tPvRmT3_T4_T5_T6_T7_T9_mT8_P12ihipStream_tbDpT10_ENKUlT_T0_E_clISt17integral_constantIbLb0EES1C_EEDaS17_S18_EUlS17_E_NS1_11comp_targetILNS1_3genE9ELNS1_11target_archE1100ELNS1_3gpuE3ELNS1_3repE0EEENS1_30default_config_static_selectorELNS0_4arch9wavefront6targetE1EEEvT1_.uses_vcc, 0
	.set _ZN7rocprim17ROCPRIM_400000_NS6detail17trampoline_kernelINS0_14default_configENS1_25partition_config_selectorILNS1_17partition_subalgoE8ElNS0_10empty_typeEbEEZZNS1_14partition_implILS5_8ELb0ES3_jPlPS6_PKS6_NS0_5tupleIJS9_S6_EEENSD_IJSA_SA_EEENS0_18inequality_wrapperIZN2at6native12_GLOBAL__N_124unique_dim_cuda_templateIjEESt5tupleIJNSH_6TensorESM_SM_EERKSM_lbbbEUlllE0_EEPmJS6_EEE10hipError_tPvRmT3_T4_T5_T6_T7_T9_mT8_P12ihipStream_tbDpT10_ENKUlT_T0_E_clISt17integral_constantIbLb0EES1C_EEDaS17_S18_EUlS17_E_NS1_11comp_targetILNS1_3genE9ELNS1_11target_archE1100ELNS1_3gpuE3ELNS1_3repE0EEENS1_30default_config_static_selectorELNS0_4arch9wavefront6targetE1EEEvT1_.uses_flat_scratch, 0
	.set _ZN7rocprim17ROCPRIM_400000_NS6detail17trampoline_kernelINS0_14default_configENS1_25partition_config_selectorILNS1_17partition_subalgoE8ElNS0_10empty_typeEbEEZZNS1_14partition_implILS5_8ELb0ES3_jPlPS6_PKS6_NS0_5tupleIJS9_S6_EEENSD_IJSA_SA_EEENS0_18inequality_wrapperIZN2at6native12_GLOBAL__N_124unique_dim_cuda_templateIjEESt5tupleIJNSH_6TensorESM_SM_EERKSM_lbbbEUlllE0_EEPmJS6_EEE10hipError_tPvRmT3_T4_T5_T6_T7_T9_mT8_P12ihipStream_tbDpT10_ENKUlT_T0_E_clISt17integral_constantIbLb0EES1C_EEDaS17_S18_EUlS17_E_NS1_11comp_targetILNS1_3genE9ELNS1_11target_archE1100ELNS1_3gpuE3ELNS1_3repE0EEENS1_30default_config_static_selectorELNS0_4arch9wavefront6targetE1EEEvT1_.has_dyn_sized_stack, 0
	.set _ZN7rocprim17ROCPRIM_400000_NS6detail17trampoline_kernelINS0_14default_configENS1_25partition_config_selectorILNS1_17partition_subalgoE8ElNS0_10empty_typeEbEEZZNS1_14partition_implILS5_8ELb0ES3_jPlPS6_PKS6_NS0_5tupleIJS9_S6_EEENSD_IJSA_SA_EEENS0_18inequality_wrapperIZN2at6native12_GLOBAL__N_124unique_dim_cuda_templateIjEESt5tupleIJNSH_6TensorESM_SM_EERKSM_lbbbEUlllE0_EEPmJS6_EEE10hipError_tPvRmT3_T4_T5_T6_T7_T9_mT8_P12ihipStream_tbDpT10_ENKUlT_T0_E_clISt17integral_constantIbLb0EES1C_EEDaS17_S18_EUlS17_E_NS1_11comp_targetILNS1_3genE9ELNS1_11target_archE1100ELNS1_3gpuE3ELNS1_3repE0EEENS1_30default_config_static_selectorELNS0_4arch9wavefront6targetE1EEEvT1_.has_recursion, 0
	.set _ZN7rocprim17ROCPRIM_400000_NS6detail17trampoline_kernelINS0_14default_configENS1_25partition_config_selectorILNS1_17partition_subalgoE8ElNS0_10empty_typeEbEEZZNS1_14partition_implILS5_8ELb0ES3_jPlPS6_PKS6_NS0_5tupleIJS9_S6_EEENSD_IJSA_SA_EEENS0_18inequality_wrapperIZN2at6native12_GLOBAL__N_124unique_dim_cuda_templateIjEESt5tupleIJNSH_6TensorESM_SM_EERKSM_lbbbEUlllE0_EEPmJS6_EEE10hipError_tPvRmT3_T4_T5_T6_T7_T9_mT8_P12ihipStream_tbDpT10_ENKUlT_T0_E_clISt17integral_constantIbLb0EES1C_EEDaS17_S18_EUlS17_E_NS1_11comp_targetILNS1_3genE9ELNS1_11target_archE1100ELNS1_3gpuE3ELNS1_3repE0EEENS1_30default_config_static_selectorELNS0_4arch9wavefront6targetE1EEEvT1_.has_indirect_call, 0
	.section	.AMDGPU.csdata,"",@progbits
; Kernel info:
; codeLenInByte = 0
; TotalNumSgprs: 6
; NumVgprs: 0
; NumAgprs: 0
; TotalNumVgprs: 0
; ScratchSize: 0
; MemoryBound: 0
; FloatMode: 240
; IeeeMode: 1
; LDSByteSize: 0 bytes/workgroup (compile time only)
; SGPRBlocks: 0
; VGPRBlocks: 0
; NumSGPRsForWavesPerEU: 6
; NumVGPRsForWavesPerEU: 1
; AccumOffset: 4
; Occupancy: 8
; WaveLimiterHint : 0
; COMPUTE_PGM_RSRC2:SCRATCH_EN: 0
; COMPUTE_PGM_RSRC2:USER_SGPR: 2
; COMPUTE_PGM_RSRC2:TRAP_HANDLER: 0
; COMPUTE_PGM_RSRC2:TGID_X_EN: 1
; COMPUTE_PGM_RSRC2:TGID_Y_EN: 0
; COMPUTE_PGM_RSRC2:TGID_Z_EN: 0
; COMPUTE_PGM_RSRC2:TIDIG_COMP_CNT: 0
; COMPUTE_PGM_RSRC3_GFX90A:ACCUM_OFFSET: 0
; COMPUTE_PGM_RSRC3_GFX90A:TG_SPLIT: 0
	.section	.text._ZN7rocprim17ROCPRIM_400000_NS6detail17trampoline_kernelINS0_14default_configENS1_25partition_config_selectorILNS1_17partition_subalgoE8ElNS0_10empty_typeEbEEZZNS1_14partition_implILS5_8ELb0ES3_jPlPS6_PKS6_NS0_5tupleIJS9_S6_EEENSD_IJSA_SA_EEENS0_18inequality_wrapperIZN2at6native12_GLOBAL__N_124unique_dim_cuda_templateIjEESt5tupleIJNSH_6TensorESM_SM_EERKSM_lbbbEUlllE0_EEPmJS6_EEE10hipError_tPvRmT3_T4_T5_T6_T7_T9_mT8_P12ihipStream_tbDpT10_ENKUlT_T0_E_clISt17integral_constantIbLb0EES1C_EEDaS17_S18_EUlS17_E_NS1_11comp_targetILNS1_3genE8ELNS1_11target_archE1030ELNS1_3gpuE2ELNS1_3repE0EEENS1_30default_config_static_selectorELNS0_4arch9wavefront6targetE1EEEvT1_,"axG",@progbits,_ZN7rocprim17ROCPRIM_400000_NS6detail17trampoline_kernelINS0_14default_configENS1_25partition_config_selectorILNS1_17partition_subalgoE8ElNS0_10empty_typeEbEEZZNS1_14partition_implILS5_8ELb0ES3_jPlPS6_PKS6_NS0_5tupleIJS9_S6_EEENSD_IJSA_SA_EEENS0_18inequality_wrapperIZN2at6native12_GLOBAL__N_124unique_dim_cuda_templateIjEESt5tupleIJNSH_6TensorESM_SM_EERKSM_lbbbEUlllE0_EEPmJS6_EEE10hipError_tPvRmT3_T4_T5_T6_T7_T9_mT8_P12ihipStream_tbDpT10_ENKUlT_T0_E_clISt17integral_constantIbLb0EES1C_EEDaS17_S18_EUlS17_E_NS1_11comp_targetILNS1_3genE8ELNS1_11target_archE1030ELNS1_3gpuE2ELNS1_3repE0EEENS1_30default_config_static_selectorELNS0_4arch9wavefront6targetE1EEEvT1_,comdat
	.globl	_ZN7rocprim17ROCPRIM_400000_NS6detail17trampoline_kernelINS0_14default_configENS1_25partition_config_selectorILNS1_17partition_subalgoE8ElNS0_10empty_typeEbEEZZNS1_14partition_implILS5_8ELb0ES3_jPlPS6_PKS6_NS0_5tupleIJS9_S6_EEENSD_IJSA_SA_EEENS0_18inequality_wrapperIZN2at6native12_GLOBAL__N_124unique_dim_cuda_templateIjEESt5tupleIJNSH_6TensorESM_SM_EERKSM_lbbbEUlllE0_EEPmJS6_EEE10hipError_tPvRmT3_T4_T5_T6_T7_T9_mT8_P12ihipStream_tbDpT10_ENKUlT_T0_E_clISt17integral_constantIbLb0EES1C_EEDaS17_S18_EUlS17_E_NS1_11comp_targetILNS1_3genE8ELNS1_11target_archE1030ELNS1_3gpuE2ELNS1_3repE0EEENS1_30default_config_static_selectorELNS0_4arch9wavefront6targetE1EEEvT1_ ; -- Begin function _ZN7rocprim17ROCPRIM_400000_NS6detail17trampoline_kernelINS0_14default_configENS1_25partition_config_selectorILNS1_17partition_subalgoE8ElNS0_10empty_typeEbEEZZNS1_14partition_implILS5_8ELb0ES3_jPlPS6_PKS6_NS0_5tupleIJS9_S6_EEENSD_IJSA_SA_EEENS0_18inequality_wrapperIZN2at6native12_GLOBAL__N_124unique_dim_cuda_templateIjEESt5tupleIJNSH_6TensorESM_SM_EERKSM_lbbbEUlllE0_EEPmJS6_EEE10hipError_tPvRmT3_T4_T5_T6_T7_T9_mT8_P12ihipStream_tbDpT10_ENKUlT_T0_E_clISt17integral_constantIbLb0EES1C_EEDaS17_S18_EUlS17_E_NS1_11comp_targetILNS1_3genE8ELNS1_11target_archE1030ELNS1_3gpuE2ELNS1_3repE0EEENS1_30default_config_static_selectorELNS0_4arch9wavefront6targetE1EEEvT1_
	.p2align	8
	.type	_ZN7rocprim17ROCPRIM_400000_NS6detail17trampoline_kernelINS0_14default_configENS1_25partition_config_selectorILNS1_17partition_subalgoE8ElNS0_10empty_typeEbEEZZNS1_14partition_implILS5_8ELb0ES3_jPlPS6_PKS6_NS0_5tupleIJS9_S6_EEENSD_IJSA_SA_EEENS0_18inequality_wrapperIZN2at6native12_GLOBAL__N_124unique_dim_cuda_templateIjEESt5tupleIJNSH_6TensorESM_SM_EERKSM_lbbbEUlllE0_EEPmJS6_EEE10hipError_tPvRmT3_T4_T5_T6_T7_T9_mT8_P12ihipStream_tbDpT10_ENKUlT_T0_E_clISt17integral_constantIbLb0EES1C_EEDaS17_S18_EUlS17_E_NS1_11comp_targetILNS1_3genE8ELNS1_11target_archE1030ELNS1_3gpuE2ELNS1_3repE0EEENS1_30default_config_static_selectorELNS0_4arch9wavefront6targetE1EEEvT1_,@function
_ZN7rocprim17ROCPRIM_400000_NS6detail17trampoline_kernelINS0_14default_configENS1_25partition_config_selectorILNS1_17partition_subalgoE8ElNS0_10empty_typeEbEEZZNS1_14partition_implILS5_8ELb0ES3_jPlPS6_PKS6_NS0_5tupleIJS9_S6_EEENSD_IJSA_SA_EEENS0_18inequality_wrapperIZN2at6native12_GLOBAL__N_124unique_dim_cuda_templateIjEESt5tupleIJNSH_6TensorESM_SM_EERKSM_lbbbEUlllE0_EEPmJS6_EEE10hipError_tPvRmT3_T4_T5_T6_T7_T9_mT8_P12ihipStream_tbDpT10_ENKUlT_T0_E_clISt17integral_constantIbLb0EES1C_EEDaS17_S18_EUlS17_E_NS1_11comp_targetILNS1_3genE8ELNS1_11target_archE1030ELNS1_3gpuE2ELNS1_3repE0EEENS1_30default_config_static_selectorELNS0_4arch9wavefront6targetE1EEEvT1_: ; @_ZN7rocprim17ROCPRIM_400000_NS6detail17trampoline_kernelINS0_14default_configENS1_25partition_config_selectorILNS1_17partition_subalgoE8ElNS0_10empty_typeEbEEZZNS1_14partition_implILS5_8ELb0ES3_jPlPS6_PKS6_NS0_5tupleIJS9_S6_EEENSD_IJSA_SA_EEENS0_18inequality_wrapperIZN2at6native12_GLOBAL__N_124unique_dim_cuda_templateIjEESt5tupleIJNSH_6TensorESM_SM_EERKSM_lbbbEUlllE0_EEPmJS6_EEE10hipError_tPvRmT3_T4_T5_T6_T7_T9_mT8_P12ihipStream_tbDpT10_ENKUlT_T0_E_clISt17integral_constantIbLb0EES1C_EEDaS17_S18_EUlS17_E_NS1_11comp_targetILNS1_3genE8ELNS1_11target_archE1030ELNS1_3gpuE2ELNS1_3repE0EEENS1_30default_config_static_selectorELNS0_4arch9wavefront6targetE1EEEvT1_
; %bb.0:
	.section	.rodata,"a",@progbits
	.p2align	6, 0x0
	.amdhsa_kernel _ZN7rocprim17ROCPRIM_400000_NS6detail17trampoline_kernelINS0_14default_configENS1_25partition_config_selectorILNS1_17partition_subalgoE8ElNS0_10empty_typeEbEEZZNS1_14partition_implILS5_8ELb0ES3_jPlPS6_PKS6_NS0_5tupleIJS9_S6_EEENSD_IJSA_SA_EEENS0_18inequality_wrapperIZN2at6native12_GLOBAL__N_124unique_dim_cuda_templateIjEESt5tupleIJNSH_6TensorESM_SM_EERKSM_lbbbEUlllE0_EEPmJS6_EEE10hipError_tPvRmT3_T4_T5_T6_T7_T9_mT8_P12ihipStream_tbDpT10_ENKUlT_T0_E_clISt17integral_constantIbLb0EES1C_EEDaS17_S18_EUlS17_E_NS1_11comp_targetILNS1_3genE8ELNS1_11target_archE1030ELNS1_3gpuE2ELNS1_3repE0EEENS1_30default_config_static_selectorELNS0_4arch9wavefront6targetE1EEEvT1_
		.amdhsa_group_segment_fixed_size 0
		.amdhsa_private_segment_fixed_size 0
		.amdhsa_kernarg_size 120
		.amdhsa_user_sgpr_count 2
		.amdhsa_user_sgpr_dispatch_ptr 0
		.amdhsa_user_sgpr_queue_ptr 0
		.amdhsa_user_sgpr_kernarg_segment_ptr 1
		.amdhsa_user_sgpr_dispatch_id 0
		.amdhsa_user_sgpr_kernarg_preload_length 0
		.amdhsa_user_sgpr_kernarg_preload_offset 0
		.amdhsa_user_sgpr_private_segment_size 0
		.amdhsa_uses_dynamic_stack 0
		.amdhsa_enable_private_segment 0
		.amdhsa_system_sgpr_workgroup_id_x 1
		.amdhsa_system_sgpr_workgroup_id_y 0
		.amdhsa_system_sgpr_workgroup_id_z 0
		.amdhsa_system_sgpr_workgroup_info 0
		.amdhsa_system_vgpr_workitem_id 0
		.amdhsa_next_free_vgpr 1
		.amdhsa_next_free_sgpr 0
		.amdhsa_accum_offset 4
		.amdhsa_reserve_vcc 0
		.amdhsa_float_round_mode_32 0
		.amdhsa_float_round_mode_16_64 0
		.amdhsa_float_denorm_mode_32 3
		.amdhsa_float_denorm_mode_16_64 3
		.amdhsa_dx10_clamp 1
		.amdhsa_ieee_mode 1
		.amdhsa_fp16_overflow 0
		.amdhsa_tg_split 0
		.amdhsa_exception_fp_ieee_invalid_op 0
		.amdhsa_exception_fp_denorm_src 0
		.amdhsa_exception_fp_ieee_div_zero 0
		.amdhsa_exception_fp_ieee_overflow 0
		.amdhsa_exception_fp_ieee_underflow 0
		.amdhsa_exception_fp_ieee_inexact 0
		.amdhsa_exception_int_div_zero 0
	.end_amdhsa_kernel
	.section	.text._ZN7rocprim17ROCPRIM_400000_NS6detail17trampoline_kernelINS0_14default_configENS1_25partition_config_selectorILNS1_17partition_subalgoE8ElNS0_10empty_typeEbEEZZNS1_14partition_implILS5_8ELb0ES3_jPlPS6_PKS6_NS0_5tupleIJS9_S6_EEENSD_IJSA_SA_EEENS0_18inequality_wrapperIZN2at6native12_GLOBAL__N_124unique_dim_cuda_templateIjEESt5tupleIJNSH_6TensorESM_SM_EERKSM_lbbbEUlllE0_EEPmJS6_EEE10hipError_tPvRmT3_T4_T5_T6_T7_T9_mT8_P12ihipStream_tbDpT10_ENKUlT_T0_E_clISt17integral_constantIbLb0EES1C_EEDaS17_S18_EUlS17_E_NS1_11comp_targetILNS1_3genE8ELNS1_11target_archE1030ELNS1_3gpuE2ELNS1_3repE0EEENS1_30default_config_static_selectorELNS0_4arch9wavefront6targetE1EEEvT1_,"axG",@progbits,_ZN7rocprim17ROCPRIM_400000_NS6detail17trampoline_kernelINS0_14default_configENS1_25partition_config_selectorILNS1_17partition_subalgoE8ElNS0_10empty_typeEbEEZZNS1_14partition_implILS5_8ELb0ES3_jPlPS6_PKS6_NS0_5tupleIJS9_S6_EEENSD_IJSA_SA_EEENS0_18inequality_wrapperIZN2at6native12_GLOBAL__N_124unique_dim_cuda_templateIjEESt5tupleIJNSH_6TensorESM_SM_EERKSM_lbbbEUlllE0_EEPmJS6_EEE10hipError_tPvRmT3_T4_T5_T6_T7_T9_mT8_P12ihipStream_tbDpT10_ENKUlT_T0_E_clISt17integral_constantIbLb0EES1C_EEDaS17_S18_EUlS17_E_NS1_11comp_targetILNS1_3genE8ELNS1_11target_archE1030ELNS1_3gpuE2ELNS1_3repE0EEENS1_30default_config_static_selectorELNS0_4arch9wavefront6targetE1EEEvT1_,comdat
.Lfunc_end1548:
	.size	_ZN7rocprim17ROCPRIM_400000_NS6detail17trampoline_kernelINS0_14default_configENS1_25partition_config_selectorILNS1_17partition_subalgoE8ElNS0_10empty_typeEbEEZZNS1_14partition_implILS5_8ELb0ES3_jPlPS6_PKS6_NS0_5tupleIJS9_S6_EEENSD_IJSA_SA_EEENS0_18inequality_wrapperIZN2at6native12_GLOBAL__N_124unique_dim_cuda_templateIjEESt5tupleIJNSH_6TensorESM_SM_EERKSM_lbbbEUlllE0_EEPmJS6_EEE10hipError_tPvRmT3_T4_T5_T6_T7_T9_mT8_P12ihipStream_tbDpT10_ENKUlT_T0_E_clISt17integral_constantIbLb0EES1C_EEDaS17_S18_EUlS17_E_NS1_11comp_targetILNS1_3genE8ELNS1_11target_archE1030ELNS1_3gpuE2ELNS1_3repE0EEENS1_30default_config_static_selectorELNS0_4arch9wavefront6targetE1EEEvT1_, .Lfunc_end1548-_ZN7rocprim17ROCPRIM_400000_NS6detail17trampoline_kernelINS0_14default_configENS1_25partition_config_selectorILNS1_17partition_subalgoE8ElNS0_10empty_typeEbEEZZNS1_14partition_implILS5_8ELb0ES3_jPlPS6_PKS6_NS0_5tupleIJS9_S6_EEENSD_IJSA_SA_EEENS0_18inequality_wrapperIZN2at6native12_GLOBAL__N_124unique_dim_cuda_templateIjEESt5tupleIJNSH_6TensorESM_SM_EERKSM_lbbbEUlllE0_EEPmJS6_EEE10hipError_tPvRmT3_T4_T5_T6_T7_T9_mT8_P12ihipStream_tbDpT10_ENKUlT_T0_E_clISt17integral_constantIbLb0EES1C_EEDaS17_S18_EUlS17_E_NS1_11comp_targetILNS1_3genE8ELNS1_11target_archE1030ELNS1_3gpuE2ELNS1_3repE0EEENS1_30default_config_static_selectorELNS0_4arch9wavefront6targetE1EEEvT1_
                                        ; -- End function
	.set _ZN7rocprim17ROCPRIM_400000_NS6detail17trampoline_kernelINS0_14default_configENS1_25partition_config_selectorILNS1_17partition_subalgoE8ElNS0_10empty_typeEbEEZZNS1_14partition_implILS5_8ELb0ES3_jPlPS6_PKS6_NS0_5tupleIJS9_S6_EEENSD_IJSA_SA_EEENS0_18inequality_wrapperIZN2at6native12_GLOBAL__N_124unique_dim_cuda_templateIjEESt5tupleIJNSH_6TensorESM_SM_EERKSM_lbbbEUlllE0_EEPmJS6_EEE10hipError_tPvRmT3_T4_T5_T6_T7_T9_mT8_P12ihipStream_tbDpT10_ENKUlT_T0_E_clISt17integral_constantIbLb0EES1C_EEDaS17_S18_EUlS17_E_NS1_11comp_targetILNS1_3genE8ELNS1_11target_archE1030ELNS1_3gpuE2ELNS1_3repE0EEENS1_30default_config_static_selectorELNS0_4arch9wavefront6targetE1EEEvT1_.num_vgpr, 0
	.set _ZN7rocprim17ROCPRIM_400000_NS6detail17trampoline_kernelINS0_14default_configENS1_25partition_config_selectorILNS1_17partition_subalgoE8ElNS0_10empty_typeEbEEZZNS1_14partition_implILS5_8ELb0ES3_jPlPS6_PKS6_NS0_5tupleIJS9_S6_EEENSD_IJSA_SA_EEENS0_18inequality_wrapperIZN2at6native12_GLOBAL__N_124unique_dim_cuda_templateIjEESt5tupleIJNSH_6TensorESM_SM_EERKSM_lbbbEUlllE0_EEPmJS6_EEE10hipError_tPvRmT3_T4_T5_T6_T7_T9_mT8_P12ihipStream_tbDpT10_ENKUlT_T0_E_clISt17integral_constantIbLb0EES1C_EEDaS17_S18_EUlS17_E_NS1_11comp_targetILNS1_3genE8ELNS1_11target_archE1030ELNS1_3gpuE2ELNS1_3repE0EEENS1_30default_config_static_selectorELNS0_4arch9wavefront6targetE1EEEvT1_.num_agpr, 0
	.set _ZN7rocprim17ROCPRIM_400000_NS6detail17trampoline_kernelINS0_14default_configENS1_25partition_config_selectorILNS1_17partition_subalgoE8ElNS0_10empty_typeEbEEZZNS1_14partition_implILS5_8ELb0ES3_jPlPS6_PKS6_NS0_5tupleIJS9_S6_EEENSD_IJSA_SA_EEENS0_18inequality_wrapperIZN2at6native12_GLOBAL__N_124unique_dim_cuda_templateIjEESt5tupleIJNSH_6TensorESM_SM_EERKSM_lbbbEUlllE0_EEPmJS6_EEE10hipError_tPvRmT3_T4_T5_T6_T7_T9_mT8_P12ihipStream_tbDpT10_ENKUlT_T0_E_clISt17integral_constantIbLb0EES1C_EEDaS17_S18_EUlS17_E_NS1_11comp_targetILNS1_3genE8ELNS1_11target_archE1030ELNS1_3gpuE2ELNS1_3repE0EEENS1_30default_config_static_selectorELNS0_4arch9wavefront6targetE1EEEvT1_.numbered_sgpr, 0
	.set _ZN7rocprim17ROCPRIM_400000_NS6detail17trampoline_kernelINS0_14default_configENS1_25partition_config_selectorILNS1_17partition_subalgoE8ElNS0_10empty_typeEbEEZZNS1_14partition_implILS5_8ELb0ES3_jPlPS6_PKS6_NS0_5tupleIJS9_S6_EEENSD_IJSA_SA_EEENS0_18inequality_wrapperIZN2at6native12_GLOBAL__N_124unique_dim_cuda_templateIjEESt5tupleIJNSH_6TensorESM_SM_EERKSM_lbbbEUlllE0_EEPmJS6_EEE10hipError_tPvRmT3_T4_T5_T6_T7_T9_mT8_P12ihipStream_tbDpT10_ENKUlT_T0_E_clISt17integral_constantIbLb0EES1C_EEDaS17_S18_EUlS17_E_NS1_11comp_targetILNS1_3genE8ELNS1_11target_archE1030ELNS1_3gpuE2ELNS1_3repE0EEENS1_30default_config_static_selectorELNS0_4arch9wavefront6targetE1EEEvT1_.num_named_barrier, 0
	.set _ZN7rocprim17ROCPRIM_400000_NS6detail17trampoline_kernelINS0_14default_configENS1_25partition_config_selectorILNS1_17partition_subalgoE8ElNS0_10empty_typeEbEEZZNS1_14partition_implILS5_8ELb0ES3_jPlPS6_PKS6_NS0_5tupleIJS9_S6_EEENSD_IJSA_SA_EEENS0_18inequality_wrapperIZN2at6native12_GLOBAL__N_124unique_dim_cuda_templateIjEESt5tupleIJNSH_6TensorESM_SM_EERKSM_lbbbEUlllE0_EEPmJS6_EEE10hipError_tPvRmT3_T4_T5_T6_T7_T9_mT8_P12ihipStream_tbDpT10_ENKUlT_T0_E_clISt17integral_constantIbLb0EES1C_EEDaS17_S18_EUlS17_E_NS1_11comp_targetILNS1_3genE8ELNS1_11target_archE1030ELNS1_3gpuE2ELNS1_3repE0EEENS1_30default_config_static_selectorELNS0_4arch9wavefront6targetE1EEEvT1_.private_seg_size, 0
	.set _ZN7rocprim17ROCPRIM_400000_NS6detail17trampoline_kernelINS0_14default_configENS1_25partition_config_selectorILNS1_17partition_subalgoE8ElNS0_10empty_typeEbEEZZNS1_14partition_implILS5_8ELb0ES3_jPlPS6_PKS6_NS0_5tupleIJS9_S6_EEENSD_IJSA_SA_EEENS0_18inequality_wrapperIZN2at6native12_GLOBAL__N_124unique_dim_cuda_templateIjEESt5tupleIJNSH_6TensorESM_SM_EERKSM_lbbbEUlllE0_EEPmJS6_EEE10hipError_tPvRmT3_T4_T5_T6_T7_T9_mT8_P12ihipStream_tbDpT10_ENKUlT_T0_E_clISt17integral_constantIbLb0EES1C_EEDaS17_S18_EUlS17_E_NS1_11comp_targetILNS1_3genE8ELNS1_11target_archE1030ELNS1_3gpuE2ELNS1_3repE0EEENS1_30default_config_static_selectorELNS0_4arch9wavefront6targetE1EEEvT1_.uses_vcc, 0
	.set _ZN7rocprim17ROCPRIM_400000_NS6detail17trampoline_kernelINS0_14default_configENS1_25partition_config_selectorILNS1_17partition_subalgoE8ElNS0_10empty_typeEbEEZZNS1_14partition_implILS5_8ELb0ES3_jPlPS6_PKS6_NS0_5tupleIJS9_S6_EEENSD_IJSA_SA_EEENS0_18inequality_wrapperIZN2at6native12_GLOBAL__N_124unique_dim_cuda_templateIjEESt5tupleIJNSH_6TensorESM_SM_EERKSM_lbbbEUlllE0_EEPmJS6_EEE10hipError_tPvRmT3_T4_T5_T6_T7_T9_mT8_P12ihipStream_tbDpT10_ENKUlT_T0_E_clISt17integral_constantIbLb0EES1C_EEDaS17_S18_EUlS17_E_NS1_11comp_targetILNS1_3genE8ELNS1_11target_archE1030ELNS1_3gpuE2ELNS1_3repE0EEENS1_30default_config_static_selectorELNS0_4arch9wavefront6targetE1EEEvT1_.uses_flat_scratch, 0
	.set _ZN7rocprim17ROCPRIM_400000_NS6detail17trampoline_kernelINS0_14default_configENS1_25partition_config_selectorILNS1_17partition_subalgoE8ElNS0_10empty_typeEbEEZZNS1_14partition_implILS5_8ELb0ES3_jPlPS6_PKS6_NS0_5tupleIJS9_S6_EEENSD_IJSA_SA_EEENS0_18inequality_wrapperIZN2at6native12_GLOBAL__N_124unique_dim_cuda_templateIjEESt5tupleIJNSH_6TensorESM_SM_EERKSM_lbbbEUlllE0_EEPmJS6_EEE10hipError_tPvRmT3_T4_T5_T6_T7_T9_mT8_P12ihipStream_tbDpT10_ENKUlT_T0_E_clISt17integral_constantIbLb0EES1C_EEDaS17_S18_EUlS17_E_NS1_11comp_targetILNS1_3genE8ELNS1_11target_archE1030ELNS1_3gpuE2ELNS1_3repE0EEENS1_30default_config_static_selectorELNS0_4arch9wavefront6targetE1EEEvT1_.has_dyn_sized_stack, 0
	.set _ZN7rocprim17ROCPRIM_400000_NS6detail17trampoline_kernelINS0_14default_configENS1_25partition_config_selectorILNS1_17partition_subalgoE8ElNS0_10empty_typeEbEEZZNS1_14partition_implILS5_8ELb0ES3_jPlPS6_PKS6_NS0_5tupleIJS9_S6_EEENSD_IJSA_SA_EEENS0_18inequality_wrapperIZN2at6native12_GLOBAL__N_124unique_dim_cuda_templateIjEESt5tupleIJNSH_6TensorESM_SM_EERKSM_lbbbEUlllE0_EEPmJS6_EEE10hipError_tPvRmT3_T4_T5_T6_T7_T9_mT8_P12ihipStream_tbDpT10_ENKUlT_T0_E_clISt17integral_constantIbLb0EES1C_EEDaS17_S18_EUlS17_E_NS1_11comp_targetILNS1_3genE8ELNS1_11target_archE1030ELNS1_3gpuE2ELNS1_3repE0EEENS1_30default_config_static_selectorELNS0_4arch9wavefront6targetE1EEEvT1_.has_recursion, 0
	.set _ZN7rocprim17ROCPRIM_400000_NS6detail17trampoline_kernelINS0_14default_configENS1_25partition_config_selectorILNS1_17partition_subalgoE8ElNS0_10empty_typeEbEEZZNS1_14partition_implILS5_8ELb0ES3_jPlPS6_PKS6_NS0_5tupleIJS9_S6_EEENSD_IJSA_SA_EEENS0_18inequality_wrapperIZN2at6native12_GLOBAL__N_124unique_dim_cuda_templateIjEESt5tupleIJNSH_6TensorESM_SM_EERKSM_lbbbEUlllE0_EEPmJS6_EEE10hipError_tPvRmT3_T4_T5_T6_T7_T9_mT8_P12ihipStream_tbDpT10_ENKUlT_T0_E_clISt17integral_constantIbLb0EES1C_EEDaS17_S18_EUlS17_E_NS1_11comp_targetILNS1_3genE8ELNS1_11target_archE1030ELNS1_3gpuE2ELNS1_3repE0EEENS1_30default_config_static_selectorELNS0_4arch9wavefront6targetE1EEEvT1_.has_indirect_call, 0
	.section	.AMDGPU.csdata,"",@progbits
; Kernel info:
; codeLenInByte = 0
; TotalNumSgprs: 6
; NumVgprs: 0
; NumAgprs: 0
; TotalNumVgprs: 0
; ScratchSize: 0
; MemoryBound: 0
; FloatMode: 240
; IeeeMode: 1
; LDSByteSize: 0 bytes/workgroup (compile time only)
; SGPRBlocks: 0
; VGPRBlocks: 0
; NumSGPRsForWavesPerEU: 6
; NumVGPRsForWavesPerEU: 1
; AccumOffset: 4
; Occupancy: 8
; WaveLimiterHint : 0
; COMPUTE_PGM_RSRC2:SCRATCH_EN: 0
; COMPUTE_PGM_RSRC2:USER_SGPR: 2
; COMPUTE_PGM_RSRC2:TRAP_HANDLER: 0
; COMPUTE_PGM_RSRC2:TGID_X_EN: 1
; COMPUTE_PGM_RSRC2:TGID_Y_EN: 0
; COMPUTE_PGM_RSRC2:TGID_Z_EN: 0
; COMPUTE_PGM_RSRC2:TIDIG_COMP_CNT: 0
; COMPUTE_PGM_RSRC3_GFX90A:ACCUM_OFFSET: 0
; COMPUTE_PGM_RSRC3_GFX90A:TG_SPLIT: 0
	.section	.text._ZN7rocprim17ROCPRIM_400000_NS6detail17trampoline_kernelINS0_14default_configENS1_25partition_config_selectorILNS1_17partition_subalgoE8ElNS0_10empty_typeEbEEZZNS1_14partition_implILS5_8ELb0ES3_jPlPS6_PKS6_NS0_5tupleIJS9_S6_EEENSD_IJSA_SA_EEENS0_18inequality_wrapperIZN2at6native12_GLOBAL__N_124unique_dim_cuda_templateIjEESt5tupleIJNSH_6TensorESM_SM_EERKSM_lbbbEUlllE0_EEPmJS6_EEE10hipError_tPvRmT3_T4_T5_T6_T7_T9_mT8_P12ihipStream_tbDpT10_ENKUlT_T0_E_clISt17integral_constantIbLb1EES1C_EEDaS17_S18_EUlS17_E_NS1_11comp_targetILNS1_3genE0ELNS1_11target_archE4294967295ELNS1_3gpuE0ELNS1_3repE0EEENS1_30default_config_static_selectorELNS0_4arch9wavefront6targetE1EEEvT1_,"axG",@progbits,_ZN7rocprim17ROCPRIM_400000_NS6detail17trampoline_kernelINS0_14default_configENS1_25partition_config_selectorILNS1_17partition_subalgoE8ElNS0_10empty_typeEbEEZZNS1_14partition_implILS5_8ELb0ES3_jPlPS6_PKS6_NS0_5tupleIJS9_S6_EEENSD_IJSA_SA_EEENS0_18inequality_wrapperIZN2at6native12_GLOBAL__N_124unique_dim_cuda_templateIjEESt5tupleIJNSH_6TensorESM_SM_EERKSM_lbbbEUlllE0_EEPmJS6_EEE10hipError_tPvRmT3_T4_T5_T6_T7_T9_mT8_P12ihipStream_tbDpT10_ENKUlT_T0_E_clISt17integral_constantIbLb1EES1C_EEDaS17_S18_EUlS17_E_NS1_11comp_targetILNS1_3genE0ELNS1_11target_archE4294967295ELNS1_3gpuE0ELNS1_3repE0EEENS1_30default_config_static_selectorELNS0_4arch9wavefront6targetE1EEEvT1_,comdat
	.globl	_ZN7rocprim17ROCPRIM_400000_NS6detail17trampoline_kernelINS0_14default_configENS1_25partition_config_selectorILNS1_17partition_subalgoE8ElNS0_10empty_typeEbEEZZNS1_14partition_implILS5_8ELb0ES3_jPlPS6_PKS6_NS0_5tupleIJS9_S6_EEENSD_IJSA_SA_EEENS0_18inequality_wrapperIZN2at6native12_GLOBAL__N_124unique_dim_cuda_templateIjEESt5tupleIJNSH_6TensorESM_SM_EERKSM_lbbbEUlllE0_EEPmJS6_EEE10hipError_tPvRmT3_T4_T5_T6_T7_T9_mT8_P12ihipStream_tbDpT10_ENKUlT_T0_E_clISt17integral_constantIbLb1EES1C_EEDaS17_S18_EUlS17_E_NS1_11comp_targetILNS1_3genE0ELNS1_11target_archE4294967295ELNS1_3gpuE0ELNS1_3repE0EEENS1_30default_config_static_selectorELNS0_4arch9wavefront6targetE1EEEvT1_ ; -- Begin function _ZN7rocprim17ROCPRIM_400000_NS6detail17trampoline_kernelINS0_14default_configENS1_25partition_config_selectorILNS1_17partition_subalgoE8ElNS0_10empty_typeEbEEZZNS1_14partition_implILS5_8ELb0ES3_jPlPS6_PKS6_NS0_5tupleIJS9_S6_EEENSD_IJSA_SA_EEENS0_18inequality_wrapperIZN2at6native12_GLOBAL__N_124unique_dim_cuda_templateIjEESt5tupleIJNSH_6TensorESM_SM_EERKSM_lbbbEUlllE0_EEPmJS6_EEE10hipError_tPvRmT3_T4_T5_T6_T7_T9_mT8_P12ihipStream_tbDpT10_ENKUlT_T0_E_clISt17integral_constantIbLb1EES1C_EEDaS17_S18_EUlS17_E_NS1_11comp_targetILNS1_3genE0ELNS1_11target_archE4294967295ELNS1_3gpuE0ELNS1_3repE0EEENS1_30default_config_static_selectorELNS0_4arch9wavefront6targetE1EEEvT1_
	.p2align	8
	.type	_ZN7rocprim17ROCPRIM_400000_NS6detail17trampoline_kernelINS0_14default_configENS1_25partition_config_selectorILNS1_17partition_subalgoE8ElNS0_10empty_typeEbEEZZNS1_14partition_implILS5_8ELb0ES3_jPlPS6_PKS6_NS0_5tupleIJS9_S6_EEENSD_IJSA_SA_EEENS0_18inequality_wrapperIZN2at6native12_GLOBAL__N_124unique_dim_cuda_templateIjEESt5tupleIJNSH_6TensorESM_SM_EERKSM_lbbbEUlllE0_EEPmJS6_EEE10hipError_tPvRmT3_T4_T5_T6_T7_T9_mT8_P12ihipStream_tbDpT10_ENKUlT_T0_E_clISt17integral_constantIbLb1EES1C_EEDaS17_S18_EUlS17_E_NS1_11comp_targetILNS1_3genE0ELNS1_11target_archE4294967295ELNS1_3gpuE0ELNS1_3repE0EEENS1_30default_config_static_selectorELNS0_4arch9wavefront6targetE1EEEvT1_,@function
_ZN7rocprim17ROCPRIM_400000_NS6detail17trampoline_kernelINS0_14default_configENS1_25partition_config_selectorILNS1_17partition_subalgoE8ElNS0_10empty_typeEbEEZZNS1_14partition_implILS5_8ELb0ES3_jPlPS6_PKS6_NS0_5tupleIJS9_S6_EEENSD_IJSA_SA_EEENS0_18inequality_wrapperIZN2at6native12_GLOBAL__N_124unique_dim_cuda_templateIjEESt5tupleIJNSH_6TensorESM_SM_EERKSM_lbbbEUlllE0_EEPmJS6_EEE10hipError_tPvRmT3_T4_T5_T6_T7_T9_mT8_P12ihipStream_tbDpT10_ENKUlT_T0_E_clISt17integral_constantIbLb1EES1C_EEDaS17_S18_EUlS17_E_NS1_11comp_targetILNS1_3genE0ELNS1_11target_archE4294967295ELNS1_3gpuE0ELNS1_3repE0EEENS1_30default_config_static_selectorELNS0_4arch9wavefront6targetE1EEEvT1_: ; @_ZN7rocprim17ROCPRIM_400000_NS6detail17trampoline_kernelINS0_14default_configENS1_25partition_config_selectorILNS1_17partition_subalgoE8ElNS0_10empty_typeEbEEZZNS1_14partition_implILS5_8ELb0ES3_jPlPS6_PKS6_NS0_5tupleIJS9_S6_EEENSD_IJSA_SA_EEENS0_18inequality_wrapperIZN2at6native12_GLOBAL__N_124unique_dim_cuda_templateIjEESt5tupleIJNSH_6TensorESM_SM_EERKSM_lbbbEUlllE0_EEPmJS6_EEE10hipError_tPvRmT3_T4_T5_T6_T7_T9_mT8_P12ihipStream_tbDpT10_ENKUlT_T0_E_clISt17integral_constantIbLb1EES1C_EEDaS17_S18_EUlS17_E_NS1_11comp_targetILNS1_3genE0ELNS1_11target_archE4294967295ELNS1_3gpuE0ELNS1_3repE0EEENS1_30default_config_static_selectorELNS0_4arch9wavefront6targetE1EEEvT1_
; %bb.0:
	s_endpgm
	.section	.rodata,"a",@progbits
	.p2align	6, 0x0
	.amdhsa_kernel _ZN7rocprim17ROCPRIM_400000_NS6detail17trampoline_kernelINS0_14default_configENS1_25partition_config_selectorILNS1_17partition_subalgoE8ElNS0_10empty_typeEbEEZZNS1_14partition_implILS5_8ELb0ES3_jPlPS6_PKS6_NS0_5tupleIJS9_S6_EEENSD_IJSA_SA_EEENS0_18inequality_wrapperIZN2at6native12_GLOBAL__N_124unique_dim_cuda_templateIjEESt5tupleIJNSH_6TensorESM_SM_EERKSM_lbbbEUlllE0_EEPmJS6_EEE10hipError_tPvRmT3_T4_T5_T6_T7_T9_mT8_P12ihipStream_tbDpT10_ENKUlT_T0_E_clISt17integral_constantIbLb1EES1C_EEDaS17_S18_EUlS17_E_NS1_11comp_targetILNS1_3genE0ELNS1_11target_archE4294967295ELNS1_3gpuE0ELNS1_3repE0EEENS1_30default_config_static_selectorELNS0_4arch9wavefront6targetE1EEEvT1_
		.amdhsa_group_segment_fixed_size 0
		.amdhsa_private_segment_fixed_size 0
		.amdhsa_kernarg_size 136
		.amdhsa_user_sgpr_count 2
		.amdhsa_user_sgpr_dispatch_ptr 0
		.amdhsa_user_sgpr_queue_ptr 0
		.amdhsa_user_sgpr_kernarg_segment_ptr 1
		.amdhsa_user_sgpr_dispatch_id 0
		.amdhsa_user_sgpr_kernarg_preload_length 0
		.amdhsa_user_sgpr_kernarg_preload_offset 0
		.amdhsa_user_sgpr_private_segment_size 0
		.amdhsa_uses_dynamic_stack 0
		.amdhsa_enable_private_segment 0
		.amdhsa_system_sgpr_workgroup_id_x 1
		.amdhsa_system_sgpr_workgroup_id_y 0
		.amdhsa_system_sgpr_workgroup_id_z 0
		.amdhsa_system_sgpr_workgroup_info 0
		.amdhsa_system_vgpr_workitem_id 0
		.amdhsa_next_free_vgpr 1
		.amdhsa_next_free_sgpr 0
		.amdhsa_accum_offset 4
		.amdhsa_reserve_vcc 0
		.amdhsa_float_round_mode_32 0
		.amdhsa_float_round_mode_16_64 0
		.amdhsa_float_denorm_mode_32 3
		.amdhsa_float_denorm_mode_16_64 3
		.amdhsa_dx10_clamp 1
		.amdhsa_ieee_mode 1
		.amdhsa_fp16_overflow 0
		.amdhsa_tg_split 0
		.amdhsa_exception_fp_ieee_invalid_op 0
		.amdhsa_exception_fp_denorm_src 0
		.amdhsa_exception_fp_ieee_div_zero 0
		.amdhsa_exception_fp_ieee_overflow 0
		.amdhsa_exception_fp_ieee_underflow 0
		.amdhsa_exception_fp_ieee_inexact 0
		.amdhsa_exception_int_div_zero 0
	.end_amdhsa_kernel
	.section	.text._ZN7rocprim17ROCPRIM_400000_NS6detail17trampoline_kernelINS0_14default_configENS1_25partition_config_selectorILNS1_17partition_subalgoE8ElNS0_10empty_typeEbEEZZNS1_14partition_implILS5_8ELb0ES3_jPlPS6_PKS6_NS0_5tupleIJS9_S6_EEENSD_IJSA_SA_EEENS0_18inequality_wrapperIZN2at6native12_GLOBAL__N_124unique_dim_cuda_templateIjEESt5tupleIJNSH_6TensorESM_SM_EERKSM_lbbbEUlllE0_EEPmJS6_EEE10hipError_tPvRmT3_T4_T5_T6_T7_T9_mT8_P12ihipStream_tbDpT10_ENKUlT_T0_E_clISt17integral_constantIbLb1EES1C_EEDaS17_S18_EUlS17_E_NS1_11comp_targetILNS1_3genE0ELNS1_11target_archE4294967295ELNS1_3gpuE0ELNS1_3repE0EEENS1_30default_config_static_selectorELNS0_4arch9wavefront6targetE1EEEvT1_,"axG",@progbits,_ZN7rocprim17ROCPRIM_400000_NS6detail17trampoline_kernelINS0_14default_configENS1_25partition_config_selectorILNS1_17partition_subalgoE8ElNS0_10empty_typeEbEEZZNS1_14partition_implILS5_8ELb0ES3_jPlPS6_PKS6_NS0_5tupleIJS9_S6_EEENSD_IJSA_SA_EEENS0_18inequality_wrapperIZN2at6native12_GLOBAL__N_124unique_dim_cuda_templateIjEESt5tupleIJNSH_6TensorESM_SM_EERKSM_lbbbEUlllE0_EEPmJS6_EEE10hipError_tPvRmT3_T4_T5_T6_T7_T9_mT8_P12ihipStream_tbDpT10_ENKUlT_T0_E_clISt17integral_constantIbLb1EES1C_EEDaS17_S18_EUlS17_E_NS1_11comp_targetILNS1_3genE0ELNS1_11target_archE4294967295ELNS1_3gpuE0ELNS1_3repE0EEENS1_30default_config_static_selectorELNS0_4arch9wavefront6targetE1EEEvT1_,comdat
.Lfunc_end1549:
	.size	_ZN7rocprim17ROCPRIM_400000_NS6detail17trampoline_kernelINS0_14default_configENS1_25partition_config_selectorILNS1_17partition_subalgoE8ElNS0_10empty_typeEbEEZZNS1_14partition_implILS5_8ELb0ES3_jPlPS6_PKS6_NS0_5tupleIJS9_S6_EEENSD_IJSA_SA_EEENS0_18inequality_wrapperIZN2at6native12_GLOBAL__N_124unique_dim_cuda_templateIjEESt5tupleIJNSH_6TensorESM_SM_EERKSM_lbbbEUlllE0_EEPmJS6_EEE10hipError_tPvRmT3_T4_T5_T6_T7_T9_mT8_P12ihipStream_tbDpT10_ENKUlT_T0_E_clISt17integral_constantIbLb1EES1C_EEDaS17_S18_EUlS17_E_NS1_11comp_targetILNS1_3genE0ELNS1_11target_archE4294967295ELNS1_3gpuE0ELNS1_3repE0EEENS1_30default_config_static_selectorELNS0_4arch9wavefront6targetE1EEEvT1_, .Lfunc_end1549-_ZN7rocprim17ROCPRIM_400000_NS6detail17trampoline_kernelINS0_14default_configENS1_25partition_config_selectorILNS1_17partition_subalgoE8ElNS0_10empty_typeEbEEZZNS1_14partition_implILS5_8ELb0ES3_jPlPS6_PKS6_NS0_5tupleIJS9_S6_EEENSD_IJSA_SA_EEENS0_18inequality_wrapperIZN2at6native12_GLOBAL__N_124unique_dim_cuda_templateIjEESt5tupleIJNSH_6TensorESM_SM_EERKSM_lbbbEUlllE0_EEPmJS6_EEE10hipError_tPvRmT3_T4_T5_T6_T7_T9_mT8_P12ihipStream_tbDpT10_ENKUlT_T0_E_clISt17integral_constantIbLb1EES1C_EEDaS17_S18_EUlS17_E_NS1_11comp_targetILNS1_3genE0ELNS1_11target_archE4294967295ELNS1_3gpuE0ELNS1_3repE0EEENS1_30default_config_static_selectorELNS0_4arch9wavefront6targetE1EEEvT1_
                                        ; -- End function
	.set _ZN7rocprim17ROCPRIM_400000_NS6detail17trampoline_kernelINS0_14default_configENS1_25partition_config_selectorILNS1_17partition_subalgoE8ElNS0_10empty_typeEbEEZZNS1_14partition_implILS5_8ELb0ES3_jPlPS6_PKS6_NS0_5tupleIJS9_S6_EEENSD_IJSA_SA_EEENS0_18inequality_wrapperIZN2at6native12_GLOBAL__N_124unique_dim_cuda_templateIjEESt5tupleIJNSH_6TensorESM_SM_EERKSM_lbbbEUlllE0_EEPmJS6_EEE10hipError_tPvRmT3_T4_T5_T6_T7_T9_mT8_P12ihipStream_tbDpT10_ENKUlT_T0_E_clISt17integral_constantIbLb1EES1C_EEDaS17_S18_EUlS17_E_NS1_11comp_targetILNS1_3genE0ELNS1_11target_archE4294967295ELNS1_3gpuE0ELNS1_3repE0EEENS1_30default_config_static_selectorELNS0_4arch9wavefront6targetE1EEEvT1_.num_vgpr, 0
	.set _ZN7rocprim17ROCPRIM_400000_NS6detail17trampoline_kernelINS0_14default_configENS1_25partition_config_selectorILNS1_17partition_subalgoE8ElNS0_10empty_typeEbEEZZNS1_14partition_implILS5_8ELb0ES3_jPlPS6_PKS6_NS0_5tupleIJS9_S6_EEENSD_IJSA_SA_EEENS0_18inequality_wrapperIZN2at6native12_GLOBAL__N_124unique_dim_cuda_templateIjEESt5tupleIJNSH_6TensorESM_SM_EERKSM_lbbbEUlllE0_EEPmJS6_EEE10hipError_tPvRmT3_T4_T5_T6_T7_T9_mT8_P12ihipStream_tbDpT10_ENKUlT_T0_E_clISt17integral_constantIbLb1EES1C_EEDaS17_S18_EUlS17_E_NS1_11comp_targetILNS1_3genE0ELNS1_11target_archE4294967295ELNS1_3gpuE0ELNS1_3repE0EEENS1_30default_config_static_selectorELNS0_4arch9wavefront6targetE1EEEvT1_.num_agpr, 0
	.set _ZN7rocprim17ROCPRIM_400000_NS6detail17trampoline_kernelINS0_14default_configENS1_25partition_config_selectorILNS1_17partition_subalgoE8ElNS0_10empty_typeEbEEZZNS1_14partition_implILS5_8ELb0ES3_jPlPS6_PKS6_NS0_5tupleIJS9_S6_EEENSD_IJSA_SA_EEENS0_18inequality_wrapperIZN2at6native12_GLOBAL__N_124unique_dim_cuda_templateIjEESt5tupleIJNSH_6TensorESM_SM_EERKSM_lbbbEUlllE0_EEPmJS6_EEE10hipError_tPvRmT3_T4_T5_T6_T7_T9_mT8_P12ihipStream_tbDpT10_ENKUlT_T0_E_clISt17integral_constantIbLb1EES1C_EEDaS17_S18_EUlS17_E_NS1_11comp_targetILNS1_3genE0ELNS1_11target_archE4294967295ELNS1_3gpuE0ELNS1_3repE0EEENS1_30default_config_static_selectorELNS0_4arch9wavefront6targetE1EEEvT1_.numbered_sgpr, 0
	.set _ZN7rocprim17ROCPRIM_400000_NS6detail17trampoline_kernelINS0_14default_configENS1_25partition_config_selectorILNS1_17partition_subalgoE8ElNS0_10empty_typeEbEEZZNS1_14partition_implILS5_8ELb0ES3_jPlPS6_PKS6_NS0_5tupleIJS9_S6_EEENSD_IJSA_SA_EEENS0_18inequality_wrapperIZN2at6native12_GLOBAL__N_124unique_dim_cuda_templateIjEESt5tupleIJNSH_6TensorESM_SM_EERKSM_lbbbEUlllE0_EEPmJS6_EEE10hipError_tPvRmT3_T4_T5_T6_T7_T9_mT8_P12ihipStream_tbDpT10_ENKUlT_T0_E_clISt17integral_constantIbLb1EES1C_EEDaS17_S18_EUlS17_E_NS1_11comp_targetILNS1_3genE0ELNS1_11target_archE4294967295ELNS1_3gpuE0ELNS1_3repE0EEENS1_30default_config_static_selectorELNS0_4arch9wavefront6targetE1EEEvT1_.num_named_barrier, 0
	.set _ZN7rocprim17ROCPRIM_400000_NS6detail17trampoline_kernelINS0_14default_configENS1_25partition_config_selectorILNS1_17partition_subalgoE8ElNS0_10empty_typeEbEEZZNS1_14partition_implILS5_8ELb0ES3_jPlPS6_PKS6_NS0_5tupleIJS9_S6_EEENSD_IJSA_SA_EEENS0_18inequality_wrapperIZN2at6native12_GLOBAL__N_124unique_dim_cuda_templateIjEESt5tupleIJNSH_6TensorESM_SM_EERKSM_lbbbEUlllE0_EEPmJS6_EEE10hipError_tPvRmT3_T4_T5_T6_T7_T9_mT8_P12ihipStream_tbDpT10_ENKUlT_T0_E_clISt17integral_constantIbLb1EES1C_EEDaS17_S18_EUlS17_E_NS1_11comp_targetILNS1_3genE0ELNS1_11target_archE4294967295ELNS1_3gpuE0ELNS1_3repE0EEENS1_30default_config_static_selectorELNS0_4arch9wavefront6targetE1EEEvT1_.private_seg_size, 0
	.set _ZN7rocprim17ROCPRIM_400000_NS6detail17trampoline_kernelINS0_14default_configENS1_25partition_config_selectorILNS1_17partition_subalgoE8ElNS0_10empty_typeEbEEZZNS1_14partition_implILS5_8ELb0ES3_jPlPS6_PKS6_NS0_5tupleIJS9_S6_EEENSD_IJSA_SA_EEENS0_18inequality_wrapperIZN2at6native12_GLOBAL__N_124unique_dim_cuda_templateIjEESt5tupleIJNSH_6TensorESM_SM_EERKSM_lbbbEUlllE0_EEPmJS6_EEE10hipError_tPvRmT3_T4_T5_T6_T7_T9_mT8_P12ihipStream_tbDpT10_ENKUlT_T0_E_clISt17integral_constantIbLb1EES1C_EEDaS17_S18_EUlS17_E_NS1_11comp_targetILNS1_3genE0ELNS1_11target_archE4294967295ELNS1_3gpuE0ELNS1_3repE0EEENS1_30default_config_static_selectorELNS0_4arch9wavefront6targetE1EEEvT1_.uses_vcc, 0
	.set _ZN7rocprim17ROCPRIM_400000_NS6detail17trampoline_kernelINS0_14default_configENS1_25partition_config_selectorILNS1_17partition_subalgoE8ElNS0_10empty_typeEbEEZZNS1_14partition_implILS5_8ELb0ES3_jPlPS6_PKS6_NS0_5tupleIJS9_S6_EEENSD_IJSA_SA_EEENS0_18inequality_wrapperIZN2at6native12_GLOBAL__N_124unique_dim_cuda_templateIjEESt5tupleIJNSH_6TensorESM_SM_EERKSM_lbbbEUlllE0_EEPmJS6_EEE10hipError_tPvRmT3_T4_T5_T6_T7_T9_mT8_P12ihipStream_tbDpT10_ENKUlT_T0_E_clISt17integral_constantIbLb1EES1C_EEDaS17_S18_EUlS17_E_NS1_11comp_targetILNS1_3genE0ELNS1_11target_archE4294967295ELNS1_3gpuE0ELNS1_3repE0EEENS1_30default_config_static_selectorELNS0_4arch9wavefront6targetE1EEEvT1_.uses_flat_scratch, 0
	.set _ZN7rocprim17ROCPRIM_400000_NS6detail17trampoline_kernelINS0_14default_configENS1_25partition_config_selectorILNS1_17partition_subalgoE8ElNS0_10empty_typeEbEEZZNS1_14partition_implILS5_8ELb0ES3_jPlPS6_PKS6_NS0_5tupleIJS9_S6_EEENSD_IJSA_SA_EEENS0_18inequality_wrapperIZN2at6native12_GLOBAL__N_124unique_dim_cuda_templateIjEESt5tupleIJNSH_6TensorESM_SM_EERKSM_lbbbEUlllE0_EEPmJS6_EEE10hipError_tPvRmT3_T4_T5_T6_T7_T9_mT8_P12ihipStream_tbDpT10_ENKUlT_T0_E_clISt17integral_constantIbLb1EES1C_EEDaS17_S18_EUlS17_E_NS1_11comp_targetILNS1_3genE0ELNS1_11target_archE4294967295ELNS1_3gpuE0ELNS1_3repE0EEENS1_30default_config_static_selectorELNS0_4arch9wavefront6targetE1EEEvT1_.has_dyn_sized_stack, 0
	.set _ZN7rocprim17ROCPRIM_400000_NS6detail17trampoline_kernelINS0_14default_configENS1_25partition_config_selectorILNS1_17partition_subalgoE8ElNS0_10empty_typeEbEEZZNS1_14partition_implILS5_8ELb0ES3_jPlPS6_PKS6_NS0_5tupleIJS9_S6_EEENSD_IJSA_SA_EEENS0_18inequality_wrapperIZN2at6native12_GLOBAL__N_124unique_dim_cuda_templateIjEESt5tupleIJNSH_6TensorESM_SM_EERKSM_lbbbEUlllE0_EEPmJS6_EEE10hipError_tPvRmT3_T4_T5_T6_T7_T9_mT8_P12ihipStream_tbDpT10_ENKUlT_T0_E_clISt17integral_constantIbLb1EES1C_EEDaS17_S18_EUlS17_E_NS1_11comp_targetILNS1_3genE0ELNS1_11target_archE4294967295ELNS1_3gpuE0ELNS1_3repE0EEENS1_30default_config_static_selectorELNS0_4arch9wavefront6targetE1EEEvT1_.has_recursion, 0
	.set _ZN7rocprim17ROCPRIM_400000_NS6detail17trampoline_kernelINS0_14default_configENS1_25partition_config_selectorILNS1_17partition_subalgoE8ElNS0_10empty_typeEbEEZZNS1_14partition_implILS5_8ELb0ES3_jPlPS6_PKS6_NS0_5tupleIJS9_S6_EEENSD_IJSA_SA_EEENS0_18inequality_wrapperIZN2at6native12_GLOBAL__N_124unique_dim_cuda_templateIjEESt5tupleIJNSH_6TensorESM_SM_EERKSM_lbbbEUlllE0_EEPmJS6_EEE10hipError_tPvRmT3_T4_T5_T6_T7_T9_mT8_P12ihipStream_tbDpT10_ENKUlT_T0_E_clISt17integral_constantIbLb1EES1C_EEDaS17_S18_EUlS17_E_NS1_11comp_targetILNS1_3genE0ELNS1_11target_archE4294967295ELNS1_3gpuE0ELNS1_3repE0EEENS1_30default_config_static_selectorELNS0_4arch9wavefront6targetE1EEEvT1_.has_indirect_call, 0
	.section	.AMDGPU.csdata,"",@progbits
; Kernel info:
; codeLenInByte = 4
; TotalNumSgprs: 6
; NumVgprs: 0
; NumAgprs: 0
; TotalNumVgprs: 0
; ScratchSize: 0
; MemoryBound: 0
; FloatMode: 240
; IeeeMode: 1
; LDSByteSize: 0 bytes/workgroup (compile time only)
; SGPRBlocks: 0
; VGPRBlocks: 0
; NumSGPRsForWavesPerEU: 6
; NumVGPRsForWavesPerEU: 1
; AccumOffset: 4
; Occupancy: 8
; WaveLimiterHint : 0
; COMPUTE_PGM_RSRC2:SCRATCH_EN: 0
; COMPUTE_PGM_RSRC2:USER_SGPR: 2
; COMPUTE_PGM_RSRC2:TRAP_HANDLER: 0
; COMPUTE_PGM_RSRC2:TGID_X_EN: 1
; COMPUTE_PGM_RSRC2:TGID_Y_EN: 0
; COMPUTE_PGM_RSRC2:TGID_Z_EN: 0
; COMPUTE_PGM_RSRC2:TIDIG_COMP_CNT: 0
; COMPUTE_PGM_RSRC3_GFX90A:ACCUM_OFFSET: 0
; COMPUTE_PGM_RSRC3_GFX90A:TG_SPLIT: 0
	.section	.text._ZN7rocprim17ROCPRIM_400000_NS6detail17trampoline_kernelINS0_14default_configENS1_25partition_config_selectorILNS1_17partition_subalgoE8ElNS0_10empty_typeEbEEZZNS1_14partition_implILS5_8ELb0ES3_jPlPS6_PKS6_NS0_5tupleIJS9_S6_EEENSD_IJSA_SA_EEENS0_18inequality_wrapperIZN2at6native12_GLOBAL__N_124unique_dim_cuda_templateIjEESt5tupleIJNSH_6TensorESM_SM_EERKSM_lbbbEUlllE0_EEPmJS6_EEE10hipError_tPvRmT3_T4_T5_T6_T7_T9_mT8_P12ihipStream_tbDpT10_ENKUlT_T0_E_clISt17integral_constantIbLb1EES1C_EEDaS17_S18_EUlS17_E_NS1_11comp_targetILNS1_3genE5ELNS1_11target_archE942ELNS1_3gpuE9ELNS1_3repE0EEENS1_30default_config_static_selectorELNS0_4arch9wavefront6targetE1EEEvT1_,"axG",@progbits,_ZN7rocprim17ROCPRIM_400000_NS6detail17trampoline_kernelINS0_14default_configENS1_25partition_config_selectorILNS1_17partition_subalgoE8ElNS0_10empty_typeEbEEZZNS1_14partition_implILS5_8ELb0ES3_jPlPS6_PKS6_NS0_5tupleIJS9_S6_EEENSD_IJSA_SA_EEENS0_18inequality_wrapperIZN2at6native12_GLOBAL__N_124unique_dim_cuda_templateIjEESt5tupleIJNSH_6TensorESM_SM_EERKSM_lbbbEUlllE0_EEPmJS6_EEE10hipError_tPvRmT3_T4_T5_T6_T7_T9_mT8_P12ihipStream_tbDpT10_ENKUlT_T0_E_clISt17integral_constantIbLb1EES1C_EEDaS17_S18_EUlS17_E_NS1_11comp_targetILNS1_3genE5ELNS1_11target_archE942ELNS1_3gpuE9ELNS1_3repE0EEENS1_30default_config_static_selectorELNS0_4arch9wavefront6targetE1EEEvT1_,comdat
	.globl	_ZN7rocprim17ROCPRIM_400000_NS6detail17trampoline_kernelINS0_14default_configENS1_25partition_config_selectorILNS1_17partition_subalgoE8ElNS0_10empty_typeEbEEZZNS1_14partition_implILS5_8ELb0ES3_jPlPS6_PKS6_NS0_5tupleIJS9_S6_EEENSD_IJSA_SA_EEENS0_18inequality_wrapperIZN2at6native12_GLOBAL__N_124unique_dim_cuda_templateIjEESt5tupleIJNSH_6TensorESM_SM_EERKSM_lbbbEUlllE0_EEPmJS6_EEE10hipError_tPvRmT3_T4_T5_T6_T7_T9_mT8_P12ihipStream_tbDpT10_ENKUlT_T0_E_clISt17integral_constantIbLb1EES1C_EEDaS17_S18_EUlS17_E_NS1_11comp_targetILNS1_3genE5ELNS1_11target_archE942ELNS1_3gpuE9ELNS1_3repE0EEENS1_30default_config_static_selectorELNS0_4arch9wavefront6targetE1EEEvT1_ ; -- Begin function _ZN7rocprim17ROCPRIM_400000_NS6detail17trampoline_kernelINS0_14default_configENS1_25partition_config_selectorILNS1_17partition_subalgoE8ElNS0_10empty_typeEbEEZZNS1_14partition_implILS5_8ELb0ES3_jPlPS6_PKS6_NS0_5tupleIJS9_S6_EEENSD_IJSA_SA_EEENS0_18inequality_wrapperIZN2at6native12_GLOBAL__N_124unique_dim_cuda_templateIjEESt5tupleIJNSH_6TensorESM_SM_EERKSM_lbbbEUlllE0_EEPmJS6_EEE10hipError_tPvRmT3_T4_T5_T6_T7_T9_mT8_P12ihipStream_tbDpT10_ENKUlT_T0_E_clISt17integral_constantIbLb1EES1C_EEDaS17_S18_EUlS17_E_NS1_11comp_targetILNS1_3genE5ELNS1_11target_archE942ELNS1_3gpuE9ELNS1_3repE0EEENS1_30default_config_static_selectorELNS0_4arch9wavefront6targetE1EEEvT1_
	.p2align	8
	.type	_ZN7rocprim17ROCPRIM_400000_NS6detail17trampoline_kernelINS0_14default_configENS1_25partition_config_selectorILNS1_17partition_subalgoE8ElNS0_10empty_typeEbEEZZNS1_14partition_implILS5_8ELb0ES3_jPlPS6_PKS6_NS0_5tupleIJS9_S6_EEENSD_IJSA_SA_EEENS0_18inequality_wrapperIZN2at6native12_GLOBAL__N_124unique_dim_cuda_templateIjEESt5tupleIJNSH_6TensorESM_SM_EERKSM_lbbbEUlllE0_EEPmJS6_EEE10hipError_tPvRmT3_T4_T5_T6_T7_T9_mT8_P12ihipStream_tbDpT10_ENKUlT_T0_E_clISt17integral_constantIbLb1EES1C_EEDaS17_S18_EUlS17_E_NS1_11comp_targetILNS1_3genE5ELNS1_11target_archE942ELNS1_3gpuE9ELNS1_3repE0EEENS1_30default_config_static_selectorELNS0_4arch9wavefront6targetE1EEEvT1_,@function
_ZN7rocprim17ROCPRIM_400000_NS6detail17trampoline_kernelINS0_14default_configENS1_25partition_config_selectorILNS1_17partition_subalgoE8ElNS0_10empty_typeEbEEZZNS1_14partition_implILS5_8ELb0ES3_jPlPS6_PKS6_NS0_5tupleIJS9_S6_EEENSD_IJSA_SA_EEENS0_18inequality_wrapperIZN2at6native12_GLOBAL__N_124unique_dim_cuda_templateIjEESt5tupleIJNSH_6TensorESM_SM_EERKSM_lbbbEUlllE0_EEPmJS6_EEE10hipError_tPvRmT3_T4_T5_T6_T7_T9_mT8_P12ihipStream_tbDpT10_ENKUlT_T0_E_clISt17integral_constantIbLb1EES1C_EEDaS17_S18_EUlS17_E_NS1_11comp_targetILNS1_3genE5ELNS1_11target_archE942ELNS1_3gpuE9ELNS1_3repE0EEENS1_30default_config_static_selectorELNS0_4arch9wavefront6targetE1EEEvT1_: ; @_ZN7rocprim17ROCPRIM_400000_NS6detail17trampoline_kernelINS0_14default_configENS1_25partition_config_selectorILNS1_17partition_subalgoE8ElNS0_10empty_typeEbEEZZNS1_14partition_implILS5_8ELb0ES3_jPlPS6_PKS6_NS0_5tupleIJS9_S6_EEENSD_IJSA_SA_EEENS0_18inequality_wrapperIZN2at6native12_GLOBAL__N_124unique_dim_cuda_templateIjEESt5tupleIJNSH_6TensorESM_SM_EERKSM_lbbbEUlllE0_EEPmJS6_EEE10hipError_tPvRmT3_T4_T5_T6_T7_T9_mT8_P12ihipStream_tbDpT10_ENKUlT_T0_E_clISt17integral_constantIbLb1EES1C_EEDaS17_S18_EUlS17_E_NS1_11comp_targetILNS1_3genE5ELNS1_11target_archE942ELNS1_3gpuE9ELNS1_3repE0EEENS1_30default_config_static_selectorELNS0_4arch9wavefront6targetE1EEEvT1_
; %bb.0:
	.section	.rodata,"a",@progbits
	.p2align	6, 0x0
	.amdhsa_kernel _ZN7rocprim17ROCPRIM_400000_NS6detail17trampoline_kernelINS0_14default_configENS1_25partition_config_selectorILNS1_17partition_subalgoE8ElNS0_10empty_typeEbEEZZNS1_14partition_implILS5_8ELb0ES3_jPlPS6_PKS6_NS0_5tupleIJS9_S6_EEENSD_IJSA_SA_EEENS0_18inequality_wrapperIZN2at6native12_GLOBAL__N_124unique_dim_cuda_templateIjEESt5tupleIJNSH_6TensorESM_SM_EERKSM_lbbbEUlllE0_EEPmJS6_EEE10hipError_tPvRmT3_T4_T5_T6_T7_T9_mT8_P12ihipStream_tbDpT10_ENKUlT_T0_E_clISt17integral_constantIbLb1EES1C_EEDaS17_S18_EUlS17_E_NS1_11comp_targetILNS1_3genE5ELNS1_11target_archE942ELNS1_3gpuE9ELNS1_3repE0EEENS1_30default_config_static_selectorELNS0_4arch9wavefront6targetE1EEEvT1_
		.amdhsa_group_segment_fixed_size 0
		.amdhsa_private_segment_fixed_size 0
		.amdhsa_kernarg_size 136
		.amdhsa_user_sgpr_count 2
		.amdhsa_user_sgpr_dispatch_ptr 0
		.amdhsa_user_sgpr_queue_ptr 0
		.amdhsa_user_sgpr_kernarg_segment_ptr 1
		.amdhsa_user_sgpr_dispatch_id 0
		.amdhsa_user_sgpr_kernarg_preload_length 0
		.amdhsa_user_sgpr_kernarg_preload_offset 0
		.amdhsa_user_sgpr_private_segment_size 0
		.amdhsa_uses_dynamic_stack 0
		.amdhsa_enable_private_segment 0
		.amdhsa_system_sgpr_workgroup_id_x 1
		.amdhsa_system_sgpr_workgroup_id_y 0
		.amdhsa_system_sgpr_workgroup_id_z 0
		.amdhsa_system_sgpr_workgroup_info 0
		.amdhsa_system_vgpr_workitem_id 0
		.amdhsa_next_free_vgpr 1
		.amdhsa_next_free_sgpr 0
		.amdhsa_accum_offset 4
		.amdhsa_reserve_vcc 0
		.amdhsa_float_round_mode_32 0
		.amdhsa_float_round_mode_16_64 0
		.amdhsa_float_denorm_mode_32 3
		.amdhsa_float_denorm_mode_16_64 3
		.amdhsa_dx10_clamp 1
		.amdhsa_ieee_mode 1
		.amdhsa_fp16_overflow 0
		.amdhsa_tg_split 0
		.amdhsa_exception_fp_ieee_invalid_op 0
		.amdhsa_exception_fp_denorm_src 0
		.amdhsa_exception_fp_ieee_div_zero 0
		.amdhsa_exception_fp_ieee_overflow 0
		.amdhsa_exception_fp_ieee_underflow 0
		.amdhsa_exception_fp_ieee_inexact 0
		.amdhsa_exception_int_div_zero 0
	.end_amdhsa_kernel
	.section	.text._ZN7rocprim17ROCPRIM_400000_NS6detail17trampoline_kernelINS0_14default_configENS1_25partition_config_selectorILNS1_17partition_subalgoE8ElNS0_10empty_typeEbEEZZNS1_14partition_implILS5_8ELb0ES3_jPlPS6_PKS6_NS0_5tupleIJS9_S6_EEENSD_IJSA_SA_EEENS0_18inequality_wrapperIZN2at6native12_GLOBAL__N_124unique_dim_cuda_templateIjEESt5tupleIJNSH_6TensorESM_SM_EERKSM_lbbbEUlllE0_EEPmJS6_EEE10hipError_tPvRmT3_T4_T5_T6_T7_T9_mT8_P12ihipStream_tbDpT10_ENKUlT_T0_E_clISt17integral_constantIbLb1EES1C_EEDaS17_S18_EUlS17_E_NS1_11comp_targetILNS1_3genE5ELNS1_11target_archE942ELNS1_3gpuE9ELNS1_3repE0EEENS1_30default_config_static_selectorELNS0_4arch9wavefront6targetE1EEEvT1_,"axG",@progbits,_ZN7rocprim17ROCPRIM_400000_NS6detail17trampoline_kernelINS0_14default_configENS1_25partition_config_selectorILNS1_17partition_subalgoE8ElNS0_10empty_typeEbEEZZNS1_14partition_implILS5_8ELb0ES3_jPlPS6_PKS6_NS0_5tupleIJS9_S6_EEENSD_IJSA_SA_EEENS0_18inequality_wrapperIZN2at6native12_GLOBAL__N_124unique_dim_cuda_templateIjEESt5tupleIJNSH_6TensorESM_SM_EERKSM_lbbbEUlllE0_EEPmJS6_EEE10hipError_tPvRmT3_T4_T5_T6_T7_T9_mT8_P12ihipStream_tbDpT10_ENKUlT_T0_E_clISt17integral_constantIbLb1EES1C_EEDaS17_S18_EUlS17_E_NS1_11comp_targetILNS1_3genE5ELNS1_11target_archE942ELNS1_3gpuE9ELNS1_3repE0EEENS1_30default_config_static_selectorELNS0_4arch9wavefront6targetE1EEEvT1_,comdat
.Lfunc_end1550:
	.size	_ZN7rocprim17ROCPRIM_400000_NS6detail17trampoline_kernelINS0_14default_configENS1_25partition_config_selectorILNS1_17partition_subalgoE8ElNS0_10empty_typeEbEEZZNS1_14partition_implILS5_8ELb0ES3_jPlPS6_PKS6_NS0_5tupleIJS9_S6_EEENSD_IJSA_SA_EEENS0_18inequality_wrapperIZN2at6native12_GLOBAL__N_124unique_dim_cuda_templateIjEESt5tupleIJNSH_6TensorESM_SM_EERKSM_lbbbEUlllE0_EEPmJS6_EEE10hipError_tPvRmT3_T4_T5_T6_T7_T9_mT8_P12ihipStream_tbDpT10_ENKUlT_T0_E_clISt17integral_constantIbLb1EES1C_EEDaS17_S18_EUlS17_E_NS1_11comp_targetILNS1_3genE5ELNS1_11target_archE942ELNS1_3gpuE9ELNS1_3repE0EEENS1_30default_config_static_selectorELNS0_4arch9wavefront6targetE1EEEvT1_, .Lfunc_end1550-_ZN7rocprim17ROCPRIM_400000_NS6detail17trampoline_kernelINS0_14default_configENS1_25partition_config_selectorILNS1_17partition_subalgoE8ElNS0_10empty_typeEbEEZZNS1_14partition_implILS5_8ELb0ES3_jPlPS6_PKS6_NS0_5tupleIJS9_S6_EEENSD_IJSA_SA_EEENS0_18inequality_wrapperIZN2at6native12_GLOBAL__N_124unique_dim_cuda_templateIjEESt5tupleIJNSH_6TensorESM_SM_EERKSM_lbbbEUlllE0_EEPmJS6_EEE10hipError_tPvRmT3_T4_T5_T6_T7_T9_mT8_P12ihipStream_tbDpT10_ENKUlT_T0_E_clISt17integral_constantIbLb1EES1C_EEDaS17_S18_EUlS17_E_NS1_11comp_targetILNS1_3genE5ELNS1_11target_archE942ELNS1_3gpuE9ELNS1_3repE0EEENS1_30default_config_static_selectorELNS0_4arch9wavefront6targetE1EEEvT1_
                                        ; -- End function
	.set _ZN7rocprim17ROCPRIM_400000_NS6detail17trampoline_kernelINS0_14default_configENS1_25partition_config_selectorILNS1_17partition_subalgoE8ElNS0_10empty_typeEbEEZZNS1_14partition_implILS5_8ELb0ES3_jPlPS6_PKS6_NS0_5tupleIJS9_S6_EEENSD_IJSA_SA_EEENS0_18inequality_wrapperIZN2at6native12_GLOBAL__N_124unique_dim_cuda_templateIjEESt5tupleIJNSH_6TensorESM_SM_EERKSM_lbbbEUlllE0_EEPmJS6_EEE10hipError_tPvRmT3_T4_T5_T6_T7_T9_mT8_P12ihipStream_tbDpT10_ENKUlT_T0_E_clISt17integral_constantIbLb1EES1C_EEDaS17_S18_EUlS17_E_NS1_11comp_targetILNS1_3genE5ELNS1_11target_archE942ELNS1_3gpuE9ELNS1_3repE0EEENS1_30default_config_static_selectorELNS0_4arch9wavefront6targetE1EEEvT1_.num_vgpr, 0
	.set _ZN7rocprim17ROCPRIM_400000_NS6detail17trampoline_kernelINS0_14default_configENS1_25partition_config_selectorILNS1_17partition_subalgoE8ElNS0_10empty_typeEbEEZZNS1_14partition_implILS5_8ELb0ES3_jPlPS6_PKS6_NS0_5tupleIJS9_S6_EEENSD_IJSA_SA_EEENS0_18inequality_wrapperIZN2at6native12_GLOBAL__N_124unique_dim_cuda_templateIjEESt5tupleIJNSH_6TensorESM_SM_EERKSM_lbbbEUlllE0_EEPmJS6_EEE10hipError_tPvRmT3_T4_T5_T6_T7_T9_mT8_P12ihipStream_tbDpT10_ENKUlT_T0_E_clISt17integral_constantIbLb1EES1C_EEDaS17_S18_EUlS17_E_NS1_11comp_targetILNS1_3genE5ELNS1_11target_archE942ELNS1_3gpuE9ELNS1_3repE0EEENS1_30default_config_static_selectorELNS0_4arch9wavefront6targetE1EEEvT1_.num_agpr, 0
	.set _ZN7rocprim17ROCPRIM_400000_NS6detail17trampoline_kernelINS0_14default_configENS1_25partition_config_selectorILNS1_17partition_subalgoE8ElNS0_10empty_typeEbEEZZNS1_14partition_implILS5_8ELb0ES3_jPlPS6_PKS6_NS0_5tupleIJS9_S6_EEENSD_IJSA_SA_EEENS0_18inequality_wrapperIZN2at6native12_GLOBAL__N_124unique_dim_cuda_templateIjEESt5tupleIJNSH_6TensorESM_SM_EERKSM_lbbbEUlllE0_EEPmJS6_EEE10hipError_tPvRmT3_T4_T5_T6_T7_T9_mT8_P12ihipStream_tbDpT10_ENKUlT_T0_E_clISt17integral_constantIbLb1EES1C_EEDaS17_S18_EUlS17_E_NS1_11comp_targetILNS1_3genE5ELNS1_11target_archE942ELNS1_3gpuE9ELNS1_3repE0EEENS1_30default_config_static_selectorELNS0_4arch9wavefront6targetE1EEEvT1_.numbered_sgpr, 0
	.set _ZN7rocprim17ROCPRIM_400000_NS6detail17trampoline_kernelINS0_14default_configENS1_25partition_config_selectorILNS1_17partition_subalgoE8ElNS0_10empty_typeEbEEZZNS1_14partition_implILS5_8ELb0ES3_jPlPS6_PKS6_NS0_5tupleIJS9_S6_EEENSD_IJSA_SA_EEENS0_18inequality_wrapperIZN2at6native12_GLOBAL__N_124unique_dim_cuda_templateIjEESt5tupleIJNSH_6TensorESM_SM_EERKSM_lbbbEUlllE0_EEPmJS6_EEE10hipError_tPvRmT3_T4_T5_T6_T7_T9_mT8_P12ihipStream_tbDpT10_ENKUlT_T0_E_clISt17integral_constantIbLb1EES1C_EEDaS17_S18_EUlS17_E_NS1_11comp_targetILNS1_3genE5ELNS1_11target_archE942ELNS1_3gpuE9ELNS1_3repE0EEENS1_30default_config_static_selectorELNS0_4arch9wavefront6targetE1EEEvT1_.num_named_barrier, 0
	.set _ZN7rocprim17ROCPRIM_400000_NS6detail17trampoline_kernelINS0_14default_configENS1_25partition_config_selectorILNS1_17partition_subalgoE8ElNS0_10empty_typeEbEEZZNS1_14partition_implILS5_8ELb0ES3_jPlPS6_PKS6_NS0_5tupleIJS9_S6_EEENSD_IJSA_SA_EEENS0_18inequality_wrapperIZN2at6native12_GLOBAL__N_124unique_dim_cuda_templateIjEESt5tupleIJNSH_6TensorESM_SM_EERKSM_lbbbEUlllE0_EEPmJS6_EEE10hipError_tPvRmT3_T4_T5_T6_T7_T9_mT8_P12ihipStream_tbDpT10_ENKUlT_T0_E_clISt17integral_constantIbLb1EES1C_EEDaS17_S18_EUlS17_E_NS1_11comp_targetILNS1_3genE5ELNS1_11target_archE942ELNS1_3gpuE9ELNS1_3repE0EEENS1_30default_config_static_selectorELNS0_4arch9wavefront6targetE1EEEvT1_.private_seg_size, 0
	.set _ZN7rocprim17ROCPRIM_400000_NS6detail17trampoline_kernelINS0_14default_configENS1_25partition_config_selectorILNS1_17partition_subalgoE8ElNS0_10empty_typeEbEEZZNS1_14partition_implILS5_8ELb0ES3_jPlPS6_PKS6_NS0_5tupleIJS9_S6_EEENSD_IJSA_SA_EEENS0_18inequality_wrapperIZN2at6native12_GLOBAL__N_124unique_dim_cuda_templateIjEESt5tupleIJNSH_6TensorESM_SM_EERKSM_lbbbEUlllE0_EEPmJS6_EEE10hipError_tPvRmT3_T4_T5_T6_T7_T9_mT8_P12ihipStream_tbDpT10_ENKUlT_T0_E_clISt17integral_constantIbLb1EES1C_EEDaS17_S18_EUlS17_E_NS1_11comp_targetILNS1_3genE5ELNS1_11target_archE942ELNS1_3gpuE9ELNS1_3repE0EEENS1_30default_config_static_selectorELNS0_4arch9wavefront6targetE1EEEvT1_.uses_vcc, 0
	.set _ZN7rocprim17ROCPRIM_400000_NS6detail17trampoline_kernelINS0_14default_configENS1_25partition_config_selectorILNS1_17partition_subalgoE8ElNS0_10empty_typeEbEEZZNS1_14partition_implILS5_8ELb0ES3_jPlPS6_PKS6_NS0_5tupleIJS9_S6_EEENSD_IJSA_SA_EEENS0_18inequality_wrapperIZN2at6native12_GLOBAL__N_124unique_dim_cuda_templateIjEESt5tupleIJNSH_6TensorESM_SM_EERKSM_lbbbEUlllE0_EEPmJS6_EEE10hipError_tPvRmT3_T4_T5_T6_T7_T9_mT8_P12ihipStream_tbDpT10_ENKUlT_T0_E_clISt17integral_constantIbLb1EES1C_EEDaS17_S18_EUlS17_E_NS1_11comp_targetILNS1_3genE5ELNS1_11target_archE942ELNS1_3gpuE9ELNS1_3repE0EEENS1_30default_config_static_selectorELNS0_4arch9wavefront6targetE1EEEvT1_.uses_flat_scratch, 0
	.set _ZN7rocprim17ROCPRIM_400000_NS6detail17trampoline_kernelINS0_14default_configENS1_25partition_config_selectorILNS1_17partition_subalgoE8ElNS0_10empty_typeEbEEZZNS1_14partition_implILS5_8ELb0ES3_jPlPS6_PKS6_NS0_5tupleIJS9_S6_EEENSD_IJSA_SA_EEENS0_18inequality_wrapperIZN2at6native12_GLOBAL__N_124unique_dim_cuda_templateIjEESt5tupleIJNSH_6TensorESM_SM_EERKSM_lbbbEUlllE0_EEPmJS6_EEE10hipError_tPvRmT3_T4_T5_T6_T7_T9_mT8_P12ihipStream_tbDpT10_ENKUlT_T0_E_clISt17integral_constantIbLb1EES1C_EEDaS17_S18_EUlS17_E_NS1_11comp_targetILNS1_3genE5ELNS1_11target_archE942ELNS1_3gpuE9ELNS1_3repE0EEENS1_30default_config_static_selectorELNS0_4arch9wavefront6targetE1EEEvT1_.has_dyn_sized_stack, 0
	.set _ZN7rocprim17ROCPRIM_400000_NS6detail17trampoline_kernelINS0_14default_configENS1_25partition_config_selectorILNS1_17partition_subalgoE8ElNS0_10empty_typeEbEEZZNS1_14partition_implILS5_8ELb0ES3_jPlPS6_PKS6_NS0_5tupleIJS9_S6_EEENSD_IJSA_SA_EEENS0_18inequality_wrapperIZN2at6native12_GLOBAL__N_124unique_dim_cuda_templateIjEESt5tupleIJNSH_6TensorESM_SM_EERKSM_lbbbEUlllE0_EEPmJS6_EEE10hipError_tPvRmT3_T4_T5_T6_T7_T9_mT8_P12ihipStream_tbDpT10_ENKUlT_T0_E_clISt17integral_constantIbLb1EES1C_EEDaS17_S18_EUlS17_E_NS1_11comp_targetILNS1_3genE5ELNS1_11target_archE942ELNS1_3gpuE9ELNS1_3repE0EEENS1_30default_config_static_selectorELNS0_4arch9wavefront6targetE1EEEvT1_.has_recursion, 0
	.set _ZN7rocprim17ROCPRIM_400000_NS6detail17trampoline_kernelINS0_14default_configENS1_25partition_config_selectorILNS1_17partition_subalgoE8ElNS0_10empty_typeEbEEZZNS1_14partition_implILS5_8ELb0ES3_jPlPS6_PKS6_NS0_5tupleIJS9_S6_EEENSD_IJSA_SA_EEENS0_18inequality_wrapperIZN2at6native12_GLOBAL__N_124unique_dim_cuda_templateIjEESt5tupleIJNSH_6TensorESM_SM_EERKSM_lbbbEUlllE0_EEPmJS6_EEE10hipError_tPvRmT3_T4_T5_T6_T7_T9_mT8_P12ihipStream_tbDpT10_ENKUlT_T0_E_clISt17integral_constantIbLb1EES1C_EEDaS17_S18_EUlS17_E_NS1_11comp_targetILNS1_3genE5ELNS1_11target_archE942ELNS1_3gpuE9ELNS1_3repE0EEENS1_30default_config_static_selectorELNS0_4arch9wavefront6targetE1EEEvT1_.has_indirect_call, 0
	.section	.AMDGPU.csdata,"",@progbits
; Kernel info:
; codeLenInByte = 0
; TotalNumSgprs: 6
; NumVgprs: 0
; NumAgprs: 0
; TotalNumVgprs: 0
; ScratchSize: 0
; MemoryBound: 0
; FloatMode: 240
; IeeeMode: 1
; LDSByteSize: 0 bytes/workgroup (compile time only)
; SGPRBlocks: 0
; VGPRBlocks: 0
; NumSGPRsForWavesPerEU: 6
; NumVGPRsForWavesPerEU: 1
; AccumOffset: 4
; Occupancy: 8
; WaveLimiterHint : 0
; COMPUTE_PGM_RSRC2:SCRATCH_EN: 0
; COMPUTE_PGM_RSRC2:USER_SGPR: 2
; COMPUTE_PGM_RSRC2:TRAP_HANDLER: 0
; COMPUTE_PGM_RSRC2:TGID_X_EN: 1
; COMPUTE_PGM_RSRC2:TGID_Y_EN: 0
; COMPUTE_PGM_RSRC2:TGID_Z_EN: 0
; COMPUTE_PGM_RSRC2:TIDIG_COMP_CNT: 0
; COMPUTE_PGM_RSRC3_GFX90A:ACCUM_OFFSET: 0
; COMPUTE_PGM_RSRC3_GFX90A:TG_SPLIT: 0
	.section	.text._ZN7rocprim17ROCPRIM_400000_NS6detail17trampoline_kernelINS0_14default_configENS1_25partition_config_selectorILNS1_17partition_subalgoE8ElNS0_10empty_typeEbEEZZNS1_14partition_implILS5_8ELb0ES3_jPlPS6_PKS6_NS0_5tupleIJS9_S6_EEENSD_IJSA_SA_EEENS0_18inequality_wrapperIZN2at6native12_GLOBAL__N_124unique_dim_cuda_templateIjEESt5tupleIJNSH_6TensorESM_SM_EERKSM_lbbbEUlllE0_EEPmJS6_EEE10hipError_tPvRmT3_T4_T5_T6_T7_T9_mT8_P12ihipStream_tbDpT10_ENKUlT_T0_E_clISt17integral_constantIbLb1EES1C_EEDaS17_S18_EUlS17_E_NS1_11comp_targetILNS1_3genE4ELNS1_11target_archE910ELNS1_3gpuE8ELNS1_3repE0EEENS1_30default_config_static_selectorELNS0_4arch9wavefront6targetE1EEEvT1_,"axG",@progbits,_ZN7rocprim17ROCPRIM_400000_NS6detail17trampoline_kernelINS0_14default_configENS1_25partition_config_selectorILNS1_17partition_subalgoE8ElNS0_10empty_typeEbEEZZNS1_14partition_implILS5_8ELb0ES3_jPlPS6_PKS6_NS0_5tupleIJS9_S6_EEENSD_IJSA_SA_EEENS0_18inequality_wrapperIZN2at6native12_GLOBAL__N_124unique_dim_cuda_templateIjEESt5tupleIJNSH_6TensorESM_SM_EERKSM_lbbbEUlllE0_EEPmJS6_EEE10hipError_tPvRmT3_T4_T5_T6_T7_T9_mT8_P12ihipStream_tbDpT10_ENKUlT_T0_E_clISt17integral_constantIbLb1EES1C_EEDaS17_S18_EUlS17_E_NS1_11comp_targetILNS1_3genE4ELNS1_11target_archE910ELNS1_3gpuE8ELNS1_3repE0EEENS1_30default_config_static_selectorELNS0_4arch9wavefront6targetE1EEEvT1_,comdat
	.globl	_ZN7rocprim17ROCPRIM_400000_NS6detail17trampoline_kernelINS0_14default_configENS1_25partition_config_selectorILNS1_17partition_subalgoE8ElNS0_10empty_typeEbEEZZNS1_14partition_implILS5_8ELb0ES3_jPlPS6_PKS6_NS0_5tupleIJS9_S6_EEENSD_IJSA_SA_EEENS0_18inequality_wrapperIZN2at6native12_GLOBAL__N_124unique_dim_cuda_templateIjEESt5tupleIJNSH_6TensorESM_SM_EERKSM_lbbbEUlllE0_EEPmJS6_EEE10hipError_tPvRmT3_T4_T5_T6_T7_T9_mT8_P12ihipStream_tbDpT10_ENKUlT_T0_E_clISt17integral_constantIbLb1EES1C_EEDaS17_S18_EUlS17_E_NS1_11comp_targetILNS1_3genE4ELNS1_11target_archE910ELNS1_3gpuE8ELNS1_3repE0EEENS1_30default_config_static_selectorELNS0_4arch9wavefront6targetE1EEEvT1_ ; -- Begin function _ZN7rocprim17ROCPRIM_400000_NS6detail17trampoline_kernelINS0_14default_configENS1_25partition_config_selectorILNS1_17partition_subalgoE8ElNS0_10empty_typeEbEEZZNS1_14partition_implILS5_8ELb0ES3_jPlPS6_PKS6_NS0_5tupleIJS9_S6_EEENSD_IJSA_SA_EEENS0_18inequality_wrapperIZN2at6native12_GLOBAL__N_124unique_dim_cuda_templateIjEESt5tupleIJNSH_6TensorESM_SM_EERKSM_lbbbEUlllE0_EEPmJS6_EEE10hipError_tPvRmT3_T4_T5_T6_T7_T9_mT8_P12ihipStream_tbDpT10_ENKUlT_T0_E_clISt17integral_constantIbLb1EES1C_EEDaS17_S18_EUlS17_E_NS1_11comp_targetILNS1_3genE4ELNS1_11target_archE910ELNS1_3gpuE8ELNS1_3repE0EEENS1_30default_config_static_selectorELNS0_4arch9wavefront6targetE1EEEvT1_
	.p2align	8
	.type	_ZN7rocprim17ROCPRIM_400000_NS6detail17trampoline_kernelINS0_14default_configENS1_25partition_config_selectorILNS1_17partition_subalgoE8ElNS0_10empty_typeEbEEZZNS1_14partition_implILS5_8ELb0ES3_jPlPS6_PKS6_NS0_5tupleIJS9_S6_EEENSD_IJSA_SA_EEENS0_18inequality_wrapperIZN2at6native12_GLOBAL__N_124unique_dim_cuda_templateIjEESt5tupleIJNSH_6TensorESM_SM_EERKSM_lbbbEUlllE0_EEPmJS6_EEE10hipError_tPvRmT3_T4_T5_T6_T7_T9_mT8_P12ihipStream_tbDpT10_ENKUlT_T0_E_clISt17integral_constantIbLb1EES1C_EEDaS17_S18_EUlS17_E_NS1_11comp_targetILNS1_3genE4ELNS1_11target_archE910ELNS1_3gpuE8ELNS1_3repE0EEENS1_30default_config_static_selectorELNS0_4arch9wavefront6targetE1EEEvT1_,@function
_ZN7rocprim17ROCPRIM_400000_NS6detail17trampoline_kernelINS0_14default_configENS1_25partition_config_selectorILNS1_17partition_subalgoE8ElNS0_10empty_typeEbEEZZNS1_14partition_implILS5_8ELb0ES3_jPlPS6_PKS6_NS0_5tupleIJS9_S6_EEENSD_IJSA_SA_EEENS0_18inequality_wrapperIZN2at6native12_GLOBAL__N_124unique_dim_cuda_templateIjEESt5tupleIJNSH_6TensorESM_SM_EERKSM_lbbbEUlllE0_EEPmJS6_EEE10hipError_tPvRmT3_T4_T5_T6_T7_T9_mT8_P12ihipStream_tbDpT10_ENKUlT_T0_E_clISt17integral_constantIbLb1EES1C_EEDaS17_S18_EUlS17_E_NS1_11comp_targetILNS1_3genE4ELNS1_11target_archE910ELNS1_3gpuE8ELNS1_3repE0EEENS1_30default_config_static_selectorELNS0_4arch9wavefront6targetE1EEEvT1_: ; @_ZN7rocprim17ROCPRIM_400000_NS6detail17trampoline_kernelINS0_14default_configENS1_25partition_config_selectorILNS1_17partition_subalgoE8ElNS0_10empty_typeEbEEZZNS1_14partition_implILS5_8ELb0ES3_jPlPS6_PKS6_NS0_5tupleIJS9_S6_EEENSD_IJSA_SA_EEENS0_18inequality_wrapperIZN2at6native12_GLOBAL__N_124unique_dim_cuda_templateIjEESt5tupleIJNSH_6TensorESM_SM_EERKSM_lbbbEUlllE0_EEPmJS6_EEE10hipError_tPvRmT3_T4_T5_T6_T7_T9_mT8_P12ihipStream_tbDpT10_ENKUlT_T0_E_clISt17integral_constantIbLb1EES1C_EEDaS17_S18_EUlS17_E_NS1_11comp_targetILNS1_3genE4ELNS1_11target_archE910ELNS1_3gpuE8ELNS1_3repE0EEENS1_30default_config_static_selectorELNS0_4arch9wavefront6targetE1EEEvT1_
; %bb.0:
	.section	.rodata,"a",@progbits
	.p2align	6, 0x0
	.amdhsa_kernel _ZN7rocprim17ROCPRIM_400000_NS6detail17trampoline_kernelINS0_14default_configENS1_25partition_config_selectorILNS1_17partition_subalgoE8ElNS0_10empty_typeEbEEZZNS1_14partition_implILS5_8ELb0ES3_jPlPS6_PKS6_NS0_5tupleIJS9_S6_EEENSD_IJSA_SA_EEENS0_18inequality_wrapperIZN2at6native12_GLOBAL__N_124unique_dim_cuda_templateIjEESt5tupleIJNSH_6TensorESM_SM_EERKSM_lbbbEUlllE0_EEPmJS6_EEE10hipError_tPvRmT3_T4_T5_T6_T7_T9_mT8_P12ihipStream_tbDpT10_ENKUlT_T0_E_clISt17integral_constantIbLb1EES1C_EEDaS17_S18_EUlS17_E_NS1_11comp_targetILNS1_3genE4ELNS1_11target_archE910ELNS1_3gpuE8ELNS1_3repE0EEENS1_30default_config_static_selectorELNS0_4arch9wavefront6targetE1EEEvT1_
		.amdhsa_group_segment_fixed_size 0
		.amdhsa_private_segment_fixed_size 0
		.amdhsa_kernarg_size 136
		.amdhsa_user_sgpr_count 2
		.amdhsa_user_sgpr_dispatch_ptr 0
		.amdhsa_user_sgpr_queue_ptr 0
		.amdhsa_user_sgpr_kernarg_segment_ptr 1
		.amdhsa_user_sgpr_dispatch_id 0
		.amdhsa_user_sgpr_kernarg_preload_length 0
		.amdhsa_user_sgpr_kernarg_preload_offset 0
		.amdhsa_user_sgpr_private_segment_size 0
		.amdhsa_uses_dynamic_stack 0
		.amdhsa_enable_private_segment 0
		.amdhsa_system_sgpr_workgroup_id_x 1
		.amdhsa_system_sgpr_workgroup_id_y 0
		.amdhsa_system_sgpr_workgroup_id_z 0
		.amdhsa_system_sgpr_workgroup_info 0
		.amdhsa_system_vgpr_workitem_id 0
		.amdhsa_next_free_vgpr 1
		.amdhsa_next_free_sgpr 0
		.amdhsa_accum_offset 4
		.amdhsa_reserve_vcc 0
		.amdhsa_float_round_mode_32 0
		.amdhsa_float_round_mode_16_64 0
		.amdhsa_float_denorm_mode_32 3
		.amdhsa_float_denorm_mode_16_64 3
		.amdhsa_dx10_clamp 1
		.amdhsa_ieee_mode 1
		.amdhsa_fp16_overflow 0
		.amdhsa_tg_split 0
		.amdhsa_exception_fp_ieee_invalid_op 0
		.amdhsa_exception_fp_denorm_src 0
		.amdhsa_exception_fp_ieee_div_zero 0
		.amdhsa_exception_fp_ieee_overflow 0
		.amdhsa_exception_fp_ieee_underflow 0
		.amdhsa_exception_fp_ieee_inexact 0
		.amdhsa_exception_int_div_zero 0
	.end_amdhsa_kernel
	.section	.text._ZN7rocprim17ROCPRIM_400000_NS6detail17trampoline_kernelINS0_14default_configENS1_25partition_config_selectorILNS1_17partition_subalgoE8ElNS0_10empty_typeEbEEZZNS1_14partition_implILS5_8ELb0ES3_jPlPS6_PKS6_NS0_5tupleIJS9_S6_EEENSD_IJSA_SA_EEENS0_18inequality_wrapperIZN2at6native12_GLOBAL__N_124unique_dim_cuda_templateIjEESt5tupleIJNSH_6TensorESM_SM_EERKSM_lbbbEUlllE0_EEPmJS6_EEE10hipError_tPvRmT3_T4_T5_T6_T7_T9_mT8_P12ihipStream_tbDpT10_ENKUlT_T0_E_clISt17integral_constantIbLb1EES1C_EEDaS17_S18_EUlS17_E_NS1_11comp_targetILNS1_3genE4ELNS1_11target_archE910ELNS1_3gpuE8ELNS1_3repE0EEENS1_30default_config_static_selectorELNS0_4arch9wavefront6targetE1EEEvT1_,"axG",@progbits,_ZN7rocprim17ROCPRIM_400000_NS6detail17trampoline_kernelINS0_14default_configENS1_25partition_config_selectorILNS1_17partition_subalgoE8ElNS0_10empty_typeEbEEZZNS1_14partition_implILS5_8ELb0ES3_jPlPS6_PKS6_NS0_5tupleIJS9_S6_EEENSD_IJSA_SA_EEENS0_18inequality_wrapperIZN2at6native12_GLOBAL__N_124unique_dim_cuda_templateIjEESt5tupleIJNSH_6TensorESM_SM_EERKSM_lbbbEUlllE0_EEPmJS6_EEE10hipError_tPvRmT3_T4_T5_T6_T7_T9_mT8_P12ihipStream_tbDpT10_ENKUlT_T0_E_clISt17integral_constantIbLb1EES1C_EEDaS17_S18_EUlS17_E_NS1_11comp_targetILNS1_3genE4ELNS1_11target_archE910ELNS1_3gpuE8ELNS1_3repE0EEENS1_30default_config_static_selectorELNS0_4arch9wavefront6targetE1EEEvT1_,comdat
.Lfunc_end1551:
	.size	_ZN7rocprim17ROCPRIM_400000_NS6detail17trampoline_kernelINS0_14default_configENS1_25partition_config_selectorILNS1_17partition_subalgoE8ElNS0_10empty_typeEbEEZZNS1_14partition_implILS5_8ELb0ES3_jPlPS6_PKS6_NS0_5tupleIJS9_S6_EEENSD_IJSA_SA_EEENS0_18inequality_wrapperIZN2at6native12_GLOBAL__N_124unique_dim_cuda_templateIjEESt5tupleIJNSH_6TensorESM_SM_EERKSM_lbbbEUlllE0_EEPmJS6_EEE10hipError_tPvRmT3_T4_T5_T6_T7_T9_mT8_P12ihipStream_tbDpT10_ENKUlT_T0_E_clISt17integral_constantIbLb1EES1C_EEDaS17_S18_EUlS17_E_NS1_11comp_targetILNS1_3genE4ELNS1_11target_archE910ELNS1_3gpuE8ELNS1_3repE0EEENS1_30default_config_static_selectorELNS0_4arch9wavefront6targetE1EEEvT1_, .Lfunc_end1551-_ZN7rocprim17ROCPRIM_400000_NS6detail17trampoline_kernelINS0_14default_configENS1_25partition_config_selectorILNS1_17partition_subalgoE8ElNS0_10empty_typeEbEEZZNS1_14partition_implILS5_8ELb0ES3_jPlPS6_PKS6_NS0_5tupleIJS9_S6_EEENSD_IJSA_SA_EEENS0_18inequality_wrapperIZN2at6native12_GLOBAL__N_124unique_dim_cuda_templateIjEESt5tupleIJNSH_6TensorESM_SM_EERKSM_lbbbEUlllE0_EEPmJS6_EEE10hipError_tPvRmT3_T4_T5_T6_T7_T9_mT8_P12ihipStream_tbDpT10_ENKUlT_T0_E_clISt17integral_constantIbLb1EES1C_EEDaS17_S18_EUlS17_E_NS1_11comp_targetILNS1_3genE4ELNS1_11target_archE910ELNS1_3gpuE8ELNS1_3repE0EEENS1_30default_config_static_selectorELNS0_4arch9wavefront6targetE1EEEvT1_
                                        ; -- End function
	.set _ZN7rocprim17ROCPRIM_400000_NS6detail17trampoline_kernelINS0_14default_configENS1_25partition_config_selectorILNS1_17partition_subalgoE8ElNS0_10empty_typeEbEEZZNS1_14partition_implILS5_8ELb0ES3_jPlPS6_PKS6_NS0_5tupleIJS9_S6_EEENSD_IJSA_SA_EEENS0_18inequality_wrapperIZN2at6native12_GLOBAL__N_124unique_dim_cuda_templateIjEESt5tupleIJNSH_6TensorESM_SM_EERKSM_lbbbEUlllE0_EEPmJS6_EEE10hipError_tPvRmT3_T4_T5_T6_T7_T9_mT8_P12ihipStream_tbDpT10_ENKUlT_T0_E_clISt17integral_constantIbLb1EES1C_EEDaS17_S18_EUlS17_E_NS1_11comp_targetILNS1_3genE4ELNS1_11target_archE910ELNS1_3gpuE8ELNS1_3repE0EEENS1_30default_config_static_selectorELNS0_4arch9wavefront6targetE1EEEvT1_.num_vgpr, 0
	.set _ZN7rocprim17ROCPRIM_400000_NS6detail17trampoline_kernelINS0_14default_configENS1_25partition_config_selectorILNS1_17partition_subalgoE8ElNS0_10empty_typeEbEEZZNS1_14partition_implILS5_8ELb0ES3_jPlPS6_PKS6_NS0_5tupleIJS9_S6_EEENSD_IJSA_SA_EEENS0_18inequality_wrapperIZN2at6native12_GLOBAL__N_124unique_dim_cuda_templateIjEESt5tupleIJNSH_6TensorESM_SM_EERKSM_lbbbEUlllE0_EEPmJS6_EEE10hipError_tPvRmT3_T4_T5_T6_T7_T9_mT8_P12ihipStream_tbDpT10_ENKUlT_T0_E_clISt17integral_constantIbLb1EES1C_EEDaS17_S18_EUlS17_E_NS1_11comp_targetILNS1_3genE4ELNS1_11target_archE910ELNS1_3gpuE8ELNS1_3repE0EEENS1_30default_config_static_selectorELNS0_4arch9wavefront6targetE1EEEvT1_.num_agpr, 0
	.set _ZN7rocprim17ROCPRIM_400000_NS6detail17trampoline_kernelINS0_14default_configENS1_25partition_config_selectorILNS1_17partition_subalgoE8ElNS0_10empty_typeEbEEZZNS1_14partition_implILS5_8ELb0ES3_jPlPS6_PKS6_NS0_5tupleIJS9_S6_EEENSD_IJSA_SA_EEENS0_18inequality_wrapperIZN2at6native12_GLOBAL__N_124unique_dim_cuda_templateIjEESt5tupleIJNSH_6TensorESM_SM_EERKSM_lbbbEUlllE0_EEPmJS6_EEE10hipError_tPvRmT3_T4_T5_T6_T7_T9_mT8_P12ihipStream_tbDpT10_ENKUlT_T0_E_clISt17integral_constantIbLb1EES1C_EEDaS17_S18_EUlS17_E_NS1_11comp_targetILNS1_3genE4ELNS1_11target_archE910ELNS1_3gpuE8ELNS1_3repE0EEENS1_30default_config_static_selectorELNS0_4arch9wavefront6targetE1EEEvT1_.numbered_sgpr, 0
	.set _ZN7rocprim17ROCPRIM_400000_NS6detail17trampoline_kernelINS0_14default_configENS1_25partition_config_selectorILNS1_17partition_subalgoE8ElNS0_10empty_typeEbEEZZNS1_14partition_implILS5_8ELb0ES3_jPlPS6_PKS6_NS0_5tupleIJS9_S6_EEENSD_IJSA_SA_EEENS0_18inequality_wrapperIZN2at6native12_GLOBAL__N_124unique_dim_cuda_templateIjEESt5tupleIJNSH_6TensorESM_SM_EERKSM_lbbbEUlllE0_EEPmJS6_EEE10hipError_tPvRmT3_T4_T5_T6_T7_T9_mT8_P12ihipStream_tbDpT10_ENKUlT_T0_E_clISt17integral_constantIbLb1EES1C_EEDaS17_S18_EUlS17_E_NS1_11comp_targetILNS1_3genE4ELNS1_11target_archE910ELNS1_3gpuE8ELNS1_3repE0EEENS1_30default_config_static_selectorELNS0_4arch9wavefront6targetE1EEEvT1_.num_named_barrier, 0
	.set _ZN7rocprim17ROCPRIM_400000_NS6detail17trampoline_kernelINS0_14default_configENS1_25partition_config_selectorILNS1_17partition_subalgoE8ElNS0_10empty_typeEbEEZZNS1_14partition_implILS5_8ELb0ES3_jPlPS6_PKS6_NS0_5tupleIJS9_S6_EEENSD_IJSA_SA_EEENS0_18inequality_wrapperIZN2at6native12_GLOBAL__N_124unique_dim_cuda_templateIjEESt5tupleIJNSH_6TensorESM_SM_EERKSM_lbbbEUlllE0_EEPmJS6_EEE10hipError_tPvRmT3_T4_T5_T6_T7_T9_mT8_P12ihipStream_tbDpT10_ENKUlT_T0_E_clISt17integral_constantIbLb1EES1C_EEDaS17_S18_EUlS17_E_NS1_11comp_targetILNS1_3genE4ELNS1_11target_archE910ELNS1_3gpuE8ELNS1_3repE0EEENS1_30default_config_static_selectorELNS0_4arch9wavefront6targetE1EEEvT1_.private_seg_size, 0
	.set _ZN7rocprim17ROCPRIM_400000_NS6detail17trampoline_kernelINS0_14default_configENS1_25partition_config_selectorILNS1_17partition_subalgoE8ElNS0_10empty_typeEbEEZZNS1_14partition_implILS5_8ELb0ES3_jPlPS6_PKS6_NS0_5tupleIJS9_S6_EEENSD_IJSA_SA_EEENS0_18inequality_wrapperIZN2at6native12_GLOBAL__N_124unique_dim_cuda_templateIjEESt5tupleIJNSH_6TensorESM_SM_EERKSM_lbbbEUlllE0_EEPmJS6_EEE10hipError_tPvRmT3_T4_T5_T6_T7_T9_mT8_P12ihipStream_tbDpT10_ENKUlT_T0_E_clISt17integral_constantIbLb1EES1C_EEDaS17_S18_EUlS17_E_NS1_11comp_targetILNS1_3genE4ELNS1_11target_archE910ELNS1_3gpuE8ELNS1_3repE0EEENS1_30default_config_static_selectorELNS0_4arch9wavefront6targetE1EEEvT1_.uses_vcc, 0
	.set _ZN7rocprim17ROCPRIM_400000_NS6detail17trampoline_kernelINS0_14default_configENS1_25partition_config_selectorILNS1_17partition_subalgoE8ElNS0_10empty_typeEbEEZZNS1_14partition_implILS5_8ELb0ES3_jPlPS6_PKS6_NS0_5tupleIJS9_S6_EEENSD_IJSA_SA_EEENS0_18inequality_wrapperIZN2at6native12_GLOBAL__N_124unique_dim_cuda_templateIjEESt5tupleIJNSH_6TensorESM_SM_EERKSM_lbbbEUlllE0_EEPmJS6_EEE10hipError_tPvRmT3_T4_T5_T6_T7_T9_mT8_P12ihipStream_tbDpT10_ENKUlT_T0_E_clISt17integral_constantIbLb1EES1C_EEDaS17_S18_EUlS17_E_NS1_11comp_targetILNS1_3genE4ELNS1_11target_archE910ELNS1_3gpuE8ELNS1_3repE0EEENS1_30default_config_static_selectorELNS0_4arch9wavefront6targetE1EEEvT1_.uses_flat_scratch, 0
	.set _ZN7rocprim17ROCPRIM_400000_NS6detail17trampoline_kernelINS0_14default_configENS1_25partition_config_selectorILNS1_17partition_subalgoE8ElNS0_10empty_typeEbEEZZNS1_14partition_implILS5_8ELb0ES3_jPlPS6_PKS6_NS0_5tupleIJS9_S6_EEENSD_IJSA_SA_EEENS0_18inequality_wrapperIZN2at6native12_GLOBAL__N_124unique_dim_cuda_templateIjEESt5tupleIJNSH_6TensorESM_SM_EERKSM_lbbbEUlllE0_EEPmJS6_EEE10hipError_tPvRmT3_T4_T5_T6_T7_T9_mT8_P12ihipStream_tbDpT10_ENKUlT_T0_E_clISt17integral_constantIbLb1EES1C_EEDaS17_S18_EUlS17_E_NS1_11comp_targetILNS1_3genE4ELNS1_11target_archE910ELNS1_3gpuE8ELNS1_3repE0EEENS1_30default_config_static_selectorELNS0_4arch9wavefront6targetE1EEEvT1_.has_dyn_sized_stack, 0
	.set _ZN7rocprim17ROCPRIM_400000_NS6detail17trampoline_kernelINS0_14default_configENS1_25partition_config_selectorILNS1_17partition_subalgoE8ElNS0_10empty_typeEbEEZZNS1_14partition_implILS5_8ELb0ES3_jPlPS6_PKS6_NS0_5tupleIJS9_S6_EEENSD_IJSA_SA_EEENS0_18inequality_wrapperIZN2at6native12_GLOBAL__N_124unique_dim_cuda_templateIjEESt5tupleIJNSH_6TensorESM_SM_EERKSM_lbbbEUlllE0_EEPmJS6_EEE10hipError_tPvRmT3_T4_T5_T6_T7_T9_mT8_P12ihipStream_tbDpT10_ENKUlT_T0_E_clISt17integral_constantIbLb1EES1C_EEDaS17_S18_EUlS17_E_NS1_11comp_targetILNS1_3genE4ELNS1_11target_archE910ELNS1_3gpuE8ELNS1_3repE0EEENS1_30default_config_static_selectorELNS0_4arch9wavefront6targetE1EEEvT1_.has_recursion, 0
	.set _ZN7rocprim17ROCPRIM_400000_NS6detail17trampoline_kernelINS0_14default_configENS1_25partition_config_selectorILNS1_17partition_subalgoE8ElNS0_10empty_typeEbEEZZNS1_14partition_implILS5_8ELb0ES3_jPlPS6_PKS6_NS0_5tupleIJS9_S6_EEENSD_IJSA_SA_EEENS0_18inequality_wrapperIZN2at6native12_GLOBAL__N_124unique_dim_cuda_templateIjEESt5tupleIJNSH_6TensorESM_SM_EERKSM_lbbbEUlllE0_EEPmJS6_EEE10hipError_tPvRmT3_T4_T5_T6_T7_T9_mT8_P12ihipStream_tbDpT10_ENKUlT_T0_E_clISt17integral_constantIbLb1EES1C_EEDaS17_S18_EUlS17_E_NS1_11comp_targetILNS1_3genE4ELNS1_11target_archE910ELNS1_3gpuE8ELNS1_3repE0EEENS1_30default_config_static_selectorELNS0_4arch9wavefront6targetE1EEEvT1_.has_indirect_call, 0
	.section	.AMDGPU.csdata,"",@progbits
; Kernel info:
; codeLenInByte = 0
; TotalNumSgprs: 6
; NumVgprs: 0
; NumAgprs: 0
; TotalNumVgprs: 0
; ScratchSize: 0
; MemoryBound: 0
; FloatMode: 240
; IeeeMode: 1
; LDSByteSize: 0 bytes/workgroup (compile time only)
; SGPRBlocks: 0
; VGPRBlocks: 0
; NumSGPRsForWavesPerEU: 6
; NumVGPRsForWavesPerEU: 1
; AccumOffset: 4
; Occupancy: 8
; WaveLimiterHint : 0
; COMPUTE_PGM_RSRC2:SCRATCH_EN: 0
; COMPUTE_PGM_RSRC2:USER_SGPR: 2
; COMPUTE_PGM_RSRC2:TRAP_HANDLER: 0
; COMPUTE_PGM_RSRC2:TGID_X_EN: 1
; COMPUTE_PGM_RSRC2:TGID_Y_EN: 0
; COMPUTE_PGM_RSRC2:TGID_Z_EN: 0
; COMPUTE_PGM_RSRC2:TIDIG_COMP_CNT: 0
; COMPUTE_PGM_RSRC3_GFX90A:ACCUM_OFFSET: 0
; COMPUTE_PGM_RSRC3_GFX90A:TG_SPLIT: 0
	.section	.text._ZN7rocprim17ROCPRIM_400000_NS6detail17trampoline_kernelINS0_14default_configENS1_25partition_config_selectorILNS1_17partition_subalgoE8ElNS0_10empty_typeEbEEZZNS1_14partition_implILS5_8ELb0ES3_jPlPS6_PKS6_NS0_5tupleIJS9_S6_EEENSD_IJSA_SA_EEENS0_18inequality_wrapperIZN2at6native12_GLOBAL__N_124unique_dim_cuda_templateIjEESt5tupleIJNSH_6TensorESM_SM_EERKSM_lbbbEUlllE0_EEPmJS6_EEE10hipError_tPvRmT3_T4_T5_T6_T7_T9_mT8_P12ihipStream_tbDpT10_ENKUlT_T0_E_clISt17integral_constantIbLb1EES1C_EEDaS17_S18_EUlS17_E_NS1_11comp_targetILNS1_3genE3ELNS1_11target_archE908ELNS1_3gpuE7ELNS1_3repE0EEENS1_30default_config_static_selectorELNS0_4arch9wavefront6targetE1EEEvT1_,"axG",@progbits,_ZN7rocprim17ROCPRIM_400000_NS6detail17trampoline_kernelINS0_14default_configENS1_25partition_config_selectorILNS1_17partition_subalgoE8ElNS0_10empty_typeEbEEZZNS1_14partition_implILS5_8ELb0ES3_jPlPS6_PKS6_NS0_5tupleIJS9_S6_EEENSD_IJSA_SA_EEENS0_18inequality_wrapperIZN2at6native12_GLOBAL__N_124unique_dim_cuda_templateIjEESt5tupleIJNSH_6TensorESM_SM_EERKSM_lbbbEUlllE0_EEPmJS6_EEE10hipError_tPvRmT3_T4_T5_T6_T7_T9_mT8_P12ihipStream_tbDpT10_ENKUlT_T0_E_clISt17integral_constantIbLb1EES1C_EEDaS17_S18_EUlS17_E_NS1_11comp_targetILNS1_3genE3ELNS1_11target_archE908ELNS1_3gpuE7ELNS1_3repE0EEENS1_30default_config_static_selectorELNS0_4arch9wavefront6targetE1EEEvT1_,comdat
	.globl	_ZN7rocprim17ROCPRIM_400000_NS6detail17trampoline_kernelINS0_14default_configENS1_25partition_config_selectorILNS1_17partition_subalgoE8ElNS0_10empty_typeEbEEZZNS1_14partition_implILS5_8ELb0ES3_jPlPS6_PKS6_NS0_5tupleIJS9_S6_EEENSD_IJSA_SA_EEENS0_18inequality_wrapperIZN2at6native12_GLOBAL__N_124unique_dim_cuda_templateIjEESt5tupleIJNSH_6TensorESM_SM_EERKSM_lbbbEUlllE0_EEPmJS6_EEE10hipError_tPvRmT3_T4_T5_T6_T7_T9_mT8_P12ihipStream_tbDpT10_ENKUlT_T0_E_clISt17integral_constantIbLb1EES1C_EEDaS17_S18_EUlS17_E_NS1_11comp_targetILNS1_3genE3ELNS1_11target_archE908ELNS1_3gpuE7ELNS1_3repE0EEENS1_30default_config_static_selectorELNS0_4arch9wavefront6targetE1EEEvT1_ ; -- Begin function _ZN7rocprim17ROCPRIM_400000_NS6detail17trampoline_kernelINS0_14default_configENS1_25partition_config_selectorILNS1_17partition_subalgoE8ElNS0_10empty_typeEbEEZZNS1_14partition_implILS5_8ELb0ES3_jPlPS6_PKS6_NS0_5tupleIJS9_S6_EEENSD_IJSA_SA_EEENS0_18inequality_wrapperIZN2at6native12_GLOBAL__N_124unique_dim_cuda_templateIjEESt5tupleIJNSH_6TensorESM_SM_EERKSM_lbbbEUlllE0_EEPmJS6_EEE10hipError_tPvRmT3_T4_T5_T6_T7_T9_mT8_P12ihipStream_tbDpT10_ENKUlT_T0_E_clISt17integral_constantIbLb1EES1C_EEDaS17_S18_EUlS17_E_NS1_11comp_targetILNS1_3genE3ELNS1_11target_archE908ELNS1_3gpuE7ELNS1_3repE0EEENS1_30default_config_static_selectorELNS0_4arch9wavefront6targetE1EEEvT1_
	.p2align	8
	.type	_ZN7rocprim17ROCPRIM_400000_NS6detail17trampoline_kernelINS0_14default_configENS1_25partition_config_selectorILNS1_17partition_subalgoE8ElNS0_10empty_typeEbEEZZNS1_14partition_implILS5_8ELb0ES3_jPlPS6_PKS6_NS0_5tupleIJS9_S6_EEENSD_IJSA_SA_EEENS0_18inequality_wrapperIZN2at6native12_GLOBAL__N_124unique_dim_cuda_templateIjEESt5tupleIJNSH_6TensorESM_SM_EERKSM_lbbbEUlllE0_EEPmJS6_EEE10hipError_tPvRmT3_T4_T5_T6_T7_T9_mT8_P12ihipStream_tbDpT10_ENKUlT_T0_E_clISt17integral_constantIbLb1EES1C_EEDaS17_S18_EUlS17_E_NS1_11comp_targetILNS1_3genE3ELNS1_11target_archE908ELNS1_3gpuE7ELNS1_3repE0EEENS1_30default_config_static_selectorELNS0_4arch9wavefront6targetE1EEEvT1_,@function
_ZN7rocprim17ROCPRIM_400000_NS6detail17trampoline_kernelINS0_14default_configENS1_25partition_config_selectorILNS1_17partition_subalgoE8ElNS0_10empty_typeEbEEZZNS1_14partition_implILS5_8ELb0ES3_jPlPS6_PKS6_NS0_5tupleIJS9_S6_EEENSD_IJSA_SA_EEENS0_18inequality_wrapperIZN2at6native12_GLOBAL__N_124unique_dim_cuda_templateIjEESt5tupleIJNSH_6TensorESM_SM_EERKSM_lbbbEUlllE0_EEPmJS6_EEE10hipError_tPvRmT3_T4_T5_T6_T7_T9_mT8_P12ihipStream_tbDpT10_ENKUlT_T0_E_clISt17integral_constantIbLb1EES1C_EEDaS17_S18_EUlS17_E_NS1_11comp_targetILNS1_3genE3ELNS1_11target_archE908ELNS1_3gpuE7ELNS1_3repE0EEENS1_30default_config_static_selectorELNS0_4arch9wavefront6targetE1EEEvT1_: ; @_ZN7rocprim17ROCPRIM_400000_NS6detail17trampoline_kernelINS0_14default_configENS1_25partition_config_selectorILNS1_17partition_subalgoE8ElNS0_10empty_typeEbEEZZNS1_14partition_implILS5_8ELb0ES3_jPlPS6_PKS6_NS0_5tupleIJS9_S6_EEENSD_IJSA_SA_EEENS0_18inequality_wrapperIZN2at6native12_GLOBAL__N_124unique_dim_cuda_templateIjEESt5tupleIJNSH_6TensorESM_SM_EERKSM_lbbbEUlllE0_EEPmJS6_EEE10hipError_tPvRmT3_T4_T5_T6_T7_T9_mT8_P12ihipStream_tbDpT10_ENKUlT_T0_E_clISt17integral_constantIbLb1EES1C_EEDaS17_S18_EUlS17_E_NS1_11comp_targetILNS1_3genE3ELNS1_11target_archE908ELNS1_3gpuE7ELNS1_3repE0EEENS1_30default_config_static_selectorELNS0_4arch9wavefront6targetE1EEEvT1_
; %bb.0:
	.section	.rodata,"a",@progbits
	.p2align	6, 0x0
	.amdhsa_kernel _ZN7rocprim17ROCPRIM_400000_NS6detail17trampoline_kernelINS0_14default_configENS1_25partition_config_selectorILNS1_17partition_subalgoE8ElNS0_10empty_typeEbEEZZNS1_14partition_implILS5_8ELb0ES3_jPlPS6_PKS6_NS0_5tupleIJS9_S6_EEENSD_IJSA_SA_EEENS0_18inequality_wrapperIZN2at6native12_GLOBAL__N_124unique_dim_cuda_templateIjEESt5tupleIJNSH_6TensorESM_SM_EERKSM_lbbbEUlllE0_EEPmJS6_EEE10hipError_tPvRmT3_T4_T5_T6_T7_T9_mT8_P12ihipStream_tbDpT10_ENKUlT_T0_E_clISt17integral_constantIbLb1EES1C_EEDaS17_S18_EUlS17_E_NS1_11comp_targetILNS1_3genE3ELNS1_11target_archE908ELNS1_3gpuE7ELNS1_3repE0EEENS1_30default_config_static_selectorELNS0_4arch9wavefront6targetE1EEEvT1_
		.amdhsa_group_segment_fixed_size 0
		.amdhsa_private_segment_fixed_size 0
		.amdhsa_kernarg_size 136
		.amdhsa_user_sgpr_count 2
		.amdhsa_user_sgpr_dispatch_ptr 0
		.amdhsa_user_sgpr_queue_ptr 0
		.amdhsa_user_sgpr_kernarg_segment_ptr 1
		.amdhsa_user_sgpr_dispatch_id 0
		.amdhsa_user_sgpr_kernarg_preload_length 0
		.amdhsa_user_sgpr_kernarg_preload_offset 0
		.amdhsa_user_sgpr_private_segment_size 0
		.amdhsa_uses_dynamic_stack 0
		.amdhsa_enable_private_segment 0
		.amdhsa_system_sgpr_workgroup_id_x 1
		.amdhsa_system_sgpr_workgroup_id_y 0
		.amdhsa_system_sgpr_workgroup_id_z 0
		.amdhsa_system_sgpr_workgroup_info 0
		.amdhsa_system_vgpr_workitem_id 0
		.amdhsa_next_free_vgpr 1
		.amdhsa_next_free_sgpr 0
		.amdhsa_accum_offset 4
		.amdhsa_reserve_vcc 0
		.amdhsa_float_round_mode_32 0
		.amdhsa_float_round_mode_16_64 0
		.amdhsa_float_denorm_mode_32 3
		.amdhsa_float_denorm_mode_16_64 3
		.amdhsa_dx10_clamp 1
		.amdhsa_ieee_mode 1
		.amdhsa_fp16_overflow 0
		.amdhsa_tg_split 0
		.amdhsa_exception_fp_ieee_invalid_op 0
		.amdhsa_exception_fp_denorm_src 0
		.amdhsa_exception_fp_ieee_div_zero 0
		.amdhsa_exception_fp_ieee_overflow 0
		.amdhsa_exception_fp_ieee_underflow 0
		.amdhsa_exception_fp_ieee_inexact 0
		.amdhsa_exception_int_div_zero 0
	.end_amdhsa_kernel
	.section	.text._ZN7rocprim17ROCPRIM_400000_NS6detail17trampoline_kernelINS0_14default_configENS1_25partition_config_selectorILNS1_17partition_subalgoE8ElNS0_10empty_typeEbEEZZNS1_14partition_implILS5_8ELb0ES3_jPlPS6_PKS6_NS0_5tupleIJS9_S6_EEENSD_IJSA_SA_EEENS0_18inequality_wrapperIZN2at6native12_GLOBAL__N_124unique_dim_cuda_templateIjEESt5tupleIJNSH_6TensorESM_SM_EERKSM_lbbbEUlllE0_EEPmJS6_EEE10hipError_tPvRmT3_T4_T5_T6_T7_T9_mT8_P12ihipStream_tbDpT10_ENKUlT_T0_E_clISt17integral_constantIbLb1EES1C_EEDaS17_S18_EUlS17_E_NS1_11comp_targetILNS1_3genE3ELNS1_11target_archE908ELNS1_3gpuE7ELNS1_3repE0EEENS1_30default_config_static_selectorELNS0_4arch9wavefront6targetE1EEEvT1_,"axG",@progbits,_ZN7rocprim17ROCPRIM_400000_NS6detail17trampoline_kernelINS0_14default_configENS1_25partition_config_selectorILNS1_17partition_subalgoE8ElNS0_10empty_typeEbEEZZNS1_14partition_implILS5_8ELb0ES3_jPlPS6_PKS6_NS0_5tupleIJS9_S6_EEENSD_IJSA_SA_EEENS0_18inequality_wrapperIZN2at6native12_GLOBAL__N_124unique_dim_cuda_templateIjEESt5tupleIJNSH_6TensorESM_SM_EERKSM_lbbbEUlllE0_EEPmJS6_EEE10hipError_tPvRmT3_T4_T5_T6_T7_T9_mT8_P12ihipStream_tbDpT10_ENKUlT_T0_E_clISt17integral_constantIbLb1EES1C_EEDaS17_S18_EUlS17_E_NS1_11comp_targetILNS1_3genE3ELNS1_11target_archE908ELNS1_3gpuE7ELNS1_3repE0EEENS1_30default_config_static_selectorELNS0_4arch9wavefront6targetE1EEEvT1_,comdat
.Lfunc_end1552:
	.size	_ZN7rocprim17ROCPRIM_400000_NS6detail17trampoline_kernelINS0_14default_configENS1_25partition_config_selectorILNS1_17partition_subalgoE8ElNS0_10empty_typeEbEEZZNS1_14partition_implILS5_8ELb0ES3_jPlPS6_PKS6_NS0_5tupleIJS9_S6_EEENSD_IJSA_SA_EEENS0_18inequality_wrapperIZN2at6native12_GLOBAL__N_124unique_dim_cuda_templateIjEESt5tupleIJNSH_6TensorESM_SM_EERKSM_lbbbEUlllE0_EEPmJS6_EEE10hipError_tPvRmT3_T4_T5_T6_T7_T9_mT8_P12ihipStream_tbDpT10_ENKUlT_T0_E_clISt17integral_constantIbLb1EES1C_EEDaS17_S18_EUlS17_E_NS1_11comp_targetILNS1_3genE3ELNS1_11target_archE908ELNS1_3gpuE7ELNS1_3repE0EEENS1_30default_config_static_selectorELNS0_4arch9wavefront6targetE1EEEvT1_, .Lfunc_end1552-_ZN7rocprim17ROCPRIM_400000_NS6detail17trampoline_kernelINS0_14default_configENS1_25partition_config_selectorILNS1_17partition_subalgoE8ElNS0_10empty_typeEbEEZZNS1_14partition_implILS5_8ELb0ES3_jPlPS6_PKS6_NS0_5tupleIJS9_S6_EEENSD_IJSA_SA_EEENS0_18inequality_wrapperIZN2at6native12_GLOBAL__N_124unique_dim_cuda_templateIjEESt5tupleIJNSH_6TensorESM_SM_EERKSM_lbbbEUlllE0_EEPmJS6_EEE10hipError_tPvRmT3_T4_T5_T6_T7_T9_mT8_P12ihipStream_tbDpT10_ENKUlT_T0_E_clISt17integral_constantIbLb1EES1C_EEDaS17_S18_EUlS17_E_NS1_11comp_targetILNS1_3genE3ELNS1_11target_archE908ELNS1_3gpuE7ELNS1_3repE0EEENS1_30default_config_static_selectorELNS0_4arch9wavefront6targetE1EEEvT1_
                                        ; -- End function
	.set _ZN7rocprim17ROCPRIM_400000_NS6detail17trampoline_kernelINS0_14default_configENS1_25partition_config_selectorILNS1_17partition_subalgoE8ElNS0_10empty_typeEbEEZZNS1_14partition_implILS5_8ELb0ES3_jPlPS6_PKS6_NS0_5tupleIJS9_S6_EEENSD_IJSA_SA_EEENS0_18inequality_wrapperIZN2at6native12_GLOBAL__N_124unique_dim_cuda_templateIjEESt5tupleIJNSH_6TensorESM_SM_EERKSM_lbbbEUlllE0_EEPmJS6_EEE10hipError_tPvRmT3_T4_T5_T6_T7_T9_mT8_P12ihipStream_tbDpT10_ENKUlT_T0_E_clISt17integral_constantIbLb1EES1C_EEDaS17_S18_EUlS17_E_NS1_11comp_targetILNS1_3genE3ELNS1_11target_archE908ELNS1_3gpuE7ELNS1_3repE0EEENS1_30default_config_static_selectorELNS0_4arch9wavefront6targetE1EEEvT1_.num_vgpr, 0
	.set _ZN7rocprim17ROCPRIM_400000_NS6detail17trampoline_kernelINS0_14default_configENS1_25partition_config_selectorILNS1_17partition_subalgoE8ElNS0_10empty_typeEbEEZZNS1_14partition_implILS5_8ELb0ES3_jPlPS6_PKS6_NS0_5tupleIJS9_S6_EEENSD_IJSA_SA_EEENS0_18inequality_wrapperIZN2at6native12_GLOBAL__N_124unique_dim_cuda_templateIjEESt5tupleIJNSH_6TensorESM_SM_EERKSM_lbbbEUlllE0_EEPmJS6_EEE10hipError_tPvRmT3_T4_T5_T6_T7_T9_mT8_P12ihipStream_tbDpT10_ENKUlT_T0_E_clISt17integral_constantIbLb1EES1C_EEDaS17_S18_EUlS17_E_NS1_11comp_targetILNS1_3genE3ELNS1_11target_archE908ELNS1_3gpuE7ELNS1_3repE0EEENS1_30default_config_static_selectorELNS0_4arch9wavefront6targetE1EEEvT1_.num_agpr, 0
	.set _ZN7rocprim17ROCPRIM_400000_NS6detail17trampoline_kernelINS0_14default_configENS1_25partition_config_selectorILNS1_17partition_subalgoE8ElNS0_10empty_typeEbEEZZNS1_14partition_implILS5_8ELb0ES3_jPlPS6_PKS6_NS0_5tupleIJS9_S6_EEENSD_IJSA_SA_EEENS0_18inequality_wrapperIZN2at6native12_GLOBAL__N_124unique_dim_cuda_templateIjEESt5tupleIJNSH_6TensorESM_SM_EERKSM_lbbbEUlllE0_EEPmJS6_EEE10hipError_tPvRmT3_T4_T5_T6_T7_T9_mT8_P12ihipStream_tbDpT10_ENKUlT_T0_E_clISt17integral_constantIbLb1EES1C_EEDaS17_S18_EUlS17_E_NS1_11comp_targetILNS1_3genE3ELNS1_11target_archE908ELNS1_3gpuE7ELNS1_3repE0EEENS1_30default_config_static_selectorELNS0_4arch9wavefront6targetE1EEEvT1_.numbered_sgpr, 0
	.set _ZN7rocprim17ROCPRIM_400000_NS6detail17trampoline_kernelINS0_14default_configENS1_25partition_config_selectorILNS1_17partition_subalgoE8ElNS0_10empty_typeEbEEZZNS1_14partition_implILS5_8ELb0ES3_jPlPS6_PKS6_NS0_5tupleIJS9_S6_EEENSD_IJSA_SA_EEENS0_18inequality_wrapperIZN2at6native12_GLOBAL__N_124unique_dim_cuda_templateIjEESt5tupleIJNSH_6TensorESM_SM_EERKSM_lbbbEUlllE0_EEPmJS6_EEE10hipError_tPvRmT3_T4_T5_T6_T7_T9_mT8_P12ihipStream_tbDpT10_ENKUlT_T0_E_clISt17integral_constantIbLb1EES1C_EEDaS17_S18_EUlS17_E_NS1_11comp_targetILNS1_3genE3ELNS1_11target_archE908ELNS1_3gpuE7ELNS1_3repE0EEENS1_30default_config_static_selectorELNS0_4arch9wavefront6targetE1EEEvT1_.num_named_barrier, 0
	.set _ZN7rocprim17ROCPRIM_400000_NS6detail17trampoline_kernelINS0_14default_configENS1_25partition_config_selectorILNS1_17partition_subalgoE8ElNS0_10empty_typeEbEEZZNS1_14partition_implILS5_8ELb0ES3_jPlPS6_PKS6_NS0_5tupleIJS9_S6_EEENSD_IJSA_SA_EEENS0_18inequality_wrapperIZN2at6native12_GLOBAL__N_124unique_dim_cuda_templateIjEESt5tupleIJNSH_6TensorESM_SM_EERKSM_lbbbEUlllE0_EEPmJS6_EEE10hipError_tPvRmT3_T4_T5_T6_T7_T9_mT8_P12ihipStream_tbDpT10_ENKUlT_T0_E_clISt17integral_constantIbLb1EES1C_EEDaS17_S18_EUlS17_E_NS1_11comp_targetILNS1_3genE3ELNS1_11target_archE908ELNS1_3gpuE7ELNS1_3repE0EEENS1_30default_config_static_selectorELNS0_4arch9wavefront6targetE1EEEvT1_.private_seg_size, 0
	.set _ZN7rocprim17ROCPRIM_400000_NS6detail17trampoline_kernelINS0_14default_configENS1_25partition_config_selectorILNS1_17partition_subalgoE8ElNS0_10empty_typeEbEEZZNS1_14partition_implILS5_8ELb0ES3_jPlPS6_PKS6_NS0_5tupleIJS9_S6_EEENSD_IJSA_SA_EEENS0_18inequality_wrapperIZN2at6native12_GLOBAL__N_124unique_dim_cuda_templateIjEESt5tupleIJNSH_6TensorESM_SM_EERKSM_lbbbEUlllE0_EEPmJS6_EEE10hipError_tPvRmT3_T4_T5_T6_T7_T9_mT8_P12ihipStream_tbDpT10_ENKUlT_T0_E_clISt17integral_constantIbLb1EES1C_EEDaS17_S18_EUlS17_E_NS1_11comp_targetILNS1_3genE3ELNS1_11target_archE908ELNS1_3gpuE7ELNS1_3repE0EEENS1_30default_config_static_selectorELNS0_4arch9wavefront6targetE1EEEvT1_.uses_vcc, 0
	.set _ZN7rocprim17ROCPRIM_400000_NS6detail17trampoline_kernelINS0_14default_configENS1_25partition_config_selectorILNS1_17partition_subalgoE8ElNS0_10empty_typeEbEEZZNS1_14partition_implILS5_8ELb0ES3_jPlPS6_PKS6_NS0_5tupleIJS9_S6_EEENSD_IJSA_SA_EEENS0_18inequality_wrapperIZN2at6native12_GLOBAL__N_124unique_dim_cuda_templateIjEESt5tupleIJNSH_6TensorESM_SM_EERKSM_lbbbEUlllE0_EEPmJS6_EEE10hipError_tPvRmT3_T4_T5_T6_T7_T9_mT8_P12ihipStream_tbDpT10_ENKUlT_T0_E_clISt17integral_constantIbLb1EES1C_EEDaS17_S18_EUlS17_E_NS1_11comp_targetILNS1_3genE3ELNS1_11target_archE908ELNS1_3gpuE7ELNS1_3repE0EEENS1_30default_config_static_selectorELNS0_4arch9wavefront6targetE1EEEvT1_.uses_flat_scratch, 0
	.set _ZN7rocprim17ROCPRIM_400000_NS6detail17trampoline_kernelINS0_14default_configENS1_25partition_config_selectorILNS1_17partition_subalgoE8ElNS0_10empty_typeEbEEZZNS1_14partition_implILS5_8ELb0ES3_jPlPS6_PKS6_NS0_5tupleIJS9_S6_EEENSD_IJSA_SA_EEENS0_18inequality_wrapperIZN2at6native12_GLOBAL__N_124unique_dim_cuda_templateIjEESt5tupleIJNSH_6TensorESM_SM_EERKSM_lbbbEUlllE0_EEPmJS6_EEE10hipError_tPvRmT3_T4_T5_T6_T7_T9_mT8_P12ihipStream_tbDpT10_ENKUlT_T0_E_clISt17integral_constantIbLb1EES1C_EEDaS17_S18_EUlS17_E_NS1_11comp_targetILNS1_3genE3ELNS1_11target_archE908ELNS1_3gpuE7ELNS1_3repE0EEENS1_30default_config_static_selectorELNS0_4arch9wavefront6targetE1EEEvT1_.has_dyn_sized_stack, 0
	.set _ZN7rocprim17ROCPRIM_400000_NS6detail17trampoline_kernelINS0_14default_configENS1_25partition_config_selectorILNS1_17partition_subalgoE8ElNS0_10empty_typeEbEEZZNS1_14partition_implILS5_8ELb0ES3_jPlPS6_PKS6_NS0_5tupleIJS9_S6_EEENSD_IJSA_SA_EEENS0_18inequality_wrapperIZN2at6native12_GLOBAL__N_124unique_dim_cuda_templateIjEESt5tupleIJNSH_6TensorESM_SM_EERKSM_lbbbEUlllE0_EEPmJS6_EEE10hipError_tPvRmT3_T4_T5_T6_T7_T9_mT8_P12ihipStream_tbDpT10_ENKUlT_T0_E_clISt17integral_constantIbLb1EES1C_EEDaS17_S18_EUlS17_E_NS1_11comp_targetILNS1_3genE3ELNS1_11target_archE908ELNS1_3gpuE7ELNS1_3repE0EEENS1_30default_config_static_selectorELNS0_4arch9wavefront6targetE1EEEvT1_.has_recursion, 0
	.set _ZN7rocprim17ROCPRIM_400000_NS6detail17trampoline_kernelINS0_14default_configENS1_25partition_config_selectorILNS1_17partition_subalgoE8ElNS0_10empty_typeEbEEZZNS1_14partition_implILS5_8ELb0ES3_jPlPS6_PKS6_NS0_5tupleIJS9_S6_EEENSD_IJSA_SA_EEENS0_18inequality_wrapperIZN2at6native12_GLOBAL__N_124unique_dim_cuda_templateIjEESt5tupleIJNSH_6TensorESM_SM_EERKSM_lbbbEUlllE0_EEPmJS6_EEE10hipError_tPvRmT3_T4_T5_T6_T7_T9_mT8_P12ihipStream_tbDpT10_ENKUlT_T0_E_clISt17integral_constantIbLb1EES1C_EEDaS17_S18_EUlS17_E_NS1_11comp_targetILNS1_3genE3ELNS1_11target_archE908ELNS1_3gpuE7ELNS1_3repE0EEENS1_30default_config_static_selectorELNS0_4arch9wavefront6targetE1EEEvT1_.has_indirect_call, 0
	.section	.AMDGPU.csdata,"",@progbits
; Kernel info:
; codeLenInByte = 0
; TotalNumSgprs: 6
; NumVgprs: 0
; NumAgprs: 0
; TotalNumVgprs: 0
; ScratchSize: 0
; MemoryBound: 0
; FloatMode: 240
; IeeeMode: 1
; LDSByteSize: 0 bytes/workgroup (compile time only)
; SGPRBlocks: 0
; VGPRBlocks: 0
; NumSGPRsForWavesPerEU: 6
; NumVGPRsForWavesPerEU: 1
; AccumOffset: 4
; Occupancy: 8
; WaveLimiterHint : 0
; COMPUTE_PGM_RSRC2:SCRATCH_EN: 0
; COMPUTE_PGM_RSRC2:USER_SGPR: 2
; COMPUTE_PGM_RSRC2:TRAP_HANDLER: 0
; COMPUTE_PGM_RSRC2:TGID_X_EN: 1
; COMPUTE_PGM_RSRC2:TGID_Y_EN: 0
; COMPUTE_PGM_RSRC2:TGID_Z_EN: 0
; COMPUTE_PGM_RSRC2:TIDIG_COMP_CNT: 0
; COMPUTE_PGM_RSRC3_GFX90A:ACCUM_OFFSET: 0
; COMPUTE_PGM_RSRC3_GFX90A:TG_SPLIT: 0
	.section	.text._ZN7rocprim17ROCPRIM_400000_NS6detail17trampoline_kernelINS0_14default_configENS1_25partition_config_selectorILNS1_17partition_subalgoE8ElNS0_10empty_typeEbEEZZNS1_14partition_implILS5_8ELb0ES3_jPlPS6_PKS6_NS0_5tupleIJS9_S6_EEENSD_IJSA_SA_EEENS0_18inequality_wrapperIZN2at6native12_GLOBAL__N_124unique_dim_cuda_templateIjEESt5tupleIJNSH_6TensorESM_SM_EERKSM_lbbbEUlllE0_EEPmJS6_EEE10hipError_tPvRmT3_T4_T5_T6_T7_T9_mT8_P12ihipStream_tbDpT10_ENKUlT_T0_E_clISt17integral_constantIbLb1EES1C_EEDaS17_S18_EUlS17_E_NS1_11comp_targetILNS1_3genE2ELNS1_11target_archE906ELNS1_3gpuE6ELNS1_3repE0EEENS1_30default_config_static_selectorELNS0_4arch9wavefront6targetE1EEEvT1_,"axG",@progbits,_ZN7rocprim17ROCPRIM_400000_NS6detail17trampoline_kernelINS0_14default_configENS1_25partition_config_selectorILNS1_17partition_subalgoE8ElNS0_10empty_typeEbEEZZNS1_14partition_implILS5_8ELb0ES3_jPlPS6_PKS6_NS0_5tupleIJS9_S6_EEENSD_IJSA_SA_EEENS0_18inequality_wrapperIZN2at6native12_GLOBAL__N_124unique_dim_cuda_templateIjEESt5tupleIJNSH_6TensorESM_SM_EERKSM_lbbbEUlllE0_EEPmJS6_EEE10hipError_tPvRmT3_T4_T5_T6_T7_T9_mT8_P12ihipStream_tbDpT10_ENKUlT_T0_E_clISt17integral_constantIbLb1EES1C_EEDaS17_S18_EUlS17_E_NS1_11comp_targetILNS1_3genE2ELNS1_11target_archE906ELNS1_3gpuE6ELNS1_3repE0EEENS1_30default_config_static_selectorELNS0_4arch9wavefront6targetE1EEEvT1_,comdat
	.globl	_ZN7rocprim17ROCPRIM_400000_NS6detail17trampoline_kernelINS0_14default_configENS1_25partition_config_selectorILNS1_17partition_subalgoE8ElNS0_10empty_typeEbEEZZNS1_14partition_implILS5_8ELb0ES3_jPlPS6_PKS6_NS0_5tupleIJS9_S6_EEENSD_IJSA_SA_EEENS0_18inequality_wrapperIZN2at6native12_GLOBAL__N_124unique_dim_cuda_templateIjEESt5tupleIJNSH_6TensorESM_SM_EERKSM_lbbbEUlllE0_EEPmJS6_EEE10hipError_tPvRmT3_T4_T5_T6_T7_T9_mT8_P12ihipStream_tbDpT10_ENKUlT_T0_E_clISt17integral_constantIbLb1EES1C_EEDaS17_S18_EUlS17_E_NS1_11comp_targetILNS1_3genE2ELNS1_11target_archE906ELNS1_3gpuE6ELNS1_3repE0EEENS1_30default_config_static_selectorELNS0_4arch9wavefront6targetE1EEEvT1_ ; -- Begin function _ZN7rocprim17ROCPRIM_400000_NS6detail17trampoline_kernelINS0_14default_configENS1_25partition_config_selectorILNS1_17partition_subalgoE8ElNS0_10empty_typeEbEEZZNS1_14partition_implILS5_8ELb0ES3_jPlPS6_PKS6_NS0_5tupleIJS9_S6_EEENSD_IJSA_SA_EEENS0_18inequality_wrapperIZN2at6native12_GLOBAL__N_124unique_dim_cuda_templateIjEESt5tupleIJNSH_6TensorESM_SM_EERKSM_lbbbEUlllE0_EEPmJS6_EEE10hipError_tPvRmT3_T4_T5_T6_T7_T9_mT8_P12ihipStream_tbDpT10_ENKUlT_T0_E_clISt17integral_constantIbLb1EES1C_EEDaS17_S18_EUlS17_E_NS1_11comp_targetILNS1_3genE2ELNS1_11target_archE906ELNS1_3gpuE6ELNS1_3repE0EEENS1_30default_config_static_selectorELNS0_4arch9wavefront6targetE1EEEvT1_
	.p2align	8
	.type	_ZN7rocprim17ROCPRIM_400000_NS6detail17trampoline_kernelINS0_14default_configENS1_25partition_config_selectorILNS1_17partition_subalgoE8ElNS0_10empty_typeEbEEZZNS1_14partition_implILS5_8ELb0ES3_jPlPS6_PKS6_NS0_5tupleIJS9_S6_EEENSD_IJSA_SA_EEENS0_18inequality_wrapperIZN2at6native12_GLOBAL__N_124unique_dim_cuda_templateIjEESt5tupleIJNSH_6TensorESM_SM_EERKSM_lbbbEUlllE0_EEPmJS6_EEE10hipError_tPvRmT3_T4_T5_T6_T7_T9_mT8_P12ihipStream_tbDpT10_ENKUlT_T0_E_clISt17integral_constantIbLb1EES1C_EEDaS17_S18_EUlS17_E_NS1_11comp_targetILNS1_3genE2ELNS1_11target_archE906ELNS1_3gpuE6ELNS1_3repE0EEENS1_30default_config_static_selectorELNS0_4arch9wavefront6targetE1EEEvT1_,@function
_ZN7rocprim17ROCPRIM_400000_NS6detail17trampoline_kernelINS0_14default_configENS1_25partition_config_selectorILNS1_17partition_subalgoE8ElNS0_10empty_typeEbEEZZNS1_14partition_implILS5_8ELb0ES3_jPlPS6_PKS6_NS0_5tupleIJS9_S6_EEENSD_IJSA_SA_EEENS0_18inequality_wrapperIZN2at6native12_GLOBAL__N_124unique_dim_cuda_templateIjEESt5tupleIJNSH_6TensorESM_SM_EERKSM_lbbbEUlllE0_EEPmJS6_EEE10hipError_tPvRmT3_T4_T5_T6_T7_T9_mT8_P12ihipStream_tbDpT10_ENKUlT_T0_E_clISt17integral_constantIbLb1EES1C_EEDaS17_S18_EUlS17_E_NS1_11comp_targetILNS1_3genE2ELNS1_11target_archE906ELNS1_3gpuE6ELNS1_3repE0EEENS1_30default_config_static_selectorELNS0_4arch9wavefront6targetE1EEEvT1_: ; @_ZN7rocprim17ROCPRIM_400000_NS6detail17trampoline_kernelINS0_14default_configENS1_25partition_config_selectorILNS1_17partition_subalgoE8ElNS0_10empty_typeEbEEZZNS1_14partition_implILS5_8ELb0ES3_jPlPS6_PKS6_NS0_5tupleIJS9_S6_EEENSD_IJSA_SA_EEENS0_18inequality_wrapperIZN2at6native12_GLOBAL__N_124unique_dim_cuda_templateIjEESt5tupleIJNSH_6TensorESM_SM_EERKSM_lbbbEUlllE0_EEPmJS6_EEE10hipError_tPvRmT3_T4_T5_T6_T7_T9_mT8_P12ihipStream_tbDpT10_ENKUlT_T0_E_clISt17integral_constantIbLb1EES1C_EEDaS17_S18_EUlS17_E_NS1_11comp_targetILNS1_3genE2ELNS1_11target_archE906ELNS1_3gpuE6ELNS1_3repE0EEENS1_30default_config_static_selectorELNS0_4arch9wavefront6targetE1EEEvT1_
; %bb.0:
	.section	.rodata,"a",@progbits
	.p2align	6, 0x0
	.amdhsa_kernel _ZN7rocprim17ROCPRIM_400000_NS6detail17trampoline_kernelINS0_14default_configENS1_25partition_config_selectorILNS1_17partition_subalgoE8ElNS0_10empty_typeEbEEZZNS1_14partition_implILS5_8ELb0ES3_jPlPS6_PKS6_NS0_5tupleIJS9_S6_EEENSD_IJSA_SA_EEENS0_18inequality_wrapperIZN2at6native12_GLOBAL__N_124unique_dim_cuda_templateIjEESt5tupleIJNSH_6TensorESM_SM_EERKSM_lbbbEUlllE0_EEPmJS6_EEE10hipError_tPvRmT3_T4_T5_T6_T7_T9_mT8_P12ihipStream_tbDpT10_ENKUlT_T0_E_clISt17integral_constantIbLb1EES1C_EEDaS17_S18_EUlS17_E_NS1_11comp_targetILNS1_3genE2ELNS1_11target_archE906ELNS1_3gpuE6ELNS1_3repE0EEENS1_30default_config_static_selectorELNS0_4arch9wavefront6targetE1EEEvT1_
		.amdhsa_group_segment_fixed_size 0
		.amdhsa_private_segment_fixed_size 0
		.amdhsa_kernarg_size 136
		.amdhsa_user_sgpr_count 2
		.amdhsa_user_sgpr_dispatch_ptr 0
		.amdhsa_user_sgpr_queue_ptr 0
		.amdhsa_user_sgpr_kernarg_segment_ptr 1
		.amdhsa_user_sgpr_dispatch_id 0
		.amdhsa_user_sgpr_kernarg_preload_length 0
		.amdhsa_user_sgpr_kernarg_preload_offset 0
		.amdhsa_user_sgpr_private_segment_size 0
		.amdhsa_uses_dynamic_stack 0
		.amdhsa_enable_private_segment 0
		.amdhsa_system_sgpr_workgroup_id_x 1
		.amdhsa_system_sgpr_workgroup_id_y 0
		.amdhsa_system_sgpr_workgroup_id_z 0
		.amdhsa_system_sgpr_workgroup_info 0
		.amdhsa_system_vgpr_workitem_id 0
		.amdhsa_next_free_vgpr 1
		.amdhsa_next_free_sgpr 0
		.amdhsa_accum_offset 4
		.amdhsa_reserve_vcc 0
		.amdhsa_float_round_mode_32 0
		.amdhsa_float_round_mode_16_64 0
		.amdhsa_float_denorm_mode_32 3
		.amdhsa_float_denorm_mode_16_64 3
		.amdhsa_dx10_clamp 1
		.amdhsa_ieee_mode 1
		.amdhsa_fp16_overflow 0
		.amdhsa_tg_split 0
		.amdhsa_exception_fp_ieee_invalid_op 0
		.amdhsa_exception_fp_denorm_src 0
		.amdhsa_exception_fp_ieee_div_zero 0
		.amdhsa_exception_fp_ieee_overflow 0
		.amdhsa_exception_fp_ieee_underflow 0
		.amdhsa_exception_fp_ieee_inexact 0
		.amdhsa_exception_int_div_zero 0
	.end_amdhsa_kernel
	.section	.text._ZN7rocprim17ROCPRIM_400000_NS6detail17trampoline_kernelINS0_14default_configENS1_25partition_config_selectorILNS1_17partition_subalgoE8ElNS0_10empty_typeEbEEZZNS1_14partition_implILS5_8ELb0ES3_jPlPS6_PKS6_NS0_5tupleIJS9_S6_EEENSD_IJSA_SA_EEENS0_18inequality_wrapperIZN2at6native12_GLOBAL__N_124unique_dim_cuda_templateIjEESt5tupleIJNSH_6TensorESM_SM_EERKSM_lbbbEUlllE0_EEPmJS6_EEE10hipError_tPvRmT3_T4_T5_T6_T7_T9_mT8_P12ihipStream_tbDpT10_ENKUlT_T0_E_clISt17integral_constantIbLb1EES1C_EEDaS17_S18_EUlS17_E_NS1_11comp_targetILNS1_3genE2ELNS1_11target_archE906ELNS1_3gpuE6ELNS1_3repE0EEENS1_30default_config_static_selectorELNS0_4arch9wavefront6targetE1EEEvT1_,"axG",@progbits,_ZN7rocprim17ROCPRIM_400000_NS6detail17trampoline_kernelINS0_14default_configENS1_25partition_config_selectorILNS1_17partition_subalgoE8ElNS0_10empty_typeEbEEZZNS1_14partition_implILS5_8ELb0ES3_jPlPS6_PKS6_NS0_5tupleIJS9_S6_EEENSD_IJSA_SA_EEENS0_18inequality_wrapperIZN2at6native12_GLOBAL__N_124unique_dim_cuda_templateIjEESt5tupleIJNSH_6TensorESM_SM_EERKSM_lbbbEUlllE0_EEPmJS6_EEE10hipError_tPvRmT3_T4_T5_T6_T7_T9_mT8_P12ihipStream_tbDpT10_ENKUlT_T0_E_clISt17integral_constantIbLb1EES1C_EEDaS17_S18_EUlS17_E_NS1_11comp_targetILNS1_3genE2ELNS1_11target_archE906ELNS1_3gpuE6ELNS1_3repE0EEENS1_30default_config_static_selectorELNS0_4arch9wavefront6targetE1EEEvT1_,comdat
.Lfunc_end1553:
	.size	_ZN7rocprim17ROCPRIM_400000_NS6detail17trampoline_kernelINS0_14default_configENS1_25partition_config_selectorILNS1_17partition_subalgoE8ElNS0_10empty_typeEbEEZZNS1_14partition_implILS5_8ELb0ES3_jPlPS6_PKS6_NS0_5tupleIJS9_S6_EEENSD_IJSA_SA_EEENS0_18inequality_wrapperIZN2at6native12_GLOBAL__N_124unique_dim_cuda_templateIjEESt5tupleIJNSH_6TensorESM_SM_EERKSM_lbbbEUlllE0_EEPmJS6_EEE10hipError_tPvRmT3_T4_T5_T6_T7_T9_mT8_P12ihipStream_tbDpT10_ENKUlT_T0_E_clISt17integral_constantIbLb1EES1C_EEDaS17_S18_EUlS17_E_NS1_11comp_targetILNS1_3genE2ELNS1_11target_archE906ELNS1_3gpuE6ELNS1_3repE0EEENS1_30default_config_static_selectorELNS0_4arch9wavefront6targetE1EEEvT1_, .Lfunc_end1553-_ZN7rocprim17ROCPRIM_400000_NS6detail17trampoline_kernelINS0_14default_configENS1_25partition_config_selectorILNS1_17partition_subalgoE8ElNS0_10empty_typeEbEEZZNS1_14partition_implILS5_8ELb0ES3_jPlPS6_PKS6_NS0_5tupleIJS9_S6_EEENSD_IJSA_SA_EEENS0_18inequality_wrapperIZN2at6native12_GLOBAL__N_124unique_dim_cuda_templateIjEESt5tupleIJNSH_6TensorESM_SM_EERKSM_lbbbEUlllE0_EEPmJS6_EEE10hipError_tPvRmT3_T4_T5_T6_T7_T9_mT8_P12ihipStream_tbDpT10_ENKUlT_T0_E_clISt17integral_constantIbLb1EES1C_EEDaS17_S18_EUlS17_E_NS1_11comp_targetILNS1_3genE2ELNS1_11target_archE906ELNS1_3gpuE6ELNS1_3repE0EEENS1_30default_config_static_selectorELNS0_4arch9wavefront6targetE1EEEvT1_
                                        ; -- End function
	.set _ZN7rocprim17ROCPRIM_400000_NS6detail17trampoline_kernelINS0_14default_configENS1_25partition_config_selectorILNS1_17partition_subalgoE8ElNS0_10empty_typeEbEEZZNS1_14partition_implILS5_8ELb0ES3_jPlPS6_PKS6_NS0_5tupleIJS9_S6_EEENSD_IJSA_SA_EEENS0_18inequality_wrapperIZN2at6native12_GLOBAL__N_124unique_dim_cuda_templateIjEESt5tupleIJNSH_6TensorESM_SM_EERKSM_lbbbEUlllE0_EEPmJS6_EEE10hipError_tPvRmT3_T4_T5_T6_T7_T9_mT8_P12ihipStream_tbDpT10_ENKUlT_T0_E_clISt17integral_constantIbLb1EES1C_EEDaS17_S18_EUlS17_E_NS1_11comp_targetILNS1_3genE2ELNS1_11target_archE906ELNS1_3gpuE6ELNS1_3repE0EEENS1_30default_config_static_selectorELNS0_4arch9wavefront6targetE1EEEvT1_.num_vgpr, 0
	.set _ZN7rocprim17ROCPRIM_400000_NS6detail17trampoline_kernelINS0_14default_configENS1_25partition_config_selectorILNS1_17partition_subalgoE8ElNS0_10empty_typeEbEEZZNS1_14partition_implILS5_8ELb0ES3_jPlPS6_PKS6_NS0_5tupleIJS9_S6_EEENSD_IJSA_SA_EEENS0_18inequality_wrapperIZN2at6native12_GLOBAL__N_124unique_dim_cuda_templateIjEESt5tupleIJNSH_6TensorESM_SM_EERKSM_lbbbEUlllE0_EEPmJS6_EEE10hipError_tPvRmT3_T4_T5_T6_T7_T9_mT8_P12ihipStream_tbDpT10_ENKUlT_T0_E_clISt17integral_constantIbLb1EES1C_EEDaS17_S18_EUlS17_E_NS1_11comp_targetILNS1_3genE2ELNS1_11target_archE906ELNS1_3gpuE6ELNS1_3repE0EEENS1_30default_config_static_selectorELNS0_4arch9wavefront6targetE1EEEvT1_.num_agpr, 0
	.set _ZN7rocprim17ROCPRIM_400000_NS6detail17trampoline_kernelINS0_14default_configENS1_25partition_config_selectorILNS1_17partition_subalgoE8ElNS0_10empty_typeEbEEZZNS1_14partition_implILS5_8ELb0ES3_jPlPS6_PKS6_NS0_5tupleIJS9_S6_EEENSD_IJSA_SA_EEENS0_18inequality_wrapperIZN2at6native12_GLOBAL__N_124unique_dim_cuda_templateIjEESt5tupleIJNSH_6TensorESM_SM_EERKSM_lbbbEUlllE0_EEPmJS6_EEE10hipError_tPvRmT3_T4_T5_T6_T7_T9_mT8_P12ihipStream_tbDpT10_ENKUlT_T0_E_clISt17integral_constantIbLb1EES1C_EEDaS17_S18_EUlS17_E_NS1_11comp_targetILNS1_3genE2ELNS1_11target_archE906ELNS1_3gpuE6ELNS1_3repE0EEENS1_30default_config_static_selectorELNS0_4arch9wavefront6targetE1EEEvT1_.numbered_sgpr, 0
	.set _ZN7rocprim17ROCPRIM_400000_NS6detail17trampoline_kernelINS0_14default_configENS1_25partition_config_selectorILNS1_17partition_subalgoE8ElNS0_10empty_typeEbEEZZNS1_14partition_implILS5_8ELb0ES3_jPlPS6_PKS6_NS0_5tupleIJS9_S6_EEENSD_IJSA_SA_EEENS0_18inequality_wrapperIZN2at6native12_GLOBAL__N_124unique_dim_cuda_templateIjEESt5tupleIJNSH_6TensorESM_SM_EERKSM_lbbbEUlllE0_EEPmJS6_EEE10hipError_tPvRmT3_T4_T5_T6_T7_T9_mT8_P12ihipStream_tbDpT10_ENKUlT_T0_E_clISt17integral_constantIbLb1EES1C_EEDaS17_S18_EUlS17_E_NS1_11comp_targetILNS1_3genE2ELNS1_11target_archE906ELNS1_3gpuE6ELNS1_3repE0EEENS1_30default_config_static_selectorELNS0_4arch9wavefront6targetE1EEEvT1_.num_named_barrier, 0
	.set _ZN7rocprim17ROCPRIM_400000_NS6detail17trampoline_kernelINS0_14default_configENS1_25partition_config_selectorILNS1_17partition_subalgoE8ElNS0_10empty_typeEbEEZZNS1_14partition_implILS5_8ELb0ES3_jPlPS6_PKS6_NS0_5tupleIJS9_S6_EEENSD_IJSA_SA_EEENS0_18inequality_wrapperIZN2at6native12_GLOBAL__N_124unique_dim_cuda_templateIjEESt5tupleIJNSH_6TensorESM_SM_EERKSM_lbbbEUlllE0_EEPmJS6_EEE10hipError_tPvRmT3_T4_T5_T6_T7_T9_mT8_P12ihipStream_tbDpT10_ENKUlT_T0_E_clISt17integral_constantIbLb1EES1C_EEDaS17_S18_EUlS17_E_NS1_11comp_targetILNS1_3genE2ELNS1_11target_archE906ELNS1_3gpuE6ELNS1_3repE0EEENS1_30default_config_static_selectorELNS0_4arch9wavefront6targetE1EEEvT1_.private_seg_size, 0
	.set _ZN7rocprim17ROCPRIM_400000_NS6detail17trampoline_kernelINS0_14default_configENS1_25partition_config_selectorILNS1_17partition_subalgoE8ElNS0_10empty_typeEbEEZZNS1_14partition_implILS5_8ELb0ES3_jPlPS6_PKS6_NS0_5tupleIJS9_S6_EEENSD_IJSA_SA_EEENS0_18inequality_wrapperIZN2at6native12_GLOBAL__N_124unique_dim_cuda_templateIjEESt5tupleIJNSH_6TensorESM_SM_EERKSM_lbbbEUlllE0_EEPmJS6_EEE10hipError_tPvRmT3_T4_T5_T6_T7_T9_mT8_P12ihipStream_tbDpT10_ENKUlT_T0_E_clISt17integral_constantIbLb1EES1C_EEDaS17_S18_EUlS17_E_NS1_11comp_targetILNS1_3genE2ELNS1_11target_archE906ELNS1_3gpuE6ELNS1_3repE0EEENS1_30default_config_static_selectorELNS0_4arch9wavefront6targetE1EEEvT1_.uses_vcc, 0
	.set _ZN7rocprim17ROCPRIM_400000_NS6detail17trampoline_kernelINS0_14default_configENS1_25partition_config_selectorILNS1_17partition_subalgoE8ElNS0_10empty_typeEbEEZZNS1_14partition_implILS5_8ELb0ES3_jPlPS6_PKS6_NS0_5tupleIJS9_S6_EEENSD_IJSA_SA_EEENS0_18inequality_wrapperIZN2at6native12_GLOBAL__N_124unique_dim_cuda_templateIjEESt5tupleIJNSH_6TensorESM_SM_EERKSM_lbbbEUlllE0_EEPmJS6_EEE10hipError_tPvRmT3_T4_T5_T6_T7_T9_mT8_P12ihipStream_tbDpT10_ENKUlT_T0_E_clISt17integral_constantIbLb1EES1C_EEDaS17_S18_EUlS17_E_NS1_11comp_targetILNS1_3genE2ELNS1_11target_archE906ELNS1_3gpuE6ELNS1_3repE0EEENS1_30default_config_static_selectorELNS0_4arch9wavefront6targetE1EEEvT1_.uses_flat_scratch, 0
	.set _ZN7rocprim17ROCPRIM_400000_NS6detail17trampoline_kernelINS0_14default_configENS1_25partition_config_selectorILNS1_17partition_subalgoE8ElNS0_10empty_typeEbEEZZNS1_14partition_implILS5_8ELb0ES3_jPlPS6_PKS6_NS0_5tupleIJS9_S6_EEENSD_IJSA_SA_EEENS0_18inequality_wrapperIZN2at6native12_GLOBAL__N_124unique_dim_cuda_templateIjEESt5tupleIJNSH_6TensorESM_SM_EERKSM_lbbbEUlllE0_EEPmJS6_EEE10hipError_tPvRmT3_T4_T5_T6_T7_T9_mT8_P12ihipStream_tbDpT10_ENKUlT_T0_E_clISt17integral_constantIbLb1EES1C_EEDaS17_S18_EUlS17_E_NS1_11comp_targetILNS1_3genE2ELNS1_11target_archE906ELNS1_3gpuE6ELNS1_3repE0EEENS1_30default_config_static_selectorELNS0_4arch9wavefront6targetE1EEEvT1_.has_dyn_sized_stack, 0
	.set _ZN7rocprim17ROCPRIM_400000_NS6detail17trampoline_kernelINS0_14default_configENS1_25partition_config_selectorILNS1_17partition_subalgoE8ElNS0_10empty_typeEbEEZZNS1_14partition_implILS5_8ELb0ES3_jPlPS6_PKS6_NS0_5tupleIJS9_S6_EEENSD_IJSA_SA_EEENS0_18inequality_wrapperIZN2at6native12_GLOBAL__N_124unique_dim_cuda_templateIjEESt5tupleIJNSH_6TensorESM_SM_EERKSM_lbbbEUlllE0_EEPmJS6_EEE10hipError_tPvRmT3_T4_T5_T6_T7_T9_mT8_P12ihipStream_tbDpT10_ENKUlT_T0_E_clISt17integral_constantIbLb1EES1C_EEDaS17_S18_EUlS17_E_NS1_11comp_targetILNS1_3genE2ELNS1_11target_archE906ELNS1_3gpuE6ELNS1_3repE0EEENS1_30default_config_static_selectorELNS0_4arch9wavefront6targetE1EEEvT1_.has_recursion, 0
	.set _ZN7rocprim17ROCPRIM_400000_NS6detail17trampoline_kernelINS0_14default_configENS1_25partition_config_selectorILNS1_17partition_subalgoE8ElNS0_10empty_typeEbEEZZNS1_14partition_implILS5_8ELb0ES3_jPlPS6_PKS6_NS0_5tupleIJS9_S6_EEENSD_IJSA_SA_EEENS0_18inequality_wrapperIZN2at6native12_GLOBAL__N_124unique_dim_cuda_templateIjEESt5tupleIJNSH_6TensorESM_SM_EERKSM_lbbbEUlllE0_EEPmJS6_EEE10hipError_tPvRmT3_T4_T5_T6_T7_T9_mT8_P12ihipStream_tbDpT10_ENKUlT_T0_E_clISt17integral_constantIbLb1EES1C_EEDaS17_S18_EUlS17_E_NS1_11comp_targetILNS1_3genE2ELNS1_11target_archE906ELNS1_3gpuE6ELNS1_3repE0EEENS1_30default_config_static_selectorELNS0_4arch9wavefront6targetE1EEEvT1_.has_indirect_call, 0
	.section	.AMDGPU.csdata,"",@progbits
; Kernel info:
; codeLenInByte = 0
; TotalNumSgprs: 6
; NumVgprs: 0
; NumAgprs: 0
; TotalNumVgprs: 0
; ScratchSize: 0
; MemoryBound: 0
; FloatMode: 240
; IeeeMode: 1
; LDSByteSize: 0 bytes/workgroup (compile time only)
; SGPRBlocks: 0
; VGPRBlocks: 0
; NumSGPRsForWavesPerEU: 6
; NumVGPRsForWavesPerEU: 1
; AccumOffset: 4
; Occupancy: 8
; WaveLimiterHint : 0
; COMPUTE_PGM_RSRC2:SCRATCH_EN: 0
; COMPUTE_PGM_RSRC2:USER_SGPR: 2
; COMPUTE_PGM_RSRC2:TRAP_HANDLER: 0
; COMPUTE_PGM_RSRC2:TGID_X_EN: 1
; COMPUTE_PGM_RSRC2:TGID_Y_EN: 0
; COMPUTE_PGM_RSRC2:TGID_Z_EN: 0
; COMPUTE_PGM_RSRC2:TIDIG_COMP_CNT: 0
; COMPUTE_PGM_RSRC3_GFX90A:ACCUM_OFFSET: 0
; COMPUTE_PGM_RSRC3_GFX90A:TG_SPLIT: 0
	.section	.text._ZN7rocprim17ROCPRIM_400000_NS6detail17trampoline_kernelINS0_14default_configENS1_25partition_config_selectorILNS1_17partition_subalgoE8ElNS0_10empty_typeEbEEZZNS1_14partition_implILS5_8ELb0ES3_jPlPS6_PKS6_NS0_5tupleIJS9_S6_EEENSD_IJSA_SA_EEENS0_18inequality_wrapperIZN2at6native12_GLOBAL__N_124unique_dim_cuda_templateIjEESt5tupleIJNSH_6TensorESM_SM_EERKSM_lbbbEUlllE0_EEPmJS6_EEE10hipError_tPvRmT3_T4_T5_T6_T7_T9_mT8_P12ihipStream_tbDpT10_ENKUlT_T0_E_clISt17integral_constantIbLb1EES1C_EEDaS17_S18_EUlS17_E_NS1_11comp_targetILNS1_3genE10ELNS1_11target_archE1200ELNS1_3gpuE4ELNS1_3repE0EEENS1_30default_config_static_selectorELNS0_4arch9wavefront6targetE1EEEvT1_,"axG",@progbits,_ZN7rocprim17ROCPRIM_400000_NS6detail17trampoline_kernelINS0_14default_configENS1_25partition_config_selectorILNS1_17partition_subalgoE8ElNS0_10empty_typeEbEEZZNS1_14partition_implILS5_8ELb0ES3_jPlPS6_PKS6_NS0_5tupleIJS9_S6_EEENSD_IJSA_SA_EEENS0_18inequality_wrapperIZN2at6native12_GLOBAL__N_124unique_dim_cuda_templateIjEESt5tupleIJNSH_6TensorESM_SM_EERKSM_lbbbEUlllE0_EEPmJS6_EEE10hipError_tPvRmT3_T4_T5_T6_T7_T9_mT8_P12ihipStream_tbDpT10_ENKUlT_T0_E_clISt17integral_constantIbLb1EES1C_EEDaS17_S18_EUlS17_E_NS1_11comp_targetILNS1_3genE10ELNS1_11target_archE1200ELNS1_3gpuE4ELNS1_3repE0EEENS1_30default_config_static_selectorELNS0_4arch9wavefront6targetE1EEEvT1_,comdat
	.globl	_ZN7rocprim17ROCPRIM_400000_NS6detail17trampoline_kernelINS0_14default_configENS1_25partition_config_selectorILNS1_17partition_subalgoE8ElNS0_10empty_typeEbEEZZNS1_14partition_implILS5_8ELb0ES3_jPlPS6_PKS6_NS0_5tupleIJS9_S6_EEENSD_IJSA_SA_EEENS0_18inequality_wrapperIZN2at6native12_GLOBAL__N_124unique_dim_cuda_templateIjEESt5tupleIJNSH_6TensorESM_SM_EERKSM_lbbbEUlllE0_EEPmJS6_EEE10hipError_tPvRmT3_T4_T5_T6_T7_T9_mT8_P12ihipStream_tbDpT10_ENKUlT_T0_E_clISt17integral_constantIbLb1EES1C_EEDaS17_S18_EUlS17_E_NS1_11comp_targetILNS1_3genE10ELNS1_11target_archE1200ELNS1_3gpuE4ELNS1_3repE0EEENS1_30default_config_static_selectorELNS0_4arch9wavefront6targetE1EEEvT1_ ; -- Begin function _ZN7rocprim17ROCPRIM_400000_NS6detail17trampoline_kernelINS0_14default_configENS1_25partition_config_selectorILNS1_17partition_subalgoE8ElNS0_10empty_typeEbEEZZNS1_14partition_implILS5_8ELb0ES3_jPlPS6_PKS6_NS0_5tupleIJS9_S6_EEENSD_IJSA_SA_EEENS0_18inequality_wrapperIZN2at6native12_GLOBAL__N_124unique_dim_cuda_templateIjEESt5tupleIJNSH_6TensorESM_SM_EERKSM_lbbbEUlllE0_EEPmJS6_EEE10hipError_tPvRmT3_T4_T5_T6_T7_T9_mT8_P12ihipStream_tbDpT10_ENKUlT_T0_E_clISt17integral_constantIbLb1EES1C_EEDaS17_S18_EUlS17_E_NS1_11comp_targetILNS1_3genE10ELNS1_11target_archE1200ELNS1_3gpuE4ELNS1_3repE0EEENS1_30default_config_static_selectorELNS0_4arch9wavefront6targetE1EEEvT1_
	.p2align	8
	.type	_ZN7rocprim17ROCPRIM_400000_NS6detail17trampoline_kernelINS0_14default_configENS1_25partition_config_selectorILNS1_17partition_subalgoE8ElNS0_10empty_typeEbEEZZNS1_14partition_implILS5_8ELb0ES3_jPlPS6_PKS6_NS0_5tupleIJS9_S6_EEENSD_IJSA_SA_EEENS0_18inequality_wrapperIZN2at6native12_GLOBAL__N_124unique_dim_cuda_templateIjEESt5tupleIJNSH_6TensorESM_SM_EERKSM_lbbbEUlllE0_EEPmJS6_EEE10hipError_tPvRmT3_T4_T5_T6_T7_T9_mT8_P12ihipStream_tbDpT10_ENKUlT_T0_E_clISt17integral_constantIbLb1EES1C_EEDaS17_S18_EUlS17_E_NS1_11comp_targetILNS1_3genE10ELNS1_11target_archE1200ELNS1_3gpuE4ELNS1_3repE0EEENS1_30default_config_static_selectorELNS0_4arch9wavefront6targetE1EEEvT1_,@function
_ZN7rocprim17ROCPRIM_400000_NS6detail17trampoline_kernelINS0_14default_configENS1_25partition_config_selectorILNS1_17partition_subalgoE8ElNS0_10empty_typeEbEEZZNS1_14partition_implILS5_8ELb0ES3_jPlPS6_PKS6_NS0_5tupleIJS9_S6_EEENSD_IJSA_SA_EEENS0_18inequality_wrapperIZN2at6native12_GLOBAL__N_124unique_dim_cuda_templateIjEESt5tupleIJNSH_6TensorESM_SM_EERKSM_lbbbEUlllE0_EEPmJS6_EEE10hipError_tPvRmT3_T4_T5_T6_T7_T9_mT8_P12ihipStream_tbDpT10_ENKUlT_T0_E_clISt17integral_constantIbLb1EES1C_EEDaS17_S18_EUlS17_E_NS1_11comp_targetILNS1_3genE10ELNS1_11target_archE1200ELNS1_3gpuE4ELNS1_3repE0EEENS1_30default_config_static_selectorELNS0_4arch9wavefront6targetE1EEEvT1_: ; @_ZN7rocprim17ROCPRIM_400000_NS6detail17trampoline_kernelINS0_14default_configENS1_25partition_config_selectorILNS1_17partition_subalgoE8ElNS0_10empty_typeEbEEZZNS1_14partition_implILS5_8ELb0ES3_jPlPS6_PKS6_NS0_5tupleIJS9_S6_EEENSD_IJSA_SA_EEENS0_18inequality_wrapperIZN2at6native12_GLOBAL__N_124unique_dim_cuda_templateIjEESt5tupleIJNSH_6TensorESM_SM_EERKSM_lbbbEUlllE0_EEPmJS6_EEE10hipError_tPvRmT3_T4_T5_T6_T7_T9_mT8_P12ihipStream_tbDpT10_ENKUlT_T0_E_clISt17integral_constantIbLb1EES1C_EEDaS17_S18_EUlS17_E_NS1_11comp_targetILNS1_3genE10ELNS1_11target_archE1200ELNS1_3gpuE4ELNS1_3repE0EEENS1_30default_config_static_selectorELNS0_4arch9wavefront6targetE1EEEvT1_
; %bb.0:
	.section	.rodata,"a",@progbits
	.p2align	6, 0x0
	.amdhsa_kernel _ZN7rocprim17ROCPRIM_400000_NS6detail17trampoline_kernelINS0_14default_configENS1_25partition_config_selectorILNS1_17partition_subalgoE8ElNS0_10empty_typeEbEEZZNS1_14partition_implILS5_8ELb0ES3_jPlPS6_PKS6_NS0_5tupleIJS9_S6_EEENSD_IJSA_SA_EEENS0_18inequality_wrapperIZN2at6native12_GLOBAL__N_124unique_dim_cuda_templateIjEESt5tupleIJNSH_6TensorESM_SM_EERKSM_lbbbEUlllE0_EEPmJS6_EEE10hipError_tPvRmT3_T4_T5_T6_T7_T9_mT8_P12ihipStream_tbDpT10_ENKUlT_T0_E_clISt17integral_constantIbLb1EES1C_EEDaS17_S18_EUlS17_E_NS1_11comp_targetILNS1_3genE10ELNS1_11target_archE1200ELNS1_3gpuE4ELNS1_3repE0EEENS1_30default_config_static_selectorELNS0_4arch9wavefront6targetE1EEEvT1_
		.amdhsa_group_segment_fixed_size 0
		.amdhsa_private_segment_fixed_size 0
		.amdhsa_kernarg_size 136
		.amdhsa_user_sgpr_count 2
		.amdhsa_user_sgpr_dispatch_ptr 0
		.amdhsa_user_sgpr_queue_ptr 0
		.amdhsa_user_sgpr_kernarg_segment_ptr 1
		.amdhsa_user_sgpr_dispatch_id 0
		.amdhsa_user_sgpr_kernarg_preload_length 0
		.amdhsa_user_sgpr_kernarg_preload_offset 0
		.amdhsa_user_sgpr_private_segment_size 0
		.amdhsa_uses_dynamic_stack 0
		.amdhsa_enable_private_segment 0
		.amdhsa_system_sgpr_workgroup_id_x 1
		.amdhsa_system_sgpr_workgroup_id_y 0
		.amdhsa_system_sgpr_workgroup_id_z 0
		.amdhsa_system_sgpr_workgroup_info 0
		.amdhsa_system_vgpr_workitem_id 0
		.amdhsa_next_free_vgpr 1
		.amdhsa_next_free_sgpr 0
		.amdhsa_accum_offset 4
		.amdhsa_reserve_vcc 0
		.amdhsa_float_round_mode_32 0
		.amdhsa_float_round_mode_16_64 0
		.amdhsa_float_denorm_mode_32 3
		.amdhsa_float_denorm_mode_16_64 3
		.amdhsa_dx10_clamp 1
		.amdhsa_ieee_mode 1
		.amdhsa_fp16_overflow 0
		.amdhsa_tg_split 0
		.amdhsa_exception_fp_ieee_invalid_op 0
		.amdhsa_exception_fp_denorm_src 0
		.amdhsa_exception_fp_ieee_div_zero 0
		.amdhsa_exception_fp_ieee_overflow 0
		.amdhsa_exception_fp_ieee_underflow 0
		.amdhsa_exception_fp_ieee_inexact 0
		.amdhsa_exception_int_div_zero 0
	.end_amdhsa_kernel
	.section	.text._ZN7rocprim17ROCPRIM_400000_NS6detail17trampoline_kernelINS0_14default_configENS1_25partition_config_selectorILNS1_17partition_subalgoE8ElNS0_10empty_typeEbEEZZNS1_14partition_implILS5_8ELb0ES3_jPlPS6_PKS6_NS0_5tupleIJS9_S6_EEENSD_IJSA_SA_EEENS0_18inequality_wrapperIZN2at6native12_GLOBAL__N_124unique_dim_cuda_templateIjEESt5tupleIJNSH_6TensorESM_SM_EERKSM_lbbbEUlllE0_EEPmJS6_EEE10hipError_tPvRmT3_T4_T5_T6_T7_T9_mT8_P12ihipStream_tbDpT10_ENKUlT_T0_E_clISt17integral_constantIbLb1EES1C_EEDaS17_S18_EUlS17_E_NS1_11comp_targetILNS1_3genE10ELNS1_11target_archE1200ELNS1_3gpuE4ELNS1_3repE0EEENS1_30default_config_static_selectorELNS0_4arch9wavefront6targetE1EEEvT1_,"axG",@progbits,_ZN7rocprim17ROCPRIM_400000_NS6detail17trampoline_kernelINS0_14default_configENS1_25partition_config_selectorILNS1_17partition_subalgoE8ElNS0_10empty_typeEbEEZZNS1_14partition_implILS5_8ELb0ES3_jPlPS6_PKS6_NS0_5tupleIJS9_S6_EEENSD_IJSA_SA_EEENS0_18inequality_wrapperIZN2at6native12_GLOBAL__N_124unique_dim_cuda_templateIjEESt5tupleIJNSH_6TensorESM_SM_EERKSM_lbbbEUlllE0_EEPmJS6_EEE10hipError_tPvRmT3_T4_T5_T6_T7_T9_mT8_P12ihipStream_tbDpT10_ENKUlT_T0_E_clISt17integral_constantIbLb1EES1C_EEDaS17_S18_EUlS17_E_NS1_11comp_targetILNS1_3genE10ELNS1_11target_archE1200ELNS1_3gpuE4ELNS1_3repE0EEENS1_30default_config_static_selectorELNS0_4arch9wavefront6targetE1EEEvT1_,comdat
.Lfunc_end1554:
	.size	_ZN7rocprim17ROCPRIM_400000_NS6detail17trampoline_kernelINS0_14default_configENS1_25partition_config_selectorILNS1_17partition_subalgoE8ElNS0_10empty_typeEbEEZZNS1_14partition_implILS5_8ELb0ES3_jPlPS6_PKS6_NS0_5tupleIJS9_S6_EEENSD_IJSA_SA_EEENS0_18inequality_wrapperIZN2at6native12_GLOBAL__N_124unique_dim_cuda_templateIjEESt5tupleIJNSH_6TensorESM_SM_EERKSM_lbbbEUlllE0_EEPmJS6_EEE10hipError_tPvRmT3_T4_T5_T6_T7_T9_mT8_P12ihipStream_tbDpT10_ENKUlT_T0_E_clISt17integral_constantIbLb1EES1C_EEDaS17_S18_EUlS17_E_NS1_11comp_targetILNS1_3genE10ELNS1_11target_archE1200ELNS1_3gpuE4ELNS1_3repE0EEENS1_30default_config_static_selectorELNS0_4arch9wavefront6targetE1EEEvT1_, .Lfunc_end1554-_ZN7rocprim17ROCPRIM_400000_NS6detail17trampoline_kernelINS0_14default_configENS1_25partition_config_selectorILNS1_17partition_subalgoE8ElNS0_10empty_typeEbEEZZNS1_14partition_implILS5_8ELb0ES3_jPlPS6_PKS6_NS0_5tupleIJS9_S6_EEENSD_IJSA_SA_EEENS0_18inequality_wrapperIZN2at6native12_GLOBAL__N_124unique_dim_cuda_templateIjEESt5tupleIJNSH_6TensorESM_SM_EERKSM_lbbbEUlllE0_EEPmJS6_EEE10hipError_tPvRmT3_T4_T5_T6_T7_T9_mT8_P12ihipStream_tbDpT10_ENKUlT_T0_E_clISt17integral_constantIbLb1EES1C_EEDaS17_S18_EUlS17_E_NS1_11comp_targetILNS1_3genE10ELNS1_11target_archE1200ELNS1_3gpuE4ELNS1_3repE0EEENS1_30default_config_static_selectorELNS0_4arch9wavefront6targetE1EEEvT1_
                                        ; -- End function
	.set _ZN7rocprim17ROCPRIM_400000_NS6detail17trampoline_kernelINS0_14default_configENS1_25partition_config_selectorILNS1_17partition_subalgoE8ElNS0_10empty_typeEbEEZZNS1_14partition_implILS5_8ELb0ES3_jPlPS6_PKS6_NS0_5tupleIJS9_S6_EEENSD_IJSA_SA_EEENS0_18inequality_wrapperIZN2at6native12_GLOBAL__N_124unique_dim_cuda_templateIjEESt5tupleIJNSH_6TensorESM_SM_EERKSM_lbbbEUlllE0_EEPmJS6_EEE10hipError_tPvRmT3_T4_T5_T6_T7_T9_mT8_P12ihipStream_tbDpT10_ENKUlT_T0_E_clISt17integral_constantIbLb1EES1C_EEDaS17_S18_EUlS17_E_NS1_11comp_targetILNS1_3genE10ELNS1_11target_archE1200ELNS1_3gpuE4ELNS1_3repE0EEENS1_30default_config_static_selectorELNS0_4arch9wavefront6targetE1EEEvT1_.num_vgpr, 0
	.set _ZN7rocprim17ROCPRIM_400000_NS6detail17trampoline_kernelINS0_14default_configENS1_25partition_config_selectorILNS1_17partition_subalgoE8ElNS0_10empty_typeEbEEZZNS1_14partition_implILS5_8ELb0ES3_jPlPS6_PKS6_NS0_5tupleIJS9_S6_EEENSD_IJSA_SA_EEENS0_18inequality_wrapperIZN2at6native12_GLOBAL__N_124unique_dim_cuda_templateIjEESt5tupleIJNSH_6TensorESM_SM_EERKSM_lbbbEUlllE0_EEPmJS6_EEE10hipError_tPvRmT3_T4_T5_T6_T7_T9_mT8_P12ihipStream_tbDpT10_ENKUlT_T0_E_clISt17integral_constantIbLb1EES1C_EEDaS17_S18_EUlS17_E_NS1_11comp_targetILNS1_3genE10ELNS1_11target_archE1200ELNS1_3gpuE4ELNS1_3repE0EEENS1_30default_config_static_selectorELNS0_4arch9wavefront6targetE1EEEvT1_.num_agpr, 0
	.set _ZN7rocprim17ROCPRIM_400000_NS6detail17trampoline_kernelINS0_14default_configENS1_25partition_config_selectorILNS1_17partition_subalgoE8ElNS0_10empty_typeEbEEZZNS1_14partition_implILS5_8ELb0ES3_jPlPS6_PKS6_NS0_5tupleIJS9_S6_EEENSD_IJSA_SA_EEENS0_18inequality_wrapperIZN2at6native12_GLOBAL__N_124unique_dim_cuda_templateIjEESt5tupleIJNSH_6TensorESM_SM_EERKSM_lbbbEUlllE0_EEPmJS6_EEE10hipError_tPvRmT3_T4_T5_T6_T7_T9_mT8_P12ihipStream_tbDpT10_ENKUlT_T0_E_clISt17integral_constantIbLb1EES1C_EEDaS17_S18_EUlS17_E_NS1_11comp_targetILNS1_3genE10ELNS1_11target_archE1200ELNS1_3gpuE4ELNS1_3repE0EEENS1_30default_config_static_selectorELNS0_4arch9wavefront6targetE1EEEvT1_.numbered_sgpr, 0
	.set _ZN7rocprim17ROCPRIM_400000_NS6detail17trampoline_kernelINS0_14default_configENS1_25partition_config_selectorILNS1_17partition_subalgoE8ElNS0_10empty_typeEbEEZZNS1_14partition_implILS5_8ELb0ES3_jPlPS6_PKS6_NS0_5tupleIJS9_S6_EEENSD_IJSA_SA_EEENS0_18inequality_wrapperIZN2at6native12_GLOBAL__N_124unique_dim_cuda_templateIjEESt5tupleIJNSH_6TensorESM_SM_EERKSM_lbbbEUlllE0_EEPmJS6_EEE10hipError_tPvRmT3_T4_T5_T6_T7_T9_mT8_P12ihipStream_tbDpT10_ENKUlT_T0_E_clISt17integral_constantIbLb1EES1C_EEDaS17_S18_EUlS17_E_NS1_11comp_targetILNS1_3genE10ELNS1_11target_archE1200ELNS1_3gpuE4ELNS1_3repE0EEENS1_30default_config_static_selectorELNS0_4arch9wavefront6targetE1EEEvT1_.num_named_barrier, 0
	.set _ZN7rocprim17ROCPRIM_400000_NS6detail17trampoline_kernelINS0_14default_configENS1_25partition_config_selectorILNS1_17partition_subalgoE8ElNS0_10empty_typeEbEEZZNS1_14partition_implILS5_8ELb0ES3_jPlPS6_PKS6_NS0_5tupleIJS9_S6_EEENSD_IJSA_SA_EEENS0_18inequality_wrapperIZN2at6native12_GLOBAL__N_124unique_dim_cuda_templateIjEESt5tupleIJNSH_6TensorESM_SM_EERKSM_lbbbEUlllE0_EEPmJS6_EEE10hipError_tPvRmT3_T4_T5_T6_T7_T9_mT8_P12ihipStream_tbDpT10_ENKUlT_T0_E_clISt17integral_constantIbLb1EES1C_EEDaS17_S18_EUlS17_E_NS1_11comp_targetILNS1_3genE10ELNS1_11target_archE1200ELNS1_3gpuE4ELNS1_3repE0EEENS1_30default_config_static_selectorELNS0_4arch9wavefront6targetE1EEEvT1_.private_seg_size, 0
	.set _ZN7rocprim17ROCPRIM_400000_NS6detail17trampoline_kernelINS0_14default_configENS1_25partition_config_selectorILNS1_17partition_subalgoE8ElNS0_10empty_typeEbEEZZNS1_14partition_implILS5_8ELb0ES3_jPlPS6_PKS6_NS0_5tupleIJS9_S6_EEENSD_IJSA_SA_EEENS0_18inequality_wrapperIZN2at6native12_GLOBAL__N_124unique_dim_cuda_templateIjEESt5tupleIJNSH_6TensorESM_SM_EERKSM_lbbbEUlllE0_EEPmJS6_EEE10hipError_tPvRmT3_T4_T5_T6_T7_T9_mT8_P12ihipStream_tbDpT10_ENKUlT_T0_E_clISt17integral_constantIbLb1EES1C_EEDaS17_S18_EUlS17_E_NS1_11comp_targetILNS1_3genE10ELNS1_11target_archE1200ELNS1_3gpuE4ELNS1_3repE0EEENS1_30default_config_static_selectorELNS0_4arch9wavefront6targetE1EEEvT1_.uses_vcc, 0
	.set _ZN7rocprim17ROCPRIM_400000_NS6detail17trampoline_kernelINS0_14default_configENS1_25partition_config_selectorILNS1_17partition_subalgoE8ElNS0_10empty_typeEbEEZZNS1_14partition_implILS5_8ELb0ES3_jPlPS6_PKS6_NS0_5tupleIJS9_S6_EEENSD_IJSA_SA_EEENS0_18inequality_wrapperIZN2at6native12_GLOBAL__N_124unique_dim_cuda_templateIjEESt5tupleIJNSH_6TensorESM_SM_EERKSM_lbbbEUlllE0_EEPmJS6_EEE10hipError_tPvRmT3_T4_T5_T6_T7_T9_mT8_P12ihipStream_tbDpT10_ENKUlT_T0_E_clISt17integral_constantIbLb1EES1C_EEDaS17_S18_EUlS17_E_NS1_11comp_targetILNS1_3genE10ELNS1_11target_archE1200ELNS1_3gpuE4ELNS1_3repE0EEENS1_30default_config_static_selectorELNS0_4arch9wavefront6targetE1EEEvT1_.uses_flat_scratch, 0
	.set _ZN7rocprim17ROCPRIM_400000_NS6detail17trampoline_kernelINS0_14default_configENS1_25partition_config_selectorILNS1_17partition_subalgoE8ElNS0_10empty_typeEbEEZZNS1_14partition_implILS5_8ELb0ES3_jPlPS6_PKS6_NS0_5tupleIJS9_S6_EEENSD_IJSA_SA_EEENS0_18inequality_wrapperIZN2at6native12_GLOBAL__N_124unique_dim_cuda_templateIjEESt5tupleIJNSH_6TensorESM_SM_EERKSM_lbbbEUlllE0_EEPmJS6_EEE10hipError_tPvRmT3_T4_T5_T6_T7_T9_mT8_P12ihipStream_tbDpT10_ENKUlT_T0_E_clISt17integral_constantIbLb1EES1C_EEDaS17_S18_EUlS17_E_NS1_11comp_targetILNS1_3genE10ELNS1_11target_archE1200ELNS1_3gpuE4ELNS1_3repE0EEENS1_30default_config_static_selectorELNS0_4arch9wavefront6targetE1EEEvT1_.has_dyn_sized_stack, 0
	.set _ZN7rocprim17ROCPRIM_400000_NS6detail17trampoline_kernelINS0_14default_configENS1_25partition_config_selectorILNS1_17partition_subalgoE8ElNS0_10empty_typeEbEEZZNS1_14partition_implILS5_8ELb0ES3_jPlPS6_PKS6_NS0_5tupleIJS9_S6_EEENSD_IJSA_SA_EEENS0_18inequality_wrapperIZN2at6native12_GLOBAL__N_124unique_dim_cuda_templateIjEESt5tupleIJNSH_6TensorESM_SM_EERKSM_lbbbEUlllE0_EEPmJS6_EEE10hipError_tPvRmT3_T4_T5_T6_T7_T9_mT8_P12ihipStream_tbDpT10_ENKUlT_T0_E_clISt17integral_constantIbLb1EES1C_EEDaS17_S18_EUlS17_E_NS1_11comp_targetILNS1_3genE10ELNS1_11target_archE1200ELNS1_3gpuE4ELNS1_3repE0EEENS1_30default_config_static_selectorELNS0_4arch9wavefront6targetE1EEEvT1_.has_recursion, 0
	.set _ZN7rocprim17ROCPRIM_400000_NS6detail17trampoline_kernelINS0_14default_configENS1_25partition_config_selectorILNS1_17partition_subalgoE8ElNS0_10empty_typeEbEEZZNS1_14partition_implILS5_8ELb0ES3_jPlPS6_PKS6_NS0_5tupleIJS9_S6_EEENSD_IJSA_SA_EEENS0_18inequality_wrapperIZN2at6native12_GLOBAL__N_124unique_dim_cuda_templateIjEESt5tupleIJNSH_6TensorESM_SM_EERKSM_lbbbEUlllE0_EEPmJS6_EEE10hipError_tPvRmT3_T4_T5_T6_T7_T9_mT8_P12ihipStream_tbDpT10_ENKUlT_T0_E_clISt17integral_constantIbLb1EES1C_EEDaS17_S18_EUlS17_E_NS1_11comp_targetILNS1_3genE10ELNS1_11target_archE1200ELNS1_3gpuE4ELNS1_3repE0EEENS1_30default_config_static_selectorELNS0_4arch9wavefront6targetE1EEEvT1_.has_indirect_call, 0
	.section	.AMDGPU.csdata,"",@progbits
; Kernel info:
; codeLenInByte = 0
; TotalNumSgprs: 6
; NumVgprs: 0
; NumAgprs: 0
; TotalNumVgprs: 0
; ScratchSize: 0
; MemoryBound: 0
; FloatMode: 240
; IeeeMode: 1
; LDSByteSize: 0 bytes/workgroup (compile time only)
; SGPRBlocks: 0
; VGPRBlocks: 0
; NumSGPRsForWavesPerEU: 6
; NumVGPRsForWavesPerEU: 1
; AccumOffset: 4
; Occupancy: 8
; WaveLimiterHint : 0
; COMPUTE_PGM_RSRC2:SCRATCH_EN: 0
; COMPUTE_PGM_RSRC2:USER_SGPR: 2
; COMPUTE_PGM_RSRC2:TRAP_HANDLER: 0
; COMPUTE_PGM_RSRC2:TGID_X_EN: 1
; COMPUTE_PGM_RSRC2:TGID_Y_EN: 0
; COMPUTE_PGM_RSRC2:TGID_Z_EN: 0
; COMPUTE_PGM_RSRC2:TIDIG_COMP_CNT: 0
; COMPUTE_PGM_RSRC3_GFX90A:ACCUM_OFFSET: 0
; COMPUTE_PGM_RSRC3_GFX90A:TG_SPLIT: 0
	.section	.text._ZN7rocprim17ROCPRIM_400000_NS6detail17trampoline_kernelINS0_14default_configENS1_25partition_config_selectorILNS1_17partition_subalgoE8ElNS0_10empty_typeEbEEZZNS1_14partition_implILS5_8ELb0ES3_jPlPS6_PKS6_NS0_5tupleIJS9_S6_EEENSD_IJSA_SA_EEENS0_18inequality_wrapperIZN2at6native12_GLOBAL__N_124unique_dim_cuda_templateIjEESt5tupleIJNSH_6TensorESM_SM_EERKSM_lbbbEUlllE0_EEPmJS6_EEE10hipError_tPvRmT3_T4_T5_T6_T7_T9_mT8_P12ihipStream_tbDpT10_ENKUlT_T0_E_clISt17integral_constantIbLb1EES1C_EEDaS17_S18_EUlS17_E_NS1_11comp_targetILNS1_3genE9ELNS1_11target_archE1100ELNS1_3gpuE3ELNS1_3repE0EEENS1_30default_config_static_selectorELNS0_4arch9wavefront6targetE1EEEvT1_,"axG",@progbits,_ZN7rocprim17ROCPRIM_400000_NS6detail17trampoline_kernelINS0_14default_configENS1_25partition_config_selectorILNS1_17partition_subalgoE8ElNS0_10empty_typeEbEEZZNS1_14partition_implILS5_8ELb0ES3_jPlPS6_PKS6_NS0_5tupleIJS9_S6_EEENSD_IJSA_SA_EEENS0_18inequality_wrapperIZN2at6native12_GLOBAL__N_124unique_dim_cuda_templateIjEESt5tupleIJNSH_6TensorESM_SM_EERKSM_lbbbEUlllE0_EEPmJS6_EEE10hipError_tPvRmT3_T4_T5_T6_T7_T9_mT8_P12ihipStream_tbDpT10_ENKUlT_T0_E_clISt17integral_constantIbLb1EES1C_EEDaS17_S18_EUlS17_E_NS1_11comp_targetILNS1_3genE9ELNS1_11target_archE1100ELNS1_3gpuE3ELNS1_3repE0EEENS1_30default_config_static_selectorELNS0_4arch9wavefront6targetE1EEEvT1_,comdat
	.globl	_ZN7rocprim17ROCPRIM_400000_NS6detail17trampoline_kernelINS0_14default_configENS1_25partition_config_selectorILNS1_17partition_subalgoE8ElNS0_10empty_typeEbEEZZNS1_14partition_implILS5_8ELb0ES3_jPlPS6_PKS6_NS0_5tupleIJS9_S6_EEENSD_IJSA_SA_EEENS0_18inequality_wrapperIZN2at6native12_GLOBAL__N_124unique_dim_cuda_templateIjEESt5tupleIJNSH_6TensorESM_SM_EERKSM_lbbbEUlllE0_EEPmJS6_EEE10hipError_tPvRmT3_T4_T5_T6_T7_T9_mT8_P12ihipStream_tbDpT10_ENKUlT_T0_E_clISt17integral_constantIbLb1EES1C_EEDaS17_S18_EUlS17_E_NS1_11comp_targetILNS1_3genE9ELNS1_11target_archE1100ELNS1_3gpuE3ELNS1_3repE0EEENS1_30default_config_static_selectorELNS0_4arch9wavefront6targetE1EEEvT1_ ; -- Begin function _ZN7rocprim17ROCPRIM_400000_NS6detail17trampoline_kernelINS0_14default_configENS1_25partition_config_selectorILNS1_17partition_subalgoE8ElNS0_10empty_typeEbEEZZNS1_14partition_implILS5_8ELb0ES3_jPlPS6_PKS6_NS0_5tupleIJS9_S6_EEENSD_IJSA_SA_EEENS0_18inequality_wrapperIZN2at6native12_GLOBAL__N_124unique_dim_cuda_templateIjEESt5tupleIJNSH_6TensorESM_SM_EERKSM_lbbbEUlllE0_EEPmJS6_EEE10hipError_tPvRmT3_T4_T5_T6_T7_T9_mT8_P12ihipStream_tbDpT10_ENKUlT_T0_E_clISt17integral_constantIbLb1EES1C_EEDaS17_S18_EUlS17_E_NS1_11comp_targetILNS1_3genE9ELNS1_11target_archE1100ELNS1_3gpuE3ELNS1_3repE0EEENS1_30default_config_static_selectorELNS0_4arch9wavefront6targetE1EEEvT1_
	.p2align	8
	.type	_ZN7rocprim17ROCPRIM_400000_NS6detail17trampoline_kernelINS0_14default_configENS1_25partition_config_selectorILNS1_17partition_subalgoE8ElNS0_10empty_typeEbEEZZNS1_14partition_implILS5_8ELb0ES3_jPlPS6_PKS6_NS0_5tupleIJS9_S6_EEENSD_IJSA_SA_EEENS0_18inequality_wrapperIZN2at6native12_GLOBAL__N_124unique_dim_cuda_templateIjEESt5tupleIJNSH_6TensorESM_SM_EERKSM_lbbbEUlllE0_EEPmJS6_EEE10hipError_tPvRmT3_T4_T5_T6_T7_T9_mT8_P12ihipStream_tbDpT10_ENKUlT_T0_E_clISt17integral_constantIbLb1EES1C_EEDaS17_S18_EUlS17_E_NS1_11comp_targetILNS1_3genE9ELNS1_11target_archE1100ELNS1_3gpuE3ELNS1_3repE0EEENS1_30default_config_static_selectorELNS0_4arch9wavefront6targetE1EEEvT1_,@function
_ZN7rocprim17ROCPRIM_400000_NS6detail17trampoline_kernelINS0_14default_configENS1_25partition_config_selectorILNS1_17partition_subalgoE8ElNS0_10empty_typeEbEEZZNS1_14partition_implILS5_8ELb0ES3_jPlPS6_PKS6_NS0_5tupleIJS9_S6_EEENSD_IJSA_SA_EEENS0_18inequality_wrapperIZN2at6native12_GLOBAL__N_124unique_dim_cuda_templateIjEESt5tupleIJNSH_6TensorESM_SM_EERKSM_lbbbEUlllE0_EEPmJS6_EEE10hipError_tPvRmT3_T4_T5_T6_T7_T9_mT8_P12ihipStream_tbDpT10_ENKUlT_T0_E_clISt17integral_constantIbLb1EES1C_EEDaS17_S18_EUlS17_E_NS1_11comp_targetILNS1_3genE9ELNS1_11target_archE1100ELNS1_3gpuE3ELNS1_3repE0EEENS1_30default_config_static_selectorELNS0_4arch9wavefront6targetE1EEEvT1_: ; @_ZN7rocprim17ROCPRIM_400000_NS6detail17trampoline_kernelINS0_14default_configENS1_25partition_config_selectorILNS1_17partition_subalgoE8ElNS0_10empty_typeEbEEZZNS1_14partition_implILS5_8ELb0ES3_jPlPS6_PKS6_NS0_5tupleIJS9_S6_EEENSD_IJSA_SA_EEENS0_18inequality_wrapperIZN2at6native12_GLOBAL__N_124unique_dim_cuda_templateIjEESt5tupleIJNSH_6TensorESM_SM_EERKSM_lbbbEUlllE0_EEPmJS6_EEE10hipError_tPvRmT3_T4_T5_T6_T7_T9_mT8_P12ihipStream_tbDpT10_ENKUlT_T0_E_clISt17integral_constantIbLb1EES1C_EEDaS17_S18_EUlS17_E_NS1_11comp_targetILNS1_3genE9ELNS1_11target_archE1100ELNS1_3gpuE3ELNS1_3repE0EEENS1_30default_config_static_selectorELNS0_4arch9wavefront6targetE1EEEvT1_
; %bb.0:
	.section	.rodata,"a",@progbits
	.p2align	6, 0x0
	.amdhsa_kernel _ZN7rocprim17ROCPRIM_400000_NS6detail17trampoline_kernelINS0_14default_configENS1_25partition_config_selectorILNS1_17partition_subalgoE8ElNS0_10empty_typeEbEEZZNS1_14partition_implILS5_8ELb0ES3_jPlPS6_PKS6_NS0_5tupleIJS9_S6_EEENSD_IJSA_SA_EEENS0_18inequality_wrapperIZN2at6native12_GLOBAL__N_124unique_dim_cuda_templateIjEESt5tupleIJNSH_6TensorESM_SM_EERKSM_lbbbEUlllE0_EEPmJS6_EEE10hipError_tPvRmT3_T4_T5_T6_T7_T9_mT8_P12ihipStream_tbDpT10_ENKUlT_T0_E_clISt17integral_constantIbLb1EES1C_EEDaS17_S18_EUlS17_E_NS1_11comp_targetILNS1_3genE9ELNS1_11target_archE1100ELNS1_3gpuE3ELNS1_3repE0EEENS1_30default_config_static_selectorELNS0_4arch9wavefront6targetE1EEEvT1_
		.amdhsa_group_segment_fixed_size 0
		.amdhsa_private_segment_fixed_size 0
		.amdhsa_kernarg_size 136
		.amdhsa_user_sgpr_count 2
		.amdhsa_user_sgpr_dispatch_ptr 0
		.amdhsa_user_sgpr_queue_ptr 0
		.amdhsa_user_sgpr_kernarg_segment_ptr 1
		.amdhsa_user_sgpr_dispatch_id 0
		.amdhsa_user_sgpr_kernarg_preload_length 0
		.amdhsa_user_sgpr_kernarg_preload_offset 0
		.amdhsa_user_sgpr_private_segment_size 0
		.amdhsa_uses_dynamic_stack 0
		.amdhsa_enable_private_segment 0
		.amdhsa_system_sgpr_workgroup_id_x 1
		.amdhsa_system_sgpr_workgroup_id_y 0
		.amdhsa_system_sgpr_workgroup_id_z 0
		.amdhsa_system_sgpr_workgroup_info 0
		.amdhsa_system_vgpr_workitem_id 0
		.amdhsa_next_free_vgpr 1
		.amdhsa_next_free_sgpr 0
		.amdhsa_accum_offset 4
		.amdhsa_reserve_vcc 0
		.amdhsa_float_round_mode_32 0
		.amdhsa_float_round_mode_16_64 0
		.amdhsa_float_denorm_mode_32 3
		.amdhsa_float_denorm_mode_16_64 3
		.amdhsa_dx10_clamp 1
		.amdhsa_ieee_mode 1
		.amdhsa_fp16_overflow 0
		.amdhsa_tg_split 0
		.amdhsa_exception_fp_ieee_invalid_op 0
		.amdhsa_exception_fp_denorm_src 0
		.amdhsa_exception_fp_ieee_div_zero 0
		.amdhsa_exception_fp_ieee_overflow 0
		.amdhsa_exception_fp_ieee_underflow 0
		.amdhsa_exception_fp_ieee_inexact 0
		.amdhsa_exception_int_div_zero 0
	.end_amdhsa_kernel
	.section	.text._ZN7rocprim17ROCPRIM_400000_NS6detail17trampoline_kernelINS0_14default_configENS1_25partition_config_selectorILNS1_17partition_subalgoE8ElNS0_10empty_typeEbEEZZNS1_14partition_implILS5_8ELb0ES3_jPlPS6_PKS6_NS0_5tupleIJS9_S6_EEENSD_IJSA_SA_EEENS0_18inequality_wrapperIZN2at6native12_GLOBAL__N_124unique_dim_cuda_templateIjEESt5tupleIJNSH_6TensorESM_SM_EERKSM_lbbbEUlllE0_EEPmJS6_EEE10hipError_tPvRmT3_T4_T5_T6_T7_T9_mT8_P12ihipStream_tbDpT10_ENKUlT_T0_E_clISt17integral_constantIbLb1EES1C_EEDaS17_S18_EUlS17_E_NS1_11comp_targetILNS1_3genE9ELNS1_11target_archE1100ELNS1_3gpuE3ELNS1_3repE0EEENS1_30default_config_static_selectorELNS0_4arch9wavefront6targetE1EEEvT1_,"axG",@progbits,_ZN7rocprim17ROCPRIM_400000_NS6detail17trampoline_kernelINS0_14default_configENS1_25partition_config_selectorILNS1_17partition_subalgoE8ElNS0_10empty_typeEbEEZZNS1_14partition_implILS5_8ELb0ES3_jPlPS6_PKS6_NS0_5tupleIJS9_S6_EEENSD_IJSA_SA_EEENS0_18inequality_wrapperIZN2at6native12_GLOBAL__N_124unique_dim_cuda_templateIjEESt5tupleIJNSH_6TensorESM_SM_EERKSM_lbbbEUlllE0_EEPmJS6_EEE10hipError_tPvRmT3_T4_T5_T6_T7_T9_mT8_P12ihipStream_tbDpT10_ENKUlT_T0_E_clISt17integral_constantIbLb1EES1C_EEDaS17_S18_EUlS17_E_NS1_11comp_targetILNS1_3genE9ELNS1_11target_archE1100ELNS1_3gpuE3ELNS1_3repE0EEENS1_30default_config_static_selectorELNS0_4arch9wavefront6targetE1EEEvT1_,comdat
.Lfunc_end1555:
	.size	_ZN7rocprim17ROCPRIM_400000_NS6detail17trampoline_kernelINS0_14default_configENS1_25partition_config_selectorILNS1_17partition_subalgoE8ElNS0_10empty_typeEbEEZZNS1_14partition_implILS5_8ELb0ES3_jPlPS6_PKS6_NS0_5tupleIJS9_S6_EEENSD_IJSA_SA_EEENS0_18inequality_wrapperIZN2at6native12_GLOBAL__N_124unique_dim_cuda_templateIjEESt5tupleIJNSH_6TensorESM_SM_EERKSM_lbbbEUlllE0_EEPmJS6_EEE10hipError_tPvRmT3_T4_T5_T6_T7_T9_mT8_P12ihipStream_tbDpT10_ENKUlT_T0_E_clISt17integral_constantIbLb1EES1C_EEDaS17_S18_EUlS17_E_NS1_11comp_targetILNS1_3genE9ELNS1_11target_archE1100ELNS1_3gpuE3ELNS1_3repE0EEENS1_30default_config_static_selectorELNS0_4arch9wavefront6targetE1EEEvT1_, .Lfunc_end1555-_ZN7rocprim17ROCPRIM_400000_NS6detail17trampoline_kernelINS0_14default_configENS1_25partition_config_selectorILNS1_17partition_subalgoE8ElNS0_10empty_typeEbEEZZNS1_14partition_implILS5_8ELb0ES3_jPlPS6_PKS6_NS0_5tupleIJS9_S6_EEENSD_IJSA_SA_EEENS0_18inequality_wrapperIZN2at6native12_GLOBAL__N_124unique_dim_cuda_templateIjEESt5tupleIJNSH_6TensorESM_SM_EERKSM_lbbbEUlllE0_EEPmJS6_EEE10hipError_tPvRmT3_T4_T5_T6_T7_T9_mT8_P12ihipStream_tbDpT10_ENKUlT_T0_E_clISt17integral_constantIbLb1EES1C_EEDaS17_S18_EUlS17_E_NS1_11comp_targetILNS1_3genE9ELNS1_11target_archE1100ELNS1_3gpuE3ELNS1_3repE0EEENS1_30default_config_static_selectorELNS0_4arch9wavefront6targetE1EEEvT1_
                                        ; -- End function
	.set _ZN7rocprim17ROCPRIM_400000_NS6detail17trampoline_kernelINS0_14default_configENS1_25partition_config_selectorILNS1_17partition_subalgoE8ElNS0_10empty_typeEbEEZZNS1_14partition_implILS5_8ELb0ES3_jPlPS6_PKS6_NS0_5tupleIJS9_S6_EEENSD_IJSA_SA_EEENS0_18inequality_wrapperIZN2at6native12_GLOBAL__N_124unique_dim_cuda_templateIjEESt5tupleIJNSH_6TensorESM_SM_EERKSM_lbbbEUlllE0_EEPmJS6_EEE10hipError_tPvRmT3_T4_T5_T6_T7_T9_mT8_P12ihipStream_tbDpT10_ENKUlT_T0_E_clISt17integral_constantIbLb1EES1C_EEDaS17_S18_EUlS17_E_NS1_11comp_targetILNS1_3genE9ELNS1_11target_archE1100ELNS1_3gpuE3ELNS1_3repE0EEENS1_30default_config_static_selectorELNS0_4arch9wavefront6targetE1EEEvT1_.num_vgpr, 0
	.set _ZN7rocprim17ROCPRIM_400000_NS6detail17trampoline_kernelINS0_14default_configENS1_25partition_config_selectorILNS1_17partition_subalgoE8ElNS0_10empty_typeEbEEZZNS1_14partition_implILS5_8ELb0ES3_jPlPS6_PKS6_NS0_5tupleIJS9_S6_EEENSD_IJSA_SA_EEENS0_18inequality_wrapperIZN2at6native12_GLOBAL__N_124unique_dim_cuda_templateIjEESt5tupleIJNSH_6TensorESM_SM_EERKSM_lbbbEUlllE0_EEPmJS6_EEE10hipError_tPvRmT3_T4_T5_T6_T7_T9_mT8_P12ihipStream_tbDpT10_ENKUlT_T0_E_clISt17integral_constantIbLb1EES1C_EEDaS17_S18_EUlS17_E_NS1_11comp_targetILNS1_3genE9ELNS1_11target_archE1100ELNS1_3gpuE3ELNS1_3repE0EEENS1_30default_config_static_selectorELNS0_4arch9wavefront6targetE1EEEvT1_.num_agpr, 0
	.set _ZN7rocprim17ROCPRIM_400000_NS6detail17trampoline_kernelINS0_14default_configENS1_25partition_config_selectorILNS1_17partition_subalgoE8ElNS0_10empty_typeEbEEZZNS1_14partition_implILS5_8ELb0ES3_jPlPS6_PKS6_NS0_5tupleIJS9_S6_EEENSD_IJSA_SA_EEENS0_18inequality_wrapperIZN2at6native12_GLOBAL__N_124unique_dim_cuda_templateIjEESt5tupleIJNSH_6TensorESM_SM_EERKSM_lbbbEUlllE0_EEPmJS6_EEE10hipError_tPvRmT3_T4_T5_T6_T7_T9_mT8_P12ihipStream_tbDpT10_ENKUlT_T0_E_clISt17integral_constantIbLb1EES1C_EEDaS17_S18_EUlS17_E_NS1_11comp_targetILNS1_3genE9ELNS1_11target_archE1100ELNS1_3gpuE3ELNS1_3repE0EEENS1_30default_config_static_selectorELNS0_4arch9wavefront6targetE1EEEvT1_.numbered_sgpr, 0
	.set _ZN7rocprim17ROCPRIM_400000_NS6detail17trampoline_kernelINS0_14default_configENS1_25partition_config_selectorILNS1_17partition_subalgoE8ElNS0_10empty_typeEbEEZZNS1_14partition_implILS5_8ELb0ES3_jPlPS6_PKS6_NS0_5tupleIJS9_S6_EEENSD_IJSA_SA_EEENS0_18inequality_wrapperIZN2at6native12_GLOBAL__N_124unique_dim_cuda_templateIjEESt5tupleIJNSH_6TensorESM_SM_EERKSM_lbbbEUlllE0_EEPmJS6_EEE10hipError_tPvRmT3_T4_T5_T6_T7_T9_mT8_P12ihipStream_tbDpT10_ENKUlT_T0_E_clISt17integral_constantIbLb1EES1C_EEDaS17_S18_EUlS17_E_NS1_11comp_targetILNS1_3genE9ELNS1_11target_archE1100ELNS1_3gpuE3ELNS1_3repE0EEENS1_30default_config_static_selectorELNS0_4arch9wavefront6targetE1EEEvT1_.num_named_barrier, 0
	.set _ZN7rocprim17ROCPRIM_400000_NS6detail17trampoline_kernelINS0_14default_configENS1_25partition_config_selectorILNS1_17partition_subalgoE8ElNS0_10empty_typeEbEEZZNS1_14partition_implILS5_8ELb0ES3_jPlPS6_PKS6_NS0_5tupleIJS9_S6_EEENSD_IJSA_SA_EEENS0_18inequality_wrapperIZN2at6native12_GLOBAL__N_124unique_dim_cuda_templateIjEESt5tupleIJNSH_6TensorESM_SM_EERKSM_lbbbEUlllE0_EEPmJS6_EEE10hipError_tPvRmT3_T4_T5_T6_T7_T9_mT8_P12ihipStream_tbDpT10_ENKUlT_T0_E_clISt17integral_constantIbLb1EES1C_EEDaS17_S18_EUlS17_E_NS1_11comp_targetILNS1_3genE9ELNS1_11target_archE1100ELNS1_3gpuE3ELNS1_3repE0EEENS1_30default_config_static_selectorELNS0_4arch9wavefront6targetE1EEEvT1_.private_seg_size, 0
	.set _ZN7rocprim17ROCPRIM_400000_NS6detail17trampoline_kernelINS0_14default_configENS1_25partition_config_selectorILNS1_17partition_subalgoE8ElNS0_10empty_typeEbEEZZNS1_14partition_implILS5_8ELb0ES3_jPlPS6_PKS6_NS0_5tupleIJS9_S6_EEENSD_IJSA_SA_EEENS0_18inequality_wrapperIZN2at6native12_GLOBAL__N_124unique_dim_cuda_templateIjEESt5tupleIJNSH_6TensorESM_SM_EERKSM_lbbbEUlllE0_EEPmJS6_EEE10hipError_tPvRmT3_T4_T5_T6_T7_T9_mT8_P12ihipStream_tbDpT10_ENKUlT_T0_E_clISt17integral_constantIbLb1EES1C_EEDaS17_S18_EUlS17_E_NS1_11comp_targetILNS1_3genE9ELNS1_11target_archE1100ELNS1_3gpuE3ELNS1_3repE0EEENS1_30default_config_static_selectorELNS0_4arch9wavefront6targetE1EEEvT1_.uses_vcc, 0
	.set _ZN7rocprim17ROCPRIM_400000_NS6detail17trampoline_kernelINS0_14default_configENS1_25partition_config_selectorILNS1_17partition_subalgoE8ElNS0_10empty_typeEbEEZZNS1_14partition_implILS5_8ELb0ES3_jPlPS6_PKS6_NS0_5tupleIJS9_S6_EEENSD_IJSA_SA_EEENS0_18inequality_wrapperIZN2at6native12_GLOBAL__N_124unique_dim_cuda_templateIjEESt5tupleIJNSH_6TensorESM_SM_EERKSM_lbbbEUlllE0_EEPmJS6_EEE10hipError_tPvRmT3_T4_T5_T6_T7_T9_mT8_P12ihipStream_tbDpT10_ENKUlT_T0_E_clISt17integral_constantIbLb1EES1C_EEDaS17_S18_EUlS17_E_NS1_11comp_targetILNS1_3genE9ELNS1_11target_archE1100ELNS1_3gpuE3ELNS1_3repE0EEENS1_30default_config_static_selectorELNS0_4arch9wavefront6targetE1EEEvT1_.uses_flat_scratch, 0
	.set _ZN7rocprim17ROCPRIM_400000_NS6detail17trampoline_kernelINS0_14default_configENS1_25partition_config_selectorILNS1_17partition_subalgoE8ElNS0_10empty_typeEbEEZZNS1_14partition_implILS5_8ELb0ES3_jPlPS6_PKS6_NS0_5tupleIJS9_S6_EEENSD_IJSA_SA_EEENS0_18inequality_wrapperIZN2at6native12_GLOBAL__N_124unique_dim_cuda_templateIjEESt5tupleIJNSH_6TensorESM_SM_EERKSM_lbbbEUlllE0_EEPmJS6_EEE10hipError_tPvRmT3_T4_T5_T6_T7_T9_mT8_P12ihipStream_tbDpT10_ENKUlT_T0_E_clISt17integral_constantIbLb1EES1C_EEDaS17_S18_EUlS17_E_NS1_11comp_targetILNS1_3genE9ELNS1_11target_archE1100ELNS1_3gpuE3ELNS1_3repE0EEENS1_30default_config_static_selectorELNS0_4arch9wavefront6targetE1EEEvT1_.has_dyn_sized_stack, 0
	.set _ZN7rocprim17ROCPRIM_400000_NS6detail17trampoline_kernelINS0_14default_configENS1_25partition_config_selectorILNS1_17partition_subalgoE8ElNS0_10empty_typeEbEEZZNS1_14partition_implILS5_8ELb0ES3_jPlPS6_PKS6_NS0_5tupleIJS9_S6_EEENSD_IJSA_SA_EEENS0_18inequality_wrapperIZN2at6native12_GLOBAL__N_124unique_dim_cuda_templateIjEESt5tupleIJNSH_6TensorESM_SM_EERKSM_lbbbEUlllE0_EEPmJS6_EEE10hipError_tPvRmT3_T4_T5_T6_T7_T9_mT8_P12ihipStream_tbDpT10_ENKUlT_T0_E_clISt17integral_constantIbLb1EES1C_EEDaS17_S18_EUlS17_E_NS1_11comp_targetILNS1_3genE9ELNS1_11target_archE1100ELNS1_3gpuE3ELNS1_3repE0EEENS1_30default_config_static_selectorELNS0_4arch9wavefront6targetE1EEEvT1_.has_recursion, 0
	.set _ZN7rocprim17ROCPRIM_400000_NS6detail17trampoline_kernelINS0_14default_configENS1_25partition_config_selectorILNS1_17partition_subalgoE8ElNS0_10empty_typeEbEEZZNS1_14partition_implILS5_8ELb0ES3_jPlPS6_PKS6_NS0_5tupleIJS9_S6_EEENSD_IJSA_SA_EEENS0_18inequality_wrapperIZN2at6native12_GLOBAL__N_124unique_dim_cuda_templateIjEESt5tupleIJNSH_6TensorESM_SM_EERKSM_lbbbEUlllE0_EEPmJS6_EEE10hipError_tPvRmT3_T4_T5_T6_T7_T9_mT8_P12ihipStream_tbDpT10_ENKUlT_T0_E_clISt17integral_constantIbLb1EES1C_EEDaS17_S18_EUlS17_E_NS1_11comp_targetILNS1_3genE9ELNS1_11target_archE1100ELNS1_3gpuE3ELNS1_3repE0EEENS1_30default_config_static_selectorELNS0_4arch9wavefront6targetE1EEEvT1_.has_indirect_call, 0
	.section	.AMDGPU.csdata,"",@progbits
; Kernel info:
; codeLenInByte = 0
; TotalNumSgprs: 6
; NumVgprs: 0
; NumAgprs: 0
; TotalNumVgprs: 0
; ScratchSize: 0
; MemoryBound: 0
; FloatMode: 240
; IeeeMode: 1
; LDSByteSize: 0 bytes/workgroup (compile time only)
; SGPRBlocks: 0
; VGPRBlocks: 0
; NumSGPRsForWavesPerEU: 6
; NumVGPRsForWavesPerEU: 1
; AccumOffset: 4
; Occupancy: 8
; WaveLimiterHint : 0
; COMPUTE_PGM_RSRC2:SCRATCH_EN: 0
; COMPUTE_PGM_RSRC2:USER_SGPR: 2
; COMPUTE_PGM_RSRC2:TRAP_HANDLER: 0
; COMPUTE_PGM_RSRC2:TGID_X_EN: 1
; COMPUTE_PGM_RSRC2:TGID_Y_EN: 0
; COMPUTE_PGM_RSRC2:TGID_Z_EN: 0
; COMPUTE_PGM_RSRC2:TIDIG_COMP_CNT: 0
; COMPUTE_PGM_RSRC3_GFX90A:ACCUM_OFFSET: 0
; COMPUTE_PGM_RSRC3_GFX90A:TG_SPLIT: 0
	.section	.text._ZN7rocprim17ROCPRIM_400000_NS6detail17trampoline_kernelINS0_14default_configENS1_25partition_config_selectorILNS1_17partition_subalgoE8ElNS0_10empty_typeEbEEZZNS1_14partition_implILS5_8ELb0ES3_jPlPS6_PKS6_NS0_5tupleIJS9_S6_EEENSD_IJSA_SA_EEENS0_18inequality_wrapperIZN2at6native12_GLOBAL__N_124unique_dim_cuda_templateIjEESt5tupleIJNSH_6TensorESM_SM_EERKSM_lbbbEUlllE0_EEPmJS6_EEE10hipError_tPvRmT3_T4_T5_T6_T7_T9_mT8_P12ihipStream_tbDpT10_ENKUlT_T0_E_clISt17integral_constantIbLb1EES1C_EEDaS17_S18_EUlS17_E_NS1_11comp_targetILNS1_3genE8ELNS1_11target_archE1030ELNS1_3gpuE2ELNS1_3repE0EEENS1_30default_config_static_selectorELNS0_4arch9wavefront6targetE1EEEvT1_,"axG",@progbits,_ZN7rocprim17ROCPRIM_400000_NS6detail17trampoline_kernelINS0_14default_configENS1_25partition_config_selectorILNS1_17partition_subalgoE8ElNS0_10empty_typeEbEEZZNS1_14partition_implILS5_8ELb0ES3_jPlPS6_PKS6_NS0_5tupleIJS9_S6_EEENSD_IJSA_SA_EEENS0_18inequality_wrapperIZN2at6native12_GLOBAL__N_124unique_dim_cuda_templateIjEESt5tupleIJNSH_6TensorESM_SM_EERKSM_lbbbEUlllE0_EEPmJS6_EEE10hipError_tPvRmT3_T4_T5_T6_T7_T9_mT8_P12ihipStream_tbDpT10_ENKUlT_T0_E_clISt17integral_constantIbLb1EES1C_EEDaS17_S18_EUlS17_E_NS1_11comp_targetILNS1_3genE8ELNS1_11target_archE1030ELNS1_3gpuE2ELNS1_3repE0EEENS1_30default_config_static_selectorELNS0_4arch9wavefront6targetE1EEEvT1_,comdat
	.globl	_ZN7rocprim17ROCPRIM_400000_NS6detail17trampoline_kernelINS0_14default_configENS1_25partition_config_selectorILNS1_17partition_subalgoE8ElNS0_10empty_typeEbEEZZNS1_14partition_implILS5_8ELb0ES3_jPlPS6_PKS6_NS0_5tupleIJS9_S6_EEENSD_IJSA_SA_EEENS0_18inequality_wrapperIZN2at6native12_GLOBAL__N_124unique_dim_cuda_templateIjEESt5tupleIJNSH_6TensorESM_SM_EERKSM_lbbbEUlllE0_EEPmJS6_EEE10hipError_tPvRmT3_T4_T5_T6_T7_T9_mT8_P12ihipStream_tbDpT10_ENKUlT_T0_E_clISt17integral_constantIbLb1EES1C_EEDaS17_S18_EUlS17_E_NS1_11comp_targetILNS1_3genE8ELNS1_11target_archE1030ELNS1_3gpuE2ELNS1_3repE0EEENS1_30default_config_static_selectorELNS0_4arch9wavefront6targetE1EEEvT1_ ; -- Begin function _ZN7rocprim17ROCPRIM_400000_NS6detail17trampoline_kernelINS0_14default_configENS1_25partition_config_selectorILNS1_17partition_subalgoE8ElNS0_10empty_typeEbEEZZNS1_14partition_implILS5_8ELb0ES3_jPlPS6_PKS6_NS0_5tupleIJS9_S6_EEENSD_IJSA_SA_EEENS0_18inequality_wrapperIZN2at6native12_GLOBAL__N_124unique_dim_cuda_templateIjEESt5tupleIJNSH_6TensorESM_SM_EERKSM_lbbbEUlllE0_EEPmJS6_EEE10hipError_tPvRmT3_T4_T5_T6_T7_T9_mT8_P12ihipStream_tbDpT10_ENKUlT_T0_E_clISt17integral_constantIbLb1EES1C_EEDaS17_S18_EUlS17_E_NS1_11comp_targetILNS1_3genE8ELNS1_11target_archE1030ELNS1_3gpuE2ELNS1_3repE0EEENS1_30default_config_static_selectorELNS0_4arch9wavefront6targetE1EEEvT1_
	.p2align	8
	.type	_ZN7rocprim17ROCPRIM_400000_NS6detail17trampoline_kernelINS0_14default_configENS1_25partition_config_selectorILNS1_17partition_subalgoE8ElNS0_10empty_typeEbEEZZNS1_14partition_implILS5_8ELb0ES3_jPlPS6_PKS6_NS0_5tupleIJS9_S6_EEENSD_IJSA_SA_EEENS0_18inequality_wrapperIZN2at6native12_GLOBAL__N_124unique_dim_cuda_templateIjEESt5tupleIJNSH_6TensorESM_SM_EERKSM_lbbbEUlllE0_EEPmJS6_EEE10hipError_tPvRmT3_T4_T5_T6_T7_T9_mT8_P12ihipStream_tbDpT10_ENKUlT_T0_E_clISt17integral_constantIbLb1EES1C_EEDaS17_S18_EUlS17_E_NS1_11comp_targetILNS1_3genE8ELNS1_11target_archE1030ELNS1_3gpuE2ELNS1_3repE0EEENS1_30default_config_static_selectorELNS0_4arch9wavefront6targetE1EEEvT1_,@function
_ZN7rocprim17ROCPRIM_400000_NS6detail17trampoline_kernelINS0_14default_configENS1_25partition_config_selectorILNS1_17partition_subalgoE8ElNS0_10empty_typeEbEEZZNS1_14partition_implILS5_8ELb0ES3_jPlPS6_PKS6_NS0_5tupleIJS9_S6_EEENSD_IJSA_SA_EEENS0_18inequality_wrapperIZN2at6native12_GLOBAL__N_124unique_dim_cuda_templateIjEESt5tupleIJNSH_6TensorESM_SM_EERKSM_lbbbEUlllE0_EEPmJS6_EEE10hipError_tPvRmT3_T4_T5_T6_T7_T9_mT8_P12ihipStream_tbDpT10_ENKUlT_T0_E_clISt17integral_constantIbLb1EES1C_EEDaS17_S18_EUlS17_E_NS1_11comp_targetILNS1_3genE8ELNS1_11target_archE1030ELNS1_3gpuE2ELNS1_3repE0EEENS1_30default_config_static_selectorELNS0_4arch9wavefront6targetE1EEEvT1_: ; @_ZN7rocprim17ROCPRIM_400000_NS6detail17trampoline_kernelINS0_14default_configENS1_25partition_config_selectorILNS1_17partition_subalgoE8ElNS0_10empty_typeEbEEZZNS1_14partition_implILS5_8ELb0ES3_jPlPS6_PKS6_NS0_5tupleIJS9_S6_EEENSD_IJSA_SA_EEENS0_18inequality_wrapperIZN2at6native12_GLOBAL__N_124unique_dim_cuda_templateIjEESt5tupleIJNSH_6TensorESM_SM_EERKSM_lbbbEUlllE0_EEPmJS6_EEE10hipError_tPvRmT3_T4_T5_T6_T7_T9_mT8_P12ihipStream_tbDpT10_ENKUlT_T0_E_clISt17integral_constantIbLb1EES1C_EEDaS17_S18_EUlS17_E_NS1_11comp_targetILNS1_3genE8ELNS1_11target_archE1030ELNS1_3gpuE2ELNS1_3repE0EEENS1_30default_config_static_selectorELNS0_4arch9wavefront6targetE1EEEvT1_
; %bb.0:
	.section	.rodata,"a",@progbits
	.p2align	6, 0x0
	.amdhsa_kernel _ZN7rocprim17ROCPRIM_400000_NS6detail17trampoline_kernelINS0_14default_configENS1_25partition_config_selectorILNS1_17partition_subalgoE8ElNS0_10empty_typeEbEEZZNS1_14partition_implILS5_8ELb0ES3_jPlPS6_PKS6_NS0_5tupleIJS9_S6_EEENSD_IJSA_SA_EEENS0_18inequality_wrapperIZN2at6native12_GLOBAL__N_124unique_dim_cuda_templateIjEESt5tupleIJNSH_6TensorESM_SM_EERKSM_lbbbEUlllE0_EEPmJS6_EEE10hipError_tPvRmT3_T4_T5_T6_T7_T9_mT8_P12ihipStream_tbDpT10_ENKUlT_T0_E_clISt17integral_constantIbLb1EES1C_EEDaS17_S18_EUlS17_E_NS1_11comp_targetILNS1_3genE8ELNS1_11target_archE1030ELNS1_3gpuE2ELNS1_3repE0EEENS1_30default_config_static_selectorELNS0_4arch9wavefront6targetE1EEEvT1_
		.amdhsa_group_segment_fixed_size 0
		.amdhsa_private_segment_fixed_size 0
		.amdhsa_kernarg_size 136
		.amdhsa_user_sgpr_count 2
		.amdhsa_user_sgpr_dispatch_ptr 0
		.amdhsa_user_sgpr_queue_ptr 0
		.amdhsa_user_sgpr_kernarg_segment_ptr 1
		.amdhsa_user_sgpr_dispatch_id 0
		.amdhsa_user_sgpr_kernarg_preload_length 0
		.amdhsa_user_sgpr_kernarg_preload_offset 0
		.amdhsa_user_sgpr_private_segment_size 0
		.amdhsa_uses_dynamic_stack 0
		.amdhsa_enable_private_segment 0
		.amdhsa_system_sgpr_workgroup_id_x 1
		.amdhsa_system_sgpr_workgroup_id_y 0
		.amdhsa_system_sgpr_workgroup_id_z 0
		.amdhsa_system_sgpr_workgroup_info 0
		.amdhsa_system_vgpr_workitem_id 0
		.amdhsa_next_free_vgpr 1
		.amdhsa_next_free_sgpr 0
		.amdhsa_accum_offset 4
		.amdhsa_reserve_vcc 0
		.amdhsa_float_round_mode_32 0
		.amdhsa_float_round_mode_16_64 0
		.amdhsa_float_denorm_mode_32 3
		.amdhsa_float_denorm_mode_16_64 3
		.amdhsa_dx10_clamp 1
		.amdhsa_ieee_mode 1
		.amdhsa_fp16_overflow 0
		.amdhsa_tg_split 0
		.amdhsa_exception_fp_ieee_invalid_op 0
		.amdhsa_exception_fp_denorm_src 0
		.amdhsa_exception_fp_ieee_div_zero 0
		.amdhsa_exception_fp_ieee_overflow 0
		.amdhsa_exception_fp_ieee_underflow 0
		.amdhsa_exception_fp_ieee_inexact 0
		.amdhsa_exception_int_div_zero 0
	.end_amdhsa_kernel
	.section	.text._ZN7rocprim17ROCPRIM_400000_NS6detail17trampoline_kernelINS0_14default_configENS1_25partition_config_selectorILNS1_17partition_subalgoE8ElNS0_10empty_typeEbEEZZNS1_14partition_implILS5_8ELb0ES3_jPlPS6_PKS6_NS0_5tupleIJS9_S6_EEENSD_IJSA_SA_EEENS0_18inequality_wrapperIZN2at6native12_GLOBAL__N_124unique_dim_cuda_templateIjEESt5tupleIJNSH_6TensorESM_SM_EERKSM_lbbbEUlllE0_EEPmJS6_EEE10hipError_tPvRmT3_T4_T5_T6_T7_T9_mT8_P12ihipStream_tbDpT10_ENKUlT_T0_E_clISt17integral_constantIbLb1EES1C_EEDaS17_S18_EUlS17_E_NS1_11comp_targetILNS1_3genE8ELNS1_11target_archE1030ELNS1_3gpuE2ELNS1_3repE0EEENS1_30default_config_static_selectorELNS0_4arch9wavefront6targetE1EEEvT1_,"axG",@progbits,_ZN7rocprim17ROCPRIM_400000_NS6detail17trampoline_kernelINS0_14default_configENS1_25partition_config_selectorILNS1_17partition_subalgoE8ElNS0_10empty_typeEbEEZZNS1_14partition_implILS5_8ELb0ES3_jPlPS6_PKS6_NS0_5tupleIJS9_S6_EEENSD_IJSA_SA_EEENS0_18inequality_wrapperIZN2at6native12_GLOBAL__N_124unique_dim_cuda_templateIjEESt5tupleIJNSH_6TensorESM_SM_EERKSM_lbbbEUlllE0_EEPmJS6_EEE10hipError_tPvRmT3_T4_T5_T6_T7_T9_mT8_P12ihipStream_tbDpT10_ENKUlT_T0_E_clISt17integral_constantIbLb1EES1C_EEDaS17_S18_EUlS17_E_NS1_11comp_targetILNS1_3genE8ELNS1_11target_archE1030ELNS1_3gpuE2ELNS1_3repE0EEENS1_30default_config_static_selectorELNS0_4arch9wavefront6targetE1EEEvT1_,comdat
.Lfunc_end1556:
	.size	_ZN7rocprim17ROCPRIM_400000_NS6detail17trampoline_kernelINS0_14default_configENS1_25partition_config_selectorILNS1_17partition_subalgoE8ElNS0_10empty_typeEbEEZZNS1_14partition_implILS5_8ELb0ES3_jPlPS6_PKS6_NS0_5tupleIJS9_S6_EEENSD_IJSA_SA_EEENS0_18inequality_wrapperIZN2at6native12_GLOBAL__N_124unique_dim_cuda_templateIjEESt5tupleIJNSH_6TensorESM_SM_EERKSM_lbbbEUlllE0_EEPmJS6_EEE10hipError_tPvRmT3_T4_T5_T6_T7_T9_mT8_P12ihipStream_tbDpT10_ENKUlT_T0_E_clISt17integral_constantIbLb1EES1C_EEDaS17_S18_EUlS17_E_NS1_11comp_targetILNS1_3genE8ELNS1_11target_archE1030ELNS1_3gpuE2ELNS1_3repE0EEENS1_30default_config_static_selectorELNS0_4arch9wavefront6targetE1EEEvT1_, .Lfunc_end1556-_ZN7rocprim17ROCPRIM_400000_NS6detail17trampoline_kernelINS0_14default_configENS1_25partition_config_selectorILNS1_17partition_subalgoE8ElNS0_10empty_typeEbEEZZNS1_14partition_implILS5_8ELb0ES3_jPlPS6_PKS6_NS0_5tupleIJS9_S6_EEENSD_IJSA_SA_EEENS0_18inequality_wrapperIZN2at6native12_GLOBAL__N_124unique_dim_cuda_templateIjEESt5tupleIJNSH_6TensorESM_SM_EERKSM_lbbbEUlllE0_EEPmJS6_EEE10hipError_tPvRmT3_T4_T5_T6_T7_T9_mT8_P12ihipStream_tbDpT10_ENKUlT_T0_E_clISt17integral_constantIbLb1EES1C_EEDaS17_S18_EUlS17_E_NS1_11comp_targetILNS1_3genE8ELNS1_11target_archE1030ELNS1_3gpuE2ELNS1_3repE0EEENS1_30default_config_static_selectorELNS0_4arch9wavefront6targetE1EEEvT1_
                                        ; -- End function
	.set _ZN7rocprim17ROCPRIM_400000_NS6detail17trampoline_kernelINS0_14default_configENS1_25partition_config_selectorILNS1_17partition_subalgoE8ElNS0_10empty_typeEbEEZZNS1_14partition_implILS5_8ELb0ES3_jPlPS6_PKS6_NS0_5tupleIJS9_S6_EEENSD_IJSA_SA_EEENS0_18inequality_wrapperIZN2at6native12_GLOBAL__N_124unique_dim_cuda_templateIjEESt5tupleIJNSH_6TensorESM_SM_EERKSM_lbbbEUlllE0_EEPmJS6_EEE10hipError_tPvRmT3_T4_T5_T6_T7_T9_mT8_P12ihipStream_tbDpT10_ENKUlT_T0_E_clISt17integral_constantIbLb1EES1C_EEDaS17_S18_EUlS17_E_NS1_11comp_targetILNS1_3genE8ELNS1_11target_archE1030ELNS1_3gpuE2ELNS1_3repE0EEENS1_30default_config_static_selectorELNS0_4arch9wavefront6targetE1EEEvT1_.num_vgpr, 0
	.set _ZN7rocprim17ROCPRIM_400000_NS6detail17trampoline_kernelINS0_14default_configENS1_25partition_config_selectorILNS1_17partition_subalgoE8ElNS0_10empty_typeEbEEZZNS1_14partition_implILS5_8ELb0ES3_jPlPS6_PKS6_NS0_5tupleIJS9_S6_EEENSD_IJSA_SA_EEENS0_18inequality_wrapperIZN2at6native12_GLOBAL__N_124unique_dim_cuda_templateIjEESt5tupleIJNSH_6TensorESM_SM_EERKSM_lbbbEUlllE0_EEPmJS6_EEE10hipError_tPvRmT3_T4_T5_T6_T7_T9_mT8_P12ihipStream_tbDpT10_ENKUlT_T0_E_clISt17integral_constantIbLb1EES1C_EEDaS17_S18_EUlS17_E_NS1_11comp_targetILNS1_3genE8ELNS1_11target_archE1030ELNS1_3gpuE2ELNS1_3repE0EEENS1_30default_config_static_selectorELNS0_4arch9wavefront6targetE1EEEvT1_.num_agpr, 0
	.set _ZN7rocprim17ROCPRIM_400000_NS6detail17trampoline_kernelINS0_14default_configENS1_25partition_config_selectorILNS1_17partition_subalgoE8ElNS0_10empty_typeEbEEZZNS1_14partition_implILS5_8ELb0ES3_jPlPS6_PKS6_NS0_5tupleIJS9_S6_EEENSD_IJSA_SA_EEENS0_18inequality_wrapperIZN2at6native12_GLOBAL__N_124unique_dim_cuda_templateIjEESt5tupleIJNSH_6TensorESM_SM_EERKSM_lbbbEUlllE0_EEPmJS6_EEE10hipError_tPvRmT3_T4_T5_T6_T7_T9_mT8_P12ihipStream_tbDpT10_ENKUlT_T0_E_clISt17integral_constantIbLb1EES1C_EEDaS17_S18_EUlS17_E_NS1_11comp_targetILNS1_3genE8ELNS1_11target_archE1030ELNS1_3gpuE2ELNS1_3repE0EEENS1_30default_config_static_selectorELNS0_4arch9wavefront6targetE1EEEvT1_.numbered_sgpr, 0
	.set _ZN7rocprim17ROCPRIM_400000_NS6detail17trampoline_kernelINS0_14default_configENS1_25partition_config_selectorILNS1_17partition_subalgoE8ElNS0_10empty_typeEbEEZZNS1_14partition_implILS5_8ELb0ES3_jPlPS6_PKS6_NS0_5tupleIJS9_S6_EEENSD_IJSA_SA_EEENS0_18inequality_wrapperIZN2at6native12_GLOBAL__N_124unique_dim_cuda_templateIjEESt5tupleIJNSH_6TensorESM_SM_EERKSM_lbbbEUlllE0_EEPmJS6_EEE10hipError_tPvRmT3_T4_T5_T6_T7_T9_mT8_P12ihipStream_tbDpT10_ENKUlT_T0_E_clISt17integral_constantIbLb1EES1C_EEDaS17_S18_EUlS17_E_NS1_11comp_targetILNS1_3genE8ELNS1_11target_archE1030ELNS1_3gpuE2ELNS1_3repE0EEENS1_30default_config_static_selectorELNS0_4arch9wavefront6targetE1EEEvT1_.num_named_barrier, 0
	.set _ZN7rocprim17ROCPRIM_400000_NS6detail17trampoline_kernelINS0_14default_configENS1_25partition_config_selectorILNS1_17partition_subalgoE8ElNS0_10empty_typeEbEEZZNS1_14partition_implILS5_8ELb0ES3_jPlPS6_PKS6_NS0_5tupleIJS9_S6_EEENSD_IJSA_SA_EEENS0_18inequality_wrapperIZN2at6native12_GLOBAL__N_124unique_dim_cuda_templateIjEESt5tupleIJNSH_6TensorESM_SM_EERKSM_lbbbEUlllE0_EEPmJS6_EEE10hipError_tPvRmT3_T4_T5_T6_T7_T9_mT8_P12ihipStream_tbDpT10_ENKUlT_T0_E_clISt17integral_constantIbLb1EES1C_EEDaS17_S18_EUlS17_E_NS1_11comp_targetILNS1_3genE8ELNS1_11target_archE1030ELNS1_3gpuE2ELNS1_3repE0EEENS1_30default_config_static_selectorELNS0_4arch9wavefront6targetE1EEEvT1_.private_seg_size, 0
	.set _ZN7rocprim17ROCPRIM_400000_NS6detail17trampoline_kernelINS0_14default_configENS1_25partition_config_selectorILNS1_17partition_subalgoE8ElNS0_10empty_typeEbEEZZNS1_14partition_implILS5_8ELb0ES3_jPlPS6_PKS6_NS0_5tupleIJS9_S6_EEENSD_IJSA_SA_EEENS0_18inequality_wrapperIZN2at6native12_GLOBAL__N_124unique_dim_cuda_templateIjEESt5tupleIJNSH_6TensorESM_SM_EERKSM_lbbbEUlllE0_EEPmJS6_EEE10hipError_tPvRmT3_T4_T5_T6_T7_T9_mT8_P12ihipStream_tbDpT10_ENKUlT_T0_E_clISt17integral_constantIbLb1EES1C_EEDaS17_S18_EUlS17_E_NS1_11comp_targetILNS1_3genE8ELNS1_11target_archE1030ELNS1_3gpuE2ELNS1_3repE0EEENS1_30default_config_static_selectorELNS0_4arch9wavefront6targetE1EEEvT1_.uses_vcc, 0
	.set _ZN7rocprim17ROCPRIM_400000_NS6detail17trampoline_kernelINS0_14default_configENS1_25partition_config_selectorILNS1_17partition_subalgoE8ElNS0_10empty_typeEbEEZZNS1_14partition_implILS5_8ELb0ES3_jPlPS6_PKS6_NS0_5tupleIJS9_S6_EEENSD_IJSA_SA_EEENS0_18inequality_wrapperIZN2at6native12_GLOBAL__N_124unique_dim_cuda_templateIjEESt5tupleIJNSH_6TensorESM_SM_EERKSM_lbbbEUlllE0_EEPmJS6_EEE10hipError_tPvRmT3_T4_T5_T6_T7_T9_mT8_P12ihipStream_tbDpT10_ENKUlT_T0_E_clISt17integral_constantIbLb1EES1C_EEDaS17_S18_EUlS17_E_NS1_11comp_targetILNS1_3genE8ELNS1_11target_archE1030ELNS1_3gpuE2ELNS1_3repE0EEENS1_30default_config_static_selectorELNS0_4arch9wavefront6targetE1EEEvT1_.uses_flat_scratch, 0
	.set _ZN7rocprim17ROCPRIM_400000_NS6detail17trampoline_kernelINS0_14default_configENS1_25partition_config_selectorILNS1_17partition_subalgoE8ElNS0_10empty_typeEbEEZZNS1_14partition_implILS5_8ELb0ES3_jPlPS6_PKS6_NS0_5tupleIJS9_S6_EEENSD_IJSA_SA_EEENS0_18inequality_wrapperIZN2at6native12_GLOBAL__N_124unique_dim_cuda_templateIjEESt5tupleIJNSH_6TensorESM_SM_EERKSM_lbbbEUlllE0_EEPmJS6_EEE10hipError_tPvRmT3_T4_T5_T6_T7_T9_mT8_P12ihipStream_tbDpT10_ENKUlT_T0_E_clISt17integral_constantIbLb1EES1C_EEDaS17_S18_EUlS17_E_NS1_11comp_targetILNS1_3genE8ELNS1_11target_archE1030ELNS1_3gpuE2ELNS1_3repE0EEENS1_30default_config_static_selectorELNS0_4arch9wavefront6targetE1EEEvT1_.has_dyn_sized_stack, 0
	.set _ZN7rocprim17ROCPRIM_400000_NS6detail17trampoline_kernelINS0_14default_configENS1_25partition_config_selectorILNS1_17partition_subalgoE8ElNS0_10empty_typeEbEEZZNS1_14partition_implILS5_8ELb0ES3_jPlPS6_PKS6_NS0_5tupleIJS9_S6_EEENSD_IJSA_SA_EEENS0_18inequality_wrapperIZN2at6native12_GLOBAL__N_124unique_dim_cuda_templateIjEESt5tupleIJNSH_6TensorESM_SM_EERKSM_lbbbEUlllE0_EEPmJS6_EEE10hipError_tPvRmT3_T4_T5_T6_T7_T9_mT8_P12ihipStream_tbDpT10_ENKUlT_T0_E_clISt17integral_constantIbLb1EES1C_EEDaS17_S18_EUlS17_E_NS1_11comp_targetILNS1_3genE8ELNS1_11target_archE1030ELNS1_3gpuE2ELNS1_3repE0EEENS1_30default_config_static_selectorELNS0_4arch9wavefront6targetE1EEEvT1_.has_recursion, 0
	.set _ZN7rocprim17ROCPRIM_400000_NS6detail17trampoline_kernelINS0_14default_configENS1_25partition_config_selectorILNS1_17partition_subalgoE8ElNS0_10empty_typeEbEEZZNS1_14partition_implILS5_8ELb0ES3_jPlPS6_PKS6_NS0_5tupleIJS9_S6_EEENSD_IJSA_SA_EEENS0_18inequality_wrapperIZN2at6native12_GLOBAL__N_124unique_dim_cuda_templateIjEESt5tupleIJNSH_6TensorESM_SM_EERKSM_lbbbEUlllE0_EEPmJS6_EEE10hipError_tPvRmT3_T4_T5_T6_T7_T9_mT8_P12ihipStream_tbDpT10_ENKUlT_T0_E_clISt17integral_constantIbLb1EES1C_EEDaS17_S18_EUlS17_E_NS1_11comp_targetILNS1_3genE8ELNS1_11target_archE1030ELNS1_3gpuE2ELNS1_3repE0EEENS1_30default_config_static_selectorELNS0_4arch9wavefront6targetE1EEEvT1_.has_indirect_call, 0
	.section	.AMDGPU.csdata,"",@progbits
; Kernel info:
; codeLenInByte = 0
; TotalNumSgprs: 6
; NumVgprs: 0
; NumAgprs: 0
; TotalNumVgprs: 0
; ScratchSize: 0
; MemoryBound: 0
; FloatMode: 240
; IeeeMode: 1
; LDSByteSize: 0 bytes/workgroup (compile time only)
; SGPRBlocks: 0
; VGPRBlocks: 0
; NumSGPRsForWavesPerEU: 6
; NumVGPRsForWavesPerEU: 1
; AccumOffset: 4
; Occupancy: 8
; WaveLimiterHint : 0
; COMPUTE_PGM_RSRC2:SCRATCH_EN: 0
; COMPUTE_PGM_RSRC2:USER_SGPR: 2
; COMPUTE_PGM_RSRC2:TRAP_HANDLER: 0
; COMPUTE_PGM_RSRC2:TGID_X_EN: 1
; COMPUTE_PGM_RSRC2:TGID_Y_EN: 0
; COMPUTE_PGM_RSRC2:TGID_Z_EN: 0
; COMPUTE_PGM_RSRC2:TIDIG_COMP_CNT: 0
; COMPUTE_PGM_RSRC3_GFX90A:ACCUM_OFFSET: 0
; COMPUTE_PGM_RSRC3_GFX90A:TG_SPLIT: 0
	.section	.text._ZN7rocprim17ROCPRIM_400000_NS6detail17trampoline_kernelINS0_14default_configENS1_25partition_config_selectorILNS1_17partition_subalgoE8ElNS0_10empty_typeEbEEZZNS1_14partition_implILS5_8ELb0ES3_jPlPS6_PKS6_NS0_5tupleIJS9_S6_EEENSD_IJSA_SA_EEENS0_18inequality_wrapperIZN2at6native12_GLOBAL__N_124unique_dim_cuda_templateIjEESt5tupleIJNSH_6TensorESM_SM_EERKSM_lbbbEUlllE0_EEPmJS6_EEE10hipError_tPvRmT3_T4_T5_T6_T7_T9_mT8_P12ihipStream_tbDpT10_ENKUlT_T0_E_clISt17integral_constantIbLb1EES1B_IbLb0EEEEDaS17_S18_EUlS17_E_NS1_11comp_targetILNS1_3genE0ELNS1_11target_archE4294967295ELNS1_3gpuE0ELNS1_3repE0EEENS1_30default_config_static_selectorELNS0_4arch9wavefront6targetE1EEEvT1_,"axG",@progbits,_ZN7rocprim17ROCPRIM_400000_NS6detail17trampoline_kernelINS0_14default_configENS1_25partition_config_selectorILNS1_17partition_subalgoE8ElNS0_10empty_typeEbEEZZNS1_14partition_implILS5_8ELb0ES3_jPlPS6_PKS6_NS0_5tupleIJS9_S6_EEENSD_IJSA_SA_EEENS0_18inequality_wrapperIZN2at6native12_GLOBAL__N_124unique_dim_cuda_templateIjEESt5tupleIJNSH_6TensorESM_SM_EERKSM_lbbbEUlllE0_EEPmJS6_EEE10hipError_tPvRmT3_T4_T5_T6_T7_T9_mT8_P12ihipStream_tbDpT10_ENKUlT_T0_E_clISt17integral_constantIbLb1EES1B_IbLb0EEEEDaS17_S18_EUlS17_E_NS1_11comp_targetILNS1_3genE0ELNS1_11target_archE4294967295ELNS1_3gpuE0ELNS1_3repE0EEENS1_30default_config_static_selectorELNS0_4arch9wavefront6targetE1EEEvT1_,comdat
	.globl	_ZN7rocprim17ROCPRIM_400000_NS6detail17trampoline_kernelINS0_14default_configENS1_25partition_config_selectorILNS1_17partition_subalgoE8ElNS0_10empty_typeEbEEZZNS1_14partition_implILS5_8ELb0ES3_jPlPS6_PKS6_NS0_5tupleIJS9_S6_EEENSD_IJSA_SA_EEENS0_18inequality_wrapperIZN2at6native12_GLOBAL__N_124unique_dim_cuda_templateIjEESt5tupleIJNSH_6TensorESM_SM_EERKSM_lbbbEUlllE0_EEPmJS6_EEE10hipError_tPvRmT3_T4_T5_T6_T7_T9_mT8_P12ihipStream_tbDpT10_ENKUlT_T0_E_clISt17integral_constantIbLb1EES1B_IbLb0EEEEDaS17_S18_EUlS17_E_NS1_11comp_targetILNS1_3genE0ELNS1_11target_archE4294967295ELNS1_3gpuE0ELNS1_3repE0EEENS1_30default_config_static_selectorELNS0_4arch9wavefront6targetE1EEEvT1_ ; -- Begin function _ZN7rocprim17ROCPRIM_400000_NS6detail17trampoline_kernelINS0_14default_configENS1_25partition_config_selectorILNS1_17partition_subalgoE8ElNS0_10empty_typeEbEEZZNS1_14partition_implILS5_8ELb0ES3_jPlPS6_PKS6_NS0_5tupleIJS9_S6_EEENSD_IJSA_SA_EEENS0_18inequality_wrapperIZN2at6native12_GLOBAL__N_124unique_dim_cuda_templateIjEESt5tupleIJNSH_6TensorESM_SM_EERKSM_lbbbEUlllE0_EEPmJS6_EEE10hipError_tPvRmT3_T4_T5_T6_T7_T9_mT8_P12ihipStream_tbDpT10_ENKUlT_T0_E_clISt17integral_constantIbLb1EES1B_IbLb0EEEEDaS17_S18_EUlS17_E_NS1_11comp_targetILNS1_3genE0ELNS1_11target_archE4294967295ELNS1_3gpuE0ELNS1_3repE0EEENS1_30default_config_static_selectorELNS0_4arch9wavefront6targetE1EEEvT1_
	.p2align	8
	.type	_ZN7rocprim17ROCPRIM_400000_NS6detail17trampoline_kernelINS0_14default_configENS1_25partition_config_selectorILNS1_17partition_subalgoE8ElNS0_10empty_typeEbEEZZNS1_14partition_implILS5_8ELb0ES3_jPlPS6_PKS6_NS0_5tupleIJS9_S6_EEENSD_IJSA_SA_EEENS0_18inequality_wrapperIZN2at6native12_GLOBAL__N_124unique_dim_cuda_templateIjEESt5tupleIJNSH_6TensorESM_SM_EERKSM_lbbbEUlllE0_EEPmJS6_EEE10hipError_tPvRmT3_T4_T5_T6_T7_T9_mT8_P12ihipStream_tbDpT10_ENKUlT_T0_E_clISt17integral_constantIbLb1EES1B_IbLb0EEEEDaS17_S18_EUlS17_E_NS1_11comp_targetILNS1_3genE0ELNS1_11target_archE4294967295ELNS1_3gpuE0ELNS1_3repE0EEENS1_30default_config_static_selectorELNS0_4arch9wavefront6targetE1EEEvT1_,@function
_ZN7rocprim17ROCPRIM_400000_NS6detail17trampoline_kernelINS0_14default_configENS1_25partition_config_selectorILNS1_17partition_subalgoE8ElNS0_10empty_typeEbEEZZNS1_14partition_implILS5_8ELb0ES3_jPlPS6_PKS6_NS0_5tupleIJS9_S6_EEENSD_IJSA_SA_EEENS0_18inequality_wrapperIZN2at6native12_GLOBAL__N_124unique_dim_cuda_templateIjEESt5tupleIJNSH_6TensorESM_SM_EERKSM_lbbbEUlllE0_EEPmJS6_EEE10hipError_tPvRmT3_T4_T5_T6_T7_T9_mT8_P12ihipStream_tbDpT10_ENKUlT_T0_E_clISt17integral_constantIbLb1EES1B_IbLb0EEEEDaS17_S18_EUlS17_E_NS1_11comp_targetILNS1_3genE0ELNS1_11target_archE4294967295ELNS1_3gpuE0ELNS1_3repE0EEENS1_30default_config_static_selectorELNS0_4arch9wavefront6targetE1EEEvT1_: ; @_ZN7rocprim17ROCPRIM_400000_NS6detail17trampoline_kernelINS0_14default_configENS1_25partition_config_selectorILNS1_17partition_subalgoE8ElNS0_10empty_typeEbEEZZNS1_14partition_implILS5_8ELb0ES3_jPlPS6_PKS6_NS0_5tupleIJS9_S6_EEENSD_IJSA_SA_EEENS0_18inequality_wrapperIZN2at6native12_GLOBAL__N_124unique_dim_cuda_templateIjEESt5tupleIJNSH_6TensorESM_SM_EERKSM_lbbbEUlllE0_EEPmJS6_EEE10hipError_tPvRmT3_T4_T5_T6_T7_T9_mT8_P12ihipStream_tbDpT10_ENKUlT_T0_E_clISt17integral_constantIbLb1EES1B_IbLb0EEEEDaS17_S18_EUlS17_E_NS1_11comp_targetILNS1_3genE0ELNS1_11target_archE4294967295ELNS1_3gpuE0ELNS1_3repE0EEENS1_30default_config_static_selectorELNS0_4arch9wavefront6targetE1EEEvT1_
; %bb.0:
	s_endpgm
	.section	.rodata,"a",@progbits
	.p2align	6, 0x0
	.amdhsa_kernel _ZN7rocprim17ROCPRIM_400000_NS6detail17trampoline_kernelINS0_14default_configENS1_25partition_config_selectorILNS1_17partition_subalgoE8ElNS0_10empty_typeEbEEZZNS1_14partition_implILS5_8ELb0ES3_jPlPS6_PKS6_NS0_5tupleIJS9_S6_EEENSD_IJSA_SA_EEENS0_18inequality_wrapperIZN2at6native12_GLOBAL__N_124unique_dim_cuda_templateIjEESt5tupleIJNSH_6TensorESM_SM_EERKSM_lbbbEUlllE0_EEPmJS6_EEE10hipError_tPvRmT3_T4_T5_T6_T7_T9_mT8_P12ihipStream_tbDpT10_ENKUlT_T0_E_clISt17integral_constantIbLb1EES1B_IbLb0EEEEDaS17_S18_EUlS17_E_NS1_11comp_targetILNS1_3genE0ELNS1_11target_archE4294967295ELNS1_3gpuE0ELNS1_3repE0EEENS1_30default_config_static_selectorELNS0_4arch9wavefront6targetE1EEEvT1_
		.amdhsa_group_segment_fixed_size 0
		.amdhsa_private_segment_fixed_size 0
		.amdhsa_kernarg_size 120
		.amdhsa_user_sgpr_count 2
		.amdhsa_user_sgpr_dispatch_ptr 0
		.amdhsa_user_sgpr_queue_ptr 0
		.amdhsa_user_sgpr_kernarg_segment_ptr 1
		.amdhsa_user_sgpr_dispatch_id 0
		.amdhsa_user_sgpr_kernarg_preload_length 0
		.amdhsa_user_sgpr_kernarg_preload_offset 0
		.amdhsa_user_sgpr_private_segment_size 0
		.amdhsa_uses_dynamic_stack 0
		.amdhsa_enable_private_segment 0
		.amdhsa_system_sgpr_workgroup_id_x 1
		.amdhsa_system_sgpr_workgroup_id_y 0
		.amdhsa_system_sgpr_workgroup_id_z 0
		.amdhsa_system_sgpr_workgroup_info 0
		.amdhsa_system_vgpr_workitem_id 0
		.amdhsa_next_free_vgpr 1
		.amdhsa_next_free_sgpr 0
		.amdhsa_accum_offset 4
		.amdhsa_reserve_vcc 0
		.amdhsa_float_round_mode_32 0
		.amdhsa_float_round_mode_16_64 0
		.amdhsa_float_denorm_mode_32 3
		.amdhsa_float_denorm_mode_16_64 3
		.amdhsa_dx10_clamp 1
		.amdhsa_ieee_mode 1
		.amdhsa_fp16_overflow 0
		.amdhsa_tg_split 0
		.amdhsa_exception_fp_ieee_invalid_op 0
		.amdhsa_exception_fp_denorm_src 0
		.amdhsa_exception_fp_ieee_div_zero 0
		.amdhsa_exception_fp_ieee_overflow 0
		.amdhsa_exception_fp_ieee_underflow 0
		.amdhsa_exception_fp_ieee_inexact 0
		.amdhsa_exception_int_div_zero 0
	.end_amdhsa_kernel
	.section	.text._ZN7rocprim17ROCPRIM_400000_NS6detail17trampoline_kernelINS0_14default_configENS1_25partition_config_selectorILNS1_17partition_subalgoE8ElNS0_10empty_typeEbEEZZNS1_14partition_implILS5_8ELb0ES3_jPlPS6_PKS6_NS0_5tupleIJS9_S6_EEENSD_IJSA_SA_EEENS0_18inequality_wrapperIZN2at6native12_GLOBAL__N_124unique_dim_cuda_templateIjEESt5tupleIJNSH_6TensorESM_SM_EERKSM_lbbbEUlllE0_EEPmJS6_EEE10hipError_tPvRmT3_T4_T5_T6_T7_T9_mT8_P12ihipStream_tbDpT10_ENKUlT_T0_E_clISt17integral_constantIbLb1EES1B_IbLb0EEEEDaS17_S18_EUlS17_E_NS1_11comp_targetILNS1_3genE0ELNS1_11target_archE4294967295ELNS1_3gpuE0ELNS1_3repE0EEENS1_30default_config_static_selectorELNS0_4arch9wavefront6targetE1EEEvT1_,"axG",@progbits,_ZN7rocprim17ROCPRIM_400000_NS6detail17trampoline_kernelINS0_14default_configENS1_25partition_config_selectorILNS1_17partition_subalgoE8ElNS0_10empty_typeEbEEZZNS1_14partition_implILS5_8ELb0ES3_jPlPS6_PKS6_NS0_5tupleIJS9_S6_EEENSD_IJSA_SA_EEENS0_18inequality_wrapperIZN2at6native12_GLOBAL__N_124unique_dim_cuda_templateIjEESt5tupleIJNSH_6TensorESM_SM_EERKSM_lbbbEUlllE0_EEPmJS6_EEE10hipError_tPvRmT3_T4_T5_T6_T7_T9_mT8_P12ihipStream_tbDpT10_ENKUlT_T0_E_clISt17integral_constantIbLb1EES1B_IbLb0EEEEDaS17_S18_EUlS17_E_NS1_11comp_targetILNS1_3genE0ELNS1_11target_archE4294967295ELNS1_3gpuE0ELNS1_3repE0EEENS1_30default_config_static_selectorELNS0_4arch9wavefront6targetE1EEEvT1_,comdat
.Lfunc_end1557:
	.size	_ZN7rocprim17ROCPRIM_400000_NS6detail17trampoline_kernelINS0_14default_configENS1_25partition_config_selectorILNS1_17partition_subalgoE8ElNS0_10empty_typeEbEEZZNS1_14partition_implILS5_8ELb0ES3_jPlPS6_PKS6_NS0_5tupleIJS9_S6_EEENSD_IJSA_SA_EEENS0_18inequality_wrapperIZN2at6native12_GLOBAL__N_124unique_dim_cuda_templateIjEESt5tupleIJNSH_6TensorESM_SM_EERKSM_lbbbEUlllE0_EEPmJS6_EEE10hipError_tPvRmT3_T4_T5_T6_T7_T9_mT8_P12ihipStream_tbDpT10_ENKUlT_T0_E_clISt17integral_constantIbLb1EES1B_IbLb0EEEEDaS17_S18_EUlS17_E_NS1_11comp_targetILNS1_3genE0ELNS1_11target_archE4294967295ELNS1_3gpuE0ELNS1_3repE0EEENS1_30default_config_static_selectorELNS0_4arch9wavefront6targetE1EEEvT1_, .Lfunc_end1557-_ZN7rocprim17ROCPRIM_400000_NS6detail17trampoline_kernelINS0_14default_configENS1_25partition_config_selectorILNS1_17partition_subalgoE8ElNS0_10empty_typeEbEEZZNS1_14partition_implILS5_8ELb0ES3_jPlPS6_PKS6_NS0_5tupleIJS9_S6_EEENSD_IJSA_SA_EEENS0_18inequality_wrapperIZN2at6native12_GLOBAL__N_124unique_dim_cuda_templateIjEESt5tupleIJNSH_6TensorESM_SM_EERKSM_lbbbEUlllE0_EEPmJS6_EEE10hipError_tPvRmT3_T4_T5_T6_T7_T9_mT8_P12ihipStream_tbDpT10_ENKUlT_T0_E_clISt17integral_constantIbLb1EES1B_IbLb0EEEEDaS17_S18_EUlS17_E_NS1_11comp_targetILNS1_3genE0ELNS1_11target_archE4294967295ELNS1_3gpuE0ELNS1_3repE0EEENS1_30default_config_static_selectorELNS0_4arch9wavefront6targetE1EEEvT1_
                                        ; -- End function
	.set _ZN7rocprim17ROCPRIM_400000_NS6detail17trampoline_kernelINS0_14default_configENS1_25partition_config_selectorILNS1_17partition_subalgoE8ElNS0_10empty_typeEbEEZZNS1_14partition_implILS5_8ELb0ES3_jPlPS6_PKS6_NS0_5tupleIJS9_S6_EEENSD_IJSA_SA_EEENS0_18inequality_wrapperIZN2at6native12_GLOBAL__N_124unique_dim_cuda_templateIjEESt5tupleIJNSH_6TensorESM_SM_EERKSM_lbbbEUlllE0_EEPmJS6_EEE10hipError_tPvRmT3_T4_T5_T6_T7_T9_mT8_P12ihipStream_tbDpT10_ENKUlT_T0_E_clISt17integral_constantIbLb1EES1B_IbLb0EEEEDaS17_S18_EUlS17_E_NS1_11comp_targetILNS1_3genE0ELNS1_11target_archE4294967295ELNS1_3gpuE0ELNS1_3repE0EEENS1_30default_config_static_selectorELNS0_4arch9wavefront6targetE1EEEvT1_.num_vgpr, 0
	.set _ZN7rocprim17ROCPRIM_400000_NS6detail17trampoline_kernelINS0_14default_configENS1_25partition_config_selectorILNS1_17partition_subalgoE8ElNS0_10empty_typeEbEEZZNS1_14partition_implILS5_8ELb0ES3_jPlPS6_PKS6_NS0_5tupleIJS9_S6_EEENSD_IJSA_SA_EEENS0_18inequality_wrapperIZN2at6native12_GLOBAL__N_124unique_dim_cuda_templateIjEESt5tupleIJNSH_6TensorESM_SM_EERKSM_lbbbEUlllE0_EEPmJS6_EEE10hipError_tPvRmT3_T4_T5_T6_T7_T9_mT8_P12ihipStream_tbDpT10_ENKUlT_T0_E_clISt17integral_constantIbLb1EES1B_IbLb0EEEEDaS17_S18_EUlS17_E_NS1_11comp_targetILNS1_3genE0ELNS1_11target_archE4294967295ELNS1_3gpuE0ELNS1_3repE0EEENS1_30default_config_static_selectorELNS0_4arch9wavefront6targetE1EEEvT1_.num_agpr, 0
	.set _ZN7rocprim17ROCPRIM_400000_NS6detail17trampoline_kernelINS0_14default_configENS1_25partition_config_selectorILNS1_17partition_subalgoE8ElNS0_10empty_typeEbEEZZNS1_14partition_implILS5_8ELb0ES3_jPlPS6_PKS6_NS0_5tupleIJS9_S6_EEENSD_IJSA_SA_EEENS0_18inequality_wrapperIZN2at6native12_GLOBAL__N_124unique_dim_cuda_templateIjEESt5tupleIJNSH_6TensorESM_SM_EERKSM_lbbbEUlllE0_EEPmJS6_EEE10hipError_tPvRmT3_T4_T5_T6_T7_T9_mT8_P12ihipStream_tbDpT10_ENKUlT_T0_E_clISt17integral_constantIbLb1EES1B_IbLb0EEEEDaS17_S18_EUlS17_E_NS1_11comp_targetILNS1_3genE0ELNS1_11target_archE4294967295ELNS1_3gpuE0ELNS1_3repE0EEENS1_30default_config_static_selectorELNS0_4arch9wavefront6targetE1EEEvT1_.numbered_sgpr, 0
	.set _ZN7rocprim17ROCPRIM_400000_NS6detail17trampoline_kernelINS0_14default_configENS1_25partition_config_selectorILNS1_17partition_subalgoE8ElNS0_10empty_typeEbEEZZNS1_14partition_implILS5_8ELb0ES3_jPlPS6_PKS6_NS0_5tupleIJS9_S6_EEENSD_IJSA_SA_EEENS0_18inequality_wrapperIZN2at6native12_GLOBAL__N_124unique_dim_cuda_templateIjEESt5tupleIJNSH_6TensorESM_SM_EERKSM_lbbbEUlllE0_EEPmJS6_EEE10hipError_tPvRmT3_T4_T5_T6_T7_T9_mT8_P12ihipStream_tbDpT10_ENKUlT_T0_E_clISt17integral_constantIbLb1EES1B_IbLb0EEEEDaS17_S18_EUlS17_E_NS1_11comp_targetILNS1_3genE0ELNS1_11target_archE4294967295ELNS1_3gpuE0ELNS1_3repE0EEENS1_30default_config_static_selectorELNS0_4arch9wavefront6targetE1EEEvT1_.num_named_barrier, 0
	.set _ZN7rocprim17ROCPRIM_400000_NS6detail17trampoline_kernelINS0_14default_configENS1_25partition_config_selectorILNS1_17partition_subalgoE8ElNS0_10empty_typeEbEEZZNS1_14partition_implILS5_8ELb0ES3_jPlPS6_PKS6_NS0_5tupleIJS9_S6_EEENSD_IJSA_SA_EEENS0_18inequality_wrapperIZN2at6native12_GLOBAL__N_124unique_dim_cuda_templateIjEESt5tupleIJNSH_6TensorESM_SM_EERKSM_lbbbEUlllE0_EEPmJS6_EEE10hipError_tPvRmT3_T4_T5_T6_T7_T9_mT8_P12ihipStream_tbDpT10_ENKUlT_T0_E_clISt17integral_constantIbLb1EES1B_IbLb0EEEEDaS17_S18_EUlS17_E_NS1_11comp_targetILNS1_3genE0ELNS1_11target_archE4294967295ELNS1_3gpuE0ELNS1_3repE0EEENS1_30default_config_static_selectorELNS0_4arch9wavefront6targetE1EEEvT1_.private_seg_size, 0
	.set _ZN7rocprim17ROCPRIM_400000_NS6detail17trampoline_kernelINS0_14default_configENS1_25partition_config_selectorILNS1_17partition_subalgoE8ElNS0_10empty_typeEbEEZZNS1_14partition_implILS5_8ELb0ES3_jPlPS6_PKS6_NS0_5tupleIJS9_S6_EEENSD_IJSA_SA_EEENS0_18inequality_wrapperIZN2at6native12_GLOBAL__N_124unique_dim_cuda_templateIjEESt5tupleIJNSH_6TensorESM_SM_EERKSM_lbbbEUlllE0_EEPmJS6_EEE10hipError_tPvRmT3_T4_T5_T6_T7_T9_mT8_P12ihipStream_tbDpT10_ENKUlT_T0_E_clISt17integral_constantIbLb1EES1B_IbLb0EEEEDaS17_S18_EUlS17_E_NS1_11comp_targetILNS1_3genE0ELNS1_11target_archE4294967295ELNS1_3gpuE0ELNS1_3repE0EEENS1_30default_config_static_selectorELNS0_4arch9wavefront6targetE1EEEvT1_.uses_vcc, 0
	.set _ZN7rocprim17ROCPRIM_400000_NS6detail17trampoline_kernelINS0_14default_configENS1_25partition_config_selectorILNS1_17partition_subalgoE8ElNS0_10empty_typeEbEEZZNS1_14partition_implILS5_8ELb0ES3_jPlPS6_PKS6_NS0_5tupleIJS9_S6_EEENSD_IJSA_SA_EEENS0_18inequality_wrapperIZN2at6native12_GLOBAL__N_124unique_dim_cuda_templateIjEESt5tupleIJNSH_6TensorESM_SM_EERKSM_lbbbEUlllE0_EEPmJS6_EEE10hipError_tPvRmT3_T4_T5_T6_T7_T9_mT8_P12ihipStream_tbDpT10_ENKUlT_T0_E_clISt17integral_constantIbLb1EES1B_IbLb0EEEEDaS17_S18_EUlS17_E_NS1_11comp_targetILNS1_3genE0ELNS1_11target_archE4294967295ELNS1_3gpuE0ELNS1_3repE0EEENS1_30default_config_static_selectorELNS0_4arch9wavefront6targetE1EEEvT1_.uses_flat_scratch, 0
	.set _ZN7rocprim17ROCPRIM_400000_NS6detail17trampoline_kernelINS0_14default_configENS1_25partition_config_selectorILNS1_17partition_subalgoE8ElNS0_10empty_typeEbEEZZNS1_14partition_implILS5_8ELb0ES3_jPlPS6_PKS6_NS0_5tupleIJS9_S6_EEENSD_IJSA_SA_EEENS0_18inequality_wrapperIZN2at6native12_GLOBAL__N_124unique_dim_cuda_templateIjEESt5tupleIJNSH_6TensorESM_SM_EERKSM_lbbbEUlllE0_EEPmJS6_EEE10hipError_tPvRmT3_T4_T5_T6_T7_T9_mT8_P12ihipStream_tbDpT10_ENKUlT_T0_E_clISt17integral_constantIbLb1EES1B_IbLb0EEEEDaS17_S18_EUlS17_E_NS1_11comp_targetILNS1_3genE0ELNS1_11target_archE4294967295ELNS1_3gpuE0ELNS1_3repE0EEENS1_30default_config_static_selectorELNS0_4arch9wavefront6targetE1EEEvT1_.has_dyn_sized_stack, 0
	.set _ZN7rocprim17ROCPRIM_400000_NS6detail17trampoline_kernelINS0_14default_configENS1_25partition_config_selectorILNS1_17partition_subalgoE8ElNS0_10empty_typeEbEEZZNS1_14partition_implILS5_8ELb0ES3_jPlPS6_PKS6_NS0_5tupleIJS9_S6_EEENSD_IJSA_SA_EEENS0_18inequality_wrapperIZN2at6native12_GLOBAL__N_124unique_dim_cuda_templateIjEESt5tupleIJNSH_6TensorESM_SM_EERKSM_lbbbEUlllE0_EEPmJS6_EEE10hipError_tPvRmT3_T4_T5_T6_T7_T9_mT8_P12ihipStream_tbDpT10_ENKUlT_T0_E_clISt17integral_constantIbLb1EES1B_IbLb0EEEEDaS17_S18_EUlS17_E_NS1_11comp_targetILNS1_3genE0ELNS1_11target_archE4294967295ELNS1_3gpuE0ELNS1_3repE0EEENS1_30default_config_static_selectorELNS0_4arch9wavefront6targetE1EEEvT1_.has_recursion, 0
	.set _ZN7rocprim17ROCPRIM_400000_NS6detail17trampoline_kernelINS0_14default_configENS1_25partition_config_selectorILNS1_17partition_subalgoE8ElNS0_10empty_typeEbEEZZNS1_14partition_implILS5_8ELb0ES3_jPlPS6_PKS6_NS0_5tupleIJS9_S6_EEENSD_IJSA_SA_EEENS0_18inequality_wrapperIZN2at6native12_GLOBAL__N_124unique_dim_cuda_templateIjEESt5tupleIJNSH_6TensorESM_SM_EERKSM_lbbbEUlllE0_EEPmJS6_EEE10hipError_tPvRmT3_T4_T5_T6_T7_T9_mT8_P12ihipStream_tbDpT10_ENKUlT_T0_E_clISt17integral_constantIbLb1EES1B_IbLb0EEEEDaS17_S18_EUlS17_E_NS1_11comp_targetILNS1_3genE0ELNS1_11target_archE4294967295ELNS1_3gpuE0ELNS1_3repE0EEENS1_30default_config_static_selectorELNS0_4arch9wavefront6targetE1EEEvT1_.has_indirect_call, 0
	.section	.AMDGPU.csdata,"",@progbits
; Kernel info:
; codeLenInByte = 4
; TotalNumSgprs: 6
; NumVgprs: 0
; NumAgprs: 0
; TotalNumVgprs: 0
; ScratchSize: 0
; MemoryBound: 0
; FloatMode: 240
; IeeeMode: 1
; LDSByteSize: 0 bytes/workgroup (compile time only)
; SGPRBlocks: 0
; VGPRBlocks: 0
; NumSGPRsForWavesPerEU: 6
; NumVGPRsForWavesPerEU: 1
; AccumOffset: 4
; Occupancy: 8
; WaveLimiterHint : 0
; COMPUTE_PGM_RSRC2:SCRATCH_EN: 0
; COMPUTE_PGM_RSRC2:USER_SGPR: 2
; COMPUTE_PGM_RSRC2:TRAP_HANDLER: 0
; COMPUTE_PGM_RSRC2:TGID_X_EN: 1
; COMPUTE_PGM_RSRC2:TGID_Y_EN: 0
; COMPUTE_PGM_RSRC2:TGID_Z_EN: 0
; COMPUTE_PGM_RSRC2:TIDIG_COMP_CNT: 0
; COMPUTE_PGM_RSRC3_GFX90A:ACCUM_OFFSET: 0
; COMPUTE_PGM_RSRC3_GFX90A:TG_SPLIT: 0
	.section	.text._ZN7rocprim17ROCPRIM_400000_NS6detail17trampoline_kernelINS0_14default_configENS1_25partition_config_selectorILNS1_17partition_subalgoE8ElNS0_10empty_typeEbEEZZNS1_14partition_implILS5_8ELb0ES3_jPlPS6_PKS6_NS0_5tupleIJS9_S6_EEENSD_IJSA_SA_EEENS0_18inequality_wrapperIZN2at6native12_GLOBAL__N_124unique_dim_cuda_templateIjEESt5tupleIJNSH_6TensorESM_SM_EERKSM_lbbbEUlllE0_EEPmJS6_EEE10hipError_tPvRmT3_T4_T5_T6_T7_T9_mT8_P12ihipStream_tbDpT10_ENKUlT_T0_E_clISt17integral_constantIbLb1EES1B_IbLb0EEEEDaS17_S18_EUlS17_E_NS1_11comp_targetILNS1_3genE5ELNS1_11target_archE942ELNS1_3gpuE9ELNS1_3repE0EEENS1_30default_config_static_selectorELNS0_4arch9wavefront6targetE1EEEvT1_,"axG",@progbits,_ZN7rocprim17ROCPRIM_400000_NS6detail17trampoline_kernelINS0_14default_configENS1_25partition_config_selectorILNS1_17partition_subalgoE8ElNS0_10empty_typeEbEEZZNS1_14partition_implILS5_8ELb0ES3_jPlPS6_PKS6_NS0_5tupleIJS9_S6_EEENSD_IJSA_SA_EEENS0_18inequality_wrapperIZN2at6native12_GLOBAL__N_124unique_dim_cuda_templateIjEESt5tupleIJNSH_6TensorESM_SM_EERKSM_lbbbEUlllE0_EEPmJS6_EEE10hipError_tPvRmT3_T4_T5_T6_T7_T9_mT8_P12ihipStream_tbDpT10_ENKUlT_T0_E_clISt17integral_constantIbLb1EES1B_IbLb0EEEEDaS17_S18_EUlS17_E_NS1_11comp_targetILNS1_3genE5ELNS1_11target_archE942ELNS1_3gpuE9ELNS1_3repE0EEENS1_30default_config_static_selectorELNS0_4arch9wavefront6targetE1EEEvT1_,comdat
	.globl	_ZN7rocprim17ROCPRIM_400000_NS6detail17trampoline_kernelINS0_14default_configENS1_25partition_config_selectorILNS1_17partition_subalgoE8ElNS0_10empty_typeEbEEZZNS1_14partition_implILS5_8ELb0ES3_jPlPS6_PKS6_NS0_5tupleIJS9_S6_EEENSD_IJSA_SA_EEENS0_18inequality_wrapperIZN2at6native12_GLOBAL__N_124unique_dim_cuda_templateIjEESt5tupleIJNSH_6TensorESM_SM_EERKSM_lbbbEUlllE0_EEPmJS6_EEE10hipError_tPvRmT3_T4_T5_T6_T7_T9_mT8_P12ihipStream_tbDpT10_ENKUlT_T0_E_clISt17integral_constantIbLb1EES1B_IbLb0EEEEDaS17_S18_EUlS17_E_NS1_11comp_targetILNS1_3genE5ELNS1_11target_archE942ELNS1_3gpuE9ELNS1_3repE0EEENS1_30default_config_static_selectorELNS0_4arch9wavefront6targetE1EEEvT1_ ; -- Begin function _ZN7rocprim17ROCPRIM_400000_NS6detail17trampoline_kernelINS0_14default_configENS1_25partition_config_selectorILNS1_17partition_subalgoE8ElNS0_10empty_typeEbEEZZNS1_14partition_implILS5_8ELb0ES3_jPlPS6_PKS6_NS0_5tupleIJS9_S6_EEENSD_IJSA_SA_EEENS0_18inequality_wrapperIZN2at6native12_GLOBAL__N_124unique_dim_cuda_templateIjEESt5tupleIJNSH_6TensorESM_SM_EERKSM_lbbbEUlllE0_EEPmJS6_EEE10hipError_tPvRmT3_T4_T5_T6_T7_T9_mT8_P12ihipStream_tbDpT10_ENKUlT_T0_E_clISt17integral_constantIbLb1EES1B_IbLb0EEEEDaS17_S18_EUlS17_E_NS1_11comp_targetILNS1_3genE5ELNS1_11target_archE942ELNS1_3gpuE9ELNS1_3repE0EEENS1_30default_config_static_selectorELNS0_4arch9wavefront6targetE1EEEvT1_
	.p2align	8
	.type	_ZN7rocprim17ROCPRIM_400000_NS6detail17trampoline_kernelINS0_14default_configENS1_25partition_config_selectorILNS1_17partition_subalgoE8ElNS0_10empty_typeEbEEZZNS1_14partition_implILS5_8ELb0ES3_jPlPS6_PKS6_NS0_5tupleIJS9_S6_EEENSD_IJSA_SA_EEENS0_18inequality_wrapperIZN2at6native12_GLOBAL__N_124unique_dim_cuda_templateIjEESt5tupleIJNSH_6TensorESM_SM_EERKSM_lbbbEUlllE0_EEPmJS6_EEE10hipError_tPvRmT3_T4_T5_T6_T7_T9_mT8_P12ihipStream_tbDpT10_ENKUlT_T0_E_clISt17integral_constantIbLb1EES1B_IbLb0EEEEDaS17_S18_EUlS17_E_NS1_11comp_targetILNS1_3genE5ELNS1_11target_archE942ELNS1_3gpuE9ELNS1_3repE0EEENS1_30default_config_static_selectorELNS0_4arch9wavefront6targetE1EEEvT1_,@function
_ZN7rocprim17ROCPRIM_400000_NS6detail17trampoline_kernelINS0_14default_configENS1_25partition_config_selectorILNS1_17partition_subalgoE8ElNS0_10empty_typeEbEEZZNS1_14partition_implILS5_8ELb0ES3_jPlPS6_PKS6_NS0_5tupleIJS9_S6_EEENSD_IJSA_SA_EEENS0_18inequality_wrapperIZN2at6native12_GLOBAL__N_124unique_dim_cuda_templateIjEESt5tupleIJNSH_6TensorESM_SM_EERKSM_lbbbEUlllE0_EEPmJS6_EEE10hipError_tPvRmT3_T4_T5_T6_T7_T9_mT8_P12ihipStream_tbDpT10_ENKUlT_T0_E_clISt17integral_constantIbLb1EES1B_IbLb0EEEEDaS17_S18_EUlS17_E_NS1_11comp_targetILNS1_3genE5ELNS1_11target_archE942ELNS1_3gpuE9ELNS1_3repE0EEENS1_30default_config_static_selectorELNS0_4arch9wavefront6targetE1EEEvT1_: ; @_ZN7rocprim17ROCPRIM_400000_NS6detail17trampoline_kernelINS0_14default_configENS1_25partition_config_selectorILNS1_17partition_subalgoE8ElNS0_10empty_typeEbEEZZNS1_14partition_implILS5_8ELb0ES3_jPlPS6_PKS6_NS0_5tupleIJS9_S6_EEENSD_IJSA_SA_EEENS0_18inequality_wrapperIZN2at6native12_GLOBAL__N_124unique_dim_cuda_templateIjEESt5tupleIJNSH_6TensorESM_SM_EERKSM_lbbbEUlllE0_EEPmJS6_EEE10hipError_tPvRmT3_T4_T5_T6_T7_T9_mT8_P12ihipStream_tbDpT10_ENKUlT_T0_E_clISt17integral_constantIbLb1EES1B_IbLb0EEEEDaS17_S18_EUlS17_E_NS1_11comp_targetILNS1_3genE5ELNS1_11target_archE942ELNS1_3gpuE9ELNS1_3repE0EEENS1_30default_config_static_selectorELNS0_4arch9wavefront6targetE1EEEvT1_
; %bb.0:
	.section	.rodata,"a",@progbits
	.p2align	6, 0x0
	.amdhsa_kernel _ZN7rocprim17ROCPRIM_400000_NS6detail17trampoline_kernelINS0_14default_configENS1_25partition_config_selectorILNS1_17partition_subalgoE8ElNS0_10empty_typeEbEEZZNS1_14partition_implILS5_8ELb0ES3_jPlPS6_PKS6_NS0_5tupleIJS9_S6_EEENSD_IJSA_SA_EEENS0_18inequality_wrapperIZN2at6native12_GLOBAL__N_124unique_dim_cuda_templateIjEESt5tupleIJNSH_6TensorESM_SM_EERKSM_lbbbEUlllE0_EEPmJS6_EEE10hipError_tPvRmT3_T4_T5_T6_T7_T9_mT8_P12ihipStream_tbDpT10_ENKUlT_T0_E_clISt17integral_constantIbLb1EES1B_IbLb0EEEEDaS17_S18_EUlS17_E_NS1_11comp_targetILNS1_3genE5ELNS1_11target_archE942ELNS1_3gpuE9ELNS1_3repE0EEENS1_30default_config_static_selectorELNS0_4arch9wavefront6targetE1EEEvT1_
		.amdhsa_group_segment_fixed_size 0
		.amdhsa_private_segment_fixed_size 0
		.amdhsa_kernarg_size 120
		.amdhsa_user_sgpr_count 2
		.amdhsa_user_sgpr_dispatch_ptr 0
		.amdhsa_user_sgpr_queue_ptr 0
		.amdhsa_user_sgpr_kernarg_segment_ptr 1
		.amdhsa_user_sgpr_dispatch_id 0
		.amdhsa_user_sgpr_kernarg_preload_length 0
		.amdhsa_user_sgpr_kernarg_preload_offset 0
		.amdhsa_user_sgpr_private_segment_size 0
		.amdhsa_uses_dynamic_stack 0
		.amdhsa_enable_private_segment 0
		.amdhsa_system_sgpr_workgroup_id_x 1
		.amdhsa_system_sgpr_workgroup_id_y 0
		.amdhsa_system_sgpr_workgroup_id_z 0
		.amdhsa_system_sgpr_workgroup_info 0
		.amdhsa_system_vgpr_workitem_id 0
		.amdhsa_next_free_vgpr 1
		.amdhsa_next_free_sgpr 0
		.amdhsa_accum_offset 4
		.amdhsa_reserve_vcc 0
		.amdhsa_float_round_mode_32 0
		.amdhsa_float_round_mode_16_64 0
		.amdhsa_float_denorm_mode_32 3
		.amdhsa_float_denorm_mode_16_64 3
		.amdhsa_dx10_clamp 1
		.amdhsa_ieee_mode 1
		.amdhsa_fp16_overflow 0
		.amdhsa_tg_split 0
		.amdhsa_exception_fp_ieee_invalid_op 0
		.amdhsa_exception_fp_denorm_src 0
		.amdhsa_exception_fp_ieee_div_zero 0
		.amdhsa_exception_fp_ieee_overflow 0
		.amdhsa_exception_fp_ieee_underflow 0
		.amdhsa_exception_fp_ieee_inexact 0
		.amdhsa_exception_int_div_zero 0
	.end_amdhsa_kernel
	.section	.text._ZN7rocprim17ROCPRIM_400000_NS6detail17trampoline_kernelINS0_14default_configENS1_25partition_config_selectorILNS1_17partition_subalgoE8ElNS0_10empty_typeEbEEZZNS1_14partition_implILS5_8ELb0ES3_jPlPS6_PKS6_NS0_5tupleIJS9_S6_EEENSD_IJSA_SA_EEENS0_18inequality_wrapperIZN2at6native12_GLOBAL__N_124unique_dim_cuda_templateIjEESt5tupleIJNSH_6TensorESM_SM_EERKSM_lbbbEUlllE0_EEPmJS6_EEE10hipError_tPvRmT3_T4_T5_T6_T7_T9_mT8_P12ihipStream_tbDpT10_ENKUlT_T0_E_clISt17integral_constantIbLb1EES1B_IbLb0EEEEDaS17_S18_EUlS17_E_NS1_11comp_targetILNS1_3genE5ELNS1_11target_archE942ELNS1_3gpuE9ELNS1_3repE0EEENS1_30default_config_static_selectorELNS0_4arch9wavefront6targetE1EEEvT1_,"axG",@progbits,_ZN7rocprim17ROCPRIM_400000_NS6detail17trampoline_kernelINS0_14default_configENS1_25partition_config_selectorILNS1_17partition_subalgoE8ElNS0_10empty_typeEbEEZZNS1_14partition_implILS5_8ELb0ES3_jPlPS6_PKS6_NS0_5tupleIJS9_S6_EEENSD_IJSA_SA_EEENS0_18inequality_wrapperIZN2at6native12_GLOBAL__N_124unique_dim_cuda_templateIjEESt5tupleIJNSH_6TensorESM_SM_EERKSM_lbbbEUlllE0_EEPmJS6_EEE10hipError_tPvRmT3_T4_T5_T6_T7_T9_mT8_P12ihipStream_tbDpT10_ENKUlT_T0_E_clISt17integral_constantIbLb1EES1B_IbLb0EEEEDaS17_S18_EUlS17_E_NS1_11comp_targetILNS1_3genE5ELNS1_11target_archE942ELNS1_3gpuE9ELNS1_3repE0EEENS1_30default_config_static_selectorELNS0_4arch9wavefront6targetE1EEEvT1_,comdat
.Lfunc_end1558:
	.size	_ZN7rocprim17ROCPRIM_400000_NS6detail17trampoline_kernelINS0_14default_configENS1_25partition_config_selectorILNS1_17partition_subalgoE8ElNS0_10empty_typeEbEEZZNS1_14partition_implILS5_8ELb0ES3_jPlPS6_PKS6_NS0_5tupleIJS9_S6_EEENSD_IJSA_SA_EEENS0_18inequality_wrapperIZN2at6native12_GLOBAL__N_124unique_dim_cuda_templateIjEESt5tupleIJNSH_6TensorESM_SM_EERKSM_lbbbEUlllE0_EEPmJS6_EEE10hipError_tPvRmT3_T4_T5_T6_T7_T9_mT8_P12ihipStream_tbDpT10_ENKUlT_T0_E_clISt17integral_constantIbLb1EES1B_IbLb0EEEEDaS17_S18_EUlS17_E_NS1_11comp_targetILNS1_3genE5ELNS1_11target_archE942ELNS1_3gpuE9ELNS1_3repE0EEENS1_30default_config_static_selectorELNS0_4arch9wavefront6targetE1EEEvT1_, .Lfunc_end1558-_ZN7rocprim17ROCPRIM_400000_NS6detail17trampoline_kernelINS0_14default_configENS1_25partition_config_selectorILNS1_17partition_subalgoE8ElNS0_10empty_typeEbEEZZNS1_14partition_implILS5_8ELb0ES3_jPlPS6_PKS6_NS0_5tupleIJS9_S6_EEENSD_IJSA_SA_EEENS0_18inequality_wrapperIZN2at6native12_GLOBAL__N_124unique_dim_cuda_templateIjEESt5tupleIJNSH_6TensorESM_SM_EERKSM_lbbbEUlllE0_EEPmJS6_EEE10hipError_tPvRmT3_T4_T5_T6_T7_T9_mT8_P12ihipStream_tbDpT10_ENKUlT_T0_E_clISt17integral_constantIbLb1EES1B_IbLb0EEEEDaS17_S18_EUlS17_E_NS1_11comp_targetILNS1_3genE5ELNS1_11target_archE942ELNS1_3gpuE9ELNS1_3repE0EEENS1_30default_config_static_selectorELNS0_4arch9wavefront6targetE1EEEvT1_
                                        ; -- End function
	.set _ZN7rocprim17ROCPRIM_400000_NS6detail17trampoline_kernelINS0_14default_configENS1_25partition_config_selectorILNS1_17partition_subalgoE8ElNS0_10empty_typeEbEEZZNS1_14partition_implILS5_8ELb0ES3_jPlPS6_PKS6_NS0_5tupleIJS9_S6_EEENSD_IJSA_SA_EEENS0_18inequality_wrapperIZN2at6native12_GLOBAL__N_124unique_dim_cuda_templateIjEESt5tupleIJNSH_6TensorESM_SM_EERKSM_lbbbEUlllE0_EEPmJS6_EEE10hipError_tPvRmT3_T4_T5_T6_T7_T9_mT8_P12ihipStream_tbDpT10_ENKUlT_T0_E_clISt17integral_constantIbLb1EES1B_IbLb0EEEEDaS17_S18_EUlS17_E_NS1_11comp_targetILNS1_3genE5ELNS1_11target_archE942ELNS1_3gpuE9ELNS1_3repE0EEENS1_30default_config_static_selectorELNS0_4arch9wavefront6targetE1EEEvT1_.num_vgpr, 0
	.set _ZN7rocprim17ROCPRIM_400000_NS6detail17trampoline_kernelINS0_14default_configENS1_25partition_config_selectorILNS1_17partition_subalgoE8ElNS0_10empty_typeEbEEZZNS1_14partition_implILS5_8ELb0ES3_jPlPS6_PKS6_NS0_5tupleIJS9_S6_EEENSD_IJSA_SA_EEENS0_18inequality_wrapperIZN2at6native12_GLOBAL__N_124unique_dim_cuda_templateIjEESt5tupleIJNSH_6TensorESM_SM_EERKSM_lbbbEUlllE0_EEPmJS6_EEE10hipError_tPvRmT3_T4_T5_T6_T7_T9_mT8_P12ihipStream_tbDpT10_ENKUlT_T0_E_clISt17integral_constantIbLb1EES1B_IbLb0EEEEDaS17_S18_EUlS17_E_NS1_11comp_targetILNS1_3genE5ELNS1_11target_archE942ELNS1_3gpuE9ELNS1_3repE0EEENS1_30default_config_static_selectorELNS0_4arch9wavefront6targetE1EEEvT1_.num_agpr, 0
	.set _ZN7rocprim17ROCPRIM_400000_NS6detail17trampoline_kernelINS0_14default_configENS1_25partition_config_selectorILNS1_17partition_subalgoE8ElNS0_10empty_typeEbEEZZNS1_14partition_implILS5_8ELb0ES3_jPlPS6_PKS6_NS0_5tupleIJS9_S6_EEENSD_IJSA_SA_EEENS0_18inequality_wrapperIZN2at6native12_GLOBAL__N_124unique_dim_cuda_templateIjEESt5tupleIJNSH_6TensorESM_SM_EERKSM_lbbbEUlllE0_EEPmJS6_EEE10hipError_tPvRmT3_T4_T5_T6_T7_T9_mT8_P12ihipStream_tbDpT10_ENKUlT_T0_E_clISt17integral_constantIbLb1EES1B_IbLb0EEEEDaS17_S18_EUlS17_E_NS1_11comp_targetILNS1_3genE5ELNS1_11target_archE942ELNS1_3gpuE9ELNS1_3repE0EEENS1_30default_config_static_selectorELNS0_4arch9wavefront6targetE1EEEvT1_.numbered_sgpr, 0
	.set _ZN7rocprim17ROCPRIM_400000_NS6detail17trampoline_kernelINS0_14default_configENS1_25partition_config_selectorILNS1_17partition_subalgoE8ElNS0_10empty_typeEbEEZZNS1_14partition_implILS5_8ELb0ES3_jPlPS6_PKS6_NS0_5tupleIJS9_S6_EEENSD_IJSA_SA_EEENS0_18inequality_wrapperIZN2at6native12_GLOBAL__N_124unique_dim_cuda_templateIjEESt5tupleIJNSH_6TensorESM_SM_EERKSM_lbbbEUlllE0_EEPmJS6_EEE10hipError_tPvRmT3_T4_T5_T6_T7_T9_mT8_P12ihipStream_tbDpT10_ENKUlT_T0_E_clISt17integral_constantIbLb1EES1B_IbLb0EEEEDaS17_S18_EUlS17_E_NS1_11comp_targetILNS1_3genE5ELNS1_11target_archE942ELNS1_3gpuE9ELNS1_3repE0EEENS1_30default_config_static_selectorELNS0_4arch9wavefront6targetE1EEEvT1_.num_named_barrier, 0
	.set _ZN7rocprim17ROCPRIM_400000_NS6detail17trampoline_kernelINS0_14default_configENS1_25partition_config_selectorILNS1_17partition_subalgoE8ElNS0_10empty_typeEbEEZZNS1_14partition_implILS5_8ELb0ES3_jPlPS6_PKS6_NS0_5tupleIJS9_S6_EEENSD_IJSA_SA_EEENS0_18inequality_wrapperIZN2at6native12_GLOBAL__N_124unique_dim_cuda_templateIjEESt5tupleIJNSH_6TensorESM_SM_EERKSM_lbbbEUlllE0_EEPmJS6_EEE10hipError_tPvRmT3_T4_T5_T6_T7_T9_mT8_P12ihipStream_tbDpT10_ENKUlT_T0_E_clISt17integral_constantIbLb1EES1B_IbLb0EEEEDaS17_S18_EUlS17_E_NS1_11comp_targetILNS1_3genE5ELNS1_11target_archE942ELNS1_3gpuE9ELNS1_3repE0EEENS1_30default_config_static_selectorELNS0_4arch9wavefront6targetE1EEEvT1_.private_seg_size, 0
	.set _ZN7rocprim17ROCPRIM_400000_NS6detail17trampoline_kernelINS0_14default_configENS1_25partition_config_selectorILNS1_17partition_subalgoE8ElNS0_10empty_typeEbEEZZNS1_14partition_implILS5_8ELb0ES3_jPlPS6_PKS6_NS0_5tupleIJS9_S6_EEENSD_IJSA_SA_EEENS0_18inequality_wrapperIZN2at6native12_GLOBAL__N_124unique_dim_cuda_templateIjEESt5tupleIJNSH_6TensorESM_SM_EERKSM_lbbbEUlllE0_EEPmJS6_EEE10hipError_tPvRmT3_T4_T5_T6_T7_T9_mT8_P12ihipStream_tbDpT10_ENKUlT_T0_E_clISt17integral_constantIbLb1EES1B_IbLb0EEEEDaS17_S18_EUlS17_E_NS1_11comp_targetILNS1_3genE5ELNS1_11target_archE942ELNS1_3gpuE9ELNS1_3repE0EEENS1_30default_config_static_selectorELNS0_4arch9wavefront6targetE1EEEvT1_.uses_vcc, 0
	.set _ZN7rocprim17ROCPRIM_400000_NS6detail17trampoline_kernelINS0_14default_configENS1_25partition_config_selectorILNS1_17partition_subalgoE8ElNS0_10empty_typeEbEEZZNS1_14partition_implILS5_8ELb0ES3_jPlPS6_PKS6_NS0_5tupleIJS9_S6_EEENSD_IJSA_SA_EEENS0_18inequality_wrapperIZN2at6native12_GLOBAL__N_124unique_dim_cuda_templateIjEESt5tupleIJNSH_6TensorESM_SM_EERKSM_lbbbEUlllE0_EEPmJS6_EEE10hipError_tPvRmT3_T4_T5_T6_T7_T9_mT8_P12ihipStream_tbDpT10_ENKUlT_T0_E_clISt17integral_constantIbLb1EES1B_IbLb0EEEEDaS17_S18_EUlS17_E_NS1_11comp_targetILNS1_3genE5ELNS1_11target_archE942ELNS1_3gpuE9ELNS1_3repE0EEENS1_30default_config_static_selectorELNS0_4arch9wavefront6targetE1EEEvT1_.uses_flat_scratch, 0
	.set _ZN7rocprim17ROCPRIM_400000_NS6detail17trampoline_kernelINS0_14default_configENS1_25partition_config_selectorILNS1_17partition_subalgoE8ElNS0_10empty_typeEbEEZZNS1_14partition_implILS5_8ELb0ES3_jPlPS6_PKS6_NS0_5tupleIJS9_S6_EEENSD_IJSA_SA_EEENS0_18inequality_wrapperIZN2at6native12_GLOBAL__N_124unique_dim_cuda_templateIjEESt5tupleIJNSH_6TensorESM_SM_EERKSM_lbbbEUlllE0_EEPmJS6_EEE10hipError_tPvRmT3_T4_T5_T6_T7_T9_mT8_P12ihipStream_tbDpT10_ENKUlT_T0_E_clISt17integral_constantIbLb1EES1B_IbLb0EEEEDaS17_S18_EUlS17_E_NS1_11comp_targetILNS1_3genE5ELNS1_11target_archE942ELNS1_3gpuE9ELNS1_3repE0EEENS1_30default_config_static_selectorELNS0_4arch9wavefront6targetE1EEEvT1_.has_dyn_sized_stack, 0
	.set _ZN7rocprim17ROCPRIM_400000_NS6detail17trampoline_kernelINS0_14default_configENS1_25partition_config_selectorILNS1_17partition_subalgoE8ElNS0_10empty_typeEbEEZZNS1_14partition_implILS5_8ELb0ES3_jPlPS6_PKS6_NS0_5tupleIJS9_S6_EEENSD_IJSA_SA_EEENS0_18inequality_wrapperIZN2at6native12_GLOBAL__N_124unique_dim_cuda_templateIjEESt5tupleIJNSH_6TensorESM_SM_EERKSM_lbbbEUlllE0_EEPmJS6_EEE10hipError_tPvRmT3_T4_T5_T6_T7_T9_mT8_P12ihipStream_tbDpT10_ENKUlT_T0_E_clISt17integral_constantIbLb1EES1B_IbLb0EEEEDaS17_S18_EUlS17_E_NS1_11comp_targetILNS1_3genE5ELNS1_11target_archE942ELNS1_3gpuE9ELNS1_3repE0EEENS1_30default_config_static_selectorELNS0_4arch9wavefront6targetE1EEEvT1_.has_recursion, 0
	.set _ZN7rocprim17ROCPRIM_400000_NS6detail17trampoline_kernelINS0_14default_configENS1_25partition_config_selectorILNS1_17partition_subalgoE8ElNS0_10empty_typeEbEEZZNS1_14partition_implILS5_8ELb0ES3_jPlPS6_PKS6_NS0_5tupleIJS9_S6_EEENSD_IJSA_SA_EEENS0_18inequality_wrapperIZN2at6native12_GLOBAL__N_124unique_dim_cuda_templateIjEESt5tupleIJNSH_6TensorESM_SM_EERKSM_lbbbEUlllE0_EEPmJS6_EEE10hipError_tPvRmT3_T4_T5_T6_T7_T9_mT8_P12ihipStream_tbDpT10_ENKUlT_T0_E_clISt17integral_constantIbLb1EES1B_IbLb0EEEEDaS17_S18_EUlS17_E_NS1_11comp_targetILNS1_3genE5ELNS1_11target_archE942ELNS1_3gpuE9ELNS1_3repE0EEENS1_30default_config_static_selectorELNS0_4arch9wavefront6targetE1EEEvT1_.has_indirect_call, 0
	.section	.AMDGPU.csdata,"",@progbits
; Kernel info:
; codeLenInByte = 0
; TotalNumSgprs: 6
; NumVgprs: 0
; NumAgprs: 0
; TotalNumVgprs: 0
; ScratchSize: 0
; MemoryBound: 0
; FloatMode: 240
; IeeeMode: 1
; LDSByteSize: 0 bytes/workgroup (compile time only)
; SGPRBlocks: 0
; VGPRBlocks: 0
; NumSGPRsForWavesPerEU: 6
; NumVGPRsForWavesPerEU: 1
; AccumOffset: 4
; Occupancy: 8
; WaveLimiterHint : 0
; COMPUTE_PGM_RSRC2:SCRATCH_EN: 0
; COMPUTE_PGM_RSRC2:USER_SGPR: 2
; COMPUTE_PGM_RSRC2:TRAP_HANDLER: 0
; COMPUTE_PGM_RSRC2:TGID_X_EN: 1
; COMPUTE_PGM_RSRC2:TGID_Y_EN: 0
; COMPUTE_PGM_RSRC2:TGID_Z_EN: 0
; COMPUTE_PGM_RSRC2:TIDIG_COMP_CNT: 0
; COMPUTE_PGM_RSRC3_GFX90A:ACCUM_OFFSET: 0
; COMPUTE_PGM_RSRC3_GFX90A:TG_SPLIT: 0
	.section	.text._ZN7rocprim17ROCPRIM_400000_NS6detail17trampoline_kernelINS0_14default_configENS1_25partition_config_selectorILNS1_17partition_subalgoE8ElNS0_10empty_typeEbEEZZNS1_14partition_implILS5_8ELb0ES3_jPlPS6_PKS6_NS0_5tupleIJS9_S6_EEENSD_IJSA_SA_EEENS0_18inequality_wrapperIZN2at6native12_GLOBAL__N_124unique_dim_cuda_templateIjEESt5tupleIJNSH_6TensorESM_SM_EERKSM_lbbbEUlllE0_EEPmJS6_EEE10hipError_tPvRmT3_T4_T5_T6_T7_T9_mT8_P12ihipStream_tbDpT10_ENKUlT_T0_E_clISt17integral_constantIbLb1EES1B_IbLb0EEEEDaS17_S18_EUlS17_E_NS1_11comp_targetILNS1_3genE4ELNS1_11target_archE910ELNS1_3gpuE8ELNS1_3repE0EEENS1_30default_config_static_selectorELNS0_4arch9wavefront6targetE1EEEvT1_,"axG",@progbits,_ZN7rocprim17ROCPRIM_400000_NS6detail17trampoline_kernelINS0_14default_configENS1_25partition_config_selectorILNS1_17partition_subalgoE8ElNS0_10empty_typeEbEEZZNS1_14partition_implILS5_8ELb0ES3_jPlPS6_PKS6_NS0_5tupleIJS9_S6_EEENSD_IJSA_SA_EEENS0_18inequality_wrapperIZN2at6native12_GLOBAL__N_124unique_dim_cuda_templateIjEESt5tupleIJNSH_6TensorESM_SM_EERKSM_lbbbEUlllE0_EEPmJS6_EEE10hipError_tPvRmT3_T4_T5_T6_T7_T9_mT8_P12ihipStream_tbDpT10_ENKUlT_T0_E_clISt17integral_constantIbLb1EES1B_IbLb0EEEEDaS17_S18_EUlS17_E_NS1_11comp_targetILNS1_3genE4ELNS1_11target_archE910ELNS1_3gpuE8ELNS1_3repE0EEENS1_30default_config_static_selectorELNS0_4arch9wavefront6targetE1EEEvT1_,comdat
	.globl	_ZN7rocprim17ROCPRIM_400000_NS6detail17trampoline_kernelINS0_14default_configENS1_25partition_config_selectorILNS1_17partition_subalgoE8ElNS0_10empty_typeEbEEZZNS1_14partition_implILS5_8ELb0ES3_jPlPS6_PKS6_NS0_5tupleIJS9_S6_EEENSD_IJSA_SA_EEENS0_18inequality_wrapperIZN2at6native12_GLOBAL__N_124unique_dim_cuda_templateIjEESt5tupleIJNSH_6TensorESM_SM_EERKSM_lbbbEUlllE0_EEPmJS6_EEE10hipError_tPvRmT3_T4_T5_T6_T7_T9_mT8_P12ihipStream_tbDpT10_ENKUlT_T0_E_clISt17integral_constantIbLb1EES1B_IbLb0EEEEDaS17_S18_EUlS17_E_NS1_11comp_targetILNS1_3genE4ELNS1_11target_archE910ELNS1_3gpuE8ELNS1_3repE0EEENS1_30default_config_static_selectorELNS0_4arch9wavefront6targetE1EEEvT1_ ; -- Begin function _ZN7rocprim17ROCPRIM_400000_NS6detail17trampoline_kernelINS0_14default_configENS1_25partition_config_selectorILNS1_17partition_subalgoE8ElNS0_10empty_typeEbEEZZNS1_14partition_implILS5_8ELb0ES3_jPlPS6_PKS6_NS0_5tupleIJS9_S6_EEENSD_IJSA_SA_EEENS0_18inequality_wrapperIZN2at6native12_GLOBAL__N_124unique_dim_cuda_templateIjEESt5tupleIJNSH_6TensorESM_SM_EERKSM_lbbbEUlllE0_EEPmJS6_EEE10hipError_tPvRmT3_T4_T5_T6_T7_T9_mT8_P12ihipStream_tbDpT10_ENKUlT_T0_E_clISt17integral_constantIbLb1EES1B_IbLb0EEEEDaS17_S18_EUlS17_E_NS1_11comp_targetILNS1_3genE4ELNS1_11target_archE910ELNS1_3gpuE8ELNS1_3repE0EEENS1_30default_config_static_selectorELNS0_4arch9wavefront6targetE1EEEvT1_
	.p2align	8
	.type	_ZN7rocprim17ROCPRIM_400000_NS6detail17trampoline_kernelINS0_14default_configENS1_25partition_config_selectorILNS1_17partition_subalgoE8ElNS0_10empty_typeEbEEZZNS1_14partition_implILS5_8ELb0ES3_jPlPS6_PKS6_NS0_5tupleIJS9_S6_EEENSD_IJSA_SA_EEENS0_18inequality_wrapperIZN2at6native12_GLOBAL__N_124unique_dim_cuda_templateIjEESt5tupleIJNSH_6TensorESM_SM_EERKSM_lbbbEUlllE0_EEPmJS6_EEE10hipError_tPvRmT3_T4_T5_T6_T7_T9_mT8_P12ihipStream_tbDpT10_ENKUlT_T0_E_clISt17integral_constantIbLb1EES1B_IbLb0EEEEDaS17_S18_EUlS17_E_NS1_11comp_targetILNS1_3genE4ELNS1_11target_archE910ELNS1_3gpuE8ELNS1_3repE0EEENS1_30default_config_static_selectorELNS0_4arch9wavefront6targetE1EEEvT1_,@function
_ZN7rocprim17ROCPRIM_400000_NS6detail17trampoline_kernelINS0_14default_configENS1_25partition_config_selectorILNS1_17partition_subalgoE8ElNS0_10empty_typeEbEEZZNS1_14partition_implILS5_8ELb0ES3_jPlPS6_PKS6_NS0_5tupleIJS9_S6_EEENSD_IJSA_SA_EEENS0_18inequality_wrapperIZN2at6native12_GLOBAL__N_124unique_dim_cuda_templateIjEESt5tupleIJNSH_6TensorESM_SM_EERKSM_lbbbEUlllE0_EEPmJS6_EEE10hipError_tPvRmT3_T4_T5_T6_T7_T9_mT8_P12ihipStream_tbDpT10_ENKUlT_T0_E_clISt17integral_constantIbLb1EES1B_IbLb0EEEEDaS17_S18_EUlS17_E_NS1_11comp_targetILNS1_3genE4ELNS1_11target_archE910ELNS1_3gpuE8ELNS1_3repE0EEENS1_30default_config_static_selectorELNS0_4arch9wavefront6targetE1EEEvT1_: ; @_ZN7rocprim17ROCPRIM_400000_NS6detail17trampoline_kernelINS0_14default_configENS1_25partition_config_selectorILNS1_17partition_subalgoE8ElNS0_10empty_typeEbEEZZNS1_14partition_implILS5_8ELb0ES3_jPlPS6_PKS6_NS0_5tupleIJS9_S6_EEENSD_IJSA_SA_EEENS0_18inequality_wrapperIZN2at6native12_GLOBAL__N_124unique_dim_cuda_templateIjEESt5tupleIJNSH_6TensorESM_SM_EERKSM_lbbbEUlllE0_EEPmJS6_EEE10hipError_tPvRmT3_T4_T5_T6_T7_T9_mT8_P12ihipStream_tbDpT10_ENKUlT_T0_E_clISt17integral_constantIbLb1EES1B_IbLb0EEEEDaS17_S18_EUlS17_E_NS1_11comp_targetILNS1_3genE4ELNS1_11target_archE910ELNS1_3gpuE8ELNS1_3repE0EEENS1_30default_config_static_selectorELNS0_4arch9wavefront6targetE1EEEvT1_
; %bb.0:
	.section	.rodata,"a",@progbits
	.p2align	6, 0x0
	.amdhsa_kernel _ZN7rocprim17ROCPRIM_400000_NS6detail17trampoline_kernelINS0_14default_configENS1_25partition_config_selectorILNS1_17partition_subalgoE8ElNS0_10empty_typeEbEEZZNS1_14partition_implILS5_8ELb0ES3_jPlPS6_PKS6_NS0_5tupleIJS9_S6_EEENSD_IJSA_SA_EEENS0_18inequality_wrapperIZN2at6native12_GLOBAL__N_124unique_dim_cuda_templateIjEESt5tupleIJNSH_6TensorESM_SM_EERKSM_lbbbEUlllE0_EEPmJS6_EEE10hipError_tPvRmT3_T4_T5_T6_T7_T9_mT8_P12ihipStream_tbDpT10_ENKUlT_T0_E_clISt17integral_constantIbLb1EES1B_IbLb0EEEEDaS17_S18_EUlS17_E_NS1_11comp_targetILNS1_3genE4ELNS1_11target_archE910ELNS1_3gpuE8ELNS1_3repE0EEENS1_30default_config_static_selectorELNS0_4arch9wavefront6targetE1EEEvT1_
		.amdhsa_group_segment_fixed_size 0
		.amdhsa_private_segment_fixed_size 0
		.amdhsa_kernarg_size 120
		.amdhsa_user_sgpr_count 2
		.amdhsa_user_sgpr_dispatch_ptr 0
		.amdhsa_user_sgpr_queue_ptr 0
		.amdhsa_user_sgpr_kernarg_segment_ptr 1
		.amdhsa_user_sgpr_dispatch_id 0
		.amdhsa_user_sgpr_kernarg_preload_length 0
		.amdhsa_user_sgpr_kernarg_preload_offset 0
		.amdhsa_user_sgpr_private_segment_size 0
		.amdhsa_uses_dynamic_stack 0
		.amdhsa_enable_private_segment 0
		.amdhsa_system_sgpr_workgroup_id_x 1
		.amdhsa_system_sgpr_workgroup_id_y 0
		.amdhsa_system_sgpr_workgroup_id_z 0
		.amdhsa_system_sgpr_workgroup_info 0
		.amdhsa_system_vgpr_workitem_id 0
		.amdhsa_next_free_vgpr 1
		.amdhsa_next_free_sgpr 0
		.amdhsa_accum_offset 4
		.amdhsa_reserve_vcc 0
		.amdhsa_float_round_mode_32 0
		.amdhsa_float_round_mode_16_64 0
		.amdhsa_float_denorm_mode_32 3
		.amdhsa_float_denorm_mode_16_64 3
		.amdhsa_dx10_clamp 1
		.amdhsa_ieee_mode 1
		.amdhsa_fp16_overflow 0
		.amdhsa_tg_split 0
		.amdhsa_exception_fp_ieee_invalid_op 0
		.amdhsa_exception_fp_denorm_src 0
		.amdhsa_exception_fp_ieee_div_zero 0
		.amdhsa_exception_fp_ieee_overflow 0
		.amdhsa_exception_fp_ieee_underflow 0
		.amdhsa_exception_fp_ieee_inexact 0
		.amdhsa_exception_int_div_zero 0
	.end_amdhsa_kernel
	.section	.text._ZN7rocprim17ROCPRIM_400000_NS6detail17trampoline_kernelINS0_14default_configENS1_25partition_config_selectorILNS1_17partition_subalgoE8ElNS0_10empty_typeEbEEZZNS1_14partition_implILS5_8ELb0ES3_jPlPS6_PKS6_NS0_5tupleIJS9_S6_EEENSD_IJSA_SA_EEENS0_18inequality_wrapperIZN2at6native12_GLOBAL__N_124unique_dim_cuda_templateIjEESt5tupleIJNSH_6TensorESM_SM_EERKSM_lbbbEUlllE0_EEPmJS6_EEE10hipError_tPvRmT3_T4_T5_T6_T7_T9_mT8_P12ihipStream_tbDpT10_ENKUlT_T0_E_clISt17integral_constantIbLb1EES1B_IbLb0EEEEDaS17_S18_EUlS17_E_NS1_11comp_targetILNS1_3genE4ELNS1_11target_archE910ELNS1_3gpuE8ELNS1_3repE0EEENS1_30default_config_static_selectorELNS0_4arch9wavefront6targetE1EEEvT1_,"axG",@progbits,_ZN7rocprim17ROCPRIM_400000_NS6detail17trampoline_kernelINS0_14default_configENS1_25partition_config_selectorILNS1_17partition_subalgoE8ElNS0_10empty_typeEbEEZZNS1_14partition_implILS5_8ELb0ES3_jPlPS6_PKS6_NS0_5tupleIJS9_S6_EEENSD_IJSA_SA_EEENS0_18inequality_wrapperIZN2at6native12_GLOBAL__N_124unique_dim_cuda_templateIjEESt5tupleIJNSH_6TensorESM_SM_EERKSM_lbbbEUlllE0_EEPmJS6_EEE10hipError_tPvRmT3_T4_T5_T6_T7_T9_mT8_P12ihipStream_tbDpT10_ENKUlT_T0_E_clISt17integral_constantIbLb1EES1B_IbLb0EEEEDaS17_S18_EUlS17_E_NS1_11comp_targetILNS1_3genE4ELNS1_11target_archE910ELNS1_3gpuE8ELNS1_3repE0EEENS1_30default_config_static_selectorELNS0_4arch9wavefront6targetE1EEEvT1_,comdat
.Lfunc_end1559:
	.size	_ZN7rocprim17ROCPRIM_400000_NS6detail17trampoline_kernelINS0_14default_configENS1_25partition_config_selectorILNS1_17partition_subalgoE8ElNS0_10empty_typeEbEEZZNS1_14partition_implILS5_8ELb0ES3_jPlPS6_PKS6_NS0_5tupleIJS9_S6_EEENSD_IJSA_SA_EEENS0_18inequality_wrapperIZN2at6native12_GLOBAL__N_124unique_dim_cuda_templateIjEESt5tupleIJNSH_6TensorESM_SM_EERKSM_lbbbEUlllE0_EEPmJS6_EEE10hipError_tPvRmT3_T4_T5_T6_T7_T9_mT8_P12ihipStream_tbDpT10_ENKUlT_T0_E_clISt17integral_constantIbLb1EES1B_IbLb0EEEEDaS17_S18_EUlS17_E_NS1_11comp_targetILNS1_3genE4ELNS1_11target_archE910ELNS1_3gpuE8ELNS1_3repE0EEENS1_30default_config_static_selectorELNS0_4arch9wavefront6targetE1EEEvT1_, .Lfunc_end1559-_ZN7rocprim17ROCPRIM_400000_NS6detail17trampoline_kernelINS0_14default_configENS1_25partition_config_selectorILNS1_17partition_subalgoE8ElNS0_10empty_typeEbEEZZNS1_14partition_implILS5_8ELb0ES3_jPlPS6_PKS6_NS0_5tupleIJS9_S6_EEENSD_IJSA_SA_EEENS0_18inequality_wrapperIZN2at6native12_GLOBAL__N_124unique_dim_cuda_templateIjEESt5tupleIJNSH_6TensorESM_SM_EERKSM_lbbbEUlllE0_EEPmJS6_EEE10hipError_tPvRmT3_T4_T5_T6_T7_T9_mT8_P12ihipStream_tbDpT10_ENKUlT_T0_E_clISt17integral_constantIbLb1EES1B_IbLb0EEEEDaS17_S18_EUlS17_E_NS1_11comp_targetILNS1_3genE4ELNS1_11target_archE910ELNS1_3gpuE8ELNS1_3repE0EEENS1_30default_config_static_selectorELNS0_4arch9wavefront6targetE1EEEvT1_
                                        ; -- End function
	.set _ZN7rocprim17ROCPRIM_400000_NS6detail17trampoline_kernelINS0_14default_configENS1_25partition_config_selectorILNS1_17partition_subalgoE8ElNS0_10empty_typeEbEEZZNS1_14partition_implILS5_8ELb0ES3_jPlPS6_PKS6_NS0_5tupleIJS9_S6_EEENSD_IJSA_SA_EEENS0_18inequality_wrapperIZN2at6native12_GLOBAL__N_124unique_dim_cuda_templateIjEESt5tupleIJNSH_6TensorESM_SM_EERKSM_lbbbEUlllE0_EEPmJS6_EEE10hipError_tPvRmT3_T4_T5_T6_T7_T9_mT8_P12ihipStream_tbDpT10_ENKUlT_T0_E_clISt17integral_constantIbLb1EES1B_IbLb0EEEEDaS17_S18_EUlS17_E_NS1_11comp_targetILNS1_3genE4ELNS1_11target_archE910ELNS1_3gpuE8ELNS1_3repE0EEENS1_30default_config_static_selectorELNS0_4arch9wavefront6targetE1EEEvT1_.num_vgpr, 0
	.set _ZN7rocprim17ROCPRIM_400000_NS6detail17trampoline_kernelINS0_14default_configENS1_25partition_config_selectorILNS1_17partition_subalgoE8ElNS0_10empty_typeEbEEZZNS1_14partition_implILS5_8ELb0ES3_jPlPS6_PKS6_NS0_5tupleIJS9_S6_EEENSD_IJSA_SA_EEENS0_18inequality_wrapperIZN2at6native12_GLOBAL__N_124unique_dim_cuda_templateIjEESt5tupleIJNSH_6TensorESM_SM_EERKSM_lbbbEUlllE0_EEPmJS6_EEE10hipError_tPvRmT3_T4_T5_T6_T7_T9_mT8_P12ihipStream_tbDpT10_ENKUlT_T0_E_clISt17integral_constantIbLb1EES1B_IbLb0EEEEDaS17_S18_EUlS17_E_NS1_11comp_targetILNS1_3genE4ELNS1_11target_archE910ELNS1_3gpuE8ELNS1_3repE0EEENS1_30default_config_static_selectorELNS0_4arch9wavefront6targetE1EEEvT1_.num_agpr, 0
	.set _ZN7rocprim17ROCPRIM_400000_NS6detail17trampoline_kernelINS0_14default_configENS1_25partition_config_selectorILNS1_17partition_subalgoE8ElNS0_10empty_typeEbEEZZNS1_14partition_implILS5_8ELb0ES3_jPlPS6_PKS6_NS0_5tupleIJS9_S6_EEENSD_IJSA_SA_EEENS0_18inequality_wrapperIZN2at6native12_GLOBAL__N_124unique_dim_cuda_templateIjEESt5tupleIJNSH_6TensorESM_SM_EERKSM_lbbbEUlllE0_EEPmJS6_EEE10hipError_tPvRmT3_T4_T5_T6_T7_T9_mT8_P12ihipStream_tbDpT10_ENKUlT_T0_E_clISt17integral_constantIbLb1EES1B_IbLb0EEEEDaS17_S18_EUlS17_E_NS1_11comp_targetILNS1_3genE4ELNS1_11target_archE910ELNS1_3gpuE8ELNS1_3repE0EEENS1_30default_config_static_selectorELNS0_4arch9wavefront6targetE1EEEvT1_.numbered_sgpr, 0
	.set _ZN7rocprim17ROCPRIM_400000_NS6detail17trampoline_kernelINS0_14default_configENS1_25partition_config_selectorILNS1_17partition_subalgoE8ElNS0_10empty_typeEbEEZZNS1_14partition_implILS5_8ELb0ES3_jPlPS6_PKS6_NS0_5tupleIJS9_S6_EEENSD_IJSA_SA_EEENS0_18inequality_wrapperIZN2at6native12_GLOBAL__N_124unique_dim_cuda_templateIjEESt5tupleIJNSH_6TensorESM_SM_EERKSM_lbbbEUlllE0_EEPmJS6_EEE10hipError_tPvRmT3_T4_T5_T6_T7_T9_mT8_P12ihipStream_tbDpT10_ENKUlT_T0_E_clISt17integral_constantIbLb1EES1B_IbLb0EEEEDaS17_S18_EUlS17_E_NS1_11comp_targetILNS1_3genE4ELNS1_11target_archE910ELNS1_3gpuE8ELNS1_3repE0EEENS1_30default_config_static_selectorELNS0_4arch9wavefront6targetE1EEEvT1_.num_named_barrier, 0
	.set _ZN7rocprim17ROCPRIM_400000_NS6detail17trampoline_kernelINS0_14default_configENS1_25partition_config_selectorILNS1_17partition_subalgoE8ElNS0_10empty_typeEbEEZZNS1_14partition_implILS5_8ELb0ES3_jPlPS6_PKS6_NS0_5tupleIJS9_S6_EEENSD_IJSA_SA_EEENS0_18inequality_wrapperIZN2at6native12_GLOBAL__N_124unique_dim_cuda_templateIjEESt5tupleIJNSH_6TensorESM_SM_EERKSM_lbbbEUlllE0_EEPmJS6_EEE10hipError_tPvRmT3_T4_T5_T6_T7_T9_mT8_P12ihipStream_tbDpT10_ENKUlT_T0_E_clISt17integral_constantIbLb1EES1B_IbLb0EEEEDaS17_S18_EUlS17_E_NS1_11comp_targetILNS1_3genE4ELNS1_11target_archE910ELNS1_3gpuE8ELNS1_3repE0EEENS1_30default_config_static_selectorELNS0_4arch9wavefront6targetE1EEEvT1_.private_seg_size, 0
	.set _ZN7rocprim17ROCPRIM_400000_NS6detail17trampoline_kernelINS0_14default_configENS1_25partition_config_selectorILNS1_17partition_subalgoE8ElNS0_10empty_typeEbEEZZNS1_14partition_implILS5_8ELb0ES3_jPlPS6_PKS6_NS0_5tupleIJS9_S6_EEENSD_IJSA_SA_EEENS0_18inequality_wrapperIZN2at6native12_GLOBAL__N_124unique_dim_cuda_templateIjEESt5tupleIJNSH_6TensorESM_SM_EERKSM_lbbbEUlllE0_EEPmJS6_EEE10hipError_tPvRmT3_T4_T5_T6_T7_T9_mT8_P12ihipStream_tbDpT10_ENKUlT_T0_E_clISt17integral_constantIbLb1EES1B_IbLb0EEEEDaS17_S18_EUlS17_E_NS1_11comp_targetILNS1_3genE4ELNS1_11target_archE910ELNS1_3gpuE8ELNS1_3repE0EEENS1_30default_config_static_selectorELNS0_4arch9wavefront6targetE1EEEvT1_.uses_vcc, 0
	.set _ZN7rocprim17ROCPRIM_400000_NS6detail17trampoline_kernelINS0_14default_configENS1_25partition_config_selectorILNS1_17partition_subalgoE8ElNS0_10empty_typeEbEEZZNS1_14partition_implILS5_8ELb0ES3_jPlPS6_PKS6_NS0_5tupleIJS9_S6_EEENSD_IJSA_SA_EEENS0_18inequality_wrapperIZN2at6native12_GLOBAL__N_124unique_dim_cuda_templateIjEESt5tupleIJNSH_6TensorESM_SM_EERKSM_lbbbEUlllE0_EEPmJS6_EEE10hipError_tPvRmT3_T4_T5_T6_T7_T9_mT8_P12ihipStream_tbDpT10_ENKUlT_T0_E_clISt17integral_constantIbLb1EES1B_IbLb0EEEEDaS17_S18_EUlS17_E_NS1_11comp_targetILNS1_3genE4ELNS1_11target_archE910ELNS1_3gpuE8ELNS1_3repE0EEENS1_30default_config_static_selectorELNS0_4arch9wavefront6targetE1EEEvT1_.uses_flat_scratch, 0
	.set _ZN7rocprim17ROCPRIM_400000_NS6detail17trampoline_kernelINS0_14default_configENS1_25partition_config_selectorILNS1_17partition_subalgoE8ElNS0_10empty_typeEbEEZZNS1_14partition_implILS5_8ELb0ES3_jPlPS6_PKS6_NS0_5tupleIJS9_S6_EEENSD_IJSA_SA_EEENS0_18inequality_wrapperIZN2at6native12_GLOBAL__N_124unique_dim_cuda_templateIjEESt5tupleIJNSH_6TensorESM_SM_EERKSM_lbbbEUlllE0_EEPmJS6_EEE10hipError_tPvRmT3_T4_T5_T6_T7_T9_mT8_P12ihipStream_tbDpT10_ENKUlT_T0_E_clISt17integral_constantIbLb1EES1B_IbLb0EEEEDaS17_S18_EUlS17_E_NS1_11comp_targetILNS1_3genE4ELNS1_11target_archE910ELNS1_3gpuE8ELNS1_3repE0EEENS1_30default_config_static_selectorELNS0_4arch9wavefront6targetE1EEEvT1_.has_dyn_sized_stack, 0
	.set _ZN7rocprim17ROCPRIM_400000_NS6detail17trampoline_kernelINS0_14default_configENS1_25partition_config_selectorILNS1_17partition_subalgoE8ElNS0_10empty_typeEbEEZZNS1_14partition_implILS5_8ELb0ES3_jPlPS6_PKS6_NS0_5tupleIJS9_S6_EEENSD_IJSA_SA_EEENS0_18inequality_wrapperIZN2at6native12_GLOBAL__N_124unique_dim_cuda_templateIjEESt5tupleIJNSH_6TensorESM_SM_EERKSM_lbbbEUlllE0_EEPmJS6_EEE10hipError_tPvRmT3_T4_T5_T6_T7_T9_mT8_P12ihipStream_tbDpT10_ENKUlT_T0_E_clISt17integral_constantIbLb1EES1B_IbLb0EEEEDaS17_S18_EUlS17_E_NS1_11comp_targetILNS1_3genE4ELNS1_11target_archE910ELNS1_3gpuE8ELNS1_3repE0EEENS1_30default_config_static_selectorELNS0_4arch9wavefront6targetE1EEEvT1_.has_recursion, 0
	.set _ZN7rocprim17ROCPRIM_400000_NS6detail17trampoline_kernelINS0_14default_configENS1_25partition_config_selectorILNS1_17partition_subalgoE8ElNS0_10empty_typeEbEEZZNS1_14partition_implILS5_8ELb0ES3_jPlPS6_PKS6_NS0_5tupleIJS9_S6_EEENSD_IJSA_SA_EEENS0_18inequality_wrapperIZN2at6native12_GLOBAL__N_124unique_dim_cuda_templateIjEESt5tupleIJNSH_6TensorESM_SM_EERKSM_lbbbEUlllE0_EEPmJS6_EEE10hipError_tPvRmT3_T4_T5_T6_T7_T9_mT8_P12ihipStream_tbDpT10_ENKUlT_T0_E_clISt17integral_constantIbLb1EES1B_IbLb0EEEEDaS17_S18_EUlS17_E_NS1_11comp_targetILNS1_3genE4ELNS1_11target_archE910ELNS1_3gpuE8ELNS1_3repE0EEENS1_30default_config_static_selectorELNS0_4arch9wavefront6targetE1EEEvT1_.has_indirect_call, 0
	.section	.AMDGPU.csdata,"",@progbits
; Kernel info:
; codeLenInByte = 0
; TotalNumSgprs: 6
; NumVgprs: 0
; NumAgprs: 0
; TotalNumVgprs: 0
; ScratchSize: 0
; MemoryBound: 0
; FloatMode: 240
; IeeeMode: 1
; LDSByteSize: 0 bytes/workgroup (compile time only)
; SGPRBlocks: 0
; VGPRBlocks: 0
; NumSGPRsForWavesPerEU: 6
; NumVGPRsForWavesPerEU: 1
; AccumOffset: 4
; Occupancy: 8
; WaveLimiterHint : 0
; COMPUTE_PGM_RSRC2:SCRATCH_EN: 0
; COMPUTE_PGM_RSRC2:USER_SGPR: 2
; COMPUTE_PGM_RSRC2:TRAP_HANDLER: 0
; COMPUTE_PGM_RSRC2:TGID_X_EN: 1
; COMPUTE_PGM_RSRC2:TGID_Y_EN: 0
; COMPUTE_PGM_RSRC2:TGID_Z_EN: 0
; COMPUTE_PGM_RSRC2:TIDIG_COMP_CNT: 0
; COMPUTE_PGM_RSRC3_GFX90A:ACCUM_OFFSET: 0
; COMPUTE_PGM_RSRC3_GFX90A:TG_SPLIT: 0
	.section	.text._ZN7rocprim17ROCPRIM_400000_NS6detail17trampoline_kernelINS0_14default_configENS1_25partition_config_selectorILNS1_17partition_subalgoE8ElNS0_10empty_typeEbEEZZNS1_14partition_implILS5_8ELb0ES3_jPlPS6_PKS6_NS0_5tupleIJS9_S6_EEENSD_IJSA_SA_EEENS0_18inequality_wrapperIZN2at6native12_GLOBAL__N_124unique_dim_cuda_templateIjEESt5tupleIJNSH_6TensorESM_SM_EERKSM_lbbbEUlllE0_EEPmJS6_EEE10hipError_tPvRmT3_T4_T5_T6_T7_T9_mT8_P12ihipStream_tbDpT10_ENKUlT_T0_E_clISt17integral_constantIbLb1EES1B_IbLb0EEEEDaS17_S18_EUlS17_E_NS1_11comp_targetILNS1_3genE3ELNS1_11target_archE908ELNS1_3gpuE7ELNS1_3repE0EEENS1_30default_config_static_selectorELNS0_4arch9wavefront6targetE1EEEvT1_,"axG",@progbits,_ZN7rocprim17ROCPRIM_400000_NS6detail17trampoline_kernelINS0_14default_configENS1_25partition_config_selectorILNS1_17partition_subalgoE8ElNS0_10empty_typeEbEEZZNS1_14partition_implILS5_8ELb0ES3_jPlPS6_PKS6_NS0_5tupleIJS9_S6_EEENSD_IJSA_SA_EEENS0_18inequality_wrapperIZN2at6native12_GLOBAL__N_124unique_dim_cuda_templateIjEESt5tupleIJNSH_6TensorESM_SM_EERKSM_lbbbEUlllE0_EEPmJS6_EEE10hipError_tPvRmT3_T4_T5_T6_T7_T9_mT8_P12ihipStream_tbDpT10_ENKUlT_T0_E_clISt17integral_constantIbLb1EES1B_IbLb0EEEEDaS17_S18_EUlS17_E_NS1_11comp_targetILNS1_3genE3ELNS1_11target_archE908ELNS1_3gpuE7ELNS1_3repE0EEENS1_30default_config_static_selectorELNS0_4arch9wavefront6targetE1EEEvT1_,comdat
	.globl	_ZN7rocprim17ROCPRIM_400000_NS6detail17trampoline_kernelINS0_14default_configENS1_25partition_config_selectorILNS1_17partition_subalgoE8ElNS0_10empty_typeEbEEZZNS1_14partition_implILS5_8ELb0ES3_jPlPS6_PKS6_NS0_5tupleIJS9_S6_EEENSD_IJSA_SA_EEENS0_18inequality_wrapperIZN2at6native12_GLOBAL__N_124unique_dim_cuda_templateIjEESt5tupleIJNSH_6TensorESM_SM_EERKSM_lbbbEUlllE0_EEPmJS6_EEE10hipError_tPvRmT3_T4_T5_T6_T7_T9_mT8_P12ihipStream_tbDpT10_ENKUlT_T0_E_clISt17integral_constantIbLb1EES1B_IbLb0EEEEDaS17_S18_EUlS17_E_NS1_11comp_targetILNS1_3genE3ELNS1_11target_archE908ELNS1_3gpuE7ELNS1_3repE0EEENS1_30default_config_static_selectorELNS0_4arch9wavefront6targetE1EEEvT1_ ; -- Begin function _ZN7rocprim17ROCPRIM_400000_NS6detail17trampoline_kernelINS0_14default_configENS1_25partition_config_selectorILNS1_17partition_subalgoE8ElNS0_10empty_typeEbEEZZNS1_14partition_implILS5_8ELb0ES3_jPlPS6_PKS6_NS0_5tupleIJS9_S6_EEENSD_IJSA_SA_EEENS0_18inequality_wrapperIZN2at6native12_GLOBAL__N_124unique_dim_cuda_templateIjEESt5tupleIJNSH_6TensorESM_SM_EERKSM_lbbbEUlllE0_EEPmJS6_EEE10hipError_tPvRmT3_T4_T5_T6_T7_T9_mT8_P12ihipStream_tbDpT10_ENKUlT_T0_E_clISt17integral_constantIbLb1EES1B_IbLb0EEEEDaS17_S18_EUlS17_E_NS1_11comp_targetILNS1_3genE3ELNS1_11target_archE908ELNS1_3gpuE7ELNS1_3repE0EEENS1_30default_config_static_selectorELNS0_4arch9wavefront6targetE1EEEvT1_
	.p2align	8
	.type	_ZN7rocprim17ROCPRIM_400000_NS6detail17trampoline_kernelINS0_14default_configENS1_25partition_config_selectorILNS1_17partition_subalgoE8ElNS0_10empty_typeEbEEZZNS1_14partition_implILS5_8ELb0ES3_jPlPS6_PKS6_NS0_5tupleIJS9_S6_EEENSD_IJSA_SA_EEENS0_18inequality_wrapperIZN2at6native12_GLOBAL__N_124unique_dim_cuda_templateIjEESt5tupleIJNSH_6TensorESM_SM_EERKSM_lbbbEUlllE0_EEPmJS6_EEE10hipError_tPvRmT3_T4_T5_T6_T7_T9_mT8_P12ihipStream_tbDpT10_ENKUlT_T0_E_clISt17integral_constantIbLb1EES1B_IbLb0EEEEDaS17_S18_EUlS17_E_NS1_11comp_targetILNS1_3genE3ELNS1_11target_archE908ELNS1_3gpuE7ELNS1_3repE0EEENS1_30default_config_static_selectorELNS0_4arch9wavefront6targetE1EEEvT1_,@function
_ZN7rocprim17ROCPRIM_400000_NS6detail17trampoline_kernelINS0_14default_configENS1_25partition_config_selectorILNS1_17partition_subalgoE8ElNS0_10empty_typeEbEEZZNS1_14partition_implILS5_8ELb0ES3_jPlPS6_PKS6_NS0_5tupleIJS9_S6_EEENSD_IJSA_SA_EEENS0_18inequality_wrapperIZN2at6native12_GLOBAL__N_124unique_dim_cuda_templateIjEESt5tupleIJNSH_6TensorESM_SM_EERKSM_lbbbEUlllE0_EEPmJS6_EEE10hipError_tPvRmT3_T4_T5_T6_T7_T9_mT8_P12ihipStream_tbDpT10_ENKUlT_T0_E_clISt17integral_constantIbLb1EES1B_IbLb0EEEEDaS17_S18_EUlS17_E_NS1_11comp_targetILNS1_3genE3ELNS1_11target_archE908ELNS1_3gpuE7ELNS1_3repE0EEENS1_30default_config_static_selectorELNS0_4arch9wavefront6targetE1EEEvT1_: ; @_ZN7rocprim17ROCPRIM_400000_NS6detail17trampoline_kernelINS0_14default_configENS1_25partition_config_selectorILNS1_17partition_subalgoE8ElNS0_10empty_typeEbEEZZNS1_14partition_implILS5_8ELb0ES3_jPlPS6_PKS6_NS0_5tupleIJS9_S6_EEENSD_IJSA_SA_EEENS0_18inequality_wrapperIZN2at6native12_GLOBAL__N_124unique_dim_cuda_templateIjEESt5tupleIJNSH_6TensorESM_SM_EERKSM_lbbbEUlllE0_EEPmJS6_EEE10hipError_tPvRmT3_T4_T5_T6_T7_T9_mT8_P12ihipStream_tbDpT10_ENKUlT_T0_E_clISt17integral_constantIbLb1EES1B_IbLb0EEEEDaS17_S18_EUlS17_E_NS1_11comp_targetILNS1_3genE3ELNS1_11target_archE908ELNS1_3gpuE7ELNS1_3repE0EEENS1_30default_config_static_selectorELNS0_4arch9wavefront6targetE1EEEvT1_
; %bb.0:
	.section	.rodata,"a",@progbits
	.p2align	6, 0x0
	.amdhsa_kernel _ZN7rocprim17ROCPRIM_400000_NS6detail17trampoline_kernelINS0_14default_configENS1_25partition_config_selectorILNS1_17partition_subalgoE8ElNS0_10empty_typeEbEEZZNS1_14partition_implILS5_8ELb0ES3_jPlPS6_PKS6_NS0_5tupleIJS9_S6_EEENSD_IJSA_SA_EEENS0_18inequality_wrapperIZN2at6native12_GLOBAL__N_124unique_dim_cuda_templateIjEESt5tupleIJNSH_6TensorESM_SM_EERKSM_lbbbEUlllE0_EEPmJS6_EEE10hipError_tPvRmT3_T4_T5_T6_T7_T9_mT8_P12ihipStream_tbDpT10_ENKUlT_T0_E_clISt17integral_constantIbLb1EES1B_IbLb0EEEEDaS17_S18_EUlS17_E_NS1_11comp_targetILNS1_3genE3ELNS1_11target_archE908ELNS1_3gpuE7ELNS1_3repE0EEENS1_30default_config_static_selectorELNS0_4arch9wavefront6targetE1EEEvT1_
		.amdhsa_group_segment_fixed_size 0
		.amdhsa_private_segment_fixed_size 0
		.amdhsa_kernarg_size 120
		.amdhsa_user_sgpr_count 2
		.amdhsa_user_sgpr_dispatch_ptr 0
		.amdhsa_user_sgpr_queue_ptr 0
		.amdhsa_user_sgpr_kernarg_segment_ptr 1
		.amdhsa_user_sgpr_dispatch_id 0
		.amdhsa_user_sgpr_kernarg_preload_length 0
		.amdhsa_user_sgpr_kernarg_preload_offset 0
		.amdhsa_user_sgpr_private_segment_size 0
		.amdhsa_uses_dynamic_stack 0
		.amdhsa_enable_private_segment 0
		.amdhsa_system_sgpr_workgroup_id_x 1
		.amdhsa_system_sgpr_workgroup_id_y 0
		.amdhsa_system_sgpr_workgroup_id_z 0
		.amdhsa_system_sgpr_workgroup_info 0
		.amdhsa_system_vgpr_workitem_id 0
		.amdhsa_next_free_vgpr 1
		.amdhsa_next_free_sgpr 0
		.amdhsa_accum_offset 4
		.amdhsa_reserve_vcc 0
		.amdhsa_float_round_mode_32 0
		.amdhsa_float_round_mode_16_64 0
		.amdhsa_float_denorm_mode_32 3
		.amdhsa_float_denorm_mode_16_64 3
		.amdhsa_dx10_clamp 1
		.amdhsa_ieee_mode 1
		.amdhsa_fp16_overflow 0
		.amdhsa_tg_split 0
		.amdhsa_exception_fp_ieee_invalid_op 0
		.amdhsa_exception_fp_denorm_src 0
		.amdhsa_exception_fp_ieee_div_zero 0
		.amdhsa_exception_fp_ieee_overflow 0
		.amdhsa_exception_fp_ieee_underflow 0
		.amdhsa_exception_fp_ieee_inexact 0
		.amdhsa_exception_int_div_zero 0
	.end_amdhsa_kernel
	.section	.text._ZN7rocprim17ROCPRIM_400000_NS6detail17trampoline_kernelINS0_14default_configENS1_25partition_config_selectorILNS1_17partition_subalgoE8ElNS0_10empty_typeEbEEZZNS1_14partition_implILS5_8ELb0ES3_jPlPS6_PKS6_NS0_5tupleIJS9_S6_EEENSD_IJSA_SA_EEENS0_18inequality_wrapperIZN2at6native12_GLOBAL__N_124unique_dim_cuda_templateIjEESt5tupleIJNSH_6TensorESM_SM_EERKSM_lbbbEUlllE0_EEPmJS6_EEE10hipError_tPvRmT3_T4_T5_T6_T7_T9_mT8_P12ihipStream_tbDpT10_ENKUlT_T0_E_clISt17integral_constantIbLb1EES1B_IbLb0EEEEDaS17_S18_EUlS17_E_NS1_11comp_targetILNS1_3genE3ELNS1_11target_archE908ELNS1_3gpuE7ELNS1_3repE0EEENS1_30default_config_static_selectorELNS0_4arch9wavefront6targetE1EEEvT1_,"axG",@progbits,_ZN7rocprim17ROCPRIM_400000_NS6detail17trampoline_kernelINS0_14default_configENS1_25partition_config_selectorILNS1_17partition_subalgoE8ElNS0_10empty_typeEbEEZZNS1_14partition_implILS5_8ELb0ES3_jPlPS6_PKS6_NS0_5tupleIJS9_S6_EEENSD_IJSA_SA_EEENS0_18inequality_wrapperIZN2at6native12_GLOBAL__N_124unique_dim_cuda_templateIjEESt5tupleIJNSH_6TensorESM_SM_EERKSM_lbbbEUlllE0_EEPmJS6_EEE10hipError_tPvRmT3_T4_T5_T6_T7_T9_mT8_P12ihipStream_tbDpT10_ENKUlT_T0_E_clISt17integral_constantIbLb1EES1B_IbLb0EEEEDaS17_S18_EUlS17_E_NS1_11comp_targetILNS1_3genE3ELNS1_11target_archE908ELNS1_3gpuE7ELNS1_3repE0EEENS1_30default_config_static_selectorELNS0_4arch9wavefront6targetE1EEEvT1_,comdat
.Lfunc_end1560:
	.size	_ZN7rocprim17ROCPRIM_400000_NS6detail17trampoline_kernelINS0_14default_configENS1_25partition_config_selectorILNS1_17partition_subalgoE8ElNS0_10empty_typeEbEEZZNS1_14partition_implILS5_8ELb0ES3_jPlPS6_PKS6_NS0_5tupleIJS9_S6_EEENSD_IJSA_SA_EEENS0_18inequality_wrapperIZN2at6native12_GLOBAL__N_124unique_dim_cuda_templateIjEESt5tupleIJNSH_6TensorESM_SM_EERKSM_lbbbEUlllE0_EEPmJS6_EEE10hipError_tPvRmT3_T4_T5_T6_T7_T9_mT8_P12ihipStream_tbDpT10_ENKUlT_T0_E_clISt17integral_constantIbLb1EES1B_IbLb0EEEEDaS17_S18_EUlS17_E_NS1_11comp_targetILNS1_3genE3ELNS1_11target_archE908ELNS1_3gpuE7ELNS1_3repE0EEENS1_30default_config_static_selectorELNS0_4arch9wavefront6targetE1EEEvT1_, .Lfunc_end1560-_ZN7rocprim17ROCPRIM_400000_NS6detail17trampoline_kernelINS0_14default_configENS1_25partition_config_selectorILNS1_17partition_subalgoE8ElNS0_10empty_typeEbEEZZNS1_14partition_implILS5_8ELb0ES3_jPlPS6_PKS6_NS0_5tupleIJS9_S6_EEENSD_IJSA_SA_EEENS0_18inequality_wrapperIZN2at6native12_GLOBAL__N_124unique_dim_cuda_templateIjEESt5tupleIJNSH_6TensorESM_SM_EERKSM_lbbbEUlllE0_EEPmJS6_EEE10hipError_tPvRmT3_T4_T5_T6_T7_T9_mT8_P12ihipStream_tbDpT10_ENKUlT_T0_E_clISt17integral_constantIbLb1EES1B_IbLb0EEEEDaS17_S18_EUlS17_E_NS1_11comp_targetILNS1_3genE3ELNS1_11target_archE908ELNS1_3gpuE7ELNS1_3repE0EEENS1_30default_config_static_selectorELNS0_4arch9wavefront6targetE1EEEvT1_
                                        ; -- End function
	.set _ZN7rocprim17ROCPRIM_400000_NS6detail17trampoline_kernelINS0_14default_configENS1_25partition_config_selectorILNS1_17partition_subalgoE8ElNS0_10empty_typeEbEEZZNS1_14partition_implILS5_8ELb0ES3_jPlPS6_PKS6_NS0_5tupleIJS9_S6_EEENSD_IJSA_SA_EEENS0_18inequality_wrapperIZN2at6native12_GLOBAL__N_124unique_dim_cuda_templateIjEESt5tupleIJNSH_6TensorESM_SM_EERKSM_lbbbEUlllE0_EEPmJS6_EEE10hipError_tPvRmT3_T4_T5_T6_T7_T9_mT8_P12ihipStream_tbDpT10_ENKUlT_T0_E_clISt17integral_constantIbLb1EES1B_IbLb0EEEEDaS17_S18_EUlS17_E_NS1_11comp_targetILNS1_3genE3ELNS1_11target_archE908ELNS1_3gpuE7ELNS1_3repE0EEENS1_30default_config_static_selectorELNS0_4arch9wavefront6targetE1EEEvT1_.num_vgpr, 0
	.set _ZN7rocprim17ROCPRIM_400000_NS6detail17trampoline_kernelINS0_14default_configENS1_25partition_config_selectorILNS1_17partition_subalgoE8ElNS0_10empty_typeEbEEZZNS1_14partition_implILS5_8ELb0ES3_jPlPS6_PKS6_NS0_5tupleIJS9_S6_EEENSD_IJSA_SA_EEENS0_18inequality_wrapperIZN2at6native12_GLOBAL__N_124unique_dim_cuda_templateIjEESt5tupleIJNSH_6TensorESM_SM_EERKSM_lbbbEUlllE0_EEPmJS6_EEE10hipError_tPvRmT3_T4_T5_T6_T7_T9_mT8_P12ihipStream_tbDpT10_ENKUlT_T0_E_clISt17integral_constantIbLb1EES1B_IbLb0EEEEDaS17_S18_EUlS17_E_NS1_11comp_targetILNS1_3genE3ELNS1_11target_archE908ELNS1_3gpuE7ELNS1_3repE0EEENS1_30default_config_static_selectorELNS0_4arch9wavefront6targetE1EEEvT1_.num_agpr, 0
	.set _ZN7rocprim17ROCPRIM_400000_NS6detail17trampoline_kernelINS0_14default_configENS1_25partition_config_selectorILNS1_17partition_subalgoE8ElNS0_10empty_typeEbEEZZNS1_14partition_implILS5_8ELb0ES3_jPlPS6_PKS6_NS0_5tupleIJS9_S6_EEENSD_IJSA_SA_EEENS0_18inequality_wrapperIZN2at6native12_GLOBAL__N_124unique_dim_cuda_templateIjEESt5tupleIJNSH_6TensorESM_SM_EERKSM_lbbbEUlllE0_EEPmJS6_EEE10hipError_tPvRmT3_T4_T5_T6_T7_T9_mT8_P12ihipStream_tbDpT10_ENKUlT_T0_E_clISt17integral_constantIbLb1EES1B_IbLb0EEEEDaS17_S18_EUlS17_E_NS1_11comp_targetILNS1_3genE3ELNS1_11target_archE908ELNS1_3gpuE7ELNS1_3repE0EEENS1_30default_config_static_selectorELNS0_4arch9wavefront6targetE1EEEvT1_.numbered_sgpr, 0
	.set _ZN7rocprim17ROCPRIM_400000_NS6detail17trampoline_kernelINS0_14default_configENS1_25partition_config_selectorILNS1_17partition_subalgoE8ElNS0_10empty_typeEbEEZZNS1_14partition_implILS5_8ELb0ES3_jPlPS6_PKS6_NS0_5tupleIJS9_S6_EEENSD_IJSA_SA_EEENS0_18inequality_wrapperIZN2at6native12_GLOBAL__N_124unique_dim_cuda_templateIjEESt5tupleIJNSH_6TensorESM_SM_EERKSM_lbbbEUlllE0_EEPmJS6_EEE10hipError_tPvRmT3_T4_T5_T6_T7_T9_mT8_P12ihipStream_tbDpT10_ENKUlT_T0_E_clISt17integral_constantIbLb1EES1B_IbLb0EEEEDaS17_S18_EUlS17_E_NS1_11comp_targetILNS1_3genE3ELNS1_11target_archE908ELNS1_3gpuE7ELNS1_3repE0EEENS1_30default_config_static_selectorELNS0_4arch9wavefront6targetE1EEEvT1_.num_named_barrier, 0
	.set _ZN7rocprim17ROCPRIM_400000_NS6detail17trampoline_kernelINS0_14default_configENS1_25partition_config_selectorILNS1_17partition_subalgoE8ElNS0_10empty_typeEbEEZZNS1_14partition_implILS5_8ELb0ES3_jPlPS6_PKS6_NS0_5tupleIJS9_S6_EEENSD_IJSA_SA_EEENS0_18inequality_wrapperIZN2at6native12_GLOBAL__N_124unique_dim_cuda_templateIjEESt5tupleIJNSH_6TensorESM_SM_EERKSM_lbbbEUlllE0_EEPmJS6_EEE10hipError_tPvRmT3_T4_T5_T6_T7_T9_mT8_P12ihipStream_tbDpT10_ENKUlT_T0_E_clISt17integral_constantIbLb1EES1B_IbLb0EEEEDaS17_S18_EUlS17_E_NS1_11comp_targetILNS1_3genE3ELNS1_11target_archE908ELNS1_3gpuE7ELNS1_3repE0EEENS1_30default_config_static_selectorELNS0_4arch9wavefront6targetE1EEEvT1_.private_seg_size, 0
	.set _ZN7rocprim17ROCPRIM_400000_NS6detail17trampoline_kernelINS0_14default_configENS1_25partition_config_selectorILNS1_17partition_subalgoE8ElNS0_10empty_typeEbEEZZNS1_14partition_implILS5_8ELb0ES3_jPlPS6_PKS6_NS0_5tupleIJS9_S6_EEENSD_IJSA_SA_EEENS0_18inequality_wrapperIZN2at6native12_GLOBAL__N_124unique_dim_cuda_templateIjEESt5tupleIJNSH_6TensorESM_SM_EERKSM_lbbbEUlllE0_EEPmJS6_EEE10hipError_tPvRmT3_T4_T5_T6_T7_T9_mT8_P12ihipStream_tbDpT10_ENKUlT_T0_E_clISt17integral_constantIbLb1EES1B_IbLb0EEEEDaS17_S18_EUlS17_E_NS1_11comp_targetILNS1_3genE3ELNS1_11target_archE908ELNS1_3gpuE7ELNS1_3repE0EEENS1_30default_config_static_selectorELNS0_4arch9wavefront6targetE1EEEvT1_.uses_vcc, 0
	.set _ZN7rocprim17ROCPRIM_400000_NS6detail17trampoline_kernelINS0_14default_configENS1_25partition_config_selectorILNS1_17partition_subalgoE8ElNS0_10empty_typeEbEEZZNS1_14partition_implILS5_8ELb0ES3_jPlPS6_PKS6_NS0_5tupleIJS9_S6_EEENSD_IJSA_SA_EEENS0_18inequality_wrapperIZN2at6native12_GLOBAL__N_124unique_dim_cuda_templateIjEESt5tupleIJNSH_6TensorESM_SM_EERKSM_lbbbEUlllE0_EEPmJS6_EEE10hipError_tPvRmT3_T4_T5_T6_T7_T9_mT8_P12ihipStream_tbDpT10_ENKUlT_T0_E_clISt17integral_constantIbLb1EES1B_IbLb0EEEEDaS17_S18_EUlS17_E_NS1_11comp_targetILNS1_3genE3ELNS1_11target_archE908ELNS1_3gpuE7ELNS1_3repE0EEENS1_30default_config_static_selectorELNS0_4arch9wavefront6targetE1EEEvT1_.uses_flat_scratch, 0
	.set _ZN7rocprim17ROCPRIM_400000_NS6detail17trampoline_kernelINS0_14default_configENS1_25partition_config_selectorILNS1_17partition_subalgoE8ElNS0_10empty_typeEbEEZZNS1_14partition_implILS5_8ELb0ES3_jPlPS6_PKS6_NS0_5tupleIJS9_S6_EEENSD_IJSA_SA_EEENS0_18inequality_wrapperIZN2at6native12_GLOBAL__N_124unique_dim_cuda_templateIjEESt5tupleIJNSH_6TensorESM_SM_EERKSM_lbbbEUlllE0_EEPmJS6_EEE10hipError_tPvRmT3_T4_T5_T6_T7_T9_mT8_P12ihipStream_tbDpT10_ENKUlT_T0_E_clISt17integral_constantIbLb1EES1B_IbLb0EEEEDaS17_S18_EUlS17_E_NS1_11comp_targetILNS1_3genE3ELNS1_11target_archE908ELNS1_3gpuE7ELNS1_3repE0EEENS1_30default_config_static_selectorELNS0_4arch9wavefront6targetE1EEEvT1_.has_dyn_sized_stack, 0
	.set _ZN7rocprim17ROCPRIM_400000_NS6detail17trampoline_kernelINS0_14default_configENS1_25partition_config_selectorILNS1_17partition_subalgoE8ElNS0_10empty_typeEbEEZZNS1_14partition_implILS5_8ELb0ES3_jPlPS6_PKS6_NS0_5tupleIJS9_S6_EEENSD_IJSA_SA_EEENS0_18inequality_wrapperIZN2at6native12_GLOBAL__N_124unique_dim_cuda_templateIjEESt5tupleIJNSH_6TensorESM_SM_EERKSM_lbbbEUlllE0_EEPmJS6_EEE10hipError_tPvRmT3_T4_T5_T6_T7_T9_mT8_P12ihipStream_tbDpT10_ENKUlT_T0_E_clISt17integral_constantIbLb1EES1B_IbLb0EEEEDaS17_S18_EUlS17_E_NS1_11comp_targetILNS1_3genE3ELNS1_11target_archE908ELNS1_3gpuE7ELNS1_3repE0EEENS1_30default_config_static_selectorELNS0_4arch9wavefront6targetE1EEEvT1_.has_recursion, 0
	.set _ZN7rocprim17ROCPRIM_400000_NS6detail17trampoline_kernelINS0_14default_configENS1_25partition_config_selectorILNS1_17partition_subalgoE8ElNS0_10empty_typeEbEEZZNS1_14partition_implILS5_8ELb0ES3_jPlPS6_PKS6_NS0_5tupleIJS9_S6_EEENSD_IJSA_SA_EEENS0_18inequality_wrapperIZN2at6native12_GLOBAL__N_124unique_dim_cuda_templateIjEESt5tupleIJNSH_6TensorESM_SM_EERKSM_lbbbEUlllE0_EEPmJS6_EEE10hipError_tPvRmT3_T4_T5_T6_T7_T9_mT8_P12ihipStream_tbDpT10_ENKUlT_T0_E_clISt17integral_constantIbLb1EES1B_IbLb0EEEEDaS17_S18_EUlS17_E_NS1_11comp_targetILNS1_3genE3ELNS1_11target_archE908ELNS1_3gpuE7ELNS1_3repE0EEENS1_30default_config_static_selectorELNS0_4arch9wavefront6targetE1EEEvT1_.has_indirect_call, 0
	.section	.AMDGPU.csdata,"",@progbits
; Kernel info:
; codeLenInByte = 0
; TotalNumSgprs: 6
; NumVgprs: 0
; NumAgprs: 0
; TotalNumVgprs: 0
; ScratchSize: 0
; MemoryBound: 0
; FloatMode: 240
; IeeeMode: 1
; LDSByteSize: 0 bytes/workgroup (compile time only)
; SGPRBlocks: 0
; VGPRBlocks: 0
; NumSGPRsForWavesPerEU: 6
; NumVGPRsForWavesPerEU: 1
; AccumOffset: 4
; Occupancy: 8
; WaveLimiterHint : 0
; COMPUTE_PGM_RSRC2:SCRATCH_EN: 0
; COMPUTE_PGM_RSRC2:USER_SGPR: 2
; COMPUTE_PGM_RSRC2:TRAP_HANDLER: 0
; COMPUTE_PGM_RSRC2:TGID_X_EN: 1
; COMPUTE_PGM_RSRC2:TGID_Y_EN: 0
; COMPUTE_PGM_RSRC2:TGID_Z_EN: 0
; COMPUTE_PGM_RSRC2:TIDIG_COMP_CNT: 0
; COMPUTE_PGM_RSRC3_GFX90A:ACCUM_OFFSET: 0
; COMPUTE_PGM_RSRC3_GFX90A:TG_SPLIT: 0
	.section	.text._ZN7rocprim17ROCPRIM_400000_NS6detail17trampoline_kernelINS0_14default_configENS1_25partition_config_selectorILNS1_17partition_subalgoE8ElNS0_10empty_typeEbEEZZNS1_14partition_implILS5_8ELb0ES3_jPlPS6_PKS6_NS0_5tupleIJS9_S6_EEENSD_IJSA_SA_EEENS0_18inequality_wrapperIZN2at6native12_GLOBAL__N_124unique_dim_cuda_templateIjEESt5tupleIJNSH_6TensorESM_SM_EERKSM_lbbbEUlllE0_EEPmJS6_EEE10hipError_tPvRmT3_T4_T5_T6_T7_T9_mT8_P12ihipStream_tbDpT10_ENKUlT_T0_E_clISt17integral_constantIbLb1EES1B_IbLb0EEEEDaS17_S18_EUlS17_E_NS1_11comp_targetILNS1_3genE2ELNS1_11target_archE906ELNS1_3gpuE6ELNS1_3repE0EEENS1_30default_config_static_selectorELNS0_4arch9wavefront6targetE1EEEvT1_,"axG",@progbits,_ZN7rocprim17ROCPRIM_400000_NS6detail17trampoline_kernelINS0_14default_configENS1_25partition_config_selectorILNS1_17partition_subalgoE8ElNS0_10empty_typeEbEEZZNS1_14partition_implILS5_8ELb0ES3_jPlPS6_PKS6_NS0_5tupleIJS9_S6_EEENSD_IJSA_SA_EEENS0_18inequality_wrapperIZN2at6native12_GLOBAL__N_124unique_dim_cuda_templateIjEESt5tupleIJNSH_6TensorESM_SM_EERKSM_lbbbEUlllE0_EEPmJS6_EEE10hipError_tPvRmT3_T4_T5_T6_T7_T9_mT8_P12ihipStream_tbDpT10_ENKUlT_T0_E_clISt17integral_constantIbLb1EES1B_IbLb0EEEEDaS17_S18_EUlS17_E_NS1_11comp_targetILNS1_3genE2ELNS1_11target_archE906ELNS1_3gpuE6ELNS1_3repE0EEENS1_30default_config_static_selectorELNS0_4arch9wavefront6targetE1EEEvT1_,comdat
	.globl	_ZN7rocprim17ROCPRIM_400000_NS6detail17trampoline_kernelINS0_14default_configENS1_25partition_config_selectorILNS1_17partition_subalgoE8ElNS0_10empty_typeEbEEZZNS1_14partition_implILS5_8ELb0ES3_jPlPS6_PKS6_NS0_5tupleIJS9_S6_EEENSD_IJSA_SA_EEENS0_18inequality_wrapperIZN2at6native12_GLOBAL__N_124unique_dim_cuda_templateIjEESt5tupleIJNSH_6TensorESM_SM_EERKSM_lbbbEUlllE0_EEPmJS6_EEE10hipError_tPvRmT3_T4_T5_T6_T7_T9_mT8_P12ihipStream_tbDpT10_ENKUlT_T0_E_clISt17integral_constantIbLb1EES1B_IbLb0EEEEDaS17_S18_EUlS17_E_NS1_11comp_targetILNS1_3genE2ELNS1_11target_archE906ELNS1_3gpuE6ELNS1_3repE0EEENS1_30default_config_static_selectorELNS0_4arch9wavefront6targetE1EEEvT1_ ; -- Begin function _ZN7rocprim17ROCPRIM_400000_NS6detail17trampoline_kernelINS0_14default_configENS1_25partition_config_selectorILNS1_17partition_subalgoE8ElNS0_10empty_typeEbEEZZNS1_14partition_implILS5_8ELb0ES3_jPlPS6_PKS6_NS0_5tupleIJS9_S6_EEENSD_IJSA_SA_EEENS0_18inequality_wrapperIZN2at6native12_GLOBAL__N_124unique_dim_cuda_templateIjEESt5tupleIJNSH_6TensorESM_SM_EERKSM_lbbbEUlllE0_EEPmJS6_EEE10hipError_tPvRmT3_T4_T5_T6_T7_T9_mT8_P12ihipStream_tbDpT10_ENKUlT_T0_E_clISt17integral_constantIbLb1EES1B_IbLb0EEEEDaS17_S18_EUlS17_E_NS1_11comp_targetILNS1_3genE2ELNS1_11target_archE906ELNS1_3gpuE6ELNS1_3repE0EEENS1_30default_config_static_selectorELNS0_4arch9wavefront6targetE1EEEvT1_
	.p2align	8
	.type	_ZN7rocprim17ROCPRIM_400000_NS6detail17trampoline_kernelINS0_14default_configENS1_25partition_config_selectorILNS1_17partition_subalgoE8ElNS0_10empty_typeEbEEZZNS1_14partition_implILS5_8ELb0ES3_jPlPS6_PKS6_NS0_5tupleIJS9_S6_EEENSD_IJSA_SA_EEENS0_18inequality_wrapperIZN2at6native12_GLOBAL__N_124unique_dim_cuda_templateIjEESt5tupleIJNSH_6TensorESM_SM_EERKSM_lbbbEUlllE0_EEPmJS6_EEE10hipError_tPvRmT3_T4_T5_T6_T7_T9_mT8_P12ihipStream_tbDpT10_ENKUlT_T0_E_clISt17integral_constantIbLb1EES1B_IbLb0EEEEDaS17_S18_EUlS17_E_NS1_11comp_targetILNS1_3genE2ELNS1_11target_archE906ELNS1_3gpuE6ELNS1_3repE0EEENS1_30default_config_static_selectorELNS0_4arch9wavefront6targetE1EEEvT1_,@function
_ZN7rocprim17ROCPRIM_400000_NS6detail17trampoline_kernelINS0_14default_configENS1_25partition_config_selectorILNS1_17partition_subalgoE8ElNS0_10empty_typeEbEEZZNS1_14partition_implILS5_8ELb0ES3_jPlPS6_PKS6_NS0_5tupleIJS9_S6_EEENSD_IJSA_SA_EEENS0_18inequality_wrapperIZN2at6native12_GLOBAL__N_124unique_dim_cuda_templateIjEESt5tupleIJNSH_6TensorESM_SM_EERKSM_lbbbEUlllE0_EEPmJS6_EEE10hipError_tPvRmT3_T4_T5_T6_T7_T9_mT8_P12ihipStream_tbDpT10_ENKUlT_T0_E_clISt17integral_constantIbLb1EES1B_IbLb0EEEEDaS17_S18_EUlS17_E_NS1_11comp_targetILNS1_3genE2ELNS1_11target_archE906ELNS1_3gpuE6ELNS1_3repE0EEENS1_30default_config_static_selectorELNS0_4arch9wavefront6targetE1EEEvT1_: ; @_ZN7rocprim17ROCPRIM_400000_NS6detail17trampoline_kernelINS0_14default_configENS1_25partition_config_selectorILNS1_17partition_subalgoE8ElNS0_10empty_typeEbEEZZNS1_14partition_implILS5_8ELb0ES3_jPlPS6_PKS6_NS0_5tupleIJS9_S6_EEENSD_IJSA_SA_EEENS0_18inequality_wrapperIZN2at6native12_GLOBAL__N_124unique_dim_cuda_templateIjEESt5tupleIJNSH_6TensorESM_SM_EERKSM_lbbbEUlllE0_EEPmJS6_EEE10hipError_tPvRmT3_T4_T5_T6_T7_T9_mT8_P12ihipStream_tbDpT10_ENKUlT_T0_E_clISt17integral_constantIbLb1EES1B_IbLb0EEEEDaS17_S18_EUlS17_E_NS1_11comp_targetILNS1_3genE2ELNS1_11target_archE906ELNS1_3gpuE6ELNS1_3repE0EEENS1_30default_config_static_selectorELNS0_4arch9wavefront6targetE1EEEvT1_
; %bb.0:
	.section	.rodata,"a",@progbits
	.p2align	6, 0x0
	.amdhsa_kernel _ZN7rocprim17ROCPRIM_400000_NS6detail17trampoline_kernelINS0_14default_configENS1_25partition_config_selectorILNS1_17partition_subalgoE8ElNS0_10empty_typeEbEEZZNS1_14partition_implILS5_8ELb0ES3_jPlPS6_PKS6_NS0_5tupleIJS9_S6_EEENSD_IJSA_SA_EEENS0_18inequality_wrapperIZN2at6native12_GLOBAL__N_124unique_dim_cuda_templateIjEESt5tupleIJNSH_6TensorESM_SM_EERKSM_lbbbEUlllE0_EEPmJS6_EEE10hipError_tPvRmT3_T4_T5_T6_T7_T9_mT8_P12ihipStream_tbDpT10_ENKUlT_T0_E_clISt17integral_constantIbLb1EES1B_IbLb0EEEEDaS17_S18_EUlS17_E_NS1_11comp_targetILNS1_3genE2ELNS1_11target_archE906ELNS1_3gpuE6ELNS1_3repE0EEENS1_30default_config_static_selectorELNS0_4arch9wavefront6targetE1EEEvT1_
		.amdhsa_group_segment_fixed_size 0
		.amdhsa_private_segment_fixed_size 0
		.amdhsa_kernarg_size 120
		.amdhsa_user_sgpr_count 2
		.amdhsa_user_sgpr_dispatch_ptr 0
		.amdhsa_user_sgpr_queue_ptr 0
		.amdhsa_user_sgpr_kernarg_segment_ptr 1
		.amdhsa_user_sgpr_dispatch_id 0
		.amdhsa_user_sgpr_kernarg_preload_length 0
		.amdhsa_user_sgpr_kernarg_preload_offset 0
		.amdhsa_user_sgpr_private_segment_size 0
		.amdhsa_uses_dynamic_stack 0
		.amdhsa_enable_private_segment 0
		.amdhsa_system_sgpr_workgroup_id_x 1
		.amdhsa_system_sgpr_workgroup_id_y 0
		.amdhsa_system_sgpr_workgroup_id_z 0
		.amdhsa_system_sgpr_workgroup_info 0
		.amdhsa_system_vgpr_workitem_id 0
		.amdhsa_next_free_vgpr 1
		.amdhsa_next_free_sgpr 0
		.amdhsa_accum_offset 4
		.amdhsa_reserve_vcc 0
		.amdhsa_float_round_mode_32 0
		.amdhsa_float_round_mode_16_64 0
		.amdhsa_float_denorm_mode_32 3
		.amdhsa_float_denorm_mode_16_64 3
		.amdhsa_dx10_clamp 1
		.amdhsa_ieee_mode 1
		.amdhsa_fp16_overflow 0
		.amdhsa_tg_split 0
		.amdhsa_exception_fp_ieee_invalid_op 0
		.amdhsa_exception_fp_denorm_src 0
		.amdhsa_exception_fp_ieee_div_zero 0
		.amdhsa_exception_fp_ieee_overflow 0
		.amdhsa_exception_fp_ieee_underflow 0
		.amdhsa_exception_fp_ieee_inexact 0
		.amdhsa_exception_int_div_zero 0
	.end_amdhsa_kernel
	.section	.text._ZN7rocprim17ROCPRIM_400000_NS6detail17trampoline_kernelINS0_14default_configENS1_25partition_config_selectorILNS1_17partition_subalgoE8ElNS0_10empty_typeEbEEZZNS1_14partition_implILS5_8ELb0ES3_jPlPS6_PKS6_NS0_5tupleIJS9_S6_EEENSD_IJSA_SA_EEENS0_18inequality_wrapperIZN2at6native12_GLOBAL__N_124unique_dim_cuda_templateIjEESt5tupleIJNSH_6TensorESM_SM_EERKSM_lbbbEUlllE0_EEPmJS6_EEE10hipError_tPvRmT3_T4_T5_T6_T7_T9_mT8_P12ihipStream_tbDpT10_ENKUlT_T0_E_clISt17integral_constantIbLb1EES1B_IbLb0EEEEDaS17_S18_EUlS17_E_NS1_11comp_targetILNS1_3genE2ELNS1_11target_archE906ELNS1_3gpuE6ELNS1_3repE0EEENS1_30default_config_static_selectorELNS0_4arch9wavefront6targetE1EEEvT1_,"axG",@progbits,_ZN7rocprim17ROCPRIM_400000_NS6detail17trampoline_kernelINS0_14default_configENS1_25partition_config_selectorILNS1_17partition_subalgoE8ElNS0_10empty_typeEbEEZZNS1_14partition_implILS5_8ELb0ES3_jPlPS6_PKS6_NS0_5tupleIJS9_S6_EEENSD_IJSA_SA_EEENS0_18inequality_wrapperIZN2at6native12_GLOBAL__N_124unique_dim_cuda_templateIjEESt5tupleIJNSH_6TensorESM_SM_EERKSM_lbbbEUlllE0_EEPmJS6_EEE10hipError_tPvRmT3_T4_T5_T6_T7_T9_mT8_P12ihipStream_tbDpT10_ENKUlT_T0_E_clISt17integral_constantIbLb1EES1B_IbLb0EEEEDaS17_S18_EUlS17_E_NS1_11comp_targetILNS1_3genE2ELNS1_11target_archE906ELNS1_3gpuE6ELNS1_3repE0EEENS1_30default_config_static_selectorELNS0_4arch9wavefront6targetE1EEEvT1_,comdat
.Lfunc_end1561:
	.size	_ZN7rocprim17ROCPRIM_400000_NS6detail17trampoline_kernelINS0_14default_configENS1_25partition_config_selectorILNS1_17partition_subalgoE8ElNS0_10empty_typeEbEEZZNS1_14partition_implILS5_8ELb0ES3_jPlPS6_PKS6_NS0_5tupleIJS9_S6_EEENSD_IJSA_SA_EEENS0_18inequality_wrapperIZN2at6native12_GLOBAL__N_124unique_dim_cuda_templateIjEESt5tupleIJNSH_6TensorESM_SM_EERKSM_lbbbEUlllE0_EEPmJS6_EEE10hipError_tPvRmT3_T4_T5_T6_T7_T9_mT8_P12ihipStream_tbDpT10_ENKUlT_T0_E_clISt17integral_constantIbLb1EES1B_IbLb0EEEEDaS17_S18_EUlS17_E_NS1_11comp_targetILNS1_3genE2ELNS1_11target_archE906ELNS1_3gpuE6ELNS1_3repE0EEENS1_30default_config_static_selectorELNS0_4arch9wavefront6targetE1EEEvT1_, .Lfunc_end1561-_ZN7rocprim17ROCPRIM_400000_NS6detail17trampoline_kernelINS0_14default_configENS1_25partition_config_selectorILNS1_17partition_subalgoE8ElNS0_10empty_typeEbEEZZNS1_14partition_implILS5_8ELb0ES3_jPlPS6_PKS6_NS0_5tupleIJS9_S6_EEENSD_IJSA_SA_EEENS0_18inequality_wrapperIZN2at6native12_GLOBAL__N_124unique_dim_cuda_templateIjEESt5tupleIJNSH_6TensorESM_SM_EERKSM_lbbbEUlllE0_EEPmJS6_EEE10hipError_tPvRmT3_T4_T5_T6_T7_T9_mT8_P12ihipStream_tbDpT10_ENKUlT_T0_E_clISt17integral_constantIbLb1EES1B_IbLb0EEEEDaS17_S18_EUlS17_E_NS1_11comp_targetILNS1_3genE2ELNS1_11target_archE906ELNS1_3gpuE6ELNS1_3repE0EEENS1_30default_config_static_selectorELNS0_4arch9wavefront6targetE1EEEvT1_
                                        ; -- End function
	.set _ZN7rocprim17ROCPRIM_400000_NS6detail17trampoline_kernelINS0_14default_configENS1_25partition_config_selectorILNS1_17partition_subalgoE8ElNS0_10empty_typeEbEEZZNS1_14partition_implILS5_8ELb0ES3_jPlPS6_PKS6_NS0_5tupleIJS9_S6_EEENSD_IJSA_SA_EEENS0_18inequality_wrapperIZN2at6native12_GLOBAL__N_124unique_dim_cuda_templateIjEESt5tupleIJNSH_6TensorESM_SM_EERKSM_lbbbEUlllE0_EEPmJS6_EEE10hipError_tPvRmT3_T4_T5_T6_T7_T9_mT8_P12ihipStream_tbDpT10_ENKUlT_T0_E_clISt17integral_constantIbLb1EES1B_IbLb0EEEEDaS17_S18_EUlS17_E_NS1_11comp_targetILNS1_3genE2ELNS1_11target_archE906ELNS1_3gpuE6ELNS1_3repE0EEENS1_30default_config_static_selectorELNS0_4arch9wavefront6targetE1EEEvT1_.num_vgpr, 0
	.set _ZN7rocprim17ROCPRIM_400000_NS6detail17trampoline_kernelINS0_14default_configENS1_25partition_config_selectorILNS1_17partition_subalgoE8ElNS0_10empty_typeEbEEZZNS1_14partition_implILS5_8ELb0ES3_jPlPS6_PKS6_NS0_5tupleIJS9_S6_EEENSD_IJSA_SA_EEENS0_18inequality_wrapperIZN2at6native12_GLOBAL__N_124unique_dim_cuda_templateIjEESt5tupleIJNSH_6TensorESM_SM_EERKSM_lbbbEUlllE0_EEPmJS6_EEE10hipError_tPvRmT3_T4_T5_T6_T7_T9_mT8_P12ihipStream_tbDpT10_ENKUlT_T0_E_clISt17integral_constantIbLb1EES1B_IbLb0EEEEDaS17_S18_EUlS17_E_NS1_11comp_targetILNS1_3genE2ELNS1_11target_archE906ELNS1_3gpuE6ELNS1_3repE0EEENS1_30default_config_static_selectorELNS0_4arch9wavefront6targetE1EEEvT1_.num_agpr, 0
	.set _ZN7rocprim17ROCPRIM_400000_NS6detail17trampoline_kernelINS0_14default_configENS1_25partition_config_selectorILNS1_17partition_subalgoE8ElNS0_10empty_typeEbEEZZNS1_14partition_implILS5_8ELb0ES3_jPlPS6_PKS6_NS0_5tupleIJS9_S6_EEENSD_IJSA_SA_EEENS0_18inequality_wrapperIZN2at6native12_GLOBAL__N_124unique_dim_cuda_templateIjEESt5tupleIJNSH_6TensorESM_SM_EERKSM_lbbbEUlllE0_EEPmJS6_EEE10hipError_tPvRmT3_T4_T5_T6_T7_T9_mT8_P12ihipStream_tbDpT10_ENKUlT_T0_E_clISt17integral_constantIbLb1EES1B_IbLb0EEEEDaS17_S18_EUlS17_E_NS1_11comp_targetILNS1_3genE2ELNS1_11target_archE906ELNS1_3gpuE6ELNS1_3repE0EEENS1_30default_config_static_selectorELNS0_4arch9wavefront6targetE1EEEvT1_.numbered_sgpr, 0
	.set _ZN7rocprim17ROCPRIM_400000_NS6detail17trampoline_kernelINS0_14default_configENS1_25partition_config_selectorILNS1_17partition_subalgoE8ElNS0_10empty_typeEbEEZZNS1_14partition_implILS5_8ELb0ES3_jPlPS6_PKS6_NS0_5tupleIJS9_S6_EEENSD_IJSA_SA_EEENS0_18inequality_wrapperIZN2at6native12_GLOBAL__N_124unique_dim_cuda_templateIjEESt5tupleIJNSH_6TensorESM_SM_EERKSM_lbbbEUlllE0_EEPmJS6_EEE10hipError_tPvRmT3_T4_T5_T6_T7_T9_mT8_P12ihipStream_tbDpT10_ENKUlT_T0_E_clISt17integral_constantIbLb1EES1B_IbLb0EEEEDaS17_S18_EUlS17_E_NS1_11comp_targetILNS1_3genE2ELNS1_11target_archE906ELNS1_3gpuE6ELNS1_3repE0EEENS1_30default_config_static_selectorELNS0_4arch9wavefront6targetE1EEEvT1_.num_named_barrier, 0
	.set _ZN7rocprim17ROCPRIM_400000_NS6detail17trampoline_kernelINS0_14default_configENS1_25partition_config_selectorILNS1_17partition_subalgoE8ElNS0_10empty_typeEbEEZZNS1_14partition_implILS5_8ELb0ES3_jPlPS6_PKS6_NS0_5tupleIJS9_S6_EEENSD_IJSA_SA_EEENS0_18inequality_wrapperIZN2at6native12_GLOBAL__N_124unique_dim_cuda_templateIjEESt5tupleIJNSH_6TensorESM_SM_EERKSM_lbbbEUlllE0_EEPmJS6_EEE10hipError_tPvRmT3_T4_T5_T6_T7_T9_mT8_P12ihipStream_tbDpT10_ENKUlT_T0_E_clISt17integral_constantIbLb1EES1B_IbLb0EEEEDaS17_S18_EUlS17_E_NS1_11comp_targetILNS1_3genE2ELNS1_11target_archE906ELNS1_3gpuE6ELNS1_3repE0EEENS1_30default_config_static_selectorELNS0_4arch9wavefront6targetE1EEEvT1_.private_seg_size, 0
	.set _ZN7rocprim17ROCPRIM_400000_NS6detail17trampoline_kernelINS0_14default_configENS1_25partition_config_selectorILNS1_17partition_subalgoE8ElNS0_10empty_typeEbEEZZNS1_14partition_implILS5_8ELb0ES3_jPlPS6_PKS6_NS0_5tupleIJS9_S6_EEENSD_IJSA_SA_EEENS0_18inequality_wrapperIZN2at6native12_GLOBAL__N_124unique_dim_cuda_templateIjEESt5tupleIJNSH_6TensorESM_SM_EERKSM_lbbbEUlllE0_EEPmJS6_EEE10hipError_tPvRmT3_T4_T5_T6_T7_T9_mT8_P12ihipStream_tbDpT10_ENKUlT_T0_E_clISt17integral_constantIbLb1EES1B_IbLb0EEEEDaS17_S18_EUlS17_E_NS1_11comp_targetILNS1_3genE2ELNS1_11target_archE906ELNS1_3gpuE6ELNS1_3repE0EEENS1_30default_config_static_selectorELNS0_4arch9wavefront6targetE1EEEvT1_.uses_vcc, 0
	.set _ZN7rocprim17ROCPRIM_400000_NS6detail17trampoline_kernelINS0_14default_configENS1_25partition_config_selectorILNS1_17partition_subalgoE8ElNS0_10empty_typeEbEEZZNS1_14partition_implILS5_8ELb0ES3_jPlPS6_PKS6_NS0_5tupleIJS9_S6_EEENSD_IJSA_SA_EEENS0_18inequality_wrapperIZN2at6native12_GLOBAL__N_124unique_dim_cuda_templateIjEESt5tupleIJNSH_6TensorESM_SM_EERKSM_lbbbEUlllE0_EEPmJS6_EEE10hipError_tPvRmT3_T4_T5_T6_T7_T9_mT8_P12ihipStream_tbDpT10_ENKUlT_T0_E_clISt17integral_constantIbLb1EES1B_IbLb0EEEEDaS17_S18_EUlS17_E_NS1_11comp_targetILNS1_3genE2ELNS1_11target_archE906ELNS1_3gpuE6ELNS1_3repE0EEENS1_30default_config_static_selectorELNS0_4arch9wavefront6targetE1EEEvT1_.uses_flat_scratch, 0
	.set _ZN7rocprim17ROCPRIM_400000_NS6detail17trampoline_kernelINS0_14default_configENS1_25partition_config_selectorILNS1_17partition_subalgoE8ElNS0_10empty_typeEbEEZZNS1_14partition_implILS5_8ELb0ES3_jPlPS6_PKS6_NS0_5tupleIJS9_S6_EEENSD_IJSA_SA_EEENS0_18inequality_wrapperIZN2at6native12_GLOBAL__N_124unique_dim_cuda_templateIjEESt5tupleIJNSH_6TensorESM_SM_EERKSM_lbbbEUlllE0_EEPmJS6_EEE10hipError_tPvRmT3_T4_T5_T6_T7_T9_mT8_P12ihipStream_tbDpT10_ENKUlT_T0_E_clISt17integral_constantIbLb1EES1B_IbLb0EEEEDaS17_S18_EUlS17_E_NS1_11comp_targetILNS1_3genE2ELNS1_11target_archE906ELNS1_3gpuE6ELNS1_3repE0EEENS1_30default_config_static_selectorELNS0_4arch9wavefront6targetE1EEEvT1_.has_dyn_sized_stack, 0
	.set _ZN7rocprim17ROCPRIM_400000_NS6detail17trampoline_kernelINS0_14default_configENS1_25partition_config_selectorILNS1_17partition_subalgoE8ElNS0_10empty_typeEbEEZZNS1_14partition_implILS5_8ELb0ES3_jPlPS6_PKS6_NS0_5tupleIJS9_S6_EEENSD_IJSA_SA_EEENS0_18inequality_wrapperIZN2at6native12_GLOBAL__N_124unique_dim_cuda_templateIjEESt5tupleIJNSH_6TensorESM_SM_EERKSM_lbbbEUlllE0_EEPmJS6_EEE10hipError_tPvRmT3_T4_T5_T6_T7_T9_mT8_P12ihipStream_tbDpT10_ENKUlT_T0_E_clISt17integral_constantIbLb1EES1B_IbLb0EEEEDaS17_S18_EUlS17_E_NS1_11comp_targetILNS1_3genE2ELNS1_11target_archE906ELNS1_3gpuE6ELNS1_3repE0EEENS1_30default_config_static_selectorELNS0_4arch9wavefront6targetE1EEEvT1_.has_recursion, 0
	.set _ZN7rocprim17ROCPRIM_400000_NS6detail17trampoline_kernelINS0_14default_configENS1_25partition_config_selectorILNS1_17partition_subalgoE8ElNS0_10empty_typeEbEEZZNS1_14partition_implILS5_8ELb0ES3_jPlPS6_PKS6_NS0_5tupleIJS9_S6_EEENSD_IJSA_SA_EEENS0_18inequality_wrapperIZN2at6native12_GLOBAL__N_124unique_dim_cuda_templateIjEESt5tupleIJNSH_6TensorESM_SM_EERKSM_lbbbEUlllE0_EEPmJS6_EEE10hipError_tPvRmT3_T4_T5_T6_T7_T9_mT8_P12ihipStream_tbDpT10_ENKUlT_T0_E_clISt17integral_constantIbLb1EES1B_IbLb0EEEEDaS17_S18_EUlS17_E_NS1_11comp_targetILNS1_3genE2ELNS1_11target_archE906ELNS1_3gpuE6ELNS1_3repE0EEENS1_30default_config_static_selectorELNS0_4arch9wavefront6targetE1EEEvT1_.has_indirect_call, 0
	.section	.AMDGPU.csdata,"",@progbits
; Kernel info:
; codeLenInByte = 0
; TotalNumSgprs: 6
; NumVgprs: 0
; NumAgprs: 0
; TotalNumVgprs: 0
; ScratchSize: 0
; MemoryBound: 0
; FloatMode: 240
; IeeeMode: 1
; LDSByteSize: 0 bytes/workgroup (compile time only)
; SGPRBlocks: 0
; VGPRBlocks: 0
; NumSGPRsForWavesPerEU: 6
; NumVGPRsForWavesPerEU: 1
; AccumOffset: 4
; Occupancy: 8
; WaveLimiterHint : 0
; COMPUTE_PGM_RSRC2:SCRATCH_EN: 0
; COMPUTE_PGM_RSRC2:USER_SGPR: 2
; COMPUTE_PGM_RSRC2:TRAP_HANDLER: 0
; COMPUTE_PGM_RSRC2:TGID_X_EN: 1
; COMPUTE_PGM_RSRC2:TGID_Y_EN: 0
; COMPUTE_PGM_RSRC2:TGID_Z_EN: 0
; COMPUTE_PGM_RSRC2:TIDIG_COMP_CNT: 0
; COMPUTE_PGM_RSRC3_GFX90A:ACCUM_OFFSET: 0
; COMPUTE_PGM_RSRC3_GFX90A:TG_SPLIT: 0
	.section	.text._ZN7rocprim17ROCPRIM_400000_NS6detail17trampoline_kernelINS0_14default_configENS1_25partition_config_selectorILNS1_17partition_subalgoE8ElNS0_10empty_typeEbEEZZNS1_14partition_implILS5_8ELb0ES3_jPlPS6_PKS6_NS0_5tupleIJS9_S6_EEENSD_IJSA_SA_EEENS0_18inequality_wrapperIZN2at6native12_GLOBAL__N_124unique_dim_cuda_templateIjEESt5tupleIJNSH_6TensorESM_SM_EERKSM_lbbbEUlllE0_EEPmJS6_EEE10hipError_tPvRmT3_T4_T5_T6_T7_T9_mT8_P12ihipStream_tbDpT10_ENKUlT_T0_E_clISt17integral_constantIbLb1EES1B_IbLb0EEEEDaS17_S18_EUlS17_E_NS1_11comp_targetILNS1_3genE10ELNS1_11target_archE1200ELNS1_3gpuE4ELNS1_3repE0EEENS1_30default_config_static_selectorELNS0_4arch9wavefront6targetE1EEEvT1_,"axG",@progbits,_ZN7rocprim17ROCPRIM_400000_NS6detail17trampoline_kernelINS0_14default_configENS1_25partition_config_selectorILNS1_17partition_subalgoE8ElNS0_10empty_typeEbEEZZNS1_14partition_implILS5_8ELb0ES3_jPlPS6_PKS6_NS0_5tupleIJS9_S6_EEENSD_IJSA_SA_EEENS0_18inequality_wrapperIZN2at6native12_GLOBAL__N_124unique_dim_cuda_templateIjEESt5tupleIJNSH_6TensorESM_SM_EERKSM_lbbbEUlllE0_EEPmJS6_EEE10hipError_tPvRmT3_T4_T5_T6_T7_T9_mT8_P12ihipStream_tbDpT10_ENKUlT_T0_E_clISt17integral_constantIbLb1EES1B_IbLb0EEEEDaS17_S18_EUlS17_E_NS1_11comp_targetILNS1_3genE10ELNS1_11target_archE1200ELNS1_3gpuE4ELNS1_3repE0EEENS1_30default_config_static_selectorELNS0_4arch9wavefront6targetE1EEEvT1_,comdat
	.globl	_ZN7rocprim17ROCPRIM_400000_NS6detail17trampoline_kernelINS0_14default_configENS1_25partition_config_selectorILNS1_17partition_subalgoE8ElNS0_10empty_typeEbEEZZNS1_14partition_implILS5_8ELb0ES3_jPlPS6_PKS6_NS0_5tupleIJS9_S6_EEENSD_IJSA_SA_EEENS0_18inequality_wrapperIZN2at6native12_GLOBAL__N_124unique_dim_cuda_templateIjEESt5tupleIJNSH_6TensorESM_SM_EERKSM_lbbbEUlllE0_EEPmJS6_EEE10hipError_tPvRmT3_T4_T5_T6_T7_T9_mT8_P12ihipStream_tbDpT10_ENKUlT_T0_E_clISt17integral_constantIbLb1EES1B_IbLb0EEEEDaS17_S18_EUlS17_E_NS1_11comp_targetILNS1_3genE10ELNS1_11target_archE1200ELNS1_3gpuE4ELNS1_3repE0EEENS1_30default_config_static_selectorELNS0_4arch9wavefront6targetE1EEEvT1_ ; -- Begin function _ZN7rocprim17ROCPRIM_400000_NS6detail17trampoline_kernelINS0_14default_configENS1_25partition_config_selectorILNS1_17partition_subalgoE8ElNS0_10empty_typeEbEEZZNS1_14partition_implILS5_8ELb0ES3_jPlPS6_PKS6_NS0_5tupleIJS9_S6_EEENSD_IJSA_SA_EEENS0_18inequality_wrapperIZN2at6native12_GLOBAL__N_124unique_dim_cuda_templateIjEESt5tupleIJNSH_6TensorESM_SM_EERKSM_lbbbEUlllE0_EEPmJS6_EEE10hipError_tPvRmT3_T4_T5_T6_T7_T9_mT8_P12ihipStream_tbDpT10_ENKUlT_T0_E_clISt17integral_constantIbLb1EES1B_IbLb0EEEEDaS17_S18_EUlS17_E_NS1_11comp_targetILNS1_3genE10ELNS1_11target_archE1200ELNS1_3gpuE4ELNS1_3repE0EEENS1_30default_config_static_selectorELNS0_4arch9wavefront6targetE1EEEvT1_
	.p2align	8
	.type	_ZN7rocprim17ROCPRIM_400000_NS6detail17trampoline_kernelINS0_14default_configENS1_25partition_config_selectorILNS1_17partition_subalgoE8ElNS0_10empty_typeEbEEZZNS1_14partition_implILS5_8ELb0ES3_jPlPS6_PKS6_NS0_5tupleIJS9_S6_EEENSD_IJSA_SA_EEENS0_18inequality_wrapperIZN2at6native12_GLOBAL__N_124unique_dim_cuda_templateIjEESt5tupleIJNSH_6TensorESM_SM_EERKSM_lbbbEUlllE0_EEPmJS6_EEE10hipError_tPvRmT3_T4_T5_T6_T7_T9_mT8_P12ihipStream_tbDpT10_ENKUlT_T0_E_clISt17integral_constantIbLb1EES1B_IbLb0EEEEDaS17_S18_EUlS17_E_NS1_11comp_targetILNS1_3genE10ELNS1_11target_archE1200ELNS1_3gpuE4ELNS1_3repE0EEENS1_30default_config_static_selectorELNS0_4arch9wavefront6targetE1EEEvT1_,@function
_ZN7rocprim17ROCPRIM_400000_NS6detail17trampoline_kernelINS0_14default_configENS1_25partition_config_selectorILNS1_17partition_subalgoE8ElNS0_10empty_typeEbEEZZNS1_14partition_implILS5_8ELb0ES3_jPlPS6_PKS6_NS0_5tupleIJS9_S6_EEENSD_IJSA_SA_EEENS0_18inequality_wrapperIZN2at6native12_GLOBAL__N_124unique_dim_cuda_templateIjEESt5tupleIJNSH_6TensorESM_SM_EERKSM_lbbbEUlllE0_EEPmJS6_EEE10hipError_tPvRmT3_T4_T5_T6_T7_T9_mT8_P12ihipStream_tbDpT10_ENKUlT_T0_E_clISt17integral_constantIbLb1EES1B_IbLb0EEEEDaS17_S18_EUlS17_E_NS1_11comp_targetILNS1_3genE10ELNS1_11target_archE1200ELNS1_3gpuE4ELNS1_3repE0EEENS1_30default_config_static_selectorELNS0_4arch9wavefront6targetE1EEEvT1_: ; @_ZN7rocprim17ROCPRIM_400000_NS6detail17trampoline_kernelINS0_14default_configENS1_25partition_config_selectorILNS1_17partition_subalgoE8ElNS0_10empty_typeEbEEZZNS1_14partition_implILS5_8ELb0ES3_jPlPS6_PKS6_NS0_5tupleIJS9_S6_EEENSD_IJSA_SA_EEENS0_18inequality_wrapperIZN2at6native12_GLOBAL__N_124unique_dim_cuda_templateIjEESt5tupleIJNSH_6TensorESM_SM_EERKSM_lbbbEUlllE0_EEPmJS6_EEE10hipError_tPvRmT3_T4_T5_T6_T7_T9_mT8_P12ihipStream_tbDpT10_ENKUlT_T0_E_clISt17integral_constantIbLb1EES1B_IbLb0EEEEDaS17_S18_EUlS17_E_NS1_11comp_targetILNS1_3genE10ELNS1_11target_archE1200ELNS1_3gpuE4ELNS1_3repE0EEENS1_30default_config_static_selectorELNS0_4arch9wavefront6targetE1EEEvT1_
; %bb.0:
	.section	.rodata,"a",@progbits
	.p2align	6, 0x0
	.amdhsa_kernel _ZN7rocprim17ROCPRIM_400000_NS6detail17trampoline_kernelINS0_14default_configENS1_25partition_config_selectorILNS1_17partition_subalgoE8ElNS0_10empty_typeEbEEZZNS1_14partition_implILS5_8ELb0ES3_jPlPS6_PKS6_NS0_5tupleIJS9_S6_EEENSD_IJSA_SA_EEENS0_18inequality_wrapperIZN2at6native12_GLOBAL__N_124unique_dim_cuda_templateIjEESt5tupleIJNSH_6TensorESM_SM_EERKSM_lbbbEUlllE0_EEPmJS6_EEE10hipError_tPvRmT3_T4_T5_T6_T7_T9_mT8_P12ihipStream_tbDpT10_ENKUlT_T0_E_clISt17integral_constantIbLb1EES1B_IbLb0EEEEDaS17_S18_EUlS17_E_NS1_11comp_targetILNS1_3genE10ELNS1_11target_archE1200ELNS1_3gpuE4ELNS1_3repE0EEENS1_30default_config_static_selectorELNS0_4arch9wavefront6targetE1EEEvT1_
		.amdhsa_group_segment_fixed_size 0
		.amdhsa_private_segment_fixed_size 0
		.amdhsa_kernarg_size 120
		.amdhsa_user_sgpr_count 2
		.amdhsa_user_sgpr_dispatch_ptr 0
		.amdhsa_user_sgpr_queue_ptr 0
		.amdhsa_user_sgpr_kernarg_segment_ptr 1
		.amdhsa_user_sgpr_dispatch_id 0
		.amdhsa_user_sgpr_kernarg_preload_length 0
		.amdhsa_user_sgpr_kernarg_preload_offset 0
		.amdhsa_user_sgpr_private_segment_size 0
		.amdhsa_uses_dynamic_stack 0
		.amdhsa_enable_private_segment 0
		.amdhsa_system_sgpr_workgroup_id_x 1
		.amdhsa_system_sgpr_workgroup_id_y 0
		.amdhsa_system_sgpr_workgroup_id_z 0
		.amdhsa_system_sgpr_workgroup_info 0
		.amdhsa_system_vgpr_workitem_id 0
		.amdhsa_next_free_vgpr 1
		.amdhsa_next_free_sgpr 0
		.amdhsa_accum_offset 4
		.amdhsa_reserve_vcc 0
		.amdhsa_float_round_mode_32 0
		.amdhsa_float_round_mode_16_64 0
		.amdhsa_float_denorm_mode_32 3
		.amdhsa_float_denorm_mode_16_64 3
		.amdhsa_dx10_clamp 1
		.amdhsa_ieee_mode 1
		.amdhsa_fp16_overflow 0
		.amdhsa_tg_split 0
		.amdhsa_exception_fp_ieee_invalid_op 0
		.amdhsa_exception_fp_denorm_src 0
		.amdhsa_exception_fp_ieee_div_zero 0
		.amdhsa_exception_fp_ieee_overflow 0
		.amdhsa_exception_fp_ieee_underflow 0
		.amdhsa_exception_fp_ieee_inexact 0
		.amdhsa_exception_int_div_zero 0
	.end_amdhsa_kernel
	.section	.text._ZN7rocprim17ROCPRIM_400000_NS6detail17trampoline_kernelINS0_14default_configENS1_25partition_config_selectorILNS1_17partition_subalgoE8ElNS0_10empty_typeEbEEZZNS1_14partition_implILS5_8ELb0ES3_jPlPS6_PKS6_NS0_5tupleIJS9_S6_EEENSD_IJSA_SA_EEENS0_18inequality_wrapperIZN2at6native12_GLOBAL__N_124unique_dim_cuda_templateIjEESt5tupleIJNSH_6TensorESM_SM_EERKSM_lbbbEUlllE0_EEPmJS6_EEE10hipError_tPvRmT3_T4_T5_T6_T7_T9_mT8_P12ihipStream_tbDpT10_ENKUlT_T0_E_clISt17integral_constantIbLb1EES1B_IbLb0EEEEDaS17_S18_EUlS17_E_NS1_11comp_targetILNS1_3genE10ELNS1_11target_archE1200ELNS1_3gpuE4ELNS1_3repE0EEENS1_30default_config_static_selectorELNS0_4arch9wavefront6targetE1EEEvT1_,"axG",@progbits,_ZN7rocprim17ROCPRIM_400000_NS6detail17trampoline_kernelINS0_14default_configENS1_25partition_config_selectorILNS1_17partition_subalgoE8ElNS0_10empty_typeEbEEZZNS1_14partition_implILS5_8ELb0ES3_jPlPS6_PKS6_NS0_5tupleIJS9_S6_EEENSD_IJSA_SA_EEENS0_18inequality_wrapperIZN2at6native12_GLOBAL__N_124unique_dim_cuda_templateIjEESt5tupleIJNSH_6TensorESM_SM_EERKSM_lbbbEUlllE0_EEPmJS6_EEE10hipError_tPvRmT3_T4_T5_T6_T7_T9_mT8_P12ihipStream_tbDpT10_ENKUlT_T0_E_clISt17integral_constantIbLb1EES1B_IbLb0EEEEDaS17_S18_EUlS17_E_NS1_11comp_targetILNS1_3genE10ELNS1_11target_archE1200ELNS1_3gpuE4ELNS1_3repE0EEENS1_30default_config_static_selectorELNS0_4arch9wavefront6targetE1EEEvT1_,comdat
.Lfunc_end1562:
	.size	_ZN7rocprim17ROCPRIM_400000_NS6detail17trampoline_kernelINS0_14default_configENS1_25partition_config_selectorILNS1_17partition_subalgoE8ElNS0_10empty_typeEbEEZZNS1_14partition_implILS5_8ELb0ES3_jPlPS6_PKS6_NS0_5tupleIJS9_S6_EEENSD_IJSA_SA_EEENS0_18inequality_wrapperIZN2at6native12_GLOBAL__N_124unique_dim_cuda_templateIjEESt5tupleIJNSH_6TensorESM_SM_EERKSM_lbbbEUlllE0_EEPmJS6_EEE10hipError_tPvRmT3_T4_T5_T6_T7_T9_mT8_P12ihipStream_tbDpT10_ENKUlT_T0_E_clISt17integral_constantIbLb1EES1B_IbLb0EEEEDaS17_S18_EUlS17_E_NS1_11comp_targetILNS1_3genE10ELNS1_11target_archE1200ELNS1_3gpuE4ELNS1_3repE0EEENS1_30default_config_static_selectorELNS0_4arch9wavefront6targetE1EEEvT1_, .Lfunc_end1562-_ZN7rocprim17ROCPRIM_400000_NS6detail17trampoline_kernelINS0_14default_configENS1_25partition_config_selectorILNS1_17partition_subalgoE8ElNS0_10empty_typeEbEEZZNS1_14partition_implILS5_8ELb0ES3_jPlPS6_PKS6_NS0_5tupleIJS9_S6_EEENSD_IJSA_SA_EEENS0_18inequality_wrapperIZN2at6native12_GLOBAL__N_124unique_dim_cuda_templateIjEESt5tupleIJNSH_6TensorESM_SM_EERKSM_lbbbEUlllE0_EEPmJS6_EEE10hipError_tPvRmT3_T4_T5_T6_T7_T9_mT8_P12ihipStream_tbDpT10_ENKUlT_T0_E_clISt17integral_constantIbLb1EES1B_IbLb0EEEEDaS17_S18_EUlS17_E_NS1_11comp_targetILNS1_3genE10ELNS1_11target_archE1200ELNS1_3gpuE4ELNS1_3repE0EEENS1_30default_config_static_selectorELNS0_4arch9wavefront6targetE1EEEvT1_
                                        ; -- End function
	.set _ZN7rocprim17ROCPRIM_400000_NS6detail17trampoline_kernelINS0_14default_configENS1_25partition_config_selectorILNS1_17partition_subalgoE8ElNS0_10empty_typeEbEEZZNS1_14partition_implILS5_8ELb0ES3_jPlPS6_PKS6_NS0_5tupleIJS9_S6_EEENSD_IJSA_SA_EEENS0_18inequality_wrapperIZN2at6native12_GLOBAL__N_124unique_dim_cuda_templateIjEESt5tupleIJNSH_6TensorESM_SM_EERKSM_lbbbEUlllE0_EEPmJS6_EEE10hipError_tPvRmT3_T4_T5_T6_T7_T9_mT8_P12ihipStream_tbDpT10_ENKUlT_T0_E_clISt17integral_constantIbLb1EES1B_IbLb0EEEEDaS17_S18_EUlS17_E_NS1_11comp_targetILNS1_3genE10ELNS1_11target_archE1200ELNS1_3gpuE4ELNS1_3repE0EEENS1_30default_config_static_selectorELNS0_4arch9wavefront6targetE1EEEvT1_.num_vgpr, 0
	.set _ZN7rocprim17ROCPRIM_400000_NS6detail17trampoline_kernelINS0_14default_configENS1_25partition_config_selectorILNS1_17partition_subalgoE8ElNS0_10empty_typeEbEEZZNS1_14partition_implILS5_8ELb0ES3_jPlPS6_PKS6_NS0_5tupleIJS9_S6_EEENSD_IJSA_SA_EEENS0_18inequality_wrapperIZN2at6native12_GLOBAL__N_124unique_dim_cuda_templateIjEESt5tupleIJNSH_6TensorESM_SM_EERKSM_lbbbEUlllE0_EEPmJS6_EEE10hipError_tPvRmT3_T4_T5_T6_T7_T9_mT8_P12ihipStream_tbDpT10_ENKUlT_T0_E_clISt17integral_constantIbLb1EES1B_IbLb0EEEEDaS17_S18_EUlS17_E_NS1_11comp_targetILNS1_3genE10ELNS1_11target_archE1200ELNS1_3gpuE4ELNS1_3repE0EEENS1_30default_config_static_selectorELNS0_4arch9wavefront6targetE1EEEvT1_.num_agpr, 0
	.set _ZN7rocprim17ROCPRIM_400000_NS6detail17trampoline_kernelINS0_14default_configENS1_25partition_config_selectorILNS1_17partition_subalgoE8ElNS0_10empty_typeEbEEZZNS1_14partition_implILS5_8ELb0ES3_jPlPS6_PKS6_NS0_5tupleIJS9_S6_EEENSD_IJSA_SA_EEENS0_18inequality_wrapperIZN2at6native12_GLOBAL__N_124unique_dim_cuda_templateIjEESt5tupleIJNSH_6TensorESM_SM_EERKSM_lbbbEUlllE0_EEPmJS6_EEE10hipError_tPvRmT3_T4_T5_T6_T7_T9_mT8_P12ihipStream_tbDpT10_ENKUlT_T0_E_clISt17integral_constantIbLb1EES1B_IbLb0EEEEDaS17_S18_EUlS17_E_NS1_11comp_targetILNS1_3genE10ELNS1_11target_archE1200ELNS1_3gpuE4ELNS1_3repE0EEENS1_30default_config_static_selectorELNS0_4arch9wavefront6targetE1EEEvT1_.numbered_sgpr, 0
	.set _ZN7rocprim17ROCPRIM_400000_NS6detail17trampoline_kernelINS0_14default_configENS1_25partition_config_selectorILNS1_17partition_subalgoE8ElNS0_10empty_typeEbEEZZNS1_14partition_implILS5_8ELb0ES3_jPlPS6_PKS6_NS0_5tupleIJS9_S6_EEENSD_IJSA_SA_EEENS0_18inequality_wrapperIZN2at6native12_GLOBAL__N_124unique_dim_cuda_templateIjEESt5tupleIJNSH_6TensorESM_SM_EERKSM_lbbbEUlllE0_EEPmJS6_EEE10hipError_tPvRmT3_T4_T5_T6_T7_T9_mT8_P12ihipStream_tbDpT10_ENKUlT_T0_E_clISt17integral_constantIbLb1EES1B_IbLb0EEEEDaS17_S18_EUlS17_E_NS1_11comp_targetILNS1_3genE10ELNS1_11target_archE1200ELNS1_3gpuE4ELNS1_3repE0EEENS1_30default_config_static_selectorELNS0_4arch9wavefront6targetE1EEEvT1_.num_named_barrier, 0
	.set _ZN7rocprim17ROCPRIM_400000_NS6detail17trampoline_kernelINS0_14default_configENS1_25partition_config_selectorILNS1_17partition_subalgoE8ElNS0_10empty_typeEbEEZZNS1_14partition_implILS5_8ELb0ES3_jPlPS6_PKS6_NS0_5tupleIJS9_S6_EEENSD_IJSA_SA_EEENS0_18inequality_wrapperIZN2at6native12_GLOBAL__N_124unique_dim_cuda_templateIjEESt5tupleIJNSH_6TensorESM_SM_EERKSM_lbbbEUlllE0_EEPmJS6_EEE10hipError_tPvRmT3_T4_T5_T6_T7_T9_mT8_P12ihipStream_tbDpT10_ENKUlT_T0_E_clISt17integral_constantIbLb1EES1B_IbLb0EEEEDaS17_S18_EUlS17_E_NS1_11comp_targetILNS1_3genE10ELNS1_11target_archE1200ELNS1_3gpuE4ELNS1_3repE0EEENS1_30default_config_static_selectorELNS0_4arch9wavefront6targetE1EEEvT1_.private_seg_size, 0
	.set _ZN7rocprim17ROCPRIM_400000_NS6detail17trampoline_kernelINS0_14default_configENS1_25partition_config_selectorILNS1_17partition_subalgoE8ElNS0_10empty_typeEbEEZZNS1_14partition_implILS5_8ELb0ES3_jPlPS6_PKS6_NS0_5tupleIJS9_S6_EEENSD_IJSA_SA_EEENS0_18inequality_wrapperIZN2at6native12_GLOBAL__N_124unique_dim_cuda_templateIjEESt5tupleIJNSH_6TensorESM_SM_EERKSM_lbbbEUlllE0_EEPmJS6_EEE10hipError_tPvRmT3_T4_T5_T6_T7_T9_mT8_P12ihipStream_tbDpT10_ENKUlT_T0_E_clISt17integral_constantIbLb1EES1B_IbLb0EEEEDaS17_S18_EUlS17_E_NS1_11comp_targetILNS1_3genE10ELNS1_11target_archE1200ELNS1_3gpuE4ELNS1_3repE0EEENS1_30default_config_static_selectorELNS0_4arch9wavefront6targetE1EEEvT1_.uses_vcc, 0
	.set _ZN7rocprim17ROCPRIM_400000_NS6detail17trampoline_kernelINS0_14default_configENS1_25partition_config_selectorILNS1_17partition_subalgoE8ElNS0_10empty_typeEbEEZZNS1_14partition_implILS5_8ELb0ES3_jPlPS6_PKS6_NS0_5tupleIJS9_S6_EEENSD_IJSA_SA_EEENS0_18inequality_wrapperIZN2at6native12_GLOBAL__N_124unique_dim_cuda_templateIjEESt5tupleIJNSH_6TensorESM_SM_EERKSM_lbbbEUlllE0_EEPmJS6_EEE10hipError_tPvRmT3_T4_T5_T6_T7_T9_mT8_P12ihipStream_tbDpT10_ENKUlT_T0_E_clISt17integral_constantIbLb1EES1B_IbLb0EEEEDaS17_S18_EUlS17_E_NS1_11comp_targetILNS1_3genE10ELNS1_11target_archE1200ELNS1_3gpuE4ELNS1_3repE0EEENS1_30default_config_static_selectorELNS0_4arch9wavefront6targetE1EEEvT1_.uses_flat_scratch, 0
	.set _ZN7rocprim17ROCPRIM_400000_NS6detail17trampoline_kernelINS0_14default_configENS1_25partition_config_selectorILNS1_17partition_subalgoE8ElNS0_10empty_typeEbEEZZNS1_14partition_implILS5_8ELb0ES3_jPlPS6_PKS6_NS0_5tupleIJS9_S6_EEENSD_IJSA_SA_EEENS0_18inequality_wrapperIZN2at6native12_GLOBAL__N_124unique_dim_cuda_templateIjEESt5tupleIJNSH_6TensorESM_SM_EERKSM_lbbbEUlllE0_EEPmJS6_EEE10hipError_tPvRmT3_T4_T5_T6_T7_T9_mT8_P12ihipStream_tbDpT10_ENKUlT_T0_E_clISt17integral_constantIbLb1EES1B_IbLb0EEEEDaS17_S18_EUlS17_E_NS1_11comp_targetILNS1_3genE10ELNS1_11target_archE1200ELNS1_3gpuE4ELNS1_3repE0EEENS1_30default_config_static_selectorELNS0_4arch9wavefront6targetE1EEEvT1_.has_dyn_sized_stack, 0
	.set _ZN7rocprim17ROCPRIM_400000_NS6detail17trampoline_kernelINS0_14default_configENS1_25partition_config_selectorILNS1_17partition_subalgoE8ElNS0_10empty_typeEbEEZZNS1_14partition_implILS5_8ELb0ES3_jPlPS6_PKS6_NS0_5tupleIJS9_S6_EEENSD_IJSA_SA_EEENS0_18inequality_wrapperIZN2at6native12_GLOBAL__N_124unique_dim_cuda_templateIjEESt5tupleIJNSH_6TensorESM_SM_EERKSM_lbbbEUlllE0_EEPmJS6_EEE10hipError_tPvRmT3_T4_T5_T6_T7_T9_mT8_P12ihipStream_tbDpT10_ENKUlT_T0_E_clISt17integral_constantIbLb1EES1B_IbLb0EEEEDaS17_S18_EUlS17_E_NS1_11comp_targetILNS1_3genE10ELNS1_11target_archE1200ELNS1_3gpuE4ELNS1_3repE0EEENS1_30default_config_static_selectorELNS0_4arch9wavefront6targetE1EEEvT1_.has_recursion, 0
	.set _ZN7rocprim17ROCPRIM_400000_NS6detail17trampoline_kernelINS0_14default_configENS1_25partition_config_selectorILNS1_17partition_subalgoE8ElNS0_10empty_typeEbEEZZNS1_14partition_implILS5_8ELb0ES3_jPlPS6_PKS6_NS0_5tupleIJS9_S6_EEENSD_IJSA_SA_EEENS0_18inequality_wrapperIZN2at6native12_GLOBAL__N_124unique_dim_cuda_templateIjEESt5tupleIJNSH_6TensorESM_SM_EERKSM_lbbbEUlllE0_EEPmJS6_EEE10hipError_tPvRmT3_T4_T5_T6_T7_T9_mT8_P12ihipStream_tbDpT10_ENKUlT_T0_E_clISt17integral_constantIbLb1EES1B_IbLb0EEEEDaS17_S18_EUlS17_E_NS1_11comp_targetILNS1_3genE10ELNS1_11target_archE1200ELNS1_3gpuE4ELNS1_3repE0EEENS1_30default_config_static_selectorELNS0_4arch9wavefront6targetE1EEEvT1_.has_indirect_call, 0
	.section	.AMDGPU.csdata,"",@progbits
; Kernel info:
; codeLenInByte = 0
; TotalNumSgprs: 6
; NumVgprs: 0
; NumAgprs: 0
; TotalNumVgprs: 0
; ScratchSize: 0
; MemoryBound: 0
; FloatMode: 240
; IeeeMode: 1
; LDSByteSize: 0 bytes/workgroup (compile time only)
; SGPRBlocks: 0
; VGPRBlocks: 0
; NumSGPRsForWavesPerEU: 6
; NumVGPRsForWavesPerEU: 1
; AccumOffset: 4
; Occupancy: 8
; WaveLimiterHint : 0
; COMPUTE_PGM_RSRC2:SCRATCH_EN: 0
; COMPUTE_PGM_RSRC2:USER_SGPR: 2
; COMPUTE_PGM_RSRC2:TRAP_HANDLER: 0
; COMPUTE_PGM_RSRC2:TGID_X_EN: 1
; COMPUTE_PGM_RSRC2:TGID_Y_EN: 0
; COMPUTE_PGM_RSRC2:TGID_Z_EN: 0
; COMPUTE_PGM_RSRC2:TIDIG_COMP_CNT: 0
; COMPUTE_PGM_RSRC3_GFX90A:ACCUM_OFFSET: 0
; COMPUTE_PGM_RSRC3_GFX90A:TG_SPLIT: 0
	.section	.text._ZN7rocprim17ROCPRIM_400000_NS6detail17trampoline_kernelINS0_14default_configENS1_25partition_config_selectorILNS1_17partition_subalgoE8ElNS0_10empty_typeEbEEZZNS1_14partition_implILS5_8ELb0ES3_jPlPS6_PKS6_NS0_5tupleIJS9_S6_EEENSD_IJSA_SA_EEENS0_18inequality_wrapperIZN2at6native12_GLOBAL__N_124unique_dim_cuda_templateIjEESt5tupleIJNSH_6TensorESM_SM_EERKSM_lbbbEUlllE0_EEPmJS6_EEE10hipError_tPvRmT3_T4_T5_T6_T7_T9_mT8_P12ihipStream_tbDpT10_ENKUlT_T0_E_clISt17integral_constantIbLb1EES1B_IbLb0EEEEDaS17_S18_EUlS17_E_NS1_11comp_targetILNS1_3genE9ELNS1_11target_archE1100ELNS1_3gpuE3ELNS1_3repE0EEENS1_30default_config_static_selectorELNS0_4arch9wavefront6targetE1EEEvT1_,"axG",@progbits,_ZN7rocprim17ROCPRIM_400000_NS6detail17trampoline_kernelINS0_14default_configENS1_25partition_config_selectorILNS1_17partition_subalgoE8ElNS0_10empty_typeEbEEZZNS1_14partition_implILS5_8ELb0ES3_jPlPS6_PKS6_NS0_5tupleIJS9_S6_EEENSD_IJSA_SA_EEENS0_18inequality_wrapperIZN2at6native12_GLOBAL__N_124unique_dim_cuda_templateIjEESt5tupleIJNSH_6TensorESM_SM_EERKSM_lbbbEUlllE0_EEPmJS6_EEE10hipError_tPvRmT3_T4_T5_T6_T7_T9_mT8_P12ihipStream_tbDpT10_ENKUlT_T0_E_clISt17integral_constantIbLb1EES1B_IbLb0EEEEDaS17_S18_EUlS17_E_NS1_11comp_targetILNS1_3genE9ELNS1_11target_archE1100ELNS1_3gpuE3ELNS1_3repE0EEENS1_30default_config_static_selectorELNS0_4arch9wavefront6targetE1EEEvT1_,comdat
	.globl	_ZN7rocprim17ROCPRIM_400000_NS6detail17trampoline_kernelINS0_14default_configENS1_25partition_config_selectorILNS1_17partition_subalgoE8ElNS0_10empty_typeEbEEZZNS1_14partition_implILS5_8ELb0ES3_jPlPS6_PKS6_NS0_5tupleIJS9_S6_EEENSD_IJSA_SA_EEENS0_18inequality_wrapperIZN2at6native12_GLOBAL__N_124unique_dim_cuda_templateIjEESt5tupleIJNSH_6TensorESM_SM_EERKSM_lbbbEUlllE0_EEPmJS6_EEE10hipError_tPvRmT3_T4_T5_T6_T7_T9_mT8_P12ihipStream_tbDpT10_ENKUlT_T0_E_clISt17integral_constantIbLb1EES1B_IbLb0EEEEDaS17_S18_EUlS17_E_NS1_11comp_targetILNS1_3genE9ELNS1_11target_archE1100ELNS1_3gpuE3ELNS1_3repE0EEENS1_30default_config_static_selectorELNS0_4arch9wavefront6targetE1EEEvT1_ ; -- Begin function _ZN7rocprim17ROCPRIM_400000_NS6detail17trampoline_kernelINS0_14default_configENS1_25partition_config_selectorILNS1_17partition_subalgoE8ElNS0_10empty_typeEbEEZZNS1_14partition_implILS5_8ELb0ES3_jPlPS6_PKS6_NS0_5tupleIJS9_S6_EEENSD_IJSA_SA_EEENS0_18inequality_wrapperIZN2at6native12_GLOBAL__N_124unique_dim_cuda_templateIjEESt5tupleIJNSH_6TensorESM_SM_EERKSM_lbbbEUlllE0_EEPmJS6_EEE10hipError_tPvRmT3_T4_T5_T6_T7_T9_mT8_P12ihipStream_tbDpT10_ENKUlT_T0_E_clISt17integral_constantIbLb1EES1B_IbLb0EEEEDaS17_S18_EUlS17_E_NS1_11comp_targetILNS1_3genE9ELNS1_11target_archE1100ELNS1_3gpuE3ELNS1_3repE0EEENS1_30default_config_static_selectorELNS0_4arch9wavefront6targetE1EEEvT1_
	.p2align	8
	.type	_ZN7rocprim17ROCPRIM_400000_NS6detail17trampoline_kernelINS0_14default_configENS1_25partition_config_selectorILNS1_17partition_subalgoE8ElNS0_10empty_typeEbEEZZNS1_14partition_implILS5_8ELb0ES3_jPlPS6_PKS6_NS0_5tupleIJS9_S6_EEENSD_IJSA_SA_EEENS0_18inequality_wrapperIZN2at6native12_GLOBAL__N_124unique_dim_cuda_templateIjEESt5tupleIJNSH_6TensorESM_SM_EERKSM_lbbbEUlllE0_EEPmJS6_EEE10hipError_tPvRmT3_T4_T5_T6_T7_T9_mT8_P12ihipStream_tbDpT10_ENKUlT_T0_E_clISt17integral_constantIbLb1EES1B_IbLb0EEEEDaS17_S18_EUlS17_E_NS1_11comp_targetILNS1_3genE9ELNS1_11target_archE1100ELNS1_3gpuE3ELNS1_3repE0EEENS1_30default_config_static_selectorELNS0_4arch9wavefront6targetE1EEEvT1_,@function
_ZN7rocprim17ROCPRIM_400000_NS6detail17trampoline_kernelINS0_14default_configENS1_25partition_config_selectorILNS1_17partition_subalgoE8ElNS0_10empty_typeEbEEZZNS1_14partition_implILS5_8ELb0ES3_jPlPS6_PKS6_NS0_5tupleIJS9_S6_EEENSD_IJSA_SA_EEENS0_18inequality_wrapperIZN2at6native12_GLOBAL__N_124unique_dim_cuda_templateIjEESt5tupleIJNSH_6TensorESM_SM_EERKSM_lbbbEUlllE0_EEPmJS6_EEE10hipError_tPvRmT3_T4_T5_T6_T7_T9_mT8_P12ihipStream_tbDpT10_ENKUlT_T0_E_clISt17integral_constantIbLb1EES1B_IbLb0EEEEDaS17_S18_EUlS17_E_NS1_11comp_targetILNS1_3genE9ELNS1_11target_archE1100ELNS1_3gpuE3ELNS1_3repE0EEENS1_30default_config_static_selectorELNS0_4arch9wavefront6targetE1EEEvT1_: ; @_ZN7rocprim17ROCPRIM_400000_NS6detail17trampoline_kernelINS0_14default_configENS1_25partition_config_selectorILNS1_17partition_subalgoE8ElNS0_10empty_typeEbEEZZNS1_14partition_implILS5_8ELb0ES3_jPlPS6_PKS6_NS0_5tupleIJS9_S6_EEENSD_IJSA_SA_EEENS0_18inequality_wrapperIZN2at6native12_GLOBAL__N_124unique_dim_cuda_templateIjEESt5tupleIJNSH_6TensorESM_SM_EERKSM_lbbbEUlllE0_EEPmJS6_EEE10hipError_tPvRmT3_T4_T5_T6_T7_T9_mT8_P12ihipStream_tbDpT10_ENKUlT_T0_E_clISt17integral_constantIbLb1EES1B_IbLb0EEEEDaS17_S18_EUlS17_E_NS1_11comp_targetILNS1_3genE9ELNS1_11target_archE1100ELNS1_3gpuE3ELNS1_3repE0EEENS1_30default_config_static_selectorELNS0_4arch9wavefront6targetE1EEEvT1_
; %bb.0:
	.section	.rodata,"a",@progbits
	.p2align	6, 0x0
	.amdhsa_kernel _ZN7rocprim17ROCPRIM_400000_NS6detail17trampoline_kernelINS0_14default_configENS1_25partition_config_selectorILNS1_17partition_subalgoE8ElNS0_10empty_typeEbEEZZNS1_14partition_implILS5_8ELb0ES3_jPlPS6_PKS6_NS0_5tupleIJS9_S6_EEENSD_IJSA_SA_EEENS0_18inequality_wrapperIZN2at6native12_GLOBAL__N_124unique_dim_cuda_templateIjEESt5tupleIJNSH_6TensorESM_SM_EERKSM_lbbbEUlllE0_EEPmJS6_EEE10hipError_tPvRmT3_T4_T5_T6_T7_T9_mT8_P12ihipStream_tbDpT10_ENKUlT_T0_E_clISt17integral_constantIbLb1EES1B_IbLb0EEEEDaS17_S18_EUlS17_E_NS1_11comp_targetILNS1_3genE9ELNS1_11target_archE1100ELNS1_3gpuE3ELNS1_3repE0EEENS1_30default_config_static_selectorELNS0_4arch9wavefront6targetE1EEEvT1_
		.amdhsa_group_segment_fixed_size 0
		.amdhsa_private_segment_fixed_size 0
		.amdhsa_kernarg_size 120
		.amdhsa_user_sgpr_count 2
		.amdhsa_user_sgpr_dispatch_ptr 0
		.amdhsa_user_sgpr_queue_ptr 0
		.amdhsa_user_sgpr_kernarg_segment_ptr 1
		.amdhsa_user_sgpr_dispatch_id 0
		.amdhsa_user_sgpr_kernarg_preload_length 0
		.amdhsa_user_sgpr_kernarg_preload_offset 0
		.amdhsa_user_sgpr_private_segment_size 0
		.amdhsa_uses_dynamic_stack 0
		.amdhsa_enable_private_segment 0
		.amdhsa_system_sgpr_workgroup_id_x 1
		.amdhsa_system_sgpr_workgroup_id_y 0
		.amdhsa_system_sgpr_workgroup_id_z 0
		.amdhsa_system_sgpr_workgroup_info 0
		.amdhsa_system_vgpr_workitem_id 0
		.amdhsa_next_free_vgpr 1
		.amdhsa_next_free_sgpr 0
		.amdhsa_accum_offset 4
		.amdhsa_reserve_vcc 0
		.amdhsa_float_round_mode_32 0
		.amdhsa_float_round_mode_16_64 0
		.amdhsa_float_denorm_mode_32 3
		.amdhsa_float_denorm_mode_16_64 3
		.amdhsa_dx10_clamp 1
		.amdhsa_ieee_mode 1
		.amdhsa_fp16_overflow 0
		.amdhsa_tg_split 0
		.amdhsa_exception_fp_ieee_invalid_op 0
		.amdhsa_exception_fp_denorm_src 0
		.amdhsa_exception_fp_ieee_div_zero 0
		.amdhsa_exception_fp_ieee_overflow 0
		.amdhsa_exception_fp_ieee_underflow 0
		.amdhsa_exception_fp_ieee_inexact 0
		.amdhsa_exception_int_div_zero 0
	.end_amdhsa_kernel
	.section	.text._ZN7rocprim17ROCPRIM_400000_NS6detail17trampoline_kernelINS0_14default_configENS1_25partition_config_selectorILNS1_17partition_subalgoE8ElNS0_10empty_typeEbEEZZNS1_14partition_implILS5_8ELb0ES3_jPlPS6_PKS6_NS0_5tupleIJS9_S6_EEENSD_IJSA_SA_EEENS0_18inequality_wrapperIZN2at6native12_GLOBAL__N_124unique_dim_cuda_templateIjEESt5tupleIJNSH_6TensorESM_SM_EERKSM_lbbbEUlllE0_EEPmJS6_EEE10hipError_tPvRmT3_T4_T5_T6_T7_T9_mT8_P12ihipStream_tbDpT10_ENKUlT_T0_E_clISt17integral_constantIbLb1EES1B_IbLb0EEEEDaS17_S18_EUlS17_E_NS1_11comp_targetILNS1_3genE9ELNS1_11target_archE1100ELNS1_3gpuE3ELNS1_3repE0EEENS1_30default_config_static_selectorELNS0_4arch9wavefront6targetE1EEEvT1_,"axG",@progbits,_ZN7rocprim17ROCPRIM_400000_NS6detail17trampoline_kernelINS0_14default_configENS1_25partition_config_selectorILNS1_17partition_subalgoE8ElNS0_10empty_typeEbEEZZNS1_14partition_implILS5_8ELb0ES3_jPlPS6_PKS6_NS0_5tupleIJS9_S6_EEENSD_IJSA_SA_EEENS0_18inequality_wrapperIZN2at6native12_GLOBAL__N_124unique_dim_cuda_templateIjEESt5tupleIJNSH_6TensorESM_SM_EERKSM_lbbbEUlllE0_EEPmJS6_EEE10hipError_tPvRmT3_T4_T5_T6_T7_T9_mT8_P12ihipStream_tbDpT10_ENKUlT_T0_E_clISt17integral_constantIbLb1EES1B_IbLb0EEEEDaS17_S18_EUlS17_E_NS1_11comp_targetILNS1_3genE9ELNS1_11target_archE1100ELNS1_3gpuE3ELNS1_3repE0EEENS1_30default_config_static_selectorELNS0_4arch9wavefront6targetE1EEEvT1_,comdat
.Lfunc_end1563:
	.size	_ZN7rocprim17ROCPRIM_400000_NS6detail17trampoline_kernelINS0_14default_configENS1_25partition_config_selectorILNS1_17partition_subalgoE8ElNS0_10empty_typeEbEEZZNS1_14partition_implILS5_8ELb0ES3_jPlPS6_PKS6_NS0_5tupleIJS9_S6_EEENSD_IJSA_SA_EEENS0_18inequality_wrapperIZN2at6native12_GLOBAL__N_124unique_dim_cuda_templateIjEESt5tupleIJNSH_6TensorESM_SM_EERKSM_lbbbEUlllE0_EEPmJS6_EEE10hipError_tPvRmT3_T4_T5_T6_T7_T9_mT8_P12ihipStream_tbDpT10_ENKUlT_T0_E_clISt17integral_constantIbLb1EES1B_IbLb0EEEEDaS17_S18_EUlS17_E_NS1_11comp_targetILNS1_3genE9ELNS1_11target_archE1100ELNS1_3gpuE3ELNS1_3repE0EEENS1_30default_config_static_selectorELNS0_4arch9wavefront6targetE1EEEvT1_, .Lfunc_end1563-_ZN7rocprim17ROCPRIM_400000_NS6detail17trampoline_kernelINS0_14default_configENS1_25partition_config_selectorILNS1_17partition_subalgoE8ElNS0_10empty_typeEbEEZZNS1_14partition_implILS5_8ELb0ES3_jPlPS6_PKS6_NS0_5tupleIJS9_S6_EEENSD_IJSA_SA_EEENS0_18inequality_wrapperIZN2at6native12_GLOBAL__N_124unique_dim_cuda_templateIjEESt5tupleIJNSH_6TensorESM_SM_EERKSM_lbbbEUlllE0_EEPmJS6_EEE10hipError_tPvRmT3_T4_T5_T6_T7_T9_mT8_P12ihipStream_tbDpT10_ENKUlT_T0_E_clISt17integral_constantIbLb1EES1B_IbLb0EEEEDaS17_S18_EUlS17_E_NS1_11comp_targetILNS1_3genE9ELNS1_11target_archE1100ELNS1_3gpuE3ELNS1_3repE0EEENS1_30default_config_static_selectorELNS0_4arch9wavefront6targetE1EEEvT1_
                                        ; -- End function
	.set _ZN7rocprim17ROCPRIM_400000_NS6detail17trampoline_kernelINS0_14default_configENS1_25partition_config_selectorILNS1_17partition_subalgoE8ElNS0_10empty_typeEbEEZZNS1_14partition_implILS5_8ELb0ES3_jPlPS6_PKS6_NS0_5tupleIJS9_S6_EEENSD_IJSA_SA_EEENS0_18inequality_wrapperIZN2at6native12_GLOBAL__N_124unique_dim_cuda_templateIjEESt5tupleIJNSH_6TensorESM_SM_EERKSM_lbbbEUlllE0_EEPmJS6_EEE10hipError_tPvRmT3_T4_T5_T6_T7_T9_mT8_P12ihipStream_tbDpT10_ENKUlT_T0_E_clISt17integral_constantIbLb1EES1B_IbLb0EEEEDaS17_S18_EUlS17_E_NS1_11comp_targetILNS1_3genE9ELNS1_11target_archE1100ELNS1_3gpuE3ELNS1_3repE0EEENS1_30default_config_static_selectorELNS0_4arch9wavefront6targetE1EEEvT1_.num_vgpr, 0
	.set _ZN7rocprim17ROCPRIM_400000_NS6detail17trampoline_kernelINS0_14default_configENS1_25partition_config_selectorILNS1_17partition_subalgoE8ElNS0_10empty_typeEbEEZZNS1_14partition_implILS5_8ELb0ES3_jPlPS6_PKS6_NS0_5tupleIJS9_S6_EEENSD_IJSA_SA_EEENS0_18inequality_wrapperIZN2at6native12_GLOBAL__N_124unique_dim_cuda_templateIjEESt5tupleIJNSH_6TensorESM_SM_EERKSM_lbbbEUlllE0_EEPmJS6_EEE10hipError_tPvRmT3_T4_T5_T6_T7_T9_mT8_P12ihipStream_tbDpT10_ENKUlT_T0_E_clISt17integral_constantIbLb1EES1B_IbLb0EEEEDaS17_S18_EUlS17_E_NS1_11comp_targetILNS1_3genE9ELNS1_11target_archE1100ELNS1_3gpuE3ELNS1_3repE0EEENS1_30default_config_static_selectorELNS0_4arch9wavefront6targetE1EEEvT1_.num_agpr, 0
	.set _ZN7rocprim17ROCPRIM_400000_NS6detail17trampoline_kernelINS0_14default_configENS1_25partition_config_selectorILNS1_17partition_subalgoE8ElNS0_10empty_typeEbEEZZNS1_14partition_implILS5_8ELb0ES3_jPlPS6_PKS6_NS0_5tupleIJS9_S6_EEENSD_IJSA_SA_EEENS0_18inequality_wrapperIZN2at6native12_GLOBAL__N_124unique_dim_cuda_templateIjEESt5tupleIJNSH_6TensorESM_SM_EERKSM_lbbbEUlllE0_EEPmJS6_EEE10hipError_tPvRmT3_T4_T5_T6_T7_T9_mT8_P12ihipStream_tbDpT10_ENKUlT_T0_E_clISt17integral_constantIbLb1EES1B_IbLb0EEEEDaS17_S18_EUlS17_E_NS1_11comp_targetILNS1_3genE9ELNS1_11target_archE1100ELNS1_3gpuE3ELNS1_3repE0EEENS1_30default_config_static_selectorELNS0_4arch9wavefront6targetE1EEEvT1_.numbered_sgpr, 0
	.set _ZN7rocprim17ROCPRIM_400000_NS6detail17trampoline_kernelINS0_14default_configENS1_25partition_config_selectorILNS1_17partition_subalgoE8ElNS0_10empty_typeEbEEZZNS1_14partition_implILS5_8ELb0ES3_jPlPS6_PKS6_NS0_5tupleIJS9_S6_EEENSD_IJSA_SA_EEENS0_18inequality_wrapperIZN2at6native12_GLOBAL__N_124unique_dim_cuda_templateIjEESt5tupleIJNSH_6TensorESM_SM_EERKSM_lbbbEUlllE0_EEPmJS6_EEE10hipError_tPvRmT3_T4_T5_T6_T7_T9_mT8_P12ihipStream_tbDpT10_ENKUlT_T0_E_clISt17integral_constantIbLb1EES1B_IbLb0EEEEDaS17_S18_EUlS17_E_NS1_11comp_targetILNS1_3genE9ELNS1_11target_archE1100ELNS1_3gpuE3ELNS1_3repE0EEENS1_30default_config_static_selectorELNS0_4arch9wavefront6targetE1EEEvT1_.num_named_barrier, 0
	.set _ZN7rocprim17ROCPRIM_400000_NS6detail17trampoline_kernelINS0_14default_configENS1_25partition_config_selectorILNS1_17partition_subalgoE8ElNS0_10empty_typeEbEEZZNS1_14partition_implILS5_8ELb0ES3_jPlPS6_PKS6_NS0_5tupleIJS9_S6_EEENSD_IJSA_SA_EEENS0_18inequality_wrapperIZN2at6native12_GLOBAL__N_124unique_dim_cuda_templateIjEESt5tupleIJNSH_6TensorESM_SM_EERKSM_lbbbEUlllE0_EEPmJS6_EEE10hipError_tPvRmT3_T4_T5_T6_T7_T9_mT8_P12ihipStream_tbDpT10_ENKUlT_T0_E_clISt17integral_constantIbLb1EES1B_IbLb0EEEEDaS17_S18_EUlS17_E_NS1_11comp_targetILNS1_3genE9ELNS1_11target_archE1100ELNS1_3gpuE3ELNS1_3repE0EEENS1_30default_config_static_selectorELNS0_4arch9wavefront6targetE1EEEvT1_.private_seg_size, 0
	.set _ZN7rocprim17ROCPRIM_400000_NS6detail17trampoline_kernelINS0_14default_configENS1_25partition_config_selectorILNS1_17partition_subalgoE8ElNS0_10empty_typeEbEEZZNS1_14partition_implILS5_8ELb0ES3_jPlPS6_PKS6_NS0_5tupleIJS9_S6_EEENSD_IJSA_SA_EEENS0_18inequality_wrapperIZN2at6native12_GLOBAL__N_124unique_dim_cuda_templateIjEESt5tupleIJNSH_6TensorESM_SM_EERKSM_lbbbEUlllE0_EEPmJS6_EEE10hipError_tPvRmT3_T4_T5_T6_T7_T9_mT8_P12ihipStream_tbDpT10_ENKUlT_T0_E_clISt17integral_constantIbLb1EES1B_IbLb0EEEEDaS17_S18_EUlS17_E_NS1_11comp_targetILNS1_3genE9ELNS1_11target_archE1100ELNS1_3gpuE3ELNS1_3repE0EEENS1_30default_config_static_selectorELNS0_4arch9wavefront6targetE1EEEvT1_.uses_vcc, 0
	.set _ZN7rocprim17ROCPRIM_400000_NS6detail17trampoline_kernelINS0_14default_configENS1_25partition_config_selectorILNS1_17partition_subalgoE8ElNS0_10empty_typeEbEEZZNS1_14partition_implILS5_8ELb0ES3_jPlPS6_PKS6_NS0_5tupleIJS9_S6_EEENSD_IJSA_SA_EEENS0_18inequality_wrapperIZN2at6native12_GLOBAL__N_124unique_dim_cuda_templateIjEESt5tupleIJNSH_6TensorESM_SM_EERKSM_lbbbEUlllE0_EEPmJS6_EEE10hipError_tPvRmT3_T4_T5_T6_T7_T9_mT8_P12ihipStream_tbDpT10_ENKUlT_T0_E_clISt17integral_constantIbLb1EES1B_IbLb0EEEEDaS17_S18_EUlS17_E_NS1_11comp_targetILNS1_3genE9ELNS1_11target_archE1100ELNS1_3gpuE3ELNS1_3repE0EEENS1_30default_config_static_selectorELNS0_4arch9wavefront6targetE1EEEvT1_.uses_flat_scratch, 0
	.set _ZN7rocprim17ROCPRIM_400000_NS6detail17trampoline_kernelINS0_14default_configENS1_25partition_config_selectorILNS1_17partition_subalgoE8ElNS0_10empty_typeEbEEZZNS1_14partition_implILS5_8ELb0ES3_jPlPS6_PKS6_NS0_5tupleIJS9_S6_EEENSD_IJSA_SA_EEENS0_18inequality_wrapperIZN2at6native12_GLOBAL__N_124unique_dim_cuda_templateIjEESt5tupleIJNSH_6TensorESM_SM_EERKSM_lbbbEUlllE0_EEPmJS6_EEE10hipError_tPvRmT3_T4_T5_T6_T7_T9_mT8_P12ihipStream_tbDpT10_ENKUlT_T0_E_clISt17integral_constantIbLb1EES1B_IbLb0EEEEDaS17_S18_EUlS17_E_NS1_11comp_targetILNS1_3genE9ELNS1_11target_archE1100ELNS1_3gpuE3ELNS1_3repE0EEENS1_30default_config_static_selectorELNS0_4arch9wavefront6targetE1EEEvT1_.has_dyn_sized_stack, 0
	.set _ZN7rocprim17ROCPRIM_400000_NS6detail17trampoline_kernelINS0_14default_configENS1_25partition_config_selectorILNS1_17partition_subalgoE8ElNS0_10empty_typeEbEEZZNS1_14partition_implILS5_8ELb0ES3_jPlPS6_PKS6_NS0_5tupleIJS9_S6_EEENSD_IJSA_SA_EEENS0_18inequality_wrapperIZN2at6native12_GLOBAL__N_124unique_dim_cuda_templateIjEESt5tupleIJNSH_6TensorESM_SM_EERKSM_lbbbEUlllE0_EEPmJS6_EEE10hipError_tPvRmT3_T4_T5_T6_T7_T9_mT8_P12ihipStream_tbDpT10_ENKUlT_T0_E_clISt17integral_constantIbLb1EES1B_IbLb0EEEEDaS17_S18_EUlS17_E_NS1_11comp_targetILNS1_3genE9ELNS1_11target_archE1100ELNS1_3gpuE3ELNS1_3repE0EEENS1_30default_config_static_selectorELNS0_4arch9wavefront6targetE1EEEvT1_.has_recursion, 0
	.set _ZN7rocprim17ROCPRIM_400000_NS6detail17trampoline_kernelINS0_14default_configENS1_25partition_config_selectorILNS1_17partition_subalgoE8ElNS0_10empty_typeEbEEZZNS1_14partition_implILS5_8ELb0ES3_jPlPS6_PKS6_NS0_5tupleIJS9_S6_EEENSD_IJSA_SA_EEENS0_18inequality_wrapperIZN2at6native12_GLOBAL__N_124unique_dim_cuda_templateIjEESt5tupleIJNSH_6TensorESM_SM_EERKSM_lbbbEUlllE0_EEPmJS6_EEE10hipError_tPvRmT3_T4_T5_T6_T7_T9_mT8_P12ihipStream_tbDpT10_ENKUlT_T0_E_clISt17integral_constantIbLb1EES1B_IbLb0EEEEDaS17_S18_EUlS17_E_NS1_11comp_targetILNS1_3genE9ELNS1_11target_archE1100ELNS1_3gpuE3ELNS1_3repE0EEENS1_30default_config_static_selectorELNS0_4arch9wavefront6targetE1EEEvT1_.has_indirect_call, 0
	.section	.AMDGPU.csdata,"",@progbits
; Kernel info:
; codeLenInByte = 0
; TotalNumSgprs: 6
; NumVgprs: 0
; NumAgprs: 0
; TotalNumVgprs: 0
; ScratchSize: 0
; MemoryBound: 0
; FloatMode: 240
; IeeeMode: 1
; LDSByteSize: 0 bytes/workgroup (compile time only)
; SGPRBlocks: 0
; VGPRBlocks: 0
; NumSGPRsForWavesPerEU: 6
; NumVGPRsForWavesPerEU: 1
; AccumOffset: 4
; Occupancy: 8
; WaveLimiterHint : 0
; COMPUTE_PGM_RSRC2:SCRATCH_EN: 0
; COMPUTE_PGM_RSRC2:USER_SGPR: 2
; COMPUTE_PGM_RSRC2:TRAP_HANDLER: 0
; COMPUTE_PGM_RSRC2:TGID_X_EN: 1
; COMPUTE_PGM_RSRC2:TGID_Y_EN: 0
; COMPUTE_PGM_RSRC2:TGID_Z_EN: 0
; COMPUTE_PGM_RSRC2:TIDIG_COMP_CNT: 0
; COMPUTE_PGM_RSRC3_GFX90A:ACCUM_OFFSET: 0
; COMPUTE_PGM_RSRC3_GFX90A:TG_SPLIT: 0
	.section	.text._ZN7rocprim17ROCPRIM_400000_NS6detail17trampoline_kernelINS0_14default_configENS1_25partition_config_selectorILNS1_17partition_subalgoE8ElNS0_10empty_typeEbEEZZNS1_14partition_implILS5_8ELb0ES3_jPlPS6_PKS6_NS0_5tupleIJS9_S6_EEENSD_IJSA_SA_EEENS0_18inequality_wrapperIZN2at6native12_GLOBAL__N_124unique_dim_cuda_templateIjEESt5tupleIJNSH_6TensorESM_SM_EERKSM_lbbbEUlllE0_EEPmJS6_EEE10hipError_tPvRmT3_T4_T5_T6_T7_T9_mT8_P12ihipStream_tbDpT10_ENKUlT_T0_E_clISt17integral_constantIbLb1EES1B_IbLb0EEEEDaS17_S18_EUlS17_E_NS1_11comp_targetILNS1_3genE8ELNS1_11target_archE1030ELNS1_3gpuE2ELNS1_3repE0EEENS1_30default_config_static_selectorELNS0_4arch9wavefront6targetE1EEEvT1_,"axG",@progbits,_ZN7rocprim17ROCPRIM_400000_NS6detail17trampoline_kernelINS0_14default_configENS1_25partition_config_selectorILNS1_17partition_subalgoE8ElNS0_10empty_typeEbEEZZNS1_14partition_implILS5_8ELb0ES3_jPlPS6_PKS6_NS0_5tupleIJS9_S6_EEENSD_IJSA_SA_EEENS0_18inequality_wrapperIZN2at6native12_GLOBAL__N_124unique_dim_cuda_templateIjEESt5tupleIJNSH_6TensorESM_SM_EERKSM_lbbbEUlllE0_EEPmJS6_EEE10hipError_tPvRmT3_T4_T5_T6_T7_T9_mT8_P12ihipStream_tbDpT10_ENKUlT_T0_E_clISt17integral_constantIbLb1EES1B_IbLb0EEEEDaS17_S18_EUlS17_E_NS1_11comp_targetILNS1_3genE8ELNS1_11target_archE1030ELNS1_3gpuE2ELNS1_3repE0EEENS1_30default_config_static_selectorELNS0_4arch9wavefront6targetE1EEEvT1_,comdat
	.globl	_ZN7rocprim17ROCPRIM_400000_NS6detail17trampoline_kernelINS0_14default_configENS1_25partition_config_selectorILNS1_17partition_subalgoE8ElNS0_10empty_typeEbEEZZNS1_14partition_implILS5_8ELb0ES3_jPlPS6_PKS6_NS0_5tupleIJS9_S6_EEENSD_IJSA_SA_EEENS0_18inequality_wrapperIZN2at6native12_GLOBAL__N_124unique_dim_cuda_templateIjEESt5tupleIJNSH_6TensorESM_SM_EERKSM_lbbbEUlllE0_EEPmJS6_EEE10hipError_tPvRmT3_T4_T5_T6_T7_T9_mT8_P12ihipStream_tbDpT10_ENKUlT_T0_E_clISt17integral_constantIbLb1EES1B_IbLb0EEEEDaS17_S18_EUlS17_E_NS1_11comp_targetILNS1_3genE8ELNS1_11target_archE1030ELNS1_3gpuE2ELNS1_3repE0EEENS1_30default_config_static_selectorELNS0_4arch9wavefront6targetE1EEEvT1_ ; -- Begin function _ZN7rocprim17ROCPRIM_400000_NS6detail17trampoline_kernelINS0_14default_configENS1_25partition_config_selectorILNS1_17partition_subalgoE8ElNS0_10empty_typeEbEEZZNS1_14partition_implILS5_8ELb0ES3_jPlPS6_PKS6_NS0_5tupleIJS9_S6_EEENSD_IJSA_SA_EEENS0_18inequality_wrapperIZN2at6native12_GLOBAL__N_124unique_dim_cuda_templateIjEESt5tupleIJNSH_6TensorESM_SM_EERKSM_lbbbEUlllE0_EEPmJS6_EEE10hipError_tPvRmT3_T4_T5_T6_T7_T9_mT8_P12ihipStream_tbDpT10_ENKUlT_T0_E_clISt17integral_constantIbLb1EES1B_IbLb0EEEEDaS17_S18_EUlS17_E_NS1_11comp_targetILNS1_3genE8ELNS1_11target_archE1030ELNS1_3gpuE2ELNS1_3repE0EEENS1_30default_config_static_selectorELNS0_4arch9wavefront6targetE1EEEvT1_
	.p2align	8
	.type	_ZN7rocprim17ROCPRIM_400000_NS6detail17trampoline_kernelINS0_14default_configENS1_25partition_config_selectorILNS1_17partition_subalgoE8ElNS0_10empty_typeEbEEZZNS1_14partition_implILS5_8ELb0ES3_jPlPS6_PKS6_NS0_5tupleIJS9_S6_EEENSD_IJSA_SA_EEENS0_18inequality_wrapperIZN2at6native12_GLOBAL__N_124unique_dim_cuda_templateIjEESt5tupleIJNSH_6TensorESM_SM_EERKSM_lbbbEUlllE0_EEPmJS6_EEE10hipError_tPvRmT3_T4_T5_T6_T7_T9_mT8_P12ihipStream_tbDpT10_ENKUlT_T0_E_clISt17integral_constantIbLb1EES1B_IbLb0EEEEDaS17_S18_EUlS17_E_NS1_11comp_targetILNS1_3genE8ELNS1_11target_archE1030ELNS1_3gpuE2ELNS1_3repE0EEENS1_30default_config_static_selectorELNS0_4arch9wavefront6targetE1EEEvT1_,@function
_ZN7rocprim17ROCPRIM_400000_NS6detail17trampoline_kernelINS0_14default_configENS1_25partition_config_selectorILNS1_17partition_subalgoE8ElNS0_10empty_typeEbEEZZNS1_14partition_implILS5_8ELb0ES3_jPlPS6_PKS6_NS0_5tupleIJS9_S6_EEENSD_IJSA_SA_EEENS0_18inequality_wrapperIZN2at6native12_GLOBAL__N_124unique_dim_cuda_templateIjEESt5tupleIJNSH_6TensorESM_SM_EERKSM_lbbbEUlllE0_EEPmJS6_EEE10hipError_tPvRmT3_T4_T5_T6_T7_T9_mT8_P12ihipStream_tbDpT10_ENKUlT_T0_E_clISt17integral_constantIbLb1EES1B_IbLb0EEEEDaS17_S18_EUlS17_E_NS1_11comp_targetILNS1_3genE8ELNS1_11target_archE1030ELNS1_3gpuE2ELNS1_3repE0EEENS1_30default_config_static_selectorELNS0_4arch9wavefront6targetE1EEEvT1_: ; @_ZN7rocprim17ROCPRIM_400000_NS6detail17trampoline_kernelINS0_14default_configENS1_25partition_config_selectorILNS1_17partition_subalgoE8ElNS0_10empty_typeEbEEZZNS1_14partition_implILS5_8ELb0ES3_jPlPS6_PKS6_NS0_5tupleIJS9_S6_EEENSD_IJSA_SA_EEENS0_18inequality_wrapperIZN2at6native12_GLOBAL__N_124unique_dim_cuda_templateIjEESt5tupleIJNSH_6TensorESM_SM_EERKSM_lbbbEUlllE0_EEPmJS6_EEE10hipError_tPvRmT3_T4_T5_T6_T7_T9_mT8_P12ihipStream_tbDpT10_ENKUlT_T0_E_clISt17integral_constantIbLb1EES1B_IbLb0EEEEDaS17_S18_EUlS17_E_NS1_11comp_targetILNS1_3genE8ELNS1_11target_archE1030ELNS1_3gpuE2ELNS1_3repE0EEENS1_30default_config_static_selectorELNS0_4arch9wavefront6targetE1EEEvT1_
; %bb.0:
	.section	.rodata,"a",@progbits
	.p2align	6, 0x0
	.amdhsa_kernel _ZN7rocprim17ROCPRIM_400000_NS6detail17trampoline_kernelINS0_14default_configENS1_25partition_config_selectorILNS1_17partition_subalgoE8ElNS0_10empty_typeEbEEZZNS1_14partition_implILS5_8ELb0ES3_jPlPS6_PKS6_NS0_5tupleIJS9_S6_EEENSD_IJSA_SA_EEENS0_18inequality_wrapperIZN2at6native12_GLOBAL__N_124unique_dim_cuda_templateIjEESt5tupleIJNSH_6TensorESM_SM_EERKSM_lbbbEUlllE0_EEPmJS6_EEE10hipError_tPvRmT3_T4_T5_T6_T7_T9_mT8_P12ihipStream_tbDpT10_ENKUlT_T0_E_clISt17integral_constantIbLb1EES1B_IbLb0EEEEDaS17_S18_EUlS17_E_NS1_11comp_targetILNS1_3genE8ELNS1_11target_archE1030ELNS1_3gpuE2ELNS1_3repE0EEENS1_30default_config_static_selectorELNS0_4arch9wavefront6targetE1EEEvT1_
		.amdhsa_group_segment_fixed_size 0
		.amdhsa_private_segment_fixed_size 0
		.amdhsa_kernarg_size 120
		.amdhsa_user_sgpr_count 2
		.amdhsa_user_sgpr_dispatch_ptr 0
		.amdhsa_user_sgpr_queue_ptr 0
		.amdhsa_user_sgpr_kernarg_segment_ptr 1
		.amdhsa_user_sgpr_dispatch_id 0
		.amdhsa_user_sgpr_kernarg_preload_length 0
		.amdhsa_user_sgpr_kernarg_preload_offset 0
		.amdhsa_user_sgpr_private_segment_size 0
		.amdhsa_uses_dynamic_stack 0
		.amdhsa_enable_private_segment 0
		.amdhsa_system_sgpr_workgroup_id_x 1
		.amdhsa_system_sgpr_workgroup_id_y 0
		.amdhsa_system_sgpr_workgroup_id_z 0
		.amdhsa_system_sgpr_workgroup_info 0
		.amdhsa_system_vgpr_workitem_id 0
		.amdhsa_next_free_vgpr 1
		.amdhsa_next_free_sgpr 0
		.amdhsa_accum_offset 4
		.amdhsa_reserve_vcc 0
		.amdhsa_float_round_mode_32 0
		.amdhsa_float_round_mode_16_64 0
		.amdhsa_float_denorm_mode_32 3
		.amdhsa_float_denorm_mode_16_64 3
		.amdhsa_dx10_clamp 1
		.amdhsa_ieee_mode 1
		.amdhsa_fp16_overflow 0
		.amdhsa_tg_split 0
		.amdhsa_exception_fp_ieee_invalid_op 0
		.amdhsa_exception_fp_denorm_src 0
		.amdhsa_exception_fp_ieee_div_zero 0
		.amdhsa_exception_fp_ieee_overflow 0
		.amdhsa_exception_fp_ieee_underflow 0
		.amdhsa_exception_fp_ieee_inexact 0
		.amdhsa_exception_int_div_zero 0
	.end_amdhsa_kernel
	.section	.text._ZN7rocprim17ROCPRIM_400000_NS6detail17trampoline_kernelINS0_14default_configENS1_25partition_config_selectorILNS1_17partition_subalgoE8ElNS0_10empty_typeEbEEZZNS1_14partition_implILS5_8ELb0ES3_jPlPS6_PKS6_NS0_5tupleIJS9_S6_EEENSD_IJSA_SA_EEENS0_18inequality_wrapperIZN2at6native12_GLOBAL__N_124unique_dim_cuda_templateIjEESt5tupleIJNSH_6TensorESM_SM_EERKSM_lbbbEUlllE0_EEPmJS6_EEE10hipError_tPvRmT3_T4_T5_T6_T7_T9_mT8_P12ihipStream_tbDpT10_ENKUlT_T0_E_clISt17integral_constantIbLb1EES1B_IbLb0EEEEDaS17_S18_EUlS17_E_NS1_11comp_targetILNS1_3genE8ELNS1_11target_archE1030ELNS1_3gpuE2ELNS1_3repE0EEENS1_30default_config_static_selectorELNS0_4arch9wavefront6targetE1EEEvT1_,"axG",@progbits,_ZN7rocprim17ROCPRIM_400000_NS6detail17trampoline_kernelINS0_14default_configENS1_25partition_config_selectorILNS1_17partition_subalgoE8ElNS0_10empty_typeEbEEZZNS1_14partition_implILS5_8ELb0ES3_jPlPS6_PKS6_NS0_5tupleIJS9_S6_EEENSD_IJSA_SA_EEENS0_18inequality_wrapperIZN2at6native12_GLOBAL__N_124unique_dim_cuda_templateIjEESt5tupleIJNSH_6TensorESM_SM_EERKSM_lbbbEUlllE0_EEPmJS6_EEE10hipError_tPvRmT3_T4_T5_T6_T7_T9_mT8_P12ihipStream_tbDpT10_ENKUlT_T0_E_clISt17integral_constantIbLb1EES1B_IbLb0EEEEDaS17_S18_EUlS17_E_NS1_11comp_targetILNS1_3genE8ELNS1_11target_archE1030ELNS1_3gpuE2ELNS1_3repE0EEENS1_30default_config_static_selectorELNS0_4arch9wavefront6targetE1EEEvT1_,comdat
.Lfunc_end1564:
	.size	_ZN7rocprim17ROCPRIM_400000_NS6detail17trampoline_kernelINS0_14default_configENS1_25partition_config_selectorILNS1_17partition_subalgoE8ElNS0_10empty_typeEbEEZZNS1_14partition_implILS5_8ELb0ES3_jPlPS6_PKS6_NS0_5tupleIJS9_S6_EEENSD_IJSA_SA_EEENS0_18inequality_wrapperIZN2at6native12_GLOBAL__N_124unique_dim_cuda_templateIjEESt5tupleIJNSH_6TensorESM_SM_EERKSM_lbbbEUlllE0_EEPmJS6_EEE10hipError_tPvRmT3_T4_T5_T6_T7_T9_mT8_P12ihipStream_tbDpT10_ENKUlT_T0_E_clISt17integral_constantIbLb1EES1B_IbLb0EEEEDaS17_S18_EUlS17_E_NS1_11comp_targetILNS1_3genE8ELNS1_11target_archE1030ELNS1_3gpuE2ELNS1_3repE0EEENS1_30default_config_static_selectorELNS0_4arch9wavefront6targetE1EEEvT1_, .Lfunc_end1564-_ZN7rocprim17ROCPRIM_400000_NS6detail17trampoline_kernelINS0_14default_configENS1_25partition_config_selectorILNS1_17partition_subalgoE8ElNS0_10empty_typeEbEEZZNS1_14partition_implILS5_8ELb0ES3_jPlPS6_PKS6_NS0_5tupleIJS9_S6_EEENSD_IJSA_SA_EEENS0_18inequality_wrapperIZN2at6native12_GLOBAL__N_124unique_dim_cuda_templateIjEESt5tupleIJNSH_6TensorESM_SM_EERKSM_lbbbEUlllE0_EEPmJS6_EEE10hipError_tPvRmT3_T4_T5_T6_T7_T9_mT8_P12ihipStream_tbDpT10_ENKUlT_T0_E_clISt17integral_constantIbLb1EES1B_IbLb0EEEEDaS17_S18_EUlS17_E_NS1_11comp_targetILNS1_3genE8ELNS1_11target_archE1030ELNS1_3gpuE2ELNS1_3repE0EEENS1_30default_config_static_selectorELNS0_4arch9wavefront6targetE1EEEvT1_
                                        ; -- End function
	.set _ZN7rocprim17ROCPRIM_400000_NS6detail17trampoline_kernelINS0_14default_configENS1_25partition_config_selectorILNS1_17partition_subalgoE8ElNS0_10empty_typeEbEEZZNS1_14partition_implILS5_8ELb0ES3_jPlPS6_PKS6_NS0_5tupleIJS9_S6_EEENSD_IJSA_SA_EEENS0_18inequality_wrapperIZN2at6native12_GLOBAL__N_124unique_dim_cuda_templateIjEESt5tupleIJNSH_6TensorESM_SM_EERKSM_lbbbEUlllE0_EEPmJS6_EEE10hipError_tPvRmT3_T4_T5_T6_T7_T9_mT8_P12ihipStream_tbDpT10_ENKUlT_T0_E_clISt17integral_constantIbLb1EES1B_IbLb0EEEEDaS17_S18_EUlS17_E_NS1_11comp_targetILNS1_3genE8ELNS1_11target_archE1030ELNS1_3gpuE2ELNS1_3repE0EEENS1_30default_config_static_selectorELNS0_4arch9wavefront6targetE1EEEvT1_.num_vgpr, 0
	.set _ZN7rocprim17ROCPRIM_400000_NS6detail17trampoline_kernelINS0_14default_configENS1_25partition_config_selectorILNS1_17partition_subalgoE8ElNS0_10empty_typeEbEEZZNS1_14partition_implILS5_8ELb0ES3_jPlPS6_PKS6_NS0_5tupleIJS9_S6_EEENSD_IJSA_SA_EEENS0_18inequality_wrapperIZN2at6native12_GLOBAL__N_124unique_dim_cuda_templateIjEESt5tupleIJNSH_6TensorESM_SM_EERKSM_lbbbEUlllE0_EEPmJS6_EEE10hipError_tPvRmT3_T4_T5_T6_T7_T9_mT8_P12ihipStream_tbDpT10_ENKUlT_T0_E_clISt17integral_constantIbLb1EES1B_IbLb0EEEEDaS17_S18_EUlS17_E_NS1_11comp_targetILNS1_3genE8ELNS1_11target_archE1030ELNS1_3gpuE2ELNS1_3repE0EEENS1_30default_config_static_selectorELNS0_4arch9wavefront6targetE1EEEvT1_.num_agpr, 0
	.set _ZN7rocprim17ROCPRIM_400000_NS6detail17trampoline_kernelINS0_14default_configENS1_25partition_config_selectorILNS1_17partition_subalgoE8ElNS0_10empty_typeEbEEZZNS1_14partition_implILS5_8ELb0ES3_jPlPS6_PKS6_NS0_5tupleIJS9_S6_EEENSD_IJSA_SA_EEENS0_18inequality_wrapperIZN2at6native12_GLOBAL__N_124unique_dim_cuda_templateIjEESt5tupleIJNSH_6TensorESM_SM_EERKSM_lbbbEUlllE0_EEPmJS6_EEE10hipError_tPvRmT3_T4_T5_T6_T7_T9_mT8_P12ihipStream_tbDpT10_ENKUlT_T0_E_clISt17integral_constantIbLb1EES1B_IbLb0EEEEDaS17_S18_EUlS17_E_NS1_11comp_targetILNS1_3genE8ELNS1_11target_archE1030ELNS1_3gpuE2ELNS1_3repE0EEENS1_30default_config_static_selectorELNS0_4arch9wavefront6targetE1EEEvT1_.numbered_sgpr, 0
	.set _ZN7rocprim17ROCPRIM_400000_NS6detail17trampoline_kernelINS0_14default_configENS1_25partition_config_selectorILNS1_17partition_subalgoE8ElNS0_10empty_typeEbEEZZNS1_14partition_implILS5_8ELb0ES3_jPlPS6_PKS6_NS0_5tupleIJS9_S6_EEENSD_IJSA_SA_EEENS0_18inequality_wrapperIZN2at6native12_GLOBAL__N_124unique_dim_cuda_templateIjEESt5tupleIJNSH_6TensorESM_SM_EERKSM_lbbbEUlllE0_EEPmJS6_EEE10hipError_tPvRmT3_T4_T5_T6_T7_T9_mT8_P12ihipStream_tbDpT10_ENKUlT_T0_E_clISt17integral_constantIbLb1EES1B_IbLb0EEEEDaS17_S18_EUlS17_E_NS1_11comp_targetILNS1_3genE8ELNS1_11target_archE1030ELNS1_3gpuE2ELNS1_3repE0EEENS1_30default_config_static_selectorELNS0_4arch9wavefront6targetE1EEEvT1_.num_named_barrier, 0
	.set _ZN7rocprim17ROCPRIM_400000_NS6detail17trampoline_kernelINS0_14default_configENS1_25partition_config_selectorILNS1_17partition_subalgoE8ElNS0_10empty_typeEbEEZZNS1_14partition_implILS5_8ELb0ES3_jPlPS6_PKS6_NS0_5tupleIJS9_S6_EEENSD_IJSA_SA_EEENS0_18inequality_wrapperIZN2at6native12_GLOBAL__N_124unique_dim_cuda_templateIjEESt5tupleIJNSH_6TensorESM_SM_EERKSM_lbbbEUlllE0_EEPmJS6_EEE10hipError_tPvRmT3_T4_T5_T6_T7_T9_mT8_P12ihipStream_tbDpT10_ENKUlT_T0_E_clISt17integral_constantIbLb1EES1B_IbLb0EEEEDaS17_S18_EUlS17_E_NS1_11comp_targetILNS1_3genE8ELNS1_11target_archE1030ELNS1_3gpuE2ELNS1_3repE0EEENS1_30default_config_static_selectorELNS0_4arch9wavefront6targetE1EEEvT1_.private_seg_size, 0
	.set _ZN7rocprim17ROCPRIM_400000_NS6detail17trampoline_kernelINS0_14default_configENS1_25partition_config_selectorILNS1_17partition_subalgoE8ElNS0_10empty_typeEbEEZZNS1_14partition_implILS5_8ELb0ES3_jPlPS6_PKS6_NS0_5tupleIJS9_S6_EEENSD_IJSA_SA_EEENS0_18inequality_wrapperIZN2at6native12_GLOBAL__N_124unique_dim_cuda_templateIjEESt5tupleIJNSH_6TensorESM_SM_EERKSM_lbbbEUlllE0_EEPmJS6_EEE10hipError_tPvRmT3_T4_T5_T6_T7_T9_mT8_P12ihipStream_tbDpT10_ENKUlT_T0_E_clISt17integral_constantIbLb1EES1B_IbLb0EEEEDaS17_S18_EUlS17_E_NS1_11comp_targetILNS1_3genE8ELNS1_11target_archE1030ELNS1_3gpuE2ELNS1_3repE0EEENS1_30default_config_static_selectorELNS0_4arch9wavefront6targetE1EEEvT1_.uses_vcc, 0
	.set _ZN7rocprim17ROCPRIM_400000_NS6detail17trampoline_kernelINS0_14default_configENS1_25partition_config_selectorILNS1_17partition_subalgoE8ElNS0_10empty_typeEbEEZZNS1_14partition_implILS5_8ELb0ES3_jPlPS6_PKS6_NS0_5tupleIJS9_S6_EEENSD_IJSA_SA_EEENS0_18inequality_wrapperIZN2at6native12_GLOBAL__N_124unique_dim_cuda_templateIjEESt5tupleIJNSH_6TensorESM_SM_EERKSM_lbbbEUlllE0_EEPmJS6_EEE10hipError_tPvRmT3_T4_T5_T6_T7_T9_mT8_P12ihipStream_tbDpT10_ENKUlT_T0_E_clISt17integral_constantIbLb1EES1B_IbLb0EEEEDaS17_S18_EUlS17_E_NS1_11comp_targetILNS1_3genE8ELNS1_11target_archE1030ELNS1_3gpuE2ELNS1_3repE0EEENS1_30default_config_static_selectorELNS0_4arch9wavefront6targetE1EEEvT1_.uses_flat_scratch, 0
	.set _ZN7rocprim17ROCPRIM_400000_NS6detail17trampoline_kernelINS0_14default_configENS1_25partition_config_selectorILNS1_17partition_subalgoE8ElNS0_10empty_typeEbEEZZNS1_14partition_implILS5_8ELb0ES3_jPlPS6_PKS6_NS0_5tupleIJS9_S6_EEENSD_IJSA_SA_EEENS0_18inequality_wrapperIZN2at6native12_GLOBAL__N_124unique_dim_cuda_templateIjEESt5tupleIJNSH_6TensorESM_SM_EERKSM_lbbbEUlllE0_EEPmJS6_EEE10hipError_tPvRmT3_T4_T5_T6_T7_T9_mT8_P12ihipStream_tbDpT10_ENKUlT_T0_E_clISt17integral_constantIbLb1EES1B_IbLb0EEEEDaS17_S18_EUlS17_E_NS1_11comp_targetILNS1_3genE8ELNS1_11target_archE1030ELNS1_3gpuE2ELNS1_3repE0EEENS1_30default_config_static_selectorELNS0_4arch9wavefront6targetE1EEEvT1_.has_dyn_sized_stack, 0
	.set _ZN7rocprim17ROCPRIM_400000_NS6detail17trampoline_kernelINS0_14default_configENS1_25partition_config_selectorILNS1_17partition_subalgoE8ElNS0_10empty_typeEbEEZZNS1_14partition_implILS5_8ELb0ES3_jPlPS6_PKS6_NS0_5tupleIJS9_S6_EEENSD_IJSA_SA_EEENS0_18inequality_wrapperIZN2at6native12_GLOBAL__N_124unique_dim_cuda_templateIjEESt5tupleIJNSH_6TensorESM_SM_EERKSM_lbbbEUlllE0_EEPmJS6_EEE10hipError_tPvRmT3_T4_T5_T6_T7_T9_mT8_P12ihipStream_tbDpT10_ENKUlT_T0_E_clISt17integral_constantIbLb1EES1B_IbLb0EEEEDaS17_S18_EUlS17_E_NS1_11comp_targetILNS1_3genE8ELNS1_11target_archE1030ELNS1_3gpuE2ELNS1_3repE0EEENS1_30default_config_static_selectorELNS0_4arch9wavefront6targetE1EEEvT1_.has_recursion, 0
	.set _ZN7rocprim17ROCPRIM_400000_NS6detail17trampoline_kernelINS0_14default_configENS1_25partition_config_selectorILNS1_17partition_subalgoE8ElNS0_10empty_typeEbEEZZNS1_14partition_implILS5_8ELb0ES3_jPlPS6_PKS6_NS0_5tupleIJS9_S6_EEENSD_IJSA_SA_EEENS0_18inequality_wrapperIZN2at6native12_GLOBAL__N_124unique_dim_cuda_templateIjEESt5tupleIJNSH_6TensorESM_SM_EERKSM_lbbbEUlllE0_EEPmJS6_EEE10hipError_tPvRmT3_T4_T5_T6_T7_T9_mT8_P12ihipStream_tbDpT10_ENKUlT_T0_E_clISt17integral_constantIbLb1EES1B_IbLb0EEEEDaS17_S18_EUlS17_E_NS1_11comp_targetILNS1_3genE8ELNS1_11target_archE1030ELNS1_3gpuE2ELNS1_3repE0EEENS1_30default_config_static_selectorELNS0_4arch9wavefront6targetE1EEEvT1_.has_indirect_call, 0
	.section	.AMDGPU.csdata,"",@progbits
; Kernel info:
; codeLenInByte = 0
; TotalNumSgprs: 6
; NumVgprs: 0
; NumAgprs: 0
; TotalNumVgprs: 0
; ScratchSize: 0
; MemoryBound: 0
; FloatMode: 240
; IeeeMode: 1
; LDSByteSize: 0 bytes/workgroup (compile time only)
; SGPRBlocks: 0
; VGPRBlocks: 0
; NumSGPRsForWavesPerEU: 6
; NumVGPRsForWavesPerEU: 1
; AccumOffset: 4
; Occupancy: 8
; WaveLimiterHint : 0
; COMPUTE_PGM_RSRC2:SCRATCH_EN: 0
; COMPUTE_PGM_RSRC2:USER_SGPR: 2
; COMPUTE_PGM_RSRC2:TRAP_HANDLER: 0
; COMPUTE_PGM_RSRC2:TGID_X_EN: 1
; COMPUTE_PGM_RSRC2:TGID_Y_EN: 0
; COMPUTE_PGM_RSRC2:TGID_Z_EN: 0
; COMPUTE_PGM_RSRC2:TIDIG_COMP_CNT: 0
; COMPUTE_PGM_RSRC3_GFX90A:ACCUM_OFFSET: 0
; COMPUTE_PGM_RSRC3_GFX90A:TG_SPLIT: 0
	.section	.text._ZN7rocprim17ROCPRIM_400000_NS6detail17trampoline_kernelINS0_14default_configENS1_25partition_config_selectorILNS1_17partition_subalgoE8ElNS0_10empty_typeEbEEZZNS1_14partition_implILS5_8ELb0ES3_jPlPS6_PKS6_NS0_5tupleIJS9_S6_EEENSD_IJSA_SA_EEENS0_18inequality_wrapperIZN2at6native12_GLOBAL__N_124unique_dim_cuda_templateIjEESt5tupleIJNSH_6TensorESM_SM_EERKSM_lbbbEUlllE0_EEPmJS6_EEE10hipError_tPvRmT3_T4_T5_T6_T7_T9_mT8_P12ihipStream_tbDpT10_ENKUlT_T0_E_clISt17integral_constantIbLb0EES1B_IbLb1EEEEDaS17_S18_EUlS17_E_NS1_11comp_targetILNS1_3genE0ELNS1_11target_archE4294967295ELNS1_3gpuE0ELNS1_3repE0EEENS1_30default_config_static_selectorELNS0_4arch9wavefront6targetE1EEEvT1_,"axG",@progbits,_ZN7rocprim17ROCPRIM_400000_NS6detail17trampoline_kernelINS0_14default_configENS1_25partition_config_selectorILNS1_17partition_subalgoE8ElNS0_10empty_typeEbEEZZNS1_14partition_implILS5_8ELb0ES3_jPlPS6_PKS6_NS0_5tupleIJS9_S6_EEENSD_IJSA_SA_EEENS0_18inequality_wrapperIZN2at6native12_GLOBAL__N_124unique_dim_cuda_templateIjEESt5tupleIJNSH_6TensorESM_SM_EERKSM_lbbbEUlllE0_EEPmJS6_EEE10hipError_tPvRmT3_T4_T5_T6_T7_T9_mT8_P12ihipStream_tbDpT10_ENKUlT_T0_E_clISt17integral_constantIbLb0EES1B_IbLb1EEEEDaS17_S18_EUlS17_E_NS1_11comp_targetILNS1_3genE0ELNS1_11target_archE4294967295ELNS1_3gpuE0ELNS1_3repE0EEENS1_30default_config_static_selectorELNS0_4arch9wavefront6targetE1EEEvT1_,comdat
	.globl	_ZN7rocprim17ROCPRIM_400000_NS6detail17trampoline_kernelINS0_14default_configENS1_25partition_config_selectorILNS1_17partition_subalgoE8ElNS0_10empty_typeEbEEZZNS1_14partition_implILS5_8ELb0ES3_jPlPS6_PKS6_NS0_5tupleIJS9_S6_EEENSD_IJSA_SA_EEENS0_18inequality_wrapperIZN2at6native12_GLOBAL__N_124unique_dim_cuda_templateIjEESt5tupleIJNSH_6TensorESM_SM_EERKSM_lbbbEUlllE0_EEPmJS6_EEE10hipError_tPvRmT3_T4_T5_T6_T7_T9_mT8_P12ihipStream_tbDpT10_ENKUlT_T0_E_clISt17integral_constantIbLb0EES1B_IbLb1EEEEDaS17_S18_EUlS17_E_NS1_11comp_targetILNS1_3genE0ELNS1_11target_archE4294967295ELNS1_3gpuE0ELNS1_3repE0EEENS1_30default_config_static_selectorELNS0_4arch9wavefront6targetE1EEEvT1_ ; -- Begin function _ZN7rocprim17ROCPRIM_400000_NS6detail17trampoline_kernelINS0_14default_configENS1_25partition_config_selectorILNS1_17partition_subalgoE8ElNS0_10empty_typeEbEEZZNS1_14partition_implILS5_8ELb0ES3_jPlPS6_PKS6_NS0_5tupleIJS9_S6_EEENSD_IJSA_SA_EEENS0_18inequality_wrapperIZN2at6native12_GLOBAL__N_124unique_dim_cuda_templateIjEESt5tupleIJNSH_6TensorESM_SM_EERKSM_lbbbEUlllE0_EEPmJS6_EEE10hipError_tPvRmT3_T4_T5_T6_T7_T9_mT8_P12ihipStream_tbDpT10_ENKUlT_T0_E_clISt17integral_constantIbLb0EES1B_IbLb1EEEEDaS17_S18_EUlS17_E_NS1_11comp_targetILNS1_3genE0ELNS1_11target_archE4294967295ELNS1_3gpuE0ELNS1_3repE0EEENS1_30default_config_static_selectorELNS0_4arch9wavefront6targetE1EEEvT1_
	.p2align	8
	.type	_ZN7rocprim17ROCPRIM_400000_NS6detail17trampoline_kernelINS0_14default_configENS1_25partition_config_selectorILNS1_17partition_subalgoE8ElNS0_10empty_typeEbEEZZNS1_14partition_implILS5_8ELb0ES3_jPlPS6_PKS6_NS0_5tupleIJS9_S6_EEENSD_IJSA_SA_EEENS0_18inequality_wrapperIZN2at6native12_GLOBAL__N_124unique_dim_cuda_templateIjEESt5tupleIJNSH_6TensorESM_SM_EERKSM_lbbbEUlllE0_EEPmJS6_EEE10hipError_tPvRmT3_T4_T5_T6_T7_T9_mT8_P12ihipStream_tbDpT10_ENKUlT_T0_E_clISt17integral_constantIbLb0EES1B_IbLb1EEEEDaS17_S18_EUlS17_E_NS1_11comp_targetILNS1_3genE0ELNS1_11target_archE4294967295ELNS1_3gpuE0ELNS1_3repE0EEENS1_30default_config_static_selectorELNS0_4arch9wavefront6targetE1EEEvT1_,@function
_ZN7rocprim17ROCPRIM_400000_NS6detail17trampoline_kernelINS0_14default_configENS1_25partition_config_selectorILNS1_17partition_subalgoE8ElNS0_10empty_typeEbEEZZNS1_14partition_implILS5_8ELb0ES3_jPlPS6_PKS6_NS0_5tupleIJS9_S6_EEENSD_IJSA_SA_EEENS0_18inequality_wrapperIZN2at6native12_GLOBAL__N_124unique_dim_cuda_templateIjEESt5tupleIJNSH_6TensorESM_SM_EERKSM_lbbbEUlllE0_EEPmJS6_EEE10hipError_tPvRmT3_T4_T5_T6_T7_T9_mT8_P12ihipStream_tbDpT10_ENKUlT_T0_E_clISt17integral_constantIbLb0EES1B_IbLb1EEEEDaS17_S18_EUlS17_E_NS1_11comp_targetILNS1_3genE0ELNS1_11target_archE4294967295ELNS1_3gpuE0ELNS1_3repE0EEENS1_30default_config_static_selectorELNS0_4arch9wavefront6targetE1EEEvT1_: ; @_ZN7rocprim17ROCPRIM_400000_NS6detail17trampoline_kernelINS0_14default_configENS1_25partition_config_selectorILNS1_17partition_subalgoE8ElNS0_10empty_typeEbEEZZNS1_14partition_implILS5_8ELb0ES3_jPlPS6_PKS6_NS0_5tupleIJS9_S6_EEENSD_IJSA_SA_EEENS0_18inequality_wrapperIZN2at6native12_GLOBAL__N_124unique_dim_cuda_templateIjEESt5tupleIJNSH_6TensorESM_SM_EERKSM_lbbbEUlllE0_EEPmJS6_EEE10hipError_tPvRmT3_T4_T5_T6_T7_T9_mT8_P12ihipStream_tbDpT10_ENKUlT_T0_E_clISt17integral_constantIbLb0EES1B_IbLb1EEEEDaS17_S18_EUlS17_E_NS1_11comp_targetILNS1_3genE0ELNS1_11target_archE4294967295ELNS1_3gpuE0ELNS1_3repE0EEENS1_30default_config_static_selectorELNS0_4arch9wavefront6targetE1EEEvT1_
; %bb.0:
	s_load_dwordx2 s[34:35], s[0:1], 0x28
	s_load_dwordx8 s[20:27], s[0:1], 0x40
	s_load_dwordx4 s[28:31], s[0:1], 0x60
	v_cmp_ne_u32_e64 s[2:3], 0, v0
	v_cmp_eq_u32_e64 s[18:19], 0, v0
	s_and_saveexec_b64 s[4:5], s[18:19]
	s_cbranch_execz .LBB1565_4
; %bb.1:
	s_mov_b64 s[8:9], exec
	v_mbcnt_lo_u32_b32 v1, s8, 0
	v_mbcnt_hi_u32_b32 v1, s9, v1
	v_cmp_eq_u32_e32 vcc, 0, v1
                                        ; implicit-def: $vgpr2
	s_and_saveexec_b64 s[6:7], vcc
	s_cbranch_execz .LBB1565_3
; %bb.2:
	s_load_dwordx2 s[10:11], s[0:1], 0x78
	s_bcnt1_i32_b64 s8, s[8:9]
	v_mov_b32_e32 v2, 0
	v_mov_b32_e32 v3, s8
	s_waitcnt lgkmcnt(0)
	global_atomic_add v2, v2, v3, s[10:11] sc0
.LBB1565_3:
	s_or_b64 exec, exec, s[6:7]
	s_waitcnt vmcnt(0)
	v_readfirstlane_b32 s6, v2
	v_mov_b32_e32 v2, 0
	s_nop 0
	v_add_u32_e32 v1, s6, v1
	ds_write_b32 v2, v1
.LBB1565_4:
	s_or_b64 exec, exec, s[4:5]
	v_mov_b32_e32 v3, 0
	s_load_dwordx4 s[4:7], s[0:1], 0x8
	s_load_dword s8, s[0:1], 0x70
	s_waitcnt lgkmcnt(0)
	s_barrier
	ds_read_b32 v1, v3
	s_waitcnt lgkmcnt(0)
	s_barrier
	global_load_dwordx2 v[4:5], v3, s[22:23]
	s_lshl_b64 s[10:11], s[6:7], 3
	s_mul_i32 s9, s8, 0xe00
	s_add_u32 s4, s4, s10
	s_addc_u32 s5, s5, s11
	s_add_i32 s10, s8, -1
	s_add_i32 s8, s9, s6
	s_sub_i32 s50, s24, s8
	s_add_u32 s8, s6, s9
	s_addc_u32 s9, s7, 0
	v_readfirstlane_b32 s33, v1
	v_mov_b64_e32 v[6:7], s[8:9]
	s_cmp_eq_u32 s33, s10
	s_movk_i32 s12, 0xe00
	v_cmp_le_u64_e32 vcc, s[24:25], v[6:7]
	s_cselect_b64 s[24:25], -1, 0
	v_mul_lo_u32 v2, v1, s12
	s_and_b64 s[8:9], vcc, s[24:25]
	v_lshlrev_b64 v[6:7], 3, v[2:3]
	s_xor_b64 s[36:37], s[8:9], -1
	s_mov_b64 s[0:1], -1
	v_lshlrev_b32_e32 v18, 3, v0
	v_lshl_add_u64 v[20:21], s[4:5], 0, v[6:7]
	s_and_b64 vcc, exec, s[36:37]
	s_waitcnt vmcnt(0)
	v_readfirstlane_b32 s22, v4
	v_readfirstlane_b32 s23, v5
	s_cbranch_vccz .LBB1565_6
; %bb.5:
	v_lshlrev_b32_e32 v2, 3, v0
	v_lshl_add_u64 v[4:5], v[20:21], 0, v[2:3]
	v_add_co_u32_e32 v8, vcc, 0x1000, v4
	v_readfirstlane_b32 s0, v20
	s_nop 0
	v_addc_co_u32_e32 v9, vcc, 0, v5, vcc
	v_add_co_u32_e32 v10, vcc, 0x2000, v4
	v_readfirstlane_b32 s1, v21
	s_nop 0
	v_addc_co_u32_e32 v11, vcc, 0, v5, vcc
	v_add_co_u32_e32 v12, vcc, 0x3000, v4
	s_nop 1
	v_addc_co_u32_e32 v13, vcc, 0, v5, vcc
	v_add_co_u32_e32 v14, vcc, 0x4000, v4
	global_load_dwordx2 v[6:7], v2, s[0:1]
	s_nop 0
	v_addc_co_u32_e32 v15, vcc, 0, v5, vcc
	global_load_dwordx2 v[16:17], v[8:9], off
	global_load_dwordx2 v[22:23], v[10:11], off
	;; [unrolled: 1-line block ×4, first 2 shown]
	v_add_co_u32_e32 v8, vcc, 0x5000, v4
	s_mov_b64 s[0:1], 0
	s_nop 0
	v_addc_co_u32_e32 v9, vcc, 0, v5, vcc
	v_add_co_u32_e32 v4, vcc, 0x6000, v4
	s_nop 1
	v_addc_co_u32_e32 v5, vcc, 0, v5, vcc
	global_load_dwordx2 v[10:11], v[8:9], off
	global_load_dwordx2 v[12:13], v[4:5], off
	s_waitcnt vmcnt(5)
	ds_write2st64_b64 v2, v[6:7], v[16:17] offset1:8
	s_waitcnt vmcnt(3)
	ds_write2st64_b64 v2, v[22:23], v[24:25] offset0:16 offset1:24
	s_waitcnt vmcnt(1)
	ds_write2st64_b64 v2, v[26:27], v[10:11] offset0:32 offset1:40
	s_waitcnt vmcnt(0)
	ds_write_b64 v2, v[12:13] offset:24576
	s_waitcnt lgkmcnt(0)
	s_barrier
.LBB1565_6:
	s_andn2_b64 vcc, exec, s[0:1]
	s_addk_i32 s50, 0xe00
	s_cbranch_vccnz .LBB1565_22
; %bb.7:
	v_mov_b32_e32 v2, 0
	v_cmp_gt_u32_e32 vcc, s50, v0
	v_mov_b32_e32 v3, v2
	v_mov_b32_e32 v4, v2
	;; [unrolled: 1-line block ×13, first 2 shown]
	s_and_saveexec_b64 s[0:1], vcc
	s_cbranch_execz .LBB1565_9
; %bb.8:
	v_lshlrev_b32_e32 v1, 3, v0
	v_readfirstlane_b32 s4, v20
	v_readfirstlane_b32 s5, v21
	v_mov_b32_e32 v6, v2
	v_mov_b32_e32 v7, v2
	;; [unrolled: 1-line block ×5, first 2 shown]
	global_load_dwordx2 v[4:5], v1, s[4:5]
	v_mov_b32_e32 v11, v2
	v_mov_b32_e32 v12, v2
	;; [unrolled: 1-line block ×7, first 2 shown]
	s_waitcnt vmcnt(0)
	v_mov_b64_e32 v[2:3], v[4:5]
	v_mov_b64_e32 v[4:5], v[6:7]
	;; [unrolled: 1-line block ×8, first 2 shown]
.LBB1565_9:
	s_or_b64 exec, exec, s[0:1]
	v_or_b32_e32 v1, 0x200, v0
	v_cmp_gt_u32_e32 vcc, s50, v1
	s_and_saveexec_b64 s[0:1], vcc
	s_cbranch_execz .LBB1565_11
; %bb.10:
	v_lshlrev_b32_e32 v1, 3, v1
	v_readfirstlane_b32 s4, v20
	v_readfirstlane_b32 s5, v21
	s_nop 4
	global_load_dwordx2 v[4:5], v1, s[4:5]
.LBB1565_11:
	s_or_b64 exec, exec, s[0:1]
	v_or_b32_e32 v1, 0x400, v0
	v_cmp_gt_u32_e32 vcc, s50, v1
	s_and_saveexec_b64 s[0:1], vcc
	s_cbranch_execz .LBB1565_13
; %bb.12:
	v_lshlrev_b32_e32 v1, 3, v1
	v_readfirstlane_b32 s4, v20
	v_readfirstlane_b32 s5, v21
	s_nop 4
	global_load_dwordx2 v[6:7], v1, s[4:5]
.LBB1565_13:
	;; [unrolled: 12-line block ×6, first 2 shown]
	s_or_b64 exec, exec, s[0:1]
	v_lshlrev_b32_e32 v1, 3, v0
	s_waitcnt vmcnt(0)
	ds_write2st64_b64 v1, v[2:3], v[4:5] offset1:8
	ds_write2st64_b64 v1, v[6:7], v[8:9] offset0:16 offset1:24
	ds_write2st64_b64 v1, v[10:11], v[12:13] offset0:32 offset1:40
	ds_write_b64 v1, v[14:15] offset:24576
	s_waitcnt lgkmcnt(0)
	s_barrier
.LBB1565_22:
	v_mul_u32_u24_e32 v1, 7, v0
	v_lshlrev_b32_e32 v26, 3, v1
	ds_read2_b64 v[10:13], v26 offset1:1
	ds_read2_b64 v[6:9], v26 offset0:2 offset1:3
	ds_read2_b64 v[2:5], v26 offset0:4 offset1:5
	ds_read_b64 v[14:15], v26 offset:48
	s_cmp_lg_u32 s33, 0
	s_cselect_b64 s[16:17], -1, 0
	s_cmp_lg_u64 s[6:7], 0
	s_cselect_b64 s[0:1], -1, 0
	s_or_b64 s[0:1], s[0:1], s[16:17]
	s_mov_b64 s[10:11], 0
	s_and_b64 vcc, exec, s[0:1]
	v_cmp_gt_i64_e64 s[4:5], s[26:27], 0
	s_waitcnt lgkmcnt(0)
	s_barrier
	s_cbranch_vccz .LBB1565_38
; %bb.23:
	global_load_dwordx2 v[20:21], v[20:21], off offset:-8
	v_cndmask_b32_e64 v16, 0, 1, s[4:5]
	v_lshlrev_b32_e32 v27, 3, v0
	s_mov_b64 s[0:1], 0
	s_and_b64 vcc, exec, s[36:37]
	v_cmp_ne_u32_e64 s[4:5], 1, v16
	ds_write_b64 v27, v[14:15]
	s_cbranch_vccz .LBB1565_40
; %bb.24:
	s_and_b64 vcc, exec, s[4:5]
	s_cbranch_vccnz .LBB1565_41
; %bb.25:
	v_mul_lo_u32 v19, v5, s26
	v_mul_lo_u32 v22, v4, s27
	v_mad_u64_u32 v[16:17], s[0:1], v4, s26, 0
	v_add3_u32 v17, v17, v22, v19
	v_mul_lo_u32 v19, v15, s26
	v_mul_lo_u32 v24, v14, s27
	v_mad_u64_u32 v[22:23], s[0:1], v14, s26, 0
	s_add_u32 s10, s26, -1
	v_lshl_add_u64 v[16:17], v[16:17], 2, s[28:29]
	v_add3_u32 v23, v23, v24, v19
	s_addc_u32 s11, s27, -1
	v_lshl_add_u64 v[22:23], v[22:23], 2, s[28:29]
	s_mov_b64 s[12:13], 0
	s_mov_b64 s[14:15], s[10:11]
	v_mov_b64_e32 v[24:25], v[16:17]
                                        ; implicit-def: $sgpr6_sgpr7
.LBB1565_26:                            ; =>This Inner Loop Header: Depth=1
	global_load_dword v19, v[24:25], off
	global_load_dword v28, v[22:23], off
	s_add_u32 s0, s14, -1
	s_addc_u32 s1, s15, -1
	s_cmp_eq_u64 s[14:15], 0
	s_mov_b64 s[14:15], s[0:1]
	s_cselect_b64 s[38:39], -1, 0
	v_lshl_add_u64 v[24:25], v[24:25], 0, 4
	v_lshl_add_u64 v[22:23], v[22:23], 0, 4
	s_waitcnt vmcnt(0)
	v_cmp_ne_u32_e64 s[0:1], v19, v28
	s_or_b64 s[0:1], s[0:1], s[38:39]
	s_and_b64 s[0:1], exec, s[0:1]
	v_cmp_eq_u32_e32 vcc, v19, v28
	s_or_b64 s[12:13], s[0:1], s[12:13]
	s_andn2_b64 s[0:1], s[6:7], exec
	s_and_b64 s[6:7], vcc, exec
	s_or_b64 s[6:7], s[0:1], s[6:7]
	s_andn2_b64 exec, exec, s[12:13]
	s_cbranch_execnz .LBB1565_26
; %bb.27:
	s_or_b64 exec, exec, s[12:13]
	v_mul_lo_u32 v19, v3, s26
	v_mul_lo_u32 v24, v2, s27
	v_mad_u64_u32 v[22:23], s[0:1], v2, s26, 0
	v_add3_u32 v23, v23, v24, v19
	v_lshl_add_u64 v[22:23], v[22:23], 2, s[28:29]
	s_mov_b64 s[14:15], 0
	s_mov_b64 s[38:39], s[10:11]
	v_mov_b64_e32 v[24:25], v[22:23]
                                        ; implicit-def: $sgpr12_sgpr13
.LBB1565_28:                            ; =>This Inner Loop Header: Depth=1
	global_load_dword v19, v[24:25], off
	global_load_dword v28, v[16:17], off
	s_add_u32 s0, s38, -1
	s_addc_u32 s1, s39, -1
	s_cmp_eq_u64 s[38:39], 0
	s_mov_b64 s[38:39], s[0:1]
	s_cselect_b64 s[40:41], -1, 0
	v_lshl_add_u64 v[24:25], v[24:25], 0, 4
	v_lshl_add_u64 v[16:17], v[16:17], 0, 4
	s_waitcnt vmcnt(0)
	v_cmp_ne_u32_e64 s[0:1], v19, v28
	s_or_b64 s[0:1], s[0:1], s[40:41]
	s_and_b64 s[0:1], exec, s[0:1]
	v_cmp_eq_u32_e32 vcc, v19, v28
	s_or_b64 s[14:15], s[0:1], s[14:15]
	s_andn2_b64 s[0:1], s[12:13], exec
	s_and_b64 s[12:13], vcc, exec
	s_or_b64 s[12:13], s[0:1], s[12:13]
	s_andn2_b64 exec, exec, s[14:15]
	s_cbranch_execnz .LBB1565_28
; %bb.29:
	s_or_b64 exec, exec, s[14:15]
	v_mul_lo_u32 v19, v9, s26
	v_mul_lo_u32 v24, v8, s27
	v_mad_u64_u32 v[16:17], s[0:1], v8, s26, 0
	v_add3_u32 v17, v17, v24, v19
	v_lshl_add_u64 v[16:17], v[16:17], 2, s[28:29]
	s_mov_b64 s[38:39], 0
	s_mov_b64 s[40:41], s[10:11]
	v_mov_b64_e32 v[24:25], v[16:17]
                                        ; implicit-def: $sgpr14_sgpr15
.LBB1565_30:                            ; =>This Inner Loop Header: Depth=1
	global_load_dword v19, v[24:25], off
	global_load_dword v28, v[22:23], off
	s_add_u32 s0, s40, -1
	s_addc_u32 s1, s41, -1
	s_cmp_eq_u64 s[40:41], 0
	s_mov_b64 s[40:41], s[0:1]
	s_cselect_b64 s[42:43], -1, 0
	v_lshl_add_u64 v[24:25], v[24:25], 0, 4
	v_lshl_add_u64 v[22:23], v[22:23], 0, 4
	s_waitcnt vmcnt(0)
	v_cmp_ne_u32_e64 s[0:1], v19, v28
	s_or_b64 s[0:1], s[0:1], s[42:43]
	s_and_b64 s[0:1], exec, s[0:1]
	v_cmp_eq_u32_e32 vcc, v19, v28
	s_or_b64 s[38:39], s[0:1], s[38:39]
	s_andn2_b64 s[0:1], s[14:15], exec
	s_and_b64 s[14:15], vcc, exec
	s_or_b64 s[14:15], s[0:1], s[14:15]
	s_andn2_b64 exec, exec, s[38:39]
	s_cbranch_execnz .LBB1565_30
; %bb.31:
	s_or_b64 exec, exec, s[38:39]
	v_mul_lo_u32 v19, v7, s26
	v_mul_lo_u32 v24, v6, s27
	v_mad_u64_u32 v[22:23], s[0:1], v6, s26, 0
	v_add3_u32 v23, v23, v24, v19
	v_lshl_add_u64 v[22:23], v[22:23], 2, s[28:29]
	s_mov_b64 s[40:41], 0
	s_mov_b64 s[42:43], s[10:11]
	v_mov_b64_e32 v[24:25], v[22:23]
                                        ; implicit-def: $sgpr38_sgpr39
.LBB1565_32:                            ; =>This Inner Loop Header: Depth=1
	global_load_dword v19, v[24:25], off
	global_load_dword v28, v[16:17], off
	s_add_u32 s0, s42, -1
	s_addc_u32 s1, s43, -1
	s_cmp_eq_u64 s[42:43], 0
	s_mov_b64 s[42:43], s[0:1]
	s_cselect_b64 s[44:45], -1, 0
	v_lshl_add_u64 v[24:25], v[24:25], 0, 4
	v_lshl_add_u64 v[16:17], v[16:17], 0, 4
	s_waitcnt vmcnt(0)
	v_cmp_ne_u32_e64 s[0:1], v19, v28
	s_or_b64 s[0:1], s[0:1], s[44:45]
	s_and_b64 s[0:1], exec, s[0:1]
	v_cmp_eq_u32_e32 vcc, v19, v28
	s_or_b64 s[40:41], s[0:1], s[40:41]
	s_andn2_b64 s[0:1], s[38:39], exec
	s_and_b64 s[38:39], vcc, exec
	s_or_b64 s[38:39], s[0:1], s[38:39]
	s_andn2_b64 exec, exec, s[40:41]
	s_cbranch_execnz .LBB1565_32
; %bb.33:
	s_or_b64 exec, exec, s[40:41]
	v_mul_lo_u32 v19, v13, s26
	v_mul_lo_u32 v24, v12, s27
	v_mad_u64_u32 v[16:17], s[0:1], v12, s26, 0
	v_add3_u32 v17, v17, v24, v19
	v_lshl_add_u64 v[16:17], v[16:17], 2, s[28:29]
	s_mov_b64 s[42:43], 0
	s_mov_b64 s[44:45], s[10:11]
	v_mov_b64_e32 v[24:25], v[16:17]
                                        ; implicit-def: $sgpr40_sgpr41
.LBB1565_34:                            ; =>This Inner Loop Header: Depth=1
	global_load_dword v19, v[24:25], off
	global_load_dword v28, v[22:23], off
	s_add_u32 s0, s44, -1
	s_addc_u32 s1, s45, -1
	s_cmp_eq_u64 s[44:45], 0
	s_mov_b64 s[44:45], s[0:1]
	s_cselect_b64 s[46:47], -1, 0
	v_lshl_add_u64 v[24:25], v[24:25], 0, 4
	v_lshl_add_u64 v[22:23], v[22:23], 0, 4
	s_waitcnt vmcnt(0)
	v_cmp_ne_u32_e64 s[0:1], v19, v28
	s_or_b64 s[0:1], s[0:1], s[46:47]
	s_and_b64 s[0:1], exec, s[0:1]
	v_cmp_eq_u32_e32 vcc, v19, v28
	s_or_b64 s[42:43], s[0:1], s[42:43]
	s_andn2_b64 s[0:1], s[40:41], exec
	s_and_b64 s[40:41], vcc, exec
	s_or_b64 s[40:41], s[0:1], s[40:41]
	s_andn2_b64 exec, exec, s[42:43]
	s_cbranch_execnz .LBB1565_34
; %bb.35:
	s_or_b64 exec, exec, s[42:43]
	v_mul_lo_u32 v19, v11, s26
	v_mul_lo_u32 v24, v10, s27
	v_mad_u64_u32 v[22:23], s[0:1], v10, s26, 0
	v_add3_u32 v23, v23, v24, v19
	v_lshl_add_u64 v[22:23], v[22:23], 2, s[28:29]
	s_mov_b64 s[44:45], 0
                                        ; implicit-def: $sgpr42_sgpr43
.LBB1565_36:                            ; =>This Inner Loop Header: Depth=1
	global_load_dword v19, v[22:23], off
	global_load_dword v24, v[16:17], off
	s_add_u32 s0, s10, -1
	s_addc_u32 s1, s11, -1
	s_cmp_eq_u64 s[10:11], 0
	s_mov_b64 s[10:11], s[0:1]
	s_cselect_b64 s[46:47], -1, 0
	v_lshl_add_u64 v[22:23], v[22:23], 0, 4
	v_lshl_add_u64 v[16:17], v[16:17], 0, 4
	s_waitcnt vmcnt(0)
	v_cmp_ne_u32_e64 s[0:1], v19, v24
	s_or_b64 s[0:1], s[0:1], s[46:47]
	s_and_b64 s[0:1], exec, s[0:1]
	v_cmp_eq_u32_e32 vcc, v19, v24
	s_or_b64 s[44:45], s[0:1], s[44:45]
	s_andn2_b64 s[0:1], s[42:43], exec
	s_and_b64 s[42:43], vcc, exec
	s_or_b64 s[42:43], s[0:1], s[42:43]
	s_andn2_b64 exec, exec, s[44:45]
	s_cbranch_execnz .LBB1565_36
; %bb.37:
	s_or_b64 exec, exec, s[44:45]
	s_xor_b64 s[0:1], s[12:13], -1
	v_cndmask_b32_e64 v40, 0, 1, s[0:1]
	s_xor_b64 s[0:1], s[38:39], -1
	v_cndmask_b32_e64 v16, 0, 1, s[0:1]
	v_lshlrev_b16_e32 v16, 8, v16
	s_xor_b64 s[0:1], s[6:7], -1
	v_lshrrev_b32_e32 v16, 8, v16
	v_mov_b32_e32 v22, 1
	s_xor_b64 s[6:7], s[40:41], -1
	v_cndmask_b32_e64 v19, 0, 1, s[0:1]
	s_xor_b64 s[0:1], s[14:15], -1
	v_and_b32_sdwa v16, v16, v22 dst_sel:BYTE_1 dst_unused:UNUSED_PAD src0_sel:DWORD src1_sel:DWORD
	v_cndmask_b32_e64 v22, 0, 1, s[6:7]
	v_cndmask_b32_e64 v17, 0, 1, s[0:1]
	s_xor_b64 s[0:1], s[42:43], -1
	v_or_b32_sdwa v24, v22, v16 dst_sel:WORD_1 dst_unused:UNUSED_PAD src0_sel:DWORD src1_sel:DWORD
	s_branch .LBB1565_42
.LBB1565_38:
                                        ; implicit-def: $sgpr0_sgpr1
                                        ; implicit-def: $vgpr19
                                        ; implicit-def: $vgpr40
                                        ; implicit-def: $vgpr17
                                        ; implicit-def: $vgpr22
	s_branch .LBB1565_95
.LBB1565_39:
                                        ; implicit-def: $vgpr42
                                        ; implicit-def: $vgpr41
                                        ; implicit-def: $vgpr20
	s_branch .LBB1565_164
.LBB1565_40:
                                        ; implicit-def: $sgpr0_sgpr1
                                        ; implicit-def: $vgpr19
                                        ; implicit-def: $vgpr40
                                        ; implicit-def: $vgpr17
                                        ; implicit-def: $vgpr22
	s_cbranch_execnz .LBB1565_49
	s_branch .LBB1565_94
.LBB1565_41:
	v_mov_b32_e32 v24, 0
	v_mov_b32_e32 v19, 0
	;; [unrolled: 1-line block ×4, first 2 shown]
.LBB1565_42:
	s_waitcnt vmcnt(0)
	v_mov_b64_e32 v[22:23], v[20:21]
	s_waitcnt lgkmcnt(0)
	s_barrier
	s_and_saveexec_b64 s[6:7], s[2:3]
; %bb.43:
	v_add_u32_e32 v16, -8, v27
	ds_read_b64 v[22:23], v16
; %bb.44:
	s_or_b64 exec, exec, s[6:7]
	v_cndmask_b32_e64 v25, 0, 1, s[0:1]
	v_lshrrev_b32_e32 v16, 16, v24
	s_mov_b32 s0, 0xc0c0304
	v_perm_b32 v16, v16, v24, s0
	v_lshlrev_b16_e32 v25, 8, v25
	s_movk_i32 s0, 0xff
	v_bitop3_b16 v24, v24, v25, s0 bitop3:0xec
	v_and_b32_e32 v28, 0xffff, v24
	s_mov_b64 s[6:7], 0
	s_and_b64 vcc, exec, s[4:5]
	s_mov_b64 s[0:1], 0
	s_cbranch_vccnz .LBB1565_48
; %bb.45:
	s_waitcnt lgkmcnt(0)
	v_mul_lo_u32 v24, v23, s26
	v_mul_lo_u32 v25, v22, s27
	v_mad_u64_u32 v[22:23], s[0:1], v22, s26, 0
	v_add3_u32 v23, v23, v25, v24
	v_mul_lo_u32 v29, v11, s26
	v_mul_lo_u32 v30, v10, s27
	v_mad_u64_u32 v[24:25], s[0:1], v10, s26, 0
	v_add3_u32 v25, v25, v30, v29
	s_add_u32 s14, s26, -1
	v_lshl_add_u64 v[22:23], v[22:23], 2, s[28:29]
	v_lshl_add_u64 v[24:25], v[24:25], 2, s[28:29]
	s_addc_u32 s15, s27, -1
	s_mov_b64 s[10:11], 0
                                        ; implicit-def: $sgpr12_sgpr13
.LBB1565_46:                            ; =>This Inner Loop Header: Depth=1
	global_load_dword v29, v[22:23], off
	global_load_dword v30, v[24:25], off
	s_add_u32 s0, s14, -1
	s_addc_u32 s1, s15, -1
	s_cmp_eq_u64 s[14:15], 0
	s_mov_b64 s[14:15], s[0:1]
	s_cselect_b64 s[38:39], -1, 0
	v_lshl_add_u64 v[22:23], v[22:23], 0, 4
	v_lshl_add_u64 v[24:25], v[24:25], 0, 4
	s_waitcnt vmcnt(0)
	v_cmp_ne_u32_e64 s[0:1], v29, v30
	s_or_b64 s[0:1], s[0:1], s[38:39]
	s_and_b64 s[0:1], exec, s[0:1]
	v_cmp_eq_u32_e32 vcc, v29, v30
	s_or_b64 s[10:11], s[0:1], s[10:11]
	s_andn2_b64 s[0:1], s[12:13], exec
	s_and_b64 s[12:13], vcc, exec
	s_or_b64 s[12:13], s[0:1], s[12:13]
	s_andn2_b64 exec, exec, s[10:11]
	s_cbranch_execnz .LBB1565_46
; %bb.47:
	s_or_b64 exec, exec, s[10:11]
	s_xor_b64 s[0:1], s[12:13], -1
.LBB1565_48:
	s_waitcnt lgkmcnt(0)
	v_lshl_or_b32 v22, v16, 16, v28
	s_and_b64 vcc, exec, s[6:7]
	s_cbranch_vccz .LBB1565_94
.LBB1565_49:
	v_add_u32_e32 v16, 6, v1
	v_cmp_gt_u32_e32 vcc, s50, v16
	s_mov_b64 s[10:11], 0
	s_mov_b64 s[6:7], 0
	s_and_saveexec_b64 s[12:13], vcc
	s_cbranch_execz .LBB1565_55
; %bb.50:
	s_and_b64 vcc, exec, s[4:5]
	s_mov_b64 s[0:1], 0
	s_cbranch_vccnz .LBB1565_54
; %bb.51:
	v_mul_lo_u32 v19, v5, s26
	v_mul_lo_u32 v22, v4, s27
	v_mad_u64_u32 v[16:17], s[0:1], v4, s26, 0
	v_add3_u32 v17, v17, v22, v19
	v_mul_lo_u32 v19, v15, s26
	v_mul_lo_u32 v24, v14, s27
	v_mad_u64_u32 v[22:23], s[0:1], v14, s26, 0
	v_add3_u32 v23, v23, v24, v19
	s_add_u32 s38, s26, -1
	v_lshl_add_u64 v[16:17], v[16:17], 2, s[28:29]
	v_lshl_add_u64 v[22:23], v[22:23], 2, s[28:29]
	s_addc_u32 s39, s27, -1
                                        ; implicit-def: $sgpr14_sgpr15
.LBB1565_52:                            ; =>This Inner Loop Header: Depth=1
	global_load_dword v19, v[16:17], off
	global_load_dword v24, v[22:23], off
	s_add_u32 s0, s38, -1
	s_addc_u32 s1, s39, -1
	s_cmp_eq_u64 s[38:39], 0
	s_mov_b64 s[38:39], s[0:1]
	s_cselect_b64 s[40:41], -1, 0
	v_lshl_add_u64 v[16:17], v[16:17], 0, 4
	v_lshl_add_u64 v[22:23], v[22:23], 0, 4
	s_waitcnt vmcnt(0)
	v_cmp_ne_u32_e64 s[0:1], v19, v24
	s_or_b64 s[0:1], s[0:1], s[40:41]
	s_and_b64 s[0:1], exec, s[0:1]
	v_cmp_eq_u32_e32 vcc, v19, v24
	s_or_b64 s[6:7], s[0:1], s[6:7]
	s_andn2_b64 s[0:1], s[14:15], exec
	s_and_b64 s[14:15], vcc, exec
	s_or_b64 s[14:15], s[0:1], s[14:15]
	s_andn2_b64 exec, exec, s[6:7]
	s_cbranch_execnz .LBB1565_52
; %bb.53:
	s_or_b64 exec, exec, s[6:7]
	s_xor_b64 s[0:1], s[14:15], -1
.LBB1565_54:
	s_and_b64 s[6:7], s[0:1], exec
.LBB1565_55:
	s_or_b64 exec, exec, s[12:13]
	v_add_u32_e32 v16, 5, v1
	v_cmp_gt_u32_e32 vcc, s50, v16
	s_and_saveexec_b64 s[12:13], vcc
	s_cbranch_execz .LBB1565_61
; %bb.56:
	s_and_b64 vcc, exec, s[4:5]
	s_mov_b64 s[0:1], 0
	s_cbranch_vccnz .LBB1565_60
; %bb.57:
	v_mul_lo_u32 v19, v3, s26
	v_mul_lo_u32 v22, v2, s27
	v_mad_u64_u32 v[16:17], s[0:1], v2, s26, 0
	v_add3_u32 v17, v17, v22, v19
	v_mul_lo_u32 v19, v5, s26
	v_mul_lo_u32 v24, v4, s27
	v_mad_u64_u32 v[22:23], s[0:1], v4, s26, 0
	v_add3_u32 v23, v23, v24, v19
	s_add_u32 s38, s26, -1
	v_lshl_add_u64 v[16:17], v[16:17], 2, s[28:29]
	v_lshl_add_u64 v[22:23], v[22:23], 2, s[28:29]
	s_addc_u32 s39, s27, -1
	s_mov_b64 s[10:11], 0
                                        ; implicit-def: $sgpr14_sgpr15
.LBB1565_58:                            ; =>This Inner Loop Header: Depth=1
	global_load_dword v19, v[16:17], off
	global_load_dword v24, v[22:23], off
	s_add_u32 s0, s38, -1
	s_addc_u32 s1, s39, -1
	s_cmp_eq_u64 s[38:39], 0
	s_mov_b64 s[38:39], s[0:1]
	s_cselect_b64 s[40:41], -1, 0
	v_lshl_add_u64 v[16:17], v[16:17], 0, 4
	v_lshl_add_u64 v[22:23], v[22:23], 0, 4
	s_waitcnt vmcnt(0)
	v_cmp_ne_u32_e64 s[0:1], v19, v24
	s_or_b64 s[0:1], s[0:1], s[40:41]
	s_and_b64 s[0:1], exec, s[0:1]
	v_cmp_eq_u32_e32 vcc, v19, v24
	s_or_b64 s[10:11], s[0:1], s[10:11]
	s_andn2_b64 s[0:1], s[14:15], exec
	s_and_b64 s[14:15], vcc, exec
	s_or_b64 s[14:15], s[0:1], s[14:15]
	s_andn2_b64 exec, exec, s[10:11]
	s_cbranch_execnz .LBB1565_58
; %bb.59:
	s_or_b64 exec, exec, s[10:11]
	s_xor_b64 s[0:1], s[14:15], -1
.LBB1565_60:
	s_and_b64 s[10:11], s[0:1], exec
.LBB1565_61:
	s_or_b64 exec, exec, s[12:13]
	v_add_u32_e32 v16, 4, v1
	v_cmp_gt_u32_e32 vcc, s50, v16
	s_mov_b64 s[14:15], 0
	s_mov_b64 s[12:13], 0
	s_and_saveexec_b64 s[38:39], vcc
	s_cbranch_execz .LBB1565_67
; %bb.62:
	s_and_b64 vcc, exec, s[4:5]
	s_mov_b64 s[0:1], 0
	s_cbranch_vccnz .LBB1565_66
; %bb.63:
	v_mul_lo_u32 v19, v9, s26
	v_mul_lo_u32 v22, v8, s27
	v_mad_u64_u32 v[16:17], s[0:1], v8, s26, 0
	v_add3_u32 v17, v17, v22, v19
	v_mul_lo_u32 v19, v3, s26
	v_mul_lo_u32 v24, v2, s27
	v_mad_u64_u32 v[22:23], s[0:1], v2, s26, 0
	v_add3_u32 v23, v23, v24, v19
	s_add_u32 s42, s26, -1
	v_lshl_add_u64 v[16:17], v[16:17], 2, s[28:29]
	v_lshl_add_u64 v[22:23], v[22:23], 2, s[28:29]
	s_addc_u32 s43, s27, -1
                                        ; implicit-def: $sgpr40_sgpr41
.LBB1565_64:                            ; =>This Inner Loop Header: Depth=1
	global_load_dword v19, v[16:17], off
	global_load_dword v24, v[22:23], off
	s_add_u32 s0, s42, -1
	s_addc_u32 s1, s43, -1
	s_cmp_eq_u64 s[42:43], 0
	s_mov_b64 s[42:43], s[0:1]
	s_cselect_b64 s[44:45], -1, 0
	v_lshl_add_u64 v[16:17], v[16:17], 0, 4
	v_lshl_add_u64 v[22:23], v[22:23], 0, 4
	s_waitcnt vmcnt(0)
	v_cmp_ne_u32_e64 s[0:1], v19, v24
	s_or_b64 s[0:1], s[0:1], s[44:45]
	s_and_b64 s[0:1], exec, s[0:1]
	v_cmp_eq_u32_e32 vcc, v19, v24
	s_or_b64 s[12:13], s[0:1], s[12:13]
	s_andn2_b64 s[0:1], s[40:41], exec
	s_and_b64 s[40:41], vcc, exec
	s_or_b64 s[40:41], s[0:1], s[40:41]
	s_andn2_b64 exec, exec, s[12:13]
	s_cbranch_execnz .LBB1565_64
; %bb.65:
	s_or_b64 exec, exec, s[12:13]
	s_xor_b64 s[0:1], s[40:41], -1
.LBB1565_66:
	s_and_b64 s[12:13], s[0:1], exec
.LBB1565_67:
	s_or_b64 exec, exec, s[38:39]
	v_add_u32_e32 v16, 3, v1
	v_cmp_gt_u32_e32 vcc, s50, v16
	s_and_saveexec_b64 s[38:39], vcc
	s_cbranch_execz .LBB1565_73
; %bb.68:
	s_and_b64 vcc, exec, s[4:5]
	s_mov_b64 s[0:1], 0
	s_cbranch_vccnz .LBB1565_72
; %bb.69:
	v_mul_lo_u32 v19, v7, s26
	v_mul_lo_u32 v22, v6, s27
	v_mad_u64_u32 v[16:17], s[0:1], v6, s26, 0
	v_add3_u32 v17, v17, v22, v19
	v_mul_lo_u32 v19, v9, s26
	v_mul_lo_u32 v24, v8, s27
	v_mad_u64_u32 v[22:23], s[0:1], v8, s26, 0
	v_add3_u32 v23, v23, v24, v19
	s_add_u32 s42, s26, -1
	v_lshl_add_u64 v[16:17], v[16:17], 2, s[28:29]
	v_lshl_add_u64 v[22:23], v[22:23], 2, s[28:29]
	s_addc_u32 s43, s27, -1
	s_mov_b64 s[14:15], 0
                                        ; implicit-def: $sgpr40_sgpr41
.LBB1565_70:                            ; =>This Inner Loop Header: Depth=1
	global_load_dword v19, v[16:17], off
	global_load_dword v24, v[22:23], off
	s_add_u32 s0, s42, -1
	s_addc_u32 s1, s43, -1
	s_cmp_eq_u64 s[42:43], 0
	s_mov_b64 s[42:43], s[0:1]
	s_cselect_b64 s[44:45], -1, 0
	v_lshl_add_u64 v[16:17], v[16:17], 0, 4
	v_lshl_add_u64 v[22:23], v[22:23], 0, 4
	s_waitcnt vmcnt(0)
	v_cmp_ne_u32_e64 s[0:1], v19, v24
	s_or_b64 s[0:1], s[0:1], s[44:45]
	s_and_b64 s[0:1], exec, s[0:1]
	v_cmp_eq_u32_e32 vcc, v19, v24
	s_or_b64 s[14:15], s[0:1], s[14:15]
	s_andn2_b64 s[0:1], s[40:41], exec
	s_and_b64 s[40:41], vcc, exec
	s_or_b64 s[40:41], s[0:1], s[40:41]
	s_andn2_b64 exec, exec, s[14:15]
	s_cbranch_execnz .LBB1565_70
; %bb.71:
	s_or_b64 exec, exec, s[14:15]
	s_xor_b64 s[0:1], s[40:41], -1
.LBB1565_72:
	s_and_b64 s[14:15], s[0:1], exec
.LBB1565_73:
	s_or_b64 exec, exec, s[38:39]
	v_add_u32_e32 v16, 2, v1
	v_cmp_gt_u32_e32 vcc, s50, v16
	s_mov_b64 s[38:39], 0
	s_mov_b64 s[40:41], 0
	s_and_saveexec_b64 s[42:43], vcc
	s_cbranch_execz .LBB1565_79
; %bb.74:
	s_and_b64 vcc, exec, s[4:5]
	s_mov_b64 s[0:1], 0
	s_cbranch_vccnz .LBB1565_78
; %bb.75:
	v_mul_lo_u32 v19, v13, s26
	v_mul_lo_u32 v22, v12, s27
	v_mad_u64_u32 v[16:17], s[0:1], v12, s26, 0
	v_add3_u32 v17, v17, v22, v19
	v_mul_lo_u32 v19, v7, s26
	v_mul_lo_u32 v24, v6, s27
	v_mad_u64_u32 v[22:23], s[0:1], v6, s26, 0
	v_add3_u32 v23, v23, v24, v19
	s_add_u32 s46, s26, -1
	v_lshl_add_u64 v[16:17], v[16:17], 2, s[28:29]
	v_lshl_add_u64 v[22:23], v[22:23], 2, s[28:29]
	s_addc_u32 s47, s27, -1
                                        ; implicit-def: $sgpr44_sgpr45
.LBB1565_76:                            ; =>This Inner Loop Header: Depth=1
	global_load_dword v19, v[16:17], off
	global_load_dword v24, v[22:23], off
	s_add_u32 s0, s46, -1
	s_addc_u32 s1, s47, -1
	s_cmp_eq_u64 s[46:47], 0
	s_mov_b64 s[46:47], s[0:1]
	s_cselect_b64 s[48:49], -1, 0
	v_lshl_add_u64 v[16:17], v[16:17], 0, 4
	v_lshl_add_u64 v[22:23], v[22:23], 0, 4
	s_waitcnt vmcnt(0)
	v_cmp_ne_u32_e64 s[0:1], v19, v24
	s_or_b64 s[0:1], s[0:1], s[48:49]
	s_and_b64 s[0:1], exec, s[0:1]
	v_cmp_eq_u32_e32 vcc, v19, v24
	s_or_b64 s[40:41], s[0:1], s[40:41]
	s_andn2_b64 s[0:1], s[44:45], exec
	s_and_b64 s[44:45], vcc, exec
	s_or_b64 s[44:45], s[0:1], s[44:45]
	s_andn2_b64 exec, exec, s[40:41]
	s_cbranch_execnz .LBB1565_76
; %bb.77:
	s_or_b64 exec, exec, s[40:41]
	s_xor_b64 s[0:1], s[44:45], -1
.LBB1565_78:
	s_and_b64 s[40:41], s[0:1], exec
.LBB1565_79:
	s_or_b64 exec, exec, s[42:43]
	v_add_u32_e32 v16, 1, v1
	v_cmp_gt_u32_e32 vcc, s50, v16
	s_and_saveexec_b64 s[42:43], vcc
	s_cbranch_execz .LBB1565_85
; %bb.80:
	s_and_b64 vcc, exec, s[4:5]
	s_mov_b64 s[0:1], 0
	s_cbranch_vccnz .LBB1565_84
; %bb.81:
	v_mul_lo_u32 v19, v11, s26
	v_mul_lo_u32 v22, v10, s27
	v_mad_u64_u32 v[16:17], s[0:1], v10, s26, 0
	v_add3_u32 v17, v17, v22, v19
	v_mul_lo_u32 v19, v13, s26
	v_mul_lo_u32 v24, v12, s27
	v_mad_u64_u32 v[22:23], s[0:1], v12, s26, 0
	v_add3_u32 v23, v23, v24, v19
	s_add_u32 s46, s26, -1
	v_lshl_add_u64 v[16:17], v[16:17], 2, s[28:29]
	v_lshl_add_u64 v[22:23], v[22:23], 2, s[28:29]
	s_addc_u32 s47, s27, -1
	s_mov_b64 s[38:39], 0
                                        ; implicit-def: $sgpr44_sgpr45
.LBB1565_82:                            ; =>This Inner Loop Header: Depth=1
	global_load_dword v19, v[16:17], off
	global_load_dword v24, v[22:23], off
	s_add_u32 s0, s46, -1
	s_addc_u32 s1, s47, -1
	s_cmp_eq_u64 s[46:47], 0
	s_mov_b64 s[46:47], s[0:1]
	s_cselect_b64 s[48:49], -1, 0
	v_lshl_add_u64 v[16:17], v[16:17], 0, 4
	v_lshl_add_u64 v[22:23], v[22:23], 0, 4
	s_waitcnt vmcnt(0)
	v_cmp_ne_u32_e64 s[0:1], v19, v24
	s_or_b64 s[0:1], s[0:1], s[48:49]
	s_and_b64 s[0:1], exec, s[0:1]
	v_cmp_eq_u32_e32 vcc, v19, v24
	s_or_b64 s[38:39], s[0:1], s[38:39]
	s_andn2_b64 s[0:1], s[44:45], exec
	s_and_b64 s[44:45], vcc, exec
	s_or_b64 s[44:45], s[0:1], s[44:45]
	s_andn2_b64 exec, exec, s[38:39]
	s_cbranch_execnz .LBB1565_82
; %bb.83:
	s_or_b64 exec, exec, s[38:39]
	s_xor_b64 s[0:1], s[44:45], -1
.LBB1565_84:
	s_and_b64 s[38:39], s[0:1], exec
.LBB1565_85:
	s_or_b64 exec, exec, s[42:43]
	s_waitcnt lgkmcnt(0)
	s_barrier
	s_and_saveexec_b64 s[0:1], s[2:3]
	s_cbranch_execz .LBB1565_87
; %bb.86:
	v_add_u32_e32 v16, -8, v27
	s_waitcnt vmcnt(0)
	ds_read_b64 v[20:21], v16
.LBB1565_87:
	s_or_b64 exec, exec, s[0:1]
	v_cndmask_b32_e64 v17, 0, 1, s[14:15]
	v_cndmask_b32_e64 v16, 0, 1, s[40:41]
	;; [unrolled: 1-line block ×3, first 2 shown]
	v_lshlrev_b16_e32 v17, 8, v17
	v_cmp_gt_u32_e32 vcc, s50, v1
	v_lshlrev_b16_e32 v22, 8, v19
	v_or_b32_sdwa v23, v16, v17 dst_sel:WORD_1 dst_unused:UNUSED_PAD src0_sel:DWORD src1_sel:DWORD
	s_mov_b64 s[0:1], 0
	s_and_saveexec_b64 s[14:15], vcc
	s_cbranch_execz .LBB1565_93
; %bb.88:
	s_and_b64 vcc, exec, s[4:5]
	s_cbranch_vccnz .LBB1565_92
; %bb.89:
	s_waitcnt vmcnt(0) lgkmcnt(0)
	v_mul_lo_u32 v19, v21, s26
	v_mul_lo_u32 v21, v20, s27
	v_mad_u64_u32 v[16:17], s[0:1], v20, s26, 0
	v_add3_u32 v17, v17, v21, v19
	v_mul_lo_u32 v19, v11, s26
	v_mul_lo_u32 v24, v10, s27
	v_mad_u64_u32 v[20:21], s[0:1], v10, s26, 0
	v_add3_u32 v21, v21, v24, v19
	s_add_u32 s40, s26, -1
	v_lshl_add_u64 v[16:17], v[16:17], 2, s[28:29]
	v_lshl_add_u64 v[20:21], v[20:21], 2, s[28:29]
	s_addc_u32 s41, s27, -1
	s_mov_b64 s[4:5], 0
                                        ; implicit-def: $sgpr38_sgpr39
.LBB1565_90:                            ; =>This Inner Loop Header: Depth=1
	global_load_dword v19, v[16:17], off
	global_load_dword v24, v[20:21], off
	s_add_u32 s0, s40, -1
	s_addc_u32 s1, s41, -1
	s_cmp_eq_u64 s[40:41], 0
	s_mov_b64 s[40:41], s[0:1]
	s_cselect_b64 s[42:43], -1, 0
	v_lshl_add_u64 v[16:17], v[16:17], 0, 4
	v_lshl_add_u64 v[20:21], v[20:21], 0, 4
	s_waitcnt vmcnt(0)
	v_cmp_ne_u32_e64 s[0:1], v19, v24
	s_or_b64 s[0:1], s[0:1], s[42:43]
	s_and_b64 s[0:1], exec, s[0:1]
	v_cmp_eq_u32_e32 vcc, v19, v24
	s_or_b64 s[4:5], s[0:1], s[4:5]
	s_andn2_b64 s[0:1], s[38:39], exec
	s_and_b64 s[38:39], vcc, exec
	s_or_b64 s[38:39], s[0:1], s[38:39]
	s_andn2_b64 exec, exec, s[4:5]
	s_cbranch_execnz .LBB1565_90
; %bb.91:
	s_or_b64 exec, exec, s[4:5]
	s_xor_b64 s[0:1], s[38:39], -1
.LBB1565_92:
	s_and_b64 s[0:1], s[0:1], exec
.LBB1565_93:
	s_or_b64 exec, exec, s[14:15]
	v_cndmask_b32_e64 v17, 0, 1, s[12:13]
	v_cndmask_b32_e64 v40, 0, 1, s[10:11]
	;; [unrolled: 1-line block ×3, first 2 shown]
	v_or_b32_e32 v22, v22, v23
.LBB1565_94:
	s_mov_b64 s[10:11], -1
	s_cbranch_execnz .LBB1565_39
.LBB1565_95:
	s_movk_i32 s0, 0xffd0
	v_mad_i32_i24 v26, v0, s0, v26
	s_mov_b64 s[0:1], 0
	v_cmp_gt_i64_e64 s[6:7], s[26:27], 0
	s_and_b64 vcc, exec, s[36:37]
	ds_write_b64 v26, v[14:15]
	s_cbranch_vccz .LBB1565_110
; %bb.96:
	v_cndmask_b32_e64 v16, 0, 1, s[6:7]
	v_cmp_ne_u32_e64 s[4:5], 1, v16
	s_andn2_b64 vcc, exec, s[6:7]
	s_cbranch_vccnz .LBB1565_111
; %bb.97:
	v_mul_lo_u32 v19, v5, s26
	s_waitcnt vmcnt(0) lgkmcnt(1)
	v_mul_lo_u32 v20, v4, s27
	v_mad_u64_u32 v[16:17], s[0:1], v4, s26, 0
	v_add3_u32 v17, v17, v20, v19
	v_mul_lo_u32 v19, v15, s26
	v_mul_lo_u32 v22, v14, s27
	v_mad_u64_u32 v[20:21], s[0:1], v14, s26, 0
	s_add_u32 s14, s26, -1
	v_lshl_add_u64 v[16:17], v[16:17], 2, s[28:29]
	v_add3_u32 v21, v21, v22, v19
	s_addc_u32 s15, s27, -1
	v_lshl_add_u64 v[20:21], v[20:21], 2, s[28:29]
	s_mov_b64 s[38:39], 0
	s_mov_b64 s[40:41], s[14:15]
	v_mov_b64_e32 v[22:23], v[16:17]
                                        ; implicit-def: $sgpr12_sgpr13
.LBB1565_98:                            ; =>This Inner Loop Header: Depth=1
	global_load_dword v19, v[22:23], off
	global_load_dword v24, v[20:21], off
	s_add_u32 s0, s40, -1
	s_addc_u32 s1, s41, -1
	s_cmp_eq_u64 s[40:41], 0
	s_mov_b64 s[40:41], s[0:1]
	s_cselect_b64 s[42:43], -1, 0
	v_lshl_add_u64 v[22:23], v[22:23], 0, 4
	v_lshl_add_u64 v[20:21], v[20:21], 0, 4
	s_waitcnt vmcnt(0)
	v_cmp_ne_u32_e64 s[0:1], v19, v24
	s_or_b64 s[0:1], s[0:1], s[42:43]
	s_and_b64 s[0:1], exec, s[0:1]
	v_cmp_eq_u32_e32 vcc, v19, v24
	s_or_b64 s[38:39], s[0:1], s[38:39]
	s_andn2_b64 s[0:1], s[12:13], exec
	s_and_b64 s[12:13], vcc, exec
	s_or_b64 s[12:13], s[0:1], s[12:13]
	s_andn2_b64 exec, exec, s[38:39]
	s_cbranch_execnz .LBB1565_98
; %bb.99:
	s_or_b64 exec, exec, s[38:39]
	v_mul_lo_u32 v19, v3, s26
	v_mul_lo_u32 v22, v2, s27
	v_mad_u64_u32 v[20:21], s[0:1], v2, s26, 0
	v_add3_u32 v21, v21, v22, v19
	v_lshl_add_u64 v[20:21], v[20:21], 2, s[28:29]
	s_mov_b64 s[40:41], 0
	s_mov_b64 s[42:43], s[14:15]
	v_mov_b64_e32 v[22:23], v[20:21]
                                        ; implicit-def: $sgpr38_sgpr39
.LBB1565_100:                           ; =>This Inner Loop Header: Depth=1
	global_load_dword v19, v[22:23], off
	global_load_dword v24, v[16:17], off
	s_add_u32 s0, s42, -1
	s_addc_u32 s1, s43, -1
	s_cmp_eq_u64 s[42:43], 0
	s_mov_b64 s[42:43], s[0:1]
	s_cselect_b64 s[44:45], -1, 0
	v_lshl_add_u64 v[22:23], v[22:23], 0, 4
	v_lshl_add_u64 v[16:17], v[16:17], 0, 4
	s_waitcnt vmcnt(0)
	v_cmp_ne_u32_e64 s[0:1], v19, v24
	s_or_b64 s[0:1], s[0:1], s[44:45]
	s_and_b64 s[0:1], exec, s[0:1]
	v_cmp_eq_u32_e32 vcc, v19, v24
	s_or_b64 s[40:41], s[0:1], s[40:41]
	s_andn2_b64 s[0:1], s[38:39], exec
	s_and_b64 s[38:39], vcc, exec
	s_or_b64 s[38:39], s[0:1], s[38:39]
	s_andn2_b64 exec, exec, s[40:41]
	s_cbranch_execnz .LBB1565_100
; %bb.101:
	s_or_b64 exec, exec, s[40:41]
	v_mul_lo_u32 v19, v9, s26
	v_mul_lo_u32 v22, v8, s27
	v_mad_u64_u32 v[16:17], s[0:1], v8, s26, 0
	v_add3_u32 v17, v17, v22, v19
	v_lshl_add_u64 v[16:17], v[16:17], 2, s[28:29]
	s_mov_b64 s[42:43], 0
	s_mov_b64 s[44:45], s[14:15]
	v_mov_b64_e32 v[22:23], v[16:17]
                                        ; implicit-def: $sgpr40_sgpr41
.LBB1565_102:                           ; =>This Inner Loop Header: Depth=1
	global_load_dword v19, v[22:23], off
	global_load_dword v24, v[20:21], off
	s_add_u32 s0, s44, -1
	s_addc_u32 s1, s45, -1
	s_cmp_eq_u64 s[44:45], 0
	s_mov_b64 s[44:45], s[0:1]
	s_cselect_b64 s[46:47], -1, 0
	v_lshl_add_u64 v[22:23], v[22:23], 0, 4
	v_lshl_add_u64 v[20:21], v[20:21], 0, 4
	s_waitcnt vmcnt(0)
	v_cmp_ne_u32_e64 s[0:1], v19, v24
	s_or_b64 s[0:1], s[0:1], s[46:47]
	s_and_b64 s[0:1], exec, s[0:1]
	v_cmp_eq_u32_e32 vcc, v19, v24
	s_or_b64 s[42:43], s[0:1], s[42:43]
	s_andn2_b64 s[0:1], s[40:41], exec
	s_and_b64 s[40:41], vcc, exec
	s_or_b64 s[40:41], s[0:1], s[40:41]
	s_andn2_b64 exec, exec, s[42:43]
	s_cbranch_execnz .LBB1565_102
; %bb.103:
	s_or_b64 exec, exec, s[42:43]
	v_mul_lo_u32 v19, v7, s26
	v_mul_lo_u32 v22, v6, s27
	v_mad_u64_u32 v[20:21], s[0:1], v6, s26, 0
	v_add3_u32 v21, v21, v22, v19
	v_lshl_add_u64 v[20:21], v[20:21], 2, s[28:29]
	s_mov_b64 s[44:45], 0
	s_mov_b64 s[46:47], s[14:15]
	v_mov_b64_e32 v[22:23], v[20:21]
                                        ; implicit-def: $sgpr42_sgpr43
.LBB1565_104:                           ; =>This Inner Loop Header: Depth=1
	global_load_dword v19, v[22:23], off
	global_load_dword v24, v[16:17], off
	s_add_u32 s0, s46, -1
	s_addc_u32 s1, s47, -1
	s_cmp_eq_u64 s[46:47], 0
	s_mov_b64 s[46:47], s[0:1]
	s_cselect_b64 s[48:49], -1, 0
	v_lshl_add_u64 v[22:23], v[22:23], 0, 4
	v_lshl_add_u64 v[16:17], v[16:17], 0, 4
	s_waitcnt vmcnt(0)
	v_cmp_ne_u32_e64 s[0:1], v19, v24
	s_or_b64 s[0:1], s[0:1], s[48:49]
	s_and_b64 s[0:1], exec, s[0:1]
	v_cmp_eq_u32_e32 vcc, v19, v24
	s_or_b64 s[44:45], s[0:1], s[44:45]
	s_andn2_b64 s[0:1], s[42:43], exec
	s_and_b64 s[42:43], vcc, exec
	s_or_b64 s[42:43], s[0:1], s[42:43]
	s_andn2_b64 exec, exec, s[44:45]
	s_cbranch_execnz .LBB1565_104
; %bb.105:
	s_or_b64 exec, exec, s[44:45]
	v_mul_lo_u32 v19, v13, s26
	v_mul_lo_u32 v22, v12, s27
	v_mad_u64_u32 v[16:17], s[0:1], v12, s26, 0
	v_add3_u32 v17, v17, v22, v19
	v_lshl_add_u64 v[16:17], v[16:17], 2, s[28:29]
	s_mov_b64 s[46:47], 0
	s_mov_b64 s[48:49], s[14:15]
	v_mov_b64_e32 v[22:23], v[16:17]
                                        ; implicit-def: $sgpr44_sgpr45
.LBB1565_106:                           ; =>This Inner Loop Header: Depth=1
	global_load_dword v19, v[22:23], off
	global_load_dword v24, v[20:21], off
	s_add_u32 s0, s48, -1
	s_addc_u32 s1, s49, -1
	s_cmp_eq_u64 s[48:49], 0
	s_mov_b64 s[48:49], s[0:1]
	s_cselect_b64 s[52:53], -1, 0
	v_lshl_add_u64 v[22:23], v[22:23], 0, 4
	v_lshl_add_u64 v[20:21], v[20:21], 0, 4
	s_waitcnt vmcnt(0)
	v_cmp_ne_u32_e64 s[0:1], v19, v24
	s_or_b64 s[0:1], s[0:1], s[52:53]
	s_and_b64 s[0:1], exec, s[0:1]
	v_cmp_eq_u32_e32 vcc, v19, v24
	s_or_b64 s[46:47], s[0:1], s[46:47]
	s_andn2_b64 s[0:1], s[44:45], exec
	s_and_b64 s[44:45], vcc, exec
	s_or_b64 s[44:45], s[0:1], s[44:45]
	s_andn2_b64 exec, exec, s[46:47]
	s_cbranch_execnz .LBB1565_106
; %bb.107:
	s_or_b64 exec, exec, s[46:47]
	v_mul_lo_u32 v19, v11, s26
	v_mul_lo_u32 v22, v10, s27
	v_mad_u64_u32 v[20:21], s[0:1], v10, s26, 0
	v_add3_u32 v21, v21, v22, v19
	v_lshl_add_u64 v[20:21], v[20:21], 2, s[28:29]
	s_mov_b64 s[48:49], 0
                                        ; implicit-def: $sgpr46_sgpr47
.LBB1565_108:                           ; =>This Inner Loop Header: Depth=1
	global_load_dword v19, v[20:21], off
	global_load_dword v22, v[16:17], off
	s_add_u32 s0, s14, -1
	s_addc_u32 s1, s15, -1
	s_cmp_eq_u64 s[14:15], 0
	s_mov_b64 s[14:15], s[0:1]
	s_cselect_b64 s[52:53], -1, 0
	v_lshl_add_u64 v[20:21], v[20:21], 0, 4
	v_lshl_add_u64 v[16:17], v[16:17], 0, 4
	s_waitcnt vmcnt(0)
	v_cmp_ne_u32_e64 s[0:1], v19, v22
	s_or_b64 s[0:1], s[0:1], s[52:53]
	s_and_b64 s[0:1], exec, s[0:1]
	v_cmp_eq_u32_e32 vcc, v19, v22
	s_or_b64 s[48:49], s[0:1], s[48:49]
	s_andn2_b64 s[0:1], s[46:47], exec
	s_and_b64 s[46:47], vcc, exec
	s_or_b64 s[46:47], s[0:1], s[46:47]
	s_andn2_b64 exec, exec, s[48:49]
	s_cbranch_execnz .LBB1565_108
; %bb.109:
	s_or_b64 exec, exec, s[48:49]
	s_xor_b64 s[0:1], s[38:39], -1
	v_cndmask_b32_e64 v40, 0, 1, s[0:1]
	s_xor_b64 s[0:1], s[42:43], -1
	v_cndmask_b32_e64 v16, 0, 1, s[0:1]
	v_lshlrev_b16_e32 v16, 8, v16
	s_xor_b64 s[0:1], s[12:13], -1
	v_lshrrev_b32_e32 v16, 8, v16
	v_mov_b32_e32 v20, 1
	s_xor_b64 s[12:13], s[44:45], -1
	v_cndmask_b32_e64 v19, 0, 1, s[0:1]
	s_xor_b64 s[0:1], s[40:41], -1
	v_and_b32_sdwa v16, v16, v20 dst_sel:BYTE_1 dst_unused:UNUSED_PAD src0_sel:DWORD src1_sel:DWORD
	v_cndmask_b32_e64 v20, 0, 1, s[12:13]
	v_cndmask_b32_e64 v17, 0, 1, s[0:1]
	s_xor_b64 s[0:1], s[46:47], -1
	v_or_b32_sdwa v16, v20, v16 dst_sel:WORD_1 dst_unused:UNUSED_PAD src0_sel:DWORD src1_sel:DWORD
	s_branch .LBB1565_112
.LBB1565_110:
                                        ; implicit-def: $sgpr0_sgpr1
                                        ; implicit-def: $vgpr19
                                        ; implicit-def: $vgpr40
                                        ; implicit-def: $vgpr17
                                        ; implicit-def: $vgpr22
                                        ; implicit-def: $vgpr42
                                        ; implicit-def: $vgpr41
                                        ; implicit-def: $vgpr20
	s_cbranch_execnz .LBB1565_119
	s_branch .LBB1565_164
.LBB1565_111:
	v_mov_b32_e32 v16, 0
	v_mov_b32_e32 v19, 0
	;; [unrolled: 1-line block ×4, first 2 shown]
.LBB1565_112:
	v_lshrrev_b32_e32 v41, 16, v16
	s_waitcnt vmcnt(0) lgkmcnt(1)
	v_lshrrev_b32_e32 v20, 24, v16
	v_cndmask_b32_e64 v42, 0, 1, s[0:1]
	v_mov_b32_e32 v16, 1
	s_waitcnt lgkmcnt(0)
	s_barrier
                                        ; implicit-def: $sgpr0_sgpr1
                                        ; implicit-def: $vgpr22
	s_and_saveexec_b64 s[12:13], s[2:3]
	s_xor_b64 s[12:13], exec, s[12:13]
	s_cbranch_execz .LBB1565_118
; %bb.113:
	v_lshlrev_b16_e32 v21, 8, v20
	s_movk_i32 s0, 0xff
	v_bitop3_b16 v21, v41, v21, s0 bitop3:0xec
	v_lshlrev_b16_e32 v22, 8, v42
	v_lshlrev_b32_e32 v21, 16, v21
	v_or_b32_e32 v22, 1, v22
	v_or_b32_sdwa v21, v22, v21 dst_sel:DWORD dst_unused:UNUSED_PAD src0_sel:WORD_0 src1_sel:DWORD
	s_mov_b32 s40, 0x3020104
	s_and_b64 vcc, exec, s[4:5]
	s_mov_b64 s[0:1], 0
	s_cbranch_vccnz .LBB1565_117
; %bb.114:
	v_add_u32_e32 v22, -8, v26
	ds_read_b64 v[22:23], v22
	v_mul_lo_u32 v27, v11, s26
	v_mul_lo_u32 v28, v10, s27
	s_add_u32 s38, s26, -1
	s_addc_u32 s39, s27, -1
	s_waitcnt lgkmcnt(0)
	v_mul_lo_u32 v24, v23, s26
	v_mul_lo_u32 v25, v22, s27
	v_mad_u64_u32 v[22:23], s[0:1], v22, s26, 0
	v_add3_u32 v23, v23, v25, v24
	v_mad_u64_u32 v[24:25], s[0:1], v10, s26, 0
	v_add3_u32 v25, v25, v28, v27
	v_lshl_add_u64 v[22:23], v[22:23], 2, s[28:29]
	v_lshl_add_u64 v[24:25], v[24:25], 2, s[28:29]
	s_mov_b64 s[4:5], 0
                                        ; implicit-def: $sgpr14_sgpr15
.LBB1565_115:                           ; =>This Inner Loop Header: Depth=1
	global_load_dword v27, v[22:23], off
	global_load_dword v28, v[24:25], off
	s_add_u32 s0, s38, -1
	s_addc_u32 s1, s39, -1
	s_cmp_eq_u64 s[38:39], 0
	s_mov_b64 s[38:39], s[0:1]
	s_cselect_b64 s[42:43], -1, 0
	v_lshl_add_u64 v[22:23], v[22:23], 0, 4
	v_lshl_add_u64 v[24:25], v[24:25], 0, 4
	s_waitcnt vmcnt(0)
	v_cmp_ne_u32_e64 s[0:1], v27, v28
	s_or_b64 s[0:1], s[0:1], s[42:43]
	s_and_b64 s[0:1], exec, s[0:1]
	v_cmp_eq_u32_e32 vcc, v27, v28
	s_or_b64 s[4:5], s[0:1], s[4:5]
	s_andn2_b64 s[0:1], s[14:15], exec
	s_and_b64 s[14:15], vcc, exec
	s_or_b64 s[14:15], s[0:1], s[14:15]
	s_andn2_b64 exec, exec, s[4:5]
	s_cbranch_execnz .LBB1565_115
; %bb.116:
	s_or_b64 exec, exec, s[4:5]
	s_xor_b64 s[0:1], s[14:15], -1
.LBB1565_117:
	v_perm_b32 v22, v21, v21, s40
	s_or_b64 s[10:11], s[10:11], exec
.LBB1565_118:
	s_or_b64 exec, exec, s[12:13]
	s_branch .LBB1565_164
.LBB1565_119:
	v_add_u32_e32 v16, 6, v1
	v_cmp_gt_u32_e32 vcc, s50, v16
	s_mov_b64 s[12:13], 0
	s_mov_b64 s[4:5], 0
	s_and_saveexec_b64 s[14:15], vcc
	s_cbranch_execz .LBB1565_125
; %bb.120:
	s_andn2_b64 vcc, exec, s[6:7]
	s_mov_b64 s[0:1], 0
	s_cbranch_vccnz .LBB1565_124
; %bb.121:
	v_mul_lo_u32 v19, v5, s26
	s_waitcnt vmcnt(0) lgkmcnt(1)
	v_mul_lo_u32 v20, v4, s27
	v_mad_u64_u32 v[16:17], s[0:1], v4, s26, 0
	v_add3_u32 v17, v17, v20, v19
	v_mul_lo_u32 v19, v15, s26
	v_mul_lo_u32 v22, v14, s27
	v_mad_u64_u32 v[20:21], s[0:1], v14, s26, 0
	v_add3_u32 v21, v21, v22, v19
	s_add_u32 s40, s26, -1
	v_lshl_add_u64 v[16:17], v[16:17], 2, s[28:29]
	v_lshl_add_u64 v[20:21], v[20:21], 2, s[28:29]
	s_addc_u32 s41, s27, -1
                                        ; implicit-def: $sgpr38_sgpr39
.LBB1565_122:                           ; =>This Inner Loop Header: Depth=1
	global_load_dword v19, v[16:17], off
	global_load_dword v22, v[20:21], off
	s_add_u32 s0, s40, -1
	s_addc_u32 s1, s41, -1
	s_cmp_eq_u64 s[40:41], 0
	s_mov_b64 s[40:41], s[0:1]
	s_cselect_b64 s[42:43], -1, 0
	v_lshl_add_u64 v[16:17], v[16:17], 0, 4
	v_lshl_add_u64 v[20:21], v[20:21], 0, 4
	s_waitcnt vmcnt(0)
	v_cmp_ne_u32_e64 s[0:1], v19, v22
	s_or_b64 s[0:1], s[0:1], s[42:43]
	s_and_b64 s[0:1], exec, s[0:1]
	v_cmp_eq_u32_e32 vcc, v19, v22
	s_or_b64 s[4:5], s[0:1], s[4:5]
	s_andn2_b64 s[0:1], s[38:39], exec
	s_and_b64 s[38:39], vcc, exec
	s_or_b64 s[38:39], s[0:1], s[38:39]
	s_andn2_b64 exec, exec, s[4:5]
	s_cbranch_execnz .LBB1565_122
; %bb.123:
	s_or_b64 exec, exec, s[4:5]
	s_xor_b64 s[0:1], s[38:39], -1
.LBB1565_124:
	s_and_b64 s[4:5], s[0:1], exec
.LBB1565_125:
	s_or_b64 exec, exec, s[14:15]
	v_add_u32_e32 v16, 5, v1
	v_cmp_gt_u32_e32 vcc, s50, v16
	s_and_saveexec_b64 s[14:15], vcc
	s_cbranch_execz .LBB1565_131
; %bb.126:
	s_andn2_b64 vcc, exec, s[6:7]
	s_mov_b64 s[0:1], 0
	s_cbranch_vccnz .LBB1565_130
; %bb.127:
	v_mul_lo_u32 v19, v3, s26
	s_waitcnt vmcnt(0) lgkmcnt(1)
	v_mul_lo_u32 v20, v2, s27
	v_mad_u64_u32 v[16:17], s[0:1], v2, s26, 0
	v_add3_u32 v17, v17, v20, v19
	v_mul_lo_u32 v19, v5, s26
	v_mul_lo_u32 v22, v4, s27
	v_mad_u64_u32 v[20:21], s[0:1], v4, s26, 0
	v_add3_u32 v21, v21, v22, v19
	s_add_u32 s40, s26, -1
	v_lshl_add_u64 v[16:17], v[16:17], 2, s[28:29]
	v_lshl_add_u64 v[20:21], v[20:21], 2, s[28:29]
	s_addc_u32 s41, s27, -1
	s_mov_b64 s[12:13], 0
                                        ; implicit-def: $sgpr38_sgpr39
.LBB1565_128:                           ; =>This Inner Loop Header: Depth=1
	global_load_dword v19, v[16:17], off
	global_load_dword v22, v[20:21], off
	s_add_u32 s0, s40, -1
	s_addc_u32 s1, s41, -1
	s_cmp_eq_u64 s[40:41], 0
	s_mov_b64 s[40:41], s[0:1]
	s_cselect_b64 s[42:43], -1, 0
	v_lshl_add_u64 v[16:17], v[16:17], 0, 4
	v_lshl_add_u64 v[20:21], v[20:21], 0, 4
	s_waitcnt vmcnt(0)
	v_cmp_ne_u32_e64 s[0:1], v19, v22
	s_or_b64 s[0:1], s[0:1], s[42:43]
	s_and_b64 s[0:1], exec, s[0:1]
	v_cmp_eq_u32_e32 vcc, v19, v22
	s_or_b64 s[12:13], s[0:1], s[12:13]
	s_andn2_b64 s[0:1], s[38:39], exec
	s_and_b64 s[38:39], vcc, exec
	s_or_b64 s[38:39], s[0:1], s[38:39]
	s_andn2_b64 exec, exec, s[12:13]
	s_cbranch_execnz .LBB1565_128
; %bb.129:
	s_or_b64 exec, exec, s[12:13]
	s_xor_b64 s[0:1], s[38:39], -1
.LBB1565_130:
	s_and_b64 s[12:13], s[0:1], exec
.LBB1565_131:
	s_or_b64 exec, exec, s[14:15]
	v_add_u32_e32 v16, 4, v1
	v_cmp_gt_u32_e32 vcc, s50, v16
	s_mov_b64 s[14:15], 0
	s_mov_b64 s[38:39], 0
	s_and_saveexec_b64 s[40:41], vcc
	s_cbranch_execz .LBB1565_137
; %bb.132:
	s_andn2_b64 vcc, exec, s[6:7]
	s_mov_b64 s[0:1], 0
	s_cbranch_vccnz .LBB1565_136
; %bb.133:
	v_mul_lo_u32 v19, v9, s26
	s_waitcnt vmcnt(0) lgkmcnt(1)
	v_mul_lo_u32 v20, v8, s27
	v_mad_u64_u32 v[16:17], s[0:1], v8, s26, 0
	v_add3_u32 v17, v17, v20, v19
	v_mul_lo_u32 v19, v3, s26
	v_mul_lo_u32 v22, v2, s27
	v_mad_u64_u32 v[20:21], s[0:1], v2, s26, 0
	v_add3_u32 v21, v21, v22, v19
	s_add_u32 s44, s26, -1
	v_lshl_add_u64 v[16:17], v[16:17], 2, s[28:29]
	v_lshl_add_u64 v[20:21], v[20:21], 2, s[28:29]
	s_addc_u32 s45, s27, -1
                                        ; implicit-def: $sgpr42_sgpr43
.LBB1565_134:                           ; =>This Inner Loop Header: Depth=1
	global_load_dword v19, v[16:17], off
	global_load_dword v22, v[20:21], off
	s_add_u32 s0, s44, -1
	s_addc_u32 s1, s45, -1
	s_cmp_eq_u64 s[44:45], 0
	s_mov_b64 s[44:45], s[0:1]
	s_cselect_b64 s[46:47], -1, 0
	v_lshl_add_u64 v[16:17], v[16:17], 0, 4
	v_lshl_add_u64 v[20:21], v[20:21], 0, 4
	s_waitcnt vmcnt(0)
	v_cmp_ne_u32_e64 s[0:1], v19, v22
	s_or_b64 s[0:1], s[0:1], s[46:47]
	s_and_b64 s[0:1], exec, s[0:1]
	v_cmp_eq_u32_e32 vcc, v19, v22
	s_or_b64 s[38:39], s[0:1], s[38:39]
	s_andn2_b64 s[0:1], s[42:43], exec
	s_and_b64 s[42:43], vcc, exec
	s_or_b64 s[42:43], s[0:1], s[42:43]
	s_andn2_b64 exec, exec, s[38:39]
	s_cbranch_execnz .LBB1565_134
; %bb.135:
	s_or_b64 exec, exec, s[38:39]
	s_xor_b64 s[0:1], s[42:43], -1
.LBB1565_136:
	s_and_b64 s[38:39], s[0:1], exec
.LBB1565_137:
	s_or_b64 exec, exec, s[40:41]
	v_add_u32_e32 v16, 3, v1
	v_cmp_gt_u32_e32 vcc, s50, v16
	s_and_saveexec_b64 s[40:41], vcc
	s_cbranch_execz .LBB1565_143
; %bb.138:
	s_andn2_b64 vcc, exec, s[6:7]
	s_mov_b64 s[0:1], 0
	s_cbranch_vccnz .LBB1565_142
; %bb.139:
	v_mul_lo_u32 v19, v7, s26
	s_waitcnt vmcnt(0) lgkmcnt(1)
	v_mul_lo_u32 v20, v6, s27
	v_mad_u64_u32 v[16:17], s[0:1], v6, s26, 0
	v_add3_u32 v17, v17, v20, v19
	v_mul_lo_u32 v19, v9, s26
	v_mul_lo_u32 v22, v8, s27
	v_mad_u64_u32 v[20:21], s[0:1], v8, s26, 0
	v_add3_u32 v21, v21, v22, v19
	s_add_u32 s44, s26, -1
	v_lshl_add_u64 v[16:17], v[16:17], 2, s[28:29]
	v_lshl_add_u64 v[20:21], v[20:21], 2, s[28:29]
	s_addc_u32 s45, s27, -1
	s_mov_b64 s[14:15], 0
                                        ; implicit-def: $sgpr42_sgpr43
.LBB1565_140:                           ; =>This Inner Loop Header: Depth=1
	global_load_dword v19, v[16:17], off
	global_load_dword v22, v[20:21], off
	s_add_u32 s0, s44, -1
	s_addc_u32 s1, s45, -1
	s_cmp_eq_u64 s[44:45], 0
	s_mov_b64 s[44:45], s[0:1]
	s_cselect_b64 s[46:47], -1, 0
	v_lshl_add_u64 v[16:17], v[16:17], 0, 4
	v_lshl_add_u64 v[20:21], v[20:21], 0, 4
	s_waitcnt vmcnt(0)
	v_cmp_ne_u32_e64 s[0:1], v19, v22
	s_or_b64 s[0:1], s[0:1], s[46:47]
	s_and_b64 s[0:1], exec, s[0:1]
	v_cmp_eq_u32_e32 vcc, v19, v22
	s_or_b64 s[14:15], s[0:1], s[14:15]
	s_andn2_b64 s[0:1], s[42:43], exec
	s_and_b64 s[42:43], vcc, exec
	s_or_b64 s[42:43], s[0:1], s[42:43]
	s_andn2_b64 exec, exec, s[14:15]
	s_cbranch_execnz .LBB1565_140
; %bb.141:
	s_or_b64 exec, exec, s[14:15]
	s_xor_b64 s[0:1], s[42:43], -1
.LBB1565_142:
	s_and_b64 s[14:15], s[0:1], exec
.LBB1565_143:
	s_or_b64 exec, exec, s[40:41]
	v_add_u32_e32 v16, 2, v1
	v_cmp_gt_u32_e32 vcc, s50, v16
	s_mov_b64 s[40:41], 0
	s_mov_b64 s[42:43], 0
	s_and_saveexec_b64 s[44:45], vcc
	s_cbranch_execz .LBB1565_149
; %bb.144:
	s_andn2_b64 vcc, exec, s[6:7]
	s_mov_b64 s[0:1], 0
	s_cbranch_vccnz .LBB1565_148
; %bb.145:
	v_mul_lo_u32 v19, v13, s26
	s_waitcnt vmcnt(0) lgkmcnt(1)
	v_mul_lo_u32 v20, v12, s27
	v_mad_u64_u32 v[16:17], s[0:1], v12, s26, 0
	v_add3_u32 v17, v17, v20, v19
	v_mul_lo_u32 v19, v7, s26
	v_mul_lo_u32 v22, v6, s27
	v_mad_u64_u32 v[20:21], s[0:1], v6, s26, 0
	v_add3_u32 v21, v21, v22, v19
	s_add_u32 s48, s26, -1
	v_lshl_add_u64 v[16:17], v[16:17], 2, s[28:29]
	v_lshl_add_u64 v[20:21], v[20:21], 2, s[28:29]
	s_addc_u32 s49, s27, -1
                                        ; implicit-def: $sgpr46_sgpr47
.LBB1565_146:                           ; =>This Inner Loop Header: Depth=1
	global_load_dword v19, v[16:17], off
	global_load_dword v22, v[20:21], off
	s_add_u32 s0, s48, -1
	s_addc_u32 s1, s49, -1
	s_cmp_eq_u64 s[48:49], 0
	s_mov_b64 s[48:49], s[0:1]
	s_cselect_b64 s[52:53], -1, 0
	v_lshl_add_u64 v[16:17], v[16:17], 0, 4
	v_lshl_add_u64 v[20:21], v[20:21], 0, 4
	s_waitcnt vmcnt(0)
	v_cmp_ne_u32_e64 s[0:1], v19, v22
	s_or_b64 s[0:1], s[0:1], s[52:53]
	s_and_b64 s[0:1], exec, s[0:1]
	v_cmp_eq_u32_e32 vcc, v19, v22
	s_or_b64 s[42:43], s[0:1], s[42:43]
	s_andn2_b64 s[0:1], s[46:47], exec
	s_and_b64 s[46:47], vcc, exec
	s_or_b64 s[46:47], s[0:1], s[46:47]
	s_andn2_b64 exec, exec, s[42:43]
	s_cbranch_execnz .LBB1565_146
; %bb.147:
	s_or_b64 exec, exec, s[42:43]
	s_xor_b64 s[0:1], s[46:47], -1
.LBB1565_148:
	s_and_b64 s[42:43], s[0:1], exec
.LBB1565_149:
	s_or_b64 exec, exec, s[44:45]
	v_add_u32_e32 v16, 1, v1
	v_cmp_gt_u32_e32 vcc, s50, v16
	s_and_saveexec_b64 s[44:45], vcc
	s_cbranch_execz .LBB1565_155
; %bb.150:
	s_andn2_b64 vcc, exec, s[6:7]
	s_mov_b64 s[0:1], 0
	s_cbranch_vccnz .LBB1565_154
; %bb.151:
	v_mul_lo_u32 v19, v11, s26
	s_waitcnt vmcnt(0) lgkmcnt(1)
	v_mul_lo_u32 v20, v10, s27
	v_mad_u64_u32 v[16:17], s[0:1], v10, s26, 0
	v_add3_u32 v17, v17, v20, v19
	v_mul_lo_u32 v19, v13, s26
	v_mul_lo_u32 v22, v12, s27
	v_mad_u64_u32 v[20:21], s[0:1], v12, s26, 0
	v_add3_u32 v21, v21, v22, v19
	s_add_u32 s48, s26, -1
	v_lshl_add_u64 v[16:17], v[16:17], 2, s[28:29]
	v_lshl_add_u64 v[20:21], v[20:21], 2, s[28:29]
	s_addc_u32 s49, s27, -1
	s_mov_b64 s[40:41], 0
                                        ; implicit-def: $sgpr46_sgpr47
.LBB1565_152:                           ; =>This Inner Loop Header: Depth=1
	global_load_dword v19, v[16:17], off
	global_load_dword v22, v[20:21], off
	s_add_u32 s0, s48, -1
	s_addc_u32 s1, s49, -1
	s_cmp_eq_u64 s[48:49], 0
	s_mov_b64 s[48:49], s[0:1]
	s_cselect_b64 s[52:53], -1, 0
	v_lshl_add_u64 v[16:17], v[16:17], 0, 4
	v_lshl_add_u64 v[20:21], v[20:21], 0, 4
	s_waitcnt vmcnt(0)
	v_cmp_ne_u32_e64 s[0:1], v19, v22
	s_or_b64 s[0:1], s[0:1], s[52:53]
	s_and_b64 s[0:1], exec, s[0:1]
	v_cmp_eq_u32_e32 vcc, v19, v22
	s_or_b64 s[40:41], s[0:1], s[40:41]
	s_andn2_b64 s[0:1], s[46:47], exec
	s_and_b64 s[46:47], vcc, exec
	s_or_b64 s[46:47], s[0:1], s[46:47]
	s_andn2_b64 exec, exec, s[40:41]
	s_cbranch_execnz .LBB1565_152
; %bb.153:
	s_or_b64 exec, exec, s[40:41]
	s_xor_b64 s[0:1], s[46:47], -1
.LBB1565_154:
	s_and_b64 s[40:41], s[0:1], exec
.LBB1565_155:
	s_or_b64 exec, exec, s[44:45]
	v_cndmask_b32_e64 v17, 0, 1, s[38:39]
	v_cndmask_b32_e64 v40, 0, 1, s[12:13]
	;; [unrolled: 1-line block ×4, first 2 shown]
	s_waitcnt vmcnt(0) lgkmcnt(1)
	v_cndmask_b32_e64 v20, 0, 1, s[14:15]
	v_cndmask_b32_e64 v42, 0, 1, s[40:41]
	v_mov_b32_e32 v16, 1
	s_waitcnt lgkmcnt(0)
	s_barrier
                                        ; implicit-def: $sgpr0_sgpr1
                                        ; implicit-def: $vgpr22
	s_and_saveexec_b64 s[4:5], s[2:3]
	s_cbranch_execz .LBB1565_163
; %bb.156:
	v_lshlrev_b16_e32 v21, 8, v42
	v_lshlrev_b16_e32 v22, 8, v20
	v_or_b32_e32 v21, 1, v21
	v_or_b32_sdwa v22, v41, v22 dst_sel:WORD_1 dst_unused:UNUSED_PAD src0_sel:DWORD src1_sel:DWORD
	v_cmp_gt_u32_e32 vcc, s50, v1
	v_or_b32_sdwa v21, v21, v22 dst_sel:DWORD dst_unused:UNUSED_PAD src0_sel:WORD_0 src1_sel:DWORD
	s_mov_b32 s38, 0x3020104
	s_mov_b64 s[0:1], 0
	s_and_saveexec_b64 s[2:3], vcc
	s_cbranch_execz .LBB1565_162
; %bb.157:
	s_andn2_b64 vcc, exec, s[6:7]
	s_cbranch_vccnz .LBB1565_161
; %bb.158:
	v_add_u32_e32 v22, -8, v26
	ds_read_b64 v[22:23], v22
	v_mul_lo_u32 v26, v11, s26
	v_mul_lo_u32 v27, v10, s27
	s_add_u32 s14, s26, -1
	s_addc_u32 s15, s27, -1
	s_waitcnt lgkmcnt(0)
	v_mul_lo_u32 v24, v23, s26
	v_mul_lo_u32 v25, v22, s27
	v_mad_u64_u32 v[22:23], s[0:1], v22, s26, 0
	v_add3_u32 v23, v23, v25, v24
	v_mad_u64_u32 v[24:25], s[0:1], v10, s26, 0
	v_add3_u32 v25, v25, v27, v26
	v_lshl_add_u64 v[22:23], v[22:23], 2, s[28:29]
	v_lshl_add_u64 v[24:25], v[24:25], 2, s[28:29]
	s_mov_b64 s[6:7], 0
                                        ; implicit-def: $sgpr12_sgpr13
.LBB1565_159:                           ; =>This Inner Loop Header: Depth=1
	global_load_dword v26, v[22:23], off
	global_load_dword v27, v[24:25], off
	s_add_u32 s0, s14, -1
	s_addc_u32 s1, s15, -1
	s_cmp_eq_u64 s[14:15], 0
	s_mov_b64 s[14:15], s[0:1]
	s_cselect_b64 s[26:27], -1, 0
	v_lshl_add_u64 v[22:23], v[22:23], 0, 4
	v_lshl_add_u64 v[24:25], v[24:25], 0, 4
	s_waitcnt vmcnt(0)
	v_cmp_ne_u32_e64 s[0:1], v26, v27
	s_or_b64 s[0:1], s[0:1], s[26:27]
	s_and_b64 s[0:1], exec, s[0:1]
	v_cmp_eq_u32_e32 vcc, v26, v27
	s_or_b64 s[6:7], s[0:1], s[6:7]
	s_andn2_b64 s[0:1], s[12:13], exec
	s_and_b64 s[12:13], vcc, exec
	s_or_b64 s[12:13], s[0:1], s[12:13]
	s_andn2_b64 exec, exec, s[6:7]
	s_cbranch_execnz .LBB1565_159
; %bb.160:
	s_or_b64 exec, exec, s[6:7]
	s_xor_b64 s[0:1], s[12:13], -1
.LBB1565_161:
	s_and_b64 s[0:1], s[0:1], exec
.LBB1565_162:
	s_or_b64 exec, exec, s[2:3]
	v_perm_b32 v22, v21, v21, s38
	s_or_b64 s[10:11], s[10:11], exec
.LBB1565_163:
	s_or_b64 exec, exec, s[4:5]
.LBB1565_164:
	s_and_saveexec_b64 s[2:3], s[10:11]
	s_cbranch_execz .LBB1565_166
; %bb.165:
	s_waitcnt vmcnt(0) lgkmcnt(0)
	v_lshrrev_b32_e32 v20, 24, v22
	v_lshrrev_b32_e32 v41, 16, v22
	;; [unrolled: 1-line block ×3, first 2 shown]
	v_cndmask_b32_e64 v16, 0, 1, s[0:1]
.LBB1565_166:
	s_or_b64 exec, exec, s[2:3]
	s_andn2_b64 vcc, exec, s[8:9]
	s_cbranch_vccnz .LBB1565_170
; %bb.167:
	s_mov_b32 s0, 0xc0c0004
	s_waitcnt vmcnt(0) lgkmcnt(0)
	v_perm_b32 v20, v41, v20, s0
	v_perm_b32 v16, v16, v42, s0
	v_lshlrev_b32_e32 v20, 16, v20
	v_or_b32_e32 v16, v16, v20
	v_cmp_gt_u32_e32 vcc, s50, v1
	v_add_u32_e32 v22, 1, v1
	v_perm_b32 v17, v17, v40, s0
	v_cndmask_b32_e32 v20, v20, v16, vcc
	v_and_b32_e32 v20, 0xffff00ff, v20
	v_cmp_gt_u32_e32 vcc, s50, v22
	v_add_u32_e32 v22, 2, v1
	s_mov_b32 s0, 0x40c0100
	v_cndmask_b32_e32 v20, v20, v16, vcc
	v_lshrrev_b32_e32 v23, 24, v20
	v_and_b32_e32 v19, 0xff, v19
	v_perm_b32 v20, v23, v20, s0
	v_cmp_gt_u32_e32 vcc, s50, v22
	v_lshlrev_b32_e32 v19, 16, v19
	v_add_u32_e32 v22, 3, v1
	v_cndmask_b32_e32 v20, v20, v16, vcc
	s_mov_b32 s0, 0xffff00
	v_or_b32_e32 v21, v17, v19
	v_and_b32_e32 v20, 0xffffff, v20
	v_cmp_gt_u32_e32 vcc, s50, v22
	v_bitop3_b32 v17, v17, s0, v19 bitop3:0xc8
	v_add_u32_e32 v19, 4, v1
	v_cndmask_b32_e32 v20, v20, v16, vcc
	v_cmp_gt_u32_e32 vcc, s50, v19
	v_add_u32_e32 v19, 5, v1
	v_cmp_gt_u32_e64 s[0:1], s50, v19
	v_cndmask_b32_e32 v17, v17, v21, vcc
	v_and_b32_e32 v17, 0xffff00ff, v17
	s_or_b64 vcc, s[0:1], vcc
	v_cndmask_b32_e64 v17, v17, v21, s[0:1]
	v_cndmask_b32_e32 v16, v20, v16, vcc
	v_add_u32_e32 v1, 6, v1
	v_lshrrev_b32_e32 v41, 16, v16
	v_lshrrev_b32_e32 v42, 8, v16
	v_lshrrev_b64 v[20:21], 24, v[16:17]
	v_lshrrev_b32_e32 v19, 16, v17
	v_lshrrev_b32_e32 v40, 8, v17
	v_cmp_le_u32_e32 vcc, s50, v1
	s_and_saveexec_b64 s[0:1], vcc
; %bb.168:
	v_mov_b32_e32 v19, 0
; %bb.169:
	s_or_b64 exec, exec, s[0:1]
.LBB1565_170:
	v_and_b32_e32 v1, 0xff, v16
	s_waitcnt vmcnt(0) lgkmcnt(0)
	v_and_b32_e32 v21, 0xff, v42
	v_and_b32_e32 v33, 0xff, v41
	;; [unrolled: 1-line block ×4, first 2 shown]
	v_add3_u32 v23, v21, v1, v33
	v_and_b32_e32 v39, 0xff, v40
	v_and_b32_e32 v22, 0xff, v19
	v_add3_u32 v23, v23, v35, v37
	v_add3_u32 v45, v23, v39, v22
	v_mbcnt_lo_u32_b32 v22, -1, 0
	v_mbcnt_hi_u32_b32 v43, -1, v22
	v_and_b32_e32 v22, 15, v43
	v_cmp_eq_u32_e64 s[14:15], 0, v22
	v_cmp_lt_u32_e64 s[12:13], 1, v22
	v_cmp_lt_u32_e64 s[10:11], 3, v22
	;; [unrolled: 1-line block ×3, first 2 shown]
	v_and_b32_e32 v22, 16, v43
	v_cmp_eq_u32_e64 s[6:7], 0, v22
	v_or_b32_e32 v22, 63, v0
	v_cmp_lt_u32_e64 s[2:3], 31, v43
	v_lshrrev_b32_e32 v44, 6, v0
	v_cmp_eq_u32_e64 s[4:5], v0, v22
	s_and_b64 vcc, exec, s[16:17]
	s_barrier
	s_cbranch_vccz .LBB1565_192
; %bb.171:
	v_mov_b32_dpp v22, v45 row_shr:1 row_mask:0xf bank_mask:0xf
	v_cndmask_b32_e64 v22, v22, 0, s[14:15]
	v_add_u32_e32 v22, v22, v45
	s_nop 1
	v_mov_b32_dpp v23, v22 row_shr:2 row_mask:0xf bank_mask:0xf
	v_cndmask_b32_e64 v23, 0, v23, s[12:13]
	v_add_u32_e32 v22, v22, v23
	s_nop 1
	;; [unrolled: 4-line block ×4, first 2 shown]
	v_mov_b32_dpp v23, v22 row_bcast:15 row_mask:0xf bank_mask:0xf
	v_cndmask_b32_e64 v23, v23, 0, s[6:7]
	v_add_u32_e32 v22, v22, v23
	s_nop 1
	v_mov_b32_dpp v23, v22 row_bcast:31 row_mask:0xf bank_mask:0xf
	v_cndmask_b32_e64 v23, 0, v23, s[2:3]
	v_add_u32_e32 v22, v22, v23
	s_and_saveexec_b64 s[0:1], s[4:5]
; %bb.172:
	v_lshlrev_b32_e32 v23, 2, v44
	ds_write_b32 v23, v22
; %bb.173:
	s_or_b64 exec, exec, s[0:1]
	v_cmp_gt_u32_e32 vcc, 8, v0
	s_waitcnt lgkmcnt(0)
	s_barrier
	s_and_saveexec_b64 s[0:1], vcc
	s_cbranch_execz .LBB1565_175
; %bb.174:
	v_lshlrev_b32_e32 v23, 2, v0
	ds_read_b32 v24, v23
	v_and_b32_e32 v25, 7, v43
	v_cmp_ne_u32_e32 vcc, 0, v25
	s_waitcnt lgkmcnt(0)
	v_mov_b32_dpp v26, v24 row_shr:1 row_mask:0xf bank_mask:0xf
	v_cndmask_b32_e32 v26, 0, v26, vcc
	v_add_u32_e32 v24, v26, v24
	v_cmp_lt_u32_e32 vcc, 1, v25
	s_nop 0
	v_mov_b32_dpp v26, v24 row_shr:2 row_mask:0xf bank_mask:0xf
	v_cndmask_b32_e32 v26, 0, v26, vcc
	v_add_u32_e32 v24, v24, v26
	v_cmp_lt_u32_e32 vcc, 3, v25
	s_nop 0
	v_mov_b32_dpp v26, v24 row_shr:4 row_mask:0xf bank_mask:0xf
	v_cndmask_b32_e32 v25, 0, v26, vcc
	v_add_u32_e32 v24, v24, v25
	ds_write_b32 v23, v24
.LBB1565_175:
	s_or_b64 exec, exec, s[0:1]
	v_cmp_gt_u32_e32 vcc, 64, v0
	v_cmp_lt_u32_e64 s[0:1], 63, v0
	s_waitcnt lgkmcnt(0)
	s_barrier
                                        ; implicit-def: $vgpr32
	s_and_saveexec_b64 s[16:17], s[0:1]
	s_cbranch_execz .LBB1565_177
; %bb.176:
	v_lshl_add_u32 v23, v44, 2, -4
	ds_read_b32 v32, v23
	s_waitcnt lgkmcnt(0)
	v_add_u32_e32 v22, v32, v22
.LBB1565_177:
	s_or_b64 exec, exec, s[16:17]
	v_subrev_co_u32_e64 v23, s[16:17], 1, v43
	v_and_b32_e32 v24, 64, v43
	v_cmp_lt_i32_e64 s[0:1], v23, v24
	s_nop 1
	v_cndmask_b32_e64 v23, v23, v43, s[0:1]
	v_lshlrev_b32_e32 v23, 2, v23
	ds_bpermute_b32 v34, v23, v22
	s_and_saveexec_b64 s[0:1], vcc
	s_cbranch_execz .LBB1565_197
; %bb.178:
	v_mov_b32_e32 v29, 0
	ds_read_b32 v22, v29 offset:28
	s_and_saveexec_b64 s[26:27], s[16:17]
	s_cbranch_execz .LBB1565_180
; %bb.179:
	s_add_i32 s28, s33, 64
	s_mov_b32 s29, 0
	s_lshl_b64 s[28:29], s[28:29], 3
	s_add_u32 s28, s30, s28
	v_mov_b32_e32 v23, 1
	s_addc_u32 s29, s31, s29
	s_waitcnt lgkmcnt(0)
	global_store_dwordx2 v29, v[22:23], s[28:29] sc1
.LBB1565_180:
	s_or_b64 exec, exec, s[26:27]
	v_xad_u32 v24, v43, -1, s33
	v_add_u32_e32 v28, 64, v24
	v_lshl_add_u64 v[30:31], v[28:29], 3, s[30:31]
	global_load_dwordx2 v[26:27], v[30:31], off sc1
	s_waitcnt vmcnt(0)
	v_cmp_eq_u16_sdwa s[28:29], v27, v29 src0_sel:BYTE_0 src1_sel:DWORD
	s_and_saveexec_b64 s[26:27], s[28:29]
	s_cbranch_execz .LBB1565_184
; %bb.181:
	s_mov_b64 s[28:29], 0
	v_mov_b32_e32 v23, 0
.LBB1565_182:                           ; =>This Inner Loop Header: Depth=1
	global_load_dwordx2 v[26:27], v[30:31], off sc1
	s_waitcnt vmcnt(0)
	v_cmp_ne_u16_sdwa s[38:39], v27, v23 src0_sel:BYTE_0 src1_sel:DWORD
	s_or_b64 s[28:29], s[38:39], s[28:29]
	s_andn2_b64 exec, exec, s[28:29]
	s_cbranch_execnz .LBB1565_182
; %bb.183:
	s_or_b64 exec, exec, s[28:29]
.LBB1565_184:
	s_or_b64 exec, exec, s[26:27]
	v_and_b32_e32 v38, 63, v43
	v_mov_b32_e32 v36, 2
	v_cmp_ne_u32_e32 vcc, 63, v38
	v_cmp_eq_u16_sdwa s[26:27], v27, v36 src0_sel:BYTE_0 src1_sel:DWORD
	v_lshlrev_b64 v[28:29], v43, -1
	v_addc_co_u32_e32 v30, vcc, 0, v43, vcc
	v_and_b32_e32 v23, s27, v29
	v_lshlrev_b32_e32 v46, 2, v30
	v_or_b32_e32 v23, 0x80000000, v23
	ds_bpermute_b32 v30, v46, v26
	v_and_b32_e32 v25, s26, v28
	v_ffbl_b32_e32 v23, v23
	v_add_u32_e32 v23, 32, v23
	v_ffbl_b32_e32 v25, v25
	v_min_u32_e32 v23, v25, v23
	v_cmp_lt_u32_e32 vcc, v38, v23
	v_add_u32_e32 v48, 2, v38
	v_add_u32_e32 v50, 4, v38
	s_waitcnt lgkmcnt(0)
	v_cndmask_b32_e32 v25, 0, v30, vcc
	v_cmp_gt_u32_e32 vcc, 62, v38
	v_add_u32_e32 v25, v25, v26
	v_add_u32_e32 v52, 8, v38
	v_cndmask_b32_e64 v26, 0, 2, vcc
	v_add_lshl_u32 v47, v26, v43, 2
	ds_bpermute_b32 v26, v47, v25
	v_cmp_le_u32_e32 vcc, v48, v23
	v_add_u32_e32 v54, 16, v38
	v_add_u32_e32 v56, 32, v38
	s_waitcnt lgkmcnt(0)
	v_cndmask_b32_e32 v26, 0, v26, vcc
	v_cmp_gt_u32_e32 vcc, 60, v38
	v_add_u32_e32 v25, v25, v26
	s_nop 0
	v_cndmask_b32_e64 v26, 0, 4, vcc
	v_add_lshl_u32 v49, v26, v43, 2
	ds_bpermute_b32 v26, v49, v25
	v_cmp_le_u32_e32 vcc, v50, v23
	s_waitcnt lgkmcnt(0)
	s_nop 0
	v_cndmask_b32_e32 v26, 0, v26, vcc
	v_cmp_gt_u32_e32 vcc, 56, v38
	v_add_u32_e32 v25, v25, v26
	s_nop 0
	v_cndmask_b32_e64 v26, 0, 8, vcc
	v_add_lshl_u32 v51, v26, v43, 2
	ds_bpermute_b32 v26, v51, v25
	v_cmp_le_u32_e32 vcc, v52, v23
	s_waitcnt lgkmcnt(0)
	s_nop 0
	v_cndmask_b32_e32 v26, 0, v26, vcc
	v_cmp_gt_u32_e32 vcc, 48, v38
	v_add_u32_e32 v25, v25, v26
	s_nop 0
	v_cndmask_b32_e64 v26, 0, 16, vcc
	v_add_lshl_u32 v53, v26, v43, 2
	ds_bpermute_b32 v26, v53, v25
	v_cmp_le_u32_e32 vcc, v54, v23
	s_waitcnt lgkmcnt(0)
	s_nop 0
	v_cndmask_b32_e32 v26, 0, v26, vcc
	v_add_u32_e32 v25, v25, v26
	v_mov_b32_e32 v26, 0x80
	v_lshl_or_b32 v55, v43, 2, v26
	ds_bpermute_b32 v26, v55, v25
	v_cmp_le_u32_e32 vcc, v56, v23
	s_waitcnt lgkmcnt(0)
	s_nop 0
	v_cndmask_b32_e32 v23, 0, v26, vcc
	v_add_u32_e32 v26, v25, v23
	v_mov_b32_e32 v25, 0
	s_branch .LBB1565_187
.LBB1565_185:                           ;   in Loop: Header=BB1565_187 Depth=1
	s_or_b64 exec, exec, s[26:27]
	v_cmp_eq_u16_sdwa s[26:27], v27, v36 src0_sel:BYTE_0 src1_sel:DWORD
	ds_bpermute_b32 v57, v46, v26
	v_subrev_u32_e32 v24, 64, v24
	v_and_b32_e32 v30, s27, v29
	v_or_b32_e32 v30, 0x80000000, v30
	v_and_b32_e32 v31, s26, v28
	v_ffbl_b32_e32 v30, v30
	v_add_u32_e32 v30, 32, v30
	v_ffbl_b32_e32 v31, v31
	v_min_u32_e32 v30, v31, v30
	v_cmp_lt_u32_e32 vcc, v38, v30
	s_mov_b64 s[26:27], 0
	s_waitcnt lgkmcnt(0)
	v_cndmask_b32_e32 v31, 0, v57, vcc
	v_add_u32_e32 v26, v31, v26
	ds_bpermute_b32 v31, v47, v26
	v_cmp_le_u32_e32 vcc, v48, v30
	s_waitcnt lgkmcnt(0)
	s_nop 0
	v_cndmask_b32_e32 v31, 0, v31, vcc
	v_add_u32_e32 v26, v26, v31
	ds_bpermute_b32 v31, v49, v26
	v_cmp_le_u32_e32 vcc, v50, v30
	s_waitcnt lgkmcnt(0)
	s_nop 0
	;; [unrolled: 6-line block ×5, first 2 shown]
	v_cndmask_b32_e32 v30, 0, v31, vcc
	v_add3_u32 v26, v30, v23, v26
.LBB1565_186:                           ;   in Loop: Header=BB1565_187 Depth=1
	s_and_b64 vcc, exec, s[26:27]
	s_cbranch_vccnz .LBB1565_193
.LBB1565_187:                           ; =>This Loop Header: Depth=1
                                        ;     Child Loop BB1565_190 Depth 2
	v_cmp_ne_u16_sdwa s[26:27], v27, v36 src0_sel:BYTE_0 src1_sel:DWORD
	v_mov_b32_e32 v23, v26
	s_cmp_lg_u64 s[26:27], exec
	s_mov_b64 s[26:27], -1
                                        ; implicit-def: $vgpr26
                                        ; implicit-def: $vgpr27
	s_cbranch_scc1 .LBB1565_186
; %bb.188:                              ;   in Loop: Header=BB1565_187 Depth=1
	v_lshl_add_u64 v[30:31], v[24:25], 3, s[30:31]
	global_load_dwordx2 v[26:27], v[30:31], off sc1
	s_waitcnt vmcnt(0)
	v_cmp_eq_u16_sdwa s[28:29], v27, v25 src0_sel:BYTE_0 src1_sel:DWORD
	s_and_saveexec_b64 s[26:27], s[28:29]
	s_cbranch_execz .LBB1565_185
; %bb.189:                              ;   in Loop: Header=BB1565_187 Depth=1
	s_mov_b64 s[28:29], 0
.LBB1565_190:                           ;   Parent Loop BB1565_187 Depth=1
                                        ; =>  This Inner Loop Header: Depth=2
	global_load_dwordx2 v[26:27], v[30:31], off sc1
	s_waitcnt vmcnt(0)
	v_cmp_ne_u16_sdwa s[38:39], v27, v25 src0_sel:BYTE_0 src1_sel:DWORD
	s_or_b64 s[28:29], s[38:39], s[28:29]
	s_andn2_b64 exec, exec, s[28:29]
	s_cbranch_execnz .LBB1565_190
; %bb.191:                              ;   in Loop: Header=BB1565_187 Depth=1
	s_or_b64 exec, exec, s[28:29]
	s_branch .LBB1565_185
.LBB1565_192:
                                        ; implicit-def: $vgpr26
                                        ; implicit-def: $vgpr28
                                        ; implicit-def: $vgpr30
                                        ; implicit-def: $vgpr32
                                        ; implicit-def: $vgpr34
                                        ; implicit-def: $vgpr36
                                        ; implicit-def: $vgpr38
                                        ; implicit-def: $vgpr24
                                        ; implicit-def: $vgpr22
	s_cbranch_execnz .LBB1565_198
	s_branch .LBB1565_207
.LBB1565_193:
	s_and_saveexec_b64 s[26:27], s[16:17]
	s_cbranch_execz .LBB1565_195
; %bb.194:
	s_add_i32 s28, s33, 64
	s_mov_b32 s29, 0
	s_lshl_b64 s[28:29], s[28:29], 3
	s_add_u32 s28, s30, s28
	v_add_u32_e32 v24, v23, v22
	v_mov_b32_e32 v25, 2
	s_addc_u32 s29, s31, s29
	v_mov_b32_e32 v26, 0
	global_store_dwordx2 v26, v[24:25], s[28:29] sc1
	ds_write_b64 v26, v[22:23] offset:28672
.LBB1565_195:
	s_or_b64 exec, exec, s[26:27]
	s_and_b64 exec, exec, s[18:19]
; %bb.196:
	v_mov_b32_e32 v22, 0
	ds_write_b32 v22, v23 offset:28
.LBB1565_197:
	s_or_b64 exec, exec, s[0:1]
	v_mov_b32_e32 v22, 0
	s_waitcnt lgkmcnt(0)
	s_barrier
	ds_read_b32 v23, v22 offset:28
	v_cndmask_b32_e64 v24, v34, v32, s[16:17]
	v_cndmask_b32_e64 v24, v24, 0, s[18:19]
	s_waitcnt lgkmcnt(0)
	s_barrier
	v_add_u32_e32 v38, v23, v24
	v_add_u32_e32 v36, v38, v1
	ds_read_b64 v[22:23], v22 offset:28672
	v_add_u32_e32 v34, v36, v21
	v_add_u32_e32 v32, v34, v33
	;; [unrolled: 1-line block ×5, first 2 shown]
	s_waitcnt lgkmcnt(0)
	v_mov_b32_e32 v24, v23
	s_branch .LBB1565_207
.LBB1565_198:
	v_mov_b32_dpp v22, v45 row_shr:1 row_mask:0xf bank_mask:0xf
	v_cndmask_b32_e64 v22, v22, 0, s[14:15]
	v_add_u32_e32 v22, v22, v45
	s_nop 1
	v_mov_b32_dpp v23, v22 row_shr:2 row_mask:0xf bank_mask:0xf
	v_cndmask_b32_e64 v23, 0, v23, s[12:13]
	v_add_u32_e32 v22, v22, v23
	s_nop 1
	;; [unrolled: 4-line block ×4, first 2 shown]
	v_mov_b32_dpp v23, v22 row_bcast:15 row_mask:0xf bank_mask:0xf
	v_cndmask_b32_e64 v23, v23, 0, s[6:7]
	v_add_u32_e32 v22, v22, v23
	s_nop 1
	v_mov_b32_dpp v23, v22 row_bcast:31 row_mask:0xf bank_mask:0xf
	v_cndmask_b32_e64 v23, 0, v23, s[2:3]
	v_add_u32_e32 v22, v22, v23
	s_and_saveexec_b64 s[0:1], s[4:5]
; %bb.199:
	v_lshlrev_b32_e32 v23, 2, v44
	ds_write_b32 v23, v22
; %bb.200:
	s_or_b64 exec, exec, s[0:1]
	v_cmp_gt_u32_e32 vcc, 8, v0
	s_waitcnt lgkmcnt(0)
	s_barrier
	s_and_saveexec_b64 s[0:1], vcc
	s_cbranch_execz .LBB1565_202
; %bb.201:
	v_lshlrev_b32_e32 v23, 2, v0
	ds_read_b32 v24, v23
	v_and_b32_e32 v25, 7, v43
	v_cmp_ne_u32_e32 vcc, 0, v25
	s_waitcnt lgkmcnt(0)
	v_mov_b32_dpp v26, v24 row_shr:1 row_mask:0xf bank_mask:0xf
	v_cndmask_b32_e32 v26, 0, v26, vcc
	v_add_u32_e32 v24, v26, v24
	v_cmp_lt_u32_e32 vcc, 1, v25
	s_nop 0
	v_mov_b32_dpp v26, v24 row_shr:2 row_mask:0xf bank_mask:0xf
	v_cndmask_b32_e32 v26, 0, v26, vcc
	v_add_u32_e32 v24, v24, v26
	v_cmp_lt_u32_e32 vcc, 3, v25
	s_nop 0
	v_mov_b32_dpp v26, v24 row_shr:4 row_mask:0xf bank_mask:0xf
	v_cndmask_b32_e32 v25, 0, v26, vcc
	v_add_u32_e32 v24, v24, v25
	ds_write_b32 v23, v24
.LBB1565_202:
	s_or_b64 exec, exec, s[0:1]
	v_cmp_lt_u32_e32 vcc, 63, v0
	v_mov_b32_e32 v23, 0
	v_mov_b32_e32 v24, 0
	s_waitcnt lgkmcnt(0)
	s_barrier
	s_and_saveexec_b64 s[0:1], vcc
; %bb.203:
	v_lshl_add_u32 v24, v44, 2, -4
	ds_read_b32 v24, v24
; %bb.204:
	s_or_b64 exec, exec, s[0:1]
	v_subrev_co_u32_e32 v25, vcc, 1, v43
	v_and_b32_e32 v26, 64, v43
	v_cmp_lt_i32_e64 s[0:1], v25, v26
	s_waitcnt lgkmcnt(0)
	v_add_u32_e32 v22, v24, v22
	v_cndmask_b32_e64 v25, v25, v43, s[0:1]
	v_lshlrev_b32_e32 v25, 2, v25
	ds_bpermute_b32 v25, v25, v22
	ds_read_b32 v22, v23 offset:28
	s_and_saveexec_b64 s[0:1], s[18:19]
	s_cbranch_execz .LBB1565_206
; %bb.205:
	v_mov_b32_e32 v26, 0
	v_mov_b32_e32 v23, 2
	s_waitcnt lgkmcnt(0)
	global_store_dwordx2 v26, v[22:23], s[30:31] offset:512 sc1
.LBB1565_206:
	s_or_b64 exec, exec, s[0:1]
	s_waitcnt lgkmcnt(1)
	v_cndmask_b32_e32 v23, v25, v24, vcc
	v_cndmask_b32_e64 v38, v23, 0, s[18:19]
	v_add_u32_e32 v36, v38, v1
	v_add_u32_e32 v34, v36, v21
	;; [unrolled: 1-line block ×6, first 2 shown]
	s_waitcnt lgkmcnt(0)
	s_barrier
	v_mov_b32_e32 v24, 0
.LBB1565_207:
	s_movk_i32 s0, 0x201
	v_cmp_gt_u32_e32 vcc, s0, v22
	v_and_b32_e32 v1, 1, v16
	s_mov_b64 s[2:3], -1
	v_cmp_eq_u32_e64 s[0:1], 1, v1
	s_cbranch_vccnz .LBB1565_211
; %bb.208:
	s_and_b64 vcc, exec, s[2:3]
	s_cbranch_vccnz .LBB1565_226
.LBB1565_209:
	s_and_b64 s[0:1], s[18:19], s[24:25]
	s_and_saveexec_b64 s[2:3], s[0:1]
	s_cbranch_execnz .LBB1565_243
.LBB1565_210:
	s_endpgm
.LBB1565_211:
	v_add_u32_e32 v16, v24, v22
	v_cmp_lt_u32_e32 vcc, v38, v16
	s_or_b64 s[2:3], s[36:37], vcc
	s_and_b64 s[2:3], s[2:3], s[0:1]
	s_and_saveexec_b64 s[0:1], s[2:3]
	s_cbranch_execz .LBB1565_213
; %bb.212:
	s_lshl_b64 s[2:3], s[22:23], 3
	s_add_u32 s2, s34, s2
	s_addc_u32 s3, s35, s3
	v_mov_b32_e32 v39, 0
	v_lshl_add_u64 v[44:45], v[38:39], 3, s[2:3]
	global_store_dwordx2 v[44:45], v[10:11], off
.LBB1565_213:
	s_or_b64 exec, exec, s[0:1]
	v_cmp_lt_u32_e32 vcc, v36, v16
	v_and_b32_e32 v21, 1, v42
	s_or_b64 s[0:1], s[36:37], vcc
	v_cmp_eq_u32_e32 vcc, 1, v21
	s_and_b64 s[2:3], s[0:1], vcc
	s_and_saveexec_b64 s[0:1], s[2:3]
	s_cbranch_execz .LBB1565_215
; %bb.214:
	s_lshl_b64 s[2:3], s[22:23], 3
	s_add_u32 s2, s34, s2
	s_addc_u32 s3, s35, s3
	v_mov_b32_e32 v37, 0
	v_lshl_add_u64 v[44:45], v[36:37], 3, s[2:3]
	global_store_dwordx2 v[44:45], v[12:13], off
.LBB1565_215:
	s_or_b64 exec, exec, s[0:1]
	v_cmp_lt_u32_e32 vcc, v34, v16
	v_and_b32_e32 v21, 1, v41
	s_or_b64 s[0:1], s[36:37], vcc
	v_cmp_eq_u32_e32 vcc, 1, v21
	s_and_b64 s[2:3], s[0:1], vcc
	;; [unrolled: 16-line block ×6, first 2 shown]
	s_and_saveexec_b64 s[0:1], s[2:3]
	s_cbranch_execz .LBB1565_225
; %bb.224:
	s_lshl_b64 s[2:3], s[22:23], 3
	s_add_u32 s2, s34, s2
	s_addc_u32 s3, s35, s3
	v_mov_b32_e32 v27, 0
	v_lshl_add_u64 v[44:45], v[26:27], 3, s[2:3]
	global_store_dwordx2 v[44:45], v[14:15], off
.LBB1565_225:
	s_or_b64 exec, exec, s[0:1]
	s_branch .LBB1565_209
.LBB1565_226:
	v_cmp_eq_u32_e32 vcc, 1, v1
	s_and_saveexec_b64 s[0:1], vcc
; %bb.227:
	v_sub_u32_e32 v1, v38, v24
	v_lshlrev_b32_e32 v1, 3, v1
	ds_write_b64 v1, v[10:11]
; %bb.228:
	s_or_b64 exec, exec, s[0:1]
	v_and_b32_e32 v1, 1, v42
	v_cmp_eq_u32_e32 vcc, 1, v1
	s_and_saveexec_b64 s[0:1], vcc
; %bb.229:
	v_sub_u32_e32 v1, v36, v24
	v_lshlrev_b32_e32 v1, 3, v1
	ds_write_b64 v1, v[12:13]
; %bb.230:
	s_or_b64 exec, exec, s[0:1]
	v_and_b32_e32 v1, 1, v41
	;; [unrolled: 9-line block ×6, first 2 shown]
	v_cmp_eq_u32_e32 vcc, 1, v1
	s_and_saveexec_b64 s[0:1], vcc
; %bb.239:
	v_sub_u32_e32 v1, v26, v24
	v_lshlrev_b32_e32 v1, 3, v1
	ds_write_b64 v1, v[14:15]
; %bb.240:
	s_or_b64 exec, exec, s[0:1]
	v_mov_b32_e32 v25, 0
	s_lshl_b64 s[0:1], s[22:23], 3
	v_lshlrev_b64 v[2:3], 3, v[24:25]
	v_lshl_add_u64 v[2:3], s[0:1], 0, v[2:3]
	v_mov_b32_e32 v19, v25
	v_lshl_add_u64 v[2:3], s[34:35], 0, v[2:3]
	v_lshl_add_u64 v[2:3], v[2:3], 0, v[18:19]
	s_mov_b64 s[0:1], 0
	s_mov_b64 s[2:3], 0x1000
	s_waitcnt lgkmcnt(0)
	s_barrier
.LBB1565_241:                           ; =>This Inner Loop Header: Depth=1
	ds_read_b64 v[4:5], v18
	v_add_u32_e32 v0, 0x200, v0
	v_cmp_ge_u32_e32 vcc, v0, v22
	v_add_u32_e32 v18, 0x1000, v18
	s_or_b64 s[0:1], vcc, s[0:1]
	s_waitcnt lgkmcnt(0)
	global_store_dwordx2 v[2:3], v[4:5], off
	v_lshl_add_u64 v[2:3], v[2:3], 0, s[2:3]
	s_andn2_b64 exec, exec, s[0:1]
	s_cbranch_execnz .LBB1565_241
; %bb.242:
	s_or_b64 exec, exec, s[0:1]
	s_and_b64 s[0:1], s[18:19], s[24:25]
	s_and_saveexec_b64 s[2:3], s[0:1]
	s_cbranch_execz .LBB1565_210
.LBB1565_243:
	v_mov_b32_e32 v23, 0
	v_lshl_add_u64 v[0:1], s[22:23], 0, v[22:23]
	v_mov_b32_e32 v25, v23
	v_lshl_add_u64 v[0:1], v[0:1], 0, v[24:25]
	global_store_dwordx2 v23, v[0:1], s[20:21]
	s_endpgm
	.section	.rodata,"a",@progbits
	.p2align	6, 0x0
	.amdhsa_kernel _ZN7rocprim17ROCPRIM_400000_NS6detail17trampoline_kernelINS0_14default_configENS1_25partition_config_selectorILNS1_17partition_subalgoE8ElNS0_10empty_typeEbEEZZNS1_14partition_implILS5_8ELb0ES3_jPlPS6_PKS6_NS0_5tupleIJS9_S6_EEENSD_IJSA_SA_EEENS0_18inequality_wrapperIZN2at6native12_GLOBAL__N_124unique_dim_cuda_templateIjEESt5tupleIJNSH_6TensorESM_SM_EERKSM_lbbbEUlllE0_EEPmJS6_EEE10hipError_tPvRmT3_T4_T5_T6_T7_T9_mT8_P12ihipStream_tbDpT10_ENKUlT_T0_E_clISt17integral_constantIbLb0EES1B_IbLb1EEEEDaS17_S18_EUlS17_E_NS1_11comp_targetILNS1_3genE0ELNS1_11target_archE4294967295ELNS1_3gpuE0ELNS1_3repE0EEENS1_30default_config_static_selectorELNS0_4arch9wavefront6targetE1EEEvT1_
		.amdhsa_group_segment_fixed_size 28680
		.amdhsa_private_segment_fixed_size 0
		.amdhsa_kernarg_size 136
		.amdhsa_user_sgpr_count 2
		.amdhsa_user_sgpr_dispatch_ptr 0
		.amdhsa_user_sgpr_queue_ptr 0
		.amdhsa_user_sgpr_kernarg_segment_ptr 1
		.amdhsa_user_sgpr_dispatch_id 0
		.amdhsa_user_sgpr_kernarg_preload_length 0
		.amdhsa_user_sgpr_kernarg_preload_offset 0
		.amdhsa_user_sgpr_private_segment_size 0
		.amdhsa_uses_dynamic_stack 0
		.amdhsa_enable_private_segment 0
		.amdhsa_system_sgpr_workgroup_id_x 1
		.amdhsa_system_sgpr_workgroup_id_y 0
		.amdhsa_system_sgpr_workgroup_id_z 0
		.amdhsa_system_sgpr_workgroup_info 0
		.amdhsa_system_vgpr_workitem_id 0
		.amdhsa_next_free_vgpr 58
		.amdhsa_next_free_sgpr 54
		.amdhsa_accum_offset 60
		.amdhsa_reserve_vcc 1
		.amdhsa_float_round_mode_32 0
		.amdhsa_float_round_mode_16_64 0
		.amdhsa_float_denorm_mode_32 3
		.amdhsa_float_denorm_mode_16_64 3
		.amdhsa_dx10_clamp 1
		.amdhsa_ieee_mode 1
		.amdhsa_fp16_overflow 0
		.amdhsa_tg_split 0
		.amdhsa_exception_fp_ieee_invalid_op 0
		.amdhsa_exception_fp_denorm_src 0
		.amdhsa_exception_fp_ieee_div_zero 0
		.amdhsa_exception_fp_ieee_overflow 0
		.amdhsa_exception_fp_ieee_underflow 0
		.amdhsa_exception_fp_ieee_inexact 0
		.amdhsa_exception_int_div_zero 0
	.end_amdhsa_kernel
	.section	.text._ZN7rocprim17ROCPRIM_400000_NS6detail17trampoline_kernelINS0_14default_configENS1_25partition_config_selectorILNS1_17partition_subalgoE8ElNS0_10empty_typeEbEEZZNS1_14partition_implILS5_8ELb0ES3_jPlPS6_PKS6_NS0_5tupleIJS9_S6_EEENSD_IJSA_SA_EEENS0_18inequality_wrapperIZN2at6native12_GLOBAL__N_124unique_dim_cuda_templateIjEESt5tupleIJNSH_6TensorESM_SM_EERKSM_lbbbEUlllE0_EEPmJS6_EEE10hipError_tPvRmT3_T4_T5_T6_T7_T9_mT8_P12ihipStream_tbDpT10_ENKUlT_T0_E_clISt17integral_constantIbLb0EES1B_IbLb1EEEEDaS17_S18_EUlS17_E_NS1_11comp_targetILNS1_3genE0ELNS1_11target_archE4294967295ELNS1_3gpuE0ELNS1_3repE0EEENS1_30default_config_static_selectorELNS0_4arch9wavefront6targetE1EEEvT1_,"axG",@progbits,_ZN7rocprim17ROCPRIM_400000_NS6detail17trampoline_kernelINS0_14default_configENS1_25partition_config_selectorILNS1_17partition_subalgoE8ElNS0_10empty_typeEbEEZZNS1_14partition_implILS5_8ELb0ES3_jPlPS6_PKS6_NS0_5tupleIJS9_S6_EEENSD_IJSA_SA_EEENS0_18inequality_wrapperIZN2at6native12_GLOBAL__N_124unique_dim_cuda_templateIjEESt5tupleIJNSH_6TensorESM_SM_EERKSM_lbbbEUlllE0_EEPmJS6_EEE10hipError_tPvRmT3_T4_T5_T6_T7_T9_mT8_P12ihipStream_tbDpT10_ENKUlT_T0_E_clISt17integral_constantIbLb0EES1B_IbLb1EEEEDaS17_S18_EUlS17_E_NS1_11comp_targetILNS1_3genE0ELNS1_11target_archE4294967295ELNS1_3gpuE0ELNS1_3repE0EEENS1_30default_config_static_selectorELNS0_4arch9wavefront6targetE1EEEvT1_,comdat
.Lfunc_end1565:
	.size	_ZN7rocprim17ROCPRIM_400000_NS6detail17trampoline_kernelINS0_14default_configENS1_25partition_config_selectorILNS1_17partition_subalgoE8ElNS0_10empty_typeEbEEZZNS1_14partition_implILS5_8ELb0ES3_jPlPS6_PKS6_NS0_5tupleIJS9_S6_EEENSD_IJSA_SA_EEENS0_18inequality_wrapperIZN2at6native12_GLOBAL__N_124unique_dim_cuda_templateIjEESt5tupleIJNSH_6TensorESM_SM_EERKSM_lbbbEUlllE0_EEPmJS6_EEE10hipError_tPvRmT3_T4_T5_T6_T7_T9_mT8_P12ihipStream_tbDpT10_ENKUlT_T0_E_clISt17integral_constantIbLb0EES1B_IbLb1EEEEDaS17_S18_EUlS17_E_NS1_11comp_targetILNS1_3genE0ELNS1_11target_archE4294967295ELNS1_3gpuE0ELNS1_3repE0EEENS1_30default_config_static_selectorELNS0_4arch9wavefront6targetE1EEEvT1_, .Lfunc_end1565-_ZN7rocprim17ROCPRIM_400000_NS6detail17trampoline_kernelINS0_14default_configENS1_25partition_config_selectorILNS1_17partition_subalgoE8ElNS0_10empty_typeEbEEZZNS1_14partition_implILS5_8ELb0ES3_jPlPS6_PKS6_NS0_5tupleIJS9_S6_EEENSD_IJSA_SA_EEENS0_18inequality_wrapperIZN2at6native12_GLOBAL__N_124unique_dim_cuda_templateIjEESt5tupleIJNSH_6TensorESM_SM_EERKSM_lbbbEUlllE0_EEPmJS6_EEE10hipError_tPvRmT3_T4_T5_T6_T7_T9_mT8_P12ihipStream_tbDpT10_ENKUlT_T0_E_clISt17integral_constantIbLb0EES1B_IbLb1EEEEDaS17_S18_EUlS17_E_NS1_11comp_targetILNS1_3genE0ELNS1_11target_archE4294967295ELNS1_3gpuE0ELNS1_3repE0EEENS1_30default_config_static_selectorELNS0_4arch9wavefront6targetE1EEEvT1_
                                        ; -- End function
	.set _ZN7rocprim17ROCPRIM_400000_NS6detail17trampoline_kernelINS0_14default_configENS1_25partition_config_selectorILNS1_17partition_subalgoE8ElNS0_10empty_typeEbEEZZNS1_14partition_implILS5_8ELb0ES3_jPlPS6_PKS6_NS0_5tupleIJS9_S6_EEENSD_IJSA_SA_EEENS0_18inequality_wrapperIZN2at6native12_GLOBAL__N_124unique_dim_cuda_templateIjEESt5tupleIJNSH_6TensorESM_SM_EERKSM_lbbbEUlllE0_EEPmJS6_EEE10hipError_tPvRmT3_T4_T5_T6_T7_T9_mT8_P12ihipStream_tbDpT10_ENKUlT_T0_E_clISt17integral_constantIbLb0EES1B_IbLb1EEEEDaS17_S18_EUlS17_E_NS1_11comp_targetILNS1_3genE0ELNS1_11target_archE4294967295ELNS1_3gpuE0ELNS1_3repE0EEENS1_30default_config_static_selectorELNS0_4arch9wavefront6targetE1EEEvT1_.num_vgpr, 58
	.set _ZN7rocprim17ROCPRIM_400000_NS6detail17trampoline_kernelINS0_14default_configENS1_25partition_config_selectorILNS1_17partition_subalgoE8ElNS0_10empty_typeEbEEZZNS1_14partition_implILS5_8ELb0ES3_jPlPS6_PKS6_NS0_5tupleIJS9_S6_EEENSD_IJSA_SA_EEENS0_18inequality_wrapperIZN2at6native12_GLOBAL__N_124unique_dim_cuda_templateIjEESt5tupleIJNSH_6TensorESM_SM_EERKSM_lbbbEUlllE0_EEPmJS6_EEE10hipError_tPvRmT3_T4_T5_T6_T7_T9_mT8_P12ihipStream_tbDpT10_ENKUlT_T0_E_clISt17integral_constantIbLb0EES1B_IbLb1EEEEDaS17_S18_EUlS17_E_NS1_11comp_targetILNS1_3genE0ELNS1_11target_archE4294967295ELNS1_3gpuE0ELNS1_3repE0EEENS1_30default_config_static_selectorELNS0_4arch9wavefront6targetE1EEEvT1_.num_agpr, 0
	.set _ZN7rocprim17ROCPRIM_400000_NS6detail17trampoline_kernelINS0_14default_configENS1_25partition_config_selectorILNS1_17partition_subalgoE8ElNS0_10empty_typeEbEEZZNS1_14partition_implILS5_8ELb0ES3_jPlPS6_PKS6_NS0_5tupleIJS9_S6_EEENSD_IJSA_SA_EEENS0_18inequality_wrapperIZN2at6native12_GLOBAL__N_124unique_dim_cuda_templateIjEESt5tupleIJNSH_6TensorESM_SM_EERKSM_lbbbEUlllE0_EEPmJS6_EEE10hipError_tPvRmT3_T4_T5_T6_T7_T9_mT8_P12ihipStream_tbDpT10_ENKUlT_T0_E_clISt17integral_constantIbLb0EES1B_IbLb1EEEEDaS17_S18_EUlS17_E_NS1_11comp_targetILNS1_3genE0ELNS1_11target_archE4294967295ELNS1_3gpuE0ELNS1_3repE0EEENS1_30default_config_static_selectorELNS0_4arch9wavefront6targetE1EEEvT1_.numbered_sgpr, 54
	.set _ZN7rocprim17ROCPRIM_400000_NS6detail17trampoline_kernelINS0_14default_configENS1_25partition_config_selectorILNS1_17partition_subalgoE8ElNS0_10empty_typeEbEEZZNS1_14partition_implILS5_8ELb0ES3_jPlPS6_PKS6_NS0_5tupleIJS9_S6_EEENSD_IJSA_SA_EEENS0_18inequality_wrapperIZN2at6native12_GLOBAL__N_124unique_dim_cuda_templateIjEESt5tupleIJNSH_6TensorESM_SM_EERKSM_lbbbEUlllE0_EEPmJS6_EEE10hipError_tPvRmT3_T4_T5_T6_T7_T9_mT8_P12ihipStream_tbDpT10_ENKUlT_T0_E_clISt17integral_constantIbLb0EES1B_IbLb1EEEEDaS17_S18_EUlS17_E_NS1_11comp_targetILNS1_3genE0ELNS1_11target_archE4294967295ELNS1_3gpuE0ELNS1_3repE0EEENS1_30default_config_static_selectorELNS0_4arch9wavefront6targetE1EEEvT1_.num_named_barrier, 0
	.set _ZN7rocprim17ROCPRIM_400000_NS6detail17trampoline_kernelINS0_14default_configENS1_25partition_config_selectorILNS1_17partition_subalgoE8ElNS0_10empty_typeEbEEZZNS1_14partition_implILS5_8ELb0ES3_jPlPS6_PKS6_NS0_5tupleIJS9_S6_EEENSD_IJSA_SA_EEENS0_18inequality_wrapperIZN2at6native12_GLOBAL__N_124unique_dim_cuda_templateIjEESt5tupleIJNSH_6TensorESM_SM_EERKSM_lbbbEUlllE0_EEPmJS6_EEE10hipError_tPvRmT3_T4_T5_T6_T7_T9_mT8_P12ihipStream_tbDpT10_ENKUlT_T0_E_clISt17integral_constantIbLb0EES1B_IbLb1EEEEDaS17_S18_EUlS17_E_NS1_11comp_targetILNS1_3genE0ELNS1_11target_archE4294967295ELNS1_3gpuE0ELNS1_3repE0EEENS1_30default_config_static_selectorELNS0_4arch9wavefront6targetE1EEEvT1_.private_seg_size, 0
	.set _ZN7rocprim17ROCPRIM_400000_NS6detail17trampoline_kernelINS0_14default_configENS1_25partition_config_selectorILNS1_17partition_subalgoE8ElNS0_10empty_typeEbEEZZNS1_14partition_implILS5_8ELb0ES3_jPlPS6_PKS6_NS0_5tupleIJS9_S6_EEENSD_IJSA_SA_EEENS0_18inequality_wrapperIZN2at6native12_GLOBAL__N_124unique_dim_cuda_templateIjEESt5tupleIJNSH_6TensorESM_SM_EERKSM_lbbbEUlllE0_EEPmJS6_EEE10hipError_tPvRmT3_T4_T5_T6_T7_T9_mT8_P12ihipStream_tbDpT10_ENKUlT_T0_E_clISt17integral_constantIbLb0EES1B_IbLb1EEEEDaS17_S18_EUlS17_E_NS1_11comp_targetILNS1_3genE0ELNS1_11target_archE4294967295ELNS1_3gpuE0ELNS1_3repE0EEENS1_30default_config_static_selectorELNS0_4arch9wavefront6targetE1EEEvT1_.uses_vcc, 1
	.set _ZN7rocprim17ROCPRIM_400000_NS6detail17trampoline_kernelINS0_14default_configENS1_25partition_config_selectorILNS1_17partition_subalgoE8ElNS0_10empty_typeEbEEZZNS1_14partition_implILS5_8ELb0ES3_jPlPS6_PKS6_NS0_5tupleIJS9_S6_EEENSD_IJSA_SA_EEENS0_18inequality_wrapperIZN2at6native12_GLOBAL__N_124unique_dim_cuda_templateIjEESt5tupleIJNSH_6TensorESM_SM_EERKSM_lbbbEUlllE0_EEPmJS6_EEE10hipError_tPvRmT3_T4_T5_T6_T7_T9_mT8_P12ihipStream_tbDpT10_ENKUlT_T0_E_clISt17integral_constantIbLb0EES1B_IbLb1EEEEDaS17_S18_EUlS17_E_NS1_11comp_targetILNS1_3genE0ELNS1_11target_archE4294967295ELNS1_3gpuE0ELNS1_3repE0EEENS1_30default_config_static_selectorELNS0_4arch9wavefront6targetE1EEEvT1_.uses_flat_scratch, 0
	.set _ZN7rocprim17ROCPRIM_400000_NS6detail17trampoline_kernelINS0_14default_configENS1_25partition_config_selectorILNS1_17partition_subalgoE8ElNS0_10empty_typeEbEEZZNS1_14partition_implILS5_8ELb0ES3_jPlPS6_PKS6_NS0_5tupleIJS9_S6_EEENSD_IJSA_SA_EEENS0_18inequality_wrapperIZN2at6native12_GLOBAL__N_124unique_dim_cuda_templateIjEESt5tupleIJNSH_6TensorESM_SM_EERKSM_lbbbEUlllE0_EEPmJS6_EEE10hipError_tPvRmT3_T4_T5_T6_T7_T9_mT8_P12ihipStream_tbDpT10_ENKUlT_T0_E_clISt17integral_constantIbLb0EES1B_IbLb1EEEEDaS17_S18_EUlS17_E_NS1_11comp_targetILNS1_3genE0ELNS1_11target_archE4294967295ELNS1_3gpuE0ELNS1_3repE0EEENS1_30default_config_static_selectorELNS0_4arch9wavefront6targetE1EEEvT1_.has_dyn_sized_stack, 0
	.set _ZN7rocprim17ROCPRIM_400000_NS6detail17trampoline_kernelINS0_14default_configENS1_25partition_config_selectorILNS1_17partition_subalgoE8ElNS0_10empty_typeEbEEZZNS1_14partition_implILS5_8ELb0ES3_jPlPS6_PKS6_NS0_5tupleIJS9_S6_EEENSD_IJSA_SA_EEENS0_18inequality_wrapperIZN2at6native12_GLOBAL__N_124unique_dim_cuda_templateIjEESt5tupleIJNSH_6TensorESM_SM_EERKSM_lbbbEUlllE0_EEPmJS6_EEE10hipError_tPvRmT3_T4_T5_T6_T7_T9_mT8_P12ihipStream_tbDpT10_ENKUlT_T0_E_clISt17integral_constantIbLb0EES1B_IbLb1EEEEDaS17_S18_EUlS17_E_NS1_11comp_targetILNS1_3genE0ELNS1_11target_archE4294967295ELNS1_3gpuE0ELNS1_3repE0EEENS1_30default_config_static_selectorELNS0_4arch9wavefront6targetE1EEEvT1_.has_recursion, 0
	.set _ZN7rocprim17ROCPRIM_400000_NS6detail17trampoline_kernelINS0_14default_configENS1_25partition_config_selectorILNS1_17partition_subalgoE8ElNS0_10empty_typeEbEEZZNS1_14partition_implILS5_8ELb0ES3_jPlPS6_PKS6_NS0_5tupleIJS9_S6_EEENSD_IJSA_SA_EEENS0_18inequality_wrapperIZN2at6native12_GLOBAL__N_124unique_dim_cuda_templateIjEESt5tupleIJNSH_6TensorESM_SM_EERKSM_lbbbEUlllE0_EEPmJS6_EEE10hipError_tPvRmT3_T4_T5_T6_T7_T9_mT8_P12ihipStream_tbDpT10_ENKUlT_T0_E_clISt17integral_constantIbLb0EES1B_IbLb1EEEEDaS17_S18_EUlS17_E_NS1_11comp_targetILNS1_3genE0ELNS1_11target_archE4294967295ELNS1_3gpuE0ELNS1_3repE0EEENS1_30default_config_static_selectorELNS0_4arch9wavefront6targetE1EEEvT1_.has_indirect_call, 0
	.section	.AMDGPU.csdata,"",@progbits
; Kernel info:
; codeLenInByte = 11008
; TotalNumSgprs: 60
; NumVgprs: 58
; NumAgprs: 0
; TotalNumVgprs: 58
; ScratchSize: 0
; MemoryBound: 0
; FloatMode: 240
; IeeeMode: 1
; LDSByteSize: 28680 bytes/workgroup (compile time only)
; SGPRBlocks: 7
; VGPRBlocks: 7
; NumSGPRsForWavesPerEU: 60
; NumVGPRsForWavesPerEU: 58
; AccumOffset: 60
; Occupancy: 8
; WaveLimiterHint : 1
; COMPUTE_PGM_RSRC2:SCRATCH_EN: 0
; COMPUTE_PGM_RSRC2:USER_SGPR: 2
; COMPUTE_PGM_RSRC2:TRAP_HANDLER: 0
; COMPUTE_PGM_RSRC2:TGID_X_EN: 1
; COMPUTE_PGM_RSRC2:TGID_Y_EN: 0
; COMPUTE_PGM_RSRC2:TGID_Z_EN: 0
; COMPUTE_PGM_RSRC2:TIDIG_COMP_CNT: 0
; COMPUTE_PGM_RSRC3_GFX90A:ACCUM_OFFSET: 14
; COMPUTE_PGM_RSRC3_GFX90A:TG_SPLIT: 0
	.section	.text._ZN7rocprim17ROCPRIM_400000_NS6detail17trampoline_kernelINS0_14default_configENS1_25partition_config_selectorILNS1_17partition_subalgoE8ElNS0_10empty_typeEbEEZZNS1_14partition_implILS5_8ELb0ES3_jPlPS6_PKS6_NS0_5tupleIJS9_S6_EEENSD_IJSA_SA_EEENS0_18inequality_wrapperIZN2at6native12_GLOBAL__N_124unique_dim_cuda_templateIjEESt5tupleIJNSH_6TensorESM_SM_EERKSM_lbbbEUlllE0_EEPmJS6_EEE10hipError_tPvRmT3_T4_T5_T6_T7_T9_mT8_P12ihipStream_tbDpT10_ENKUlT_T0_E_clISt17integral_constantIbLb0EES1B_IbLb1EEEEDaS17_S18_EUlS17_E_NS1_11comp_targetILNS1_3genE5ELNS1_11target_archE942ELNS1_3gpuE9ELNS1_3repE0EEENS1_30default_config_static_selectorELNS0_4arch9wavefront6targetE1EEEvT1_,"axG",@progbits,_ZN7rocprim17ROCPRIM_400000_NS6detail17trampoline_kernelINS0_14default_configENS1_25partition_config_selectorILNS1_17partition_subalgoE8ElNS0_10empty_typeEbEEZZNS1_14partition_implILS5_8ELb0ES3_jPlPS6_PKS6_NS0_5tupleIJS9_S6_EEENSD_IJSA_SA_EEENS0_18inequality_wrapperIZN2at6native12_GLOBAL__N_124unique_dim_cuda_templateIjEESt5tupleIJNSH_6TensorESM_SM_EERKSM_lbbbEUlllE0_EEPmJS6_EEE10hipError_tPvRmT3_T4_T5_T6_T7_T9_mT8_P12ihipStream_tbDpT10_ENKUlT_T0_E_clISt17integral_constantIbLb0EES1B_IbLb1EEEEDaS17_S18_EUlS17_E_NS1_11comp_targetILNS1_3genE5ELNS1_11target_archE942ELNS1_3gpuE9ELNS1_3repE0EEENS1_30default_config_static_selectorELNS0_4arch9wavefront6targetE1EEEvT1_,comdat
	.globl	_ZN7rocprim17ROCPRIM_400000_NS6detail17trampoline_kernelINS0_14default_configENS1_25partition_config_selectorILNS1_17partition_subalgoE8ElNS0_10empty_typeEbEEZZNS1_14partition_implILS5_8ELb0ES3_jPlPS6_PKS6_NS0_5tupleIJS9_S6_EEENSD_IJSA_SA_EEENS0_18inequality_wrapperIZN2at6native12_GLOBAL__N_124unique_dim_cuda_templateIjEESt5tupleIJNSH_6TensorESM_SM_EERKSM_lbbbEUlllE0_EEPmJS6_EEE10hipError_tPvRmT3_T4_T5_T6_T7_T9_mT8_P12ihipStream_tbDpT10_ENKUlT_T0_E_clISt17integral_constantIbLb0EES1B_IbLb1EEEEDaS17_S18_EUlS17_E_NS1_11comp_targetILNS1_3genE5ELNS1_11target_archE942ELNS1_3gpuE9ELNS1_3repE0EEENS1_30default_config_static_selectorELNS0_4arch9wavefront6targetE1EEEvT1_ ; -- Begin function _ZN7rocprim17ROCPRIM_400000_NS6detail17trampoline_kernelINS0_14default_configENS1_25partition_config_selectorILNS1_17partition_subalgoE8ElNS0_10empty_typeEbEEZZNS1_14partition_implILS5_8ELb0ES3_jPlPS6_PKS6_NS0_5tupleIJS9_S6_EEENSD_IJSA_SA_EEENS0_18inequality_wrapperIZN2at6native12_GLOBAL__N_124unique_dim_cuda_templateIjEESt5tupleIJNSH_6TensorESM_SM_EERKSM_lbbbEUlllE0_EEPmJS6_EEE10hipError_tPvRmT3_T4_T5_T6_T7_T9_mT8_P12ihipStream_tbDpT10_ENKUlT_T0_E_clISt17integral_constantIbLb0EES1B_IbLb1EEEEDaS17_S18_EUlS17_E_NS1_11comp_targetILNS1_3genE5ELNS1_11target_archE942ELNS1_3gpuE9ELNS1_3repE0EEENS1_30default_config_static_selectorELNS0_4arch9wavefront6targetE1EEEvT1_
	.p2align	8
	.type	_ZN7rocprim17ROCPRIM_400000_NS6detail17trampoline_kernelINS0_14default_configENS1_25partition_config_selectorILNS1_17partition_subalgoE8ElNS0_10empty_typeEbEEZZNS1_14partition_implILS5_8ELb0ES3_jPlPS6_PKS6_NS0_5tupleIJS9_S6_EEENSD_IJSA_SA_EEENS0_18inequality_wrapperIZN2at6native12_GLOBAL__N_124unique_dim_cuda_templateIjEESt5tupleIJNSH_6TensorESM_SM_EERKSM_lbbbEUlllE0_EEPmJS6_EEE10hipError_tPvRmT3_T4_T5_T6_T7_T9_mT8_P12ihipStream_tbDpT10_ENKUlT_T0_E_clISt17integral_constantIbLb0EES1B_IbLb1EEEEDaS17_S18_EUlS17_E_NS1_11comp_targetILNS1_3genE5ELNS1_11target_archE942ELNS1_3gpuE9ELNS1_3repE0EEENS1_30default_config_static_selectorELNS0_4arch9wavefront6targetE1EEEvT1_,@function
_ZN7rocprim17ROCPRIM_400000_NS6detail17trampoline_kernelINS0_14default_configENS1_25partition_config_selectorILNS1_17partition_subalgoE8ElNS0_10empty_typeEbEEZZNS1_14partition_implILS5_8ELb0ES3_jPlPS6_PKS6_NS0_5tupleIJS9_S6_EEENSD_IJSA_SA_EEENS0_18inequality_wrapperIZN2at6native12_GLOBAL__N_124unique_dim_cuda_templateIjEESt5tupleIJNSH_6TensorESM_SM_EERKSM_lbbbEUlllE0_EEPmJS6_EEE10hipError_tPvRmT3_T4_T5_T6_T7_T9_mT8_P12ihipStream_tbDpT10_ENKUlT_T0_E_clISt17integral_constantIbLb0EES1B_IbLb1EEEEDaS17_S18_EUlS17_E_NS1_11comp_targetILNS1_3genE5ELNS1_11target_archE942ELNS1_3gpuE9ELNS1_3repE0EEENS1_30default_config_static_selectorELNS0_4arch9wavefront6targetE1EEEvT1_: ; @_ZN7rocprim17ROCPRIM_400000_NS6detail17trampoline_kernelINS0_14default_configENS1_25partition_config_selectorILNS1_17partition_subalgoE8ElNS0_10empty_typeEbEEZZNS1_14partition_implILS5_8ELb0ES3_jPlPS6_PKS6_NS0_5tupleIJS9_S6_EEENSD_IJSA_SA_EEENS0_18inequality_wrapperIZN2at6native12_GLOBAL__N_124unique_dim_cuda_templateIjEESt5tupleIJNSH_6TensorESM_SM_EERKSM_lbbbEUlllE0_EEPmJS6_EEE10hipError_tPvRmT3_T4_T5_T6_T7_T9_mT8_P12ihipStream_tbDpT10_ENKUlT_T0_E_clISt17integral_constantIbLb0EES1B_IbLb1EEEEDaS17_S18_EUlS17_E_NS1_11comp_targetILNS1_3genE5ELNS1_11target_archE942ELNS1_3gpuE9ELNS1_3repE0EEENS1_30default_config_static_selectorELNS0_4arch9wavefront6targetE1EEEvT1_
; %bb.0:
	.section	.rodata,"a",@progbits
	.p2align	6, 0x0
	.amdhsa_kernel _ZN7rocprim17ROCPRIM_400000_NS6detail17trampoline_kernelINS0_14default_configENS1_25partition_config_selectorILNS1_17partition_subalgoE8ElNS0_10empty_typeEbEEZZNS1_14partition_implILS5_8ELb0ES3_jPlPS6_PKS6_NS0_5tupleIJS9_S6_EEENSD_IJSA_SA_EEENS0_18inequality_wrapperIZN2at6native12_GLOBAL__N_124unique_dim_cuda_templateIjEESt5tupleIJNSH_6TensorESM_SM_EERKSM_lbbbEUlllE0_EEPmJS6_EEE10hipError_tPvRmT3_T4_T5_T6_T7_T9_mT8_P12ihipStream_tbDpT10_ENKUlT_T0_E_clISt17integral_constantIbLb0EES1B_IbLb1EEEEDaS17_S18_EUlS17_E_NS1_11comp_targetILNS1_3genE5ELNS1_11target_archE942ELNS1_3gpuE9ELNS1_3repE0EEENS1_30default_config_static_selectorELNS0_4arch9wavefront6targetE1EEEvT1_
		.amdhsa_group_segment_fixed_size 0
		.amdhsa_private_segment_fixed_size 0
		.amdhsa_kernarg_size 136
		.amdhsa_user_sgpr_count 2
		.amdhsa_user_sgpr_dispatch_ptr 0
		.amdhsa_user_sgpr_queue_ptr 0
		.amdhsa_user_sgpr_kernarg_segment_ptr 1
		.amdhsa_user_sgpr_dispatch_id 0
		.amdhsa_user_sgpr_kernarg_preload_length 0
		.amdhsa_user_sgpr_kernarg_preload_offset 0
		.amdhsa_user_sgpr_private_segment_size 0
		.amdhsa_uses_dynamic_stack 0
		.amdhsa_enable_private_segment 0
		.amdhsa_system_sgpr_workgroup_id_x 1
		.amdhsa_system_sgpr_workgroup_id_y 0
		.amdhsa_system_sgpr_workgroup_id_z 0
		.amdhsa_system_sgpr_workgroup_info 0
		.amdhsa_system_vgpr_workitem_id 0
		.amdhsa_next_free_vgpr 1
		.amdhsa_next_free_sgpr 0
		.amdhsa_accum_offset 4
		.amdhsa_reserve_vcc 0
		.amdhsa_float_round_mode_32 0
		.amdhsa_float_round_mode_16_64 0
		.amdhsa_float_denorm_mode_32 3
		.amdhsa_float_denorm_mode_16_64 3
		.amdhsa_dx10_clamp 1
		.amdhsa_ieee_mode 1
		.amdhsa_fp16_overflow 0
		.amdhsa_tg_split 0
		.amdhsa_exception_fp_ieee_invalid_op 0
		.amdhsa_exception_fp_denorm_src 0
		.amdhsa_exception_fp_ieee_div_zero 0
		.amdhsa_exception_fp_ieee_overflow 0
		.amdhsa_exception_fp_ieee_underflow 0
		.amdhsa_exception_fp_ieee_inexact 0
		.amdhsa_exception_int_div_zero 0
	.end_amdhsa_kernel
	.section	.text._ZN7rocprim17ROCPRIM_400000_NS6detail17trampoline_kernelINS0_14default_configENS1_25partition_config_selectorILNS1_17partition_subalgoE8ElNS0_10empty_typeEbEEZZNS1_14partition_implILS5_8ELb0ES3_jPlPS6_PKS6_NS0_5tupleIJS9_S6_EEENSD_IJSA_SA_EEENS0_18inequality_wrapperIZN2at6native12_GLOBAL__N_124unique_dim_cuda_templateIjEESt5tupleIJNSH_6TensorESM_SM_EERKSM_lbbbEUlllE0_EEPmJS6_EEE10hipError_tPvRmT3_T4_T5_T6_T7_T9_mT8_P12ihipStream_tbDpT10_ENKUlT_T0_E_clISt17integral_constantIbLb0EES1B_IbLb1EEEEDaS17_S18_EUlS17_E_NS1_11comp_targetILNS1_3genE5ELNS1_11target_archE942ELNS1_3gpuE9ELNS1_3repE0EEENS1_30default_config_static_selectorELNS0_4arch9wavefront6targetE1EEEvT1_,"axG",@progbits,_ZN7rocprim17ROCPRIM_400000_NS6detail17trampoline_kernelINS0_14default_configENS1_25partition_config_selectorILNS1_17partition_subalgoE8ElNS0_10empty_typeEbEEZZNS1_14partition_implILS5_8ELb0ES3_jPlPS6_PKS6_NS0_5tupleIJS9_S6_EEENSD_IJSA_SA_EEENS0_18inequality_wrapperIZN2at6native12_GLOBAL__N_124unique_dim_cuda_templateIjEESt5tupleIJNSH_6TensorESM_SM_EERKSM_lbbbEUlllE0_EEPmJS6_EEE10hipError_tPvRmT3_T4_T5_T6_T7_T9_mT8_P12ihipStream_tbDpT10_ENKUlT_T0_E_clISt17integral_constantIbLb0EES1B_IbLb1EEEEDaS17_S18_EUlS17_E_NS1_11comp_targetILNS1_3genE5ELNS1_11target_archE942ELNS1_3gpuE9ELNS1_3repE0EEENS1_30default_config_static_selectorELNS0_4arch9wavefront6targetE1EEEvT1_,comdat
.Lfunc_end1566:
	.size	_ZN7rocprim17ROCPRIM_400000_NS6detail17trampoline_kernelINS0_14default_configENS1_25partition_config_selectorILNS1_17partition_subalgoE8ElNS0_10empty_typeEbEEZZNS1_14partition_implILS5_8ELb0ES3_jPlPS6_PKS6_NS0_5tupleIJS9_S6_EEENSD_IJSA_SA_EEENS0_18inequality_wrapperIZN2at6native12_GLOBAL__N_124unique_dim_cuda_templateIjEESt5tupleIJNSH_6TensorESM_SM_EERKSM_lbbbEUlllE0_EEPmJS6_EEE10hipError_tPvRmT3_T4_T5_T6_T7_T9_mT8_P12ihipStream_tbDpT10_ENKUlT_T0_E_clISt17integral_constantIbLb0EES1B_IbLb1EEEEDaS17_S18_EUlS17_E_NS1_11comp_targetILNS1_3genE5ELNS1_11target_archE942ELNS1_3gpuE9ELNS1_3repE0EEENS1_30default_config_static_selectorELNS0_4arch9wavefront6targetE1EEEvT1_, .Lfunc_end1566-_ZN7rocprim17ROCPRIM_400000_NS6detail17trampoline_kernelINS0_14default_configENS1_25partition_config_selectorILNS1_17partition_subalgoE8ElNS0_10empty_typeEbEEZZNS1_14partition_implILS5_8ELb0ES3_jPlPS6_PKS6_NS0_5tupleIJS9_S6_EEENSD_IJSA_SA_EEENS0_18inequality_wrapperIZN2at6native12_GLOBAL__N_124unique_dim_cuda_templateIjEESt5tupleIJNSH_6TensorESM_SM_EERKSM_lbbbEUlllE0_EEPmJS6_EEE10hipError_tPvRmT3_T4_T5_T6_T7_T9_mT8_P12ihipStream_tbDpT10_ENKUlT_T0_E_clISt17integral_constantIbLb0EES1B_IbLb1EEEEDaS17_S18_EUlS17_E_NS1_11comp_targetILNS1_3genE5ELNS1_11target_archE942ELNS1_3gpuE9ELNS1_3repE0EEENS1_30default_config_static_selectorELNS0_4arch9wavefront6targetE1EEEvT1_
                                        ; -- End function
	.set _ZN7rocprim17ROCPRIM_400000_NS6detail17trampoline_kernelINS0_14default_configENS1_25partition_config_selectorILNS1_17partition_subalgoE8ElNS0_10empty_typeEbEEZZNS1_14partition_implILS5_8ELb0ES3_jPlPS6_PKS6_NS0_5tupleIJS9_S6_EEENSD_IJSA_SA_EEENS0_18inequality_wrapperIZN2at6native12_GLOBAL__N_124unique_dim_cuda_templateIjEESt5tupleIJNSH_6TensorESM_SM_EERKSM_lbbbEUlllE0_EEPmJS6_EEE10hipError_tPvRmT3_T4_T5_T6_T7_T9_mT8_P12ihipStream_tbDpT10_ENKUlT_T0_E_clISt17integral_constantIbLb0EES1B_IbLb1EEEEDaS17_S18_EUlS17_E_NS1_11comp_targetILNS1_3genE5ELNS1_11target_archE942ELNS1_3gpuE9ELNS1_3repE0EEENS1_30default_config_static_selectorELNS0_4arch9wavefront6targetE1EEEvT1_.num_vgpr, 0
	.set _ZN7rocprim17ROCPRIM_400000_NS6detail17trampoline_kernelINS0_14default_configENS1_25partition_config_selectorILNS1_17partition_subalgoE8ElNS0_10empty_typeEbEEZZNS1_14partition_implILS5_8ELb0ES3_jPlPS6_PKS6_NS0_5tupleIJS9_S6_EEENSD_IJSA_SA_EEENS0_18inequality_wrapperIZN2at6native12_GLOBAL__N_124unique_dim_cuda_templateIjEESt5tupleIJNSH_6TensorESM_SM_EERKSM_lbbbEUlllE0_EEPmJS6_EEE10hipError_tPvRmT3_T4_T5_T6_T7_T9_mT8_P12ihipStream_tbDpT10_ENKUlT_T0_E_clISt17integral_constantIbLb0EES1B_IbLb1EEEEDaS17_S18_EUlS17_E_NS1_11comp_targetILNS1_3genE5ELNS1_11target_archE942ELNS1_3gpuE9ELNS1_3repE0EEENS1_30default_config_static_selectorELNS0_4arch9wavefront6targetE1EEEvT1_.num_agpr, 0
	.set _ZN7rocprim17ROCPRIM_400000_NS6detail17trampoline_kernelINS0_14default_configENS1_25partition_config_selectorILNS1_17partition_subalgoE8ElNS0_10empty_typeEbEEZZNS1_14partition_implILS5_8ELb0ES3_jPlPS6_PKS6_NS0_5tupleIJS9_S6_EEENSD_IJSA_SA_EEENS0_18inequality_wrapperIZN2at6native12_GLOBAL__N_124unique_dim_cuda_templateIjEESt5tupleIJNSH_6TensorESM_SM_EERKSM_lbbbEUlllE0_EEPmJS6_EEE10hipError_tPvRmT3_T4_T5_T6_T7_T9_mT8_P12ihipStream_tbDpT10_ENKUlT_T0_E_clISt17integral_constantIbLb0EES1B_IbLb1EEEEDaS17_S18_EUlS17_E_NS1_11comp_targetILNS1_3genE5ELNS1_11target_archE942ELNS1_3gpuE9ELNS1_3repE0EEENS1_30default_config_static_selectorELNS0_4arch9wavefront6targetE1EEEvT1_.numbered_sgpr, 0
	.set _ZN7rocprim17ROCPRIM_400000_NS6detail17trampoline_kernelINS0_14default_configENS1_25partition_config_selectorILNS1_17partition_subalgoE8ElNS0_10empty_typeEbEEZZNS1_14partition_implILS5_8ELb0ES3_jPlPS6_PKS6_NS0_5tupleIJS9_S6_EEENSD_IJSA_SA_EEENS0_18inequality_wrapperIZN2at6native12_GLOBAL__N_124unique_dim_cuda_templateIjEESt5tupleIJNSH_6TensorESM_SM_EERKSM_lbbbEUlllE0_EEPmJS6_EEE10hipError_tPvRmT3_T4_T5_T6_T7_T9_mT8_P12ihipStream_tbDpT10_ENKUlT_T0_E_clISt17integral_constantIbLb0EES1B_IbLb1EEEEDaS17_S18_EUlS17_E_NS1_11comp_targetILNS1_3genE5ELNS1_11target_archE942ELNS1_3gpuE9ELNS1_3repE0EEENS1_30default_config_static_selectorELNS0_4arch9wavefront6targetE1EEEvT1_.num_named_barrier, 0
	.set _ZN7rocprim17ROCPRIM_400000_NS6detail17trampoline_kernelINS0_14default_configENS1_25partition_config_selectorILNS1_17partition_subalgoE8ElNS0_10empty_typeEbEEZZNS1_14partition_implILS5_8ELb0ES3_jPlPS6_PKS6_NS0_5tupleIJS9_S6_EEENSD_IJSA_SA_EEENS0_18inequality_wrapperIZN2at6native12_GLOBAL__N_124unique_dim_cuda_templateIjEESt5tupleIJNSH_6TensorESM_SM_EERKSM_lbbbEUlllE0_EEPmJS6_EEE10hipError_tPvRmT3_T4_T5_T6_T7_T9_mT8_P12ihipStream_tbDpT10_ENKUlT_T0_E_clISt17integral_constantIbLb0EES1B_IbLb1EEEEDaS17_S18_EUlS17_E_NS1_11comp_targetILNS1_3genE5ELNS1_11target_archE942ELNS1_3gpuE9ELNS1_3repE0EEENS1_30default_config_static_selectorELNS0_4arch9wavefront6targetE1EEEvT1_.private_seg_size, 0
	.set _ZN7rocprim17ROCPRIM_400000_NS6detail17trampoline_kernelINS0_14default_configENS1_25partition_config_selectorILNS1_17partition_subalgoE8ElNS0_10empty_typeEbEEZZNS1_14partition_implILS5_8ELb0ES3_jPlPS6_PKS6_NS0_5tupleIJS9_S6_EEENSD_IJSA_SA_EEENS0_18inequality_wrapperIZN2at6native12_GLOBAL__N_124unique_dim_cuda_templateIjEESt5tupleIJNSH_6TensorESM_SM_EERKSM_lbbbEUlllE0_EEPmJS6_EEE10hipError_tPvRmT3_T4_T5_T6_T7_T9_mT8_P12ihipStream_tbDpT10_ENKUlT_T0_E_clISt17integral_constantIbLb0EES1B_IbLb1EEEEDaS17_S18_EUlS17_E_NS1_11comp_targetILNS1_3genE5ELNS1_11target_archE942ELNS1_3gpuE9ELNS1_3repE0EEENS1_30default_config_static_selectorELNS0_4arch9wavefront6targetE1EEEvT1_.uses_vcc, 0
	.set _ZN7rocprim17ROCPRIM_400000_NS6detail17trampoline_kernelINS0_14default_configENS1_25partition_config_selectorILNS1_17partition_subalgoE8ElNS0_10empty_typeEbEEZZNS1_14partition_implILS5_8ELb0ES3_jPlPS6_PKS6_NS0_5tupleIJS9_S6_EEENSD_IJSA_SA_EEENS0_18inequality_wrapperIZN2at6native12_GLOBAL__N_124unique_dim_cuda_templateIjEESt5tupleIJNSH_6TensorESM_SM_EERKSM_lbbbEUlllE0_EEPmJS6_EEE10hipError_tPvRmT3_T4_T5_T6_T7_T9_mT8_P12ihipStream_tbDpT10_ENKUlT_T0_E_clISt17integral_constantIbLb0EES1B_IbLb1EEEEDaS17_S18_EUlS17_E_NS1_11comp_targetILNS1_3genE5ELNS1_11target_archE942ELNS1_3gpuE9ELNS1_3repE0EEENS1_30default_config_static_selectorELNS0_4arch9wavefront6targetE1EEEvT1_.uses_flat_scratch, 0
	.set _ZN7rocprim17ROCPRIM_400000_NS6detail17trampoline_kernelINS0_14default_configENS1_25partition_config_selectorILNS1_17partition_subalgoE8ElNS0_10empty_typeEbEEZZNS1_14partition_implILS5_8ELb0ES3_jPlPS6_PKS6_NS0_5tupleIJS9_S6_EEENSD_IJSA_SA_EEENS0_18inequality_wrapperIZN2at6native12_GLOBAL__N_124unique_dim_cuda_templateIjEESt5tupleIJNSH_6TensorESM_SM_EERKSM_lbbbEUlllE0_EEPmJS6_EEE10hipError_tPvRmT3_T4_T5_T6_T7_T9_mT8_P12ihipStream_tbDpT10_ENKUlT_T0_E_clISt17integral_constantIbLb0EES1B_IbLb1EEEEDaS17_S18_EUlS17_E_NS1_11comp_targetILNS1_3genE5ELNS1_11target_archE942ELNS1_3gpuE9ELNS1_3repE0EEENS1_30default_config_static_selectorELNS0_4arch9wavefront6targetE1EEEvT1_.has_dyn_sized_stack, 0
	.set _ZN7rocprim17ROCPRIM_400000_NS6detail17trampoline_kernelINS0_14default_configENS1_25partition_config_selectorILNS1_17partition_subalgoE8ElNS0_10empty_typeEbEEZZNS1_14partition_implILS5_8ELb0ES3_jPlPS6_PKS6_NS0_5tupleIJS9_S6_EEENSD_IJSA_SA_EEENS0_18inequality_wrapperIZN2at6native12_GLOBAL__N_124unique_dim_cuda_templateIjEESt5tupleIJNSH_6TensorESM_SM_EERKSM_lbbbEUlllE0_EEPmJS6_EEE10hipError_tPvRmT3_T4_T5_T6_T7_T9_mT8_P12ihipStream_tbDpT10_ENKUlT_T0_E_clISt17integral_constantIbLb0EES1B_IbLb1EEEEDaS17_S18_EUlS17_E_NS1_11comp_targetILNS1_3genE5ELNS1_11target_archE942ELNS1_3gpuE9ELNS1_3repE0EEENS1_30default_config_static_selectorELNS0_4arch9wavefront6targetE1EEEvT1_.has_recursion, 0
	.set _ZN7rocprim17ROCPRIM_400000_NS6detail17trampoline_kernelINS0_14default_configENS1_25partition_config_selectorILNS1_17partition_subalgoE8ElNS0_10empty_typeEbEEZZNS1_14partition_implILS5_8ELb0ES3_jPlPS6_PKS6_NS0_5tupleIJS9_S6_EEENSD_IJSA_SA_EEENS0_18inequality_wrapperIZN2at6native12_GLOBAL__N_124unique_dim_cuda_templateIjEESt5tupleIJNSH_6TensorESM_SM_EERKSM_lbbbEUlllE0_EEPmJS6_EEE10hipError_tPvRmT3_T4_T5_T6_T7_T9_mT8_P12ihipStream_tbDpT10_ENKUlT_T0_E_clISt17integral_constantIbLb0EES1B_IbLb1EEEEDaS17_S18_EUlS17_E_NS1_11comp_targetILNS1_3genE5ELNS1_11target_archE942ELNS1_3gpuE9ELNS1_3repE0EEENS1_30default_config_static_selectorELNS0_4arch9wavefront6targetE1EEEvT1_.has_indirect_call, 0
	.section	.AMDGPU.csdata,"",@progbits
; Kernel info:
; codeLenInByte = 0
; TotalNumSgprs: 6
; NumVgprs: 0
; NumAgprs: 0
; TotalNumVgprs: 0
; ScratchSize: 0
; MemoryBound: 0
; FloatMode: 240
; IeeeMode: 1
; LDSByteSize: 0 bytes/workgroup (compile time only)
; SGPRBlocks: 0
; VGPRBlocks: 0
; NumSGPRsForWavesPerEU: 6
; NumVGPRsForWavesPerEU: 1
; AccumOffset: 4
; Occupancy: 8
; WaveLimiterHint : 0
; COMPUTE_PGM_RSRC2:SCRATCH_EN: 0
; COMPUTE_PGM_RSRC2:USER_SGPR: 2
; COMPUTE_PGM_RSRC2:TRAP_HANDLER: 0
; COMPUTE_PGM_RSRC2:TGID_X_EN: 1
; COMPUTE_PGM_RSRC2:TGID_Y_EN: 0
; COMPUTE_PGM_RSRC2:TGID_Z_EN: 0
; COMPUTE_PGM_RSRC2:TIDIG_COMP_CNT: 0
; COMPUTE_PGM_RSRC3_GFX90A:ACCUM_OFFSET: 0
; COMPUTE_PGM_RSRC3_GFX90A:TG_SPLIT: 0
	.section	.text._ZN7rocprim17ROCPRIM_400000_NS6detail17trampoline_kernelINS0_14default_configENS1_25partition_config_selectorILNS1_17partition_subalgoE8ElNS0_10empty_typeEbEEZZNS1_14partition_implILS5_8ELb0ES3_jPlPS6_PKS6_NS0_5tupleIJS9_S6_EEENSD_IJSA_SA_EEENS0_18inequality_wrapperIZN2at6native12_GLOBAL__N_124unique_dim_cuda_templateIjEESt5tupleIJNSH_6TensorESM_SM_EERKSM_lbbbEUlllE0_EEPmJS6_EEE10hipError_tPvRmT3_T4_T5_T6_T7_T9_mT8_P12ihipStream_tbDpT10_ENKUlT_T0_E_clISt17integral_constantIbLb0EES1B_IbLb1EEEEDaS17_S18_EUlS17_E_NS1_11comp_targetILNS1_3genE4ELNS1_11target_archE910ELNS1_3gpuE8ELNS1_3repE0EEENS1_30default_config_static_selectorELNS0_4arch9wavefront6targetE1EEEvT1_,"axG",@progbits,_ZN7rocprim17ROCPRIM_400000_NS6detail17trampoline_kernelINS0_14default_configENS1_25partition_config_selectorILNS1_17partition_subalgoE8ElNS0_10empty_typeEbEEZZNS1_14partition_implILS5_8ELb0ES3_jPlPS6_PKS6_NS0_5tupleIJS9_S6_EEENSD_IJSA_SA_EEENS0_18inequality_wrapperIZN2at6native12_GLOBAL__N_124unique_dim_cuda_templateIjEESt5tupleIJNSH_6TensorESM_SM_EERKSM_lbbbEUlllE0_EEPmJS6_EEE10hipError_tPvRmT3_T4_T5_T6_T7_T9_mT8_P12ihipStream_tbDpT10_ENKUlT_T0_E_clISt17integral_constantIbLb0EES1B_IbLb1EEEEDaS17_S18_EUlS17_E_NS1_11comp_targetILNS1_3genE4ELNS1_11target_archE910ELNS1_3gpuE8ELNS1_3repE0EEENS1_30default_config_static_selectorELNS0_4arch9wavefront6targetE1EEEvT1_,comdat
	.globl	_ZN7rocprim17ROCPRIM_400000_NS6detail17trampoline_kernelINS0_14default_configENS1_25partition_config_selectorILNS1_17partition_subalgoE8ElNS0_10empty_typeEbEEZZNS1_14partition_implILS5_8ELb0ES3_jPlPS6_PKS6_NS0_5tupleIJS9_S6_EEENSD_IJSA_SA_EEENS0_18inequality_wrapperIZN2at6native12_GLOBAL__N_124unique_dim_cuda_templateIjEESt5tupleIJNSH_6TensorESM_SM_EERKSM_lbbbEUlllE0_EEPmJS6_EEE10hipError_tPvRmT3_T4_T5_T6_T7_T9_mT8_P12ihipStream_tbDpT10_ENKUlT_T0_E_clISt17integral_constantIbLb0EES1B_IbLb1EEEEDaS17_S18_EUlS17_E_NS1_11comp_targetILNS1_3genE4ELNS1_11target_archE910ELNS1_3gpuE8ELNS1_3repE0EEENS1_30default_config_static_selectorELNS0_4arch9wavefront6targetE1EEEvT1_ ; -- Begin function _ZN7rocprim17ROCPRIM_400000_NS6detail17trampoline_kernelINS0_14default_configENS1_25partition_config_selectorILNS1_17partition_subalgoE8ElNS0_10empty_typeEbEEZZNS1_14partition_implILS5_8ELb0ES3_jPlPS6_PKS6_NS0_5tupleIJS9_S6_EEENSD_IJSA_SA_EEENS0_18inequality_wrapperIZN2at6native12_GLOBAL__N_124unique_dim_cuda_templateIjEESt5tupleIJNSH_6TensorESM_SM_EERKSM_lbbbEUlllE0_EEPmJS6_EEE10hipError_tPvRmT3_T4_T5_T6_T7_T9_mT8_P12ihipStream_tbDpT10_ENKUlT_T0_E_clISt17integral_constantIbLb0EES1B_IbLb1EEEEDaS17_S18_EUlS17_E_NS1_11comp_targetILNS1_3genE4ELNS1_11target_archE910ELNS1_3gpuE8ELNS1_3repE0EEENS1_30default_config_static_selectorELNS0_4arch9wavefront6targetE1EEEvT1_
	.p2align	8
	.type	_ZN7rocprim17ROCPRIM_400000_NS6detail17trampoline_kernelINS0_14default_configENS1_25partition_config_selectorILNS1_17partition_subalgoE8ElNS0_10empty_typeEbEEZZNS1_14partition_implILS5_8ELb0ES3_jPlPS6_PKS6_NS0_5tupleIJS9_S6_EEENSD_IJSA_SA_EEENS0_18inequality_wrapperIZN2at6native12_GLOBAL__N_124unique_dim_cuda_templateIjEESt5tupleIJNSH_6TensorESM_SM_EERKSM_lbbbEUlllE0_EEPmJS6_EEE10hipError_tPvRmT3_T4_T5_T6_T7_T9_mT8_P12ihipStream_tbDpT10_ENKUlT_T0_E_clISt17integral_constantIbLb0EES1B_IbLb1EEEEDaS17_S18_EUlS17_E_NS1_11comp_targetILNS1_3genE4ELNS1_11target_archE910ELNS1_3gpuE8ELNS1_3repE0EEENS1_30default_config_static_selectorELNS0_4arch9wavefront6targetE1EEEvT1_,@function
_ZN7rocprim17ROCPRIM_400000_NS6detail17trampoline_kernelINS0_14default_configENS1_25partition_config_selectorILNS1_17partition_subalgoE8ElNS0_10empty_typeEbEEZZNS1_14partition_implILS5_8ELb0ES3_jPlPS6_PKS6_NS0_5tupleIJS9_S6_EEENSD_IJSA_SA_EEENS0_18inequality_wrapperIZN2at6native12_GLOBAL__N_124unique_dim_cuda_templateIjEESt5tupleIJNSH_6TensorESM_SM_EERKSM_lbbbEUlllE0_EEPmJS6_EEE10hipError_tPvRmT3_T4_T5_T6_T7_T9_mT8_P12ihipStream_tbDpT10_ENKUlT_T0_E_clISt17integral_constantIbLb0EES1B_IbLb1EEEEDaS17_S18_EUlS17_E_NS1_11comp_targetILNS1_3genE4ELNS1_11target_archE910ELNS1_3gpuE8ELNS1_3repE0EEENS1_30default_config_static_selectorELNS0_4arch9wavefront6targetE1EEEvT1_: ; @_ZN7rocprim17ROCPRIM_400000_NS6detail17trampoline_kernelINS0_14default_configENS1_25partition_config_selectorILNS1_17partition_subalgoE8ElNS0_10empty_typeEbEEZZNS1_14partition_implILS5_8ELb0ES3_jPlPS6_PKS6_NS0_5tupleIJS9_S6_EEENSD_IJSA_SA_EEENS0_18inequality_wrapperIZN2at6native12_GLOBAL__N_124unique_dim_cuda_templateIjEESt5tupleIJNSH_6TensorESM_SM_EERKSM_lbbbEUlllE0_EEPmJS6_EEE10hipError_tPvRmT3_T4_T5_T6_T7_T9_mT8_P12ihipStream_tbDpT10_ENKUlT_T0_E_clISt17integral_constantIbLb0EES1B_IbLb1EEEEDaS17_S18_EUlS17_E_NS1_11comp_targetILNS1_3genE4ELNS1_11target_archE910ELNS1_3gpuE8ELNS1_3repE0EEENS1_30default_config_static_selectorELNS0_4arch9wavefront6targetE1EEEvT1_
; %bb.0:
	.section	.rodata,"a",@progbits
	.p2align	6, 0x0
	.amdhsa_kernel _ZN7rocprim17ROCPRIM_400000_NS6detail17trampoline_kernelINS0_14default_configENS1_25partition_config_selectorILNS1_17partition_subalgoE8ElNS0_10empty_typeEbEEZZNS1_14partition_implILS5_8ELb0ES3_jPlPS6_PKS6_NS0_5tupleIJS9_S6_EEENSD_IJSA_SA_EEENS0_18inequality_wrapperIZN2at6native12_GLOBAL__N_124unique_dim_cuda_templateIjEESt5tupleIJNSH_6TensorESM_SM_EERKSM_lbbbEUlllE0_EEPmJS6_EEE10hipError_tPvRmT3_T4_T5_T6_T7_T9_mT8_P12ihipStream_tbDpT10_ENKUlT_T0_E_clISt17integral_constantIbLb0EES1B_IbLb1EEEEDaS17_S18_EUlS17_E_NS1_11comp_targetILNS1_3genE4ELNS1_11target_archE910ELNS1_3gpuE8ELNS1_3repE0EEENS1_30default_config_static_selectorELNS0_4arch9wavefront6targetE1EEEvT1_
		.amdhsa_group_segment_fixed_size 0
		.amdhsa_private_segment_fixed_size 0
		.amdhsa_kernarg_size 136
		.amdhsa_user_sgpr_count 2
		.amdhsa_user_sgpr_dispatch_ptr 0
		.amdhsa_user_sgpr_queue_ptr 0
		.amdhsa_user_sgpr_kernarg_segment_ptr 1
		.amdhsa_user_sgpr_dispatch_id 0
		.amdhsa_user_sgpr_kernarg_preload_length 0
		.amdhsa_user_sgpr_kernarg_preload_offset 0
		.amdhsa_user_sgpr_private_segment_size 0
		.amdhsa_uses_dynamic_stack 0
		.amdhsa_enable_private_segment 0
		.amdhsa_system_sgpr_workgroup_id_x 1
		.amdhsa_system_sgpr_workgroup_id_y 0
		.amdhsa_system_sgpr_workgroup_id_z 0
		.amdhsa_system_sgpr_workgroup_info 0
		.amdhsa_system_vgpr_workitem_id 0
		.amdhsa_next_free_vgpr 1
		.amdhsa_next_free_sgpr 0
		.amdhsa_accum_offset 4
		.amdhsa_reserve_vcc 0
		.amdhsa_float_round_mode_32 0
		.amdhsa_float_round_mode_16_64 0
		.amdhsa_float_denorm_mode_32 3
		.amdhsa_float_denorm_mode_16_64 3
		.amdhsa_dx10_clamp 1
		.amdhsa_ieee_mode 1
		.amdhsa_fp16_overflow 0
		.amdhsa_tg_split 0
		.amdhsa_exception_fp_ieee_invalid_op 0
		.amdhsa_exception_fp_denorm_src 0
		.amdhsa_exception_fp_ieee_div_zero 0
		.amdhsa_exception_fp_ieee_overflow 0
		.amdhsa_exception_fp_ieee_underflow 0
		.amdhsa_exception_fp_ieee_inexact 0
		.amdhsa_exception_int_div_zero 0
	.end_amdhsa_kernel
	.section	.text._ZN7rocprim17ROCPRIM_400000_NS6detail17trampoline_kernelINS0_14default_configENS1_25partition_config_selectorILNS1_17partition_subalgoE8ElNS0_10empty_typeEbEEZZNS1_14partition_implILS5_8ELb0ES3_jPlPS6_PKS6_NS0_5tupleIJS9_S6_EEENSD_IJSA_SA_EEENS0_18inequality_wrapperIZN2at6native12_GLOBAL__N_124unique_dim_cuda_templateIjEESt5tupleIJNSH_6TensorESM_SM_EERKSM_lbbbEUlllE0_EEPmJS6_EEE10hipError_tPvRmT3_T4_T5_T6_T7_T9_mT8_P12ihipStream_tbDpT10_ENKUlT_T0_E_clISt17integral_constantIbLb0EES1B_IbLb1EEEEDaS17_S18_EUlS17_E_NS1_11comp_targetILNS1_3genE4ELNS1_11target_archE910ELNS1_3gpuE8ELNS1_3repE0EEENS1_30default_config_static_selectorELNS0_4arch9wavefront6targetE1EEEvT1_,"axG",@progbits,_ZN7rocprim17ROCPRIM_400000_NS6detail17trampoline_kernelINS0_14default_configENS1_25partition_config_selectorILNS1_17partition_subalgoE8ElNS0_10empty_typeEbEEZZNS1_14partition_implILS5_8ELb0ES3_jPlPS6_PKS6_NS0_5tupleIJS9_S6_EEENSD_IJSA_SA_EEENS0_18inequality_wrapperIZN2at6native12_GLOBAL__N_124unique_dim_cuda_templateIjEESt5tupleIJNSH_6TensorESM_SM_EERKSM_lbbbEUlllE0_EEPmJS6_EEE10hipError_tPvRmT3_T4_T5_T6_T7_T9_mT8_P12ihipStream_tbDpT10_ENKUlT_T0_E_clISt17integral_constantIbLb0EES1B_IbLb1EEEEDaS17_S18_EUlS17_E_NS1_11comp_targetILNS1_3genE4ELNS1_11target_archE910ELNS1_3gpuE8ELNS1_3repE0EEENS1_30default_config_static_selectorELNS0_4arch9wavefront6targetE1EEEvT1_,comdat
.Lfunc_end1567:
	.size	_ZN7rocprim17ROCPRIM_400000_NS6detail17trampoline_kernelINS0_14default_configENS1_25partition_config_selectorILNS1_17partition_subalgoE8ElNS0_10empty_typeEbEEZZNS1_14partition_implILS5_8ELb0ES3_jPlPS6_PKS6_NS0_5tupleIJS9_S6_EEENSD_IJSA_SA_EEENS0_18inequality_wrapperIZN2at6native12_GLOBAL__N_124unique_dim_cuda_templateIjEESt5tupleIJNSH_6TensorESM_SM_EERKSM_lbbbEUlllE0_EEPmJS6_EEE10hipError_tPvRmT3_T4_T5_T6_T7_T9_mT8_P12ihipStream_tbDpT10_ENKUlT_T0_E_clISt17integral_constantIbLb0EES1B_IbLb1EEEEDaS17_S18_EUlS17_E_NS1_11comp_targetILNS1_3genE4ELNS1_11target_archE910ELNS1_3gpuE8ELNS1_3repE0EEENS1_30default_config_static_selectorELNS0_4arch9wavefront6targetE1EEEvT1_, .Lfunc_end1567-_ZN7rocprim17ROCPRIM_400000_NS6detail17trampoline_kernelINS0_14default_configENS1_25partition_config_selectorILNS1_17partition_subalgoE8ElNS0_10empty_typeEbEEZZNS1_14partition_implILS5_8ELb0ES3_jPlPS6_PKS6_NS0_5tupleIJS9_S6_EEENSD_IJSA_SA_EEENS0_18inequality_wrapperIZN2at6native12_GLOBAL__N_124unique_dim_cuda_templateIjEESt5tupleIJNSH_6TensorESM_SM_EERKSM_lbbbEUlllE0_EEPmJS6_EEE10hipError_tPvRmT3_T4_T5_T6_T7_T9_mT8_P12ihipStream_tbDpT10_ENKUlT_T0_E_clISt17integral_constantIbLb0EES1B_IbLb1EEEEDaS17_S18_EUlS17_E_NS1_11comp_targetILNS1_3genE4ELNS1_11target_archE910ELNS1_3gpuE8ELNS1_3repE0EEENS1_30default_config_static_selectorELNS0_4arch9wavefront6targetE1EEEvT1_
                                        ; -- End function
	.set _ZN7rocprim17ROCPRIM_400000_NS6detail17trampoline_kernelINS0_14default_configENS1_25partition_config_selectorILNS1_17partition_subalgoE8ElNS0_10empty_typeEbEEZZNS1_14partition_implILS5_8ELb0ES3_jPlPS6_PKS6_NS0_5tupleIJS9_S6_EEENSD_IJSA_SA_EEENS0_18inequality_wrapperIZN2at6native12_GLOBAL__N_124unique_dim_cuda_templateIjEESt5tupleIJNSH_6TensorESM_SM_EERKSM_lbbbEUlllE0_EEPmJS6_EEE10hipError_tPvRmT3_T4_T5_T6_T7_T9_mT8_P12ihipStream_tbDpT10_ENKUlT_T0_E_clISt17integral_constantIbLb0EES1B_IbLb1EEEEDaS17_S18_EUlS17_E_NS1_11comp_targetILNS1_3genE4ELNS1_11target_archE910ELNS1_3gpuE8ELNS1_3repE0EEENS1_30default_config_static_selectorELNS0_4arch9wavefront6targetE1EEEvT1_.num_vgpr, 0
	.set _ZN7rocprim17ROCPRIM_400000_NS6detail17trampoline_kernelINS0_14default_configENS1_25partition_config_selectorILNS1_17partition_subalgoE8ElNS0_10empty_typeEbEEZZNS1_14partition_implILS5_8ELb0ES3_jPlPS6_PKS6_NS0_5tupleIJS9_S6_EEENSD_IJSA_SA_EEENS0_18inequality_wrapperIZN2at6native12_GLOBAL__N_124unique_dim_cuda_templateIjEESt5tupleIJNSH_6TensorESM_SM_EERKSM_lbbbEUlllE0_EEPmJS6_EEE10hipError_tPvRmT3_T4_T5_T6_T7_T9_mT8_P12ihipStream_tbDpT10_ENKUlT_T0_E_clISt17integral_constantIbLb0EES1B_IbLb1EEEEDaS17_S18_EUlS17_E_NS1_11comp_targetILNS1_3genE4ELNS1_11target_archE910ELNS1_3gpuE8ELNS1_3repE0EEENS1_30default_config_static_selectorELNS0_4arch9wavefront6targetE1EEEvT1_.num_agpr, 0
	.set _ZN7rocprim17ROCPRIM_400000_NS6detail17trampoline_kernelINS0_14default_configENS1_25partition_config_selectorILNS1_17partition_subalgoE8ElNS0_10empty_typeEbEEZZNS1_14partition_implILS5_8ELb0ES3_jPlPS6_PKS6_NS0_5tupleIJS9_S6_EEENSD_IJSA_SA_EEENS0_18inequality_wrapperIZN2at6native12_GLOBAL__N_124unique_dim_cuda_templateIjEESt5tupleIJNSH_6TensorESM_SM_EERKSM_lbbbEUlllE0_EEPmJS6_EEE10hipError_tPvRmT3_T4_T5_T6_T7_T9_mT8_P12ihipStream_tbDpT10_ENKUlT_T0_E_clISt17integral_constantIbLb0EES1B_IbLb1EEEEDaS17_S18_EUlS17_E_NS1_11comp_targetILNS1_3genE4ELNS1_11target_archE910ELNS1_3gpuE8ELNS1_3repE0EEENS1_30default_config_static_selectorELNS0_4arch9wavefront6targetE1EEEvT1_.numbered_sgpr, 0
	.set _ZN7rocprim17ROCPRIM_400000_NS6detail17trampoline_kernelINS0_14default_configENS1_25partition_config_selectorILNS1_17partition_subalgoE8ElNS0_10empty_typeEbEEZZNS1_14partition_implILS5_8ELb0ES3_jPlPS6_PKS6_NS0_5tupleIJS9_S6_EEENSD_IJSA_SA_EEENS0_18inequality_wrapperIZN2at6native12_GLOBAL__N_124unique_dim_cuda_templateIjEESt5tupleIJNSH_6TensorESM_SM_EERKSM_lbbbEUlllE0_EEPmJS6_EEE10hipError_tPvRmT3_T4_T5_T6_T7_T9_mT8_P12ihipStream_tbDpT10_ENKUlT_T0_E_clISt17integral_constantIbLb0EES1B_IbLb1EEEEDaS17_S18_EUlS17_E_NS1_11comp_targetILNS1_3genE4ELNS1_11target_archE910ELNS1_3gpuE8ELNS1_3repE0EEENS1_30default_config_static_selectorELNS0_4arch9wavefront6targetE1EEEvT1_.num_named_barrier, 0
	.set _ZN7rocprim17ROCPRIM_400000_NS6detail17trampoline_kernelINS0_14default_configENS1_25partition_config_selectorILNS1_17partition_subalgoE8ElNS0_10empty_typeEbEEZZNS1_14partition_implILS5_8ELb0ES3_jPlPS6_PKS6_NS0_5tupleIJS9_S6_EEENSD_IJSA_SA_EEENS0_18inequality_wrapperIZN2at6native12_GLOBAL__N_124unique_dim_cuda_templateIjEESt5tupleIJNSH_6TensorESM_SM_EERKSM_lbbbEUlllE0_EEPmJS6_EEE10hipError_tPvRmT3_T4_T5_T6_T7_T9_mT8_P12ihipStream_tbDpT10_ENKUlT_T0_E_clISt17integral_constantIbLb0EES1B_IbLb1EEEEDaS17_S18_EUlS17_E_NS1_11comp_targetILNS1_3genE4ELNS1_11target_archE910ELNS1_3gpuE8ELNS1_3repE0EEENS1_30default_config_static_selectorELNS0_4arch9wavefront6targetE1EEEvT1_.private_seg_size, 0
	.set _ZN7rocprim17ROCPRIM_400000_NS6detail17trampoline_kernelINS0_14default_configENS1_25partition_config_selectorILNS1_17partition_subalgoE8ElNS0_10empty_typeEbEEZZNS1_14partition_implILS5_8ELb0ES3_jPlPS6_PKS6_NS0_5tupleIJS9_S6_EEENSD_IJSA_SA_EEENS0_18inequality_wrapperIZN2at6native12_GLOBAL__N_124unique_dim_cuda_templateIjEESt5tupleIJNSH_6TensorESM_SM_EERKSM_lbbbEUlllE0_EEPmJS6_EEE10hipError_tPvRmT3_T4_T5_T6_T7_T9_mT8_P12ihipStream_tbDpT10_ENKUlT_T0_E_clISt17integral_constantIbLb0EES1B_IbLb1EEEEDaS17_S18_EUlS17_E_NS1_11comp_targetILNS1_3genE4ELNS1_11target_archE910ELNS1_3gpuE8ELNS1_3repE0EEENS1_30default_config_static_selectorELNS0_4arch9wavefront6targetE1EEEvT1_.uses_vcc, 0
	.set _ZN7rocprim17ROCPRIM_400000_NS6detail17trampoline_kernelINS0_14default_configENS1_25partition_config_selectorILNS1_17partition_subalgoE8ElNS0_10empty_typeEbEEZZNS1_14partition_implILS5_8ELb0ES3_jPlPS6_PKS6_NS0_5tupleIJS9_S6_EEENSD_IJSA_SA_EEENS0_18inequality_wrapperIZN2at6native12_GLOBAL__N_124unique_dim_cuda_templateIjEESt5tupleIJNSH_6TensorESM_SM_EERKSM_lbbbEUlllE0_EEPmJS6_EEE10hipError_tPvRmT3_T4_T5_T6_T7_T9_mT8_P12ihipStream_tbDpT10_ENKUlT_T0_E_clISt17integral_constantIbLb0EES1B_IbLb1EEEEDaS17_S18_EUlS17_E_NS1_11comp_targetILNS1_3genE4ELNS1_11target_archE910ELNS1_3gpuE8ELNS1_3repE0EEENS1_30default_config_static_selectorELNS0_4arch9wavefront6targetE1EEEvT1_.uses_flat_scratch, 0
	.set _ZN7rocprim17ROCPRIM_400000_NS6detail17trampoline_kernelINS0_14default_configENS1_25partition_config_selectorILNS1_17partition_subalgoE8ElNS0_10empty_typeEbEEZZNS1_14partition_implILS5_8ELb0ES3_jPlPS6_PKS6_NS0_5tupleIJS9_S6_EEENSD_IJSA_SA_EEENS0_18inequality_wrapperIZN2at6native12_GLOBAL__N_124unique_dim_cuda_templateIjEESt5tupleIJNSH_6TensorESM_SM_EERKSM_lbbbEUlllE0_EEPmJS6_EEE10hipError_tPvRmT3_T4_T5_T6_T7_T9_mT8_P12ihipStream_tbDpT10_ENKUlT_T0_E_clISt17integral_constantIbLb0EES1B_IbLb1EEEEDaS17_S18_EUlS17_E_NS1_11comp_targetILNS1_3genE4ELNS1_11target_archE910ELNS1_3gpuE8ELNS1_3repE0EEENS1_30default_config_static_selectorELNS0_4arch9wavefront6targetE1EEEvT1_.has_dyn_sized_stack, 0
	.set _ZN7rocprim17ROCPRIM_400000_NS6detail17trampoline_kernelINS0_14default_configENS1_25partition_config_selectorILNS1_17partition_subalgoE8ElNS0_10empty_typeEbEEZZNS1_14partition_implILS5_8ELb0ES3_jPlPS6_PKS6_NS0_5tupleIJS9_S6_EEENSD_IJSA_SA_EEENS0_18inequality_wrapperIZN2at6native12_GLOBAL__N_124unique_dim_cuda_templateIjEESt5tupleIJNSH_6TensorESM_SM_EERKSM_lbbbEUlllE0_EEPmJS6_EEE10hipError_tPvRmT3_T4_T5_T6_T7_T9_mT8_P12ihipStream_tbDpT10_ENKUlT_T0_E_clISt17integral_constantIbLb0EES1B_IbLb1EEEEDaS17_S18_EUlS17_E_NS1_11comp_targetILNS1_3genE4ELNS1_11target_archE910ELNS1_3gpuE8ELNS1_3repE0EEENS1_30default_config_static_selectorELNS0_4arch9wavefront6targetE1EEEvT1_.has_recursion, 0
	.set _ZN7rocprim17ROCPRIM_400000_NS6detail17trampoline_kernelINS0_14default_configENS1_25partition_config_selectorILNS1_17partition_subalgoE8ElNS0_10empty_typeEbEEZZNS1_14partition_implILS5_8ELb0ES3_jPlPS6_PKS6_NS0_5tupleIJS9_S6_EEENSD_IJSA_SA_EEENS0_18inequality_wrapperIZN2at6native12_GLOBAL__N_124unique_dim_cuda_templateIjEESt5tupleIJNSH_6TensorESM_SM_EERKSM_lbbbEUlllE0_EEPmJS6_EEE10hipError_tPvRmT3_T4_T5_T6_T7_T9_mT8_P12ihipStream_tbDpT10_ENKUlT_T0_E_clISt17integral_constantIbLb0EES1B_IbLb1EEEEDaS17_S18_EUlS17_E_NS1_11comp_targetILNS1_3genE4ELNS1_11target_archE910ELNS1_3gpuE8ELNS1_3repE0EEENS1_30default_config_static_selectorELNS0_4arch9wavefront6targetE1EEEvT1_.has_indirect_call, 0
	.section	.AMDGPU.csdata,"",@progbits
; Kernel info:
; codeLenInByte = 0
; TotalNumSgprs: 6
; NumVgprs: 0
; NumAgprs: 0
; TotalNumVgprs: 0
; ScratchSize: 0
; MemoryBound: 0
; FloatMode: 240
; IeeeMode: 1
; LDSByteSize: 0 bytes/workgroup (compile time only)
; SGPRBlocks: 0
; VGPRBlocks: 0
; NumSGPRsForWavesPerEU: 6
; NumVGPRsForWavesPerEU: 1
; AccumOffset: 4
; Occupancy: 8
; WaveLimiterHint : 0
; COMPUTE_PGM_RSRC2:SCRATCH_EN: 0
; COMPUTE_PGM_RSRC2:USER_SGPR: 2
; COMPUTE_PGM_RSRC2:TRAP_HANDLER: 0
; COMPUTE_PGM_RSRC2:TGID_X_EN: 1
; COMPUTE_PGM_RSRC2:TGID_Y_EN: 0
; COMPUTE_PGM_RSRC2:TGID_Z_EN: 0
; COMPUTE_PGM_RSRC2:TIDIG_COMP_CNT: 0
; COMPUTE_PGM_RSRC3_GFX90A:ACCUM_OFFSET: 0
; COMPUTE_PGM_RSRC3_GFX90A:TG_SPLIT: 0
	.section	.text._ZN7rocprim17ROCPRIM_400000_NS6detail17trampoline_kernelINS0_14default_configENS1_25partition_config_selectorILNS1_17partition_subalgoE8ElNS0_10empty_typeEbEEZZNS1_14partition_implILS5_8ELb0ES3_jPlPS6_PKS6_NS0_5tupleIJS9_S6_EEENSD_IJSA_SA_EEENS0_18inequality_wrapperIZN2at6native12_GLOBAL__N_124unique_dim_cuda_templateIjEESt5tupleIJNSH_6TensorESM_SM_EERKSM_lbbbEUlllE0_EEPmJS6_EEE10hipError_tPvRmT3_T4_T5_T6_T7_T9_mT8_P12ihipStream_tbDpT10_ENKUlT_T0_E_clISt17integral_constantIbLb0EES1B_IbLb1EEEEDaS17_S18_EUlS17_E_NS1_11comp_targetILNS1_3genE3ELNS1_11target_archE908ELNS1_3gpuE7ELNS1_3repE0EEENS1_30default_config_static_selectorELNS0_4arch9wavefront6targetE1EEEvT1_,"axG",@progbits,_ZN7rocprim17ROCPRIM_400000_NS6detail17trampoline_kernelINS0_14default_configENS1_25partition_config_selectorILNS1_17partition_subalgoE8ElNS0_10empty_typeEbEEZZNS1_14partition_implILS5_8ELb0ES3_jPlPS6_PKS6_NS0_5tupleIJS9_S6_EEENSD_IJSA_SA_EEENS0_18inequality_wrapperIZN2at6native12_GLOBAL__N_124unique_dim_cuda_templateIjEESt5tupleIJNSH_6TensorESM_SM_EERKSM_lbbbEUlllE0_EEPmJS6_EEE10hipError_tPvRmT3_T4_T5_T6_T7_T9_mT8_P12ihipStream_tbDpT10_ENKUlT_T0_E_clISt17integral_constantIbLb0EES1B_IbLb1EEEEDaS17_S18_EUlS17_E_NS1_11comp_targetILNS1_3genE3ELNS1_11target_archE908ELNS1_3gpuE7ELNS1_3repE0EEENS1_30default_config_static_selectorELNS0_4arch9wavefront6targetE1EEEvT1_,comdat
	.globl	_ZN7rocprim17ROCPRIM_400000_NS6detail17trampoline_kernelINS0_14default_configENS1_25partition_config_selectorILNS1_17partition_subalgoE8ElNS0_10empty_typeEbEEZZNS1_14partition_implILS5_8ELb0ES3_jPlPS6_PKS6_NS0_5tupleIJS9_S6_EEENSD_IJSA_SA_EEENS0_18inequality_wrapperIZN2at6native12_GLOBAL__N_124unique_dim_cuda_templateIjEESt5tupleIJNSH_6TensorESM_SM_EERKSM_lbbbEUlllE0_EEPmJS6_EEE10hipError_tPvRmT3_T4_T5_T6_T7_T9_mT8_P12ihipStream_tbDpT10_ENKUlT_T0_E_clISt17integral_constantIbLb0EES1B_IbLb1EEEEDaS17_S18_EUlS17_E_NS1_11comp_targetILNS1_3genE3ELNS1_11target_archE908ELNS1_3gpuE7ELNS1_3repE0EEENS1_30default_config_static_selectorELNS0_4arch9wavefront6targetE1EEEvT1_ ; -- Begin function _ZN7rocprim17ROCPRIM_400000_NS6detail17trampoline_kernelINS0_14default_configENS1_25partition_config_selectorILNS1_17partition_subalgoE8ElNS0_10empty_typeEbEEZZNS1_14partition_implILS5_8ELb0ES3_jPlPS6_PKS6_NS0_5tupleIJS9_S6_EEENSD_IJSA_SA_EEENS0_18inequality_wrapperIZN2at6native12_GLOBAL__N_124unique_dim_cuda_templateIjEESt5tupleIJNSH_6TensorESM_SM_EERKSM_lbbbEUlllE0_EEPmJS6_EEE10hipError_tPvRmT3_T4_T5_T6_T7_T9_mT8_P12ihipStream_tbDpT10_ENKUlT_T0_E_clISt17integral_constantIbLb0EES1B_IbLb1EEEEDaS17_S18_EUlS17_E_NS1_11comp_targetILNS1_3genE3ELNS1_11target_archE908ELNS1_3gpuE7ELNS1_3repE0EEENS1_30default_config_static_selectorELNS0_4arch9wavefront6targetE1EEEvT1_
	.p2align	8
	.type	_ZN7rocprim17ROCPRIM_400000_NS6detail17trampoline_kernelINS0_14default_configENS1_25partition_config_selectorILNS1_17partition_subalgoE8ElNS0_10empty_typeEbEEZZNS1_14partition_implILS5_8ELb0ES3_jPlPS6_PKS6_NS0_5tupleIJS9_S6_EEENSD_IJSA_SA_EEENS0_18inequality_wrapperIZN2at6native12_GLOBAL__N_124unique_dim_cuda_templateIjEESt5tupleIJNSH_6TensorESM_SM_EERKSM_lbbbEUlllE0_EEPmJS6_EEE10hipError_tPvRmT3_T4_T5_T6_T7_T9_mT8_P12ihipStream_tbDpT10_ENKUlT_T0_E_clISt17integral_constantIbLb0EES1B_IbLb1EEEEDaS17_S18_EUlS17_E_NS1_11comp_targetILNS1_3genE3ELNS1_11target_archE908ELNS1_3gpuE7ELNS1_3repE0EEENS1_30default_config_static_selectorELNS0_4arch9wavefront6targetE1EEEvT1_,@function
_ZN7rocprim17ROCPRIM_400000_NS6detail17trampoline_kernelINS0_14default_configENS1_25partition_config_selectorILNS1_17partition_subalgoE8ElNS0_10empty_typeEbEEZZNS1_14partition_implILS5_8ELb0ES3_jPlPS6_PKS6_NS0_5tupleIJS9_S6_EEENSD_IJSA_SA_EEENS0_18inequality_wrapperIZN2at6native12_GLOBAL__N_124unique_dim_cuda_templateIjEESt5tupleIJNSH_6TensorESM_SM_EERKSM_lbbbEUlllE0_EEPmJS6_EEE10hipError_tPvRmT3_T4_T5_T6_T7_T9_mT8_P12ihipStream_tbDpT10_ENKUlT_T0_E_clISt17integral_constantIbLb0EES1B_IbLb1EEEEDaS17_S18_EUlS17_E_NS1_11comp_targetILNS1_3genE3ELNS1_11target_archE908ELNS1_3gpuE7ELNS1_3repE0EEENS1_30default_config_static_selectorELNS0_4arch9wavefront6targetE1EEEvT1_: ; @_ZN7rocprim17ROCPRIM_400000_NS6detail17trampoline_kernelINS0_14default_configENS1_25partition_config_selectorILNS1_17partition_subalgoE8ElNS0_10empty_typeEbEEZZNS1_14partition_implILS5_8ELb0ES3_jPlPS6_PKS6_NS0_5tupleIJS9_S6_EEENSD_IJSA_SA_EEENS0_18inequality_wrapperIZN2at6native12_GLOBAL__N_124unique_dim_cuda_templateIjEESt5tupleIJNSH_6TensorESM_SM_EERKSM_lbbbEUlllE0_EEPmJS6_EEE10hipError_tPvRmT3_T4_T5_T6_T7_T9_mT8_P12ihipStream_tbDpT10_ENKUlT_T0_E_clISt17integral_constantIbLb0EES1B_IbLb1EEEEDaS17_S18_EUlS17_E_NS1_11comp_targetILNS1_3genE3ELNS1_11target_archE908ELNS1_3gpuE7ELNS1_3repE0EEENS1_30default_config_static_selectorELNS0_4arch9wavefront6targetE1EEEvT1_
; %bb.0:
	.section	.rodata,"a",@progbits
	.p2align	6, 0x0
	.amdhsa_kernel _ZN7rocprim17ROCPRIM_400000_NS6detail17trampoline_kernelINS0_14default_configENS1_25partition_config_selectorILNS1_17partition_subalgoE8ElNS0_10empty_typeEbEEZZNS1_14partition_implILS5_8ELb0ES3_jPlPS6_PKS6_NS0_5tupleIJS9_S6_EEENSD_IJSA_SA_EEENS0_18inequality_wrapperIZN2at6native12_GLOBAL__N_124unique_dim_cuda_templateIjEESt5tupleIJNSH_6TensorESM_SM_EERKSM_lbbbEUlllE0_EEPmJS6_EEE10hipError_tPvRmT3_T4_T5_T6_T7_T9_mT8_P12ihipStream_tbDpT10_ENKUlT_T0_E_clISt17integral_constantIbLb0EES1B_IbLb1EEEEDaS17_S18_EUlS17_E_NS1_11comp_targetILNS1_3genE3ELNS1_11target_archE908ELNS1_3gpuE7ELNS1_3repE0EEENS1_30default_config_static_selectorELNS0_4arch9wavefront6targetE1EEEvT1_
		.amdhsa_group_segment_fixed_size 0
		.amdhsa_private_segment_fixed_size 0
		.amdhsa_kernarg_size 136
		.amdhsa_user_sgpr_count 2
		.amdhsa_user_sgpr_dispatch_ptr 0
		.amdhsa_user_sgpr_queue_ptr 0
		.amdhsa_user_sgpr_kernarg_segment_ptr 1
		.amdhsa_user_sgpr_dispatch_id 0
		.amdhsa_user_sgpr_kernarg_preload_length 0
		.amdhsa_user_sgpr_kernarg_preload_offset 0
		.amdhsa_user_sgpr_private_segment_size 0
		.amdhsa_uses_dynamic_stack 0
		.amdhsa_enable_private_segment 0
		.amdhsa_system_sgpr_workgroup_id_x 1
		.amdhsa_system_sgpr_workgroup_id_y 0
		.amdhsa_system_sgpr_workgroup_id_z 0
		.amdhsa_system_sgpr_workgroup_info 0
		.amdhsa_system_vgpr_workitem_id 0
		.amdhsa_next_free_vgpr 1
		.amdhsa_next_free_sgpr 0
		.amdhsa_accum_offset 4
		.amdhsa_reserve_vcc 0
		.amdhsa_float_round_mode_32 0
		.amdhsa_float_round_mode_16_64 0
		.amdhsa_float_denorm_mode_32 3
		.amdhsa_float_denorm_mode_16_64 3
		.amdhsa_dx10_clamp 1
		.amdhsa_ieee_mode 1
		.amdhsa_fp16_overflow 0
		.amdhsa_tg_split 0
		.amdhsa_exception_fp_ieee_invalid_op 0
		.amdhsa_exception_fp_denorm_src 0
		.amdhsa_exception_fp_ieee_div_zero 0
		.amdhsa_exception_fp_ieee_overflow 0
		.amdhsa_exception_fp_ieee_underflow 0
		.amdhsa_exception_fp_ieee_inexact 0
		.amdhsa_exception_int_div_zero 0
	.end_amdhsa_kernel
	.section	.text._ZN7rocprim17ROCPRIM_400000_NS6detail17trampoline_kernelINS0_14default_configENS1_25partition_config_selectorILNS1_17partition_subalgoE8ElNS0_10empty_typeEbEEZZNS1_14partition_implILS5_8ELb0ES3_jPlPS6_PKS6_NS0_5tupleIJS9_S6_EEENSD_IJSA_SA_EEENS0_18inequality_wrapperIZN2at6native12_GLOBAL__N_124unique_dim_cuda_templateIjEESt5tupleIJNSH_6TensorESM_SM_EERKSM_lbbbEUlllE0_EEPmJS6_EEE10hipError_tPvRmT3_T4_T5_T6_T7_T9_mT8_P12ihipStream_tbDpT10_ENKUlT_T0_E_clISt17integral_constantIbLb0EES1B_IbLb1EEEEDaS17_S18_EUlS17_E_NS1_11comp_targetILNS1_3genE3ELNS1_11target_archE908ELNS1_3gpuE7ELNS1_3repE0EEENS1_30default_config_static_selectorELNS0_4arch9wavefront6targetE1EEEvT1_,"axG",@progbits,_ZN7rocprim17ROCPRIM_400000_NS6detail17trampoline_kernelINS0_14default_configENS1_25partition_config_selectorILNS1_17partition_subalgoE8ElNS0_10empty_typeEbEEZZNS1_14partition_implILS5_8ELb0ES3_jPlPS6_PKS6_NS0_5tupleIJS9_S6_EEENSD_IJSA_SA_EEENS0_18inequality_wrapperIZN2at6native12_GLOBAL__N_124unique_dim_cuda_templateIjEESt5tupleIJNSH_6TensorESM_SM_EERKSM_lbbbEUlllE0_EEPmJS6_EEE10hipError_tPvRmT3_T4_T5_T6_T7_T9_mT8_P12ihipStream_tbDpT10_ENKUlT_T0_E_clISt17integral_constantIbLb0EES1B_IbLb1EEEEDaS17_S18_EUlS17_E_NS1_11comp_targetILNS1_3genE3ELNS1_11target_archE908ELNS1_3gpuE7ELNS1_3repE0EEENS1_30default_config_static_selectorELNS0_4arch9wavefront6targetE1EEEvT1_,comdat
.Lfunc_end1568:
	.size	_ZN7rocprim17ROCPRIM_400000_NS6detail17trampoline_kernelINS0_14default_configENS1_25partition_config_selectorILNS1_17partition_subalgoE8ElNS0_10empty_typeEbEEZZNS1_14partition_implILS5_8ELb0ES3_jPlPS6_PKS6_NS0_5tupleIJS9_S6_EEENSD_IJSA_SA_EEENS0_18inequality_wrapperIZN2at6native12_GLOBAL__N_124unique_dim_cuda_templateIjEESt5tupleIJNSH_6TensorESM_SM_EERKSM_lbbbEUlllE0_EEPmJS6_EEE10hipError_tPvRmT3_T4_T5_T6_T7_T9_mT8_P12ihipStream_tbDpT10_ENKUlT_T0_E_clISt17integral_constantIbLb0EES1B_IbLb1EEEEDaS17_S18_EUlS17_E_NS1_11comp_targetILNS1_3genE3ELNS1_11target_archE908ELNS1_3gpuE7ELNS1_3repE0EEENS1_30default_config_static_selectorELNS0_4arch9wavefront6targetE1EEEvT1_, .Lfunc_end1568-_ZN7rocprim17ROCPRIM_400000_NS6detail17trampoline_kernelINS0_14default_configENS1_25partition_config_selectorILNS1_17partition_subalgoE8ElNS0_10empty_typeEbEEZZNS1_14partition_implILS5_8ELb0ES3_jPlPS6_PKS6_NS0_5tupleIJS9_S6_EEENSD_IJSA_SA_EEENS0_18inequality_wrapperIZN2at6native12_GLOBAL__N_124unique_dim_cuda_templateIjEESt5tupleIJNSH_6TensorESM_SM_EERKSM_lbbbEUlllE0_EEPmJS6_EEE10hipError_tPvRmT3_T4_T5_T6_T7_T9_mT8_P12ihipStream_tbDpT10_ENKUlT_T0_E_clISt17integral_constantIbLb0EES1B_IbLb1EEEEDaS17_S18_EUlS17_E_NS1_11comp_targetILNS1_3genE3ELNS1_11target_archE908ELNS1_3gpuE7ELNS1_3repE0EEENS1_30default_config_static_selectorELNS0_4arch9wavefront6targetE1EEEvT1_
                                        ; -- End function
	.set _ZN7rocprim17ROCPRIM_400000_NS6detail17trampoline_kernelINS0_14default_configENS1_25partition_config_selectorILNS1_17partition_subalgoE8ElNS0_10empty_typeEbEEZZNS1_14partition_implILS5_8ELb0ES3_jPlPS6_PKS6_NS0_5tupleIJS9_S6_EEENSD_IJSA_SA_EEENS0_18inequality_wrapperIZN2at6native12_GLOBAL__N_124unique_dim_cuda_templateIjEESt5tupleIJNSH_6TensorESM_SM_EERKSM_lbbbEUlllE0_EEPmJS6_EEE10hipError_tPvRmT3_T4_T5_T6_T7_T9_mT8_P12ihipStream_tbDpT10_ENKUlT_T0_E_clISt17integral_constantIbLb0EES1B_IbLb1EEEEDaS17_S18_EUlS17_E_NS1_11comp_targetILNS1_3genE3ELNS1_11target_archE908ELNS1_3gpuE7ELNS1_3repE0EEENS1_30default_config_static_selectorELNS0_4arch9wavefront6targetE1EEEvT1_.num_vgpr, 0
	.set _ZN7rocprim17ROCPRIM_400000_NS6detail17trampoline_kernelINS0_14default_configENS1_25partition_config_selectorILNS1_17partition_subalgoE8ElNS0_10empty_typeEbEEZZNS1_14partition_implILS5_8ELb0ES3_jPlPS6_PKS6_NS0_5tupleIJS9_S6_EEENSD_IJSA_SA_EEENS0_18inequality_wrapperIZN2at6native12_GLOBAL__N_124unique_dim_cuda_templateIjEESt5tupleIJNSH_6TensorESM_SM_EERKSM_lbbbEUlllE0_EEPmJS6_EEE10hipError_tPvRmT3_T4_T5_T6_T7_T9_mT8_P12ihipStream_tbDpT10_ENKUlT_T0_E_clISt17integral_constantIbLb0EES1B_IbLb1EEEEDaS17_S18_EUlS17_E_NS1_11comp_targetILNS1_3genE3ELNS1_11target_archE908ELNS1_3gpuE7ELNS1_3repE0EEENS1_30default_config_static_selectorELNS0_4arch9wavefront6targetE1EEEvT1_.num_agpr, 0
	.set _ZN7rocprim17ROCPRIM_400000_NS6detail17trampoline_kernelINS0_14default_configENS1_25partition_config_selectorILNS1_17partition_subalgoE8ElNS0_10empty_typeEbEEZZNS1_14partition_implILS5_8ELb0ES3_jPlPS6_PKS6_NS0_5tupleIJS9_S6_EEENSD_IJSA_SA_EEENS0_18inequality_wrapperIZN2at6native12_GLOBAL__N_124unique_dim_cuda_templateIjEESt5tupleIJNSH_6TensorESM_SM_EERKSM_lbbbEUlllE0_EEPmJS6_EEE10hipError_tPvRmT3_T4_T5_T6_T7_T9_mT8_P12ihipStream_tbDpT10_ENKUlT_T0_E_clISt17integral_constantIbLb0EES1B_IbLb1EEEEDaS17_S18_EUlS17_E_NS1_11comp_targetILNS1_3genE3ELNS1_11target_archE908ELNS1_3gpuE7ELNS1_3repE0EEENS1_30default_config_static_selectorELNS0_4arch9wavefront6targetE1EEEvT1_.numbered_sgpr, 0
	.set _ZN7rocprim17ROCPRIM_400000_NS6detail17trampoline_kernelINS0_14default_configENS1_25partition_config_selectorILNS1_17partition_subalgoE8ElNS0_10empty_typeEbEEZZNS1_14partition_implILS5_8ELb0ES3_jPlPS6_PKS6_NS0_5tupleIJS9_S6_EEENSD_IJSA_SA_EEENS0_18inequality_wrapperIZN2at6native12_GLOBAL__N_124unique_dim_cuda_templateIjEESt5tupleIJNSH_6TensorESM_SM_EERKSM_lbbbEUlllE0_EEPmJS6_EEE10hipError_tPvRmT3_T4_T5_T6_T7_T9_mT8_P12ihipStream_tbDpT10_ENKUlT_T0_E_clISt17integral_constantIbLb0EES1B_IbLb1EEEEDaS17_S18_EUlS17_E_NS1_11comp_targetILNS1_3genE3ELNS1_11target_archE908ELNS1_3gpuE7ELNS1_3repE0EEENS1_30default_config_static_selectorELNS0_4arch9wavefront6targetE1EEEvT1_.num_named_barrier, 0
	.set _ZN7rocprim17ROCPRIM_400000_NS6detail17trampoline_kernelINS0_14default_configENS1_25partition_config_selectorILNS1_17partition_subalgoE8ElNS0_10empty_typeEbEEZZNS1_14partition_implILS5_8ELb0ES3_jPlPS6_PKS6_NS0_5tupleIJS9_S6_EEENSD_IJSA_SA_EEENS0_18inequality_wrapperIZN2at6native12_GLOBAL__N_124unique_dim_cuda_templateIjEESt5tupleIJNSH_6TensorESM_SM_EERKSM_lbbbEUlllE0_EEPmJS6_EEE10hipError_tPvRmT3_T4_T5_T6_T7_T9_mT8_P12ihipStream_tbDpT10_ENKUlT_T0_E_clISt17integral_constantIbLb0EES1B_IbLb1EEEEDaS17_S18_EUlS17_E_NS1_11comp_targetILNS1_3genE3ELNS1_11target_archE908ELNS1_3gpuE7ELNS1_3repE0EEENS1_30default_config_static_selectorELNS0_4arch9wavefront6targetE1EEEvT1_.private_seg_size, 0
	.set _ZN7rocprim17ROCPRIM_400000_NS6detail17trampoline_kernelINS0_14default_configENS1_25partition_config_selectorILNS1_17partition_subalgoE8ElNS0_10empty_typeEbEEZZNS1_14partition_implILS5_8ELb0ES3_jPlPS6_PKS6_NS0_5tupleIJS9_S6_EEENSD_IJSA_SA_EEENS0_18inequality_wrapperIZN2at6native12_GLOBAL__N_124unique_dim_cuda_templateIjEESt5tupleIJNSH_6TensorESM_SM_EERKSM_lbbbEUlllE0_EEPmJS6_EEE10hipError_tPvRmT3_T4_T5_T6_T7_T9_mT8_P12ihipStream_tbDpT10_ENKUlT_T0_E_clISt17integral_constantIbLb0EES1B_IbLb1EEEEDaS17_S18_EUlS17_E_NS1_11comp_targetILNS1_3genE3ELNS1_11target_archE908ELNS1_3gpuE7ELNS1_3repE0EEENS1_30default_config_static_selectorELNS0_4arch9wavefront6targetE1EEEvT1_.uses_vcc, 0
	.set _ZN7rocprim17ROCPRIM_400000_NS6detail17trampoline_kernelINS0_14default_configENS1_25partition_config_selectorILNS1_17partition_subalgoE8ElNS0_10empty_typeEbEEZZNS1_14partition_implILS5_8ELb0ES3_jPlPS6_PKS6_NS0_5tupleIJS9_S6_EEENSD_IJSA_SA_EEENS0_18inequality_wrapperIZN2at6native12_GLOBAL__N_124unique_dim_cuda_templateIjEESt5tupleIJNSH_6TensorESM_SM_EERKSM_lbbbEUlllE0_EEPmJS6_EEE10hipError_tPvRmT3_T4_T5_T6_T7_T9_mT8_P12ihipStream_tbDpT10_ENKUlT_T0_E_clISt17integral_constantIbLb0EES1B_IbLb1EEEEDaS17_S18_EUlS17_E_NS1_11comp_targetILNS1_3genE3ELNS1_11target_archE908ELNS1_3gpuE7ELNS1_3repE0EEENS1_30default_config_static_selectorELNS0_4arch9wavefront6targetE1EEEvT1_.uses_flat_scratch, 0
	.set _ZN7rocprim17ROCPRIM_400000_NS6detail17trampoline_kernelINS0_14default_configENS1_25partition_config_selectorILNS1_17partition_subalgoE8ElNS0_10empty_typeEbEEZZNS1_14partition_implILS5_8ELb0ES3_jPlPS6_PKS6_NS0_5tupleIJS9_S6_EEENSD_IJSA_SA_EEENS0_18inequality_wrapperIZN2at6native12_GLOBAL__N_124unique_dim_cuda_templateIjEESt5tupleIJNSH_6TensorESM_SM_EERKSM_lbbbEUlllE0_EEPmJS6_EEE10hipError_tPvRmT3_T4_T5_T6_T7_T9_mT8_P12ihipStream_tbDpT10_ENKUlT_T0_E_clISt17integral_constantIbLb0EES1B_IbLb1EEEEDaS17_S18_EUlS17_E_NS1_11comp_targetILNS1_3genE3ELNS1_11target_archE908ELNS1_3gpuE7ELNS1_3repE0EEENS1_30default_config_static_selectorELNS0_4arch9wavefront6targetE1EEEvT1_.has_dyn_sized_stack, 0
	.set _ZN7rocprim17ROCPRIM_400000_NS6detail17trampoline_kernelINS0_14default_configENS1_25partition_config_selectorILNS1_17partition_subalgoE8ElNS0_10empty_typeEbEEZZNS1_14partition_implILS5_8ELb0ES3_jPlPS6_PKS6_NS0_5tupleIJS9_S6_EEENSD_IJSA_SA_EEENS0_18inequality_wrapperIZN2at6native12_GLOBAL__N_124unique_dim_cuda_templateIjEESt5tupleIJNSH_6TensorESM_SM_EERKSM_lbbbEUlllE0_EEPmJS6_EEE10hipError_tPvRmT3_T4_T5_T6_T7_T9_mT8_P12ihipStream_tbDpT10_ENKUlT_T0_E_clISt17integral_constantIbLb0EES1B_IbLb1EEEEDaS17_S18_EUlS17_E_NS1_11comp_targetILNS1_3genE3ELNS1_11target_archE908ELNS1_3gpuE7ELNS1_3repE0EEENS1_30default_config_static_selectorELNS0_4arch9wavefront6targetE1EEEvT1_.has_recursion, 0
	.set _ZN7rocprim17ROCPRIM_400000_NS6detail17trampoline_kernelINS0_14default_configENS1_25partition_config_selectorILNS1_17partition_subalgoE8ElNS0_10empty_typeEbEEZZNS1_14partition_implILS5_8ELb0ES3_jPlPS6_PKS6_NS0_5tupleIJS9_S6_EEENSD_IJSA_SA_EEENS0_18inequality_wrapperIZN2at6native12_GLOBAL__N_124unique_dim_cuda_templateIjEESt5tupleIJNSH_6TensorESM_SM_EERKSM_lbbbEUlllE0_EEPmJS6_EEE10hipError_tPvRmT3_T4_T5_T6_T7_T9_mT8_P12ihipStream_tbDpT10_ENKUlT_T0_E_clISt17integral_constantIbLb0EES1B_IbLb1EEEEDaS17_S18_EUlS17_E_NS1_11comp_targetILNS1_3genE3ELNS1_11target_archE908ELNS1_3gpuE7ELNS1_3repE0EEENS1_30default_config_static_selectorELNS0_4arch9wavefront6targetE1EEEvT1_.has_indirect_call, 0
	.section	.AMDGPU.csdata,"",@progbits
; Kernel info:
; codeLenInByte = 0
; TotalNumSgprs: 6
; NumVgprs: 0
; NumAgprs: 0
; TotalNumVgprs: 0
; ScratchSize: 0
; MemoryBound: 0
; FloatMode: 240
; IeeeMode: 1
; LDSByteSize: 0 bytes/workgroup (compile time only)
; SGPRBlocks: 0
; VGPRBlocks: 0
; NumSGPRsForWavesPerEU: 6
; NumVGPRsForWavesPerEU: 1
; AccumOffset: 4
; Occupancy: 8
; WaveLimiterHint : 0
; COMPUTE_PGM_RSRC2:SCRATCH_EN: 0
; COMPUTE_PGM_RSRC2:USER_SGPR: 2
; COMPUTE_PGM_RSRC2:TRAP_HANDLER: 0
; COMPUTE_PGM_RSRC2:TGID_X_EN: 1
; COMPUTE_PGM_RSRC2:TGID_Y_EN: 0
; COMPUTE_PGM_RSRC2:TGID_Z_EN: 0
; COMPUTE_PGM_RSRC2:TIDIG_COMP_CNT: 0
; COMPUTE_PGM_RSRC3_GFX90A:ACCUM_OFFSET: 0
; COMPUTE_PGM_RSRC3_GFX90A:TG_SPLIT: 0
	.section	.text._ZN7rocprim17ROCPRIM_400000_NS6detail17trampoline_kernelINS0_14default_configENS1_25partition_config_selectorILNS1_17partition_subalgoE8ElNS0_10empty_typeEbEEZZNS1_14partition_implILS5_8ELb0ES3_jPlPS6_PKS6_NS0_5tupleIJS9_S6_EEENSD_IJSA_SA_EEENS0_18inequality_wrapperIZN2at6native12_GLOBAL__N_124unique_dim_cuda_templateIjEESt5tupleIJNSH_6TensorESM_SM_EERKSM_lbbbEUlllE0_EEPmJS6_EEE10hipError_tPvRmT3_T4_T5_T6_T7_T9_mT8_P12ihipStream_tbDpT10_ENKUlT_T0_E_clISt17integral_constantIbLb0EES1B_IbLb1EEEEDaS17_S18_EUlS17_E_NS1_11comp_targetILNS1_3genE2ELNS1_11target_archE906ELNS1_3gpuE6ELNS1_3repE0EEENS1_30default_config_static_selectorELNS0_4arch9wavefront6targetE1EEEvT1_,"axG",@progbits,_ZN7rocprim17ROCPRIM_400000_NS6detail17trampoline_kernelINS0_14default_configENS1_25partition_config_selectorILNS1_17partition_subalgoE8ElNS0_10empty_typeEbEEZZNS1_14partition_implILS5_8ELb0ES3_jPlPS6_PKS6_NS0_5tupleIJS9_S6_EEENSD_IJSA_SA_EEENS0_18inequality_wrapperIZN2at6native12_GLOBAL__N_124unique_dim_cuda_templateIjEESt5tupleIJNSH_6TensorESM_SM_EERKSM_lbbbEUlllE0_EEPmJS6_EEE10hipError_tPvRmT3_T4_T5_T6_T7_T9_mT8_P12ihipStream_tbDpT10_ENKUlT_T0_E_clISt17integral_constantIbLb0EES1B_IbLb1EEEEDaS17_S18_EUlS17_E_NS1_11comp_targetILNS1_3genE2ELNS1_11target_archE906ELNS1_3gpuE6ELNS1_3repE0EEENS1_30default_config_static_selectorELNS0_4arch9wavefront6targetE1EEEvT1_,comdat
	.globl	_ZN7rocprim17ROCPRIM_400000_NS6detail17trampoline_kernelINS0_14default_configENS1_25partition_config_selectorILNS1_17partition_subalgoE8ElNS0_10empty_typeEbEEZZNS1_14partition_implILS5_8ELb0ES3_jPlPS6_PKS6_NS0_5tupleIJS9_S6_EEENSD_IJSA_SA_EEENS0_18inequality_wrapperIZN2at6native12_GLOBAL__N_124unique_dim_cuda_templateIjEESt5tupleIJNSH_6TensorESM_SM_EERKSM_lbbbEUlllE0_EEPmJS6_EEE10hipError_tPvRmT3_T4_T5_T6_T7_T9_mT8_P12ihipStream_tbDpT10_ENKUlT_T0_E_clISt17integral_constantIbLb0EES1B_IbLb1EEEEDaS17_S18_EUlS17_E_NS1_11comp_targetILNS1_3genE2ELNS1_11target_archE906ELNS1_3gpuE6ELNS1_3repE0EEENS1_30default_config_static_selectorELNS0_4arch9wavefront6targetE1EEEvT1_ ; -- Begin function _ZN7rocprim17ROCPRIM_400000_NS6detail17trampoline_kernelINS0_14default_configENS1_25partition_config_selectorILNS1_17partition_subalgoE8ElNS0_10empty_typeEbEEZZNS1_14partition_implILS5_8ELb0ES3_jPlPS6_PKS6_NS0_5tupleIJS9_S6_EEENSD_IJSA_SA_EEENS0_18inequality_wrapperIZN2at6native12_GLOBAL__N_124unique_dim_cuda_templateIjEESt5tupleIJNSH_6TensorESM_SM_EERKSM_lbbbEUlllE0_EEPmJS6_EEE10hipError_tPvRmT3_T4_T5_T6_T7_T9_mT8_P12ihipStream_tbDpT10_ENKUlT_T0_E_clISt17integral_constantIbLb0EES1B_IbLb1EEEEDaS17_S18_EUlS17_E_NS1_11comp_targetILNS1_3genE2ELNS1_11target_archE906ELNS1_3gpuE6ELNS1_3repE0EEENS1_30default_config_static_selectorELNS0_4arch9wavefront6targetE1EEEvT1_
	.p2align	8
	.type	_ZN7rocprim17ROCPRIM_400000_NS6detail17trampoline_kernelINS0_14default_configENS1_25partition_config_selectorILNS1_17partition_subalgoE8ElNS0_10empty_typeEbEEZZNS1_14partition_implILS5_8ELb0ES3_jPlPS6_PKS6_NS0_5tupleIJS9_S6_EEENSD_IJSA_SA_EEENS0_18inequality_wrapperIZN2at6native12_GLOBAL__N_124unique_dim_cuda_templateIjEESt5tupleIJNSH_6TensorESM_SM_EERKSM_lbbbEUlllE0_EEPmJS6_EEE10hipError_tPvRmT3_T4_T5_T6_T7_T9_mT8_P12ihipStream_tbDpT10_ENKUlT_T0_E_clISt17integral_constantIbLb0EES1B_IbLb1EEEEDaS17_S18_EUlS17_E_NS1_11comp_targetILNS1_3genE2ELNS1_11target_archE906ELNS1_3gpuE6ELNS1_3repE0EEENS1_30default_config_static_selectorELNS0_4arch9wavefront6targetE1EEEvT1_,@function
_ZN7rocprim17ROCPRIM_400000_NS6detail17trampoline_kernelINS0_14default_configENS1_25partition_config_selectorILNS1_17partition_subalgoE8ElNS0_10empty_typeEbEEZZNS1_14partition_implILS5_8ELb0ES3_jPlPS6_PKS6_NS0_5tupleIJS9_S6_EEENSD_IJSA_SA_EEENS0_18inequality_wrapperIZN2at6native12_GLOBAL__N_124unique_dim_cuda_templateIjEESt5tupleIJNSH_6TensorESM_SM_EERKSM_lbbbEUlllE0_EEPmJS6_EEE10hipError_tPvRmT3_T4_T5_T6_T7_T9_mT8_P12ihipStream_tbDpT10_ENKUlT_T0_E_clISt17integral_constantIbLb0EES1B_IbLb1EEEEDaS17_S18_EUlS17_E_NS1_11comp_targetILNS1_3genE2ELNS1_11target_archE906ELNS1_3gpuE6ELNS1_3repE0EEENS1_30default_config_static_selectorELNS0_4arch9wavefront6targetE1EEEvT1_: ; @_ZN7rocprim17ROCPRIM_400000_NS6detail17trampoline_kernelINS0_14default_configENS1_25partition_config_selectorILNS1_17partition_subalgoE8ElNS0_10empty_typeEbEEZZNS1_14partition_implILS5_8ELb0ES3_jPlPS6_PKS6_NS0_5tupleIJS9_S6_EEENSD_IJSA_SA_EEENS0_18inequality_wrapperIZN2at6native12_GLOBAL__N_124unique_dim_cuda_templateIjEESt5tupleIJNSH_6TensorESM_SM_EERKSM_lbbbEUlllE0_EEPmJS6_EEE10hipError_tPvRmT3_T4_T5_T6_T7_T9_mT8_P12ihipStream_tbDpT10_ENKUlT_T0_E_clISt17integral_constantIbLb0EES1B_IbLb1EEEEDaS17_S18_EUlS17_E_NS1_11comp_targetILNS1_3genE2ELNS1_11target_archE906ELNS1_3gpuE6ELNS1_3repE0EEENS1_30default_config_static_selectorELNS0_4arch9wavefront6targetE1EEEvT1_
; %bb.0:
	.section	.rodata,"a",@progbits
	.p2align	6, 0x0
	.amdhsa_kernel _ZN7rocprim17ROCPRIM_400000_NS6detail17trampoline_kernelINS0_14default_configENS1_25partition_config_selectorILNS1_17partition_subalgoE8ElNS0_10empty_typeEbEEZZNS1_14partition_implILS5_8ELb0ES3_jPlPS6_PKS6_NS0_5tupleIJS9_S6_EEENSD_IJSA_SA_EEENS0_18inequality_wrapperIZN2at6native12_GLOBAL__N_124unique_dim_cuda_templateIjEESt5tupleIJNSH_6TensorESM_SM_EERKSM_lbbbEUlllE0_EEPmJS6_EEE10hipError_tPvRmT3_T4_T5_T6_T7_T9_mT8_P12ihipStream_tbDpT10_ENKUlT_T0_E_clISt17integral_constantIbLb0EES1B_IbLb1EEEEDaS17_S18_EUlS17_E_NS1_11comp_targetILNS1_3genE2ELNS1_11target_archE906ELNS1_3gpuE6ELNS1_3repE0EEENS1_30default_config_static_selectorELNS0_4arch9wavefront6targetE1EEEvT1_
		.amdhsa_group_segment_fixed_size 0
		.amdhsa_private_segment_fixed_size 0
		.amdhsa_kernarg_size 136
		.amdhsa_user_sgpr_count 2
		.amdhsa_user_sgpr_dispatch_ptr 0
		.amdhsa_user_sgpr_queue_ptr 0
		.amdhsa_user_sgpr_kernarg_segment_ptr 1
		.amdhsa_user_sgpr_dispatch_id 0
		.amdhsa_user_sgpr_kernarg_preload_length 0
		.amdhsa_user_sgpr_kernarg_preload_offset 0
		.amdhsa_user_sgpr_private_segment_size 0
		.amdhsa_uses_dynamic_stack 0
		.amdhsa_enable_private_segment 0
		.amdhsa_system_sgpr_workgroup_id_x 1
		.amdhsa_system_sgpr_workgroup_id_y 0
		.amdhsa_system_sgpr_workgroup_id_z 0
		.amdhsa_system_sgpr_workgroup_info 0
		.amdhsa_system_vgpr_workitem_id 0
		.amdhsa_next_free_vgpr 1
		.amdhsa_next_free_sgpr 0
		.amdhsa_accum_offset 4
		.amdhsa_reserve_vcc 0
		.amdhsa_float_round_mode_32 0
		.amdhsa_float_round_mode_16_64 0
		.amdhsa_float_denorm_mode_32 3
		.amdhsa_float_denorm_mode_16_64 3
		.amdhsa_dx10_clamp 1
		.amdhsa_ieee_mode 1
		.amdhsa_fp16_overflow 0
		.amdhsa_tg_split 0
		.amdhsa_exception_fp_ieee_invalid_op 0
		.amdhsa_exception_fp_denorm_src 0
		.amdhsa_exception_fp_ieee_div_zero 0
		.amdhsa_exception_fp_ieee_overflow 0
		.amdhsa_exception_fp_ieee_underflow 0
		.amdhsa_exception_fp_ieee_inexact 0
		.amdhsa_exception_int_div_zero 0
	.end_amdhsa_kernel
	.section	.text._ZN7rocprim17ROCPRIM_400000_NS6detail17trampoline_kernelINS0_14default_configENS1_25partition_config_selectorILNS1_17partition_subalgoE8ElNS0_10empty_typeEbEEZZNS1_14partition_implILS5_8ELb0ES3_jPlPS6_PKS6_NS0_5tupleIJS9_S6_EEENSD_IJSA_SA_EEENS0_18inequality_wrapperIZN2at6native12_GLOBAL__N_124unique_dim_cuda_templateIjEESt5tupleIJNSH_6TensorESM_SM_EERKSM_lbbbEUlllE0_EEPmJS6_EEE10hipError_tPvRmT3_T4_T5_T6_T7_T9_mT8_P12ihipStream_tbDpT10_ENKUlT_T0_E_clISt17integral_constantIbLb0EES1B_IbLb1EEEEDaS17_S18_EUlS17_E_NS1_11comp_targetILNS1_3genE2ELNS1_11target_archE906ELNS1_3gpuE6ELNS1_3repE0EEENS1_30default_config_static_selectorELNS0_4arch9wavefront6targetE1EEEvT1_,"axG",@progbits,_ZN7rocprim17ROCPRIM_400000_NS6detail17trampoline_kernelINS0_14default_configENS1_25partition_config_selectorILNS1_17partition_subalgoE8ElNS0_10empty_typeEbEEZZNS1_14partition_implILS5_8ELb0ES3_jPlPS6_PKS6_NS0_5tupleIJS9_S6_EEENSD_IJSA_SA_EEENS0_18inequality_wrapperIZN2at6native12_GLOBAL__N_124unique_dim_cuda_templateIjEESt5tupleIJNSH_6TensorESM_SM_EERKSM_lbbbEUlllE0_EEPmJS6_EEE10hipError_tPvRmT3_T4_T5_T6_T7_T9_mT8_P12ihipStream_tbDpT10_ENKUlT_T0_E_clISt17integral_constantIbLb0EES1B_IbLb1EEEEDaS17_S18_EUlS17_E_NS1_11comp_targetILNS1_3genE2ELNS1_11target_archE906ELNS1_3gpuE6ELNS1_3repE0EEENS1_30default_config_static_selectorELNS0_4arch9wavefront6targetE1EEEvT1_,comdat
.Lfunc_end1569:
	.size	_ZN7rocprim17ROCPRIM_400000_NS6detail17trampoline_kernelINS0_14default_configENS1_25partition_config_selectorILNS1_17partition_subalgoE8ElNS0_10empty_typeEbEEZZNS1_14partition_implILS5_8ELb0ES3_jPlPS6_PKS6_NS0_5tupleIJS9_S6_EEENSD_IJSA_SA_EEENS0_18inequality_wrapperIZN2at6native12_GLOBAL__N_124unique_dim_cuda_templateIjEESt5tupleIJNSH_6TensorESM_SM_EERKSM_lbbbEUlllE0_EEPmJS6_EEE10hipError_tPvRmT3_T4_T5_T6_T7_T9_mT8_P12ihipStream_tbDpT10_ENKUlT_T0_E_clISt17integral_constantIbLb0EES1B_IbLb1EEEEDaS17_S18_EUlS17_E_NS1_11comp_targetILNS1_3genE2ELNS1_11target_archE906ELNS1_3gpuE6ELNS1_3repE0EEENS1_30default_config_static_selectorELNS0_4arch9wavefront6targetE1EEEvT1_, .Lfunc_end1569-_ZN7rocprim17ROCPRIM_400000_NS6detail17trampoline_kernelINS0_14default_configENS1_25partition_config_selectorILNS1_17partition_subalgoE8ElNS0_10empty_typeEbEEZZNS1_14partition_implILS5_8ELb0ES3_jPlPS6_PKS6_NS0_5tupleIJS9_S6_EEENSD_IJSA_SA_EEENS0_18inequality_wrapperIZN2at6native12_GLOBAL__N_124unique_dim_cuda_templateIjEESt5tupleIJNSH_6TensorESM_SM_EERKSM_lbbbEUlllE0_EEPmJS6_EEE10hipError_tPvRmT3_T4_T5_T6_T7_T9_mT8_P12ihipStream_tbDpT10_ENKUlT_T0_E_clISt17integral_constantIbLb0EES1B_IbLb1EEEEDaS17_S18_EUlS17_E_NS1_11comp_targetILNS1_3genE2ELNS1_11target_archE906ELNS1_3gpuE6ELNS1_3repE0EEENS1_30default_config_static_selectorELNS0_4arch9wavefront6targetE1EEEvT1_
                                        ; -- End function
	.set _ZN7rocprim17ROCPRIM_400000_NS6detail17trampoline_kernelINS0_14default_configENS1_25partition_config_selectorILNS1_17partition_subalgoE8ElNS0_10empty_typeEbEEZZNS1_14partition_implILS5_8ELb0ES3_jPlPS6_PKS6_NS0_5tupleIJS9_S6_EEENSD_IJSA_SA_EEENS0_18inequality_wrapperIZN2at6native12_GLOBAL__N_124unique_dim_cuda_templateIjEESt5tupleIJNSH_6TensorESM_SM_EERKSM_lbbbEUlllE0_EEPmJS6_EEE10hipError_tPvRmT3_T4_T5_T6_T7_T9_mT8_P12ihipStream_tbDpT10_ENKUlT_T0_E_clISt17integral_constantIbLb0EES1B_IbLb1EEEEDaS17_S18_EUlS17_E_NS1_11comp_targetILNS1_3genE2ELNS1_11target_archE906ELNS1_3gpuE6ELNS1_3repE0EEENS1_30default_config_static_selectorELNS0_4arch9wavefront6targetE1EEEvT1_.num_vgpr, 0
	.set _ZN7rocprim17ROCPRIM_400000_NS6detail17trampoline_kernelINS0_14default_configENS1_25partition_config_selectorILNS1_17partition_subalgoE8ElNS0_10empty_typeEbEEZZNS1_14partition_implILS5_8ELb0ES3_jPlPS6_PKS6_NS0_5tupleIJS9_S6_EEENSD_IJSA_SA_EEENS0_18inequality_wrapperIZN2at6native12_GLOBAL__N_124unique_dim_cuda_templateIjEESt5tupleIJNSH_6TensorESM_SM_EERKSM_lbbbEUlllE0_EEPmJS6_EEE10hipError_tPvRmT3_T4_T5_T6_T7_T9_mT8_P12ihipStream_tbDpT10_ENKUlT_T0_E_clISt17integral_constantIbLb0EES1B_IbLb1EEEEDaS17_S18_EUlS17_E_NS1_11comp_targetILNS1_3genE2ELNS1_11target_archE906ELNS1_3gpuE6ELNS1_3repE0EEENS1_30default_config_static_selectorELNS0_4arch9wavefront6targetE1EEEvT1_.num_agpr, 0
	.set _ZN7rocprim17ROCPRIM_400000_NS6detail17trampoline_kernelINS0_14default_configENS1_25partition_config_selectorILNS1_17partition_subalgoE8ElNS0_10empty_typeEbEEZZNS1_14partition_implILS5_8ELb0ES3_jPlPS6_PKS6_NS0_5tupleIJS9_S6_EEENSD_IJSA_SA_EEENS0_18inequality_wrapperIZN2at6native12_GLOBAL__N_124unique_dim_cuda_templateIjEESt5tupleIJNSH_6TensorESM_SM_EERKSM_lbbbEUlllE0_EEPmJS6_EEE10hipError_tPvRmT3_T4_T5_T6_T7_T9_mT8_P12ihipStream_tbDpT10_ENKUlT_T0_E_clISt17integral_constantIbLb0EES1B_IbLb1EEEEDaS17_S18_EUlS17_E_NS1_11comp_targetILNS1_3genE2ELNS1_11target_archE906ELNS1_3gpuE6ELNS1_3repE0EEENS1_30default_config_static_selectorELNS0_4arch9wavefront6targetE1EEEvT1_.numbered_sgpr, 0
	.set _ZN7rocprim17ROCPRIM_400000_NS6detail17trampoline_kernelINS0_14default_configENS1_25partition_config_selectorILNS1_17partition_subalgoE8ElNS0_10empty_typeEbEEZZNS1_14partition_implILS5_8ELb0ES3_jPlPS6_PKS6_NS0_5tupleIJS9_S6_EEENSD_IJSA_SA_EEENS0_18inequality_wrapperIZN2at6native12_GLOBAL__N_124unique_dim_cuda_templateIjEESt5tupleIJNSH_6TensorESM_SM_EERKSM_lbbbEUlllE0_EEPmJS6_EEE10hipError_tPvRmT3_T4_T5_T6_T7_T9_mT8_P12ihipStream_tbDpT10_ENKUlT_T0_E_clISt17integral_constantIbLb0EES1B_IbLb1EEEEDaS17_S18_EUlS17_E_NS1_11comp_targetILNS1_3genE2ELNS1_11target_archE906ELNS1_3gpuE6ELNS1_3repE0EEENS1_30default_config_static_selectorELNS0_4arch9wavefront6targetE1EEEvT1_.num_named_barrier, 0
	.set _ZN7rocprim17ROCPRIM_400000_NS6detail17trampoline_kernelINS0_14default_configENS1_25partition_config_selectorILNS1_17partition_subalgoE8ElNS0_10empty_typeEbEEZZNS1_14partition_implILS5_8ELb0ES3_jPlPS6_PKS6_NS0_5tupleIJS9_S6_EEENSD_IJSA_SA_EEENS0_18inequality_wrapperIZN2at6native12_GLOBAL__N_124unique_dim_cuda_templateIjEESt5tupleIJNSH_6TensorESM_SM_EERKSM_lbbbEUlllE0_EEPmJS6_EEE10hipError_tPvRmT3_T4_T5_T6_T7_T9_mT8_P12ihipStream_tbDpT10_ENKUlT_T0_E_clISt17integral_constantIbLb0EES1B_IbLb1EEEEDaS17_S18_EUlS17_E_NS1_11comp_targetILNS1_3genE2ELNS1_11target_archE906ELNS1_3gpuE6ELNS1_3repE0EEENS1_30default_config_static_selectorELNS0_4arch9wavefront6targetE1EEEvT1_.private_seg_size, 0
	.set _ZN7rocprim17ROCPRIM_400000_NS6detail17trampoline_kernelINS0_14default_configENS1_25partition_config_selectorILNS1_17partition_subalgoE8ElNS0_10empty_typeEbEEZZNS1_14partition_implILS5_8ELb0ES3_jPlPS6_PKS6_NS0_5tupleIJS9_S6_EEENSD_IJSA_SA_EEENS0_18inequality_wrapperIZN2at6native12_GLOBAL__N_124unique_dim_cuda_templateIjEESt5tupleIJNSH_6TensorESM_SM_EERKSM_lbbbEUlllE0_EEPmJS6_EEE10hipError_tPvRmT3_T4_T5_T6_T7_T9_mT8_P12ihipStream_tbDpT10_ENKUlT_T0_E_clISt17integral_constantIbLb0EES1B_IbLb1EEEEDaS17_S18_EUlS17_E_NS1_11comp_targetILNS1_3genE2ELNS1_11target_archE906ELNS1_3gpuE6ELNS1_3repE0EEENS1_30default_config_static_selectorELNS0_4arch9wavefront6targetE1EEEvT1_.uses_vcc, 0
	.set _ZN7rocprim17ROCPRIM_400000_NS6detail17trampoline_kernelINS0_14default_configENS1_25partition_config_selectorILNS1_17partition_subalgoE8ElNS0_10empty_typeEbEEZZNS1_14partition_implILS5_8ELb0ES3_jPlPS6_PKS6_NS0_5tupleIJS9_S6_EEENSD_IJSA_SA_EEENS0_18inequality_wrapperIZN2at6native12_GLOBAL__N_124unique_dim_cuda_templateIjEESt5tupleIJNSH_6TensorESM_SM_EERKSM_lbbbEUlllE0_EEPmJS6_EEE10hipError_tPvRmT3_T4_T5_T6_T7_T9_mT8_P12ihipStream_tbDpT10_ENKUlT_T0_E_clISt17integral_constantIbLb0EES1B_IbLb1EEEEDaS17_S18_EUlS17_E_NS1_11comp_targetILNS1_3genE2ELNS1_11target_archE906ELNS1_3gpuE6ELNS1_3repE0EEENS1_30default_config_static_selectorELNS0_4arch9wavefront6targetE1EEEvT1_.uses_flat_scratch, 0
	.set _ZN7rocprim17ROCPRIM_400000_NS6detail17trampoline_kernelINS0_14default_configENS1_25partition_config_selectorILNS1_17partition_subalgoE8ElNS0_10empty_typeEbEEZZNS1_14partition_implILS5_8ELb0ES3_jPlPS6_PKS6_NS0_5tupleIJS9_S6_EEENSD_IJSA_SA_EEENS0_18inequality_wrapperIZN2at6native12_GLOBAL__N_124unique_dim_cuda_templateIjEESt5tupleIJNSH_6TensorESM_SM_EERKSM_lbbbEUlllE0_EEPmJS6_EEE10hipError_tPvRmT3_T4_T5_T6_T7_T9_mT8_P12ihipStream_tbDpT10_ENKUlT_T0_E_clISt17integral_constantIbLb0EES1B_IbLb1EEEEDaS17_S18_EUlS17_E_NS1_11comp_targetILNS1_3genE2ELNS1_11target_archE906ELNS1_3gpuE6ELNS1_3repE0EEENS1_30default_config_static_selectorELNS0_4arch9wavefront6targetE1EEEvT1_.has_dyn_sized_stack, 0
	.set _ZN7rocprim17ROCPRIM_400000_NS6detail17trampoline_kernelINS0_14default_configENS1_25partition_config_selectorILNS1_17partition_subalgoE8ElNS0_10empty_typeEbEEZZNS1_14partition_implILS5_8ELb0ES3_jPlPS6_PKS6_NS0_5tupleIJS9_S6_EEENSD_IJSA_SA_EEENS0_18inequality_wrapperIZN2at6native12_GLOBAL__N_124unique_dim_cuda_templateIjEESt5tupleIJNSH_6TensorESM_SM_EERKSM_lbbbEUlllE0_EEPmJS6_EEE10hipError_tPvRmT3_T4_T5_T6_T7_T9_mT8_P12ihipStream_tbDpT10_ENKUlT_T0_E_clISt17integral_constantIbLb0EES1B_IbLb1EEEEDaS17_S18_EUlS17_E_NS1_11comp_targetILNS1_3genE2ELNS1_11target_archE906ELNS1_3gpuE6ELNS1_3repE0EEENS1_30default_config_static_selectorELNS0_4arch9wavefront6targetE1EEEvT1_.has_recursion, 0
	.set _ZN7rocprim17ROCPRIM_400000_NS6detail17trampoline_kernelINS0_14default_configENS1_25partition_config_selectorILNS1_17partition_subalgoE8ElNS0_10empty_typeEbEEZZNS1_14partition_implILS5_8ELb0ES3_jPlPS6_PKS6_NS0_5tupleIJS9_S6_EEENSD_IJSA_SA_EEENS0_18inequality_wrapperIZN2at6native12_GLOBAL__N_124unique_dim_cuda_templateIjEESt5tupleIJNSH_6TensorESM_SM_EERKSM_lbbbEUlllE0_EEPmJS6_EEE10hipError_tPvRmT3_T4_T5_T6_T7_T9_mT8_P12ihipStream_tbDpT10_ENKUlT_T0_E_clISt17integral_constantIbLb0EES1B_IbLb1EEEEDaS17_S18_EUlS17_E_NS1_11comp_targetILNS1_3genE2ELNS1_11target_archE906ELNS1_3gpuE6ELNS1_3repE0EEENS1_30default_config_static_selectorELNS0_4arch9wavefront6targetE1EEEvT1_.has_indirect_call, 0
	.section	.AMDGPU.csdata,"",@progbits
; Kernel info:
; codeLenInByte = 0
; TotalNumSgprs: 6
; NumVgprs: 0
; NumAgprs: 0
; TotalNumVgprs: 0
; ScratchSize: 0
; MemoryBound: 0
; FloatMode: 240
; IeeeMode: 1
; LDSByteSize: 0 bytes/workgroup (compile time only)
; SGPRBlocks: 0
; VGPRBlocks: 0
; NumSGPRsForWavesPerEU: 6
; NumVGPRsForWavesPerEU: 1
; AccumOffset: 4
; Occupancy: 8
; WaveLimiterHint : 0
; COMPUTE_PGM_RSRC2:SCRATCH_EN: 0
; COMPUTE_PGM_RSRC2:USER_SGPR: 2
; COMPUTE_PGM_RSRC2:TRAP_HANDLER: 0
; COMPUTE_PGM_RSRC2:TGID_X_EN: 1
; COMPUTE_PGM_RSRC2:TGID_Y_EN: 0
; COMPUTE_PGM_RSRC2:TGID_Z_EN: 0
; COMPUTE_PGM_RSRC2:TIDIG_COMP_CNT: 0
; COMPUTE_PGM_RSRC3_GFX90A:ACCUM_OFFSET: 0
; COMPUTE_PGM_RSRC3_GFX90A:TG_SPLIT: 0
	.section	.text._ZN7rocprim17ROCPRIM_400000_NS6detail17trampoline_kernelINS0_14default_configENS1_25partition_config_selectorILNS1_17partition_subalgoE8ElNS0_10empty_typeEbEEZZNS1_14partition_implILS5_8ELb0ES3_jPlPS6_PKS6_NS0_5tupleIJS9_S6_EEENSD_IJSA_SA_EEENS0_18inequality_wrapperIZN2at6native12_GLOBAL__N_124unique_dim_cuda_templateIjEESt5tupleIJNSH_6TensorESM_SM_EERKSM_lbbbEUlllE0_EEPmJS6_EEE10hipError_tPvRmT3_T4_T5_T6_T7_T9_mT8_P12ihipStream_tbDpT10_ENKUlT_T0_E_clISt17integral_constantIbLb0EES1B_IbLb1EEEEDaS17_S18_EUlS17_E_NS1_11comp_targetILNS1_3genE10ELNS1_11target_archE1200ELNS1_3gpuE4ELNS1_3repE0EEENS1_30default_config_static_selectorELNS0_4arch9wavefront6targetE1EEEvT1_,"axG",@progbits,_ZN7rocprim17ROCPRIM_400000_NS6detail17trampoline_kernelINS0_14default_configENS1_25partition_config_selectorILNS1_17partition_subalgoE8ElNS0_10empty_typeEbEEZZNS1_14partition_implILS5_8ELb0ES3_jPlPS6_PKS6_NS0_5tupleIJS9_S6_EEENSD_IJSA_SA_EEENS0_18inequality_wrapperIZN2at6native12_GLOBAL__N_124unique_dim_cuda_templateIjEESt5tupleIJNSH_6TensorESM_SM_EERKSM_lbbbEUlllE0_EEPmJS6_EEE10hipError_tPvRmT3_T4_T5_T6_T7_T9_mT8_P12ihipStream_tbDpT10_ENKUlT_T0_E_clISt17integral_constantIbLb0EES1B_IbLb1EEEEDaS17_S18_EUlS17_E_NS1_11comp_targetILNS1_3genE10ELNS1_11target_archE1200ELNS1_3gpuE4ELNS1_3repE0EEENS1_30default_config_static_selectorELNS0_4arch9wavefront6targetE1EEEvT1_,comdat
	.globl	_ZN7rocprim17ROCPRIM_400000_NS6detail17trampoline_kernelINS0_14default_configENS1_25partition_config_selectorILNS1_17partition_subalgoE8ElNS0_10empty_typeEbEEZZNS1_14partition_implILS5_8ELb0ES3_jPlPS6_PKS6_NS0_5tupleIJS9_S6_EEENSD_IJSA_SA_EEENS0_18inequality_wrapperIZN2at6native12_GLOBAL__N_124unique_dim_cuda_templateIjEESt5tupleIJNSH_6TensorESM_SM_EERKSM_lbbbEUlllE0_EEPmJS6_EEE10hipError_tPvRmT3_T4_T5_T6_T7_T9_mT8_P12ihipStream_tbDpT10_ENKUlT_T0_E_clISt17integral_constantIbLb0EES1B_IbLb1EEEEDaS17_S18_EUlS17_E_NS1_11comp_targetILNS1_3genE10ELNS1_11target_archE1200ELNS1_3gpuE4ELNS1_3repE0EEENS1_30default_config_static_selectorELNS0_4arch9wavefront6targetE1EEEvT1_ ; -- Begin function _ZN7rocprim17ROCPRIM_400000_NS6detail17trampoline_kernelINS0_14default_configENS1_25partition_config_selectorILNS1_17partition_subalgoE8ElNS0_10empty_typeEbEEZZNS1_14partition_implILS5_8ELb0ES3_jPlPS6_PKS6_NS0_5tupleIJS9_S6_EEENSD_IJSA_SA_EEENS0_18inequality_wrapperIZN2at6native12_GLOBAL__N_124unique_dim_cuda_templateIjEESt5tupleIJNSH_6TensorESM_SM_EERKSM_lbbbEUlllE0_EEPmJS6_EEE10hipError_tPvRmT3_T4_T5_T6_T7_T9_mT8_P12ihipStream_tbDpT10_ENKUlT_T0_E_clISt17integral_constantIbLb0EES1B_IbLb1EEEEDaS17_S18_EUlS17_E_NS1_11comp_targetILNS1_3genE10ELNS1_11target_archE1200ELNS1_3gpuE4ELNS1_3repE0EEENS1_30default_config_static_selectorELNS0_4arch9wavefront6targetE1EEEvT1_
	.p2align	8
	.type	_ZN7rocprim17ROCPRIM_400000_NS6detail17trampoline_kernelINS0_14default_configENS1_25partition_config_selectorILNS1_17partition_subalgoE8ElNS0_10empty_typeEbEEZZNS1_14partition_implILS5_8ELb0ES3_jPlPS6_PKS6_NS0_5tupleIJS9_S6_EEENSD_IJSA_SA_EEENS0_18inequality_wrapperIZN2at6native12_GLOBAL__N_124unique_dim_cuda_templateIjEESt5tupleIJNSH_6TensorESM_SM_EERKSM_lbbbEUlllE0_EEPmJS6_EEE10hipError_tPvRmT3_T4_T5_T6_T7_T9_mT8_P12ihipStream_tbDpT10_ENKUlT_T0_E_clISt17integral_constantIbLb0EES1B_IbLb1EEEEDaS17_S18_EUlS17_E_NS1_11comp_targetILNS1_3genE10ELNS1_11target_archE1200ELNS1_3gpuE4ELNS1_3repE0EEENS1_30default_config_static_selectorELNS0_4arch9wavefront6targetE1EEEvT1_,@function
_ZN7rocprim17ROCPRIM_400000_NS6detail17trampoline_kernelINS0_14default_configENS1_25partition_config_selectorILNS1_17partition_subalgoE8ElNS0_10empty_typeEbEEZZNS1_14partition_implILS5_8ELb0ES3_jPlPS6_PKS6_NS0_5tupleIJS9_S6_EEENSD_IJSA_SA_EEENS0_18inequality_wrapperIZN2at6native12_GLOBAL__N_124unique_dim_cuda_templateIjEESt5tupleIJNSH_6TensorESM_SM_EERKSM_lbbbEUlllE0_EEPmJS6_EEE10hipError_tPvRmT3_T4_T5_T6_T7_T9_mT8_P12ihipStream_tbDpT10_ENKUlT_T0_E_clISt17integral_constantIbLb0EES1B_IbLb1EEEEDaS17_S18_EUlS17_E_NS1_11comp_targetILNS1_3genE10ELNS1_11target_archE1200ELNS1_3gpuE4ELNS1_3repE0EEENS1_30default_config_static_selectorELNS0_4arch9wavefront6targetE1EEEvT1_: ; @_ZN7rocprim17ROCPRIM_400000_NS6detail17trampoline_kernelINS0_14default_configENS1_25partition_config_selectorILNS1_17partition_subalgoE8ElNS0_10empty_typeEbEEZZNS1_14partition_implILS5_8ELb0ES3_jPlPS6_PKS6_NS0_5tupleIJS9_S6_EEENSD_IJSA_SA_EEENS0_18inequality_wrapperIZN2at6native12_GLOBAL__N_124unique_dim_cuda_templateIjEESt5tupleIJNSH_6TensorESM_SM_EERKSM_lbbbEUlllE0_EEPmJS6_EEE10hipError_tPvRmT3_T4_T5_T6_T7_T9_mT8_P12ihipStream_tbDpT10_ENKUlT_T0_E_clISt17integral_constantIbLb0EES1B_IbLb1EEEEDaS17_S18_EUlS17_E_NS1_11comp_targetILNS1_3genE10ELNS1_11target_archE1200ELNS1_3gpuE4ELNS1_3repE0EEENS1_30default_config_static_selectorELNS0_4arch9wavefront6targetE1EEEvT1_
; %bb.0:
	.section	.rodata,"a",@progbits
	.p2align	6, 0x0
	.amdhsa_kernel _ZN7rocprim17ROCPRIM_400000_NS6detail17trampoline_kernelINS0_14default_configENS1_25partition_config_selectorILNS1_17partition_subalgoE8ElNS0_10empty_typeEbEEZZNS1_14partition_implILS5_8ELb0ES3_jPlPS6_PKS6_NS0_5tupleIJS9_S6_EEENSD_IJSA_SA_EEENS0_18inequality_wrapperIZN2at6native12_GLOBAL__N_124unique_dim_cuda_templateIjEESt5tupleIJNSH_6TensorESM_SM_EERKSM_lbbbEUlllE0_EEPmJS6_EEE10hipError_tPvRmT3_T4_T5_T6_T7_T9_mT8_P12ihipStream_tbDpT10_ENKUlT_T0_E_clISt17integral_constantIbLb0EES1B_IbLb1EEEEDaS17_S18_EUlS17_E_NS1_11comp_targetILNS1_3genE10ELNS1_11target_archE1200ELNS1_3gpuE4ELNS1_3repE0EEENS1_30default_config_static_selectorELNS0_4arch9wavefront6targetE1EEEvT1_
		.amdhsa_group_segment_fixed_size 0
		.amdhsa_private_segment_fixed_size 0
		.amdhsa_kernarg_size 136
		.amdhsa_user_sgpr_count 2
		.amdhsa_user_sgpr_dispatch_ptr 0
		.amdhsa_user_sgpr_queue_ptr 0
		.amdhsa_user_sgpr_kernarg_segment_ptr 1
		.amdhsa_user_sgpr_dispatch_id 0
		.amdhsa_user_sgpr_kernarg_preload_length 0
		.amdhsa_user_sgpr_kernarg_preload_offset 0
		.amdhsa_user_sgpr_private_segment_size 0
		.amdhsa_uses_dynamic_stack 0
		.amdhsa_enable_private_segment 0
		.amdhsa_system_sgpr_workgroup_id_x 1
		.amdhsa_system_sgpr_workgroup_id_y 0
		.amdhsa_system_sgpr_workgroup_id_z 0
		.amdhsa_system_sgpr_workgroup_info 0
		.amdhsa_system_vgpr_workitem_id 0
		.amdhsa_next_free_vgpr 1
		.amdhsa_next_free_sgpr 0
		.amdhsa_accum_offset 4
		.amdhsa_reserve_vcc 0
		.amdhsa_float_round_mode_32 0
		.amdhsa_float_round_mode_16_64 0
		.amdhsa_float_denorm_mode_32 3
		.amdhsa_float_denorm_mode_16_64 3
		.amdhsa_dx10_clamp 1
		.amdhsa_ieee_mode 1
		.amdhsa_fp16_overflow 0
		.amdhsa_tg_split 0
		.amdhsa_exception_fp_ieee_invalid_op 0
		.amdhsa_exception_fp_denorm_src 0
		.amdhsa_exception_fp_ieee_div_zero 0
		.amdhsa_exception_fp_ieee_overflow 0
		.amdhsa_exception_fp_ieee_underflow 0
		.amdhsa_exception_fp_ieee_inexact 0
		.amdhsa_exception_int_div_zero 0
	.end_amdhsa_kernel
	.section	.text._ZN7rocprim17ROCPRIM_400000_NS6detail17trampoline_kernelINS0_14default_configENS1_25partition_config_selectorILNS1_17partition_subalgoE8ElNS0_10empty_typeEbEEZZNS1_14partition_implILS5_8ELb0ES3_jPlPS6_PKS6_NS0_5tupleIJS9_S6_EEENSD_IJSA_SA_EEENS0_18inequality_wrapperIZN2at6native12_GLOBAL__N_124unique_dim_cuda_templateIjEESt5tupleIJNSH_6TensorESM_SM_EERKSM_lbbbEUlllE0_EEPmJS6_EEE10hipError_tPvRmT3_T4_T5_T6_T7_T9_mT8_P12ihipStream_tbDpT10_ENKUlT_T0_E_clISt17integral_constantIbLb0EES1B_IbLb1EEEEDaS17_S18_EUlS17_E_NS1_11comp_targetILNS1_3genE10ELNS1_11target_archE1200ELNS1_3gpuE4ELNS1_3repE0EEENS1_30default_config_static_selectorELNS0_4arch9wavefront6targetE1EEEvT1_,"axG",@progbits,_ZN7rocprim17ROCPRIM_400000_NS6detail17trampoline_kernelINS0_14default_configENS1_25partition_config_selectorILNS1_17partition_subalgoE8ElNS0_10empty_typeEbEEZZNS1_14partition_implILS5_8ELb0ES3_jPlPS6_PKS6_NS0_5tupleIJS9_S6_EEENSD_IJSA_SA_EEENS0_18inequality_wrapperIZN2at6native12_GLOBAL__N_124unique_dim_cuda_templateIjEESt5tupleIJNSH_6TensorESM_SM_EERKSM_lbbbEUlllE0_EEPmJS6_EEE10hipError_tPvRmT3_T4_T5_T6_T7_T9_mT8_P12ihipStream_tbDpT10_ENKUlT_T0_E_clISt17integral_constantIbLb0EES1B_IbLb1EEEEDaS17_S18_EUlS17_E_NS1_11comp_targetILNS1_3genE10ELNS1_11target_archE1200ELNS1_3gpuE4ELNS1_3repE0EEENS1_30default_config_static_selectorELNS0_4arch9wavefront6targetE1EEEvT1_,comdat
.Lfunc_end1570:
	.size	_ZN7rocprim17ROCPRIM_400000_NS6detail17trampoline_kernelINS0_14default_configENS1_25partition_config_selectorILNS1_17partition_subalgoE8ElNS0_10empty_typeEbEEZZNS1_14partition_implILS5_8ELb0ES3_jPlPS6_PKS6_NS0_5tupleIJS9_S6_EEENSD_IJSA_SA_EEENS0_18inequality_wrapperIZN2at6native12_GLOBAL__N_124unique_dim_cuda_templateIjEESt5tupleIJNSH_6TensorESM_SM_EERKSM_lbbbEUlllE0_EEPmJS6_EEE10hipError_tPvRmT3_T4_T5_T6_T7_T9_mT8_P12ihipStream_tbDpT10_ENKUlT_T0_E_clISt17integral_constantIbLb0EES1B_IbLb1EEEEDaS17_S18_EUlS17_E_NS1_11comp_targetILNS1_3genE10ELNS1_11target_archE1200ELNS1_3gpuE4ELNS1_3repE0EEENS1_30default_config_static_selectorELNS0_4arch9wavefront6targetE1EEEvT1_, .Lfunc_end1570-_ZN7rocprim17ROCPRIM_400000_NS6detail17trampoline_kernelINS0_14default_configENS1_25partition_config_selectorILNS1_17partition_subalgoE8ElNS0_10empty_typeEbEEZZNS1_14partition_implILS5_8ELb0ES3_jPlPS6_PKS6_NS0_5tupleIJS9_S6_EEENSD_IJSA_SA_EEENS0_18inequality_wrapperIZN2at6native12_GLOBAL__N_124unique_dim_cuda_templateIjEESt5tupleIJNSH_6TensorESM_SM_EERKSM_lbbbEUlllE0_EEPmJS6_EEE10hipError_tPvRmT3_T4_T5_T6_T7_T9_mT8_P12ihipStream_tbDpT10_ENKUlT_T0_E_clISt17integral_constantIbLb0EES1B_IbLb1EEEEDaS17_S18_EUlS17_E_NS1_11comp_targetILNS1_3genE10ELNS1_11target_archE1200ELNS1_3gpuE4ELNS1_3repE0EEENS1_30default_config_static_selectorELNS0_4arch9wavefront6targetE1EEEvT1_
                                        ; -- End function
	.set _ZN7rocprim17ROCPRIM_400000_NS6detail17trampoline_kernelINS0_14default_configENS1_25partition_config_selectorILNS1_17partition_subalgoE8ElNS0_10empty_typeEbEEZZNS1_14partition_implILS5_8ELb0ES3_jPlPS6_PKS6_NS0_5tupleIJS9_S6_EEENSD_IJSA_SA_EEENS0_18inequality_wrapperIZN2at6native12_GLOBAL__N_124unique_dim_cuda_templateIjEESt5tupleIJNSH_6TensorESM_SM_EERKSM_lbbbEUlllE0_EEPmJS6_EEE10hipError_tPvRmT3_T4_T5_T6_T7_T9_mT8_P12ihipStream_tbDpT10_ENKUlT_T0_E_clISt17integral_constantIbLb0EES1B_IbLb1EEEEDaS17_S18_EUlS17_E_NS1_11comp_targetILNS1_3genE10ELNS1_11target_archE1200ELNS1_3gpuE4ELNS1_3repE0EEENS1_30default_config_static_selectorELNS0_4arch9wavefront6targetE1EEEvT1_.num_vgpr, 0
	.set _ZN7rocprim17ROCPRIM_400000_NS6detail17trampoline_kernelINS0_14default_configENS1_25partition_config_selectorILNS1_17partition_subalgoE8ElNS0_10empty_typeEbEEZZNS1_14partition_implILS5_8ELb0ES3_jPlPS6_PKS6_NS0_5tupleIJS9_S6_EEENSD_IJSA_SA_EEENS0_18inequality_wrapperIZN2at6native12_GLOBAL__N_124unique_dim_cuda_templateIjEESt5tupleIJNSH_6TensorESM_SM_EERKSM_lbbbEUlllE0_EEPmJS6_EEE10hipError_tPvRmT3_T4_T5_T6_T7_T9_mT8_P12ihipStream_tbDpT10_ENKUlT_T0_E_clISt17integral_constantIbLb0EES1B_IbLb1EEEEDaS17_S18_EUlS17_E_NS1_11comp_targetILNS1_3genE10ELNS1_11target_archE1200ELNS1_3gpuE4ELNS1_3repE0EEENS1_30default_config_static_selectorELNS0_4arch9wavefront6targetE1EEEvT1_.num_agpr, 0
	.set _ZN7rocprim17ROCPRIM_400000_NS6detail17trampoline_kernelINS0_14default_configENS1_25partition_config_selectorILNS1_17partition_subalgoE8ElNS0_10empty_typeEbEEZZNS1_14partition_implILS5_8ELb0ES3_jPlPS6_PKS6_NS0_5tupleIJS9_S6_EEENSD_IJSA_SA_EEENS0_18inequality_wrapperIZN2at6native12_GLOBAL__N_124unique_dim_cuda_templateIjEESt5tupleIJNSH_6TensorESM_SM_EERKSM_lbbbEUlllE0_EEPmJS6_EEE10hipError_tPvRmT3_T4_T5_T6_T7_T9_mT8_P12ihipStream_tbDpT10_ENKUlT_T0_E_clISt17integral_constantIbLb0EES1B_IbLb1EEEEDaS17_S18_EUlS17_E_NS1_11comp_targetILNS1_3genE10ELNS1_11target_archE1200ELNS1_3gpuE4ELNS1_3repE0EEENS1_30default_config_static_selectorELNS0_4arch9wavefront6targetE1EEEvT1_.numbered_sgpr, 0
	.set _ZN7rocprim17ROCPRIM_400000_NS6detail17trampoline_kernelINS0_14default_configENS1_25partition_config_selectorILNS1_17partition_subalgoE8ElNS0_10empty_typeEbEEZZNS1_14partition_implILS5_8ELb0ES3_jPlPS6_PKS6_NS0_5tupleIJS9_S6_EEENSD_IJSA_SA_EEENS0_18inequality_wrapperIZN2at6native12_GLOBAL__N_124unique_dim_cuda_templateIjEESt5tupleIJNSH_6TensorESM_SM_EERKSM_lbbbEUlllE0_EEPmJS6_EEE10hipError_tPvRmT3_T4_T5_T6_T7_T9_mT8_P12ihipStream_tbDpT10_ENKUlT_T0_E_clISt17integral_constantIbLb0EES1B_IbLb1EEEEDaS17_S18_EUlS17_E_NS1_11comp_targetILNS1_3genE10ELNS1_11target_archE1200ELNS1_3gpuE4ELNS1_3repE0EEENS1_30default_config_static_selectorELNS0_4arch9wavefront6targetE1EEEvT1_.num_named_barrier, 0
	.set _ZN7rocprim17ROCPRIM_400000_NS6detail17trampoline_kernelINS0_14default_configENS1_25partition_config_selectorILNS1_17partition_subalgoE8ElNS0_10empty_typeEbEEZZNS1_14partition_implILS5_8ELb0ES3_jPlPS6_PKS6_NS0_5tupleIJS9_S6_EEENSD_IJSA_SA_EEENS0_18inequality_wrapperIZN2at6native12_GLOBAL__N_124unique_dim_cuda_templateIjEESt5tupleIJNSH_6TensorESM_SM_EERKSM_lbbbEUlllE0_EEPmJS6_EEE10hipError_tPvRmT3_T4_T5_T6_T7_T9_mT8_P12ihipStream_tbDpT10_ENKUlT_T0_E_clISt17integral_constantIbLb0EES1B_IbLb1EEEEDaS17_S18_EUlS17_E_NS1_11comp_targetILNS1_3genE10ELNS1_11target_archE1200ELNS1_3gpuE4ELNS1_3repE0EEENS1_30default_config_static_selectorELNS0_4arch9wavefront6targetE1EEEvT1_.private_seg_size, 0
	.set _ZN7rocprim17ROCPRIM_400000_NS6detail17trampoline_kernelINS0_14default_configENS1_25partition_config_selectorILNS1_17partition_subalgoE8ElNS0_10empty_typeEbEEZZNS1_14partition_implILS5_8ELb0ES3_jPlPS6_PKS6_NS0_5tupleIJS9_S6_EEENSD_IJSA_SA_EEENS0_18inequality_wrapperIZN2at6native12_GLOBAL__N_124unique_dim_cuda_templateIjEESt5tupleIJNSH_6TensorESM_SM_EERKSM_lbbbEUlllE0_EEPmJS6_EEE10hipError_tPvRmT3_T4_T5_T6_T7_T9_mT8_P12ihipStream_tbDpT10_ENKUlT_T0_E_clISt17integral_constantIbLb0EES1B_IbLb1EEEEDaS17_S18_EUlS17_E_NS1_11comp_targetILNS1_3genE10ELNS1_11target_archE1200ELNS1_3gpuE4ELNS1_3repE0EEENS1_30default_config_static_selectorELNS0_4arch9wavefront6targetE1EEEvT1_.uses_vcc, 0
	.set _ZN7rocprim17ROCPRIM_400000_NS6detail17trampoline_kernelINS0_14default_configENS1_25partition_config_selectorILNS1_17partition_subalgoE8ElNS0_10empty_typeEbEEZZNS1_14partition_implILS5_8ELb0ES3_jPlPS6_PKS6_NS0_5tupleIJS9_S6_EEENSD_IJSA_SA_EEENS0_18inequality_wrapperIZN2at6native12_GLOBAL__N_124unique_dim_cuda_templateIjEESt5tupleIJNSH_6TensorESM_SM_EERKSM_lbbbEUlllE0_EEPmJS6_EEE10hipError_tPvRmT3_T4_T5_T6_T7_T9_mT8_P12ihipStream_tbDpT10_ENKUlT_T0_E_clISt17integral_constantIbLb0EES1B_IbLb1EEEEDaS17_S18_EUlS17_E_NS1_11comp_targetILNS1_3genE10ELNS1_11target_archE1200ELNS1_3gpuE4ELNS1_3repE0EEENS1_30default_config_static_selectorELNS0_4arch9wavefront6targetE1EEEvT1_.uses_flat_scratch, 0
	.set _ZN7rocprim17ROCPRIM_400000_NS6detail17trampoline_kernelINS0_14default_configENS1_25partition_config_selectorILNS1_17partition_subalgoE8ElNS0_10empty_typeEbEEZZNS1_14partition_implILS5_8ELb0ES3_jPlPS6_PKS6_NS0_5tupleIJS9_S6_EEENSD_IJSA_SA_EEENS0_18inequality_wrapperIZN2at6native12_GLOBAL__N_124unique_dim_cuda_templateIjEESt5tupleIJNSH_6TensorESM_SM_EERKSM_lbbbEUlllE0_EEPmJS6_EEE10hipError_tPvRmT3_T4_T5_T6_T7_T9_mT8_P12ihipStream_tbDpT10_ENKUlT_T0_E_clISt17integral_constantIbLb0EES1B_IbLb1EEEEDaS17_S18_EUlS17_E_NS1_11comp_targetILNS1_3genE10ELNS1_11target_archE1200ELNS1_3gpuE4ELNS1_3repE0EEENS1_30default_config_static_selectorELNS0_4arch9wavefront6targetE1EEEvT1_.has_dyn_sized_stack, 0
	.set _ZN7rocprim17ROCPRIM_400000_NS6detail17trampoline_kernelINS0_14default_configENS1_25partition_config_selectorILNS1_17partition_subalgoE8ElNS0_10empty_typeEbEEZZNS1_14partition_implILS5_8ELb0ES3_jPlPS6_PKS6_NS0_5tupleIJS9_S6_EEENSD_IJSA_SA_EEENS0_18inequality_wrapperIZN2at6native12_GLOBAL__N_124unique_dim_cuda_templateIjEESt5tupleIJNSH_6TensorESM_SM_EERKSM_lbbbEUlllE0_EEPmJS6_EEE10hipError_tPvRmT3_T4_T5_T6_T7_T9_mT8_P12ihipStream_tbDpT10_ENKUlT_T0_E_clISt17integral_constantIbLb0EES1B_IbLb1EEEEDaS17_S18_EUlS17_E_NS1_11comp_targetILNS1_3genE10ELNS1_11target_archE1200ELNS1_3gpuE4ELNS1_3repE0EEENS1_30default_config_static_selectorELNS0_4arch9wavefront6targetE1EEEvT1_.has_recursion, 0
	.set _ZN7rocprim17ROCPRIM_400000_NS6detail17trampoline_kernelINS0_14default_configENS1_25partition_config_selectorILNS1_17partition_subalgoE8ElNS0_10empty_typeEbEEZZNS1_14partition_implILS5_8ELb0ES3_jPlPS6_PKS6_NS0_5tupleIJS9_S6_EEENSD_IJSA_SA_EEENS0_18inequality_wrapperIZN2at6native12_GLOBAL__N_124unique_dim_cuda_templateIjEESt5tupleIJNSH_6TensorESM_SM_EERKSM_lbbbEUlllE0_EEPmJS6_EEE10hipError_tPvRmT3_T4_T5_T6_T7_T9_mT8_P12ihipStream_tbDpT10_ENKUlT_T0_E_clISt17integral_constantIbLb0EES1B_IbLb1EEEEDaS17_S18_EUlS17_E_NS1_11comp_targetILNS1_3genE10ELNS1_11target_archE1200ELNS1_3gpuE4ELNS1_3repE0EEENS1_30default_config_static_selectorELNS0_4arch9wavefront6targetE1EEEvT1_.has_indirect_call, 0
	.section	.AMDGPU.csdata,"",@progbits
; Kernel info:
; codeLenInByte = 0
; TotalNumSgprs: 6
; NumVgprs: 0
; NumAgprs: 0
; TotalNumVgprs: 0
; ScratchSize: 0
; MemoryBound: 0
; FloatMode: 240
; IeeeMode: 1
; LDSByteSize: 0 bytes/workgroup (compile time only)
; SGPRBlocks: 0
; VGPRBlocks: 0
; NumSGPRsForWavesPerEU: 6
; NumVGPRsForWavesPerEU: 1
; AccumOffset: 4
; Occupancy: 8
; WaveLimiterHint : 0
; COMPUTE_PGM_RSRC2:SCRATCH_EN: 0
; COMPUTE_PGM_RSRC2:USER_SGPR: 2
; COMPUTE_PGM_RSRC2:TRAP_HANDLER: 0
; COMPUTE_PGM_RSRC2:TGID_X_EN: 1
; COMPUTE_PGM_RSRC2:TGID_Y_EN: 0
; COMPUTE_PGM_RSRC2:TGID_Z_EN: 0
; COMPUTE_PGM_RSRC2:TIDIG_COMP_CNT: 0
; COMPUTE_PGM_RSRC3_GFX90A:ACCUM_OFFSET: 0
; COMPUTE_PGM_RSRC3_GFX90A:TG_SPLIT: 0
	.section	.text._ZN7rocprim17ROCPRIM_400000_NS6detail17trampoline_kernelINS0_14default_configENS1_25partition_config_selectorILNS1_17partition_subalgoE8ElNS0_10empty_typeEbEEZZNS1_14partition_implILS5_8ELb0ES3_jPlPS6_PKS6_NS0_5tupleIJS9_S6_EEENSD_IJSA_SA_EEENS0_18inequality_wrapperIZN2at6native12_GLOBAL__N_124unique_dim_cuda_templateIjEESt5tupleIJNSH_6TensorESM_SM_EERKSM_lbbbEUlllE0_EEPmJS6_EEE10hipError_tPvRmT3_T4_T5_T6_T7_T9_mT8_P12ihipStream_tbDpT10_ENKUlT_T0_E_clISt17integral_constantIbLb0EES1B_IbLb1EEEEDaS17_S18_EUlS17_E_NS1_11comp_targetILNS1_3genE9ELNS1_11target_archE1100ELNS1_3gpuE3ELNS1_3repE0EEENS1_30default_config_static_selectorELNS0_4arch9wavefront6targetE1EEEvT1_,"axG",@progbits,_ZN7rocprim17ROCPRIM_400000_NS6detail17trampoline_kernelINS0_14default_configENS1_25partition_config_selectorILNS1_17partition_subalgoE8ElNS0_10empty_typeEbEEZZNS1_14partition_implILS5_8ELb0ES3_jPlPS6_PKS6_NS0_5tupleIJS9_S6_EEENSD_IJSA_SA_EEENS0_18inequality_wrapperIZN2at6native12_GLOBAL__N_124unique_dim_cuda_templateIjEESt5tupleIJNSH_6TensorESM_SM_EERKSM_lbbbEUlllE0_EEPmJS6_EEE10hipError_tPvRmT3_T4_T5_T6_T7_T9_mT8_P12ihipStream_tbDpT10_ENKUlT_T0_E_clISt17integral_constantIbLb0EES1B_IbLb1EEEEDaS17_S18_EUlS17_E_NS1_11comp_targetILNS1_3genE9ELNS1_11target_archE1100ELNS1_3gpuE3ELNS1_3repE0EEENS1_30default_config_static_selectorELNS0_4arch9wavefront6targetE1EEEvT1_,comdat
	.globl	_ZN7rocprim17ROCPRIM_400000_NS6detail17trampoline_kernelINS0_14default_configENS1_25partition_config_selectorILNS1_17partition_subalgoE8ElNS0_10empty_typeEbEEZZNS1_14partition_implILS5_8ELb0ES3_jPlPS6_PKS6_NS0_5tupleIJS9_S6_EEENSD_IJSA_SA_EEENS0_18inequality_wrapperIZN2at6native12_GLOBAL__N_124unique_dim_cuda_templateIjEESt5tupleIJNSH_6TensorESM_SM_EERKSM_lbbbEUlllE0_EEPmJS6_EEE10hipError_tPvRmT3_T4_T5_T6_T7_T9_mT8_P12ihipStream_tbDpT10_ENKUlT_T0_E_clISt17integral_constantIbLb0EES1B_IbLb1EEEEDaS17_S18_EUlS17_E_NS1_11comp_targetILNS1_3genE9ELNS1_11target_archE1100ELNS1_3gpuE3ELNS1_3repE0EEENS1_30default_config_static_selectorELNS0_4arch9wavefront6targetE1EEEvT1_ ; -- Begin function _ZN7rocprim17ROCPRIM_400000_NS6detail17trampoline_kernelINS0_14default_configENS1_25partition_config_selectorILNS1_17partition_subalgoE8ElNS0_10empty_typeEbEEZZNS1_14partition_implILS5_8ELb0ES3_jPlPS6_PKS6_NS0_5tupleIJS9_S6_EEENSD_IJSA_SA_EEENS0_18inequality_wrapperIZN2at6native12_GLOBAL__N_124unique_dim_cuda_templateIjEESt5tupleIJNSH_6TensorESM_SM_EERKSM_lbbbEUlllE0_EEPmJS6_EEE10hipError_tPvRmT3_T4_T5_T6_T7_T9_mT8_P12ihipStream_tbDpT10_ENKUlT_T0_E_clISt17integral_constantIbLb0EES1B_IbLb1EEEEDaS17_S18_EUlS17_E_NS1_11comp_targetILNS1_3genE9ELNS1_11target_archE1100ELNS1_3gpuE3ELNS1_3repE0EEENS1_30default_config_static_selectorELNS0_4arch9wavefront6targetE1EEEvT1_
	.p2align	8
	.type	_ZN7rocprim17ROCPRIM_400000_NS6detail17trampoline_kernelINS0_14default_configENS1_25partition_config_selectorILNS1_17partition_subalgoE8ElNS0_10empty_typeEbEEZZNS1_14partition_implILS5_8ELb0ES3_jPlPS6_PKS6_NS0_5tupleIJS9_S6_EEENSD_IJSA_SA_EEENS0_18inequality_wrapperIZN2at6native12_GLOBAL__N_124unique_dim_cuda_templateIjEESt5tupleIJNSH_6TensorESM_SM_EERKSM_lbbbEUlllE0_EEPmJS6_EEE10hipError_tPvRmT3_T4_T5_T6_T7_T9_mT8_P12ihipStream_tbDpT10_ENKUlT_T0_E_clISt17integral_constantIbLb0EES1B_IbLb1EEEEDaS17_S18_EUlS17_E_NS1_11comp_targetILNS1_3genE9ELNS1_11target_archE1100ELNS1_3gpuE3ELNS1_3repE0EEENS1_30default_config_static_selectorELNS0_4arch9wavefront6targetE1EEEvT1_,@function
_ZN7rocprim17ROCPRIM_400000_NS6detail17trampoline_kernelINS0_14default_configENS1_25partition_config_selectorILNS1_17partition_subalgoE8ElNS0_10empty_typeEbEEZZNS1_14partition_implILS5_8ELb0ES3_jPlPS6_PKS6_NS0_5tupleIJS9_S6_EEENSD_IJSA_SA_EEENS0_18inequality_wrapperIZN2at6native12_GLOBAL__N_124unique_dim_cuda_templateIjEESt5tupleIJNSH_6TensorESM_SM_EERKSM_lbbbEUlllE0_EEPmJS6_EEE10hipError_tPvRmT3_T4_T5_T6_T7_T9_mT8_P12ihipStream_tbDpT10_ENKUlT_T0_E_clISt17integral_constantIbLb0EES1B_IbLb1EEEEDaS17_S18_EUlS17_E_NS1_11comp_targetILNS1_3genE9ELNS1_11target_archE1100ELNS1_3gpuE3ELNS1_3repE0EEENS1_30default_config_static_selectorELNS0_4arch9wavefront6targetE1EEEvT1_: ; @_ZN7rocprim17ROCPRIM_400000_NS6detail17trampoline_kernelINS0_14default_configENS1_25partition_config_selectorILNS1_17partition_subalgoE8ElNS0_10empty_typeEbEEZZNS1_14partition_implILS5_8ELb0ES3_jPlPS6_PKS6_NS0_5tupleIJS9_S6_EEENSD_IJSA_SA_EEENS0_18inequality_wrapperIZN2at6native12_GLOBAL__N_124unique_dim_cuda_templateIjEESt5tupleIJNSH_6TensorESM_SM_EERKSM_lbbbEUlllE0_EEPmJS6_EEE10hipError_tPvRmT3_T4_T5_T6_T7_T9_mT8_P12ihipStream_tbDpT10_ENKUlT_T0_E_clISt17integral_constantIbLb0EES1B_IbLb1EEEEDaS17_S18_EUlS17_E_NS1_11comp_targetILNS1_3genE9ELNS1_11target_archE1100ELNS1_3gpuE3ELNS1_3repE0EEENS1_30default_config_static_selectorELNS0_4arch9wavefront6targetE1EEEvT1_
; %bb.0:
	.section	.rodata,"a",@progbits
	.p2align	6, 0x0
	.amdhsa_kernel _ZN7rocprim17ROCPRIM_400000_NS6detail17trampoline_kernelINS0_14default_configENS1_25partition_config_selectorILNS1_17partition_subalgoE8ElNS0_10empty_typeEbEEZZNS1_14partition_implILS5_8ELb0ES3_jPlPS6_PKS6_NS0_5tupleIJS9_S6_EEENSD_IJSA_SA_EEENS0_18inequality_wrapperIZN2at6native12_GLOBAL__N_124unique_dim_cuda_templateIjEESt5tupleIJNSH_6TensorESM_SM_EERKSM_lbbbEUlllE0_EEPmJS6_EEE10hipError_tPvRmT3_T4_T5_T6_T7_T9_mT8_P12ihipStream_tbDpT10_ENKUlT_T0_E_clISt17integral_constantIbLb0EES1B_IbLb1EEEEDaS17_S18_EUlS17_E_NS1_11comp_targetILNS1_3genE9ELNS1_11target_archE1100ELNS1_3gpuE3ELNS1_3repE0EEENS1_30default_config_static_selectorELNS0_4arch9wavefront6targetE1EEEvT1_
		.amdhsa_group_segment_fixed_size 0
		.amdhsa_private_segment_fixed_size 0
		.amdhsa_kernarg_size 136
		.amdhsa_user_sgpr_count 2
		.amdhsa_user_sgpr_dispatch_ptr 0
		.amdhsa_user_sgpr_queue_ptr 0
		.amdhsa_user_sgpr_kernarg_segment_ptr 1
		.amdhsa_user_sgpr_dispatch_id 0
		.amdhsa_user_sgpr_kernarg_preload_length 0
		.amdhsa_user_sgpr_kernarg_preload_offset 0
		.amdhsa_user_sgpr_private_segment_size 0
		.amdhsa_uses_dynamic_stack 0
		.amdhsa_enable_private_segment 0
		.amdhsa_system_sgpr_workgroup_id_x 1
		.amdhsa_system_sgpr_workgroup_id_y 0
		.amdhsa_system_sgpr_workgroup_id_z 0
		.amdhsa_system_sgpr_workgroup_info 0
		.amdhsa_system_vgpr_workitem_id 0
		.amdhsa_next_free_vgpr 1
		.amdhsa_next_free_sgpr 0
		.amdhsa_accum_offset 4
		.amdhsa_reserve_vcc 0
		.amdhsa_float_round_mode_32 0
		.amdhsa_float_round_mode_16_64 0
		.amdhsa_float_denorm_mode_32 3
		.amdhsa_float_denorm_mode_16_64 3
		.amdhsa_dx10_clamp 1
		.amdhsa_ieee_mode 1
		.amdhsa_fp16_overflow 0
		.amdhsa_tg_split 0
		.amdhsa_exception_fp_ieee_invalid_op 0
		.amdhsa_exception_fp_denorm_src 0
		.amdhsa_exception_fp_ieee_div_zero 0
		.amdhsa_exception_fp_ieee_overflow 0
		.amdhsa_exception_fp_ieee_underflow 0
		.amdhsa_exception_fp_ieee_inexact 0
		.amdhsa_exception_int_div_zero 0
	.end_amdhsa_kernel
	.section	.text._ZN7rocprim17ROCPRIM_400000_NS6detail17trampoline_kernelINS0_14default_configENS1_25partition_config_selectorILNS1_17partition_subalgoE8ElNS0_10empty_typeEbEEZZNS1_14partition_implILS5_8ELb0ES3_jPlPS6_PKS6_NS0_5tupleIJS9_S6_EEENSD_IJSA_SA_EEENS0_18inequality_wrapperIZN2at6native12_GLOBAL__N_124unique_dim_cuda_templateIjEESt5tupleIJNSH_6TensorESM_SM_EERKSM_lbbbEUlllE0_EEPmJS6_EEE10hipError_tPvRmT3_T4_T5_T6_T7_T9_mT8_P12ihipStream_tbDpT10_ENKUlT_T0_E_clISt17integral_constantIbLb0EES1B_IbLb1EEEEDaS17_S18_EUlS17_E_NS1_11comp_targetILNS1_3genE9ELNS1_11target_archE1100ELNS1_3gpuE3ELNS1_3repE0EEENS1_30default_config_static_selectorELNS0_4arch9wavefront6targetE1EEEvT1_,"axG",@progbits,_ZN7rocprim17ROCPRIM_400000_NS6detail17trampoline_kernelINS0_14default_configENS1_25partition_config_selectorILNS1_17partition_subalgoE8ElNS0_10empty_typeEbEEZZNS1_14partition_implILS5_8ELb0ES3_jPlPS6_PKS6_NS0_5tupleIJS9_S6_EEENSD_IJSA_SA_EEENS0_18inequality_wrapperIZN2at6native12_GLOBAL__N_124unique_dim_cuda_templateIjEESt5tupleIJNSH_6TensorESM_SM_EERKSM_lbbbEUlllE0_EEPmJS6_EEE10hipError_tPvRmT3_T4_T5_T6_T7_T9_mT8_P12ihipStream_tbDpT10_ENKUlT_T0_E_clISt17integral_constantIbLb0EES1B_IbLb1EEEEDaS17_S18_EUlS17_E_NS1_11comp_targetILNS1_3genE9ELNS1_11target_archE1100ELNS1_3gpuE3ELNS1_3repE0EEENS1_30default_config_static_selectorELNS0_4arch9wavefront6targetE1EEEvT1_,comdat
.Lfunc_end1571:
	.size	_ZN7rocprim17ROCPRIM_400000_NS6detail17trampoline_kernelINS0_14default_configENS1_25partition_config_selectorILNS1_17partition_subalgoE8ElNS0_10empty_typeEbEEZZNS1_14partition_implILS5_8ELb0ES3_jPlPS6_PKS6_NS0_5tupleIJS9_S6_EEENSD_IJSA_SA_EEENS0_18inequality_wrapperIZN2at6native12_GLOBAL__N_124unique_dim_cuda_templateIjEESt5tupleIJNSH_6TensorESM_SM_EERKSM_lbbbEUlllE0_EEPmJS6_EEE10hipError_tPvRmT3_T4_T5_T6_T7_T9_mT8_P12ihipStream_tbDpT10_ENKUlT_T0_E_clISt17integral_constantIbLb0EES1B_IbLb1EEEEDaS17_S18_EUlS17_E_NS1_11comp_targetILNS1_3genE9ELNS1_11target_archE1100ELNS1_3gpuE3ELNS1_3repE0EEENS1_30default_config_static_selectorELNS0_4arch9wavefront6targetE1EEEvT1_, .Lfunc_end1571-_ZN7rocprim17ROCPRIM_400000_NS6detail17trampoline_kernelINS0_14default_configENS1_25partition_config_selectorILNS1_17partition_subalgoE8ElNS0_10empty_typeEbEEZZNS1_14partition_implILS5_8ELb0ES3_jPlPS6_PKS6_NS0_5tupleIJS9_S6_EEENSD_IJSA_SA_EEENS0_18inequality_wrapperIZN2at6native12_GLOBAL__N_124unique_dim_cuda_templateIjEESt5tupleIJNSH_6TensorESM_SM_EERKSM_lbbbEUlllE0_EEPmJS6_EEE10hipError_tPvRmT3_T4_T5_T6_T7_T9_mT8_P12ihipStream_tbDpT10_ENKUlT_T0_E_clISt17integral_constantIbLb0EES1B_IbLb1EEEEDaS17_S18_EUlS17_E_NS1_11comp_targetILNS1_3genE9ELNS1_11target_archE1100ELNS1_3gpuE3ELNS1_3repE0EEENS1_30default_config_static_selectorELNS0_4arch9wavefront6targetE1EEEvT1_
                                        ; -- End function
	.set _ZN7rocprim17ROCPRIM_400000_NS6detail17trampoline_kernelINS0_14default_configENS1_25partition_config_selectorILNS1_17partition_subalgoE8ElNS0_10empty_typeEbEEZZNS1_14partition_implILS5_8ELb0ES3_jPlPS6_PKS6_NS0_5tupleIJS9_S6_EEENSD_IJSA_SA_EEENS0_18inequality_wrapperIZN2at6native12_GLOBAL__N_124unique_dim_cuda_templateIjEESt5tupleIJNSH_6TensorESM_SM_EERKSM_lbbbEUlllE0_EEPmJS6_EEE10hipError_tPvRmT3_T4_T5_T6_T7_T9_mT8_P12ihipStream_tbDpT10_ENKUlT_T0_E_clISt17integral_constantIbLb0EES1B_IbLb1EEEEDaS17_S18_EUlS17_E_NS1_11comp_targetILNS1_3genE9ELNS1_11target_archE1100ELNS1_3gpuE3ELNS1_3repE0EEENS1_30default_config_static_selectorELNS0_4arch9wavefront6targetE1EEEvT1_.num_vgpr, 0
	.set _ZN7rocprim17ROCPRIM_400000_NS6detail17trampoline_kernelINS0_14default_configENS1_25partition_config_selectorILNS1_17partition_subalgoE8ElNS0_10empty_typeEbEEZZNS1_14partition_implILS5_8ELb0ES3_jPlPS6_PKS6_NS0_5tupleIJS9_S6_EEENSD_IJSA_SA_EEENS0_18inequality_wrapperIZN2at6native12_GLOBAL__N_124unique_dim_cuda_templateIjEESt5tupleIJNSH_6TensorESM_SM_EERKSM_lbbbEUlllE0_EEPmJS6_EEE10hipError_tPvRmT3_T4_T5_T6_T7_T9_mT8_P12ihipStream_tbDpT10_ENKUlT_T0_E_clISt17integral_constantIbLb0EES1B_IbLb1EEEEDaS17_S18_EUlS17_E_NS1_11comp_targetILNS1_3genE9ELNS1_11target_archE1100ELNS1_3gpuE3ELNS1_3repE0EEENS1_30default_config_static_selectorELNS0_4arch9wavefront6targetE1EEEvT1_.num_agpr, 0
	.set _ZN7rocprim17ROCPRIM_400000_NS6detail17trampoline_kernelINS0_14default_configENS1_25partition_config_selectorILNS1_17partition_subalgoE8ElNS0_10empty_typeEbEEZZNS1_14partition_implILS5_8ELb0ES3_jPlPS6_PKS6_NS0_5tupleIJS9_S6_EEENSD_IJSA_SA_EEENS0_18inequality_wrapperIZN2at6native12_GLOBAL__N_124unique_dim_cuda_templateIjEESt5tupleIJNSH_6TensorESM_SM_EERKSM_lbbbEUlllE0_EEPmJS6_EEE10hipError_tPvRmT3_T4_T5_T6_T7_T9_mT8_P12ihipStream_tbDpT10_ENKUlT_T0_E_clISt17integral_constantIbLb0EES1B_IbLb1EEEEDaS17_S18_EUlS17_E_NS1_11comp_targetILNS1_3genE9ELNS1_11target_archE1100ELNS1_3gpuE3ELNS1_3repE0EEENS1_30default_config_static_selectorELNS0_4arch9wavefront6targetE1EEEvT1_.numbered_sgpr, 0
	.set _ZN7rocprim17ROCPRIM_400000_NS6detail17trampoline_kernelINS0_14default_configENS1_25partition_config_selectorILNS1_17partition_subalgoE8ElNS0_10empty_typeEbEEZZNS1_14partition_implILS5_8ELb0ES3_jPlPS6_PKS6_NS0_5tupleIJS9_S6_EEENSD_IJSA_SA_EEENS0_18inequality_wrapperIZN2at6native12_GLOBAL__N_124unique_dim_cuda_templateIjEESt5tupleIJNSH_6TensorESM_SM_EERKSM_lbbbEUlllE0_EEPmJS6_EEE10hipError_tPvRmT3_T4_T5_T6_T7_T9_mT8_P12ihipStream_tbDpT10_ENKUlT_T0_E_clISt17integral_constantIbLb0EES1B_IbLb1EEEEDaS17_S18_EUlS17_E_NS1_11comp_targetILNS1_3genE9ELNS1_11target_archE1100ELNS1_3gpuE3ELNS1_3repE0EEENS1_30default_config_static_selectorELNS0_4arch9wavefront6targetE1EEEvT1_.num_named_barrier, 0
	.set _ZN7rocprim17ROCPRIM_400000_NS6detail17trampoline_kernelINS0_14default_configENS1_25partition_config_selectorILNS1_17partition_subalgoE8ElNS0_10empty_typeEbEEZZNS1_14partition_implILS5_8ELb0ES3_jPlPS6_PKS6_NS0_5tupleIJS9_S6_EEENSD_IJSA_SA_EEENS0_18inequality_wrapperIZN2at6native12_GLOBAL__N_124unique_dim_cuda_templateIjEESt5tupleIJNSH_6TensorESM_SM_EERKSM_lbbbEUlllE0_EEPmJS6_EEE10hipError_tPvRmT3_T4_T5_T6_T7_T9_mT8_P12ihipStream_tbDpT10_ENKUlT_T0_E_clISt17integral_constantIbLb0EES1B_IbLb1EEEEDaS17_S18_EUlS17_E_NS1_11comp_targetILNS1_3genE9ELNS1_11target_archE1100ELNS1_3gpuE3ELNS1_3repE0EEENS1_30default_config_static_selectorELNS0_4arch9wavefront6targetE1EEEvT1_.private_seg_size, 0
	.set _ZN7rocprim17ROCPRIM_400000_NS6detail17trampoline_kernelINS0_14default_configENS1_25partition_config_selectorILNS1_17partition_subalgoE8ElNS0_10empty_typeEbEEZZNS1_14partition_implILS5_8ELb0ES3_jPlPS6_PKS6_NS0_5tupleIJS9_S6_EEENSD_IJSA_SA_EEENS0_18inequality_wrapperIZN2at6native12_GLOBAL__N_124unique_dim_cuda_templateIjEESt5tupleIJNSH_6TensorESM_SM_EERKSM_lbbbEUlllE0_EEPmJS6_EEE10hipError_tPvRmT3_T4_T5_T6_T7_T9_mT8_P12ihipStream_tbDpT10_ENKUlT_T0_E_clISt17integral_constantIbLb0EES1B_IbLb1EEEEDaS17_S18_EUlS17_E_NS1_11comp_targetILNS1_3genE9ELNS1_11target_archE1100ELNS1_3gpuE3ELNS1_3repE0EEENS1_30default_config_static_selectorELNS0_4arch9wavefront6targetE1EEEvT1_.uses_vcc, 0
	.set _ZN7rocprim17ROCPRIM_400000_NS6detail17trampoline_kernelINS0_14default_configENS1_25partition_config_selectorILNS1_17partition_subalgoE8ElNS0_10empty_typeEbEEZZNS1_14partition_implILS5_8ELb0ES3_jPlPS6_PKS6_NS0_5tupleIJS9_S6_EEENSD_IJSA_SA_EEENS0_18inequality_wrapperIZN2at6native12_GLOBAL__N_124unique_dim_cuda_templateIjEESt5tupleIJNSH_6TensorESM_SM_EERKSM_lbbbEUlllE0_EEPmJS6_EEE10hipError_tPvRmT3_T4_T5_T6_T7_T9_mT8_P12ihipStream_tbDpT10_ENKUlT_T0_E_clISt17integral_constantIbLb0EES1B_IbLb1EEEEDaS17_S18_EUlS17_E_NS1_11comp_targetILNS1_3genE9ELNS1_11target_archE1100ELNS1_3gpuE3ELNS1_3repE0EEENS1_30default_config_static_selectorELNS0_4arch9wavefront6targetE1EEEvT1_.uses_flat_scratch, 0
	.set _ZN7rocprim17ROCPRIM_400000_NS6detail17trampoline_kernelINS0_14default_configENS1_25partition_config_selectorILNS1_17partition_subalgoE8ElNS0_10empty_typeEbEEZZNS1_14partition_implILS5_8ELb0ES3_jPlPS6_PKS6_NS0_5tupleIJS9_S6_EEENSD_IJSA_SA_EEENS0_18inequality_wrapperIZN2at6native12_GLOBAL__N_124unique_dim_cuda_templateIjEESt5tupleIJNSH_6TensorESM_SM_EERKSM_lbbbEUlllE0_EEPmJS6_EEE10hipError_tPvRmT3_T4_T5_T6_T7_T9_mT8_P12ihipStream_tbDpT10_ENKUlT_T0_E_clISt17integral_constantIbLb0EES1B_IbLb1EEEEDaS17_S18_EUlS17_E_NS1_11comp_targetILNS1_3genE9ELNS1_11target_archE1100ELNS1_3gpuE3ELNS1_3repE0EEENS1_30default_config_static_selectorELNS0_4arch9wavefront6targetE1EEEvT1_.has_dyn_sized_stack, 0
	.set _ZN7rocprim17ROCPRIM_400000_NS6detail17trampoline_kernelINS0_14default_configENS1_25partition_config_selectorILNS1_17partition_subalgoE8ElNS0_10empty_typeEbEEZZNS1_14partition_implILS5_8ELb0ES3_jPlPS6_PKS6_NS0_5tupleIJS9_S6_EEENSD_IJSA_SA_EEENS0_18inequality_wrapperIZN2at6native12_GLOBAL__N_124unique_dim_cuda_templateIjEESt5tupleIJNSH_6TensorESM_SM_EERKSM_lbbbEUlllE0_EEPmJS6_EEE10hipError_tPvRmT3_T4_T5_T6_T7_T9_mT8_P12ihipStream_tbDpT10_ENKUlT_T0_E_clISt17integral_constantIbLb0EES1B_IbLb1EEEEDaS17_S18_EUlS17_E_NS1_11comp_targetILNS1_3genE9ELNS1_11target_archE1100ELNS1_3gpuE3ELNS1_3repE0EEENS1_30default_config_static_selectorELNS0_4arch9wavefront6targetE1EEEvT1_.has_recursion, 0
	.set _ZN7rocprim17ROCPRIM_400000_NS6detail17trampoline_kernelINS0_14default_configENS1_25partition_config_selectorILNS1_17partition_subalgoE8ElNS0_10empty_typeEbEEZZNS1_14partition_implILS5_8ELb0ES3_jPlPS6_PKS6_NS0_5tupleIJS9_S6_EEENSD_IJSA_SA_EEENS0_18inequality_wrapperIZN2at6native12_GLOBAL__N_124unique_dim_cuda_templateIjEESt5tupleIJNSH_6TensorESM_SM_EERKSM_lbbbEUlllE0_EEPmJS6_EEE10hipError_tPvRmT3_T4_T5_T6_T7_T9_mT8_P12ihipStream_tbDpT10_ENKUlT_T0_E_clISt17integral_constantIbLb0EES1B_IbLb1EEEEDaS17_S18_EUlS17_E_NS1_11comp_targetILNS1_3genE9ELNS1_11target_archE1100ELNS1_3gpuE3ELNS1_3repE0EEENS1_30default_config_static_selectorELNS0_4arch9wavefront6targetE1EEEvT1_.has_indirect_call, 0
	.section	.AMDGPU.csdata,"",@progbits
; Kernel info:
; codeLenInByte = 0
; TotalNumSgprs: 6
; NumVgprs: 0
; NumAgprs: 0
; TotalNumVgprs: 0
; ScratchSize: 0
; MemoryBound: 0
; FloatMode: 240
; IeeeMode: 1
; LDSByteSize: 0 bytes/workgroup (compile time only)
; SGPRBlocks: 0
; VGPRBlocks: 0
; NumSGPRsForWavesPerEU: 6
; NumVGPRsForWavesPerEU: 1
; AccumOffset: 4
; Occupancy: 8
; WaveLimiterHint : 0
; COMPUTE_PGM_RSRC2:SCRATCH_EN: 0
; COMPUTE_PGM_RSRC2:USER_SGPR: 2
; COMPUTE_PGM_RSRC2:TRAP_HANDLER: 0
; COMPUTE_PGM_RSRC2:TGID_X_EN: 1
; COMPUTE_PGM_RSRC2:TGID_Y_EN: 0
; COMPUTE_PGM_RSRC2:TGID_Z_EN: 0
; COMPUTE_PGM_RSRC2:TIDIG_COMP_CNT: 0
; COMPUTE_PGM_RSRC3_GFX90A:ACCUM_OFFSET: 0
; COMPUTE_PGM_RSRC3_GFX90A:TG_SPLIT: 0
	.section	.text._ZN7rocprim17ROCPRIM_400000_NS6detail17trampoline_kernelINS0_14default_configENS1_25partition_config_selectorILNS1_17partition_subalgoE8ElNS0_10empty_typeEbEEZZNS1_14partition_implILS5_8ELb0ES3_jPlPS6_PKS6_NS0_5tupleIJS9_S6_EEENSD_IJSA_SA_EEENS0_18inequality_wrapperIZN2at6native12_GLOBAL__N_124unique_dim_cuda_templateIjEESt5tupleIJNSH_6TensorESM_SM_EERKSM_lbbbEUlllE0_EEPmJS6_EEE10hipError_tPvRmT3_T4_T5_T6_T7_T9_mT8_P12ihipStream_tbDpT10_ENKUlT_T0_E_clISt17integral_constantIbLb0EES1B_IbLb1EEEEDaS17_S18_EUlS17_E_NS1_11comp_targetILNS1_3genE8ELNS1_11target_archE1030ELNS1_3gpuE2ELNS1_3repE0EEENS1_30default_config_static_selectorELNS0_4arch9wavefront6targetE1EEEvT1_,"axG",@progbits,_ZN7rocprim17ROCPRIM_400000_NS6detail17trampoline_kernelINS0_14default_configENS1_25partition_config_selectorILNS1_17partition_subalgoE8ElNS0_10empty_typeEbEEZZNS1_14partition_implILS5_8ELb0ES3_jPlPS6_PKS6_NS0_5tupleIJS9_S6_EEENSD_IJSA_SA_EEENS0_18inequality_wrapperIZN2at6native12_GLOBAL__N_124unique_dim_cuda_templateIjEESt5tupleIJNSH_6TensorESM_SM_EERKSM_lbbbEUlllE0_EEPmJS6_EEE10hipError_tPvRmT3_T4_T5_T6_T7_T9_mT8_P12ihipStream_tbDpT10_ENKUlT_T0_E_clISt17integral_constantIbLb0EES1B_IbLb1EEEEDaS17_S18_EUlS17_E_NS1_11comp_targetILNS1_3genE8ELNS1_11target_archE1030ELNS1_3gpuE2ELNS1_3repE0EEENS1_30default_config_static_selectorELNS0_4arch9wavefront6targetE1EEEvT1_,comdat
	.globl	_ZN7rocprim17ROCPRIM_400000_NS6detail17trampoline_kernelINS0_14default_configENS1_25partition_config_selectorILNS1_17partition_subalgoE8ElNS0_10empty_typeEbEEZZNS1_14partition_implILS5_8ELb0ES3_jPlPS6_PKS6_NS0_5tupleIJS9_S6_EEENSD_IJSA_SA_EEENS0_18inequality_wrapperIZN2at6native12_GLOBAL__N_124unique_dim_cuda_templateIjEESt5tupleIJNSH_6TensorESM_SM_EERKSM_lbbbEUlllE0_EEPmJS6_EEE10hipError_tPvRmT3_T4_T5_T6_T7_T9_mT8_P12ihipStream_tbDpT10_ENKUlT_T0_E_clISt17integral_constantIbLb0EES1B_IbLb1EEEEDaS17_S18_EUlS17_E_NS1_11comp_targetILNS1_3genE8ELNS1_11target_archE1030ELNS1_3gpuE2ELNS1_3repE0EEENS1_30default_config_static_selectorELNS0_4arch9wavefront6targetE1EEEvT1_ ; -- Begin function _ZN7rocprim17ROCPRIM_400000_NS6detail17trampoline_kernelINS0_14default_configENS1_25partition_config_selectorILNS1_17partition_subalgoE8ElNS0_10empty_typeEbEEZZNS1_14partition_implILS5_8ELb0ES3_jPlPS6_PKS6_NS0_5tupleIJS9_S6_EEENSD_IJSA_SA_EEENS0_18inequality_wrapperIZN2at6native12_GLOBAL__N_124unique_dim_cuda_templateIjEESt5tupleIJNSH_6TensorESM_SM_EERKSM_lbbbEUlllE0_EEPmJS6_EEE10hipError_tPvRmT3_T4_T5_T6_T7_T9_mT8_P12ihipStream_tbDpT10_ENKUlT_T0_E_clISt17integral_constantIbLb0EES1B_IbLb1EEEEDaS17_S18_EUlS17_E_NS1_11comp_targetILNS1_3genE8ELNS1_11target_archE1030ELNS1_3gpuE2ELNS1_3repE0EEENS1_30default_config_static_selectorELNS0_4arch9wavefront6targetE1EEEvT1_
	.p2align	8
	.type	_ZN7rocprim17ROCPRIM_400000_NS6detail17trampoline_kernelINS0_14default_configENS1_25partition_config_selectorILNS1_17partition_subalgoE8ElNS0_10empty_typeEbEEZZNS1_14partition_implILS5_8ELb0ES3_jPlPS6_PKS6_NS0_5tupleIJS9_S6_EEENSD_IJSA_SA_EEENS0_18inequality_wrapperIZN2at6native12_GLOBAL__N_124unique_dim_cuda_templateIjEESt5tupleIJNSH_6TensorESM_SM_EERKSM_lbbbEUlllE0_EEPmJS6_EEE10hipError_tPvRmT3_T4_T5_T6_T7_T9_mT8_P12ihipStream_tbDpT10_ENKUlT_T0_E_clISt17integral_constantIbLb0EES1B_IbLb1EEEEDaS17_S18_EUlS17_E_NS1_11comp_targetILNS1_3genE8ELNS1_11target_archE1030ELNS1_3gpuE2ELNS1_3repE0EEENS1_30default_config_static_selectorELNS0_4arch9wavefront6targetE1EEEvT1_,@function
_ZN7rocprim17ROCPRIM_400000_NS6detail17trampoline_kernelINS0_14default_configENS1_25partition_config_selectorILNS1_17partition_subalgoE8ElNS0_10empty_typeEbEEZZNS1_14partition_implILS5_8ELb0ES3_jPlPS6_PKS6_NS0_5tupleIJS9_S6_EEENSD_IJSA_SA_EEENS0_18inequality_wrapperIZN2at6native12_GLOBAL__N_124unique_dim_cuda_templateIjEESt5tupleIJNSH_6TensorESM_SM_EERKSM_lbbbEUlllE0_EEPmJS6_EEE10hipError_tPvRmT3_T4_T5_T6_T7_T9_mT8_P12ihipStream_tbDpT10_ENKUlT_T0_E_clISt17integral_constantIbLb0EES1B_IbLb1EEEEDaS17_S18_EUlS17_E_NS1_11comp_targetILNS1_3genE8ELNS1_11target_archE1030ELNS1_3gpuE2ELNS1_3repE0EEENS1_30default_config_static_selectorELNS0_4arch9wavefront6targetE1EEEvT1_: ; @_ZN7rocprim17ROCPRIM_400000_NS6detail17trampoline_kernelINS0_14default_configENS1_25partition_config_selectorILNS1_17partition_subalgoE8ElNS0_10empty_typeEbEEZZNS1_14partition_implILS5_8ELb0ES3_jPlPS6_PKS6_NS0_5tupleIJS9_S6_EEENSD_IJSA_SA_EEENS0_18inequality_wrapperIZN2at6native12_GLOBAL__N_124unique_dim_cuda_templateIjEESt5tupleIJNSH_6TensorESM_SM_EERKSM_lbbbEUlllE0_EEPmJS6_EEE10hipError_tPvRmT3_T4_T5_T6_T7_T9_mT8_P12ihipStream_tbDpT10_ENKUlT_T0_E_clISt17integral_constantIbLb0EES1B_IbLb1EEEEDaS17_S18_EUlS17_E_NS1_11comp_targetILNS1_3genE8ELNS1_11target_archE1030ELNS1_3gpuE2ELNS1_3repE0EEENS1_30default_config_static_selectorELNS0_4arch9wavefront6targetE1EEEvT1_
; %bb.0:
	.section	.rodata,"a",@progbits
	.p2align	6, 0x0
	.amdhsa_kernel _ZN7rocprim17ROCPRIM_400000_NS6detail17trampoline_kernelINS0_14default_configENS1_25partition_config_selectorILNS1_17partition_subalgoE8ElNS0_10empty_typeEbEEZZNS1_14partition_implILS5_8ELb0ES3_jPlPS6_PKS6_NS0_5tupleIJS9_S6_EEENSD_IJSA_SA_EEENS0_18inequality_wrapperIZN2at6native12_GLOBAL__N_124unique_dim_cuda_templateIjEESt5tupleIJNSH_6TensorESM_SM_EERKSM_lbbbEUlllE0_EEPmJS6_EEE10hipError_tPvRmT3_T4_T5_T6_T7_T9_mT8_P12ihipStream_tbDpT10_ENKUlT_T0_E_clISt17integral_constantIbLb0EES1B_IbLb1EEEEDaS17_S18_EUlS17_E_NS1_11comp_targetILNS1_3genE8ELNS1_11target_archE1030ELNS1_3gpuE2ELNS1_3repE0EEENS1_30default_config_static_selectorELNS0_4arch9wavefront6targetE1EEEvT1_
		.amdhsa_group_segment_fixed_size 0
		.amdhsa_private_segment_fixed_size 0
		.amdhsa_kernarg_size 136
		.amdhsa_user_sgpr_count 2
		.amdhsa_user_sgpr_dispatch_ptr 0
		.amdhsa_user_sgpr_queue_ptr 0
		.amdhsa_user_sgpr_kernarg_segment_ptr 1
		.amdhsa_user_sgpr_dispatch_id 0
		.amdhsa_user_sgpr_kernarg_preload_length 0
		.amdhsa_user_sgpr_kernarg_preload_offset 0
		.amdhsa_user_sgpr_private_segment_size 0
		.amdhsa_uses_dynamic_stack 0
		.amdhsa_enable_private_segment 0
		.amdhsa_system_sgpr_workgroup_id_x 1
		.amdhsa_system_sgpr_workgroup_id_y 0
		.amdhsa_system_sgpr_workgroup_id_z 0
		.amdhsa_system_sgpr_workgroup_info 0
		.amdhsa_system_vgpr_workitem_id 0
		.amdhsa_next_free_vgpr 1
		.amdhsa_next_free_sgpr 0
		.amdhsa_accum_offset 4
		.amdhsa_reserve_vcc 0
		.amdhsa_float_round_mode_32 0
		.amdhsa_float_round_mode_16_64 0
		.amdhsa_float_denorm_mode_32 3
		.amdhsa_float_denorm_mode_16_64 3
		.amdhsa_dx10_clamp 1
		.amdhsa_ieee_mode 1
		.amdhsa_fp16_overflow 0
		.amdhsa_tg_split 0
		.amdhsa_exception_fp_ieee_invalid_op 0
		.amdhsa_exception_fp_denorm_src 0
		.amdhsa_exception_fp_ieee_div_zero 0
		.amdhsa_exception_fp_ieee_overflow 0
		.amdhsa_exception_fp_ieee_underflow 0
		.amdhsa_exception_fp_ieee_inexact 0
		.amdhsa_exception_int_div_zero 0
	.end_amdhsa_kernel
	.section	.text._ZN7rocprim17ROCPRIM_400000_NS6detail17trampoline_kernelINS0_14default_configENS1_25partition_config_selectorILNS1_17partition_subalgoE8ElNS0_10empty_typeEbEEZZNS1_14partition_implILS5_8ELb0ES3_jPlPS6_PKS6_NS0_5tupleIJS9_S6_EEENSD_IJSA_SA_EEENS0_18inequality_wrapperIZN2at6native12_GLOBAL__N_124unique_dim_cuda_templateIjEESt5tupleIJNSH_6TensorESM_SM_EERKSM_lbbbEUlllE0_EEPmJS6_EEE10hipError_tPvRmT3_T4_T5_T6_T7_T9_mT8_P12ihipStream_tbDpT10_ENKUlT_T0_E_clISt17integral_constantIbLb0EES1B_IbLb1EEEEDaS17_S18_EUlS17_E_NS1_11comp_targetILNS1_3genE8ELNS1_11target_archE1030ELNS1_3gpuE2ELNS1_3repE0EEENS1_30default_config_static_selectorELNS0_4arch9wavefront6targetE1EEEvT1_,"axG",@progbits,_ZN7rocprim17ROCPRIM_400000_NS6detail17trampoline_kernelINS0_14default_configENS1_25partition_config_selectorILNS1_17partition_subalgoE8ElNS0_10empty_typeEbEEZZNS1_14partition_implILS5_8ELb0ES3_jPlPS6_PKS6_NS0_5tupleIJS9_S6_EEENSD_IJSA_SA_EEENS0_18inequality_wrapperIZN2at6native12_GLOBAL__N_124unique_dim_cuda_templateIjEESt5tupleIJNSH_6TensorESM_SM_EERKSM_lbbbEUlllE0_EEPmJS6_EEE10hipError_tPvRmT3_T4_T5_T6_T7_T9_mT8_P12ihipStream_tbDpT10_ENKUlT_T0_E_clISt17integral_constantIbLb0EES1B_IbLb1EEEEDaS17_S18_EUlS17_E_NS1_11comp_targetILNS1_3genE8ELNS1_11target_archE1030ELNS1_3gpuE2ELNS1_3repE0EEENS1_30default_config_static_selectorELNS0_4arch9wavefront6targetE1EEEvT1_,comdat
.Lfunc_end1572:
	.size	_ZN7rocprim17ROCPRIM_400000_NS6detail17trampoline_kernelINS0_14default_configENS1_25partition_config_selectorILNS1_17partition_subalgoE8ElNS0_10empty_typeEbEEZZNS1_14partition_implILS5_8ELb0ES3_jPlPS6_PKS6_NS0_5tupleIJS9_S6_EEENSD_IJSA_SA_EEENS0_18inequality_wrapperIZN2at6native12_GLOBAL__N_124unique_dim_cuda_templateIjEESt5tupleIJNSH_6TensorESM_SM_EERKSM_lbbbEUlllE0_EEPmJS6_EEE10hipError_tPvRmT3_T4_T5_T6_T7_T9_mT8_P12ihipStream_tbDpT10_ENKUlT_T0_E_clISt17integral_constantIbLb0EES1B_IbLb1EEEEDaS17_S18_EUlS17_E_NS1_11comp_targetILNS1_3genE8ELNS1_11target_archE1030ELNS1_3gpuE2ELNS1_3repE0EEENS1_30default_config_static_selectorELNS0_4arch9wavefront6targetE1EEEvT1_, .Lfunc_end1572-_ZN7rocprim17ROCPRIM_400000_NS6detail17trampoline_kernelINS0_14default_configENS1_25partition_config_selectorILNS1_17partition_subalgoE8ElNS0_10empty_typeEbEEZZNS1_14partition_implILS5_8ELb0ES3_jPlPS6_PKS6_NS0_5tupleIJS9_S6_EEENSD_IJSA_SA_EEENS0_18inequality_wrapperIZN2at6native12_GLOBAL__N_124unique_dim_cuda_templateIjEESt5tupleIJNSH_6TensorESM_SM_EERKSM_lbbbEUlllE0_EEPmJS6_EEE10hipError_tPvRmT3_T4_T5_T6_T7_T9_mT8_P12ihipStream_tbDpT10_ENKUlT_T0_E_clISt17integral_constantIbLb0EES1B_IbLb1EEEEDaS17_S18_EUlS17_E_NS1_11comp_targetILNS1_3genE8ELNS1_11target_archE1030ELNS1_3gpuE2ELNS1_3repE0EEENS1_30default_config_static_selectorELNS0_4arch9wavefront6targetE1EEEvT1_
                                        ; -- End function
	.set _ZN7rocprim17ROCPRIM_400000_NS6detail17trampoline_kernelINS0_14default_configENS1_25partition_config_selectorILNS1_17partition_subalgoE8ElNS0_10empty_typeEbEEZZNS1_14partition_implILS5_8ELb0ES3_jPlPS6_PKS6_NS0_5tupleIJS9_S6_EEENSD_IJSA_SA_EEENS0_18inequality_wrapperIZN2at6native12_GLOBAL__N_124unique_dim_cuda_templateIjEESt5tupleIJNSH_6TensorESM_SM_EERKSM_lbbbEUlllE0_EEPmJS6_EEE10hipError_tPvRmT3_T4_T5_T6_T7_T9_mT8_P12ihipStream_tbDpT10_ENKUlT_T0_E_clISt17integral_constantIbLb0EES1B_IbLb1EEEEDaS17_S18_EUlS17_E_NS1_11comp_targetILNS1_3genE8ELNS1_11target_archE1030ELNS1_3gpuE2ELNS1_3repE0EEENS1_30default_config_static_selectorELNS0_4arch9wavefront6targetE1EEEvT1_.num_vgpr, 0
	.set _ZN7rocprim17ROCPRIM_400000_NS6detail17trampoline_kernelINS0_14default_configENS1_25partition_config_selectorILNS1_17partition_subalgoE8ElNS0_10empty_typeEbEEZZNS1_14partition_implILS5_8ELb0ES3_jPlPS6_PKS6_NS0_5tupleIJS9_S6_EEENSD_IJSA_SA_EEENS0_18inequality_wrapperIZN2at6native12_GLOBAL__N_124unique_dim_cuda_templateIjEESt5tupleIJNSH_6TensorESM_SM_EERKSM_lbbbEUlllE0_EEPmJS6_EEE10hipError_tPvRmT3_T4_T5_T6_T7_T9_mT8_P12ihipStream_tbDpT10_ENKUlT_T0_E_clISt17integral_constantIbLb0EES1B_IbLb1EEEEDaS17_S18_EUlS17_E_NS1_11comp_targetILNS1_3genE8ELNS1_11target_archE1030ELNS1_3gpuE2ELNS1_3repE0EEENS1_30default_config_static_selectorELNS0_4arch9wavefront6targetE1EEEvT1_.num_agpr, 0
	.set _ZN7rocprim17ROCPRIM_400000_NS6detail17trampoline_kernelINS0_14default_configENS1_25partition_config_selectorILNS1_17partition_subalgoE8ElNS0_10empty_typeEbEEZZNS1_14partition_implILS5_8ELb0ES3_jPlPS6_PKS6_NS0_5tupleIJS9_S6_EEENSD_IJSA_SA_EEENS0_18inequality_wrapperIZN2at6native12_GLOBAL__N_124unique_dim_cuda_templateIjEESt5tupleIJNSH_6TensorESM_SM_EERKSM_lbbbEUlllE0_EEPmJS6_EEE10hipError_tPvRmT3_T4_T5_T6_T7_T9_mT8_P12ihipStream_tbDpT10_ENKUlT_T0_E_clISt17integral_constantIbLb0EES1B_IbLb1EEEEDaS17_S18_EUlS17_E_NS1_11comp_targetILNS1_3genE8ELNS1_11target_archE1030ELNS1_3gpuE2ELNS1_3repE0EEENS1_30default_config_static_selectorELNS0_4arch9wavefront6targetE1EEEvT1_.numbered_sgpr, 0
	.set _ZN7rocprim17ROCPRIM_400000_NS6detail17trampoline_kernelINS0_14default_configENS1_25partition_config_selectorILNS1_17partition_subalgoE8ElNS0_10empty_typeEbEEZZNS1_14partition_implILS5_8ELb0ES3_jPlPS6_PKS6_NS0_5tupleIJS9_S6_EEENSD_IJSA_SA_EEENS0_18inequality_wrapperIZN2at6native12_GLOBAL__N_124unique_dim_cuda_templateIjEESt5tupleIJNSH_6TensorESM_SM_EERKSM_lbbbEUlllE0_EEPmJS6_EEE10hipError_tPvRmT3_T4_T5_T6_T7_T9_mT8_P12ihipStream_tbDpT10_ENKUlT_T0_E_clISt17integral_constantIbLb0EES1B_IbLb1EEEEDaS17_S18_EUlS17_E_NS1_11comp_targetILNS1_3genE8ELNS1_11target_archE1030ELNS1_3gpuE2ELNS1_3repE0EEENS1_30default_config_static_selectorELNS0_4arch9wavefront6targetE1EEEvT1_.num_named_barrier, 0
	.set _ZN7rocprim17ROCPRIM_400000_NS6detail17trampoline_kernelINS0_14default_configENS1_25partition_config_selectorILNS1_17partition_subalgoE8ElNS0_10empty_typeEbEEZZNS1_14partition_implILS5_8ELb0ES3_jPlPS6_PKS6_NS0_5tupleIJS9_S6_EEENSD_IJSA_SA_EEENS0_18inequality_wrapperIZN2at6native12_GLOBAL__N_124unique_dim_cuda_templateIjEESt5tupleIJNSH_6TensorESM_SM_EERKSM_lbbbEUlllE0_EEPmJS6_EEE10hipError_tPvRmT3_T4_T5_T6_T7_T9_mT8_P12ihipStream_tbDpT10_ENKUlT_T0_E_clISt17integral_constantIbLb0EES1B_IbLb1EEEEDaS17_S18_EUlS17_E_NS1_11comp_targetILNS1_3genE8ELNS1_11target_archE1030ELNS1_3gpuE2ELNS1_3repE0EEENS1_30default_config_static_selectorELNS0_4arch9wavefront6targetE1EEEvT1_.private_seg_size, 0
	.set _ZN7rocprim17ROCPRIM_400000_NS6detail17trampoline_kernelINS0_14default_configENS1_25partition_config_selectorILNS1_17partition_subalgoE8ElNS0_10empty_typeEbEEZZNS1_14partition_implILS5_8ELb0ES3_jPlPS6_PKS6_NS0_5tupleIJS9_S6_EEENSD_IJSA_SA_EEENS0_18inequality_wrapperIZN2at6native12_GLOBAL__N_124unique_dim_cuda_templateIjEESt5tupleIJNSH_6TensorESM_SM_EERKSM_lbbbEUlllE0_EEPmJS6_EEE10hipError_tPvRmT3_T4_T5_T6_T7_T9_mT8_P12ihipStream_tbDpT10_ENKUlT_T0_E_clISt17integral_constantIbLb0EES1B_IbLb1EEEEDaS17_S18_EUlS17_E_NS1_11comp_targetILNS1_3genE8ELNS1_11target_archE1030ELNS1_3gpuE2ELNS1_3repE0EEENS1_30default_config_static_selectorELNS0_4arch9wavefront6targetE1EEEvT1_.uses_vcc, 0
	.set _ZN7rocprim17ROCPRIM_400000_NS6detail17trampoline_kernelINS0_14default_configENS1_25partition_config_selectorILNS1_17partition_subalgoE8ElNS0_10empty_typeEbEEZZNS1_14partition_implILS5_8ELb0ES3_jPlPS6_PKS6_NS0_5tupleIJS9_S6_EEENSD_IJSA_SA_EEENS0_18inequality_wrapperIZN2at6native12_GLOBAL__N_124unique_dim_cuda_templateIjEESt5tupleIJNSH_6TensorESM_SM_EERKSM_lbbbEUlllE0_EEPmJS6_EEE10hipError_tPvRmT3_T4_T5_T6_T7_T9_mT8_P12ihipStream_tbDpT10_ENKUlT_T0_E_clISt17integral_constantIbLb0EES1B_IbLb1EEEEDaS17_S18_EUlS17_E_NS1_11comp_targetILNS1_3genE8ELNS1_11target_archE1030ELNS1_3gpuE2ELNS1_3repE0EEENS1_30default_config_static_selectorELNS0_4arch9wavefront6targetE1EEEvT1_.uses_flat_scratch, 0
	.set _ZN7rocprim17ROCPRIM_400000_NS6detail17trampoline_kernelINS0_14default_configENS1_25partition_config_selectorILNS1_17partition_subalgoE8ElNS0_10empty_typeEbEEZZNS1_14partition_implILS5_8ELb0ES3_jPlPS6_PKS6_NS0_5tupleIJS9_S6_EEENSD_IJSA_SA_EEENS0_18inequality_wrapperIZN2at6native12_GLOBAL__N_124unique_dim_cuda_templateIjEESt5tupleIJNSH_6TensorESM_SM_EERKSM_lbbbEUlllE0_EEPmJS6_EEE10hipError_tPvRmT3_T4_T5_T6_T7_T9_mT8_P12ihipStream_tbDpT10_ENKUlT_T0_E_clISt17integral_constantIbLb0EES1B_IbLb1EEEEDaS17_S18_EUlS17_E_NS1_11comp_targetILNS1_3genE8ELNS1_11target_archE1030ELNS1_3gpuE2ELNS1_3repE0EEENS1_30default_config_static_selectorELNS0_4arch9wavefront6targetE1EEEvT1_.has_dyn_sized_stack, 0
	.set _ZN7rocprim17ROCPRIM_400000_NS6detail17trampoline_kernelINS0_14default_configENS1_25partition_config_selectorILNS1_17partition_subalgoE8ElNS0_10empty_typeEbEEZZNS1_14partition_implILS5_8ELb0ES3_jPlPS6_PKS6_NS0_5tupleIJS9_S6_EEENSD_IJSA_SA_EEENS0_18inequality_wrapperIZN2at6native12_GLOBAL__N_124unique_dim_cuda_templateIjEESt5tupleIJNSH_6TensorESM_SM_EERKSM_lbbbEUlllE0_EEPmJS6_EEE10hipError_tPvRmT3_T4_T5_T6_T7_T9_mT8_P12ihipStream_tbDpT10_ENKUlT_T0_E_clISt17integral_constantIbLb0EES1B_IbLb1EEEEDaS17_S18_EUlS17_E_NS1_11comp_targetILNS1_3genE8ELNS1_11target_archE1030ELNS1_3gpuE2ELNS1_3repE0EEENS1_30default_config_static_selectorELNS0_4arch9wavefront6targetE1EEEvT1_.has_recursion, 0
	.set _ZN7rocprim17ROCPRIM_400000_NS6detail17trampoline_kernelINS0_14default_configENS1_25partition_config_selectorILNS1_17partition_subalgoE8ElNS0_10empty_typeEbEEZZNS1_14partition_implILS5_8ELb0ES3_jPlPS6_PKS6_NS0_5tupleIJS9_S6_EEENSD_IJSA_SA_EEENS0_18inequality_wrapperIZN2at6native12_GLOBAL__N_124unique_dim_cuda_templateIjEESt5tupleIJNSH_6TensorESM_SM_EERKSM_lbbbEUlllE0_EEPmJS6_EEE10hipError_tPvRmT3_T4_T5_T6_T7_T9_mT8_P12ihipStream_tbDpT10_ENKUlT_T0_E_clISt17integral_constantIbLb0EES1B_IbLb1EEEEDaS17_S18_EUlS17_E_NS1_11comp_targetILNS1_3genE8ELNS1_11target_archE1030ELNS1_3gpuE2ELNS1_3repE0EEENS1_30default_config_static_selectorELNS0_4arch9wavefront6targetE1EEEvT1_.has_indirect_call, 0
	.section	.AMDGPU.csdata,"",@progbits
; Kernel info:
; codeLenInByte = 0
; TotalNumSgprs: 6
; NumVgprs: 0
; NumAgprs: 0
; TotalNumVgprs: 0
; ScratchSize: 0
; MemoryBound: 0
; FloatMode: 240
; IeeeMode: 1
; LDSByteSize: 0 bytes/workgroup (compile time only)
; SGPRBlocks: 0
; VGPRBlocks: 0
; NumSGPRsForWavesPerEU: 6
; NumVGPRsForWavesPerEU: 1
; AccumOffset: 4
; Occupancy: 8
; WaveLimiterHint : 0
; COMPUTE_PGM_RSRC2:SCRATCH_EN: 0
; COMPUTE_PGM_RSRC2:USER_SGPR: 2
; COMPUTE_PGM_RSRC2:TRAP_HANDLER: 0
; COMPUTE_PGM_RSRC2:TGID_X_EN: 1
; COMPUTE_PGM_RSRC2:TGID_Y_EN: 0
; COMPUTE_PGM_RSRC2:TGID_Z_EN: 0
; COMPUTE_PGM_RSRC2:TIDIG_COMP_CNT: 0
; COMPUTE_PGM_RSRC3_GFX90A:ACCUM_OFFSET: 0
; COMPUTE_PGM_RSRC3_GFX90A:TG_SPLIT: 0
	.section	.text._ZN7rocprim17ROCPRIM_400000_NS6detail17trampoline_kernelINS0_14default_configENS1_25partition_config_selectorILNS1_17partition_subalgoE9EllbEEZZNS1_14partition_implILS5_9ELb0ES3_jPlS8_PNS0_10empty_typeENS0_5tupleIJS8_S9_EEENSB_IJS8_SA_EEENS0_18inequality_wrapperIZN2at6native12_GLOBAL__N_124unique_dim_cuda_templateIjEESt5tupleIJNSF_6TensorESK_SK_EERKSK_lbbbEUlllE0_EEPmJS9_EEE10hipError_tPvRmT3_T4_T5_T6_T7_T9_mT8_P12ihipStream_tbDpT10_ENKUlT_T0_E_clISt17integral_constantIbLb0EES1A_EEDaS15_S16_EUlS15_E_NS1_11comp_targetILNS1_3genE0ELNS1_11target_archE4294967295ELNS1_3gpuE0ELNS1_3repE0EEENS1_30default_config_static_selectorELNS0_4arch9wavefront6targetE1EEEvT1_,"axG",@progbits,_ZN7rocprim17ROCPRIM_400000_NS6detail17trampoline_kernelINS0_14default_configENS1_25partition_config_selectorILNS1_17partition_subalgoE9EllbEEZZNS1_14partition_implILS5_9ELb0ES3_jPlS8_PNS0_10empty_typeENS0_5tupleIJS8_S9_EEENSB_IJS8_SA_EEENS0_18inequality_wrapperIZN2at6native12_GLOBAL__N_124unique_dim_cuda_templateIjEESt5tupleIJNSF_6TensorESK_SK_EERKSK_lbbbEUlllE0_EEPmJS9_EEE10hipError_tPvRmT3_T4_T5_T6_T7_T9_mT8_P12ihipStream_tbDpT10_ENKUlT_T0_E_clISt17integral_constantIbLb0EES1A_EEDaS15_S16_EUlS15_E_NS1_11comp_targetILNS1_3genE0ELNS1_11target_archE4294967295ELNS1_3gpuE0ELNS1_3repE0EEENS1_30default_config_static_selectorELNS0_4arch9wavefront6targetE1EEEvT1_,comdat
	.globl	_ZN7rocprim17ROCPRIM_400000_NS6detail17trampoline_kernelINS0_14default_configENS1_25partition_config_selectorILNS1_17partition_subalgoE9EllbEEZZNS1_14partition_implILS5_9ELb0ES3_jPlS8_PNS0_10empty_typeENS0_5tupleIJS8_S9_EEENSB_IJS8_SA_EEENS0_18inequality_wrapperIZN2at6native12_GLOBAL__N_124unique_dim_cuda_templateIjEESt5tupleIJNSF_6TensorESK_SK_EERKSK_lbbbEUlllE0_EEPmJS9_EEE10hipError_tPvRmT3_T4_T5_T6_T7_T9_mT8_P12ihipStream_tbDpT10_ENKUlT_T0_E_clISt17integral_constantIbLb0EES1A_EEDaS15_S16_EUlS15_E_NS1_11comp_targetILNS1_3genE0ELNS1_11target_archE4294967295ELNS1_3gpuE0ELNS1_3repE0EEENS1_30default_config_static_selectorELNS0_4arch9wavefront6targetE1EEEvT1_ ; -- Begin function _ZN7rocprim17ROCPRIM_400000_NS6detail17trampoline_kernelINS0_14default_configENS1_25partition_config_selectorILNS1_17partition_subalgoE9EllbEEZZNS1_14partition_implILS5_9ELb0ES3_jPlS8_PNS0_10empty_typeENS0_5tupleIJS8_S9_EEENSB_IJS8_SA_EEENS0_18inequality_wrapperIZN2at6native12_GLOBAL__N_124unique_dim_cuda_templateIjEESt5tupleIJNSF_6TensorESK_SK_EERKSK_lbbbEUlllE0_EEPmJS9_EEE10hipError_tPvRmT3_T4_T5_T6_T7_T9_mT8_P12ihipStream_tbDpT10_ENKUlT_T0_E_clISt17integral_constantIbLb0EES1A_EEDaS15_S16_EUlS15_E_NS1_11comp_targetILNS1_3genE0ELNS1_11target_archE4294967295ELNS1_3gpuE0ELNS1_3repE0EEENS1_30default_config_static_selectorELNS0_4arch9wavefront6targetE1EEEvT1_
	.p2align	8
	.type	_ZN7rocprim17ROCPRIM_400000_NS6detail17trampoline_kernelINS0_14default_configENS1_25partition_config_selectorILNS1_17partition_subalgoE9EllbEEZZNS1_14partition_implILS5_9ELb0ES3_jPlS8_PNS0_10empty_typeENS0_5tupleIJS8_S9_EEENSB_IJS8_SA_EEENS0_18inequality_wrapperIZN2at6native12_GLOBAL__N_124unique_dim_cuda_templateIjEESt5tupleIJNSF_6TensorESK_SK_EERKSK_lbbbEUlllE0_EEPmJS9_EEE10hipError_tPvRmT3_T4_T5_T6_T7_T9_mT8_P12ihipStream_tbDpT10_ENKUlT_T0_E_clISt17integral_constantIbLb0EES1A_EEDaS15_S16_EUlS15_E_NS1_11comp_targetILNS1_3genE0ELNS1_11target_archE4294967295ELNS1_3gpuE0ELNS1_3repE0EEENS1_30default_config_static_selectorELNS0_4arch9wavefront6targetE1EEEvT1_,@function
_ZN7rocprim17ROCPRIM_400000_NS6detail17trampoline_kernelINS0_14default_configENS1_25partition_config_selectorILNS1_17partition_subalgoE9EllbEEZZNS1_14partition_implILS5_9ELb0ES3_jPlS8_PNS0_10empty_typeENS0_5tupleIJS8_S9_EEENSB_IJS8_SA_EEENS0_18inequality_wrapperIZN2at6native12_GLOBAL__N_124unique_dim_cuda_templateIjEESt5tupleIJNSF_6TensorESK_SK_EERKSK_lbbbEUlllE0_EEPmJS9_EEE10hipError_tPvRmT3_T4_T5_T6_T7_T9_mT8_P12ihipStream_tbDpT10_ENKUlT_T0_E_clISt17integral_constantIbLb0EES1A_EEDaS15_S16_EUlS15_E_NS1_11comp_targetILNS1_3genE0ELNS1_11target_archE4294967295ELNS1_3gpuE0ELNS1_3repE0EEENS1_30default_config_static_selectorELNS0_4arch9wavefront6targetE1EEEvT1_: ; @_ZN7rocprim17ROCPRIM_400000_NS6detail17trampoline_kernelINS0_14default_configENS1_25partition_config_selectorILNS1_17partition_subalgoE9EllbEEZZNS1_14partition_implILS5_9ELb0ES3_jPlS8_PNS0_10empty_typeENS0_5tupleIJS8_S9_EEENSB_IJS8_SA_EEENS0_18inequality_wrapperIZN2at6native12_GLOBAL__N_124unique_dim_cuda_templateIjEESt5tupleIJNSF_6TensorESK_SK_EERKSK_lbbbEUlllE0_EEPmJS9_EEE10hipError_tPvRmT3_T4_T5_T6_T7_T9_mT8_P12ihipStream_tbDpT10_ENKUlT_T0_E_clISt17integral_constantIbLb0EES1A_EEDaS15_S16_EUlS15_E_NS1_11comp_targetILNS1_3genE0ELNS1_11target_archE4294967295ELNS1_3gpuE0ELNS1_3repE0EEENS1_30default_config_static_selectorELNS0_4arch9wavefront6targetE1EEEvT1_
; %bb.0:
	s_load_dwordx4 s[4:7], s[0:1], 0x8
	s_load_dwordx2 s[10:11], s[0:1], 0x18
	s_load_dwordx8 s[24:31], s[0:1], 0x40
	s_load_dword s3, s[0:1], 0x70
	s_mul_i32 s12, s2, 0x280
	s_waitcnt lgkmcnt(0)
	s_lshl_b64 s[14:15], s[6:7], 3
	s_add_u32 s18, s4, s14
	s_addc_u32 s19, s5, s15
	s_mul_i32 s4, s3, 0x280
	s_add_i32 s8, s3, -1
	s_add_i32 s3, s4, s6
	s_sub_i32 s3, s28, s3
	s_addk_i32 s3, 0x280
	s_add_u32 s4, s6, s4
	s_addc_u32 s5, s7, 0
	v_mov_b64_e32 v[2:3], s[4:5]
	s_cmp_eq_u32 s2, s8
	s_load_dwordx2 s[26:27], s[26:27], 0x0
	v_cmp_le_u64_e32 vcc, s[28:29], v[2:3]
	s_cselect_b64 s[28:29], -1, 0
	s_mov_b32 s13, 0
	s_and_b64 s[8:9], s[28:29], vcc
	s_xor_b64 s[34:35], s[8:9], -1
	s_lshl_b64 s[16:17], s[12:13], 3
	s_add_u32 s12, s18, s16
	s_mov_b64 s[4:5], -1
	s_addc_u32 s13, s19, s17
	s_and_b64 vcc, exec, s[34:35]
	v_lshlrev_b32_e32 v1, 3, v0
	s_cbranch_vccz .LBB1573_2
; %bb.1:
	v_lshlrev_b32_e32 v2, 3, v0
	v_mov_b32_e32 v3, 0
	v_lshl_add_u64 v[4:5], s[12:13], 0, v[2:3]
	v_add_co_u32_e32 v4, vcc, 0x1000, v4
	global_load_dwordx2 v[6:7], v2, s[12:13] offset:3072
	s_nop 0
	v_addc_co_u32_e32 v5, vcc, 0, v5, vcc
	global_load_dwordx2 v[8:9], v2, s[12:13]
	global_load_dwordx2 v[10:11], v2, s[12:13] offset:1024
	global_load_dwordx2 v[12:13], v2, s[12:13] offset:2048
	global_load_dwordx2 v[14:15], v[4:5], off
	s_mov_b64 s[4:5], 0
	s_waitcnt vmcnt(2)
	ds_write2st64_b64 v2, v[8:9], v[10:11] offset1:2
	s_waitcnt vmcnt(1)
	ds_write2st64_b64 v2, v[12:13], v[6:7] offset0:4 offset1:6
	s_waitcnt vmcnt(0)
	ds_write_b64 v2, v[14:15] offset:4096
	s_waitcnt lgkmcnt(0)
	s_barrier
.LBB1573_2:
	s_load_dwordx4 s[20:23], s[0:1], 0x60
	s_andn2_b64 vcc, exec, s[4:5]
	v_cmp_gt_u32_e64 s[4:5], s3, v0
	s_cbranch_vccnz .LBB1573_14
; %bb.3:
	v_mov_b32_e32 v2, 0
	v_mov_b32_e32 v3, v2
	v_mov_b32_e32 v4, v2
	v_mov_b32_e32 v5, v2
	v_mov_b32_e32 v6, v2
	v_mov_b32_e32 v7, v2
	v_mov_b32_e32 v8, v2
	v_mov_b32_e32 v9, v2
	v_mov_b32_e32 v10, v2
	v_mov_b32_e32 v11, v2
	s_and_saveexec_b64 s[18:19], s[4:5]
	s_cbranch_execz .LBB1573_5
; %bb.4:
	v_lshlrev_b32_e32 v3, 3, v0
	global_load_dwordx2 v[4:5], v3, s[12:13]
	v_mov_b32_e32 v6, v2
	v_mov_b32_e32 v7, v2
	;; [unrolled: 1-line block ×8, first 2 shown]
	s_waitcnt vmcnt(0)
	v_mov_b64_e32 v[2:3], v[4:5]
	v_mov_b64_e32 v[4:5], v[6:7]
	;; [unrolled: 1-line block ×8, first 2 shown]
.LBB1573_5:
	s_or_b64 exec, exec, s[18:19]
	v_or_b32_e32 v12, 0x80, v0
	v_cmp_gt_u32_e32 vcc, s3, v12
	s_and_saveexec_b64 s[4:5], vcc
	s_cbranch_execz .LBB1573_7
; %bb.6:
	v_lshlrev_b32_e32 v4, 3, v0
	global_load_dwordx2 v[4:5], v4, s[12:13] offset:1024
.LBB1573_7:
	s_or_b64 exec, exec, s[4:5]
	v_or_b32_e32 v12, 0x100, v0
	v_cmp_gt_u32_e32 vcc, s3, v12
	s_and_saveexec_b64 s[4:5], vcc
	s_cbranch_execz .LBB1573_9
; %bb.8:
	v_lshlrev_b32_e32 v6, 3, v0
	global_load_dwordx2 v[6:7], v6, s[12:13] offset:2048
.LBB1573_9:
	;; [unrolled: 9-line block ×3, first 2 shown]
	s_or_b64 exec, exec, s[4:5]
	v_or_b32_e32 v12, 0x200, v0
	v_cmp_gt_u32_e32 vcc, s3, v12
	s_and_saveexec_b64 s[4:5], vcc
	s_cbranch_execz .LBB1573_13
; %bb.12:
	v_lshlrev_b32_e32 v10, 3, v12
	global_load_dwordx2 v[10:11], v10, s[12:13]
.LBB1573_13:
	s_or_b64 exec, exec, s[4:5]
	v_lshlrev_b32_e32 v12, 3, v0
	s_waitcnt vmcnt(0)
	ds_write2st64_b64 v12, v[2:3], v[4:5] offset1:2
	ds_write2st64_b64 v12, v[6:7], v[8:9] offset0:4 offset1:6
	ds_write_b64 v12, v[10:11] offset:4096
	s_waitcnt lgkmcnt(0)
	s_barrier
.LBB1573_14:
	v_mul_u32_u24_e32 v22, 5, v0
	v_lshlrev_b32_e32 v20, 3, v22
	s_waitcnt lgkmcnt(0)
	ds_read2_b64 v[6:9], v20 offset1:1
	ds_read2_b64 v[2:5], v20 offset0:2 offset1:3
	ds_read_b64 v[12:13], v20 offset:32
	s_add_u32 s4, s10, s14
	s_addc_u32 s5, s11, s15
	s_add_u32 s4, s4, s16
	s_addc_u32 s5, s5, s17
	s_mov_b64 s[10:11], -1
	s_and_b64 vcc, exec, s[34:35]
	s_waitcnt lgkmcnt(0)
	s_barrier
	s_cbranch_vccz .LBB1573_16
; %bb.15:
	v_lshlrev_b32_e32 v10, 3, v0
	v_mov_b32_e32 v11, 0
	v_lshl_add_u64 v[14:15], s[4:5], 0, v[10:11]
	v_add_co_u32_e32 v14, vcc, 0x1000, v14
	global_load_dwordx2 v[16:17], v10, s[4:5] offset:3072
	s_nop 0
	v_addc_co_u32_e32 v15, vcc, 0, v15, vcc
	global_load_dwordx2 v[18:19], v10, s[4:5]
	global_load_dwordx2 v[24:25], v10, s[4:5] offset:1024
	global_load_dwordx2 v[26:27], v10, s[4:5] offset:2048
	global_load_dwordx2 v[28:29], v[14:15], off
	s_mov_b64 s[10:11], 0
	s_waitcnt vmcnt(2)
	ds_write2st64_b64 v10, v[18:19], v[24:25] offset1:2
	s_waitcnt vmcnt(1)
	ds_write2st64_b64 v10, v[26:27], v[16:17] offset0:4 offset1:6
	s_waitcnt vmcnt(0)
	ds_write_b64 v10, v[28:29] offset:4096
	s_waitcnt lgkmcnt(0)
	s_barrier
.LBB1573_16:
	s_andn2_b64 vcc, exec, s[10:11]
	s_cbranch_vccnz .LBB1573_28
; %bb.17:
	v_cmp_gt_u32_e32 vcc, s3, v0
                                        ; implicit-def: $vgpr10_vgpr11
	s_and_saveexec_b64 s[10:11], vcc
	s_cbranch_execz .LBB1573_19
; %bb.18:
	v_lshlrev_b32_e32 v10, 3, v0
	global_load_dwordx2 v[10:11], v10, s[4:5]
.LBB1573_19:
	s_or_b64 exec, exec, s[10:11]
	v_or_b32_e32 v14, 0x80, v0
	v_cmp_gt_u32_e32 vcc, s3, v14
                                        ; implicit-def: $vgpr14_vgpr15
	s_and_saveexec_b64 s[10:11], vcc
	s_cbranch_execz .LBB1573_21
; %bb.20:
	v_lshlrev_b32_e32 v14, 3, v0
	global_load_dwordx2 v[14:15], v14, s[4:5] offset:1024
.LBB1573_21:
	s_or_b64 exec, exec, s[10:11]
	v_or_b32_e32 v16, 0x100, v0
	v_cmp_gt_u32_e32 vcc, s3, v16
                                        ; implicit-def: $vgpr16_vgpr17
	s_and_saveexec_b64 s[10:11], vcc
	s_cbranch_execz .LBB1573_23
; %bb.22:
	v_lshlrev_b32_e32 v16, 3, v0
	global_load_dwordx2 v[16:17], v16, s[4:5] offset:2048
.LBB1573_23:
	s_or_b64 exec, exec, s[10:11]
	v_or_b32_e32 v18, 0x180, v0
	v_cmp_gt_u32_e32 vcc, s3, v18
                                        ; implicit-def: $vgpr18_vgpr19
	s_and_saveexec_b64 s[10:11], vcc
	s_cbranch_execz .LBB1573_25
; %bb.24:
	v_lshlrev_b32_e32 v18, 3, v0
	global_load_dwordx2 v[18:19], v18, s[4:5] offset:3072
.LBB1573_25:
	s_or_b64 exec, exec, s[10:11]
	v_or_b32_e32 v21, 0x200, v0
	v_cmp_gt_u32_e32 vcc, s3, v21
                                        ; implicit-def: $vgpr24_vgpr25
	s_and_saveexec_b64 s[10:11], vcc
	s_cbranch_execz .LBB1573_27
; %bb.26:
	v_lshlrev_b32_e32 v21, 3, v21
	global_load_dwordx2 v[24:25], v21, s[4:5]
.LBB1573_27:
	s_or_b64 exec, exec, s[10:11]
	v_lshlrev_b32_e32 v21, 5, v0
	v_sub_u32_e32 v21, v20, v21
	s_waitcnt vmcnt(0)
	ds_write2st64_b64 v21, v[10:11], v[14:15] offset1:2
	ds_write2st64_b64 v21, v[16:17], v[18:19] offset0:4 offset1:6
	ds_write_b64 v21, v[24:25] offset:4096
	s_waitcnt lgkmcnt(0)
	s_barrier
.LBB1573_28:
	ds_read_b64 v[10:11], v20 offset:32
	ds_read2_b64 v[52:55], v20 offset0:2 offset1:3
	ds_read2_b64 v[56:59], v20 offset1:1
	s_cmp_lg_u32 s2, 0
	s_cselect_b64 s[16:17], -1, 0
	s_cmp_lg_u64 s[6:7], 0
	s_cselect_b64 s[4:5], -1, 0
	s_or_b64 s[4:5], s[16:17], s[4:5]
	s_mov_b64 s[10:11], 0
	s_and_b64 vcc, exec, s[4:5]
	v_cmp_gt_i64_e64 s[4:5], s[30:31], 0
	s_waitcnt lgkmcnt(0)
	s_barrier
	s_cbranch_vccz .LBB1573_40
; %bb.29:
	s_add_u32 s6, s12, -8
	s_addc_u32 s7, s13, -1
	s_load_dwordx2 s[10:11], s[6:7], 0x0
	v_cndmask_b32_e64 v14, 0, 1, s[4:5]
	v_lshlrev_b32_e32 v21, 3, v0
	s_mov_b64 s[6:7], 0
	s_and_b64 vcc, exec, s[34:35]
	v_cmp_ne_u32_e64 s[4:5], 1, v14
	ds_write_b64 v21, v[12:13]
	s_cbranch_vccz .LBB1573_42
; %bb.30:
	s_and_b64 vcc, exec, s[4:5]
	s_cbranch_vccnz .LBB1573_43
; %bb.31:
	v_mul_lo_u32 v16, v5, s30
	v_mul_lo_u32 v17, v4, s31
	v_mad_u64_u32 v[14:15], s[6:7], v4, s30, 0
	v_add3_u32 v15, v15, v17, v16
	v_mul_lo_u32 v18, v13, s30
	v_mul_lo_u32 v19, v12, s31
	v_mad_u64_u32 v[16:17], s[6:7], v12, s30, 0
	s_add_u32 s14, s30, -1
	v_lshl_add_u64 v[14:15], v[14:15], 2, s[20:21]
	v_add3_u32 v17, v17, v19, v18
	s_addc_u32 s15, s31, -1
	v_lshl_add_u64 v[16:17], v[16:17], 2, s[20:21]
	s_mov_b64 s[18:19], 0
	s_mov_b64 s[36:37], s[14:15]
	v_mov_b64_e32 v[18:19], v[14:15]
                                        ; implicit-def: $sgpr12_sgpr13
.LBB1573_32:                            ; =>This Inner Loop Header: Depth=1
	global_load_dword v23, v[18:19], off
	global_load_dword v24, v[16:17], off
	s_add_u32 s6, s36, -1
	s_addc_u32 s7, s37, -1
	s_cmp_eq_u64 s[36:37], 0
	s_mov_b64 s[36:37], s[6:7]
	s_cselect_b64 s[38:39], -1, 0
	v_lshl_add_u64 v[18:19], v[18:19], 0, 4
	v_lshl_add_u64 v[16:17], v[16:17], 0, 4
	s_waitcnt vmcnt(0)
	v_cmp_ne_u32_e64 s[6:7], v23, v24
	s_or_b64 s[6:7], s[6:7], s[38:39]
	s_and_b64 s[6:7], exec, s[6:7]
	v_cmp_eq_u32_e32 vcc, v23, v24
	s_or_b64 s[18:19], s[6:7], s[18:19]
	s_andn2_b64 s[6:7], s[12:13], exec
	s_and_b64 s[12:13], vcc, exec
	s_or_b64 s[12:13], s[6:7], s[12:13]
	s_andn2_b64 exec, exec, s[18:19]
	s_cbranch_execnz .LBB1573_32
; %bb.33:
	s_or_b64 exec, exec, s[18:19]
	v_mul_lo_u32 v18, v3, s30
	v_mul_lo_u32 v19, v2, s31
	v_mad_u64_u32 v[16:17], s[6:7], v2, s30, 0
	v_add3_u32 v17, v17, v19, v18
	v_lshl_add_u64 v[16:17], v[16:17], 2, s[20:21]
	s_mov_b64 s[36:37], 0
	s_mov_b64 s[38:39], s[14:15]
	v_mov_b64_e32 v[18:19], v[16:17]
                                        ; implicit-def: $sgpr18_sgpr19
.LBB1573_34:                            ; =>This Inner Loop Header: Depth=1
	global_load_dword v23, v[18:19], off
	global_load_dword v24, v[14:15], off
	s_add_u32 s6, s38, -1
	s_addc_u32 s7, s39, -1
	s_cmp_eq_u64 s[38:39], 0
	s_mov_b64 s[38:39], s[6:7]
	s_cselect_b64 s[40:41], -1, 0
	v_lshl_add_u64 v[18:19], v[18:19], 0, 4
	v_lshl_add_u64 v[14:15], v[14:15], 0, 4
	s_waitcnt vmcnt(0)
	v_cmp_ne_u32_e64 s[6:7], v23, v24
	s_or_b64 s[6:7], s[6:7], s[40:41]
	s_and_b64 s[6:7], exec, s[6:7]
	v_cmp_eq_u32_e32 vcc, v23, v24
	s_or_b64 s[36:37], s[6:7], s[36:37]
	s_andn2_b64 s[6:7], s[18:19], exec
	s_and_b64 s[18:19], vcc, exec
	s_or_b64 s[18:19], s[6:7], s[18:19]
	s_andn2_b64 exec, exec, s[36:37]
	s_cbranch_execnz .LBB1573_34
; %bb.35:
	s_or_b64 exec, exec, s[36:37]
	v_mul_lo_u32 v18, v9, s30
	v_mul_lo_u32 v19, v8, s31
	v_mad_u64_u32 v[14:15], s[6:7], v8, s30, 0
	v_add3_u32 v15, v15, v19, v18
	v_lshl_add_u64 v[14:15], v[14:15], 2, s[20:21]
	s_mov_b64 s[38:39], 0
	s_mov_b64 s[40:41], s[14:15]
	v_mov_b64_e32 v[18:19], v[14:15]
                                        ; implicit-def: $sgpr36_sgpr37
.LBB1573_36:                            ; =>This Inner Loop Header: Depth=1
	global_load_dword v23, v[18:19], off
	global_load_dword v24, v[16:17], off
	s_add_u32 s6, s40, -1
	s_addc_u32 s7, s41, -1
	s_cmp_eq_u64 s[40:41], 0
	s_mov_b64 s[40:41], s[6:7]
	s_cselect_b64 s[42:43], -1, 0
	v_lshl_add_u64 v[18:19], v[18:19], 0, 4
	v_lshl_add_u64 v[16:17], v[16:17], 0, 4
	s_waitcnt vmcnt(0)
	v_cmp_ne_u32_e64 s[6:7], v23, v24
	s_or_b64 s[6:7], s[6:7], s[42:43]
	s_and_b64 s[6:7], exec, s[6:7]
	v_cmp_eq_u32_e32 vcc, v23, v24
	s_or_b64 s[38:39], s[6:7], s[38:39]
	s_andn2_b64 s[6:7], s[36:37], exec
	s_and_b64 s[36:37], vcc, exec
	s_or_b64 s[36:37], s[6:7], s[36:37]
	s_andn2_b64 exec, exec, s[38:39]
	s_cbranch_execnz .LBB1573_36
; %bb.37:
	s_or_b64 exec, exec, s[38:39]
	v_mul_lo_u32 v18, v7, s30
	v_mul_lo_u32 v19, v6, s31
	v_mad_u64_u32 v[16:17], s[6:7], v6, s30, 0
	v_add3_u32 v17, v17, v19, v18
	v_lshl_add_u64 v[16:17], v[16:17], 2, s[20:21]
	s_mov_b64 s[40:41], 0
                                        ; implicit-def: $sgpr38_sgpr39
.LBB1573_38:                            ; =>This Inner Loop Header: Depth=1
	global_load_dword v18, v[16:17], off
	global_load_dword v19, v[14:15], off
	s_add_u32 s6, s14, -1
	s_addc_u32 s7, s15, -1
	s_cmp_eq_u64 s[14:15], 0
	s_mov_b64 s[14:15], s[6:7]
	s_cselect_b64 s[42:43], -1, 0
	v_lshl_add_u64 v[16:17], v[16:17], 0, 4
	v_lshl_add_u64 v[14:15], v[14:15], 0, 4
	s_waitcnt vmcnt(0)
	v_cmp_ne_u32_e64 s[6:7], v18, v19
	s_or_b64 s[6:7], s[6:7], s[42:43]
	s_and_b64 s[6:7], exec, s[6:7]
	v_cmp_eq_u32_e32 vcc, v18, v19
	s_or_b64 s[40:41], s[6:7], s[40:41]
	s_andn2_b64 s[6:7], s[38:39], exec
	s_and_b64 s[38:39], vcc, exec
	s_or_b64 s[38:39], s[6:7], s[38:39]
	s_andn2_b64 exec, exec, s[40:41]
	s_cbranch_execnz .LBB1573_38
; %bb.39:
	s_or_b64 exec, exec, s[40:41]
	s_xor_b64 s[6:7], s[12:13], -1
	v_cndmask_b32_e64 v32, 0, 1, s[6:7]
	s_xor_b64 s[6:7], s[18:19], -1
	v_cndmask_b32_e64 v14, 0, 1, s[6:7]
	v_lshlrev_b16_e32 v14, 8, v14
	v_mov_b32_e32 v15, 8
	s_xor_b64 s[12:13], s[36:37], -1
	v_lshrrev_b32_sdwa v14, v15, v14 dst_sel:BYTE_1 dst_unused:UNUSED_PAD src0_sel:DWORD src1_sel:DWORD
	v_cndmask_b32_e64 v15, 0, 1, s[12:13]
	s_xor_b64 s[6:7], s[38:39], -1
	v_or_b32_sdwa v16, v15, v14 dst_sel:WORD_1 dst_unused:UNUSED_PAD src0_sel:DWORD src1_sel:DWORD
	s_branch .LBB1573_44
.LBB1573_40:
                                        ; implicit-def: $sgpr6_sgpr7
                                        ; implicit-def: $vgpr32
                                        ; implicit-def: $vgpr15
	s_branch .LBB1573_85
.LBB1573_41:
                                        ; implicit-def: $vgpr16
                                        ; implicit-def: $vgpr34
                                        ; implicit-def: $vgpr33
                                        ; implicit-def: $vgpr14
	s_branch .LBB1573_138
.LBB1573_42:
                                        ; implicit-def: $sgpr6_sgpr7
                                        ; implicit-def: $vgpr32
                                        ; implicit-def: $vgpr15
	s_cbranch_execnz .LBB1573_51
	s_branch .LBB1573_84
.LBB1573_43:
	v_mov_b32_e32 v16, 0
	v_mov_b32_e32 v32, 0
.LBB1573_44:
	v_cmp_ne_u32_e32 vcc, 0, v0
	s_waitcnt lgkmcnt(0)
	v_mov_b64_e32 v[14:15], s[10:11]
	s_barrier
	s_and_saveexec_b64 s[12:13], vcc
; %bb.45:
	v_add_u32_e32 v14, -8, v21
	ds_read_b64 v[14:15], v14
; %bb.46:
	s_or_b64 exec, exec, s[12:13]
	v_cndmask_b32_e64 v17, 0, 1, s[6:7]
	v_lshrrev_b32_e32 v18, 16, v16
	s_mov_b32 s6, 0xc0c0304
	v_perm_b32 v18, v18, v16, s6
	v_lshlrev_b16_e32 v17, 8, v17
	s_movk_i32 s6, 0xff
	v_bitop3_b16 v16, v16, v17, s6 bitop3:0xec
	v_and_b32_e32 v19, 0xffff, v16
	s_mov_b64 s[12:13], 0
	s_and_b64 vcc, exec, s[4:5]
	s_mov_b64 s[6:7], 0
	s_cbranch_vccnz .LBB1573_50
; %bb.47:
	s_waitcnt lgkmcnt(0)
	v_mul_lo_u32 v16, v15, s30
	v_mul_lo_u32 v17, v14, s31
	v_mad_u64_u32 v[14:15], s[6:7], v14, s30, 0
	v_add3_u32 v15, v15, v17, v16
	v_mul_lo_u32 v23, v7, s30
	v_mul_lo_u32 v24, v6, s31
	v_mad_u64_u32 v[16:17], s[6:7], v6, s30, 0
	v_add3_u32 v17, v17, v24, v23
	s_add_u32 s36, s30, -1
	v_lshl_add_u64 v[14:15], v[14:15], 2, s[20:21]
	v_lshl_add_u64 v[16:17], v[16:17], 2, s[20:21]
	s_addc_u32 s37, s31, -1
	s_mov_b64 s[14:15], 0
                                        ; implicit-def: $sgpr18_sgpr19
.LBB1573_48:                            ; =>This Inner Loop Header: Depth=1
	global_load_dword v23, v[14:15], off
	global_load_dword v24, v[16:17], off
	s_add_u32 s6, s36, -1
	s_addc_u32 s7, s37, -1
	s_cmp_eq_u64 s[36:37], 0
	s_mov_b64 s[36:37], s[6:7]
	s_cselect_b64 s[38:39], -1, 0
	v_lshl_add_u64 v[14:15], v[14:15], 0, 4
	v_lshl_add_u64 v[16:17], v[16:17], 0, 4
	s_waitcnt vmcnt(0)
	v_cmp_ne_u32_e64 s[6:7], v23, v24
	s_or_b64 s[6:7], s[6:7], s[38:39]
	s_and_b64 s[6:7], exec, s[6:7]
	v_cmp_eq_u32_e32 vcc, v23, v24
	s_or_b64 s[14:15], s[6:7], s[14:15]
	s_andn2_b64 s[6:7], s[18:19], exec
	s_and_b64 s[18:19], vcc, exec
	s_or_b64 s[18:19], s[6:7], s[18:19]
	s_andn2_b64 exec, exec, s[14:15]
	s_cbranch_execnz .LBB1573_48
; %bb.49:
	s_or_b64 exec, exec, s[14:15]
	s_xor_b64 s[6:7], s[18:19], -1
.LBB1573_50:
	s_waitcnt lgkmcnt(0)
	v_lshl_or_b32 v15, v18, 16, v19
	s_and_b64 vcc, exec, s[12:13]
	s_cbranch_vccz .LBB1573_84
.LBB1573_51:
	v_add_u32_e32 v14, 4, v22
	v_cmp_gt_u32_e32 vcc, s3, v14
	s_mov_b64 s[14:15], 0
	s_mov_b64 s[12:13], 0
	s_and_saveexec_b64 s[18:19], vcc
	s_cbranch_execz .LBB1573_57
; %bb.52:
	s_and_b64 vcc, exec, s[4:5]
	s_mov_b64 s[6:7], 0
	s_cbranch_vccnz .LBB1573_56
; %bb.53:
	v_mul_lo_u32 v16, v5, s30
	v_mul_lo_u32 v17, v4, s31
	v_mad_u64_u32 v[14:15], s[6:7], v4, s30, 0
	v_add3_u32 v15, v15, v17, v16
	v_mul_lo_u32 v18, v13, s30
	v_mul_lo_u32 v19, v12, s31
	v_mad_u64_u32 v[16:17], s[6:7], v12, s30, 0
	v_add3_u32 v17, v17, v19, v18
	s_add_u32 s38, s30, -1
	v_lshl_add_u64 v[14:15], v[14:15], 2, s[20:21]
	v_lshl_add_u64 v[16:17], v[16:17], 2, s[20:21]
	s_addc_u32 s39, s31, -1
                                        ; implicit-def: $sgpr36_sgpr37
.LBB1573_54:                            ; =>This Inner Loop Header: Depth=1
	global_load_dword v18, v[14:15], off
	global_load_dword v19, v[16:17], off
	s_add_u32 s6, s38, -1
	s_addc_u32 s7, s39, -1
	s_cmp_eq_u64 s[38:39], 0
	s_mov_b64 s[38:39], s[6:7]
	s_cselect_b64 s[40:41], -1, 0
	v_lshl_add_u64 v[14:15], v[14:15], 0, 4
	v_lshl_add_u64 v[16:17], v[16:17], 0, 4
	s_waitcnt vmcnt(0)
	v_cmp_ne_u32_e64 s[6:7], v18, v19
	s_or_b64 s[6:7], s[6:7], s[40:41]
	s_and_b64 s[6:7], exec, s[6:7]
	v_cmp_eq_u32_e32 vcc, v18, v19
	s_or_b64 s[12:13], s[6:7], s[12:13]
	s_andn2_b64 s[6:7], s[36:37], exec
	s_and_b64 s[36:37], vcc, exec
	s_or_b64 s[36:37], s[6:7], s[36:37]
	s_andn2_b64 exec, exec, s[12:13]
	s_cbranch_execnz .LBB1573_54
; %bb.55:
	s_or_b64 exec, exec, s[12:13]
	s_xor_b64 s[6:7], s[36:37], -1
.LBB1573_56:
	s_and_b64 s[12:13], s[6:7], exec
.LBB1573_57:
	s_or_b64 exec, exec, s[18:19]
	v_add_u32_e32 v14, 3, v22
	v_cmp_gt_u32_e32 vcc, s3, v14
	s_and_saveexec_b64 s[18:19], vcc
	s_cbranch_execz .LBB1573_63
; %bb.58:
	s_and_b64 vcc, exec, s[4:5]
	s_mov_b64 s[6:7], 0
	s_cbranch_vccnz .LBB1573_62
; %bb.59:
	v_mul_lo_u32 v16, v3, s30
	v_mul_lo_u32 v17, v2, s31
	v_mad_u64_u32 v[14:15], s[6:7], v2, s30, 0
	v_add3_u32 v15, v15, v17, v16
	v_mul_lo_u32 v18, v5, s30
	v_mul_lo_u32 v19, v4, s31
	v_mad_u64_u32 v[16:17], s[6:7], v4, s30, 0
	v_add3_u32 v17, v17, v19, v18
	s_add_u32 s38, s30, -1
	v_lshl_add_u64 v[14:15], v[14:15], 2, s[20:21]
	v_lshl_add_u64 v[16:17], v[16:17], 2, s[20:21]
	s_addc_u32 s39, s31, -1
	s_mov_b64 s[14:15], 0
                                        ; implicit-def: $sgpr36_sgpr37
.LBB1573_60:                            ; =>This Inner Loop Header: Depth=1
	global_load_dword v18, v[14:15], off
	global_load_dword v19, v[16:17], off
	s_add_u32 s6, s38, -1
	s_addc_u32 s7, s39, -1
	s_cmp_eq_u64 s[38:39], 0
	s_mov_b64 s[38:39], s[6:7]
	s_cselect_b64 s[40:41], -1, 0
	v_lshl_add_u64 v[14:15], v[14:15], 0, 4
	v_lshl_add_u64 v[16:17], v[16:17], 0, 4
	s_waitcnt vmcnt(0)
	v_cmp_ne_u32_e64 s[6:7], v18, v19
	s_or_b64 s[6:7], s[6:7], s[40:41]
	s_and_b64 s[6:7], exec, s[6:7]
	v_cmp_eq_u32_e32 vcc, v18, v19
	s_or_b64 s[14:15], s[6:7], s[14:15]
	s_andn2_b64 s[6:7], s[36:37], exec
	s_and_b64 s[36:37], vcc, exec
	s_or_b64 s[36:37], s[6:7], s[36:37]
	s_andn2_b64 exec, exec, s[14:15]
	s_cbranch_execnz .LBB1573_60
; %bb.61:
	s_or_b64 exec, exec, s[14:15]
	s_xor_b64 s[6:7], s[36:37], -1
.LBB1573_62:
	s_and_b64 s[14:15], s[6:7], exec
.LBB1573_63:
	s_or_b64 exec, exec, s[18:19]
	v_add_u32_e32 v14, 2, v22
	v_cmp_gt_u32_e32 vcc, s3, v14
	s_mov_b64 s[18:19], 0
	s_mov_b64 s[36:37], 0
	s_and_saveexec_b64 s[38:39], vcc
	s_cbranch_execz .LBB1573_69
; %bb.64:
	s_and_b64 vcc, exec, s[4:5]
	s_mov_b64 s[6:7], 0
	s_cbranch_vccnz .LBB1573_68
; %bb.65:
	v_mul_lo_u32 v16, v9, s30
	v_mul_lo_u32 v17, v8, s31
	v_mad_u64_u32 v[14:15], s[6:7], v8, s30, 0
	v_add3_u32 v15, v15, v17, v16
	v_mul_lo_u32 v18, v3, s30
	v_mul_lo_u32 v19, v2, s31
	v_mad_u64_u32 v[16:17], s[6:7], v2, s30, 0
	v_add3_u32 v17, v17, v19, v18
	s_add_u32 s42, s30, -1
	v_lshl_add_u64 v[14:15], v[14:15], 2, s[20:21]
	v_lshl_add_u64 v[16:17], v[16:17], 2, s[20:21]
	s_addc_u32 s43, s31, -1
                                        ; implicit-def: $sgpr40_sgpr41
.LBB1573_66:                            ; =>This Inner Loop Header: Depth=1
	global_load_dword v18, v[14:15], off
	global_load_dword v19, v[16:17], off
	s_add_u32 s6, s42, -1
	s_addc_u32 s7, s43, -1
	s_cmp_eq_u64 s[42:43], 0
	s_mov_b64 s[42:43], s[6:7]
	s_cselect_b64 s[44:45], -1, 0
	v_lshl_add_u64 v[14:15], v[14:15], 0, 4
	v_lshl_add_u64 v[16:17], v[16:17], 0, 4
	s_waitcnt vmcnt(0)
	v_cmp_ne_u32_e64 s[6:7], v18, v19
	s_or_b64 s[6:7], s[6:7], s[44:45]
	s_and_b64 s[6:7], exec, s[6:7]
	v_cmp_eq_u32_e32 vcc, v18, v19
	s_or_b64 s[36:37], s[6:7], s[36:37]
	s_andn2_b64 s[6:7], s[40:41], exec
	s_and_b64 s[40:41], vcc, exec
	s_or_b64 s[40:41], s[6:7], s[40:41]
	s_andn2_b64 exec, exec, s[36:37]
	s_cbranch_execnz .LBB1573_66
; %bb.67:
	s_or_b64 exec, exec, s[36:37]
	s_xor_b64 s[6:7], s[40:41], -1
.LBB1573_68:
	s_and_b64 s[36:37], s[6:7], exec
.LBB1573_69:
	s_or_b64 exec, exec, s[38:39]
	v_add_u32_e32 v14, 1, v22
	v_cmp_gt_u32_e32 vcc, s3, v14
	s_and_saveexec_b64 s[38:39], vcc
	s_cbranch_execz .LBB1573_75
; %bb.70:
	s_and_b64 vcc, exec, s[4:5]
	s_mov_b64 s[6:7], 0
	s_cbranch_vccnz .LBB1573_74
; %bb.71:
	v_mul_lo_u32 v16, v7, s30
	v_mul_lo_u32 v17, v6, s31
	v_mad_u64_u32 v[14:15], s[6:7], v6, s30, 0
	v_add3_u32 v15, v15, v17, v16
	v_mul_lo_u32 v18, v9, s30
	v_mul_lo_u32 v19, v8, s31
	v_mad_u64_u32 v[16:17], s[6:7], v8, s30, 0
	v_add3_u32 v17, v17, v19, v18
	s_add_u32 s42, s30, -1
	v_lshl_add_u64 v[14:15], v[14:15], 2, s[20:21]
	v_lshl_add_u64 v[16:17], v[16:17], 2, s[20:21]
	s_addc_u32 s43, s31, -1
	s_mov_b64 s[18:19], 0
                                        ; implicit-def: $sgpr40_sgpr41
.LBB1573_72:                            ; =>This Inner Loop Header: Depth=1
	global_load_dword v18, v[14:15], off
	global_load_dword v19, v[16:17], off
	s_add_u32 s6, s42, -1
	s_addc_u32 s7, s43, -1
	s_cmp_eq_u64 s[42:43], 0
	s_mov_b64 s[42:43], s[6:7]
	s_cselect_b64 s[44:45], -1, 0
	v_lshl_add_u64 v[14:15], v[14:15], 0, 4
	v_lshl_add_u64 v[16:17], v[16:17], 0, 4
	s_waitcnt vmcnt(0)
	v_cmp_ne_u32_e64 s[6:7], v18, v19
	s_or_b64 s[6:7], s[6:7], s[44:45]
	s_and_b64 s[6:7], exec, s[6:7]
	v_cmp_eq_u32_e32 vcc, v18, v19
	s_or_b64 s[18:19], s[6:7], s[18:19]
	s_andn2_b64 s[6:7], s[40:41], exec
	s_and_b64 s[40:41], vcc, exec
	s_or_b64 s[40:41], s[6:7], s[40:41]
	s_andn2_b64 exec, exec, s[18:19]
	s_cbranch_execnz .LBB1573_72
; %bb.73:
	s_or_b64 exec, exec, s[18:19]
	s_xor_b64 s[6:7], s[40:41], -1
.LBB1573_74:
	s_and_b64 s[18:19], s[6:7], exec
.LBB1573_75:
	s_or_b64 exec, exec, s[38:39]
	v_cmp_ne_u32_e32 vcc, 0, v0
	s_waitcnt lgkmcnt(0)
	v_mov_b64_e32 v[14:15], s[10:11]
	s_barrier
	s_and_saveexec_b64 s[6:7], vcc
; %bb.76:
	v_add_u32_e32 v14, -8, v21
	ds_read_b64 v[14:15], v14
; %bb.77:
	s_or_b64 exec, exec, s[6:7]
	v_cndmask_b32_e64 v17, 0, 1, s[14:15]
	v_cndmask_b32_e64 v16, 0, 1, s[36:37]
	;; [unrolled: 1-line block ×3, first 2 shown]
	v_lshlrev_b16_e32 v17, 8, v17
	v_cmp_gt_u32_e32 vcc, s3, v22
	v_lshlrev_b16_e32 v18, 8, v18
	v_or_b32_sdwa v19, v16, v17 dst_sel:WORD_1 dst_unused:UNUSED_PAD src0_sel:DWORD src1_sel:DWORD
	s_mov_b64 s[6:7], 0
	s_and_saveexec_b64 s[10:11], vcc
	s_cbranch_execz .LBB1573_83
; %bb.78:
	s_and_b64 vcc, exec, s[4:5]
	s_mov_b64 s[4:5], 0
	s_cbranch_vccnz .LBB1573_82
; %bb.79:
	s_waitcnt lgkmcnt(0)
	v_mul_lo_u32 v16, v15, s30
	v_mul_lo_u32 v17, v14, s31
	v_mad_u64_u32 v[14:15], s[4:5], v14, s30, 0
	v_add3_u32 v15, v15, v17, v16
	v_mul_lo_u32 v21, v7, s30
	v_mul_lo_u32 v23, v6, s31
	v_mad_u64_u32 v[16:17], s[4:5], v6, s30, 0
	v_add3_u32 v17, v17, v23, v21
	s_add_u32 s18, s30, -1
	v_lshl_add_u64 v[14:15], v[14:15], 2, s[20:21]
	v_lshl_add_u64 v[16:17], v[16:17], 2, s[20:21]
	s_addc_u32 s19, s31, -1
                                        ; implicit-def: $sgpr14_sgpr15
.LBB1573_80:                            ; =>This Inner Loop Header: Depth=1
	global_load_dword v21, v[14:15], off
	global_load_dword v23, v[16:17], off
	s_add_u32 s4, s18, -1
	s_addc_u32 s5, s19, -1
	s_cmp_eq_u64 s[18:19], 0
	s_mov_b64 s[18:19], s[4:5]
	s_cselect_b64 s[36:37], -1, 0
	v_lshl_add_u64 v[14:15], v[14:15], 0, 4
	v_lshl_add_u64 v[16:17], v[16:17], 0, 4
	s_waitcnt vmcnt(0)
	v_cmp_ne_u32_e64 s[4:5], v21, v23
	s_or_b64 s[4:5], s[4:5], s[36:37]
	s_and_b64 s[4:5], exec, s[4:5]
	v_cmp_eq_u32_e32 vcc, v21, v23
	s_or_b64 s[6:7], s[4:5], s[6:7]
	s_andn2_b64 s[4:5], s[14:15], exec
	s_and_b64 s[14:15], vcc, exec
	s_or_b64 s[14:15], s[4:5], s[14:15]
	s_andn2_b64 exec, exec, s[6:7]
	s_cbranch_execnz .LBB1573_80
; %bb.81:
	s_or_b64 exec, exec, s[6:7]
	s_xor_b64 s[4:5], s[14:15], -1
.LBB1573_82:
	s_and_b64 s[6:7], s[4:5], exec
.LBB1573_83:
	s_or_b64 exec, exec, s[10:11]
	v_cndmask_b32_e64 v32, 0, 1, s[12:13]
	s_waitcnt lgkmcnt(0)
	v_or_b32_e32 v15, v18, v19
.LBB1573_84:
	s_waitcnt lgkmcnt(0)
	s_mov_b64 s[10:11], -1
	s_cbranch_execnz .LBB1573_41
.LBB1573_85:
	v_lshlrev_b32_e32 v14, 5, v0
	v_sub_u32_e32 v23, v20, v14
	s_mov_b64 s[6:7], 0
	v_cmp_gt_i64_e64 s[12:13], s[30:31], 0
	s_and_b64 vcc, exec, s[34:35]
	ds_write_b64 v23, v[12:13]
	s_cbranch_vccz .LBB1573_96
; %bb.86:
	v_cndmask_b32_e64 v14, 0, 1, s[12:13]
	v_cmp_ne_u32_e64 s[4:5], 1, v14
	s_andn2_b64 vcc, exec, s[12:13]
	s_cbranch_vccnz .LBB1573_97
; %bb.87:
	v_mul_lo_u32 v16, v5, s30
	v_mul_lo_u32 v17, v4, s31
	v_mad_u64_u32 v[14:15], s[6:7], v4, s30, 0
	v_add3_u32 v15, v15, v17, v16
	v_mul_lo_u32 v18, v13, s30
	v_mul_lo_u32 v19, v12, s31
	v_mad_u64_u32 v[16:17], s[6:7], v12, s30, 0
	s_add_u32 s18, s30, -1
	v_lshl_add_u64 v[14:15], v[14:15], 2, s[20:21]
	v_add3_u32 v17, v17, v19, v18
	s_addc_u32 s19, s31, -1
	v_lshl_add_u64 v[16:17], v[16:17], 2, s[20:21]
	s_mov_b64 s[36:37], 0
	s_mov_b64 s[38:39], s[18:19]
	v_mov_b64_e32 v[18:19], v[14:15]
                                        ; implicit-def: $sgpr14_sgpr15
.LBB1573_88:                            ; =>This Inner Loop Header: Depth=1
	global_load_dword v20, v[18:19], off
	global_load_dword v21, v[16:17], off
	s_add_u32 s6, s38, -1
	s_addc_u32 s7, s39, -1
	s_cmp_eq_u64 s[38:39], 0
	s_mov_b64 s[38:39], s[6:7]
	s_cselect_b64 s[40:41], -1, 0
	v_lshl_add_u64 v[18:19], v[18:19], 0, 4
	v_lshl_add_u64 v[16:17], v[16:17], 0, 4
	s_waitcnt vmcnt(0)
	v_cmp_ne_u32_e64 s[6:7], v20, v21
	s_or_b64 s[6:7], s[6:7], s[40:41]
	s_and_b64 s[6:7], exec, s[6:7]
	v_cmp_eq_u32_e32 vcc, v20, v21
	s_or_b64 s[36:37], s[6:7], s[36:37]
	s_andn2_b64 s[6:7], s[14:15], exec
	s_and_b64 s[14:15], vcc, exec
	s_or_b64 s[14:15], s[6:7], s[14:15]
	s_andn2_b64 exec, exec, s[36:37]
	s_cbranch_execnz .LBB1573_88
; %bb.89:
	s_or_b64 exec, exec, s[36:37]
	v_mul_lo_u32 v18, v3, s30
	v_mul_lo_u32 v19, v2, s31
	v_mad_u64_u32 v[16:17], s[6:7], v2, s30, 0
	v_add3_u32 v17, v17, v19, v18
	v_lshl_add_u64 v[16:17], v[16:17], 2, s[20:21]
	s_mov_b64 s[38:39], 0
	s_mov_b64 s[40:41], s[18:19]
	v_mov_b64_e32 v[18:19], v[16:17]
                                        ; implicit-def: $sgpr36_sgpr37
.LBB1573_90:                            ; =>This Inner Loop Header: Depth=1
	global_load_dword v20, v[18:19], off
	global_load_dword v21, v[14:15], off
	s_add_u32 s6, s40, -1
	s_addc_u32 s7, s41, -1
	s_cmp_eq_u64 s[40:41], 0
	s_mov_b64 s[40:41], s[6:7]
	s_cselect_b64 s[42:43], -1, 0
	v_lshl_add_u64 v[18:19], v[18:19], 0, 4
	v_lshl_add_u64 v[14:15], v[14:15], 0, 4
	s_waitcnt vmcnt(0)
	v_cmp_ne_u32_e64 s[6:7], v20, v21
	s_or_b64 s[6:7], s[6:7], s[42:43]
	s_and_b64 s[6:7], exec, s[6:7]
	v_cmp_eq_u32_e32 vcc, v20, v21
	s_or_b64 s[38:39], s[6:7], s[38:39]
	s_andn2_b64 s[6:7], s[36:37], exec
	s_and_b64 s[36:37], vcc, exec
	s_or_b64 s[36:37], s[6:7], s[36:37]
	s_andn2_b64 exec, exec, s[38:39]
	s_cbranch_execnz .LBB1573_90
; %bb.91:
	s_or_b64 exec, exec, s[38:39]
	v_mul_lo_u32 v18, v9, s30
	v_mul_lo_u32 v19, v8, s31
	v_mad_u64_u32 v[14:15], s[6:7], v8, s30, 0
	v_add3_u32 v15, v15, v19, v18
	v_lshl_add_u64 v[14:15], v[14:15], 2, s[20:21]
	s_mov_b64 s[40:41], 0
	s_mov_b64 s[42:43], s[18:19]
	v_mov_b64_e32 v[18:19], v[14:15]
                                        ; implicit-def: $sgpr38_sgpr39
.LBB1573_92:                            ; =>This Inner Loop Header: Depth=1
	global_load_dword v20, v[18:19], off
	global_load_dword v21, v[16:17], off
	s_add_u32 s6, s42, -1
	s_addc_u32 s7, s43, -1
	s_cmp_eq_u64 s[42:43], 0
	s_mov_b64 s[42:43], s[6:7]
	s_cselect_b64 s[44:45], -1, 0
	v_lshl_add_u64 v[18:19], v[18:19], 0, 4
	v_lshl_add_u64 v[16:17], v[16:17], 0, 4
	s_waitcnt vmcnt(0)
	v_cmp_ne_u32_e64 s[6:7], v20, v21
	s_or_b64 s[6:7], s[6:7], s[44:45]
	s_and_b64 s[6:7], exec, s[6:7]
	v_cmp_eq_u32_e32 vcc, v20, v21
	s_or_b64 s[40:41], s[6:7], s[40:41]
	s_andn2_b64 s[6:7], s[38:39], exec
	s_and_b64 s[38:39], vcc, exec
	s_or_b64 s[38:39], s[6:7], s[38:39]
	s_andn2_b64 exec, exec, s[40:41]
	s_cbranch_execnz .LBB1573_92
; %bb.93:
	s_or_b64 exec, exec, s[40:41]
	v_mul_lo_u32 v18, v7, s30
	v_mul_lo_u32 v19, v6, s31
	v_mad_u64_u32 v[16:17], s[6:7], v6, s30, 0
	v_add3_u32 v17, v17, v19, v18
	v_lshl_add_u64 v[16:17], v[16:17], 2, s[20:21]
	s_mov_b64 s[42:43], 0
                                        ; implicit-def: $sgpr40_sgpr41
.LBB1573_94:                            ; =>This Inner Loop Header: Depth=1
	global_load_dword v18, v[16:17], off
	global_load_dword v19, v[14:15], off
	s_add_u32 s6, s18, -1
	s_addc_u32 s7, s19, -1
	s_cmp_eq_u64 s[18:19], 0
	s_mov_b64 s[18:19], s[6:7]
	s_cselect_b64 s[44:45], -1, 0
	v_lshl_add_u64 v[16:17], v[16:17], 0, 4
	v_lshl_add_u64 v[14:15], v[14:15], 0, 4
	s_waitcnt vmcnt(0)
	v_cmp_ne_u32_e64 s[6:7], v18, v19
	s_or_b64 s[6:7], s[6:7], s[44:45]
	s_and_b64 s[6:7], exec, s[6:7]
	v_cmp_eq_u32_e32 vcc, v18, v19
	s_or_b64 s[42:43], s[6:7], s[42:43]
	s_andn2_b64 s[6:7], s[40:41], exec
	s_and_b64 s[40:41], vcc, exec
	s_or_b64 s[40:41], s[6:7], s[40:41]
	s_andn2_b64 exec, exec, s[42:43]
	s_cbranch_execnz .LBB1573_94
; %bb.95:
	s_or_b64 exec, exec, s[42:43]
	s_xor_b64 s[6:7], s[14:15], -1
	v_cndmask_b32_e64 v32, 0, 1, s[6:7]
	s_xor_b64 s[6:7], s[36:37], -1
	v_cndmask_b32_e64 v14, 0, 1, s[6:7]
	v_lshlrev_b16_e32 v14, 8, v14
	v_mov_b32_e32 v15, 8
	s_xor_b64 s[14:15], s[38:39], -1
	v_lshrrev_b32_sdwa v14, v15, v14 dst_sel:BYTE_1 dst_unused:UNUSED_PAD src0_sel:DWORD src1_sel:DWORD
	v_cndmask_b32_e64 v15, 0, 1, s[14:15]
	s_xor_b64 s[6:7], s[40:41], -1
	v_or_b32_sdwa v14, v15, v14 dst_sel:WORD_1 dst_unused:UNUSED_PAD src0_sel:DWORD src1_sel:DWORD
	s_branch .LBB1573_98
.LBB1573_96:
                                        ; implicit-def: $sgpr6_sgpr7
                                        ; implicit-def: $vgpr32
                                        ; implicit-def: $vgpr15
                                        ; implicit-def: $vgpr16
                                        ; implicit-def: $vgpr34
                                        ; implicit-def: $vgpr33
                                        ; implicit-def: $vgpr14
	s_cbranch_execnz .LBB1573_105
	s_branch .LBB1573_138
.LBB1573_97:
	v_mov_b32_e32 v14, 0
	v_mov_b32_e32 v32, 0
.LBB1573_98:
	v_lshrrev_b32_e32 v33, 16, v14
	v_lshrrev_b32_e32 v14, 24, v14
	v_cndmask_b32_e64 v34, 0, 1, s[6:7]
	v_mov_b32_e32 v16, 1
	v_cmp_ne_u32_e32 vcc, 0, v0
	s_waitcnt lgkmcnt(0)
	s_barrier
                                        ; implicit-def: $sgpr6_sgpr7
                                        ; implicit-def: $vgpr15
	s_and_saveexec_b64 s[14:15], vcc
	s_xor_b64 s[14:15], exec, s[14:15]
	s_cbranch_execz .LBB1573_104
; %bb.99:
	v_lshlrev_b16_e32 v15, 8, v14
	s_movk_i32 s6, 0xff
	v_bitop3_b16 v15, v33, v15, s6 bitop3:0xec
	v_lshlrev_b16_e32 v17, 8, v34
	v_lshlrev_b32_e32 v15, 16, v15
	v_or_b32_e32 v17, 1, v17
	v_or_b32_sdwa v15, v17, v15 dst_sel:DWORD dst_unused:UNUSED_PAD src0_sel:WORD_0 src1_sel:DWORD
	s_mov_b32 s33, 0x3020104
	s_and_b64 vcc, exec, s[4:5]
	s_mov_b64 s[6:7], 0
	s_cbranch_vccnz .LBB1573_103
; %bb.100:
	v_add_u32_e32 v17, -8, v23
	ds_read_b64 v[18:19], v17
	v_mul_lo_u32 v17, v7, s30
	v_mul_lo_u32 v24, v6, s31
	s_add_u32 s36, s30, -1
	s_addc_u32 s37, s31, -1
	s_waitcnt lgkmcnt(0)
	v_mul_lo_u32 v20, v19, s30
	v_mul_lo_u32 v21, v18, s31
	v_mad_u64_u32 v[18:19], s[4:5], v18, s30, 0
	v_add3_u32 v19, v19, v21, v20
	v_mad_u64_u32 v[20:21], s[4:5], v6, s30, 0
	v_add3_u32 v21, v21, v24, v17
	v_lshl_add_u64 v[18:19], v[18:19], 2, s[20:21]
	v_lshl_add_u64 v[20:21], v[20:21], 2, s[20:21]
                                        ; implicit-def: $sgpr18_sgpr19
.LBB1573_101:                           ; =>This Inner Loop Header: Depth=1
	global_load_dword v17, v[18:19], off
	global_load_dword v24, v[20:21], off
	s_add_u32 s4, s36, -1
	s_addc_u32 s5, s37, -1
	s_cmp_eq_u64 s[36:37], 0
	s_mov_b64 s[36:37], s[4:5]
	s_cselect_b64 s[38:39], -1, 0
	v_lshl_add_u64 v[18:19], v[18:19], 0, 4
	v_lshl_add_u64 v[20:21], v[20:21], 0, 4
	s_waitcnt vmcnt(0)
	v_cmp_ne_u32_e64 s[4:5], v17, v24
	s_or_b64 s[4:5], s[4:5], s[38:39]
	s_and_b64 s[4:5], exec, s[4:5]
	v_cmp_eq_u32_e32 vcc, v17, v24
	s_or_b64 s[6:7], s[4:5], s[6:7]
	s_andn2_b64 s[4:5], s[18:19], exec
	s_and_b64 s[18:19], vcc, exec
	s_or_b64 s[18:19], s[4:5], s[18:19]
	s_andn2_b64 exec, exec, s[6:7]
	s_cbranch_execnz .LBB1573_101
; %bb.102:
	s_or_b64 exec, exec, s[6:7]
	s_xor_b64 s[6:7], s[18:19], -1
.LBB1573_103:
	v_perm_b32 v15, v15, v15, s33
	s_or_b64 s[10:11], s[10:11], exec
.LBB1573_104:
	s_or_b64 exec, exec, s[14:15]
	s_branch .LBB1573_138
.LBB1573_105:
	v_add_u32_e32 v14, 4, v22
	v_cmp_gt_u32_e32 vcc, s3, v14
	s_mov_b64 s[6:7], 0
	s_mov_b64 s[14:15], 0
	s_and_saveexec_b64 s[18:19], vcc
	s_cbranch_execz .LBB1573_111
; %bb.106:
	s_andn2_b64 vcc, exec, s[12:13]
	s_mov_b64 s[4:5], 0
	s_cbranch_vccnz .LBB1573_110
; %bb.107:
	v_mul_lo_u32 v16, v5, s30
	v_mul_lo_u32 v17, v4, s31
	v_mad_u64_u32 v[14:15], s[4:5], v4, s30, 0
	v_add3_u32 v15, v15, v17, v16
	v_mul_lo_u32 v18, v13, s30
	v_mul_lo_u32 v19, v12, s31
	v_mad_u64_u32 v[16:17], s[4:5], v12, s30, 0
	v_add3_u32 v17, v17, v19, v18
	s_add_u32 s38, s30, -1
	v_lshl_add_u64 v[14:15], v[14:15], 2, s[20:21]
	v_lshl_add_u64 v[16:17], v[16:17], 2, s[20:21]
	s_addc_u32 s39, s31, -1
                                        ; implicit-def: $sgpr36_sgpr37
.LBB1573_108:                           ; =>This Inner Loop Header: Depth=1
	global_load_dword v18, v[14:15], off
	global_load_dword v19, v[16:17], off
	s_add_u32 s4, s38, -1
	s_addc_u32 s5, s39, -1
	s_cmp_eq_u64 s[38:39], 0
	s_mov_b64 s[38:39], s[4:5]
	s_cselect_b64 s[40:41], -1, 0
	v_lshl_add_u64 v[14:15], v[14:15], 0, 4
	v_lshl_add_u64 v[16:17], v[16:17], 0, 4
	s_waitcnt vmcnt(0)
	v_cmp_ne_u32_e64 s[4:5], v18, v19
	s_or_b64 s[4:5], s[4:5], s[40:41]
	s_and_b64 s[4:5], exec, s[4:5]
	v_cmp_eq_u32_e32 vcc, v18, v19
	s_or_b64 s[14:15], s[4:5], s[14:15]
	s_andn2_b64 s[4:5], s[36:37], exec
	s_and_b64 s[36:37], vcc, exec
	s_or_b64 s[36:37], s[4:5], s[36:37]
	s_andn2_b64 exec, exec, s[14:15]
	s_cbranch_execnz .LBB1573_108
; %bb.109:
	s_or_b64 exec, exec, s[14:15]
	s_xor_b64 s[4:5], s[36:37], -1
.LBB1573_110:
	s_and_b64 s[14:15], s[4:5], exec
.LBB1573_111:
	s_or_b64 exec, exec, s[18:19]
	v_add_u32_e32 v14, 3, v22
	v_cmp_gt_u32_e32 vcc, s3, v14
	s_and_saveexec_b64 s[18:19], vcc
	s_cbranch_execz .LBB1573_117
; %bb.112:
	s_andn2_b64 vcc, exec, s[12:13]
	s_mov_b64 s[4:5], 0
	s_cbranch_vccnz .LBB1573_116
; %bb.113:
	v_mul_lo_u32 v16, v3, s30
	v_mul_lo_u32 v17, v2, s31
	v_mad_u64_u32 v[14:15], s[4:5], v2, s30, 0
	v_add3_u32 v15, v15, v17, v16
	v_mul_lo_u32 v18, v5, s30
	v_mul_lo_u32 v19, v4, s31
	v_mad_u64_u32 v[16:17], s[4:5], v4, s30, 0
	v_add3_u32 v17, v17, v19, v18
	s_add_u32 s38, s30, -1
	v_lshl_add_u64 v[14:15], v[14:15], 2, s[20:21]
	v_lshl_add_u64 v[16:17], v[16:17], 2, s[20:21]
	s_addc_u32 s39, s31, -1
	s_mov_b64 s[6:7], 0
                                        ; implicit-def: $sgpr36_sgpr37
.LBB1573_114:                           ; =>This Inner Loop Header: Depth=1
	global_load_dword v18, v[14:15], off
	global_load_dword v19, v[16:17], off
	s_add_u32 s4, s38, -1
	s_addc_u32 s5, s39, -1
	s_cmp_eq_u64 s[38:39], 0
	s_mov_b64 s[38:39], s[4:5]
	s_cselect_b64 s[40:41], -1, 0
	v_lshl_add_u64 v[14:15], v[14:15], 0, 4
	v_lshl_add_u64 v[16:17], v[16:17], 0, 4
	s_waitcnt vmcnt(0)
	v_cmp_ne_u32_e64 s[4:5], v18, v19
	s_or_b64 s[4:5], s[4:5], s[40:41]
	s_and_b64 s[4:5], exec, s[4:5]
	v_cmp_eq_u32_e32 vcc, v18, v19
	s_or_b64 s[6:7], s[4:5], s[6:7]
	s_andn2_b64 s[4:5], s[36:37], exec
	s_and_b64 s[36:37], vcc, exec
	s_or_b64 s[36:37], s[4:5], s[36:37]
	s_andn2_b64 exec, exec, s[6:7]
	s_cbranch_execnz .LBB1573_114
; %bb.115:
	s_or_b64 exec, exec, s[6:7]
	s_xor_b64 s[4:5], s[36:37], -1
.LBB1573_116:
	s_and_b64 s[6:7], s[4:5], exec
.LBB1573_117:
	s_or_b64 exec, exec, s[18:19]
	v_add_u32_e32 v14, 2, v22
	v_cmp_gt_u32_e32 vcc, s3, v14
	s_mov_b64 s[18:19], 0
	s_mov_b64 s[36:37], 0
	s_and_saveexec_b64 s[38:39], vcc
	s_cbranch_execz .LBB1573_123
; %bb.118:
	s_andn2_b64 vcc, exec, s[12:13]
	s_mov_b64 s[4:5], 0
	s_cbranch_vccnz .LBB1573_122
; %bb.119:
	v_mul_lo_u32 v16, v9, s30
	v_mul_lo_u32 v17, v8, s31
	v_mad_u64_u32 v[14:15], s[4:5], v8, s30, 0
	v_add3_u32 v15, v15, v17, v16
	v_mul_lo_u32 v18, v3, s30
	v_mul_lo_u32 v19, v2, s31
	v_mad_u64_u32 v[16:17], s[4:5], v2, s30, 0
	v_add3_u32 v17, v17, v19, v18
	s_add_u32 s42, s30, -1
	v_lshl_add_u64 v[14:15], v[14:15], 2, s[20:21]
	v_lshl_add_u64 v[16:17], v[16:17], 2, s[20:21]
	s_addc_u32 s43, s31, -1
                                        ; implicit-def: $sgpr40_sgpr41
.LBB1573_120:                           ; =>This Inner Loop Header: Depth=1
	global_load_dword v18, v[14:15], off
	global_load_dword v19, v[16:17], off
	s_add_u32 s4, s42, -1
	s_addc_u32 s5, s43, -1
	s_cmp_eq_u64 s[42:43], 0
	s_mov_b64 s[42:43], s[4:5]
	s_cselect_b64 s[44:45], -1, 0
	v_lshl_add_u64 v[14:15], v[14:15], 0, 4
	v_lshl_add_u64 v[16:17], v[16:17], 0, 4
	s_waitcnt vmcnt(0)
	v_cmp_ne_u32_e64 s[4:5], v18, v19
	s_or_b64 s[4:5], s[4:5], s[44:45]
	s_and_b64 s[4:5], exec, s[4:5]
	v_cmp_eq_u32_e32 vcc, v18, v19
	s_or_b64 s[36:37], s[4:5], s[36:37]
	s_andn2_b64 s[4:5], s[40:41], exec
	s_and_b64 s[40:41], vcc, exec
	s_or_b64 s[40:41], s[4:5], s[40:41]
	s_andn2_b64 exec, exec, s[36:37]
	s_cbranch_execnz .LBB1573_120
; %bb.121:
	s_or_b64 exec, exec, s[36:37]
	s_xor_b64 s[4:5], s[40:41], -1
.LBB1573_122:
	s_and_b64 s[36:37], s[4:5], exec
.LBB1573_123:
	s_or_b64 exec, exec, s[38:39]
	v_add_u32_e32 v14, 1, v22
	v_cmp_gt_u32_e32 vcc, s3, v14
	s_and_saveexec_b64 s[38:39], vcc
	s_cbranch_execz .LBB1573_129
; %bb.124:
	s_andn2_b64 vcc, exec, s[12:13]
	s_mov_b64 s[4:5], 0
	s_cbranch_vccnz .LBB1573_128
; %bb.125:
	v_mul_lo_u32 v16, v7, s30
	v_mul_lo_u32 v17, v6, s31
	v_mad_u64_u32 v[14:15], s[4:5], v6, s30, 0
	v_add3_u32 v15, v15, v17, v16
	v_mul_lo_u32 v18, v9, s30
	v_mul_lo_u32 v19, v8, s31
	v_mad_u64_u32 v[16:17], s[4:5], v8, s30, 0
	v_add3_u32 v17, v17, v19, v18
	s_add_u32 s42, s30, -1
	v_lshl_add_u64 v[14:15], v[14:15], 2, s[20:21]
	v_lshl_add_u64 v[16:17], v[16:17], 2, s[20:21]
	s_addc_u32 s43, s31, -1
	s_mov_b64 s[18:19], 0
                                        ; implicit-def: $sgpr40_sgpr41
.LBB1573_126:                           ; =>This Inner Loop Header: Depth=1
	global_load_dword v18, v[14:15], off
	global_load_dword v19, v[16:17], off
	s_add_u32 s4, s42, -1
	s_addc_u32 s5, s43, -1
	s_cmp_eq_u64 s[42:43], 0
	s_mov_b64 s[42:43], s[4:5]
	s_cselect_b64 s[44:45], -1, 0
	v_lshl_add_u64 v[14:15], v[14:15], 0, 4
	v_lshl_add_u64 v[16:17], v[16:17], 0, 4
	s_waitcnt vmcnt(0)
	v_cmp_ne_u32_e64 s[4:5], v18, v19
	s_or_b64 s[4:5], s[4:5], s[44:45]
	s_and_b64 s[4:5], exec, s[4:5]
	v_cmp_eq_u32_e32 vcc, v18, v19
	s_or_b64 s[18:19], s[4:5], s[18:19]
	s_andn2_b64 s[4:5], s[40:41], exec
	s_and_b64 s[40:41], vcc, exec
	s_or_b64 s[40:41], s[4:5], s[40:41]
	s_andn2_b64 exec, exec, s[18:19]
	s_cbranch_execnz .LBB1573_126
; %bb.127:
	s_or_b64 exec, exec, s[18:19]
	s_xor_b64 s[4:5], s[40:41], -1
.LBB1573_128:
	s_and_b64 s[18:19], s[4:5], exec
.LBB1573_129:
	s_or_b64 exec, exec, s[38:39]
	v_cndmask_b32_e64 v32, 0, 1, s[14:15]
	v_cndmask_b32_e64 v33, 0, 1, s[36:37]
	;; [unrolled: 1-line block ×4, first 2 shown]
	v_mov_b32_e32 v16, 1
	v_cmp_ne_u32_e32 vcc, 0, v0
	s_waitcnt lgkmcnt(0)
	s_barrier
                                        ; implicit-def: $sgpr6_sgpr7
                                        ; implicit-def: $vgpr15
	s_and_saveexec_b64 s[14:15], vcc
	s_cbranch_execz .LBB1573_137
; %bb.130:
	v_lshlrev_b16_e32 v15, 8, v34
	v_lshlrev_b16_e32 v17, 8, v14
	v_or_b32_e32 v15, 1, v15
	v_or_b32_sdwa v17, v33, v17 dst_sel:WORD_1 dst_unused:UNUSED_PAD src0_sel:DWORD src1_sel:DWORD
	v_cmp_gt_u32_e32 vcc, s3, v22
	v_or_b32_sdwa v15, v15, v17 dst_sel:DWORD dst_unused:UNUSED_PAD src0_sel:WORD_0 src1_sel:DWORD
	s_mov_b32 s33, 0x3020104
	s_mov_b64 s[6:7], 0
	s_and_saveexec_b64 s[18:19], vcc
	s_cbranch_execz .LBB1573_136
; %bb.131:
	s_andn2_b64 vcc, exec, s[12:13]
	s_mov_b64 s[4:5], 0
	s_cbranch_vccnz .LBB1573_135
; %bb.132:
	v_add_u32_e32 v17, -8, v23
	ds_read_b64 v[18:19], v17
	v_mul_lo_u32 v17, v7, s30
	v_mul_lo_u32 v23, v6, s31
                                        ; implicit-def: $sgpr12_sgpr13
	s_waitcnt lgkmcnt(0)
	v_mul_lo_u32 v20, v19, s30
	v_mul_lo_u32 v21, v18, s31
	v_mad_u64_u32 v[18:19], s[4:5], v18, s30, 0
	v_add3_u32 v19, v19, v21, v20
	v_mad_u64_u32 v[20:21], s[4:5], v6, s30, 0
	v_add3_u32 v21, v21, v23, v17
	v_lshl_add_u64 v[18:19], v[18:19], 2, s[20:21]
	v_lshl_add_u64 v[20:21], v[20:21], 2, s[20:21]
	s_add_u32 s20, s30, -1
	s_addc_u32 s21, s31, -1
.LBB1573_133:                           ; =>This Inner Loop Header: Depth=1
	global_load_dword v17, v[18:19], off
	global_load_dword v23, v[20:21], off
	s_add_u32 s4, s20, -1
	s_addc_u32 s5, s21, -1
	s_cmp_eq_u64 s[20:21], 0
	s_mov_b64 s[20:21], s[4:5]
	s_cselect_b64 s[30:31], -1, 0
	v_lshl_add_u64 v[18:19], v[18:19], 0, 4
	v_lshl_add_u64 v[20:21], v[20:21], 0, 4
	s_waitcnt vmcnt(0)
	v_cmp_ne_u32_e64 s[4:5], v17, v23
	s_or_b64 s[4:5], s[4:5], s[30:31]
	s_and_b64 s[4:5], exec, s[4:5]
	v_cmp_eq_u32_e32 vcc, v17, v23
	s_or_b64 s[6:7], s[4:5], s[6:7]
	s_andn2_b64 s[4:5], s[12:13], exec
	s_and_b64 s[12:13], vcc, exec
	s_or_b64 s[12:13], s[4:5], s[12:13]
	s_andn2_b64 exec, exec, s[6:7]
	s_cbranch_execnz .LBB1573_133
; %bb.134:
	s_or_b64 exec, exec, s[6:7]
	s_xor_b64 s[4:5], s[12:13], -1
.LBB1573_135:
	s_and_b64 s[6:7], s[4:5], exec
.LBB1573_136:
	s_or_b64 exec, exec, s[18:19]
	v_perm_b32 v15, v15, v15, s33
	s_or_b64 s[10:11], s[10:11], exec
.LBB1573_137:
	s_or_b64 exec, exec, s[14:15]
.LBB1573_138:
	s_and_saveexec_b64 s[4:5], s[10:11]
; %bb.139:
	v_lshrrev_b32_e32 v14, 24, v15
	v_lshrrev_b32_e32 v33, 16, v15
	;; [unrolled: 1-line block ×3, first 2 shown]
	v_cndmask_b32_e64 v16, 0, 1, s[6:7]
; %bb.140:
	s_or_b64 exec, exec, s[4:5]
	s_andn2_b64 vcc, exec, s[8:9]
	s_cbranch_vccnz .LBB1573_144
; %bb.141:
	s_mov_b32 s4, 0xc0c0004
	v_perm_b32 v14, v33, v14, s4
	v_perm_b32 v15, v16, v34, s4
	v_lshlrev_b32_e32 v14, 16, v14
	v_or_b32_e32 v15, v15, v14
	v_cmp_gt_u32_e32 vcc, s3, v22
	v_add_u32_e32 v16, 1, v22
	s_mov_b32 s4, 0x40c0100
	v_cndmask_b32_e32 v14, v14, v15, vcc
	v_and_b32_e32 v14, 0xffff00ff, v14
	v_cmp_gt_u32_e32 vcc, s3, v16
	v_add_u32_e32 v16, 2, v22
	v_and_b32_e32 v32, 0xff, v32
	v_cndmask_b32_e32 v14, v14, v15, vcc
	v_lshrrev_b32_e32 v18, 24, v14
	v_perm_b32 v14, v18, v14, s4
	v_cmp_gt_u32_e32 vcc, s3, v16
	v_add_u32_e32 v16, 3, v22
	v_and_b32_e32 v17, 0xffff, v32
	v_cndmask_b32_e32 v14, v14, v15, vcc
	v_and_b32_e32 v14, 0xffffff, v14
	v_cmp_gt_u32_e32 vcc, s3, v16
	s_nop 1
	v_cndmask_b32_e32 v16, v14, v15, vcc
	v_lshrrev_b64 v[14:15], 24, v[16:17]
	v_add_u32_e32 v15, 4, v22
	v_lshrrev_b32_e32 v33, 16, v16
	v_lshrrev_b32_e32 v34, 8, v16
	v_cmp_le_u32_e32 vcc, s3, v15
	s_and_saveexec_b64 s[4:5], vcc
; %bb.142:
	v_mov_b32_e32 v32, 0
; %bb.143:
	s_or_b64 exec, exec, s[4:5]
.LBB1573_144:
	v_and_b32_e32 v15, 0xff, v16
	v_and_b32_e32 v17, 0xff, v34
	;; [unrolled: 1-line block ×5, first 2 shown]
	v_add3_u32 v19, v17, v15, v29
	v_add3_u32 v37, v19, v31, v18
	v_mbcnt_lo_u32_b32 v18, -1, 0
	v_mbcnt_hi_u32_b32 v35, -1, v18
	v_and_b32_e32 v18, 15, v35
	v_cmp_eq_u32_e64 s[14:15], 0, v18
	v_cmp_lt_u32_e64 s[12:13], 1, v18
	v_cmp_lt_u32_e64 s[10:11], 3, v18
	;; [unrolled: 1-line block ×3, first 2 shown]
	v_and_b32_e32 v18, 16, v35
	v_cmp_eq_u32_e64 s[6:7], 0, v18
	v_or_b32_e32 v18, 63, v0
	v_cmp_lt_u32_e64 s[18:19], 31, v35
	v_lshrrev_b32_e32 v36, 6, v0
	v_cmp_eq_u32_e64 s[4:5], v0, v18
	s_and_b64 vcc, exec, s[16:17]
	s_waitcnt lgkmcnt(0)
	s_barrier
	s_cbranch_vccz .LBB1573_166
; %bb.145:
	v_mov_b32_dpp v18, v37 row_shr:1 row_mask:0xf bank_mask:0xf
	v_cndmask_b32_e64 v18, v18, 0, s[14:15]
	v_add_u32_e32 v18, v18, v37
	s_nop 1
	v_mov_b32_dpp v19, v18 row_shr:2 row_mask:0xf bank_mask:0xf
	v_cndmask_b32_e64 v19, 0, v19, s[12:13]
	v_add_u32_e32 v18, v18, v19
	s_nop 1
	;; [unrolled: 4-line block ×4, first 2 shown]
	v_mov_b32_dpp v19, v18 row_bcast:15 row_mask:0xf bank_mask:0xf
	v_cndmask_b32_e64 v19, v19, 0, s[6:7]
	v_add_u32_e32 v18, v18, v19
	s_nop 1
	v_mov_b32_dpp v19, v18 row_bcast:31 row_mask:0xf bank_mask:0xf
	v_cndmask_b32_e64 v19, 0, v19, s[18:19]
	v_add_u32_e32 v18, v18, v19
	s_and_saveexec_b64 s[16:17], s[4:5]
; %bb.146:
	v_lshlrev_b32_e32 v19, 2, v36
	ds_write_b32 v19, v18
; %bb.147:
	s_or_b64 exec, exec, s[16:17]
	v_cmp_gt_u32_e32 vcc, 2, v0
	s_waitcnt lgkmcnt(0)
	s_barrier
	s_and_saveexec_b64 s[16:17], vcc
	s_cbranch_execz .LBB1573_149
; %bb.148:
	v_lshlrev_b32_e32 v19, 2, v0
	ds_read_b32 v20, v19
	v_bfe_i32 v21, v35, 0, 1
	s_waitcnt lgkmcnt(0)
	v_mov_b32_dpp v22, v20 row_shr:1 row_mask:0xf bank_mask:0xf
	v_and_b32_e32 v21, v21, v22
	v_add_u32_e32 v20, v21, v20
	ds_write_b32 v19, v20
.LBB1573_149:
	s_or_b64 exec, exec, s[16:17]
	v_cmp_gt_u32_e32 vcc, 64, v0
	v_cmp_lt_u32_e64 s[16:17], 63, v0
	s_waitcnt lgkmcnt(0)
	s_barrier
                                        ; implicit-def: $vgpr28
	s_and_saveexec_b64 s[20:21], s[16:17]
	s_cbranch_execz .LBB1573_151
; %bb.150:
	v_lshl_add_u32 v19, v36, 2, -4
	ds_read_b32 v28, v19
	s_waitcnt lgkmcnt(0)
	v_add_u32_e32 v18, v28, v18
.LBB1573_151:
	s_or_b64 exec, exec, s[20:21]
	v_subrev_co_u32_e64 v19, s[16:17], 1, v35
	v_and_b32_e32 v20, 64, v35
	v_cmp_lt_i32_e64 s[20:21], v19, v20
	s_nop 1
	v_cndmask_b32_e64 v19, v19, v35, s[20:21]
	v_lshlrev_b32_e32 v19, 2, v19
	ds_bpermute_b32 v30, v19, v18
	s_and_saveexec_b64 s[20:21], vcc
	s_cbranch_execz .LBB1573_171
; %bb.152:
	v_mov_b32_e32 v25, 0
	ds_read_b32 v18, v25 offset:4
	s_and_saveexec_b64 s[30:31], s[16:17]
	s_cbranch_execz .LBB1573_154
; %bb.153:
	s_add_i32 s36, s2, 64
	s_mov_b32 s37, 0
	s_lshl_b64 s[36:37], s[36:37], 3
	s_add_u32 s36, s22, s36
	v_mov_b32_e32 v19, 1
	s_addc_u32 s37, s23, s37
	s_waitcnt lgkmcnt(0)
	global_store_dwordx2 v25, v[18:19], s[36:37] sc1
.LBB1573_154:
	s_or_b64 exec, exec, s[30:31]
	v_xad_u32 v20, v35, -1, s2
	v_add_u32_e32 v24, 64, v20
	v_lshl_add_u64 v[26:27], v[24:25], 3, s[22:23]
	global_load_dwordx2 v[22:23], v[26:27], off sc1
	s_waitcnt vmcnt(0)
	v_cmp_eq_u16_sdwa s[36:37], v23, v25 src0_sel:BYTE_0 src1_sel:DWORD
	s_and_saveexec_b64 s[30:31], s[36:37]
	s_cbranch_execz .LBB1573_158
; %bb.155:
	s_mov_b64 s[36:37], 0
	v_mov_b32_e32 v19, 0
.LBB1573_156:                           ; =>This Inner Loop Header: Depth=1
	global_load_dwordx2 v[22:23], v[26:27], off sc1
	s_waitcnt vmcnt(0)
	v_cmp_ne_u16_sdwa s[38:39], v23, v19 src0_sel:BYTE_0 src1_sel:DWORD
	s_or_b64 s[36:37], s[38:39], s[36:37]
	s_andn2_b64 exec, exec, s[36:37]
	s_cbranch_execnz .LBB1573_156
; %bb.157:
	s_or_b64 exec, exec, s[36:37]
.LBB1573_158:
	s_or_b64 exec, exec, s[30:31]
	v_and_b32_e32 v39, 63, v35
	v_mov_b32_e32 v38, 2
	v_cmp_ne_u32_e32 vcc, 63, v39
	v_cmp_eq_u16_sdwa s[30:31], v23, v38 src0_sel:BYTE_0 src1_sel:DWORD
	v_lshlrev_b64 v[24:25], v35, -1
	v_addc_co_u32_e32 v26, vcc, 0, v35, vcc
	v_and_b32_e32 v19, s31, v25
	v_lshlrev_b32_e32 v40, 2, v26
	v_or_b32_e32 v19, 0x80000000, v19
	ds_bpermute_b32 v26, v40, v22
	v_and_b32_e32 v21, s30, v24
	v_ffbl_b32_e32 v19, v19
	v_add_u32_e32 v19, 32, v19
	v_ffbl_b32_e32 v21, v21
	v_min_u32_e32 v19, v21, v19
	v_cmp_lt_u32_e32 vcc, v39, v19
	v_add_u32_e32 v42, 2, v39
	v_add_u32_e32 v44, 4, v39
	s_waitcnt lgkmcnt(0)
	v_cndmask_b32_e32 v21, 0, v26, vcc
	v_cmp_gt_u32_e32 vcc, 62, v39
	v_add_u32_e32 v21, v21, v22
	v_add_u32_e32 v46, 8, v39
	v_cndmask_b32_e64 v22, 0, 2, vcc
	v_add_lshl_u32 v41, v22, v35, 2
	ds_bpermute_b32 v22, v41, v21
	v_cmp_le_u32_e32 vcc, v42, v19
	v_add_u32_e32 v48, 16, v39
	v_add_u32_e32 v50, 32, v39
	s_waitcnt lgkmcnt(0)
	v_cndmask_b32_e32 v22, 0, v22, vcc
	v_cmp_gt_u32_e32 vcc, 60, v39
	v_add_u32_e32 v21, v21, v22
	s_nop 0
	v_cndmask_b32_e64 v22, 0, 4, vcc
	v_add_lshl_u32 v43, v22, v35, 2
	ds_bpermute_b32 v22, v43, v21
	v_cmp_le_u32_e32 vcc, v44, v19
	s_waitcnt lgkmcnt(0)
	s_nop 0
	v_cndmask_b32_e32 v22, 0, v22, vcc
	v_cmp_gt_u32_e32 vcc, 56, v39
	v_add_u32_e32 v21, v21, v22
	s_nop 0
	v_cndmask_b32_e64 v22, 0, 8, vcc
	v_add_lshl_u32 v45, v22, v35, 2
	ds_bpermute_b32 v22, v45, v21
	v_cmp_le_u32_e32 vcc, v46, v19
	s_waitcnt lgkmcnt(0)
	s_nop 0
	v_cndmask_b32_e32 v22, 0, v22, vcc
	v_cmp_gt_u32_e32 vcc, 48, v39
	v_add_u32_e32 v21, v21, v22
	s_nop 0
	v_cndmask_b32_e64 v22, 0, 16, vcc
	v_add_lshl_u32 v47, v22, v35, 2
	ds_bpermute_b32 v22, v47, v21
	v_cmp_le_u32_e32 vcc, v48, v19
	s_waitcnt lgkmcnt(0)
	s_nop 0
	v_cndmask_b32_e32 v22, 0, v22, vcc
	v_add_u32_e32 v21, v21, v22
	v_mov_b32_e32 v22, 0x80
	v_lshl_or_b32 v49, v35, 2, v22
	ds_bpermute_b32 v22, v49, v21
	v_cmp_le_u32_e32 vcc, v50, v19
	s_waitcnt lgkmcnt(0)
	s_nop 0
	v_cndmask_b32_e32 v19, 0, v22, vcc
	v_add_u32_e32 v22, v21, v19
	v_mov_b32_e32 v21, 0
	s_branch .LBB1573_161
.LBB1573_159:                           ;   in Loop: Header=BB1573_161 Depth=1
	s_or_b64 exec, exec, s[30:31]
	v_cmp_eq_u16_sdwa s[30:31], v23, v38 src0_sel:BYTE_0 src1_sel:DWORD
	ds_bpermute_b32 v51, v40, v22
	v_subrev_u32_e32 v20, 64, v20
	v_and_b32_e32 v26, s31, v25
	v_or_b32_e32 v26, 0x80000000, v26
	v_and_b32_e32 v27, s30, v24
	v_ffbl_b32_e32 v26, v26
	v_add_u32_e32 v26, 32, v26
	v_ffbl_b32_e32 v27, v27
	v_min_u32_e32 v26, v27, v26
	v_cmp_lt_u32_e32 vcc, v39, v26
	s_mov_b64 s[30:31], 0
	s_waitcnt lgkmcnt(0)
	v_cndmask_b32_e32 v27, 0, v51, vcc
	v_add_u32_e32 v22, v27, v22
	ds_bpermute_b32 v27, v41, v22
	v_cmp_le_u32_e32 vcc, v42, v26
	s_waitcnt lgkmcnt(0)
	s_nop 0
	v_cndmask_b32_e32 v27, 0, v27, vcc
	v_add_u32_e32 v22, v22, v27
	ds_bpermute_b32 v27, v43, v22
	v_cmp_le_u32_e32 vcc, v44, v26
	s_waitcnt lgkmcnt(0)
	s_nop 0
	;; [unrolled: 6-line block ×5, first 2 shown]
	v_cndmask_b32_e32 v26, 0, v27, vcc
	v_add3_u32 v22, v26, v19, v22
.LBB1573_160:                           ;   in Loop: Header=BB1573_161 Depth=1
	s_and_b64 vcc, exec, s[30:31]
	s_cbranch_vccnz .LBB1573_167
.LBB1573_161:                           ; =>This Loop Header: Depth=1
                                        ;     Child Loop BB1573_164 Depth 2
	v_cmp_ne_u16_sdwa s[30:31], v23, v38 src0_sel:BYTE_0 src1_sel:DWORD
	v_mov_b32_e32 v19, v22
	s_cmp_lg_u64 s[30:31], exec
	s_mov_b64 s[30:31], -1
                                        ; implicit-def: $vgpr22
                                        ; implicit-def: $vgpr23
	s_cbranch_scc1 .LBB1573_160
; %bb.162:                              ;   in Loop: Header=BB1573_161 Depth=1
	v_lshl_add_u64 v[26:27], v[20:21], 3, s[22:23]
	global_load_dwordx2 v[22:23], v[26:27], off sc1
	s_waitcnt vmcnt(0)
	v_cmp_eq_u16_sdwa s[36:37], v23, v21 src0_sel:BYTE_0 src1_sel:DWORD
	s_and_saveexec_b64 s[30:31], s[36:37]
	s_cbranch_execz .LBB1573_159
; %bb.163:                              ;   in Loop: Header=BB1573_161 Depth=1
	s_mov_b64 s[36:37], 0
.LBB1573_164:                           ;   Parent Loop BB1573_161 Depth=1
                                        ; =>  This Inner Loop Header: Depth=2
	global_load_dwordx2 v[22:23], v[26:27], off sc1
	s_waitcnt vmcnt(0)
	v_cmp_ne_u16_sdwa s[38:39], v23, v21 src0_sel:BYTE_0 src1_sel:DWORD
	s_or_b64 s[36:37], s[38:39], s[36:37]
	s_andn2_b64 exec, exec, s[36:37]
	s_cbranch_execnz .LBB1573_164
; %bb.165:                              ;   in Loop: Header=BB1573_161 Depth=1
	s_or_b64 exec, exec, s[36:37]
	s_branch .LBB1573_159
.LBB1573_166:
                                        ; implicit-def: $vgpr22
                                        ; implicit-def: $vgpr24
                                        ; implicit-def: $vgpr26
                                        ; implicit-def: $vgpr28
                                        ; implicit-def: $vgpr30
                                        ; implicit-def: $vgpr20
                                        ; implicit-def: $vgpr18
	s_cbranch_execnz .LBB1573_172
	s_branch .LBB1573_181
.LBB1573_167:
	s_and_saveexec_b64 s[30:31], s[16:17]
	s_cbranch_execz .LBB1573_169
; %bb.168:
	s_add_i32 s2, s2, 64
	s_mov_b32 s3, 0
	s_lshl_b64 s[2:3], s[2:3], 3
	s_add_u32 s2, s22, s2
	v_add_u32_e32 v20, v19, v18
	v_mov_b32_e32 v21, 2
	s_addc_u32 s3, s23, s3
	v_mov_b32_e32 v22, 0
	global_store_dwordx2 v22, v[20:21], s[2:3] sc1
	ds_write_b64 v22, v[18:19] offset:5120
.LBB1573_169:
	s_or_b64 exec, exec, s[30:31]
	v_cmp_eq_u32_e32 vcc, 0, v0
	s_and_b64 exec, exec, vcc
; %bb.170:
	v_mov_b32_e32 v18, 0
	ds_write_b32 v18, v19 offset:4
.LBB1573_171:
	s_or_b64 exec, exec, s[20:21]
	v_mov_b32_e32 v18, 0
	s_waitcnt lgkmcnt(0)
	s_barrier
	ds_read_b32 v19, v18 offset:4
	v_cndmask_b32_e64 v20, v30, v28, s[16:17]
	v_cmp_ne_u32_e32 vcc, 0, v0
	s_waitcnt lgkmcnt(0)
	s_barrier
	v_cndmask_b32_e32 v20, 0, v20, vcc
	v_add_u32_e32 v30, v19, v20
	ds_read_b64 v[18:19], v18 offset:5120
	v_add_u32_e32 v28, v30, v15
	v_add_u32_e32 v26, v28, v17
	;; [unrolled: 1-line block ×4, first 2 shown]
	s_waitcnt lgkmcnt(0)
	v_mov_b32_e32 v20, v19
	s_branch .LBB1573_181
.LBB1573_172:
	v_mov_b32_dpp v18, v37 row_shr:1 row_mask:0xf bank_mask:0xf
	v_cndmask_b32_e64 v18, v18, 0, s[14:15]
	v_add_u32_e32 v18, v18, v37
	s_nop 1
	v_mov_b32_dpp v19, v18 row_shr:2 row_mask:0xf bank_mask:0xf
	v_cndmask_b32_e64 v19, 0, v19, s[12:13]
	v_add_u32_e32 v18, v18, v19
	s_nop 1
	;; [unrolled: 4-line block ×4, first 2 shown]
	v_mov_b32_dpp v19, v18 row_bcast:15 row_mask:0xf bank_mask:0xf
	v_cndmask_b32_e64 v19, v19, 0, s[6:7]
	v_add_u32_e32 v18, v18, v19
	s_nop 1
	v_mov_b32_dpp v19, v18 row_bcast:31 row_mask:0xf bank_mask:0xf
	v_cndmask_b32_e64 v19, 0, v19, s[18:19]
	v_add_u32_e32 v18, v18, v19
	s_and_saveexec_b64 s[2:3], s[4:5]
; %bb.173:
	v_lshlrev_b32_e32 v19, 2, v36
	ds_write_b32 v19, v18
; %bb.174:
	s_or_b64 exec, exec, s[2:3]
	v_cmp_gt_u32_e32 vcc, 2, v0
	s_waitcnt lgkmcnt(0)
	s_barrier
	s_and_saveexec_b64 s[2:3], vcc
	s_cbranch_execz .LBB1573_176
; %bb.175:
	v_lshlrev_b32_e32 v19, 2, v0
	ds_read_b32 v20, v19
	v_bfe_i32 v21, v35, 0, 1
	s_waitcnt lgkmcnt(0)
	v_mov_b32_dpp v22, v20 row_shr:1 row_mask:0xf bank_mask:0xf
	v_and_b32_e32 v21, v21, v22
	v_add_u32_e32 v20, v21, v20
	ds_write_b32 v19, v20
.LBB1573_176:
	s_or_b64 exec, exec, s[2:3]
	v_cmp_lt_u32_e32 vcc, 63, v0
	v_mov_b32_e32 v19, 0
	v_mov_b32_e32 v20, 0
	s_waitcnt lgkmcnt(0)
	s_barrier
	s_and_saveexec_b64 s[2:3], vcc
; %bb.177:
	v_lshl_add_u32 v20, v36, 2, -4
	ds_read_b32 v20, v20
; %bb.178:
	s_or_b64 exec, exec, s[2:3]
	v_subrev_co_u32_e32 v21, vcc, 1, v35
	v_and_b32_e32 v22, 64, v35
	v_cmp_lt_i32_e64 s[2:3], v21, v22
	s_waitcnt lgkmcnt(0)
	v_add_u32_e32 v18, v20, v18
	v_cndmask_b32_e64 v21, v21, v35, s[2:3]
	v_lshlrev_b32_e32 v21, 2, v21
	ds_bpermute_b32 v21, v21, v18
	ds_read_b32 v18, v19 offset:4
	v_cmp_eq_u32_e64 s[2:3], 0, v0
	s_and_saveexec_b64 s[4:5], s[2:3]
	s_cbranch_execz .LBB1573_180
; %bb.179:
	v_mov_b32_e32 v22, 0
	v_mov_b32_e32 v19, 2
	s_waitcnt lgkmcnt(0)
	global_store_dwordx2 v22, v[18:19], s[22:23] offset:512 sc1
.LBB1573_180:
	s_or_b64 exec, exec, s[4:5]
	s_waitcnt lgkmcnt(1)
	v_cndmask_b32_e32 v19, v21, v20, vcc
	v_cndmask_b32_e64 v30, v19, 0, s[2:3]
	v_add_u32_e32 v28, v30, v15
	v_add_u32_e32 v26, v28, v17
	;; [unrolled: 1-line block ×4, first 2 shown]
	s_waitcnt lgkmcnt(0)
	s_barrier
	v_mov_b32_e32 v20, 0
.LBB1573_181:
	s_load_dwordx4 s[8:11], s[0:1], 0x28
	s_movk_i32 s0, 0x81
	v_cmp_gt_u32_e64 s[0:1], s0, v18
	v_add_u32_e32 v17, v20, v18
	v_and_b32_e32 v15, 1, v16
	s_mov_b64 s[6:7], -1
	s_and_b64 vcc, exec, s[0:1]
	v_cmp_lt_u32_e64 s[2:3], v30, v17
	v_cmp_eq_u32_e64 s[4:5], 1, v15
	s_cbranch_vccz .LBB1573_193
; %bb.182:
	s_or_b64 s[2:3], s[34:35], s[2:3]
	s_and_b64 s[4:5], s[2:3], s[4:5]
	s_and_saveexec_b64 s[2:3], s[4:5]
	s_cbranch_execz .LBB1573_184
; %bb.183:
	s_lshl_b64 s[4:5], s[26:27], 3
	s_waitcnt lgkmcnt(0)
	s_add_u32 s4, s8, s4
	s_addc_u32 s5, s9, s5
	v_mov_b32_e32 v31, 0
	v_lshl_add_u64 v[36:37], v[30:31], 3, s[4:5]
	global_store_dwordx2 v[36:37], v[6:7], off
.LBB1573_184:
	s_or_b64 exec, exec, s[2:3]
	v_cmp_lt_u32_e32 vcc, v28, v17
	v_and_b32_e32 v16, 1, v34
	s_or_b64 s[2:3], s[34:35], vcc
	v_cmp_eq_u32_e32 vcc, 1, v16
	s_and_b64 s[4:5], s[2:3], vcc
	s_and_saveexec_b64 s[2:3], s[4:5]
	s_cbranch_execz .LBB1573_186
; %bb.185:
	s_lshl_b64 s[4:5], s[26:27], 3
	s_waitcnt lgkmcnt(0)
	s_add_u32 s4, s8, s4
	s_addc_u32 s5, s9, s5
	v_mov_b32_e32 v29, 0
	v_lshl_add_u64 v[36:37], v[28:29], 3, s[4:5]
	global_store_dwordx2 v[36:37], v[8:9], off
.LBB1573_186:
	s_or_b64 exec, exec, s[2:3]
	v_cmp_lt_u32_e32 vcc, v26, v17
	v_and_b32_e32 v16, 1, v33
	s_or_b64 s[2:3], s[34:35], vcc
	v_cmp_eq_u32_e32 vcc, 1, v16
	s_and_b64 s[4:5], s[2:3], vcc
	;; [unrolled: 17-line block ×4, first 2 shown]
	s_and_saveexec_b64 s[2:3], s[4:5]
	s_cbranch_execz .LBB1573_192
; %bb.191:
	s_lshl_b64 s[4:5], s[26:27], 3
	s_waitcnt lgkmcnt(0)
	s_add_u32 s4, s8, s4
	s_addc_u32 s5, s9, s5
	v_mov_b32_e32 v23, 0
	v_lshl_add_u64 v[36:37], v[22:23], 3, s[4:5]
	global_store_dwordx2 v[36:37], v[12:13], off
.LBB1573_192:
	s_or_b64 exec, exec, s[2:3]
	s_mov_b64 s[6:7], 0
.LBB1573_193:
	s_and_b64 vcc, exec, s[6:7]
	s_cbranch_vccz .LBB1573_207
; %bb.194:
	v_cmp_eq_u32_e32 vcc, 1, v15
	s_and_saveexec_b64 s[2:3], vcc
; %bb.195:
	v_sub_u32_e32 v16, v30, v20
	v_lshlrev_b32_e32 v16, 3, v16
	ds_write_b64 v16, v[6:7]
; %bb.196:
	s_or_b64 exec, exec, s[2:3]
	v_and_b32_e32 v6, 1, v34
	v_cmp_eq_u32_e32 vcc, 1, v6
	s_and_saveexec_b64 s[2:3], vcc
; %bb.197:
	v_sub_u32_e32 v6, v28, v20
	v_lshlrev_b32_e32 v6, 3, v6
	ds_write_b64 v6, v[8:9]
; %bb.198:
	s_or_b64 exec, exec, s[2:3]
	v_and_b32_e32 v6, 1, v33
	;; [unrolled: 9-line block ×4, first 2 shown]
	v_cmp_eq_u32_e32 vcc, 1, v2
	s_and_saveexec_b64 s[2:3], vcc
; %bb.203:
	v_sub_u32_e32 v2, v22, v20
	v_lshlrev_b32_e32 v2, 3, v2
	ds_write_b64 v2, v[12:13]
; %bb.204:
	s_or_b64 exec, exec, s[2:3]
	v_mov_b32_e32 v3, 0
	v_mov_b32_e32 v21, v3
	v_lshlrev_b64 v[4:5], 3, v[20:21]
	s_waitcnt lgkmcnt(0)
	v_lshl_add_u64 v[4:5], s[8:9], 0, v[4:5]
	s_lshl_b64 s[2:3], s[26:27], 3
	v_lshl_add_u64 v[4:5], v[4:5], 0, s[2:3]
	v_lshlrev_b32_e32 v6, 3, v0
	s_mov_b64 s[2:3], 0
	v_mov_b32_e32 v2, v0
	s_barrier
.LBB1573_205:                           ; =>This Inner Loop Header: Depth=1
	ds_read_b64 v[8:9], v6
	v_lshl_add_u64 v[12:13], v[2:3], 3, v[4:5]
	v_add_u32_e32 v2, 0x80, v2
	v_cmp_ge_u32_e32 vcc, v2, v18
	v_add_u32_e32 v6, 0x400, v6
	s_or_b64 s[2:3], vcc, s[2:3]
	s_waitcnt lgkmcnt(0)
	global_store_dwordx2 v[12:13], v[8:9], off
	s_andn2_b64 exec, exec, s[2:3]
	s_cbranch_execnz .LBB1573_205
; %bb.206:
	s_or_b64 exec, exec, s[2:3]
.LBB1573_207:
	s_mov_b64 s[2:3], -1
	s_and_b64 vcc, exec, s[0:1]
	s_waitcnt lgkmcnt(0)
	s_barrier
	s_cbranch_vccnz .LBB1573_211
; %bb.208:
	s_and_b64 vcc, exec, s[2:3]
	s_cbranch_vccnz .LBB1573_222
.LBB1573_209:
	v_cmp_eq_u32_e32 vcc, 0, v0
	s_and_b64 s[0:1], vcc, s[28:29]
	s_and_saveexec_b64 s[2:3], s[0:1]
	s_cbranch_execnz .LBB1573_235
.LBB1573_210:
	s_endpgm
.LBB1573_211:
	v_cmp_lt_u32_e32 vcc, v30, v17
	s_or_b64 s[0:1], s[34:35], vcc
	v_cmp_eq_u32_e32 vcc, 1, v15
	s_and_b64 s[2:3], s[0:1], vcc
	s_and_saveexec_b64 s[0:1], s[2:3]
	s_cbranch_execz .LBB1573_213
; %bb.212:
	s_lshl_b64 s[2:3], s[26:27], 3
	s_add_u32 s2, s10, s2
	s_addc_u32 s3, s11, s3
	v_mov_b32_e32 v31, 0
	v_lshl_add_u64 v[2:3], v[30:31], 3, s[2:3]
	global_store_dwordx2 v[2:3], v[56:57], off
.LBB1573_213:
	s_or_b64 exec, exec, s[0:1]
	v_cmp_lt_u32_e32 vcc, v28, v17
	v_and_b32_e32 v2, 1, v34
	s_or_b64 s[0:1], s[34:35], vcc
	v_cmp_eq_u32_e32 vcc, 1, v2
	s_and_b64 s[2:3], s[0:1], vcc
	s_and_saveexec_b64 s[0:1], s[2:3]
	s_cbranch_execz .LBB1573_215
; %bb.214:
	s_lshl_b64 s[2:3], s[26:27], 3
	s_add_u32 s2, s10, s2
	s_addc_u32 s3, s11, s3
	v_mov_b32_e32 v29, 0
	v_lshl_add_u64 v[2:3], v[28:29], 3, s[2:3]
	global_store_dwordx2 v[2:3], v[58:59], off
.LBB1573_215:
	s_or_b64 exec, exec, s[0:1]
	v_cmp_lt_u32_e32 vcc, v26, v17
	v_and_b32_e32 v2, 1, v33
	s_or_b64 s[0:1], s[34:35], vcc
	v_cmp_eq_u32_e32 vcc, 1, v2
	s_and_b64 s[2:3], s[0:1], vcc
	s_and_saveexec_b64 s[0:1], s[2:3]
	s_cbranch_execz .LBB1573_217
; %bb.216:
	s_lshl_b64 s[2:3], s[26:27], 3
	s_add_u32 s2, s10, s2
	s_addc_u32 s3, s11, s3
	v_mov_b32_e32 v27, 0
	v_lshl_add_u64 v[2:3], v[26:27], 3, s[2:3]
	global_store_dwordx2 v[2:3], v[52:53], off
.LBB1573_217:
	s_or_b64 exec, exec, s[0:1]
	v_cmp_lt_u32_e32 vcc, v24, v17
	v_and_b32_e32 v2, 1, v14
	s_or_b64 s[0:1], s[34:35], vcc
	v_cmp_eq_u32_e32 vcc, 1, v2
	s_and_b64 s[2:3], s[0:1], vcc
	s_and_saveexec_b64 s[0:1], s[2:3]
	s_cbranch_execz .LBB1573_219
; %bb.218:
	s_lshl_b64 s[2:3], s[26:27], 3
	s_add_u32 s2, s10, s2
	s_addc_u32 s3, s11, s3
	v_mov_b32_e32 v25, 0
	v_lshl_add_u64 v[2:3], v[24:25], 3, s[2:3]
	global_store_dwordx2 v[2:3], v[54:55], off
.LBB1573_219:
	s_or_b64 exec, exec, s[0:1]
	v_cmp_lt_u32_e32 vcc, v22, v17
	v_and_b32_e32 v2, 1, v32
	s_or_b64 s[0:1], s[34:35], vcc
	v_cmp_eq_u32_e32 vcc, 1, v2
	s_and_b64 s[2:3], s[0:1], vcc
	s_and_saveexec_b64 s[0:1], s[2:3]
	s_cbranch_execz .LBB1573_221
; %bb.220:
	s_lshl_b64 s[2:3], s[26:27], 3
	s_add_u32 s2, s10, s2
	s_addc_u32 s3, s11, s3
	v_mov_b32_e32 v23, 0
	v_lshl_add_u64 v[2:3], v[22:23], 3, s[2:3]
	global_store_dwordx2 v[2:3], v[10:11], off
.LBB1573_221:
	s_or_b64 exec, exec, s[0:1]
	s_branch .LBB1573_209
.LBB1573_222:
	v_cmp_eq_u32_e32 vcc, 1, v15
	s_and_saveexec_b64 s[0:1], vcc
; %bb.223:
	v_sub_u32_e32 v2, v30, v20
	v_lshlrev_b32_e32 v2, 3, v2
	ds_write_b64 v2, v[56:57]
; %bb.224:
	s_or_b64 exec, exec, s[0:1]
	v_and_b32_e32 v2, 1, v34
	v_cmp_eq_u32_e32 vcc, 1, v2
	s_and_saveexec_b64 s[0:1], vcc
; %bb.225:
	v_sub_u32_e32 v2, v28, v20
	v_lshlrev_b32_e32 v2, 3, v2
	ds_write_b64 v2, v[58:59]
; %bb.226:
	s_or_b64 exec, exec, s[0:1]
	v_and_b32_e32 v2, 1, v33
	;; [unrolled: 9-line block ×4, first 2 shown]
	v_cmp_eq_u32_e32 vcc, 1, v2
	s_and_saveexec_b64 s[0:1], vcc
; %bb.231:
	v_sub_u32_e32 v2, v22, v20
	v_lshlrev_b32_e32 v2, 3, v2
	ds_write_b64 v2, v[10:11]
; %bb.232:
	s_or_b64 exec, exec, s[0:1]
	v_mov_b32_e32 v3, 0
	v_mov_b32_e32 v21, v3
	v_lshlrev_b64 v[4:5], 3, v[20:21]
	v_lshl_add_u64 v[4:5], s[10:11], 0, v[4:5]
	s_lshl_b64 s[0:1], s[26:27], 3
	v_lshl_add_u64 v[4:5], v[4:5], 0, s[0:1]
	s_mov_b64 s[0:1], 0
	v_mov_b32_e32 v2, v0
	s_waitcnt lgkmcnt(0)
	s_barrier
.LBB1573_233:                           ; =>This Inner Loop Header: Depth=1
	ds_read_b64 v[6:7], v1
	v_lshl_add_u64 v[8:9], v[2:3], 3, v[4:5]
	v_add_u32_e32 v2, 0x80, v2
	v_cmp_ge_u32_e32 vcc, v2, v18
	v_add_u32_e32 v1, 0x400, v1
	s_or_b64 s[0:1], vcc, s[0:1]
	s_waitcnt lgkmcnt(0)
	global_store_dwordx2 v[8:9], v[6:7], off
	s_andn2_b64 exec, exec, s[0:1]
	s_cbranch_execnz .LBB1573_233
; %bb.234:
	s_or_b64 exec, exec, s[0:1]
	v_cmp_eq_u32_e32 vcc, 0, v0
	s_and_b64 s[0:1], vcc, s[28:29]
	s_and_saveexec_b64 s[2:3], s[0:1]
	s_cbranch_execz .LBB1573_210
.LBB1573_235:
	v_mov_b32_e32 v19, 0
	v_lshl_add_u64 v[0:1], s[26:27], 0, v[18:19]
	v_mov_b32_e32 v21, v19
	v_lshl_add_u64 v[0:1], v[0:1], 0, v[20:21]
	global_store_dwordx2 v19, v[0:1], s[24:25]
	s_endpgm
	.section	.rodata,"a",@progbits
	.p2align	6, 0x0
	.amdhsa_kernel _ZN7rocprim17ROCPRIM_400000_NS6detail17trampoline_kernelINS0_14default_configENS1_25partition_config_selectorILNS1_17partition_subalgoE9EllbEEZZNS1_14partition_implILS5_9ELb0ES3_jPlS8_PNS0_10empty_typeENS0_5tupleIJS8_S9_EEENSB_IJS8_SA_EEENS0_18inequality_wrapperIZN2at6native12_GLOBAL__N_124unique_dim_cuda_templateIjEESt5tupleIJNSF_6TensorESK_SK_EERKSK_lbbbEUlllE0_EEPmJS9_EEE10hipError_tPvRmT3_T4_T5_T6_T7_T9_mT8_P12ihipStream_tbDpT10_ENKUlT_T0_E_clISt17integral_constantIbLb0EES1A_EEDaS15_S16_EUlS15_E_NS1_11comp_targetILNS1_3genE0ELNS1_11target_archE4294967295ELNS1_3gpuE0ELNS1_3repE0EEENS1_30default_config_static_selectorELNS0_4arch9wavefront6targetE1EEEvT1_
		.amdhsa_group_segment_fixed_size 5128
		.amdhsa_private_segment_fixed_size 0
		.amdhsa_kernarg_size 120
		.amdhsa_user_sgpr_count 2
		.amdhsa_user_sgpr_dispatch_ptr 0
		.amdhsa_user_sgpr_queue_ptr 0
		.amdhsa_user_sgpr_kernarg_segment_ptr 1
		.amdhsa_user_sgpr_dispatch_id 0
		.amdhsa_user_sgpr_kernarg_preload_length 0
		.amdhsa_user_sgpr_kernarg_preload_offset 0
		.amdhsa_user_sgpr_private_segment_size 0
		.amdhsa_uses_dynamic_stack 0
		.amdhsa_enable_private_segment 0
		.amdhsa_system_sgpr_workgroup_id_x 1
		.amdhsa_system_sgpr_workgroup_id_y 0
		.amdhsa_system_sgpr_workgroup_id_z 0
		.amdhsa_system_sgpr_workgroup_info 0
		.amdhsa_system_vgpr_workitem_id 0
		.amdhsa_next_free_vgpr 60
		.amdhsa_next_free_sgpr 46
		.amdhsa_accum_offset 60
		.amdhsa_reserve_vcc 1
		.amdhsa_float_round_mode_32 0
		.amdhsa_float_round_mode_16_64 0
		.amdhsa_float_denorm_mode_32 3
		.amdhsa_float_denorm_mode_16_64 3
		.amdhsa_dx10_clamp 1
		.amdhsa_ieee_mode 1
		.amdhsa_fp16_overflow 0
		.amdhsa_tg_split 0
		.amdhsa_exception_fp_ieee_invalid_op 0
		.amdhsa_exception_fp_denorm_src 0
		.amdhsa_exception_fp_ieee_div_zero 0
		.amdhsa_exception_fp_ieee_overflow 0
		.amdhsa_exception_fp_ieee_underflow 0
		.amdhsa_exception_fp_ieee_inexact 0
		.amdhsa_exception_int_div_zero 0
	.end_amdhsa_kernel
	.section	.text._ZN7rocprim17ROCPRIM_400000_NS6detail17trampoline_kernelINS0_14default_configENS1_25partition_config_selectorILNS1_17partition_subalgoE9EllbEEZZNS1_14partition_implILS5_9ELb0ES3_jPlS8_PNS0_10empty_typeENS0_5tupleIJS8_S9_EEENSB_IJS8_SA_EEENS0_18inequality_wrapperIZN2at6native12_GLOBAL__N_124unique_dim_cuda_templateIjEESt5tupleIJNSF_6TensorESK_SK_EERKSK_lbbbEUlllE0_EEPmJS9_EEE10hipError_tPvRmT3_T4_T5_T6_T7_T9_mT8_P12ihipStream_tbDpT10_ENKUlT_T0_E_clISt17integral_constantIbLb0EES1A_EEDaS15_S16_EUlS15_E_NS1_11comp_targetILNS1_3genE0ELNS1_11target_archE4294967295ELNS1_3gpuE0ELNS1_3repE0EEENS1_30default_config_static_selectorELNS0_4arch9wavefront6targetE1EEEvT1_,"axG",@progbits,_ZN7rocprim17ROCPRIM_400000_NS6detail17trampoline_kernelINS0_14default_configENS1_25partition_config_selectorILNS1_17partition_subalgoE9EllbEEZZNS1_14partition_implILS5_9ELb0ES3_jPlS8_PNS0_10empty_typeENS0_5tupleIJS8_S9_EEENSB_IJS8_SA_EEENS0_18inequality_wrapperIZN2at6native12_GLOBAL__N_124unique_dim_cuda_templateIjEESt5tupleIJNSF_6TensorESK_SK_EERKSK_lbbbEUlllE0_EEPmJS9_EEE10hipError_tPvRmT3_T4_T5_T6_T7_T9_mT8_P12ihipStream_tbDpT10_ENKUlT_T0_E_clISt17integral_constantIbLb0EES1A_EEDaS15_S16_EUlS15_E_NS1_11comp_targetILNS1_3genE0ELNS1_11target_archE4294967295ELNS1_3gpuE0ELNS1_3repE0EEENS1_30default_config_static_selectorELNS0_4arch9wavefront6targetE1EEEvT1_,comdat
.Lfunc_end1573:
	.size	_ZN7rocprim17ROCPRIM_400000_NS6detail17trampoline_kernelINS0_14default_configENS1_25partition_config_selectorILNS1_17partition_subalgoE9EllbEEZZNS1_14partition_implILS5_9ELb0ES3_jPlS8_PNS0_10empty_typeENS0_5tupleIJS8_S9_EEENSB_IJS8_SA_EEENS0_18inequality_wrapperIZN2at6native12_GLOBAL__N_124unique_dim_cuda_templateIjEESt5tupleIJNSF_6TensorESK_SK_EERKSK_lbbbEUlllE0_EEPmJS9_EEE10hipError_tPvRmT3_T4_T5_T6_T7_T9_mT8_P12ihipStream_tbDpT10_ENKUlT_T0_E_clISt17integral_constantIbLb0EES1A_EEDaS15_S16_EUlS15_E_NS1_11comp_targetILNS1_3genE0ELNS1_11target_archE4294967295ELNS1_3gpuE0ELNS1_3repE0EEENS1_30default_config_static_selectorELNS0_4arch9wavefront6targetE1EEEvT1_, .Lfunc_end1573-_ZN7rocprim17ROCPRIM_400000_NS6detail17trampoline_kernelINS0_14default_configENS1_25partition_config_selectorILNS1_17partition_subalgoE9EllbEEZZNS1_14partition_implILS5_9ELb0ES3_jPlS8_PNS0_10empty_typeENS0_5tupleIJS8_S9_EEENSB_IJS8_SA_EEENS0_18inequality_wrapperIZN2at6native12_GLOBAL__N_124unique_dim_cuda_templateIjEESt5tupleIJNSF_6TensorESK_SK_EERKSK_lbbbEUlllE0_EEPmJS9_EEE10hipError_tPvRmT3_T4_T5_T6_T7_T9_mT8_P12ihipStream_tbDpT10_ENKUlT_T0_E_clISt17integral_constantIbLb0EES1A_EEDaS15_S16_EUlS15_E_NS1_11comp_targetILNS1_3genE0ELNS1_11target_archE4294967295ELNS1_3gpuE0ELNS1_3repE0EEENS1_30default_config_static_selectorELNS0_4arch9wavefront6targetE1EEEvT1_
                                        ; -- End function
	.set _ZN7rocprim17ROCPRIM_400000_NS6detail17trampoline_kernelINS0_14default_configENS1_25partition_config_selectorILNS1_17partition_subalgoE9EllbEEZZNS1_14partition_implILS5_9ELb0ES3_jPlS8_PNS0_10empty_typeENS0_5tupleIJS8_S9_EEENSB_IJS8_SA_EEENS0_18inequality_wrapperIZN2at6native12_GLOBAL__N_124unique_dim_cuda_templateIjEESt5tupleIJNSF_6TensorESK_SK_EERKSK_lbbbEUlllE0_EEPmJS9_EEE10hipError_tPvRmT3_T4_T5_T6_T7_T9_mT8_P12ihipStream_tbDpT10_ENKUlT_T0_E_clISt17integral_constantIbLb0EES1A_EEDaS15_S16_EUlS15_E_NS1_11comp_targetILNS1_3genE0ELNS1_11target_archE4294967295ELNS1_3gpuE0ELNS1_3repE0EEENS1_30default_config_static_selectorELNS0_4arch9wavefront6targetE1EEEvT1_.num_vgpr, 60
	.set _ZN7rocprim17ROCPRIM_400000_NS6detail17trampoline_kernelINS0_14default_configENS1_25partition_config_selectorILNS1_17partition_subalgoE9EllbEEZZNS1_14partition_implILS5_9ELb0ES3_jPlS8_PNS0_10empty_typeENS0_5tupleIJS8_S9_EEENSB_IJS8_SA_EEENS0_18inequality_wrapperIZN2at6native12_GLOBAL__N_124unique_dim_cuda_templateIjEESt5tupleIJNSF_6TensorESK_SK_EERKSK_lbbbEUlllE0_EEPmJS9_EEE10hipError_tPvRmT3_T4_T5_T6_T7_T9_mT8_P12ihipStream_tbDpT10_ENKUlT_T0_E_clISt17integral_constantIbLb0EES1A_EEDaS15_S16_EUlS15_E_NS1_11comp_targetILNS1_3genE0ELNS1_11target_archE4294967295ELNS1_3gpuE0ELNS1_3repE0EEENS1_30default_config_static_selectorELNS0_4arch9wavefront6targetE1EEEvT1_.num_agpr, 0
	.set _ZN7rocprim17ROCPRIM_400000_NS6detail17trampoline_kernelINS0_14default_configENS1_25partition_config_selectorILNS1_17partition_subalgoE9EllbEEZZNS1_14partition_implILS5_9ELb0ES3_jPlS8_PNS0_10empty_typeENS0_5tupleIJS8_S9_EEENSB_IJS8_SA_EEENS0_18inequality_wrapperIZN2at6native12_GLOBAL__N_124unique_dim_cuda_templateIjEESt5tupleIJNSF_6TensorESK_SK_EERKSK_lbbbEUlllE0_EEPmJS9_EEE10hipError_tPvRmT3_T4_T5_T6_T7_T9_mT8_P12ihipStream_tbDpT10_ENKUlT_T0_E_clISt17integral_constantIbLb0EES1A_EEDaS15_S16_EUlS15_E_NS1_11comp_targetILNS1_3genE0ELNS1_11target_archE4294967295ELNS1_3gpuE0ELNS1_3repE0EEENS1_30default_config_static_selectorELNS0_4arch9wavefront6targetE1EEEvT1_.numbered_sgpr, 46
	.set _ZN7rocprim17ROCPRIM_400000_NS6detail17trampoline_kernelINS0_14default_configENS1_25partition_config_selectorILNS1_17partition_subalgoE9EllbEEZZNS1_14partition_implILS5_9ELb0ES3_jPlS8_PNS0_10empty_typeENS0_5tupleIJS8_S9_EEENSB_IJS8_SA_EEENS0_18inequality_wrapperIZN2at6native12_GLOBAL__N_124unique_dim_cuda_templateIjEESt5tupleIJNSF_6TensorESK_SK_EERKSK_lbbbEUlllE0_EEPmJS9_EEE10hipError_tPvRmT3_T4_T5_T6_T7_T9_mT8_P12ihipStream_tbDpT10_ENKUlT_T0_E_clISt17integral_constantIbLb0EES1A_EEDaS15_S16_EUlS15_E_NS1_11comp_targetILNS1_3genE0ELNS1_11target_archE4294967295ELNS1_3gpuE0ELNS1_3repE0EEENS1_30default_config_static_selectorELNS0_4arch9wavefront6targetE1EEEvT1_.num_named_barrier, 0
	.set _ZN7rocprim17ROCPRIM_400000_NS6detail17trampoline_kernelINS0_14default_configENS1_25partition_config_selectorILNS1_17partition_subalgoE9EllbEEZZNS1_14partition_implILS5_9ELb0ES3_jPlS8_PNS0_10empty_typeENS0_5tupleIJS8_S9_EEENSB_IJS8_SA_EEENS0_18inequality_wrapperIZN2at6native12_GLOBAL__N_124unique_dim_cuda_templateIjEESt5tupleIJNSF_6TensorESK_SK_EERKSK_lbbbEUlllE0_EEPmJS9_EEE10hipError_tPvRmT3_T4_T5_T6_T7_T9_mT8_P12ihipStream_tbDpT10_ENKUlT_T0_E_clISt17integral_constantIbLb0EES1A_EEDaS15_S16_EUlS15_E_NS1_11comp_targetILNS1_3genE0ELNS1_11target_archE4294967295ELNS1_3gpuE0ELNS1_3repE0EEENS1_30default_config_static_selectorELNS0_4arch9wavefront6targetE1EEEvT1_.private_seg_size, 0
	.set _ZN7rocprim17ROCPRIM_400000_NS6detail17trampoline_kernelINS0_14default_configENS1_25partition_config_selectorILNS1_17partition_subalgoE9EllbEEZZNS1_14partition_implILS5_9ELb0ES3_jPlS8_PNS0_10empty_typeENS0_5tupleIJS8_S9_EEENSB_IJS8_SA_EEENS0_18inequality_wrapperIZN2at6native12_GLOBAL__N_124unique_dim_cuda_templateIjEESt5tupleIJNSF_6TensorESK_SK_EERKSK_lbbbEUlllE0_EEPmJS9_EEE10hipError_tPvRmT3_T4_T5_T6_T7_T9_mT8_P12ihipStream_tbDpT10_ENKUlT_T0_E_clISt17integral_constantIbLb0EES1A_EEDaS15_S16_EUlS15_E_NS1_11comp_targetILNS1_3genE0ELNS1_11target_archE4294967295ELNS1_3gpuE0ELNS1_3repE0EEENS1_30default_config_static_selectorELNS0_4arch9wavefront6targetE1EEEvT1_.uses_vcc, 1
	.set _ZN7rocprim17ROCPRIM_400000_NS6detail17trampoline_kernelINS0_14default_configENS1_25partition_config_selectorILNS1_17partition_subalgoE9EllbEEZZNS1_14partition_implILS5_9ELb0ES3_jPlS8_PNS0_10empty_typeENS0_5tupleIJS8_S9_EEENSB_IJS8_SA_EEENS0_18inequality_wrapperIZN2at6native12_GLOBAL__N_124unique_dim_cuda_templateIjEESt5tupleIJNSF_6TensorESK_SK_EERKSK_lbbbEUlllE0_EEPmJS9_EEE10hipError_tPvRmT3_T4_T5_T6_T7_T9_mT8_P12ihipStream_tbDpT10_ENKUlT_T0_E_clISt17integral_constantIbLb0EES1A_EEDaS15_S16_EUlS15_E_NS1_11comp_targetILNS1_3genE0ELNS1_11target_archE4294967295ELNS1_3gpuE0ELNS1_3repE0EEENS1_30default_config_static_selectorELNS0_4arch9wavefront6targetE1EEEvT1_.uses_flat_scratch, 0
	.set _ZN7rocprim17ROCPRIM_400000_NS6detail17trampoline_kernelINS0_14default_configENS1_25partition_config_selectorILNS1_17partition_subalgoE9EllbEEZZNS1_14partition_implILS5_9ELb0ES3_jPlS8_PNS0_10empty_typeENS0_5tupleIJS8_S9_EEENSB_IJS8_SA_EEENS0_18inequality_wrapperIZN2at6native12_GLOBAL__N_124unique_dim_cuda_templateIjEESt5tupleIJNSF_6TensorESK_SK_EERKSK_lbbbEUlllE0_EEPmJS9_EEE10hipError_tPvRmT3_T4_T5_T6_T7_T9_mT8_P12ihipStream_tbDpT10_ENKUlT_T0_E_clISt17integral_constantIbLb0EES1A_EEDaS15_S16_EUlS15_E_NS1_11comp_targetILNS1_3genE0ELNS1_11target_archE4294967295ELNS1_3gpuE0ELNS1_3repE0EEENS1_30default_config_static_selectorELNS0_4arch9wavefront6targetE1EEEvT1_.has_dyn_sized_stack, 0
	.set _ZN7rocprim17ROCPRIM_400000_NS6detail17trampoline_kernelINS0_14default_configENS1_25partition_config_selectorILNS1_17partition_subalgoE9EllbEEZZNS1_14partition_implILS5_9ELb0ES3_jPlS8_PNS0_10empty_typeENS0_5tupleIJS8_S9_EEENSB_IJS8_SA_EEENS0_18inequality_wrapperIZN2at6native12_GLOBAL__N_124unique_dim_cuda_templateIjEESt5tupleIJNSF_6TensorESK_SK_EERKSK_lbbbEUlllE0_EEPmJS9_EEE10hipError_tPvRmT3_T4_T5_T6_T7_T9_mT8_P12ihipStream_tbDpT10_ENKUlT_T0_E_clISt17integral_constantIbLb0EES1A_EEDaS15_S16_EUlS15_E_NS1_11comp_targetILNS1_3genE0ELNS1_11target_archE4294967295ELNS1_3gpuE0ELNS1_3repE0EEENS1_30default_config_static_selectorELNS0_4arch9wavefront6targetE1EEEvT1_.has_recursion, 0
	.set _ZN7rocprim17ROCPRIM_400000_NS6detail17trampoline_kernelINS0_14default_configENS1_25partition_config_selectorILNS1_17partition_subalgoE9EllbEEZZNS1_14partition_implILS5_9ELb0ES3_jPlS8_PNS0_10empty_typeENS0_5tupleIJS8_S9_EEENSB_IJS8_SA_EEENS0_18inequality_wrapperIZN2at6native12_GLOBAL__N_124unique_dim_cuda_templateIjEESt5tupleIJNSF_6TensorESK_SK_EERKSK_lbbbEUlllE0_EEPmJS9_EEE10hipError_tPvRmT3_T4_T5_T6_T7_T9_mT8_P12ihipStream_tbDpT10_ENKUlT_T0_E_clISt17integral_constantIbLb0EES1A_EEDaS15_S16_EUlS15_E_NS1_11comp_targetILNS1_3genE0ELNS1_11target_archE4294967295ELNS1_3gpuE0ELNS1_3repE0EEENS1_30default_config_static_selectorELNS0_4arch9wavefront6targetE1EEEvT1_.has_indirect_call, 0
	.section	.AMDGPU.csdata,"",@progbits
; Kernel info:
; codeLenInByte = 9496
; TotalNumSgprs: 52
; NumVgprs: 60
; NumAgprs: 0
; TotalNumVgprs: 60
; ScratchSize: 0
; MemoryBound: 0
; FloatMode: 240
; IeeeMode: 1
; LDSByteSize: 5128 bytes/workgroup (compile time only)
; SGPRBlocks: 6
; VGPRBlocks: 7
; NumSGPRsForWavesPerEU: 52
; NumVGPRsForWavesPerEU: 60
; AccumOffset: 60
; Occupancy: 8
; WaveLimiterHint : 1
; COMPUTE_PGM_RSRC2:SCRATCH_EN: 0
; COMPUTE_PGM_RSRC2:USER_SGPR: 2
; COMPUTE_PGM_RSRC2:TRAP_HANDLER: 0
; COMPUTE_PGM_RSRC2:TGID_X_EN: 1
; COMPUTE_PGM_RSRC2:TGID_Y_EN: 0
; COMPUTE_PGM_RSRC2:TGID_Z_EN: 0
; COMPUTE_PGM_RSRC2:TIDIG_COMP_CNT: 0
; COMPUTE_PGM_RSRC3_GFX90A:ACCUM_OFFSET: 14
; COMPUTE_PGM_RSRC3_GFX90A:TG_SPLIT: 0
	.section	.text._ZN7rocprim17ROCPRIM_400000_NS6detail17trampoline_kernelINS0_14default_configENS1_25partition_config_selectorILNS1_17partition_subalgoE9EllbEEZZNS1_14partition_implILS5_9ELb0ES3_jPlS8_PNS0_10empty_typeENS0_5tupleIJS8_S9_EEENSB_IJS8_SA_EEENS0_18inequality_wrapperIZN2at6native12_GLOBAL__N_124unique_dim_cuda_templateIjEESt5tupleIJNSF_6TensorESK_SK_EERKSK_lbbbEUlllE0_EEPmJS9_EEE10hipError_tPvRmT3_T4_T5_T6_T7_T9_mT8_P12ihipStream_tbDpT10_ENKUlT_T0_E_clISt17integral_constantIbLb0EES1A_EEDaS15_S16_EUlS15_E_NS1_11comp_targetILNS1_3genE5ELNS1_11target_archE942ELNS1_3gpuE9ELNS1_3repE0EEENS1_30default_config_static_selectorELNS0_4arch9wavefront6targetE1EEEvT1_,"axG",@progbits,_ZN7rocprim17ROCPRIM_400000_NS6detail17trampoline_kernelINS0_14default_configENS1_25partition_config_selectorILNS1_17partition_subalgoE9EllbEEZZNS1_14partition_implILS5_9ELb0ES3_jPlS8_PNS0_10empty_typeENS0_5tupleIJS8_S9_EEENSB_IJS8_SA_EEENS0_18inequality_wrapperIZN2at6native12_GLOBAL__N_124unique_dim_cuda_templateIjEESt5tupleIJNSF_6TensorESK_SK_EERKSK_lbbbEUlllE0_EEPmJS9_EEE10hipError_tPvRmT3_T4_T5_T6_T7_T9_mT8_P12ihipStream_tbDpT10_ENKUlT_T0_E_clISt17integral_constantIbLb0EES1A_EEDaS15_S16_EUlS15_E_NS1_11comp_targetILNS1_3genE5ELNS1_11target_archE942ELNS1_3gpuE9ELNS1_3repE0EEENS1_30default_config_static_selectorELNS0_4arch9wavefront6targetE1EEEvT1_,comdat
	.globl	_ZN7rocprim17ROCPRIM_400000_NS6detail17trampoline_kernelINS0_14default_configENS1_25partition_config_selectorILNS1_17partition_subalgoE9EllbEEZZNS1_14partition_implILS5_9ELb0ES3_jPlS8_PNS0_10empty_typeENS0_5tupleIJS8_S9_EEENSB_IJS8_SA_EEENS0_18inequality_wrapperIZN2at6native12_GLOBAL__N_124unique_dim_cuda_templateIjEESt5tupleIJNSF_6TensorESK_SK_EERKSK_lbbbEUlllE0_EEPmJS9_EEE10hipError_tPvRmT3_T4_T5_T6_T7_T9_mT8_P12ihipStream_tbDpT10_ENKUlT_T0_E_clISt17integral_constantIbLb0EES1A_EEDaS15_S16_EUlS15_E_NS1_11comp_targetILNS1_3genE5ELNS1_11target_archE942ELNS1_3gpuE9ELNS1_3repE0EEENS1_30default_config_static_selectorELNS0_4arch9wavefront6targetE1EEEvT1_ ; -- Begin function _ZN7rocprim17ROCPRIM_400000_NS6detail17trampoline_kernelINS0_14default_configENS1_25partition_config_selectorILNS1_17partition_subalgoE9EllbEEZZNS1_14partition_implILS5_9ELb0ES3_jPlS8_PNS0_10empty_typeENS0_5tupleIJS8_S9_EEENSB_IJS8_SA_EEENS0_18inequality_wrapperIZN2at6native12_GLOBAL__N_124unique_dim_cuda_templateIjEESt5tupleIJNSF_6TensorESK_SK_EERKSK_lbbbEUlllE0_EEPmJS9_EEE10hipError_tPvRmT3_T4_T5_T6_T7_T9_mT8_P12ihipStream_tbDpT10_ENKUlT_T0_E_clISt17integral_constantIbLb0EES1A_EEDaS15_S16_EUlS15_E_NS1_11comp_targetILNS1_3genE5ELNS1_11target_archE942ELNS1_3gpuE9ELNS1_3repE0EEENS1_30default_config_static_selectorELNS0_4arch9wavefront6targetE1EEEvT1_
	.p2align	8
	.type	_ZN7rocprim17ROCPRIM_400000_NS6detail17trampoline_kernelINS0_14default_configENS1_25partition_config_selectorILNS1_17partition_subalgoE9EllbEEZZNS1_14partition_implILS5_9ELb0ES3_jPlS8_PNS0_10empty_typeENS0_5tupleIJS8_S9_EEENSB_IJS8_SA_EEENS0_18inequality_wrapperIZN2at6native12_GLOBAL__N_124unique_dim_cuda_templateIjEESt5tupleIJNSF_6TensorESK_SK_EERKSK_lbbbEUlllE0_EEPmJS9_EEE10hipError_tPvRmT3_T4_T5_T6_T7_T9_mT8_P12ihipStream_tbDpT10_ENKUlT_T0_E_clISt17integral_constantIbLb0EES1A_EEDaS15_S16_EUlS15_E_NS1_11comp_targetILNS1_3genE5ELNS1_11target_archE942ELNS1_3gpuE9ELNS1_3repE0EEENS1_30default_config_static_selectorELNS0_4arch9wavefront6targetE1EEEvT1_,@function
_ZN7rocprim17ROCPRIM_400000_NS6detail17trampoline_kernelINS0_14default_configENS1_25partition_config_selectorILNS1_17partition_subalgoE9EllbEEZZNS1_14partition_implILS5_9ELb0ES3_jPlS8_PNS0_10empty_typeENS0_5tupleIJS8_S9_EEENSB_IJS8_SA_EEENS0_18inequality_wrapperIZN2at6native12_GLOBAL__N_124unique_dim_cuda_templateIjEESt5tupleIJNSF_6TensorESK_SK_EERKSK_lbbbEUlllE0_EEPmJS9_EEE10hipError_tPvRmT3_T4_T5_T6_T7_T9_mT8_P12ihipStream_tbDpT10_ENKUlT_T0_E_clISt17integral_constantIbLb0EES1A_EEDaS15_S16_EUlS15_E_NS1_11comp_targetILNS1_3genE5ELNS1_11target_archE942ELNS1_3gpuE9ELNS1_3repE0EEENS1_30default_config_static_selectorELNS0_4arch9wavefront6targetE1EEEvT1_: ; @_ZN7rocprim17ROCPRIM_400000_NS6detail17trampoline_kernelINS0_14default_configENS1_25partition_config_selectorILNS1_17partition_subalgoE9EllbEEZZNS1_14partition_implILS5_9ELb0ES3_jPlS8_PNS0_10empty_typeENS0_5tupleIJS8_S9_EEENSB_IJS8_SA_EEENS0_18inequality_wrapperIZN2at6native12_GLOBAL__N_124unique_dim_cuda_templateIjEESt5tupleIJNSF_6TensorESK_SK_EERKSK_lbbbEUlllE0_EEPmJS9_EEE10hipError_tPvRmT3_T4_T5_T6_T7_T9_mT8_P12ihipStream_tbDpT10_ENKUlT_T0_E_clISt17integral_constantIbLb0EES1A_EEDaS15_S16_EUlS15_E_NS1_11comp_targetILNS1_3genE5ELNS1_11target_archE942ELNS1_3gpuE9ELNS1_3repE0EEENS1_30default_config_static_selectorELNS0_4arch9wavefront6targetE1EEEvT1_
; %bb.0:
	.section	.rodata,"a",@progbits
	.p2align	6, 0x0
	.amdhsa_kernel _ZN7rocprim17ROCPRIM_400000_NS6detail17trampoline_kernelINS0_14default_configENS1_25partition_config_selectorILNS1_17partition_subalgoE9EllbEEZZNS1_14partition_implILS5_9ELb0ES3_jPlS8_PNS0_10empty_typeENS0_5tupleIJS8_S9_EEENSB_IJS8_SA_EEENS0_18inequality_wrapperIZN2at6native12_GLOBAL__N_124unique_dim_cuda_templateIjEESt5tupleIJNSF_6TensorESK_SK_EERKSK_lbbbEUlllE0_EEPmJS9_EEE10hipError_tPvRmT3_T4_T5_T6_T7_T9_mT8_P12ihipStream_tbDpT10_ENKUlT_T0_E_clISt17integral_constantIbLb0EES1A_EEDaS15_S16_EUlS15_E_NS1_11comp_targetILNS1_3genE5ELNS1_11target_archE942ELNS1_3gpuE9ELNS1_3repE0EEENS1_30default_config_static_selectorELNS0_4arch9wavefront6targetE1EEEvT1_
		.amdhsa_group_segment_fixed_size 0
		.amdhsa_private_segment_fixed_size 0
		.amdhsa_kernarg_size 120
		.amdhsa_user_sgpr_count 2
		.amdhsa_user_sgpr_dispatch_ptr 0
		.amdhsa_user_sgpr_queue_ptr 0
		.amdhsa_user_sgpr_kernarg_segment_ptr 1
		.amdhsa_user_sgpr_dispatch_id 0
		.amdhsa_user_sgpr_kernarg_preload_length 0
		.amdhsa_user_sgpr_kernarg_preload_offset 0
		.amdhsa_user_sgpr_private_segment_size 0
		.amdhsa_uses_dynamic_stack 0
		.amdhsa_enable_private_segment 0
		.amdhsa_system_sgpr_workgroup_id_x 1
		.amdhsa_system_sgpr_workgroup_id_y 0
		.amdhsa_system_sgpr_workgroup_id_z 0
		.amdhsa_system_sgpr_workgroup_info 0
		.amdhsa_system_vgpr_workitem_id 0
		.amdhsa_next_free_vgpr 1
		.amdhsa_next_free_sgpr 0
		.amdhsa_accum_offset 4
		.amdhsa_reserve_vcc 0
		.amdhsa_float_round_mode_32 0
		.amdhsa_float_round_mode_16_64 0
		.amdhsa_float_denorm_mode_32 3
		.amdhsa_float_denorm_mode_16_64 3
		.amdhsa_dx10_clamp 1
		.amdhsa_ieee_mode 1
		.amdhsa_fp16_overflow 0
		.amdhsa_tg_split 0
		.amdhsa_exception_fp_ieee_invalid_op 0
		.amdhsa_exception_fp_denorm_src 0
		.amdhsa_exception_fp_ieee_div_zero 0
		.amdhsa_exception_fp_ieee_overflow 0
		.amdhsa_exception_fp_ieee_underflow 0
		.amdhsa_exception_fp_ieee_inexact 0
		.amdhsa_exception_int_div_zero 0
	.end_amdhsa_kernel
	.section	.text._ZN7rocprim17ROCPRIM_400000_NS6detail17trampoline_kernelINS0_14default_configENS1_25partition_config_selectorILNS1_17partition_subalgoE9EllbEEZZNS1_14partition_implILS5_9ELb0ES3_jPlS8_PNS0_10empty_typeENS0_5tupleIJS8_S9_EEENSB_IJS8_SA_EEENS0_18inequality_wrapperIZN2at6native12_GLOBAL__N_124unique_dim_cuda_templateIjEESt5tupleIJNSF_6TensorESK_SK_EERKSK_lbbbEUlllE0_EEPmJS9_EEE10hipError_tPvRmT3_T4_T5_T6_T7_T9_mT8_P12ihipStream_tbDpT10_ENKUlT_T0_E_clISt17integral_constantIbLb0EES1A_EEDaS15_S16_EUlS15_E_NS1_11comp_targetILNS1_3genE5ELNS1_11target_archE942ELNS1_3gpuE9ELNS1_3repE0EEENS1_30default_config_static_selectorELNS0_4arch9wavefront6targetE1EEEvT1_,"axG",@progbits,_ZN7rocprim17ROCPRIM_400000_NS6detail17trampoline_kernelINS0_14default_configENS1_25partition_config_selectorILNS1_17partition_subalgoE9EllbEEZZNS1_14partition_implILS5_9ELb0ES3_jPlS8_PNS0_10empty_typeENS0_5tupleIJS8_S9_EEENSB_IJS8_SA_EEENS0_18inequality_wrapperIZN2at6native12_GLOBAL__N_124unique_dim_cuda_templateIjEESt5tupleIJNSF_6TensorESK_SK_EERKSK_lbbbEUlllE0_EEPmJS9_EEE10hipError_tPvRmT3_T4_T5_T6_T7_T9_mT8_P12ihipStream_tbDpT10_ENKUlT_T0_E_clISt17integral_constantIbLb0EES1A_EEDaS15_S16_EUlS15_E_NS1_11comp_targetILNS1_3genE5ELNS1_11target_archE942ELNS1_3gpuE9ELNS1_3repE0EEENS1_30default_config_static_selectorELNS0_4arch9wavefront6targetE1EEEvT1_,comdat
.Lfunc_end1574:
	.size	_ZN7rocprim17ROCPRIM_400000_NS6detail17trampoline_kernelINS0_14default_configENS1_25partition_config_selectorILNS1_17partition_subalgoE9EllbEEZZNS1_14partition_implILS5_9ELb0ES3_jPlS8_PNS0_10empty_typeENS0_5tupleIJS8_S9_EEENSB_IJS8_SA_EEENS0_18inequality_wrapperIZN2at6native12_GLOBAL__N_124unique_dim_cuda_templateIjEESt5tupleIJNSF_6TensorESK_SK_EERKSK_lbbbEUlllE0_EEPmJS9_EEE10hipError_tPvRmT3_T4_T5_T6_T7_T9_mT8_P12ihipStream_tbDpT10_ENKUlT_T0_E_clISt17integral_constantIbLb0EES1A_EEDaS15_S16_EUlS15_E_NS1_11comp_targetILNS1_3genE5ELNS1_11target_archE942ELNS1_3gpuE9ELNS1_3repE0EEENS1_30default_config_static_selectorELNS0_4arch9wavefront6targetE1EEEvT1_, .Lfunc_end1574-_ZN7rocprim17ROCPRIM_400000_NS6detail17trampoline_kernelINS0_14default_configENS1_25partition_config_selectorILNS1_17partition_subalgoE9EllbEEZZNS1_14partition_implILS5_9ELb0ES3_jPlS8_PNS0_10empty_typeENS0_5tupleIJS8_S9_EEENSB_IJS8_SA_EEENS0_18inequality_wrapperIZN2at6native12_GLOBAL__N_124unique_dim_cuda_templateIjEESt5tupleIJNSF_6TensorESK_SK_EERKSK_lbbbEUlllE0_EEPmJS9_EEE10hipError_tPvRmT3_T4_T5_T6_T7_T9_mT8_P12ihipStream_tbDpT10_ENKUlT_T0_E_clISt17integral_constantIbLb0EES1A_EEDaS15_S16_EUlS15_E_NS1_11comp_targetILNS1_3genE5ELNS1_11target_archE942ELNS1_3gpuE9ELNS1_3repE0EEENS1_30default_config_static_selectorELNS0_4arch9wavefront6targetE1EEEvT1_
                                        ; -- End function
	.set _ZN7rocprim17ROCPRIM_400000_NS6detail17trampoline_kernelINS0_14default_configENS1_25partition_config_selectorILNS1_17partition_subalgoE9EllbEEZZNS1_14partition_implILS5_9ELb0ES3_jPlS8_PNS0_10empty_typeENS0_5tupleIJS8_S9_EEENSB_IJS8_SA_EEENS0_18inequality_wrapperIZN2at6native12_GLOBAL__N_124unique_dim_cuda_templateIjEESt5tupleIJNSF_6TensorESK_SK_EERKSK_lbbbEUlllE0_EEPmJS9_EEE10hipError_tPvRmT3_T4_T5_T6_T7_T9_mT8_P12ihipStream_tbDpT10_ENKUlT_T0_E_clISt17integral_constantIbLb0EES1A_EEDaS15_S16_EUlS15_E_NS1_11comp_targetILNS1_3genE5ELNS1_11target_archE942ELNS1_3gpuE9ELNS1_3repE0EEENS1_30default_config_static_selectorELNS0_4arch9wavefront6targetE1EEEvT1_.num_vgpr, 0
	.set _ZN7rocprim17ROCPRIM_400000_NS6detail17trampoline_kernelINS0_14default_configENS1_25partition_config_selectorILNS1_17partition_subalgoE9EllbEEZZNS1_14partition_implILS5_9ELb0ES3_jPlS8_PNS0_10empty_typeENS0_5tupleIJS8_S9_EEENSB_IJS8_SA_EEENS0_18inequality_wrapperIZN2at6native12_GLOBAL__N_124unique_dim_cuda_templateIjEESt5tupleIJNSF_6TensorESK_SK_EERKSK_lbbbEUlllE0_EEPmJS9_EEE10hipError_tPvRmT3_T4_T5_T6_T7_T9_mT8_P12ihipStream_tbDpT10_ENKUlT_T0_E_clISt17integral_constantIbLb0EES1A_EEDaS15_S16_EUlS15_E_NS1_11comp_targetILNS1_3genE5ELNS1_11target_archE942ELNS1_3gpuE9ELNS1_3repE0EEENS1_30default_config_static_selectorELNS0_4arch9wavefront6targetE1EEEvT1_.num_agpr, 0
	.set _ZN7rocprim17ROCPRIM_400000_NS6detail17trampoline_kernelINS0_14default_configENS1_25partition_config_selectorILNS1_17partition_subalgoE9EllbEEZZNS1_14partition_implILS5_9ELb0ES3_jPlS8_PNS0_10empty_typeENS0_5tupleIJS8_S9_EEENSB_IJS8_SA_EEENS0_18inequality_wrapperIZN2at6native12_GLOBAL__N_124unique_dim_cuda_templateIjEESt5tupleIJNSF_6TensorESK_SK_EERKSK_lbbbEUlllE0_EEPmJS9_EEE10hipError_tPvRmT3_T4_T5_T6_T7_T9_mT8_P12ihipStream_tbDpT10_ENKUlT_T0_E_clISt17integral_constantIbLb0EES1A_EEDaS15_S16_EUlS15_E_NS1_11comp_targetILNS1_3genE5ELNS1_11target_archE942ELNS1_3gpuE9ELNS1_3repE0EEENS1_30default_config_static_selectorELNS0_4arch9wavefront6targetE1EEEvT1_.numbered_sgpr, 0
	.set _ZN7rocprim17ROCPRIM_400000_NS6detail17trampoline_kernelINS0_14default_configENS1_25partition_config_selectorILNS1_17partition_subalgoE9EllbEEZZNS1_14partition_implILS5_9ELb0ES3_jPlS8_PNS0_10empty_typeENS0_5tupleIJS8_S9_EEENSB_IJS8_SA_EEENS0_18inequality_wrapperIZN2at6native12_GLOBAL__N_124unique_dim_cuda_templateIjEESt5tupleIJNSF_6TensorESK_SK_EERKSK_lbbbEUlllE0_EEPmJS9_EEE10hipError_tPvRmT3_T4_T5_T6_T7_T9_mT8_P12ihipStream_tbDpT10_ENKUlT_T0_E_clISt17integral_constantIbLb0EES1A_EEDaS15_S16_EUlS15_E_NS1_11comp_targetILNS1_3genE5ELNS1_11target_archE942ELNS1_3gpuE9ELNS1_3repE0EEENS1_30default_config_static_selectorELNS0_4arch9wavefront6targetE1EEEvT1_.num_named_barrier, 0
	.set _ZN7rocprim17ROCPRIM_400000_NS6detail17trampoline_kernelINS0_14default_configENS1_25partition_config_selectorILNS1_17partition_subalgoE9EllbEEZZNS1_14partition_implILS5_9ELb0ES3_jPlS8_PNS0_10empty_typeENS0_5tupleIJS8_S9_EEENSB_IJS8_SA_EEENS0_18inequality_wrapperIZN2at6native12_GLOBAL__N_124unique_dim_cuda_templateIjEESt5tupleIJNSF_6TensorESK_SK_EERKSK_lbbbEUlllE0_EEPmJS9_EEE10hipError_tPvRmT3_T4_T5_T6_T7_T9_mT8_P12ihipStream_tbDpT10_ENKUlT_T0_E_clISt17integral_constantIbLb0EES1A_EEDaS15_S16_EUlS15_E_NS1_11comp_targetILNS1_3genE5ELNS1_11target_archE942ELNS1_3gpuE9ELNS1_3repE0EEENS1_30default_config_static_selectorELNS0_4arch9wavefront6targetE1EEEvT1_.private_seg_size, 0
	.set _ZN7rocprim17ROCPRIM_400000_NS6detail17trampoline_kernelINS0_14default_configENS1_25partition_config_selectorILNS1_17partition_subalgoE9EllbEEZZNS1_14partition_implILS5_9ELb0ES3_jPlS8_PNS0_10empty_typeENS0_5tupleIJS8_S9_EEENSB_IJS8_SA_EEENS0_18inequality_wrapperIZN2at6native12_GLOBAL__N_124unique_dim_cuda_templateIjEESt5tupleIJNSF_6TensorESK_SK_EERKSK_lbbbEUlllE0_EEPmJS9_EEE10hipError_tPvRmT3_T4_T5_T6_T7_T9_mT8_P12ihipStream_tbDpT10_ENKUlT_T0_E_clISt17integral_constantIbLb0EES1A_EEDaS15_S16_EUlS15_E_NS1_11comp_targetILNS1_3genE5ELNS1_11target_archE942ELNS1_3gpuE9ELNS1_3repE0EEENS1_30default_config_static_selectorELNS0_4arch9wavefront6targetE1EEEvT1_.uses_vcc, 0
	.set _ZN7rocprim17ROCPRIM_400000_NS6detail17trampoline_kernelINS0_14default_configENS1_25partition_config_selectorILNS1_17partition_subalgoE9EllbEEZZNS1_14partition_implILS5_9ELb0ES3_jPlS8_PNS0_10empty_typeENS0_5tupleIJS8_S9_EEENSB_IJS8_SA_EEENS0_18inequality_wrapperIZN2at6native12_GLOBAL__N_124unique_dim_cuda_templateIjEESt5tupleIJNSF_6TensorESK_SK_EERKSK_lbbbEUlllE0_EEPmJS9_EEE10hipError_tPvRmT3_T4_T5_T6_T7_T9_mT8_P12ihipStream_tbDpT10_ENKUlT_T0_E_clISt17integral_constantIbLb0EES1A_EEDaS15_S16_EUlS15_E_NS1_11comp_targetILNS1_3genE5ELNS1_11target_archE942ELNS1_3gpuE9ELNS1_3repE0EEENS1_30default_config_static_selectorELNS0_4arch9wavefront6targetE1EEEvT1_.uses_flat_scratch, 0
	.set _ZN7rocprim17ROCPRIM_400000_NS6detail17trampoline_kernelINS0_14default_configENS1_25partition_config_selectorILNS1_17partition_subalgoE9EllbEEZZNS1_14partition_implILS5_9ELb0ES3_jPlS8_PNS0_10empty_typeENS0_5tupleIJS8_S9_EEENSB_IJS8_SA_EEENS0_18inequality_wrapperIZN2at6native12_GLOBAL__N_124unique_dim_cuda_templateIjEESt5tupleIJNSF_6TensorESK_SK_EERKSK_lbbbEUlllE0_EEPmJS9_EEE10hipError_tPvRmT3_T4_T5_T6_T7_T9_mT8_P12ihipStream_tbDpT10_ENKUlT_T0_E_clISt17integral_constantIbLb0EES1A_EEDaS15_S16_EUlS15_E_NS1_11comp_targetILNS1_3genE5ELNS1_11target_archE942ELNS1_3gpuE9ELNS1_3repE0EEENS1_30default_config_static_selectorELNS0_4arch9wavefront6targetE1EEEvT1_.has_dyn_sized_stack, 0
	.set _ZN7rocprim17ROCPRIM_400000_NS6detail17trampoline_kernelINS0_14default_configENS1_25partition_config_selectorILNS1_17partition_subalgoE9EllbEEZZNS1_14partition_implILS5_9ELb0ES3_jPlS8_PNS0_10empty_typeENS0_5tupleIJS8_S9_EEENSB_IJS8_SA_EEENS0_18inequality_wrapperIZN2at6native12_GLOBAL__N_124unique_dim_cuda_templateIjEESt5tupleIJNSF_6TensorESK_SK_EERKSK_lbbbEUlllE0_EEPmJS9_EEE10hipError_tPvRmT3_T4_T5_T6_T7_T9_mT8_P12ihipStream_tbDpT10_ENKUlT_T0_E_clISt17integral_constantIbLb0EES1A_EEDaS15_S16_EUlS15_E_NS1_11comp_targetILNS1_3genE5ELNS1_11target_archE942ELNS1_3gpuE9ELNS1_3repE0EEENS1_30default_config_static_selectorELNS0_4arch9wavefront6targetE1EEEvT1_.has_recursion, 0
	.set _ZN7rocprim17ROCPRIM_400000_NS6detail17trampoline_kernelINS0_14default_configENS1_25partition_config_selectorILNS1_17partition_subalgoE9EllbEEZZNS1_14partition_implILS5_9ELb0ES3_jPlS8_PNS0_10empty_typeENS0_5tupleIJS8_S9_EEENSB_IJS8_SA_EEENS0_18inequality_wrapperIZN2at6native12_GLOBAL__N_124unique_dim_cuda_templateIjEESt5tupleIJNSF_6TensorESK_SK_EERKSK_lbbbEUlllE0_EEPmJS9_EEE10hipError_tPvRmT3_T4_T5_T6_T7_T9_mT8_P12ihipStream_tbDpT10_ENKUlT_T0_E_clISt17integral_constantIbLb0EES1A_EEDaS15_S16_EUlS15_E_NS1_11comp_targetILNS1_3genE5ELNS1_11target_archE942ELNS1_3gpuE9ELNS1_3repE0EEENS1_30default_config_static_selectorELNS0_4arch9wavefront6targetE1EEEvT1_.has_indirect_call, 0
	.section	.AMDGPU.csdata,"",@progbits
; Kernel info:
; codeLenInByte = 0
; TotalNumSgprs: 6
; NumVgprs: 0
; NumAgprs: 0
; TotalNumVgprs: 0
; ScratchSize: 0
; MemoryBound: 0
; FloatMode: 240
; IeeeMode: 1
; LDSByteSize: 0 bytes/workgroup (compile time only)
; SGPRBlocks: 0
; VGPRBlocks: 0
; NumSGPRsForWavesPerEU: 6
; NumVGPRsForWavesPerEU: 1
; AccumOffset: 4
; Occupancy: 8
; WaveLimiterHint : 0
; COMPUTE_PGM_RSRC2:SCRATCH_EN: 0
; COMPUTE_PGM_RSRC2:USER_SGPR: 2
; COMPUTE_PGM_RSRC2:TRAP_HANDLER: 0
; COMPUTE_PGM_RSRC2:TGID_X_EN: 1
; COMPUTE_PGM_RSRC2:TGID_Y_EN: 0
; COMPUTE_PGM_RSRC2:TGID_Z_EN: 0
; COMPUTE_PGM_RSRC2:TIDIG_COMP_CNT: 0
; COMPUTE_PGM_RSRC3_GFX90A:ACCUM_OFFSET: 0
; COMPUTE_PGM_RSRC3_GFX90A:TG_SPLIT: 0
	.section	.text._ZN7rocprim17ROCPRIM_400000_NS6detail17trampoline_kernelINS0_14default_configENS1_25partition_config_selectorILNS1_17partition_subalgoE9EllbEEZZNS1_14partition_implILS5_9ELb0ES3_jPlS8_PNS0_10empty_typeENS0_5tupleIJS8_S9_EEENSB_IJS8_SA_EEENS0_18inequality_wrapperIZN2at6native12_GLOBAL__N_124unique_dim_cuda_templateIjEESt5tupleIJNSF_6TensorESK_SK_EERKSK_lbbbEUlllE0_EEPmJS9_EEE10hipError_tPvRmT3_T4_T5_T6_T7_T9_mT8_P12ihipStream_tbDpT10_ENKUlT_T0_E_clISt17integral_constantIbLb0EES1A_EEDaS15_S16_EUlS15_E_NS1_11comp_targetILNS1_3genE4ELNS1_11target_archE910ELNS1_3gpuE8ELNS1_3repE0EEENS1_30default_config_static_selectorELNS0_4arch9wavefront6targetE1EEEvT1_,"axG",@progbits,_ZN7rocprim17ROCPRIM_400000_NS6detail17trampoline_kernelINS0_14default_configENS1_25partition_config_selectorILNS1_17partition_subalgoE9EllbEEZZNS1_14partition_implILS5_9ELb0ES3_jPlS8_PNS0_10empty_typeENS0_5tupleIJS8_S9_EEENSB_IJS8_SA_EEENS0_18inequality_wrapperIZN2at6native12_GLOBAL__N_124unique_dim_cuda_templateIjEESt5tupleIJNSF_6TensorESK_SK_EERKSK_lbbbEUlllE0_EEPmJS9_EEE10hipError_tPvRmT3_T4_T5_T6_T7_T9_mT8_P12ihipStream_tbDpT10_ENKUlT_T0_E_clISt17integral_constantIbLb0EES1A_EEDaS15_S16_EUlS15_E_NS1_11comp_targetILNS1_3genE4ELNS1_11target_archE910ELNS1_3gpuE8ELNS1_3repE0EEENS1_30default_config_static_selectorELNS0_4arch9wavefront6targetE1EEEvT1_,comdat
	.globl	_ZN7rocprim17ROCPRIM_400000_NS6detail17trampoline_kernelINS0_14default_configENS1_25partition_config_selectorILNS1_17partition_subalgoE9EllbEEZZNS1_14partition_implILS5_9ELb0ES3_jPlS8_PNS0_10empty_typeENS0_5tupleIJS8_S9_EEENSB_IJS8_SA_EEENS0_18inequality_wrapperIZN2at6native12_GLOBAL__N_124unique_dim_cuda_templateIjEESt5tupleIJNSF_6TensorESK_SK_EERKSK_lbbbEUlllE0_EEPmJS9_EEE10hipError_tPvRmT3_T4_T5_T6_T7_T9_mT8_P12ihipStream_tbDpT10_ENKUlT_T0_E_clISt17integral_constantIbLb0EES1A_EEDaS15_S16_EUlS15_E_NS1_11comp_targetILNS1_3genE4ELNS1_11target_archE910ELNS1_3gpuE8ELNS1_3repE0EEENS1_30default_config_static_selectorELNS0_4arch9wavefront6targetE1EEEvT1_ ; -- Begin function _ZN7rocprim17ROCPRIM_400000_NS6detail17trampoline_kernelINS0_14default_configENS1_25partition_config_selectorILNS1_17partition_subalgoE9EllbEEZZNS1_14partition_implILS5_9ELb0ES3_jPlS8_PNS0_10empty_typeENS0_5tupleIJS8_S9_EEENSB_IJS8_SA_EEENS0_18inequality_wrapperIZN2at6native12_GLOBAL__N_124unique_dim_cuda_templateIjEESt5tupleIJNSF_6TensorESK_SK_EERKSK_lbbbEUlllE0_EEPmJS9_EEE10hipError_tPvRmT3_T4_T5_T6_T7_T9_mT8_P12ihipStream_tbDpT10_ENKUlT_T0_E_clISt17integral_constantIbLb0EES1A_EEDaS15_S16_EUlS15_E_NS1_11comp_targetILNS1_3genE4ELNS1_11target_archE910ELNS1_3gpuE8ELNS1_3repE0EEENS1_30default_config_static_selectorELNS0_4arch9wavefront6targetE1EEEvT1_
	.p2align	8
	.type	_ZN7rocprim17ROCPRIM_400000_NS6detail17trampoline_kernelINS0_14default_configENS1_25partition_config_selectorILNS1_17partition_subalgoE9EllbEEZZNS1_14partition_implILS5_9ELb0ES3_jPlS8_PNS0_10empty_typeENS0_5tupleIJS8_S9_EEENSB_IJS8_SA_EEENS0_18inequality_wrapperIZN2at6native12_GLOBAL__N_124unique_dim_cuda_templateIjEESt5tupleIJNSF_6TensorESK_SK_EERKSK_lbbbEUlllE0_EEPmJS9_EEE10hipError_tPvRmT3_T4_T5_T6_T7_T9_mT8_P12ihipStream_tbDpT10_ENKUlT_T0_E_clISt17integral_constantIbLb0EES1A_EEDaS15_S16_EUlS15_E_NS1_11comp_targetILNS1_3genE4ELNS1_11target_archE910ELNS1_3gpuE8ELNS1_3repE0EEENS1_30default_config_static_selectorELNS0_4arch9wavefront6targetE1EEEvT1_,@function
_ZN7rocprim17ROCPRIM_400000_NS6detail17trampoline_kernelINS0_14default_configENS1_25partition_config_selectorILNS1_17partition_subalgoE9EllbEEZZNS1_14partition_implILS5_9ELb0ES3_jPlS8_PNS0_10empty_typeENS0_5tupleIJS8_S9_EEENSB_IJS8_SA_EEENS0_18inequality_wrapperIZN2at6native12_GLOBAL__N_124unique_dim_cuda_templateIjEESt5tupleIJNSF_6TensorESK_SK_EERKSK_lbbbEUlllE0_EEPmJS9_EEE10hipError_tPvRmT3_T4_T5_T6_T7_T9_mT8_P12ihipStream_tbDpT10_ENKUlT_T0_E_clISt17integral_constantIbLb0EES1A_EEDaS15_S16_EUlS15_E_NS1_11comp_targetILNS1_3genE4ELNS1_11target_archE910ELNS1_3gpuE8ELNS1_3repE0EEENS1_30default_config_static_selectorELNS0_4arch9wavefront6targetE1EEEvT1_: ; @_ZN7rocprim17ROCPRIM_400000_NS6detail17trampoline_kernelINS0_14default_configENS1_25partition_config_selectorILNS1_17partition_subalgoE9EllbEEZZNS1_14partition_implILS5_9ELb0ES3_jPlS8_PNS0_10empty_typeENS0_5tupleIJS8_S9_EEENSB_IJS8_SA_EEENS0_18inequality_wrapperIZN2at6native12_GLOBAL__N_124unique_dim_cuda_templateIjEESt5tupleIJNSF_6TensorESK_SK_EERKSK_lbbbEUlllE0_EEPmJS9_EEE10hipError_tPvRmT3_T4_T5_T6_T7_T9_mT8_P12ihipStream_tbDpT10_ENKUlT_T0_E_clISt17integral_constantIbLb0EES1A_EEDaS15_S16_EUlS15_E_NS1_11comp_targetILNS1_3genE4ELNS1_11target_archE910ELNS1_3gpuE8ELNS1_3repE0EEENS1_30default_config_static_selectorELNS0_4arch9wavefront6targetE1EEEvT1_
; %bb.0:
	.section	.rodata,"a",@progbits
	.p2align	6, 0x0
	.amdhsa_kernel _ZN7rocprim17ROCPRIM_400000_NS6detail17trampoline_kernelINS0_14default_configENS1_25partition_config_selectorILNS1_17partition_subalgoE9EllbEEZZNS1_14partition_implILS5_9ELb0ES3_jPlS8_PNS0_10empty_typeENS0_5tupleIJS8_S9_EEENSB_IJS8_SA_EEENS0_18inequality_wrapperIZN2at6native12_GLOBAL__N_124unique_dim_cuda_templateIjEESt5tupleIJNSF_6TensorESK_SK_EERKSK_lbbbEUlllE0_EEPmJS9_EEE10hipError_tPvRmT3_T4_T5_T6_T7_T9_mT8_P12ihipStream_tbDpT10_ENKUlT_T0_E_clISt17integral_constantIbLb0EES1A_EEDaS15_S16_EUlS15_E_NS1_11comp_targetILNS1_3genE4ELNS1_11target_archE910ELNS1_3gpuE8ELNS1_3repE0EEENS1_30default_config_static_selectorELNS0_4arch9wavefront6targetE1EEEvT1_
		.amdhsa_group_segment_fixed_size 0
		.amdhsa_private_segment_fixed_size 0
		.amdhsa_kernarg_size 120
		.amdhsa_user_sgpr_count 2
		.amdhsa_user_sgpr_dispatch_ptr 0
		.amdhsa_user_sgpr_queue_ptr 0
		.amdhsa_user_sgpr_kernarg_segment_ptr 1
		.amdhsa_user_sgpr_dispatch_id 0
		.amdhsa_user_sgpr_kernarg_preload_length 0
		.amdhsa_user_sgpr_kernarg_preload_offset 0
		.amdhsa_user_sgpr_private_segment_size 0
		.amdhsa_uses_dynamic_stack 0
		.amdhsa_enable_private_segment 0
		.amdhsa_system_sgpr_workgroup_id_x 1
		.amdhsa_system_sgpr_workgroup_id_y 0
		.amdhsa_system_sgpr_workgroup_id_z 0
		.amdhsa_system_sgpr_workgroup_info 0
		.amdhsa_system_vgpr_workitem_id 0
		.amdhsa_next_free_vgpr 1
		.amdhsa_next_free_sgpr 0
		.amdhsa_accum_offset 4
		.amdhsa_reserve_vcc 0
		.amdhsa_float_round_mode_32 0
		.amdhsa_float_round_mode_16_64 0
		.amdhsa_float_denorm_mode_32 3
		.amdhsa_float_denorm_mode_16_64 3
		.amdhsa_dx10_clamp 1
		.amdhsa_ieee_mode 1
		.amdhsa_fp16_overflow 0
		.amdhsa_tg_split 0
		.amdhsa_exception_fp_ieee_invalid_op 0
		.amdhsa_exception_fp_denorm_src 0
		.amdhsa_exception_fp_ieee_div_zero 0
		.amdhsa_exception_fp_ieee_overflow 0
		.amdhsa_exception_fp_ieee_underflow 0
		.amdhsa_exception_fp_ieee_inexact 0
		.amdhsa_exception_int_div_zero 0
	.end_amdhsa_kernel
	.section	.text._ZN7rocprim17ROCPRIM_400000_NS6detail17trampoline_kernelINS0_14default_configENS1_25partition_config_selectorILNS1_17partition_subalgoE9EllbEEZZNS1_14partition_implILS5_9ELb0ES3_jPlS8_PNS0_10empty_typeENS0_5tupleIJS8_S9_EEENSB_IJS8_SA_EEENS0_18inequality_wrapperIZN2at6native12_GLOBAL__N_124unique_dim_cuda_templateIjEESt5tupleIJNSF_6TensorESK_SK_EERKSK_lbbbEUlllE0_EEPmJS9_EEE10hipError_tPvRmT3_T4_T5_T6_T7_T9_mT8_P12ihipStream_tbDpT10_ENKUlT_T0_E_clISt17integral_constantIbLb0EES1A_EEDaS15_S16_EUlS15_E_NS1_11comp_targetILNS1_3genE4ELNS1_11target_archE910ELNS1_3gpuE8ELNS1_3repE0EEENS1_30default_config_static_selectorELNS0_4arch9wavefront6targetE1EEEvT1_,"axG",@progbits,_ZN7rocprim17ROCPRIM_400000_NS6detail17trampoline_kernelINS0_14default_configENS1_25partition_config_selectorILNS1_17partition_subalgoE9EllbEEZZNS1_14partition_implILS5_9ELb0ES3_jPlS8_PNS0_10empty_typeENS0_5tupleIJS8_S9_EEENSB_IJS8_SA_EEENS0_18inequality_wrapperIZN2at6native12_GLOBAL__N_124unique_dim_cuda_templateIjEESt5tupleIJNSF_6TensorESK_SK_EERKSK_lbbbEUlllE0_EEPmJS9_EEE10hipError_tPvRmT3_T4_T5_T6_T7_T9_mT8_P12ihipStream_tbDpT10_ENKUlT_T0_E_clISt17integral_constantIbLb0EES1A_EEDaS15_S16_EUlS15_E_NS1_11comp_targetILNS1_3genE4ELNS1_11target_archE910ELNS1_3gpuE8ELNS1_3repE0EEENS1_30default_config_static_selectorELNS0_4arch9wavefront6targetE1EEEvT1_,comdat
.Lfunc_end1575:
	.size	_ZN7rocprim17ROCPRIM_400000_NS6detail17trampoline_kernelINS0_14default_configENS1_25partition_config_selectorILNS1_17partition_subalgoE9EllbEEZZNS1_14partition_implILS5_9ELb0ES3_jPlS8_PNS0_10empty_typeENS0_5tupleIJS8_S9_EEENSB_IJS8_SA_EEENS0_18inequality_wrapperIZN2at6native12_GLOBAL__N_124unique_dim_cuda_templateIjEESt5tupleIJNSF_6TensorESK_SK_EERKSK_lbbbEUlllE0_EEPmJS9_EEE10hipError_tPvRmT3_T4_T5_T6_T7_T9_mT8_P12ihipStream_tbDpT10_ENKUlT_T0_E_clISt17integral_constantIbLb0EES1A_EEDaS15_S16_EUlS15_E_NS1_11comp_targetILNS1_3genE4ELNS1_11target_archE910ELNS1_3gpuE8ELNS1_3repE0EEENS1_30default_config_static_selectorELNS0_4arch9wavefront6targetE1EEEvT1_, .Lfunc_end1575-_ZN7rocprim17ROCPRIM_400000_NS6detail17trampoline_kernelINS0_14default_configENS1_25partition_config_selectorILNS1_17partition_subalgoE9EllbEEZZNS1_14partition_implILS5_9ELb0ES3_jPlS8_PNS0_10empty_typeENS0_5tupleIJS8_S9_EEENSB_IJS8_SA_EEENS0_18inequality_wrapperIZN2at6native12_GLOBAL__N_124unique_dim_cuda_templateIjEESt5tupleIJNSF_6TensorESK_SK_EERKSK_lbbbEUlllE0_EEPmJS9_EEE10hipError_tPvRmT3_T4_T5_T6_T7_T9_mT8_P12ihipStream_tbDpT10_ENKUlT_T0_E_clISt17integral_constantIbLb0EES1A_EEDaS15_S16_EUlS15_E_NS1_11comp_targetILNS1_3genE4ELNS1_11target_archE910ELNS1_3gpuE8ELNS1_3repE0EEENS1_30default_config_static_selectorELNS0_4arch9wavefront6targetE1EEEvT1_
                                        ; -- End function
	.set _ZN7rocprim17ROCPRIM_400000_NS6detail17trampoline_kernelINS0_14default_configENS1_25partition_config_selectorILNS1_17partition_subalgoE9EllbEEZZNS1_14partition_implILS5_9ELb0ES3_jPlS8_PNS0_10empty_typeENS0_5tupleIJS8_S9_EEENSB_IJS8_SA_EEENS0_18inequality_wrapperIZN2at6native12_GLOBAL__N_124unique_dim_cuda_templateIjEESt5tupleIJNSF_6TensorESK_SK_EERKSK_lbbbEUlllE0_EEPmJS9_EEE10hipError_tPvRmT3_T4_T5_T6_T7_T9_mT8_P12ihipStream_tbDpT10_ENKUlT_T0_E_clISt17integral_constantIbLb0EES1A_EEDaS15_S16_EUlS15_E_NS1_11comp_targetILNS1_3genE4ELNS1_11target_archE910ELNS1_3gpuE8ELNS1_3repE0EEENS1_30default_config_static_selectorELNS0_4arch9wavefront6targetE1EEEvT1_.num_vgpr, 0
	.set _ZN7rocprim17ROCPRIM_400000_NS6detail17trampoline_kernelINS0_14default_configENS1_25partition_config_selectorILNS1_17partition_subalgoE9EllbEEZZNS1_14partition_implILS5_9ELb0ES3_jPlS8_PNS0_10empty_typeENS0_5tupleIJS8_S9_EEENSB_IJS8_SA_EEENS0_18inequality_wrapperIZN2at6native12_GLOBAL__N_124unique_dim_cuda_templateIjEESt5tupleIJNSF_6TensorESK_SK_EERKSK_lbbbEUlllE0_EEPmJS9_EEE10hipError_tPvRmT3_T4_T5_T6_T7_T9_mT8_P12ihipStream_tbDpT10_ENKUlT_T0_E_clISt17integral_constantIbLb0EES1A_EEDaS15_S16_EUlS15_E_NS1_11comp_targetILNS1_3genE4ELNS1_11target_archE910ELNS1_3gpuE8ELNS1_3repE0EEENS1_30default_config_static_selectorELNS0_4arch9wavefront6targetE1EEEvT1_.num_agpr, 0
	.set _ZN7rocprim17ROCPRIM_400000_NS6detail17trampoline_kernelINS0_14default_configENS1_25partition_config_selectorILNS1_17partition_subalgoE9EllbEEZZNS1_14partition_implILS5_9ELb0ES3_jPlS8_PNS0_10empty_typeENS0_5tupleIJS8_S9_EEENSB_IJS8_SA_EEENS0_18inequality_wrapperIZN2at6native12_GLOBAL__N_124unique_dim_cuda_templateIjEESt5tupleIJNSF_6TensorESK_SK_EERKSK_lbbbEUlllE0_EEPmJS9_EEE10hipError_tPvRmT3_T4_T5_T6_T7_T9_mT8_P12ihipStream_tbDpT10_ENKUlT_T0_E_clISt17integral_constantIbLb0EES1A_EEDaS15_S16_EUlS15_E_NS1_11comp_targetILNS1_3genE4ELNS1_11target_archE910ELNS1_3gpuE8ELNS1_3repE0EEENS1_30default_config_static_selectorELNS0_4arch9wavefront6targetE1EEEvT1_.numbered_sgpr, 0
	.set _ZN7rocprim17ROCPRIM_400000_NS6detail17trampoline_kernelINS0_14default_configENS1_25partition_config_selectorILNS1_17partition_subalgoE9EllbEEZZNS1_14partition_implILS5_9ELb0ES3_jPlS8_PNS0_10empty_typeENS0_5tupleIJS8_S9_EEENSB_IJS8_SA_EEENS0_18inequality_wrapperIZN2at6native12_GLOBAL__N_124unique_dim_cuda_templateIjEESt5tupleIJNSF_6TensorESK_SK_EERKSK_lbbbEUlllE0_EEPmJS9_EEE10hipError_tPvRmT3_T4_T5_T6_T7_T9_mT8_P12ihipStream_tbDpT10_ENKUlT_T0_E_clISt17integral_constantIbLb0EES1A_EEDaS15_S16_EUlS15_E_NS1_11comp_targetILNS1_3genE4ELNS1_11target_archE910ELNS1_3gpuE8ELNS1_3repE0EEENS1_30default_config_static_selectorELNS0_4arch9wavefront6targetE1EEEvT1_.num_named_barrier, 0
	.set _ZN7rocprim17ROCPRIM_400000_NS6detail17trampoline_kernelINS0_14default_configENS1_25partition_config_selectorILNS1_17partition_subalgoE9EllbEEZZNS1_14partition_implILS5_9ELb0ES3_jPlS8_PNS0_10empty_typeENS0_5tupleIJS8_S9_EEENSB_IJS8_SA_EEENS0_18inequality_wrapperIZN2at6native12_GLOBAL__N_124unique_dim_cuda_templateIjEESt5tupleIJNSF_6TensorESK_SK_EERKSK_lbbbEUlllE0_EEPmJS9_EEE10hipError_tPvRmT3_T4_T5_T6_T7_T9_mT8_P12ihipStream_tbDpT10_ENKUlT_T0_E_clISt17integral_constantIbLb0EES1A_EEDaS15_S16_EUlS15_E_NS1_11comp_targetILNS1_3genE4ELNS1_11target_archE910ELNS1_3gpuE8ELNS1_3repE0EEENS1_30default_config_static_selectorELNS0_4arch9wavefront6targetE1EEEvT1_.private_seg_size, 0
	.set _ZN7rocprim17ROCPRIM_400000_NS6detail17trampoline_kernelINS0_14default_configENS1_25partition_config_selectorILNS1_17partition_subalgoE9EllbEEZZNS1_14partition_implILS5_9ELb0ES3_jPlS8_PNS0_10empty_typeENS0_5tupleIJS8_S9_EEENSB_IJS8_SA_EEENS0_18inequality_wrapperIZN2at6native12_GLOBAL__N_124unique_dim_cuda_templateIjEESt5tupleIJNSF_6TensorESK_SK_EERKSK_lbbbEUlllE0_EEPmJS9_EEE10hipError_tPvRmT3_T4_T5_T6_T7_T9_mT8_P12ihipStream_tbDpT10_ENKUlT_T0_E_clISt17integral_constantIbLb0EES1A_EEDaS15_S16_EUlS15_E_NS1_11comp_targetILNS1_3genE4ELNS1_11target_archE910ELNS1_3gpuE8ELNS1_3repE0EEENS1_30default_config_static_selectorELNS0_4arch9wavefront6targetE1EEEvT1_.uses_vcc, 0
	.set _ZN7rocprim17ROCPRIM_400000_NS6detail17trampoline_kernelINS0_14default_configENS1_25partition_config_selectorILNS1_17partition_subalgoE9EllbEEZZNS1_14partition_implILS5_9ELb0ES3_jPlS8_PNS0_10empty_typeENS0_5tupleIJS8_S9_EEENSB_IJS8_SA_EEENS0_18inequality_wrapperIZN2at6native12_GLOBAL__N_124unique_dim_cuda_templateIjEESt5tupleIJNSF_6TensorESK_SK_EERKSK_lbbbEUlllE0_EEPmJS9_EEE10hipError_tPvRmT3_T4_T5_T6_T7_T9_mT8_P12ihipStream_tbDpT10_ENKUlT_T0_E_clISt17integral_constantIbLb0EES1A_EEDaS15_S16_EUlS15_E_NS1_11comp_targetILNS1_3genE4ELNS1_11target_archE910ELNS1_3gpuE8ELNS1_3repE0EEENS1_30default_config_static_selectorELNS0_4arch9wavefront6targetE1EEEvT1_.uses_flat_scratch, 0
	.set _ZN7rocprim17ROCPRIM_400000_NS6detail17trampoline_kernelINS0_14default_configENS1_25partition_config_selectorILNS1_17partition_subalgoE9EllbEEZZNS1_14partition_implILS5_9ELb0ES3_jPlS8_PNS0_10empty_typeENS0_5tupleIJS8_S9_EEENSB_IJS8_SA_EEENS0_18inequality_wrapperIZN2at6native12_GLOBAL__N_124unique_dim_cuda_templateIjEESt5tupleIJNSF_6TensorESK_SK_EERKSK_lbbbEUlllE0_EEPmJS9_EEE10hipError_tPvRmT3_T4_T5_T6_T7_T9_mT8_P12ihipStream_tbDpT10_ENKUlT_T0_E_clISt17integral_constantIbLb0EES1A_EEDaS15_S16_EUlS15_E_NS1_11comp_targetILNS1_3genE4ELNS1_11target_archE910ELNS1_3gpuE8ELNS1_3repE0EEENS1_30default_config_static_selectorELNS0_4arch9wavefront6targetE1EEEvT1_.has_dyn_sized_stack, 0
	.set _ZN7rocprim17ROCPRIM_400000_NS6detail17trampoline_kernelINS0_14default_configENS1_25partition_config_selectorILNS1_17partition_subalgoE9EllbEEZZNS1_14partition_implILS5_9ELb0ES3_jPlS8_PNS0_10empty_typeENS0_5tupleIJS8_S9_EEENSB_IJS8_SA_EEENS0_18inequality_wrapperIZN2at6native12_GLOBAL__N_124unique_dim_cuda_templateIjEESt5tupleIJNSF_6TensorESK_SK_EERKSK_lbbbEUlllE0_EEPmJS9_EEE10hipError_tPvRmT3_T4_T5_T6_T7_T9_mT8_P12ihipStream_tbDpT10_ENKUlT_T0_E_clISt17integral_constantIbLb0EES1A_EEDaS15_S16_EUlS15_E_NS1_11comp_targetILNS1_3genE4ELNS1_11target_archE910ELNS1_3gpuE8ELNS1_3repE0EEENS1_30default_config_static_selectorELNS0_4arch9wavefront6targetE1EEEvT1_.has_recursion, 0
	.set _ZN7rocprim17ROCPRIM_400000_NS6detail17trampoline_kernelINS0_14default_configENS1_25partition_config_selectorILNS1_17partition_subalgoE9EllbEEZZNS1_14partition_implILS5_9ELb0ES3_jPlS8_PNS0_10empty_typeENS0_5tupleIJS8_S9_EEENSB_IJS8_SA_EEENS0_18inequality_wrapperIZN2at6native12_GLOBAL__N_124unique_dim_cuda_templateIjEESt5tupleIJNSF_6TensorESK_SK_EERKSK_lbbbEUlllE0_EEPmJS9_EEE10hipError_tPvRmT3_T4_T5_T6_T7_T9_mT8_P12ihipStream_tbDpT10_ENKUlT_T0_E_clISt17integral_constantIbLb0EES1A_EEDaS15_S16_EUlS15_E_NS1_11comp_targetILNS1_3genE4ELNS1_11target_archE910ELNS1_3gpuE8ELNS1_3repE0EEENS1_30default_config_static_selectorELNS0_4arch9wavefront6targetE1EEEvT1_.has_indirect_call, 0
	.section	.AMDGPU.csdata,"",@progbits
; Kernel info:
; codeLenInByte = 0
; TotalNumSgprs: 6
; NumVgprs: 0
; NumAgprs: 0
; TotalNumVgprs: 0
; ScratchSize: 0
; MemoryBound: 0
; FloatMode: 240
; IeeeMode: 1
; LDSByteSize: 0 bytes/workgroup (compile time only)
; SGPRBlocks: 0
; VGPRBlocks: 0
; NumSGPRsForWavesPerEU: 6
; NumVGPRsForWavesPerEU: 1
; AccumOffset: 4
; Occupancy: 8
; WaveLimiterHint : 0
; COMPUTE_PGM_RSRC2:SCRATCH_EN: 0
; COMPUTE_PGM_RSRC2:USER_SGPR: 2
; COMPUTE_PGM_RSRC2:TRAP_HANDLER: 0
; COMPUTE_PGM_RSRC2:TGID_X_EN: 1
; COMPUTE_PGM_RSRC2:TGID_Y_EN: 0
; COMPUTE_PGM_RSRC2:TGID_Z_EN: 0
; COMPUTE_PGM_RSRC2:TIDIG_COMP_CNT: 0
; COMPUTE_PGM_RSRC3_GFX90A:ACCUM_OFFSET: 0
; COMPUTE_PGM_RSRC3_GFX90A:TG_SPLIT: 0
	.section	.text._ZN7rocprim17ROCPRIM_400000_NS6detail17trampoline_kernelINS0_14default_configENS1_25partition_config_selectorILNS1_17partition_subalgoE9EllbEEZZNS1_14partition_implILS5_9ELb0ES3_jPlS8_PNS0_10empty_typeENS0_5tupleIJS8_S9_EEENSB_IJS8_SA_EEENS0_18inequality_wrapperIZN2at6native12_GLOBAL__N_124unique_dim_cuda_templateIjEESt5tupleIJNSF_6TensorESK_SK_EERKSK_lbbbEUlllE0_EEPmJS9_EEE10hipError_tPvRmT3_T4_T5_T6_T7_T9_mT8_P12ihipStream_tbDpT10_ENKUlT_T0_E_clISt17integral_constantIbLb0EES1A_EEDaS15_S16_EUlS15_E_NS1_11comp_targetILNS1_3genE3ELNS1_11target_archE908ELNS1_3gpuE7ELNS1_3repE0EEENS1_30default_config_static_selectorELNS0_4arch9wavefront6targetE1EEEvT1_,"axG",@progbits,_ZN7rocprim17ROCPRIM_400000_NS6detail17trampoline_kernelINS0_14default_configENS1_25partition_config_selectorILNS1_17partition_subalgoE9EllbEEZZNS1_14partition_implILS5_9ELb0ES3_jPlS8_PNS0_10empty_typeENS0_5tupleIJS8_S9_EEENSB_IJS8_SA_EEENS0_18inequality_wrapperIZN2at6native12_GLOBAL__N_124unique_dim_cuda_templateIjEESt5tupleIJNSF_6TensorESK_SK_EERKSK_lbbbEUlllE0_EEPmJS9_EEE10hipError_tPvRmT3_T4_T5_T6_T7_T9_mT8_P12ihipStream_tbDpT10_ENKUlT_T0_E_clISt17integral_constantIbLb0EES1A_EEDaS15_S16_EUlS15_E_NS1_11comp_targetILNS1_3genE3ELNS1_11target_archE908ELNS1_3gpuE7ELNS1_3repE0EEENS1_30default_config_static_selectorELNS0_4arch9wavefront6targetE1EEEvT1_,comdat
	.globl	_ZN7rocprim17ROCPRIM_400000_NS6detail17trampoline_kernelINS0_14default_configENS1_25partition_config_selectorILNS1_17partition_subalgoE9EllbEEZZNS1_14partition_implILS5_9ELb0ES3_jPlS8_PNS0_10empty_typeENS0_5tupleIJS8_S9_EEENSB_IJS8_SA_EEENS0_18inequality_wrapperIZN2at6native12_GLOBAL__N_124unique_dim_cuda_templateIjEESt5tupleIJNSF_6TensorESK_SK_EERKSK_lbbbEUlllE0_EEPmJS9_EEE10hipError_tPvRmT3_T4_T5_T6_T7_T9_mT8_P12ihipStream_tbDpT10_ENKUlT_T0_E_clISt17integral_constantIbLb0EES1A_EEDaS15_S16_EUlS15_E_NS1_11comp_targetILNS1_3genE3ELNS1_11target_archE908ELNS1_3gpuE7ELNS1_3repE0EEENS1_30default_config_static_selectorELNS0_4arch9wavefront6targetE1EEEvT1_ ; -- Begin function _ZN7rocprim17ROCPRIM_400000_NS6detail17trampoline_kernelINS0_14default_configENS1_25partition_config_selectorILNS1_17partition_subalgoE9EllbEEZZNS1_14partition_implILS5_9ELb0ES3_jPlS8_PNS0_10empty_typeENS0_5tupleIJS8_S9_EEENSB_IJS8_SA_EEENS0_18inequality_wrapperIZN2at6native12_GLOBAL__N_124unique_dim_cuda_templateIjEESt5tupleIJNSF_6TensorESK_SK_EERKSK_lbbbEUlllE0_EEPmJS9_EEE10hipError_tPvRmT3_T4_T5_T6_T7_T9_mT8_P12ihipStream_tbDpT10_ENKUlT_T0_E_clISt17integral_constantIbLb0EES1A_EEDaS15_S16_EUlS15_E_NS1_11comp_targetILNS1_3genE3ELNS1_11target_archE908ELNS1_3gpuE7ELNS1_3repE0EEENS1_30default_config_static_selectorELNS0_4arch9wavefront6targetE1EEEvT1_
	.p2align	8
	.type	_ZN7rocprim17ROCPRIM_400000_NS6detail17trampoline_kernelINS0_14default_configENS1_25partition_config_selectorILNS1_17partition_subalgoE9EllbEEZZNS1_14partition_implILS5_9ELb0ES3_jPlS8_PNS0_10empty_typeENS0_5tupleIJS8_S9_EEENSB_IJS8_SA_EEENS0_18inequality_wrapperIZN2at6native12_GLOBAL__N_124unique_dim_cuda_templateIjEESt5tupleIJNSF_6TensorESK_SK_EERKSK_lbbbEUlllE0_EEPmJS9_EEE10hipError_tPvRmT3_T4_T5_T6_T7_T9_mT8_P12ihipStream_tbDpT10_ENKUlT_T0_E_clISt17integral_constantIbLb0EES1A_EEDaS15_S16_EUlS15_E_NS1_11comp_targetILNS1_3genE3ELNS1_11target_archE908ELNS1_3gpuE7ELNS1_3repE0EEENS1_30default_config_static_selectorELNS0_4arch9wavefront6targetE1EEEvT1_,@function
_ZN7rocprim17ROCPRIM_400000_NS6detail17trampoline_kernelINS0_14default_configENS1_25partition_config_selectorILNS1_17partition_subalgoE9EllbEEZZNS1_14partition_implILS5_9ELb0ES3_jPlS8_PNS0_10empty_typeENS0_5tupleIJS8_S9_EEENSB_IJS8_SA_EEENS0_18inequality_wrapperIZN2at6native12_GLOBAL__N_124unique_dim_cuda_templateIjEESt5tupleIJNSF_6TensorESK_SK_EERKSK_lbbbEUlllE0_EEPmJS9_EEE10hipError_tPvRmT3_T4_T5_T6_T7_T9_mT8_P12ihipStream_tbDpT10_ENKUlT_T0_E_clISt17integral_constantIbLb0EES1A_EEDaS15_S16_EUlS15_E_NS1_11comp_targetILNS1_3genE3ELNS1_11target_archE908ELNS1_3gpuE7ELNS1_3repE0EEENS1_30default_config_static_selectorELNS0_4arch9wavefront6targetE1EEEvT1_: ; @_ZN7rocprim17ROCPRIM_400000_NS6detail17trampoline_kernelINS0_14default_configENS1_25partition_config_selectorILNS1_17partition_subalgoE9EllbEEZZNS1_14partition_implILS5_9ELb0ES3_jPlS8_PNS0_10empty_typeENS0_5tupleIJS8_S9_EEENSB_IJS8_SA_EEENS0_18inequality_wrapperIZN2at6native12_GLOBAL__N_124unique_dim_cuda_templateIjEESt5tupleIJNSF_6TensorESK_SK_EERKSK_lbbbEUlllE0_EEPmJS9_EEE10hipError_tPvRmT3_T4_T5_T6_T7_T9_mT8_P12ihipStream_tbDpT10_ENKUlT_T0_E_clISt17integral_constantIbLb0EES1A_EEDaS15_S16_EUlS15_E_NS1_11comp_targetILNS1_3genE3ELNS1_11target_archE908ELNS1_3gpuE7ELNS1_3repE0EEENS1_30default_config_static_selectorELNS0_4arch9wavefront6targetE1EEEvT1_
; %bb.0:
	.section	.rodata,"a",@progbits
	.p2align	6, 0x0
	.amdhsa_kernel _ZN7rocprim17ROCPRIM_400000_NS6detail17trampoline_kernelINS0_14default_configENS1_25partition_config_selectorILNS1_17partition_subalgoE9EllbEEZZNS1_14partition_implILS5_9ELb0ES3_jPlS8_PNS0_10empty_typeENS0_5tupleIJS8_S9_EEENSB_IJS8_SA_EEENS0_18inequality_wrapperIZN2at6native12_GLOBAL__N_124unique_dim_cuda_templateIjEESt5tupleIJNSF_6TensorESK_SK_EERKSK_lbbbEUlllE0_EEPmJS9_EEE10hipError_tPvRmT3_T4_T5_T6_T7_T9_mT8_P12ihipStream_tbDpT10_ENKUlT_T0_E_clISt17integral_constantIbLb0EES1A_EEDaS15_S16_EUlS15_E_NS1_11comp_targetILNS1_3genE3ELNS1_11target_archE908ELNS1_3gpuE7ELNS1_3repE0EEENS1_30default_config_static_selectorELNS0_4arch9wavefront6targetE1EEEvT1_
		.amdhsa_group_segment_fixed_size 0
		.amdhsa_private_segment_fixed_size 0
		.amdhsa_kernarg_size 120
		.amdhsa_user_sgpr_count 2
		.amdhsa_user_sgpr_dispatch_ptr 0
		.amdhsa_user_sgpr_queue_ptr 0
		.amdhsa_user_sgpr_kernarg_segment_ptr 1
		.amdhsa_user_sgpr_dispatch_id 0
		.amdhsa_user_sgpr_kernarg_preload_length 0
		.amdhsa_user_sgpr_kernarg_preload_offset 0
		.amdhsa_user_sgpr_private_segment_size 0
		.amdhsa_uses_dynamic_stack 0
		.amdhsa_enable_private_segment 0
		.amdhsa_system_sgpr_workgroup_id_x 1
		.amdhsa_system_sgpr_workgroup_id_y 0
		.amdhsa_system_sgpr_workgroup_id_z 0
		.amdhsa_system_sgpr_workgroup_info 0
		.amdhsa_system_vgpr_workitem_id 0
		.amdhsa_next_free_vgpr 1
		.amdhsa_next_free_sgpr 0
		.amdhsa_accum_offset 4
		.amdhsa_reserve_vcc 0
		.amdhsa_float_round_mode_32 0
		.amdhsa_float_round_mode_16_64 0
		.amdhsa_float_denorm_mode_32 3
		.amdhsa_float_denorm_mode_16_64 3
		.amdhsa_dx10_clamp 1
		.amdhsa_ieee_mode 1
		.amdhsa_fp16_overflow 0
		.amdhsa_tg_split 0
		.amdhsa_exception_fp_ieee_invalid_op 0
		.amdhsa_exception_fp_denorm_src 0
		.amdhsa_exception_fp_ieee_div_zero 0
		.amdhsa_exception_fp_ieee_overflow 0
		.amdhsa_exception_fp_ieee_underflow 0
		.amdhsa_exception_fp_ieee_inexact 0
		.amdhsa_exception_int_div_zero 0
	.end_amdhsa_kernel
	.section	.text._ZN7rocprim17ROCPRIM_400000_NS6detail17trampoline_kernelINS0_14default_configENS1_25partition_config_selectorILNS1_17partition_subalgoE9EllbEEZZNS1_14partition_implILS5_9ELb0ES3_jPlS8_PNS0_10empty_typeENS0_5tupleIJS8_S9_EEENSB_IJS8_SA_EEENS0_18inequality_wrapperIZN2at6native12_GLOBAL__N_124unique_dim_cuda_templateIjEESt5tupleIJNSF_6TensorESK_SK_EERKSK_lbbbEUlllE0_EEPmJS9_EEE10hipError_tPvRmT3_T4_T5_T6_T7_T9_mT8_P12ihipStream_tbDpT10_ENKUlT_T0_E_clISt17integral_constantIbLb0EES1A_EEDaS15_S16_EUlS15_E_NS1_11comp_targetILNS1_3genE3ELNS1_11target_archE908ELNS1_3gpuE7ELNS1_3repE0EEENS1_30default_config_static_selectorELNS0_4arch9wavefront6targetE1EEEvT1_,"axG",@progbits,_ZN7rocprim17ROCPRIM_400000_NS6detail17trampoline_kernelINS0_14default_configENS1_25partition_config_selectorILNS1_17partition_subalgoE9EllbEEZZNS1_14partition_implILS5_9ELb0ES3_jPlS8_PNS0_10empty_typeENS0_5tupleIJS8_S9_EEENSB_IJS8_SA_EEENS0_18inequality_wrapperIZN2at6native12_GLOBAL__N_124unique_dim_cuda_templateIjEESt5tupleIJNSF_6TensorESK_SK_EERKSK_lbbbEUlllE0_EEPmJS9_EEE10hipError_tPvRmT3_T4_T5_T6_T7_T9_mT8_P12ihipStream_tbDpT10_ENKUlT_T0_E_clISt17integral_constantIbLb0EES1A_EEDaS15_S16_EUlS15_E_NS1_11comp_targetILNS1_3genE3ELNS1_11target_archE908ELNS1_3gpuE7ELNS1_3repE0EEENS1_30default_config_static_selectorELNS0_4arch9wavefront6targetE1EEEvT1_,comdat
.Lfunc_end1576:
	.size	_ZN7rocprim17ROCPRIM_400000_NS6detail17trampoline_kernelINS0_14default_configENS1_25partition_config_selectorILNS1_17partition_subalgoE9EllbEEZZNS1_14partition_implILS5_9ELb0ES3_jPlS8_PNS0_10empty_typeENS0_5tupleIJS8_S9_EEENSB_IJS8_SA_EEENS0_18inequality_wrapperIZN2at6native12_GLOBAL__N_124unique_dim_cuda_templateIjEESt5tupleIJNSF_6TensorESK_SK_EERKSK_lbbbEUlllE0_EEPmJS9_EEE10hipError_tPvRmT3_T4_T5_T6_T7_T9_mT8_P12ihipStream_tbDpT10_ENKUlT_T0_E_clISt17integral_constantIbLb0EES1A_EEDaS15_S16_EUlS15_E_NS1_11comp_targetILNS1_3genE3ELNS1_11target_archE908ELNS1_3gpuE7ELNS1_3repE0EEENS1_30default_config_static_selectorELNS0_4arch9wavefront6targetE1EEEvT1_, .Lfunc_end1576-_ZN7rocprim17ROCPRIM_400000_NS6detail17trampoline_kernelINS0_14default_configENS1_25partition_config_selectorILNS1_17partition_subalgoE9EllbEEZZNS1_14partition_implILS5_9ELb0ES3_jPlS8_PNS0_10empty_typeENS0_5tupleIJS8_S9_EEENSB_IJS8_SA_EEENS0_18inequality_wrapperIZN2at6native12_GLOBAL__N_124unique_dim_cuda_templateIjEESt5tupleIJNSF_6TensorESK_SK_EERKSK_lbbbEUlllE0_EEPmJS9_EEE10hipError_tPvRmT3_T4_T5_T6_T7_T9_mT8_P12ihipStream_tbDpT10_ENKUlT_T0_E_clISt17integral_constantIbLb0EES1A_EEDaS15_S16_EUlS15_E_NS1_11comp_targetILNS1_3genE3ELNS1_11target_archE908ELNS1_3gpuE7ELNS1_3repE0EEENS1_30default_config_static_selectorELNS0_4arch9wavefront6targetE1EEEvT1_
                                        ; -- End function
	.set _ZN7rocprim17ROCPRIM_400000_NS6detail17trampoline_kernelINS0_14default_configENS1_25partition_config_selectorILNS1_17partition_subalgoE9EllbEEZZNS1_14partition_implILS5_9ELb0ES3_jPlS8_PNS0_10empty_typeENS0_5tupleIJS8_S9_EEENSB_IJS8_SA_EEENS0_18inequality_wrapperIZN2at6native12_GLOBAL__N_124unique_dim_cuda_templateIjEESt5tupleIJNSF_6TensorESK_SK_EERKSK_lbbbEUlllE0_EEPmJS9_EEE10hipError_tPvRmT3_T4_T5_T6_T7_T9_mT8_P12ihipStream_tbDpT10_ENKUlT_T0_E_clISt17integral_constantIbLb0EES1A_EEDaS15_S16_EUlS15_E_NS1_11comp_targetILNS1_3genE3ELNS1_11target_archE908ELNS1_3gpuE7ELNS1_3repE0EEENS1_30default_config_static_selectorELNS0_4arch9wavefront6targetE1EEEvT1_.num_vgpr, 0
	.set _ZN7rocprim17ROCPRIM_400000_NS6detail17trampoline_kernelINS0_14default_configENS1_25partition_config_selectorILNS1_17partition_subalgoE9EllbEEZZNS1_14partition_implILS5_9ELb0ES3_jPlS8_PNS0_10empty_typeENS0_5tupleIJS8_S9_EEENSB_IJS8_SA_EEENS0_18inequality_wrapperIZN2at6native12_GLOBAL__N_124unique_dim_cuda_templateIjEESt5tupleIJNSF_6TensorESK_SK_EERKSK_lbbbEUlllE0_EEPmJS9_EEE10hipError_tPvRmT3_T4_T5_T6_T7_T9_mT8_P12ihipStream_tbDpT10_ENKUlT_T0_E_clISt17integral_constantIbLb0EES1A_EEDaS15_S16_EUlS15_E_NS1_11comp_targetILNS1_3genE3ELNS1_11target_archE908ELNS1_3gpuE7ELNS1_3repE0EEENS1_30default_config_static_selectorELNS0_4arch9wavefront6targetE1EEEvT1_.num_agpr, 0
	.set _ZN7rocprim17ROCPRIM_400000_NS6detail17trampoline_kernelINS0_14default_configENS1_25partition_config_selectorILNS1_17partition_subalgoE9EllbEEZZNS1_14partition_implILS5_9ELb0ES3_jPlS8_PNS0_10empty_typeENS0_5tupleIJS8_S9_EEENSB_IJS8_SA_EEENS0_18inequality_wrapperIZN2at6native12_GLOBAL__N_124unique_dim_cuda_templateIjEESt5tupleIJNSF_6TensorESK_SK_EERKSK_lbbbEUlllE0_EEPmJS9_EEE10hipError_tPvRmT3_T4_T5_T6_T7_T9_mT8_P12ihipStream_tbDpT10_ENKUlT_T0_E_clISt17integral_constantIbLb0EES1A_EEDaS15_S16_EUlS15_E_NS1_11comp_targetILNS1_3genE3ELNS1_11target_archE908ELNS1_3gpuE7ELNS1_3repE0EEENS1_30default_config_static_selectorELNS0_4arch9wavefront6targetE1EEEvT1_.numbered_sgpr, 0
	.set _ZN7rocprim17ROCPRIM_400000_NS6detail17trampoline_kernelINS0_14default_configENS1_25partition_config_selectorILNS1_17partition_subalgoE9EllbEEZZNS1_14partition_implILS5_9ELb0ES3_jPlS8_PNS0_10empty_typeENS0_5tupleIJS8_S9_EEENSB_IJS8_SA_EEENS0_18inequality_wrapperIZN2at6native12_GLOBAL__N_124unique_dim_cuda_templateIjEESt5tupleIJNSF_6TensorESK_SK_EERKSK_lbbbEUlllE0_EEPmJS9_EEE10hipError_tPvRmT3_T4_T5_T6_T7_T9_mT8_P12ihipStream_tbDpT10_ENKUlT_T0_E_clISt17integral_constantIbLb0EES1A_EEDaS15_S16_EUlS15_E_NS1_11comp_targetILNS1_3genE3ELNS1_11target_archE908ELNS1_3gpuE7ELNS1_3repE0EEENS1_30default_config_static_selectorELNS0_4arch9wavefront6targetE1EEEvT1_.num_named_barrier, 0
	.set _ZN7rocprim17ROCPRIM_400000_NS6detail17trampoline_kernelINS0_14default_configENS1_25partition_config_selectorILNS1_17partition_subalgoE9EllbEEZZNS1_14partition_implILS5_9ELb0ES3_jPlS8_PNS0_10empty_typeENS0_5tupleIJS8_S9_EEENSB_IJS8_SA_EEENS0_18inequality_wrapperIZN2at6native12_GLOBAL__N_124unique_dim_cuda_templateIjEESt5tupleIJNSF_6TensorESK_SK_EERKSK_lbbbEUlllE0_EEPmJS9_EEE10hipError_tPvRmT3_T4_T5_T6_T7_T9_mT8_P12ihipStream_tbDpT10_ENKUlT_T0_E_clISt17integral_constantIbLb0EES1A_EEDaS15_S16_EUlS15_E_NS1_11comp_targetILNS1_3genE3ELNS1_11target_archE908ELNS1_3gpuE7ELNS1_3repE0EEENS1_30default_config_static_selectorELNS0_4arch9wavefront6targetE1EEEvT1_.private_seg_size, 0
	.set _ZN7rocprim17ROCPRIM_400000_NS6detail17trampoline_kernelINS0_14default_configENS1_25partition_config_selectorILNS1_17partition_subalgoE9EllbEEZZNS1_14partition_implILS5_9ELb0ES3_jPlS8_PNS0_10empty_typeENS0_5tupleIJS8_S9_EEENSB_IJS8_SA_EEENS0_18inequality_wrapperIZN2at6native12_GLOBAL__N_124unique_dim_cuda_templateIjEESt5tupleIJNSF_6TensorESK_SK_EERKSK_lbbbEUlllE0_EEPmJS9_EEE10hipError_tPvRmT3_T4_T5_T6_T7_T9_mT8_P12ihipStream_tbDpT10_ENKUlT_T0_E_clISt17integral_constantIbLb0EES1A_EEDaS15_S16_EUlS15_E_NS1_11comp_targetILNS1_3genE3ELNS1_11target_archE908ELNS1_3gpuE7ELNS1_3repE0EEENS1_30default_config_static_selectorELNS0_4arch9wavefront6targetE1EEEvT1_.uses_vcc, 0
	.set _ZN7rocprim17ROCPRIM_400000_NS6detail17trampoline_kernelINS0_14default_configENS1_25partition_config_selectorILNS1_17partition_subalgoE9EllbEEZZNS1_14partition_implILS5_9ELb0ES3_jPlS8_PNS0_10empty_typeENS0_5tupleIJS8_S9_EEENSB_IJS8_SA_EEENS0_18inequality_wrapperIZN2at6native12_GLOBAL__N_124unique_dim_cuda_templateIjEESt5tupleIJNSF_6TensorESK_SK_EERKSK_lbbbEUlllE0_EEPmJS9_EEE10hipError_tPvRmT3_T4_T5_T6_T7_T9_mT8_P12ihipStream_tbDpT10_ENKUlT_T0_E_clISt17integral_constantIbLb0EES1A_EEDaS15_S16_EUlS15_E_NS1_11comp_targetILNS1_3genE3ELNS1_11target_archE908ELNS1_3gpuE7ELNS1_3repE0EEENS1_30default_config_static_selectorELNS0_4arch9wavefront6targetE1EEEvT1_.uses_flat_scratch, 0
	.set _ZN7rocprim17ROCPRIM_400000_NS6detail17trampoline_kernelINS0_14default_configENS1_25partition_config_selectorILNS1_17partition_subalgoE9EllbEEZZNS1_14partition_implILS5_9ELb0ES3_jPlS8_PNS0_10empty_typeENS0_5tupleIJS8_S9_EEENSB_IJS8_SA_EEENS0_18inequality_wrapperIZN2at6native12_GLOBAL__N_124unique_dim_cuda_templateIjEESt5tupleIJNSF_6TensorESK_SK_EERKSK_lbbbEUlllE0_EEPmJS9_EEE10hipError_tPvRmT3_T4_T5_T6_T7_T9_mT8_P12ihipStream_tbDpT10_ENKUlT_T0_E_clISt17integral_constantIbLb0EES1A_EEDaS15_S16_EUlS15_E_NS1_11comp_targetILNS1_3genE3ELNS1_11target_archE908ELNS1_3gpuE7ELNS1_3repE0EEENS1_30default_config_static_selectorELNS0_4arch9wavefront6targetE1EEEvT1_.has_dyn_sized_stack, 0
	.set _ZN7rocprim17ROCPRIM_400000_NS6detail17trampoline_kernelINS0_14default_configENS1_25partition_config_selectorILNS1_17partition_subalgoE9EllbEEZZNS1_14partition_implILS5_9ELb0ES3_jPlS8_PNS0_10empty_typeENS0_5tupleIJS8_S9_EEENSB_IJS8_SA_EEENS0_18inequality_wrapperIZN2at6native12_GLOBAL__N_124unique_dim_cuda_templateIjEESt5tupleIJNSF_6TensorESK_SK_EERKSK_lbbbEUlllE0_EEPmJS9_EEE10hipError_tPvRmT3_T4_T5_T6_T7_T9_mT8_P12ihipStream_tbDpT10_ENKUlT_T0_E_clISt17integral_constantIbLb0EES1A_EEDaS15_S16_EUlS15_E_NS1_11comp_targetILNS1_3genE3ELNS1_11target_archE908ELNS1_3gpuE7ELNS1_3repE0EEENS1_30default_config_static_selectorELNS0_4arch9wavefront6targetE1EEEvT1_.has_recursion, 0
	.set _ZN7rocprim17ROCPRIM_400000_NS6detail17trampoline_kernelINS0_14default_configENS1_25partition_config_selectorILNS1_17partition_subalgoE9EllbEEZZNS1_14partition_implILS5_9ELb0ES3_jPlS8_PNS0_10empty_typeENS0_5tupleIJS8_S9_EEENSB_IJS8_SA_EEENS0_18inequality_wrapperIZN2at6native12_GLOBAL__N_124unique_dim_cuda_templateIjEESt5tupleIJNSF_6TensorESK_SK_EERKSK_lbbbEUlllE0_EEPmJS9_EEE10hipError_tPvRmT3_T4_T5_T6_T7_T9_mT8_P12ihipStream_tbDpT10_ENKUlT_T0_E_clISt17integral_constantIbLb0EES1A_EEDaS15_S16_EUlS15_E_NS1_11comp_targetILNS1_3genE3ELNS1_11target_archE908ELNS1_3gpuE7ELNS1_3repE0EEENS1_30default_config_static_selectorELNS0_4arch9wavefront6targetE1EEEvT1_.has_indirect_call, 0
	.section	.AMDGPU.csdata,"",@progbits
; Kernel info:
; codeLenInByte = 0
; TotalNumSgprs: 6
; NumVgprs: 0
; NumAgprs: 0
; TotalNumVgprs: 0
; ScratchSize: 0
; MemoryBound: 0
; FloatMode: 240
; IeeeMode: 1
; LDSByteSize: 0 bytes/workgroup (compile time only)
; SGPRBlocks: 0
; VGPRBlocks: 0
; NumSGPRsForWavesPerEU: 6
; NumVGPRsForWavesPerEU: 1
; AccumOffset: 4
; Occupancy: 8
; WaveLimiterHint : 0
; COMPUTE_PGM_RSRC2:SCRATCH_EN: 0
; COMPUTE_PGM_RSRC2:USER_SGPR: 2
; COMPUTE_PGM_RSRC2:TRAP_HANDLER: 0
; COMPUTE_PGM_RSRC2:TGID_X_EN: 1
; COMPUTE_PGM_RSRC2:TGID_Y_EN: 0
; COMPUTE_PGM_RSRC2:TGID_Z_EN: 0
; COMPUTE_PGM_RSRC2:TIDIG_COMP_CNT: 0
; COMPUTE_PGM_RSRC3_GFX90A:ACCUM_OFFSET: 0
; COMPUTE_PGM_RSRC3_GFX90A:TG_SPLIT: 0
	.section	.text._ZN7rocprim17ROCPRIM_400000_NS6detail17trampoline_kernelINS0_14default_configENS1_25partition_config_selectorILNS1_17partition_subalgoE9EllbEEZZNS1_14partition_implILS5_9ELb0ES3_jPlS8_PNS0_10empty_typeENS0_5tupleIJS8_S9_EEENSB_IJS8_SA_EEENS0_18inequality_wrapperIZN2at6native12_GLOBAL__N_124unique_dim_cuda_templateIjEESt5tupleIJNSF_6TensorESK_SK_EERKSK_lbbbEUlllE0_EEPmJS9_EEE10hipError_tPvRmT3_T4_T5_T6_T7_T9_mT8_P12ihipStream_tbDpT10_ENKUlT_T0_E_clISt17integral_constantIbLb0EES1A_EEDaS15_S16_EUlS15_E_NS1_11comp_targetILNS1_3genE2ELNS1_11target_archE906ELNS1_3gpuE6ELNS1_3repE0EEENS1_30default_config_static_selectorELNS0_4arch9wavefront6targetE1EEEvT1_,"axG",@progbits,_ZN7rocprim17ROCPRIM_400000_NS6detail17trampoline_kernelINS0_14default_configENS1_25partition_config_selectorILNS1_17partition_subalgoE9EllbEEZZNS1_14partition_implILS5_9ELb0ES3_jPlS8_PNS0_10empty_typeENS0_5tupleIJS8_S9_EEENSB_IJS8_SA_EEENS0_18inequality_wrapperIZN2at6native12_GLOBAL__N_124unique_dim_cuda_templateIjEESt5tupleIJNSF_6TensorESK_SK_EERKSK_lbbbEUlllE0_EEPmJS9_EEE10hipError_tPvRmT3_T4_T5_T6_T7_T9_mT8_P12ihipStream_tbDpT10_ENKUlT_T0_E_clISt17integral_constantIbLb0EES1A_EEDaS15_S16_EUlS15_E_NS1_11comp_targetILNS1_3genE2ELNS1_11target_archE906ELNS1_3gpuE6ELNS1_3repE0EEENS1_30default_config_static_selectorELNS0_4arch9wavefront6targetE1EEEvT1_,comdat
	.globl	_ZN7rocprim17ROCPRIM_400000_NS6detail17trampoline_kernelINS0_14default_configENS1_25partition_config_selectorILNS1_17partition_subalgoE9EllbEEZZNS1_14partition_implILS5_9ELb0ES3_jPlS8_PNS0_10empty_typeENS0_5tupleIJS8_S9_EEENSB_IJS8_SA_EEENS0_18inequality_wrapperIZN2at6native12_GLOBAL__N_124unique_dim_cuda_templateIjEESt5tupleIJNSF_6TensorESK_SK_EERKSK_lbbbEUlllE0_EEPmJS9_EEE10hipError_tPvRmT3_T4_T5_T6_T7_T9_mT8_P12ihipStream_tbDpT10_ENKUlT_T0_E_clISt17integral_constantIbLb0EES1A_EEDaS15_S16_EUlS15_E_NS1_11comp_targetILNS1_3genE2ELNS1_11target_archE906ELNS1_3gpuE6ELNS1_3repE0EEENS1_30default_config_static_selectorELNS0_4arch9wavefront6targetE1EEEvT1_ ; -- Begin function _ZN7rocprim17ROCPRIM_400000_NS6detail17trampoline_kernelINS0_14default_configENS1_25partition_config_selectorILNS1_17partition_subalgoE9EllbEEZZNS1_14partition_implILS5_9ELb0ES3_jPlS8_PNS0_10empty_typeENS0_5tupleIJS8_S9_EEENSB_IJS8_SA_EEENS0_18inequality_wrapperIZN2at6native12_GLOBAL__N_124unique_dim_cuda_templateIjEESt5tupleIJNSF_6TensorESK_SK_EERKSK_lbbbEUlllE0_EEPmJS9_EEE10hipError_tPvRmT3_T4_T5_T6_T7_T9_mT8_P12ihipStream_tbDpT10_ENKUlT_T0_E_clISt17integral_constantIbLb0EES1A_EEDaS15_S16_EUlS15_E_NS1_11comp_targetILNS1_3genE2ELNS1_11target_archE906ELNS1_3gpuE6ELNS1_3repE0EEENS1_30default_config_static_selectorELNS0_4arch9wavefront6targetE1EEEvT1_
	.p2align	8
	.type	_ZN7rocprim17ROCPRIM_400000_NS6detail17trampoline_kernelINS0_14default_configENS1_25partition_config_selectorILNS1_17partition_subalgoE9EllbEEZZNS1_14partition_implILS5_9ELb0ES3_jPlS8_PNS0_10empty_typeENS0_5tupleIJS8_S9_EEENSB_IJS8_SA_EEENS0_18inequality_wrapperIZN2at6native12_GLOBAL__N_124unique_dim_cuda_templateIjEESt5tupleIJNSF_6TensorESK_SK_EERKSK_lbbbEUlllE0_EEPmJS9_EEE10hipError_tPvRmT3_T4_T5_T6_T7_T9_mT8_P12ihipStream_tbDpT10_ENKUlT_T0_E_clISt17integral_constantIbLb0EES1A_EEDaS15_S16_EUlS15_E_NS1_11comp_targetILNS1_3genE2ELNS1_11target_archE906ELNS1_3gpuE6ELNS1_3repE0EEENS1_30default_config_static_selectorELNS0_4arch9wavefront6targetE1EEEvT1_,@function
_ZN7rocprim17ROCPRIM_400000_NS6detail17trampoline_kernelINS0_14default_configENS1_25partition_config_selectorILNS1_17partition_subalgoE9EllbEEZZNS1_14partition_implILS5_9ELb0ES3_jPlS8_PNS0_10empty_typeENS0_5tupleIJS8_S9_EEENSB_IJS8_SA_EEENS0_18inequality_wrapperIZN2at6native12_GLOBAL__N_124unique_dim_cuda_templateIjEESt5tupleIJNSF_6TensorESK_SK_EERKSK_lbbbEUlllE0_EEPmJS9_EEE10hipError_tPvRmT3_T4_T5_T6_T7_T9_mT8_P12ihipStream_tbDpT10_ENKUlT_T0_E_clISt17integral_constantIbLb0EES1A_EEDaS15_S16_EUlS15_E_NS1_11comp_targetILNS1_3genE2ELNS1_11target_archE906ELNS1_3gpuE6ELNS1_3repE0EEENS1_30default_config_static_selectorELNS0_4arch9wavefront6targetE1EEEvT1_: ; @_ZN7rocprim17ROCPRIM_400000_NS6detail17trampoline_kernelINS0_14default_configENS1_25partition_config_selectorILNS1_17partition_subalgoE9EllbEEZZNS1_14partition_implILS5_9ELb0ES3_jPlS8_PNS0_10empty_typeENS0_5tupleIJS8_S9_EEENSB_IJS8_SA_EEENS0_18inequality_wrapperIZN2at6native12_GLOBAL__N_124unique_dim_cuda_templateIjEESt5tupleIJNSF_6TensorESK_SK_EERKSK_lbbbEUlllE0_EEPmJS9_EEE10hipError_tPvRmT3_T4_T5_T6_T7_T9_mT8_P12ihipStream_tbDpT10_ENKUlT_T0_E_clISt17integral_constantIbLb0EES1A_EEDaS15_S16_EUlS15_E_NS1_11comp_targetILNS1_3genE2ELNS1_11target_archE906ELNS1_3gpuE6ELNS1_3repE0EEENS1_30default_config_static_selectorELNS0_4arch9wavefront6targetE1EEEvT1_
; %bb.0:
	.section	.rodata,"a",@progbits
	.p2align	6, 0x0
	.amdhsa_kernel _ZN7rocprim17ROCPRIM_400000_NS6detail17trampoline_kernelINS0_14default_configENS1_25partition_config_selectorILNS1_17partition_subalgoE9EllbEEZZNS1_14partition_implILS5_9ELb0ES3_jPlS8_PNS0_10empty_typeENS0_5tupleIJS8_S9_EEENSB_IJS8_SA_EEENS0_18inequality_wrapperIZN2at6native12_GLOBAL__N_124unique_dim_cuda_templateIjEESt5tupleIJNSF_6TensorESK_SK_EERKSK_lbbbEUlllE0_EEPmJS9_EEE10hipError_tPvRmT3_T4_T5_T6_T7_T9_mT8_P12ihipStream_tbDpT10_ENKUlT_T0_E_clISt17integral_constantIbLb0EES1A_EEDaS15_S16_EUlS15_E_NS1_11comp_targetILNS1_3genE2ELNS1_11target_archE906ELNS1_3gpuE6ELNS1_3repE0EEENS1_30default_config_static_selectorELNS0_4arch9wavefront6targetE1EEEvT1_
		.amdhsa_group_segment_fixed_size 0
		.amdhsa_private_segment_fixed_size 0
		.amdhsa_kernarg_size 120
		.amdhsa_user_sgpr_count 2
		.amdhsa_user_sgpr_dispatch_ptr 0
		.amdhsa_user_sgpr_queue_ptr 0
		.amdhsa_user_sgpr_kernarg_segment_ptr 1
		.amdhsa_user_sgpr_dispatch_id 0
		.amdhsa_user_sgpr_kernarg_preload_length 0
		.amdhsa_user_sgpr_kernarg_preload_offset 0
		.amdhsa_user_sgpr_private_segment_size 0
		.amdhsa_uses_dynamic_stack 0
		.amdhsa_enable_private_segment 0
		.amdhsa_system_sgpr_workgroup_id_x 1
		.amdhsa_system_sgpr_workgroup_id_y 0
		.amdhsa_system_sgpr_workgroup_id_z 0
		.amdhsa_system_sgpr_workgroup_info 0
		.amdhsa_system_vgpr_workitem_id 0
		.amdhsa_next_free_vgpr 1
		.amdhsa_next_free_sgpr 0
		.amdhsa_accum_offset 4
		.amdhsa_reserve_vcc 0
		.amdhsa_float_round_mode_32 0
		.amdhsa_float_round_mode_16_64 0
		.amdhsa_float_denorm_mode_32 3
		.amdhsa_float_denorm_mode_16_64 3
		.amdhsa_dx10_clamp 1
		.amdhsa_ieee_mode 1
		.amdhsa_fp16_overflow 0
		.amdhsa_tg_split 0
		.amdhsa_exception_fp_ieee_invalid_op 0
		.amdhsa_exception_fp_denorm_src 0
		.amdhsa_exception_fp_ieee_div_zero 0
		.amdhsa_exception_fp_ieee_overflow 0
		.amdhsa_exception_fp_ieee_underflow 0
		.amdhsa_exception_fp_ieee_inexact 0
		.amdhsa_exception_int_div_zero 0
	.end_amdhsa_kernel
	.section	.text._ZN7rocprim17ROCPRIM_400000_NS6detail17trampoline_kernelINS0_14default_configENS1_25partition_config_selectorILNS1_17partition_subalgoE9EllbEEZZNS1_14partition_implILS5_9ELb0ES3_jPlS8_PNS0_10empty_typeENS0_5tupleIJS8_S9_EEENSB_IJS8_SA_EEENS0_18inequality_wrapperIZN2at6native12_GLOBAL__N_124unique_dim_cuda_templateIjEESt5tupleIJNSF_6TensorESK_SK_EERKSK_lbbbEUlllE0_EEPmJS9_EEE10hipError_tPvRmT3_T4_T5_T6_T7_T9_mT8_P12ihipStream_tbDpT10_ENKUlT_T0_E_clISt17integral_constantIbLb0EES1A_EEDaS15_S16_EUlS15_E_NS1_11comp_targetILNS1_3genE2ELNS1_11target_archE906ELNS1_3gpuE6ELNS1_3repE0EEENS1_30default_config_static_selectorELNS0_4arch9wavefront6targetE1EEEvT1_,"axG",@progbits,_ZN7rocprim17ROCPRIM_400000_NS6detail17trampoline_kernelINS0_14default_configENS1_25partition_config_selectorILNS1_17partition_subalgoE9EllbEEZZNS1_14partition_implILS5_9ELb0ES3_jPlS8_PNS0_10empty_typeENS0_5tupleIJS8_S9_EEENSB_IJS8_SA_EEENS0_18inequality_wrapperIZN2at6native12_GLOBAL__N_124unique_dim_cuda_templateIjEESt5tupleIJNSF_6TensorESK_SK_EERKSK_lbbbEUlllE0_EEPmJS9_EEE10hipError_tPvRmT3_T4_T5_T6_T7_T9_mT8_P12ihipStream_tbDpT10_ENKUlT_T0_E_clISt17integral_constantIbLb0EES1A_EEDaS15_S16_EUlS15_E_NS1_11comp_targetILNS1_3genE2ELNS1_11target_archE906ELNS1_3gpuE6ELNS1_3repE0EEENS1_30default_config_static_selectorELNS0_4arch9wavefront6targetE1EEEvT1_,comdat
.Lfunc_end1577:
	.size	_ZN7rocprim17ROCPRIM_400000_NS6detail17trampoline_kernelINS0_14default_configENS1_25partition_config_selectorILNS1_17partition_subalgoE9EllbEEZZNS1_14partition_implILS5_9ELb0ES3_jPlS8_PNS0_10empty_typeENS0_5tupleIJS8_S9_EEENSB_IJS8_SA_EEENS0_18inequality_wrapperIZN2at6native12_GLOBAL__N_124unique_dim_cuda_templateIjEESt5tupleIJNSF_6TensorESK_SK_EERKSK_lbbbEUlllE0_EEPmJS9_EEE10hipError_tPvRmT3_T4_T5_T6_T7_T9_mT8_P12ihipStream_tbDpT10_ENKUlT_T0_E_clISt17integral_constantIbLb0EES1A_EEDaS15_S16_EUlS15_E_NS1_11comp_targetILNS1_3genE2ELNS1_11target_archE906ELNS1_3gpuE6ELNS1_3repE0EEENS1_30default_config_static_selectorELNS0_4arch9wavefront6targetE1EEEvT1_, .Lfunc_end1577-_ZN7rocprim17ROCPRIM_400000_NS6detail17trampoline_kernelINS0_14default_configENS1_25partition_config_selectorILNS1_17partition_subalgoE9EllbEEZZNS1_14partition_implILS5_9ELb0ES3_jPlS8_PNS0_10empty_typeENS0_5tupleIJS8_S9_EEENSB_IJS8_SA_EEENS0_18inequality_wrapperIZN2at6native12_GLOBAL__N_124unique_dim_cuda_templateIjEESt5tupleIJNSF_6TensorESK_SK_EERKSK_lbbbEUlllE0_EEPmJS9_EEE10hipError_tPvRmT3_T4_T5_T6_T7_T9_mT8_P12ihipStream_tbDpT10_ENKUlT_T0_E_clISt17integral_constantIbLb0EES1A_EEDaS15_S16_EUlS15_E_NS1_11comp_targetILNS1_3genE2ELNS1_11target_archE906ELNS1_3gpuE6ELNS1_3repE0EEENS1_30default_config_static_selectorELNS0_4arch9wavefront6targetE1EEEvT1_
                                        ; -- End function
	.set _ZN7rocprim17ROCPRIM_400000_NS6detail17trampoline_kernelINS0_14default_configENS1_25partition_config_selectorILNS1_17partition_subalgoE9EllbEEZZNS1_14partition_implILS5_9ELb0ES3_jPlS8_PNS0_10empty_typeENS0_5tupleIJS8_S9_EEENSB_IJS8_SA_EEENS0_18inequality_wrapperIZN2at6native12_GLOBAL__N_124unique_dim_cuda_templateIjEESt5tupleIJNSF_6TensorESK_SK_EERKSK_lbbbEUlllE0_EEPmJS9_EEE10hipError_tPvRmT3_T4_T5_T6_T7_T9_mT8_P12ihipStream_tbDpT10_ENKUlT_T0_E_clISt17integral_constantIbLb0EES1A_EEDaS15_S16_EUlS15_E_NS1_11comp_targetILNS1_3genE2ELNS1_11target_archE906ELNS1_3gpuE6ELNS1_3repE0EEENS1_30default_config_static_selectorELNS0_4arch9wavefront6targetE1EEEvT1_.num_vgpr, 0
	.set _ZN7rocprim17ROCPRIM_400000_NS6detail17trampoline_kernelINS0_14default_configENS1_25partition_config_selectorILNS1_17partition_subalgoE9EllbEEZZNS1_14partition_implILS5_9ELb0ES3_jPlS8_PNS0_10empty_typeENS0_5tupleIJS8_S9_EEENSB_IJS8_SA_EEENS0_18inequality_wrapperIZN2at6native12_GLOBAL__N_124unique_dim_cuda_templateIjEESt5tupleIJNSF_6TensorESK_SK_EERKSK_lbbbEUlllE0_EEPmJS9_EEE10hipError_tPvRmT3_T4_T5_T6_T7_T9_mT8_P12ihipStream_tbDpT10_ENKUlT_T0_E_clISt17integral_constantIbLb0EES1A_EEDaS15_S16_EUlS15_E_NS1_11comp_targetILNS1_3genE2ELNS1_11target_archE906ELNS1_3gpuE6ELNS1_3repE0EEENS1_30default_config_static_selectorELNS0_4arch9wavefront6targetE1EEEvT1_.num_agpr, 0
	.set _ZN7rocprim17ROCPRIM_400000_NS6detail17trampoline_kernelINS0_14default_configENS1_25partition_config_selectorILNS1_17partition_subalgoE9EllbEEZZNS1_14partition_implILS5_9ELb0ES3_jPlS8_PNS0_10empty_typeENS0_5tupleIJS8_S9_EEENSB_IJS8_SA_EEENS0_18inequality_wrapperIZN2at6native12_GLOBAL__N_124unique_dim_cuda_templateIjEESt5tupleIJNSF_6TensorESK_SK_EERKSK_lbbbEUlllE0_EEPmJS9_EEE10hipError_tPvRmT3_T4_T5_T6_T7_T9_mT8_P12ihipStream_tbDpT10_ENKUlT_T0_E_clISt17integral_constantIbLb0EES1A_EEDaS15_S16_EUlS15_E_NS1_11comp_targetILNS1_3genE2ELNS1_11target_archE906ELNS1_3gpuE6ELNS1_3repE0EEENS1_30default_config_static_selectorELNS0_4arch9wavefront6targetE1EEEvT1_.numbered_sgpr, 0
	.set _ZN7rocprim17ROCPRIM_400000_NS6detail17trampoline_kernelINS0_14default_configENS1_25partition_config_selectorILNS1_17partition_subalgoE9EllbEEZZNS1_14partition_implILS5_9ELb0ES3_jPlS8_PNS0_10empty_typeENS0_5tupleIJS8_S9_EEENSB_IJS8_SA_EEENS0_18inequality_wrapperIZN2at6native12_GLOBAL__N_124unique_dim_cuda_templateIjEESt5tupleIJNSF_6TensorESK_SK_EERKSK_lbbbEUlllE0_EEPmJS9_EEE10hipError_tPvRmT3_T4_T5_T6_T7_T9_mT8_P12ihipStream_tbDpT10_ENKUlT_T0_E_clISt17integral_constantIbLb0EES1A_EEDaS15_S16_EUlS15_E_NS1_11comp_targetILNS1_3genE2ELNS1_11target_archE906ELNS1_3gpuE6ELNS1_3repE0EEENS1_30default_config_static_selectorELNS0_4arch9wavefront6targetE1EEEvT1_.num_named_barrier, 0
	.set _ZN7rocprim17ROCPRIM_400000_NS6detail17trampoline_kernelINS0_14default_configENS1_25partition_config_selectorILNS1_17partition_subalgoE9EllbEEZZNS1_14partition_implILS5_9ELb0ES3_jPlS8_PNS0_10empty_typeENS0_5tupleIJS8_S9_EEENSB_IJS8_SA_EEENS0_18inequality_wrapperIZN2at6native12_GLOBAL__N_124unique_dim_cuda_templateIjEESt5tupleIJNSF_6TensorESK_SK_EERKSK_lbbbEUlllE0_EEPmJS9_EEE10hipError_tPvRmT3_T4_T5_T6_T7_T9_mT8_P12ihipStream_tbDpT10_ENKUlT_T0_E_clISt17integral_constantIbLb0EES1A_EEDaS15_S16_EUlS15_E_NS1_11comp_targetILNS1_3genE2ELNS1_11target_archE906ELNS1_3gpuE6ELNS1_3repE0EEENS1_30default_config_static_selectorELNS0_4arch9wavefront6targetE1EEEvT1_.private_seg_size, 0
	.set _ZN7rocprim17ROCPRIM_400000_NS6detail17trampoline_kernelINS0_14default_configENS1_25partition_config_selectorILNS1_17partition_subalgoE9EllbEEZZNS1_14partition_implILS5_9ELb0ES3_jPlS8_PNS0_10empty_typeENS0_5tupleIJS8_S9_EEENSB_IJS8_SA_EEENS0_18inequality_wrapperIZN2at6native12_GLOBAL__N_124unique_dim_cuda_templateIjEESt5tupleIJNSF_6TensorESK_SK_EERKSK_lbbbEUlllE0_EEPmJS9_EEE10hipError_tPvRmT3_T4_T5_T6_T7_T9_mT8_P12ihipStream_tbDpT10_ENKUlT_T0_E_clISt17integral_constantIbLb0EES1A_EEDaS15_S16_EUlS15_E_NS1_11comp_targetILNS1_3genE2ELNS1_11target_archE906ELNS1_3gpuE6ELNS1_3repE0EEENS1_30default_config_static_selectorELNS0_4arch9wavefront6targetE1EEEvT1_.uses_vcc, 0
	.set _ZN7rocprim17ROCPRIM_400000_NS6detail17trampoline_kernelINS0_14default_configENS1_25partition_config_selectorILNS1_17partition_subalgoE9EllbEEZZNS1_14partition_implILS5_9ELb0ES3_jPlS8_PNS0_10empty_typeENS0_5tupleIJS8_S9_EEENSB_IJS8_SA_EEENS0_18inequality_wrapperIZN2at6native12_GLOBAL__N_124unique_dim_cuda_templateIjEESt5tupleIJNSF_6TensorESK_SK_EERKSK_lbbbEUlllE0_EEPmJS9_EEE10hipError_tPvRmT3_T4_T5_T6_T7_T9_mT8_P12ihipStream_tbDpT10_ENKUlT_T0_E_clISt17integral_constantIbLb0EES1A_EEDaS15_S16_EUlS15_E_NS1_11comp_targetILNS1_3genE2ELNS1_11target_archE906ELNS1_3gpuE6ELNS1_3repE0EEENS1_30default_config_static_selectorELNS0_4arch9wavefront6targetE1EEEvT1_.uses_flat_scratch, 0
	.set _ZN7rocprim17ROCPRIM_400000_NS6detail17trampoline_kernelINS0_14default_configENS1_25partition_config_selectorILNS1_17partition_subalgoE9EllbEEZZNS1_14partition_implILS5_9ELb0ES3_jPlS8_PNS0_10empty_typeENS0_5tupleIJS8_S9_EEENSB_IJS8_SA_EEENS0_18inequality_wrapperIZN2at6native12_GLOBAL__N_124unique_dim_cuda_templateIjEESt5tupleIJNSF_6TensorESK_SK_EERKSK_lbbbEUlllE0_EEPmJS9_EEE10hipError_tPvRmT3_T4_T5_T6_T7_T9_mT8_P12ihipStream_tbDpT10_ENKUlT_T0_E_clISt17integral_constantIbLb0EES1A_EEDaS15_S16_EUlS15_E_NS1_11comp_targetILNS1_3genE2ELNS1_11target_archE906ELNS1_3gpuE6ELNS1_3repE0EEENS1_30default_config_static_selectorELNS0_4arch9wavefront6targetE1EEEvT1_.has_dyn_sized_stack, 0
	.set _ZN7rocprim17ROCPRIM_400000_NS6detail17trampoline_kernelINS0_14default_configENS1_25partition_config_selectorILNS1_17partition_subalgoE9EllbEEZZNS1_14partition_implILS5_9ELb0ES3_jPlS8_PNS0_10empty_typeENS0_5tupleIJS8_S9_EEENSB_IJS8_SA_EEENS0_18inequality_wrapperIZN2at6native12_GLOBAL__N_124unique_dim_cuda_templateIjEESt5tupleIJNSF_6TensorESK_SK_EERKSK_lbbbEUlllE0_EEPmJS9_EEE10hipError_tPvRmT3_T4_T5_T6_T7_T9_mT8_P12ihipStream_tbDpT10_ENKUlT_T0_E_clISt17integral_constantIbLb0EES1A_EEDaS15_S16_EUlS15_E_NS1_11comp_targetILNS1_3genE2ELNS1_11target_archE906ELNS1_3gpuE6ELNS1_3repE0EEENS1_30default_config_static_selectorELNS0_4arch9wavefront6targetE1EEEvT1_.has_recursion, 0
	.set _ZN7rocprim17ROCPRIM_400000_NS6detail17trampoline_kernelINS0_14default_configENS1_25partition_config_selectorILNS1_17partition_subalgoE9EllbEEZZNS1_14partition_implILS5_9ELb0ES3_jPlS8_PNS0_10empty_typeENS0_5tupleIJS8_S9_EEENSB_IJS8_SA_EEENS0_18inequality_wrapperIZN2at6native12_GLOBAL__N_124unique_dim_cuda_templateIjEESt5tupleIJNSF_6TensorESK_SK_EERKSK_lbbbEUlllE0_EEPmJS9_EEE10hipError_tPvRmT3_T4_T5_T6_T7_T9_mT8_P12ihipStream_tbDpT10_ENKUlT_T0_E_clISt17integral_constantIbLb0EES1A_EEDaS15_S16_EUlS15_E_NS1_11comp_targetILNS1_3genE2ELNS1_11target_archE906ELNS1_3gpuE6ELNS1_3repE0EEENS1_30default_config_static_selectorELNS0_4arch9wavefront6targetE1EEEvT1_.has_indirect_call, 0
	.section	.AMDGPU.csdata,"",@progbits
; Kernel info:
; codeLenInByte = 0
; TotalNumSgprs: 6
; NumVgprs: 0
; NumAgprs: 0
; TotalNumVgprs: 0
; ScratchSize: 0
; MemoryBound: 0
; FloatMode: 240
; IeeeMode: 1
; LDSByteSize: 0 bytes/workgroup (compile time only)
; SGPRBlocks: 0
; VGPRBlocks: 0
; NumSGPRsForWavesPerEU: 6
; NumVGPRsForWavesPerEU: 1
; AccumOffset: 4
; Occupancy: 8
; WaveLimiterHint : 0
; COMPUTE_PGM_RSRC2:SCRATCH_EN: 0
; COMPUTE_PGM_RSRC2:USER_SGPR: 2
; COMPUTE_PGM_RSRC2:TRAP_HANDLER: 0
; COMPUTE_PGM_RSRC2:TGID_X_EN: 1
; COMPUTE_PGM_RSRC2:TGID_Y_EN: 0
; COMPUTE_PGM_RSRC2:TGID_Z_EN: 0
; COMPUTE_PGM_RSRC2:TIDIG_COMP_CNT: 0
; COMPUTE_PGM_RSRC3_GFX90A:ACCUM_OFFSET: 0
; COMPUTE_PGM_RSRC3_GFX90A:TG_SPLIT: 0
	.section	.text._ZN7rocprim17ROCPRIM_400000_NS6detail17trampoline_kernelINS0_14default_configENS1_25partition_config_selectorILNS1_17partition_subalgoE9EllbEEZZNS1_14partition_implILS5_9ELb0ES3_jPlS8_PNS0_10empty_typeENS0_5tupleIJS8_S9_EEENSB_IJS8_SA_EEENS0_18inequality_wrapperIZN2at6native12_GLOBAL__N_124unique_dim_cuda_templateIjEESt5tupleIJNSF_6TensorESK_SK_EERKSK_lbbbEUlllE0_EEPmJS9_EEE10hipError_tPvRmT3_T4_T5_T6_T7_T9_mT8_P12ihipStream_tbDpT10_ENKUlT_T0_E_clISt17integral_constantIbLb0EES1A_EEDaS15_S16_EUlS15_E_NS1_11comp_targetILNS1_3genE10ELNS1_11target_archE1200ELNS1_3gpuE4ELNS1_3repE0EEENS1_30default_config_static_selectorELNS0_4arch9wavefront6targetE1EEEvT1_,"axG",@progbits,_ZN7rocprim17ROCPRIM_400000_NS6detail17trampoline_kernelINS0_14default_configENS1_25partition_config_selectorILNS1_17partition_subalgoE9EllbEEZZNS1_14partition_implILS5_9ELb0ES3_jPlS8_PNS0_10empty_typeENS0_5tupleIJS8_S9_EEENSB_IJS8_SA_EEENS0_18inequality_wrapperIZN2at6native12_GLOBAL__N_124unique_dim_cuda_templateIjEESt5tupleIJNSF_6TensorESK_SK_EERKSK_lbbbEUlllE0_EEPmJS9_EEE10hipError_tPvRmT3_T4_T5_T6_T7_T9_mT8_P12ihipStream_tbDpT10_ENKUlT_T0_E_clISt17integral_constantIbLb0EES1A_EEDaS15_S16_EUlS15_E_NS1_11comp_targetILNS1_3genE10ELNS1_11target_archE1200ELNS1_3gpuE4ELNS1_3repE0EEENS1_30default_config_static_selectorELNS0_4arch9wavefront6targetE1EEEvT1_,comdat
	.globl	_ZN7rocprim17ROCPRIM_400000_NS6detail17trampoline_kernelINS0_14default_configENS1_25partition_config_selectorILNS1_17partition_subalgoE9EllbEEZZNS1_14partition_implILS5_9ELb0ES3_jPlS8_PNS0_10empty_typeENS0_5tupleIJS8_S9_EEENSB_IJS8_SA_EEENS0_18inequality_wrapperIZN2at6native12_GLOBAL__N_124unique_dim_cuda_templateIjEESt5tupleIJNSF_6TensorESK_SK_EERKSK_lbbbEUlllE0_EEPmJS9_EEE10hipError_tPvRmT3_T4_T5_T6_T7_T9_mT8_P12ihipStream_tbDpT10_ENKUlT_T0_E_clISt17integral_constantIbLb0EES1A_EEDaS15_S16_EUlS15_E_NS1_11comp_targetILNS1_3genE10ELNS1_11target_archE1200ELNS1_3gpuE4ELNS1_3repE0EEENS1_30default_config_static_selectorELNS0_4arch9wavefront6targetE1EEEvT1_ ; -- Begin function _ZN7rocprim17ROCPRIM_400000_NS6detail17trampoline_kernelINS0_14default_configENS1_25partition_config_selectorILNS1_17partition_subalgoE9EllbEEZZNS1_14partition_implILS5_9ELb0ES3_jPlS8_PNS0_10empty_typeENS0_5tupleIJS8_S9_EEENSB_IJS8_SA_EEENS0_18inequality_wrapperIZN2at6native12_GLOBAL__N_124unique_dim_cuda_templateIjEESt5tupleIJNSF_6TensorESK_SK_EERKSK_lbbbEUlllE0_EEPmJS9_EEE10hipError_tPvRmT3_T4_T5_T6_T7_T9_mT8_P12ihipStream_tbDpT10_ENKUlT_T0_E_clISt17integral_constantIbLb0EES1A_EEDaS15_S16_EUlS15_E_NS1_11comp_targetILNS1_3genE10ELNS1_11target_archE1200ELNS1_3gpuE4ELNS1_3repE0EEENS1_30default_config_static_selectorELNS0_4arch9wavefront6targetE1EEEvT1_
	.p2align	8
	.type	_ZN7rocprim17ROCPRIM_400000_NS6detail17trampoline_kernelINS0_14default_configENS1_25partition_config_selectorILNS1_17partition_subalgoE9EllbEEZZNS1_14partition_implILS5_9ELb0ES3_jPlS8_PNS0_10empty_typeENS0_5tupleIJS8_S9_EEENSB_IJS8_SA_EEENS0_18inequality_wrapperIZN2at6native12_GLOBAL__N_124unique_dim_cuda_templateIjEESt5tupleIJNSF_6TensorESK_SK_EERKSK_lbbbEUlllE0_EEPmJS9_EEE10hipError_tPvRmT3_T4_T5_T6_T7_T9_mT8_P12ihipStream_tbDpT10_ENKUlT_T0_E_clISt17integral_constantIbLb0EES1A_EEDaS15_S16_EUlS15_E_NS1_11comp_targetILNS1_3genE10ELNS1_11target_archE1200ELNS1_3gpuE4ELNS1_3repE0EEENS1_30default_config_static_selectorELNS0_4arch9wavefront6targetE1EEEvT1_,@function
_ZN7rocprim17ROCPRIM_400000_NS6detail17trampoline_kernelINS0_14default_configENS1_25partition_config_selectorILNS1_17partition_subalgoE9EllbEEZZNS1_14partition_implILS5_9ELb0ES3_jPlS8_PNS0_10empty_typeENS0_5tupleIJS8_S9_EEENSB_IJS8_SA_EEENS0_18inequality_wrapperIZN2at6native12_GLOBAL__N_124unique_dim_cuda_templateIjEESt5tupleIJNSF_6TensorESK_SK_EERKSK_lbbbEUlllE0_EEPmJS9_EEE10hipError_tPvRmT3_T4_T5_T6_T7_T9_mT8_P12ihipStream_tbDpT10_ENKUlT_T0_E_clISt17integral_constantIbLb0EES1A_EEDaS15_S16_EUlS15_E_NS1_11comp_targetILNS1_3genE10ELNS1_11target_archE1200ELNS1_3gpuE4ELNS1_3repE0EEENS1_30default_config_static_selectorELNS0_4arch9wavefront6targetE1EEEvT1_: ; @_ZN7rocprim17ROCPRIM_400000_NS6detail17trampoline_kernelINS0_14default_configENS1_25partition_config_selectorILNS1_17partition_subalgoE9EllbEEZZNS1_14partition_implILS5_9ELb0ES3_jPlS8_PNS0_10empty_typeENS0_5tupleIJS8_S9_EEENSB_IJS8_SA_EEENS0_18inequality_wrapperIZN2at6native12_GLOBAL__N_124unique_dim_cuda_templateIjEESt5tupleIJNSF_6TensorESK_SK_EERKSK_lbbbEUlllE0_EEPmJS9_EEE10hipError_tPvRmT3_T4_T5_T6_T7_T9_mT8_P12ihipStream_tbDpT10_ENKUlT_T0_E_clISt17integral_constantIbLb0EES1A_EEDaS15_S16_EUlS15_E_NS1_11comp_targetILNS1_3genE10ELNS1_11target_archE1200ELNS1_3gpuE4ELNS1_3repE0EEENS1_30default_config_static_selectorELNS0_4arch9wavefront6targetE1EEEvT1_
; %bb.0:
	.section	.rodata,"a",@progbits
	.p2align	6, 0x0
	.amdhsa_kernel _ZN7rocprim17ROCPRIM_400000_NS6detail17trampoline_kernelINS0_14default_configENS1_25partition_config_selectorILNS1_17partition_subalgoE9EllbEEZZNS1_14partition_implILS5_9ELb0ES3_jPlS8_PNS0_10empty_typeENS0_5tupleIJS8_S9_EEENSB_IJS8_SA_EEENS0_18inequality_wrapperIZN2at6native12_GLOBAL__N_124unique_dim_cuda_templateIjEESt5tupleIJNSF_6TensorESK_SK_EERKSK_lbbbEUlllE0_EEPmJS9_EEE10hipError_tPvRmT3_T4_T5_T6_T7_T9_mT8_P12ihipStream_tbDpT10_ENKUlT_T0_E_clISt17integral_constantIbLb0EES1A_EEDaS15_S16_EUlS15_E_NS1_11comp_targetILNS1_3genE10ELNS1_11target_archE1200ELNS1_3gpuE4ELNS1_3repE0EEENS1_30default_config_static_selectorELNS0_4arch9wavefront6targetE1EEEvT1_
		.amdhsa_group_segment_fixed_size 0
		.amdhsa_private_segment_fixed_size 0
		.amdhsa_kernarg_size 120
		.amdhsa_user_sgpr_count 2
		.amdhsa_user_sgpr_dispatch_ptr 0
		.amdhsa_user_sgpr_queue_ptr 0
		.amdhsa_user_sgpr_kernarg_segment_ptr 1
		.amdhsa_user_sgpr_dispatch_id 0
		.amdhsa_user_sgpr_kernarg_preload_length 0
		.amdhsa_user_sgpr_kernarg_preload_offset 0
		.amdhsa_user_sgpr_private_segment_size 0
		.amdhsa_uses_dynamic_stack 0
		.amdhsa_enable_private_segment 0
		.amdhsa_system_sgpr_workgroup_id_x 1
		.amdhsa_system_sgpr_workgroup_id_y 0
		.amdhsa_system_sgpr_workgroup_id_z 0
		.amdhsa_system_sgpr_workgroup_info 0
		.amdhsa_system_vgpr_workitem_id 0
		.amdhsa_next_free_vgpr 1
		.amdhsa_next_free_sgpr 0
		.amdhsa_accum_offset 4
		.amdhsa_reserve_vcc 0
		.amdhsa_float_round_mode_32 0
		.amdhsa_float_round_mode_16_64 0
		.amdhsa_float_denorm_mode_32 3
		.amdhsa_float_denorm_mode_16_64 3
		.amdhsa_dx10_clamp 1
		.amdhsa_ieee_mode 1
		.amdhsa_fp16_overflow 0
		.amdhsa_tg_split 0
		.amdhsa_exception_fp_ieee_invalid_op 0
		.amdhsa_exception_fp_denorm_src 0
		.amdhsa_exception_fp_ieee_div_zero 0
		.amdhsa_exception_fp_ieee_overflow 0
		.amdhsa_exception_fp_ieee_underflow 0
		.amdhsa_exception_fp_ieee_inexact 0
		.amdhsa_exception_int_div_zero 0
	.end_amdhsa_kernel
	.section	.text._ZN7rocprim17ROCPRIM_400000_NS6detail17trampoline_kernelINS0_14default_configENS1_25partition_config_selectorILNS1_17partition_subalgoE9EllbEEZZNS1_14partition_implILS5_9ELb0ES3_jPlS8_PNS0_10empty_typeENS0_5tupleIJS8_S9_EEENSB_IJS8_SA_EEENS0_18inequality_wrapperIZN2at6native12_GLOBAL__N_124unique_dim_cuda_templateIjEESt5tupleIJNSF_6TensorESK_SK_EERKSK_lbbbEUlllE0_EEPmJS9_EEE10hipError_tPvRmT3_T4_T5_T6_T7_T9_mT8_P12ihipStream_tbDpT10_ENKUlT_T0_E_clISt17integral_constantIbLb0EES1A_EEDaS15_S16_EUlS15_E_NS1_11comp_targetILNS1_3genE10ELNS1_11target_archE1200ELNS1_3gpuE4ELNS1_3repE0EEENS1_30default_config_static_selectorELNS0_4arch9wavefront6targetE1EEEvT1_,"axG",@progbits,_ZN7rocprim17ROCPRIM_400000_NS6detail17trampoline_kernelINS0_14default_configENS1_25partition_config_selectorILNS1_17partition_subalgoE9EllbEEZZNS1_14partition_implILS5_9ELb0ES3_jPlS8_PNS0_10empty_typeENS0_5tupleIJS8_S9_EEENSB_IJS8_SA_EEENS0_18inequality_wrapperIZN2at6native12_GLOBAL__N_124unique_dim_cuda_templateIjEESt5tupleIJNSF_6TensorESK_SK_EERKSK_lbbbEUlllE0_EEPmJS9_EEE10hipError_tPvRmT3_T4_T5_T6_T7_T9_mT8_P12ihipStream_tbDpT10_ENKUlT_T0_E_clISt17integral_constantIbLb0EES1A_EEDaS15_S16_EUlS15_E_NS1_11comp_targetILNS1_3genE10ELNS1_11target_archE1200ELNS1_3gpuE4ELNS1_3repE0EEENS1_30default_config_static_selectorELNS0_4arch9wavefront6targetE1EEEvT1_,comdat
.Lfunc_end1578:
	.size	_ZN7rocprim17ROCPRIM_400000_NS6detail17trampoline_kernelINS0_14default_configENS1_25partition_config_selectorILNS1_17partition_subalgoE9EllbEEZZNS1_14partition_implILS5_9ELb0ES3_jPlS8_PNS0_10empty_typeENS0_5tupleIJS8_S9_EEENSB_IJS8_SA_EEENS0_18inequality_wrapperIZN2at6native12_GLOBAL__N_124unique_dim_cuda_templateIjEESt5tupleIJNSF_6TensorESK_SK_EERKSK_lbbbEUlllE0_EEPmJS9_EEE10hipError_tPvRmT3_T4_T5_T6_T7_T9_mT8_P12ihipStream_tbDpT10_ENKUlT_T0_E_clISt17integral_constantIbLb0EES1A_EEDaS15_S16_EUlS15_E_NS1_11comp_targetILNS1_3genE10ELNS1_11target_archE1200ELNS1_3gpuE4ELNS1_3repE0EEENS1_30default_config_static_selectorELNS0_4arch9wavefront6targetE1EEEvT1_, .Lfunc_end1578-_ZN7rocprim17ROCPRIM_400000_NS6detail17trampoline_kernelINS0_14default_configENS1_25partition_config_selectorILNS1_17partition_subalgoE9EllbEEZZNS1_14partition_implILS5_9ELb0ES3_jPlS8_PNS0_10empty_typeENS0_5tupleIJS8_S9_EEENSB_IJS8_SA_EEENS0_18inequality_wrapperIZN2at6native12_GLOBAL__N_124unique_dim_cuda_templateIjEESt5tupleIJNSF_6TensorESK_SK_EERKSK_lbbbEUlllE0_EEPmJS9_EEE10hipError_tPvRmT3_T4_T5_T6_T7_T9_mT8_P12ihipStream_tbDpT10_ENKUlT_T0_E_clISt17integral_constantIbLb0EES1A_EEDaS15_S16_EUlS15_E_NS1_11comp_targetILNS1_3genE10ELNS1_11target_archE1200ELNS1_3gpuE4ELNS1_3repE0EEENS1_30default_config_static_selectorELNS0_4arch9wavefront6targetE1EEEvT1_
                                        ; -- End function
	.set _ZN7rocprim17ROCPRIM_400000_NS6detail17trampoline_kernelINS0_14default_configENS1_25partition_config_selectorILNS1_17partition_subalgoE9EllbEEZZNS1_14partition_implILS5_9ELb0ES3_jPlS8_PNS0_10empty_typeENS0_5tupleIJS8_S9_EEENSB_IJS8_SA_EEENS0_18inequality_wrapperIZN2at6native12_GLOBAL__N_124unique_dim_cuda_templateIjEESt5tupleIJNSF_6TensorESK_SK_EERKSK_lbbbEUlllE0_EEPmJS9_EEE10hipError_tPvRmT3_T4_T5_T6_T7_T9_mT8_P12ihipStream_tbDpT10_ENKUlT_T0_E_clISt17integral_constantIbLb0EES1A_EEDaS15_S16_EUlS15_E_NS1_11comp_targetILNS1_3genE10ELNS1_11target_archE1200ELNS1_3gpuE4ELNS1_3repE0EEENS1_30default_config_static_selectorELNS0_4arch9wavefront6targetE1EEEvT1_.num_vgpr, 0
	.set _ZN7rocprim17ROCPRIM_400000_NS6detail17trampoline_kernelINS0_14default_configENS1_25partition_config_selectorILNS1_17partition_subalgoE9EllbEEZZNS1_14partition_implILS5_9ELb0ES3_jPlS8_PNS0_10empty_typeENS0_5tupleIJS8_S9_EEENSB_IJS8_SA_EEENS0_18inequality_wrapperIZN2at6native12_GLOBAL__N_124unique_dim_cuda_templateIjEESt5tupleIJNSF_6TensorESK_SK_EERKSK_lbbbEUlllE0_EEPmJS9_EEE10hipError_tPvRmT3_T4_T5_T6_T7_T9_mT8_P12ihipStream_tbDpT10_ENKUlT_T0_E_clISt17integral_constantIbLb0EES1A_EEDaS15_S16_EUlS15_E_NS1_11comp_targetILNS1_3genE10ELNS1_11target_archE1200ELNS1_3gpuE4ELNS1_3repE0EEENS1_30default_config_static_selectorELNS0_4arch9wavefront6targetE1EEEvT1_.num_agpr, 0
	.set _ZN7rocprim17ROCPRIM_400000_NS6detail17trampoline_kernelINS0_14default_configENS1_25partition_config_selectorILNS1_17partition_subalgoE9EllbEEZZNS1_14partition_implILS5_9ELb0ES3_jPlS8_PNS0_10empty_typeENS0_5tupleIJS8_S9_EEENSB_IJS8_SA_EEENS0_18inequality_wrapperIZN2at6native12_GLOBAL__N_124unique_dim_cuda_templateIjEESt5tupleIJNSF_6TensorESK_SK_EERKSK_lbbbEUlllE0_EEPmJS9_EEE10hipError_tPvRmT3_T4_T5_T6_T7_T9_mT8_P12ihipStream_tbDpT10_ENKUlT_T0_E_clISt17integral_constantIbLb0EES1A_EEDaS15_S16_EUlS15_E_NS1_11comp_targetILNS1_3genE10ELNS1_11target_archE1200ELNS1_3gpuE4ELNS1_3repE0EEENS1_30default_config_static_selectorELNS0_4arch9wavefront6targetE1EEEvT1_.numbered_sgpr, 0
	.set _ZN7rocprim17ROCPRIM_400000_NS6detail17trampoline_kernelINS0_14default_configENS1_25partition_config_selectorILNS1_17partition_subalgoE9EllbEEZZNS1_14partition_implILS5_9ELb0ES3_jPlS8_PNS0_10empty_typeENS0_5tupleIJS8_S9_EEENSB_IJS8_SA_EEENS0_18inequality_wrapperIZN2at6native12_GLOBAL__N_124unique_dim_cuda_templateIjEESt5tupleIJNSF_6TensorESK_SK_EERKSK_lbbbEUlllE0_EEPmJS9_EEE10hipError_tPvRmT3_T4_T5_T6_T7_T9_mT8_P12ihipStream_tbDpT10_ENKUlT_T0_E_clISt17integral_constantIbLb0EES1A_EEDaS15_S16_EUlS15_E_NS1_11comp_targetILNS1_3genE10ELNS1_11target_archE1200ELNS1_3gpuE4ELNS1_3repE0EEENS1_30default_config_static_selectorELNS0_4arch9wavefront6targetE1EEEvT1_.num_named_barrier, 0
	.set _ZN7rocprim17ROCPRIM_400000_NS6detail17trampoline_kernelINS0_14default_configENS1_25partition_config_selectorILNS1_17partition_subalgoE9EllbEEZZNS1_14partition_implILS5_9ELb0ES3_jPlS8_PNS0_10empty_typeENS0_5tupleIJS8_S9_EEENSB_IJS8_SA_EEENS0_18inequality_wrapperIZN2at6native12_GLOBAL__N_124unique_dim_cuda_templateIjEESt5tupleIJNSF_6TensorESK_SK_EERKSK_lbbbEUlllE0_EEPmJS9_EEE10hipError_tPvRmT3_T4_T5_T6_T7_T9_mT8_P12ihipStream_tbDpT10_ENKUlT_T0_E_clISt17integral_constantIbLb0EES1A_EEDaS15_S16_EUlS15_E_NS1_11comp_targetILNS1_3genE10ELNS1_11target_archE1200ELNS1_3gpuE4ELNS1_3repE0EEENS1_30default_config_static_selectorELNS0_4arch9wavefront6targetE1EEEvT1_.private_seg_size, 0
	.set _ZN7rocprim17ROCPRIM_400000_NS6detail17trampoline_kernelINS0_14default_configENS1_25partition_config_selectorILNS1_17partition_subalgoE9EllbEEZZNS1_14partition_implILS5_9ELb0ES3_jPlS8_PNS0_10empty_typeENS0_5tupleIJS8_S9_EEENSB_IJS8_SA_EEENS0_18inequality_wrapperIZN2at6native12_GLOBAL__N_124unique_dim_cuda_templateIjEESt5tupleIJNSF_6TensorESK_SK_EERKSK_lbbbEUlllE0_EEPmJS9_EEE10hipError_tPvRmT3_T4_T5_T6_T7_T9_mT8_P12ihipStream_tbDpT10_ENKUlT_T0_E_clISt17integral_constantIbLb0EES1A_EEDaS15_S16_EUlS15_E_NS1_11comp_targetILNS1_3genE10ELNS1_11target_archE1200ELNS1_3gpuE4ELNS1_3repE0EEENS1_30default_config_static_selectorELNS0_4arch9wavefront6targetE1EEEvT1_.uses_vcc, 0
	.set _ZN7rocprim17ROCPRIM_400000_NS6detail17trampoline_kernelINS0_14default_configENS1_25partition_config_selectorILNS1_17partition_subalgoE9EllbEEZZNS1_14partition_implILS5_9ELb0ES3_jPlS8_PNS0_10empty_typeENS0_5tupleIJS8_S9_EEENSB_IJS8_SA_EEENS0_18inequality_wrapperIZN2at6native12_GLOBAL__N_124unique_dim_cuda_templateIjEESt5tupleIJNSF_6TensorESK_SK_EERKSK_lbbbEUlllE0_EEPmJS9_EEE10hipError_tPvRmT3_T4_T5_T6_T7_T9_mT8_P12ihipStream_tbDpT10_ENKUlT_T0_E_clISt17integral_constantIbLb0EES1A_EEDaS15_S16_EUlS15_E_NS1_11comp_targetILNS1_3genE10ELNS1_11target_archE1200ELNS1_3gpuE4ELNS1_3repE0EEENS1_30default_config_static_selectorELNS0_4arch9wavefront6targetE1EEEvT1_.uses_flat_scratch, 0
	.set _ZN7rocprim17ROCPRIM_400000_NS6detail17trampoline_kernelINS0_14default_configENS1_25partition_config_selectorILNS1_17partition_subalgoE9EllbEEZZNS1_14partition_implILS5_9ELb0ES3_jPlS8_PNS0_10empty_typeENS0_5tupleIJS8_S9_EEENSB_IJS8_SA_EEENS0_18inequality_wrapperIZN2at6native12_GLOBAL__N_124unique_dim_cuda_templateIjEESt5tupleIJNSF_6TensorESK_SK_EERKSK_lbbbEUlllE0_EEPmJS9_EEE10hipError_tPvRmT3_T4_T5_T6_T7_T9_mT8_P12ihipStream_tbDpT10_ENKUlT_T0_E_clISt17integral_constantIbLb0EES1A_EEDaS15_S16_EUlS15_E_NS1_11comp_targetILNS1_3genE10ELNS1_11target_archE1200ELNS1_3gpuE4ELNS1_3repE0EEENS1_30default_config_static_selectorELNS0_4arch9wavefront6targetE1EEEvT1_.has_dyn_sized_stack, 0
	.set _ZN7rocprim17ROCPRIM_400000_NS6detail17trampoline_kernelINS0_14default_configENS1_25partition_config_selectorILNS1_17partition_subalgoE9EllbEEZZNS1_14partition_implILS5_9ELb0ES3_jPlS8_PNS0_10empty_typeENS0_5tupleIJS8_S9_EEENSB_IJS8_SA_EEENS0_18inequality_wrapperIZN2at6native12_GLOBAL__N_124unique_dim_cuda_templateIjEESt5tupleIJNSF_6TensorESK_SK_EERKSK_lbbbEUlllE0_EEPmJS9_EEE10hipError_tPvRmT3_T4_T5_T6_T7_T9_mT8_P12ihipStream_tbDpT10_ENKUlT_T0_E_clISt17integral_constantIbLb0EES1A_EEDaS15_S16_EUlS15_E_NS1_11comp_targetILNS1_3genE10ELNS1_11target_archE1200ELNS1_3gpuE4ELNS1_3repE0EEENS1_30default_config_static_selectorELNS0_4arch9wavefront6targetE1EEEvT1_.has_recursion, 0
	.set _ZN7rocprim17ROCPRIM_400000_NS6detail17trampoline_kernelINS0_14default_configENS1_25partition_config_selectorILNS1_17partition_subalgoE9EllbEEZZNS1_14partition_implILS5_9ELb0ES3_jPlS8_PNS0_10empty_typeENS0_5tupleIJS8_S9_EEENSB_IJS8_SA_EEENS0_18inequality_wrapperIZN2at6native12_GLOBAL__N_124unique_dim_cuda_templateIjEESt5tupleIJNSF_6TensorESK_SK_EERKSK_lbbbEUlllE0_EEPmJS9_EEE10hipError_tPvRmT3_T4_T5_T6_T7_T9_mT8_P12ihipStream_tbDpT10_ENKUlT_T0_E_clISt17integral_constantIbLb0EES1A_EEDaS15_S16_EUlS15_E_NS1_11comp_targetILNS1_3genE10ELNS1_11target_archE1200ELNS1_3gpuE4ELNS1_3repE0EEENS1_30default_config_static_selectorELNS0_4arch9wavefront6targetE1EEEvT1_.has_indirect_call, 0
	.section	.AMDGPU.csdata,"",@progbits
; Kernel info:
; codeLenInByte = 0
; TotalNumSgprs: 6
; NumVgprs: 0
; NumAgprs: 0
; TotalNumVgprs: 0
; ScratchSize: 0
; MemoryBound: 0
; FloatMode: 240
; IeeeMode: 1
; LDSByteSize: 0 bytes/workgroup (compile time only)
; SGPRBlocks: 0
; VGPRBlocks: 0
; NumSGPRsForWavesPerEU: 6
; NumVGPRsForWavesPerEU: 1
; AccumOffset: 4
; Occupancy: 8
; WaveLimiterHint : 0
; COMPUTE_PGM_RSRC2:SCRATCH_EN: 0
; COMPUTE_PGM_RSRC2:USER_SGPR: 2
; COMPUTE_PGM_RSRC2:TRAP_HANDLER: 0
; COMPUTE_PGM_RSRC2:TGID_X_EN: 1
; COMPUTE_PGM_RSRC2:TGID_Y_EN: 0
; COMPUTE_PGM_RSRC2:TGID_Z_EN: 0
; COMPUTE_PGM_RSRC2:TIDIG_COMP_CNT: 0
; COMPUTE_PGM_RSRC3_GFX90A:ACCUM_OFFSET: 0
; COMPUTE_PGM_RSRC3_GFX90A:TG_SPLIT: 0
	.section	.text._ZN7rocprim17ROCPRIM_400000_NS6detail17trampoline_kernelINS0_14default_configENS1_25partition_config_selectorILNS1_17partition_subalgoE9EllbEEZZNS1_14partition_implILS5_9ELb0ES3_jPlS8_PNS0_10empty_typeENS0_5tupleIJS8_S9_EEENSB_IJS8_SA_EEENS0_18inequality_wrapperIZN2at6native12_GLOBAL__N_124unique_dim_cuda_templateIjEESt5tupleIJNSF_6TensorESK_SK_EERKSK_lbbbEUlllE0_EEPmJS9_EEE10hipError_tPvRmT3_T4_T5_T6_T7_T9_mT8_P12ihipStream_tbDpT10_ENKUlT_T0_E_clISt17integral_constantIbLb0EES1A_EEDaS15_S16_EUlS15_E_NS1_11comp_targetILNS1_3genE9ELNS1_11target_archE1100ELNS1_3gpuE3ELNS1_3repE0EEENS1_30default_config_static_selectorELNS0_4arch9wavefront6targetE1EEEvT1_,"axG",@progbits,_ZN7rocprim17ROCPRIM_400000_NS6detail17trampoline_kernelINS0_14default_configENS1_25partition_config_selectorILNS1_17partition_subalgoE9EllbEEZZNS1_14partition_implILS5_9ELb0ES3_jPlS8_PNS0_10empty_typeENS0_5tupleIJS8_S9_EEENSB_IJS8_SA_EEENS0_18inequality_wrapperIZN2at6native12_GLOBAL__N_124unique_dim_cuda_templateIjEESt5tupleIJNSF_6TensorESK_SK_EERKSK_lbbbEUlllE0_EEPmJS9_EEE10hipError_tPvRmT3_T4_T5_T6_T7_T9_mT8_P12ihipStream_tbDpT10_ENKUlT_T0_E_clISt17integral_constantIbLb0EES1A_EEDaS15_S16_EUlS15_E_NS1_11comp_targetILNS1_3genE9ELNS1_11target_archE1100ELNS1_3gpuE3ELNS1_3repE0EEENS1_30default_config_static_selectorELNS0_4arch9wavefront6targetE1EEEvT1_,comdat
	.globl	_ZN7rocprim17ROCPRIM_400000_NS6detail17trampoline_kernelINS0_14default_configENS1_25partition_config_selectorILNS1_17partition_subalgoE9EllbEEZZNS1_14partition_implILS5_9ELb0ES3_jPlS8_PNS0_10empty_typeENS0_5tupleIJS8_S9_EEENSB_IJS8_SA_EEENS0_18inequality_wrapperIZN2at6native12_GLOBAL__N_124unique_dim_cuda_templateIjEESt5tupleIJNSF_6TensorESK_SK_EERKSK_lbbbEUlllE0_EEPmJS9_EEE10hipError_tPvRmT3_T4_T5_T6_T7_T9_mT8_P12ihipStream_tbDpT10_ENKUlT_T0_E_clISt17integral_constantIbLb0EES1A_EEDaS15_S16_EUlS15_E_NS1_11comp_targetILNS1_3genE9ELNS1_11target_archE1100ELNS1_3gpuE3ELNS1_3repE0EEENS1_30default_config_static_selectorELNS0_4arch9wavefront6targetE1EEEvT1_ ; -- Begin function _ZN7rocprim17ROCPRIM_400000_NS6detail17trampoline_kernelINS0_14default_configENS1_25partition_config_selectorILNS1_17partition_subalgoE9EllbEEZZNS1_14partition_implILS5_9ELb0ES3_jPlS8_PNS0_10empty_typeENS0_5tupleIJS8_S9_EEENSB_IJS8_SA_EEENS0_18inequality_wrapperIZN2at6native12_GLOBAL__N_124unique_dim_cuda_templateIjEESt5tupleIJNSF_6TensorESK_SK_EERKSK_lbbbEUlllE0_EEPmJS9_EEE10hipError_tPvRmT3_T4_T5_T6_T7_T9_mT8_P12ihipStream_tbDpT10_ENKUlT_T0_E_clISt17integral_constantIbLb0EES1A_EEDaS15_S16_EUlS15_E_NS1_11comp_targetILNS1_3genE9ELNS1_11target_archE1100ELNS1_3gpuE3ELNS1_3repE0EEENS1_30default_config_static_selectorELNS0_4arch9wavefront6targetE1EEEvT1_
	.p2align	8
	.type	_ZN7rocprim17ROCPRIM_400000_NS6detail17trampoline_kernelINS0_14default_configENS1_25partition_config_selectorILNS1_17partition_subalgoE9EllbEEZZNS1_14partition_implILS5_9ELb0ES3_jPlS8_PNS0_10empty_typeENS0_5tupleIJS8_S9_EEENSB_IJS8_SA_EEENS0_18inequality_wrapperIZN2at6native12_GLOBAL__N_124unique_dim_cuda_templateIjEESt5tupleIJNSF_6TensorESK_SK_EERKSK_lbbbEUlllE0_EEPmJS9_EEE10hipError_tPvRmT3_T4_T5_T6_T7_T9_mT8_P12ihipStream_tbDpT10_ENKUlT_T0_E_clISt17integral_constantIbLb0EES1A_EEDaS15_S16_EUlS15_E_NS1_11comp_targetILNS1_3genE9ELNS1_11target_archE1100ELNS1_3gpuE3ELNS1_3repE0EEENS1_30default_config_static_selectorELNS0_4arch9wavefront6targetE1EEEvT1_,@function
_ZN7rocprim17ROCPRIM_400000_NS6detail17trampoline_kernelINS0_14default_configENS1_25partition_config_selectorILNS1_17partition_subalgoE9EllbEEZZNS1_14partition_implILS5_9ELb0ES3_jPlS8_PNS0_10empty_typeENS0_5tupleIJS8_S9_EEENSB_IJS8_SA_EEENS0_18inequality_wrapperIZN2at6native12_GLOBAL__N_124unique_dim_cuda_templateIjEESt5tupleIJNSF_6TensorESK_SK_EERKSK_lbbbEUlllE0_EEPmJS9_EEE10hipError_tPvRmT3_T4_T5_T6_T7_T9_mT8_P12ihipStream_tbDpT10_ENKUlT_T0_E_clISt17integral_constantIbLb0EES1A_EEDaS15_S16_EUlS15_E_NS1_11comp_targetILNS1_3genE9ELNS1_11target_archE1100ELNS1_3gpuE3ELNS1_3repE0EEENS1_30default_config_static_selectorELNS0_4arch9wavefront6targetE1EEEvT1_: ; @_ZN7rocprim17ROCPRIM_400000_NS6detail17trampoline_kernelINS0_14default_configENS1_25partition_config_selectorILNS1_17partition_subalgoE9EllbEEZZNS1_14partition_implILS5_9ELb0ES3_jPlS8_PNS0_10empty_typeENS0_5tupleIJS8_S9_EEENSB_IJS8_SA_EEENS0_18inequality_wrapperIZN2at6native12_GLOBAL__N_124unique_dim_cuda_templateIjEESt5tupleIJNSF_6TensorESK_SK_EERKSK_lbbbEUlllE0_EEPmJS9_EEE10hipError_tPvRmT3_T4_T5_T6_T7_T9_mT8_P12ihipStream_tbDpT10_ENKUlT_T0_E_clISt17integral_constantIbLb0EES1A_EEDaS15_S16_EUlS15_E_NS1_11comp_targetILNS1_3genE9ELNS1_11target_archE1100ELNS1_3gpuE3ELNS1_3repE0EEENS1_30default_config_static_selectorELNS0_4arch9wavefront6targetE1EEEvT1_
; %bb.0:
	.section	.rodata,"a",@progbits
	.p2align	6, 0x0
	.amdhsa_kernel _ZN7rocprim17ROCPRIM_400000_NS6detail17trampoline_kernelINS0_14default_configENS1_25partition_config_selectorILNS1_17partition_subalgoE9EllbEEZZNS1_14partition_implILS5_9ELb0ES3_jPlS8_PNS0_10empty_typeENS0_5tupleIJS8_S9_EEENSB_IJS8_SA_EEENS0_18inequality_wrapperIZN2at6native12_GLOBAL__N_124unique_dim_cuda_templateIjEESt5tupleIJNSF_6TensorESK_SK_EERKSK_lbbbEUlllE0_EEPmJS9_EEE10hipError_tPvRmT3_T4_T5_T6_T7_T9_mT8_P12ihipStream_tbDpT10_ENKUlT_T0_E_clISt17integral_constantIbLb0EES1A_EEDaS15_S16_EUlS15_E_NS1_11comp_targetILNS1_3genE9ELNS1_11target_archE1100ELNS1_3gpuE3ELNS1_3repE0EEENS1_30default_config_static_selectorELNS0_4arch9wavefront6targetE1EEEvT1_
		.amdhsa_group_segment_fixed_size 0
		.amdhsa_private_segment_fixed_size 0
		.amdhsa_kernarg_size 120
		.amdhsa_user_sgpr_count 2
		.amdhsa_user_sgpr_dispatch_ptr 0
		.amdhsa_user_sgpr_queue_ptr 0
		.amdhsa_user_sgpr_kernarg_segment_ptr 1
		.amdhsa_user_sgpr_dispatch_id 0
		.amdhsa_user_sgpr_kernarg_preload_length 0
		.amdhsa_user_sgpr_kernarg_preload_offset 0
		.amdhsa_user_sgpr_private_segment_size 0
		.amdhsa_uses_dynamic_stack 0
		.amdhsa_enable_private_segment 0
		.amdhsa_system_sgpr_workgroup_id_x 1
		.amdhsa_system_sgpr_workgroup_id_y 0
		.amdhsa_system_sgpr_workgroup_id_z 0
		.amdhsa_system_sgpr_workgroup_info 0
		.amdhsa_system_vgpr_workitem_id 0
		.amdhsa_next_free_vgpr 1
		.amdhsa_next_free_sgpr 0
		.amdhsa_accum_offset 4
		.amdhsa_reserve_vcc 0
		.amdhsa_float_round_mode_32 0
		.amdhsa_float_round_mode_16_64 0
		.amdhsa_float_denorm_mode_32 3
		.amdhsa_float_denorm_mode_16_64 3
		.amdhsa_dx10_clamp 1
		.amdhsa_ieee_mode 1
		.amdhsa_fp16_overflow 0
		.amdhsa_tg_split 0
		.amdhsa_exception_fp_ieee_invalid_op 0
		.amdhsa_exception_fp_denorm_src 0
		.amdhsa_exception_fp_ieee_div_zero 0
		.amdhsa_exception_fp_ieee_overflow 0
		.amdhsa_exception_fp_ieee_underflow 0
		.amdhsa_exception_fp_ieee_inexact 0
		.amdhsa_exception_int_div_zero 0
	.end_amdhsa_kernel
	.section	.text._ZN7rocprim17ROCPRIM_400000_NS6detail17trampoline_kernelINS0_14default_configENS1_25partition_config_selectorILNS1_17partition_subalgoE9EllbEEZZNS1_14partition_implILS5_9ELb0ES3_jPlS8_PNS0_10empty_typeENS0_5tupleIJS8_S9_EEENSB_IJS8_SA_EEENS0_18inequality_wrapperIZN2at6native12_GLOBAL__N_124unique_dim_cuda_templateIjEESt5tupleIJNSF_6TensorESK_SK_EERKSK_lbbbEUlllE0_EEPmJS9_EEE10hipError_tPvRmT3_T4_T5_T6_T7_T9_mT8_P12ihipStream_tbDpT10_ENKUlT_T0_E_clISt17integral_constantIbLb0EES1A_EEDaS15_S16_EUlS15_E_NS1_11comp_targetILNS1_3genE9ELNS1_11target_archE1100ELNS1_3gpuE3ELNS1_3repE0EEENS1_30default_config_static_selectorELNS0_4arch9wavefront6targetE1EEEvT1_,"axG",@progbits,_ZN7rocprim17ROCPRIM_400000_NS6detail17trampoline_kernelINS0_14default_configENS1_25partition_config_selectorILNS1_17partition_subalgoE9EllbEEZZNS1_14partition_implILS5_9ELb0ES3_jPlS8_PNS0_10empty_typeENS0_5tupleIJS8_S9_EEENSB_IJS8_SA_EEENS0_18inequality_wrapperIZN2at6native12_GLOBAL__N_124unique_dim_cuda_templateIjEESt5tupleIJNSF_6TensorESK_SK_EERKSK_lbbbEUlllE0_EEPmJS9_EEE10hipError_tPvRmT3_T4_T5_T6_T7_T9_mT8_P12ihipStream_tbDpT10_ENKUlT_T0_E_clISt17integral_constantIbLb0EES1A_EEDaS15_S16_EUlS15_E_NS1_11comp_targetILNS1_3genE9ELNS1_11target_archE1100ELNS1_3gpuE3ELNS1_3repE0EEENS1_30default_config_static_selectorELNS0_4arch9wavefront6targetE1EEEvT1_,comdat
.Lfunc_end1579:
	.size	_ZN7rocprim17ROCPRIM_400000_NS6detail17trampoline_kernelINS0_14default_configENS1_25partition_config_selectorILNS1_17partition_subalgoE9EllbEEZZNS1_14partition_implILS5_9ELb0ES3_jPlS8_PNS0_10empty_typeENS0_5tupleIJS8_S9_EEENSB_IJS8_SA_EEENS0_18inequality_wrapperIZN2at6native12_GLOBAL__N_124unique_dim_cuda_templateIjEESt5tupleIJNSF_6TensorESK_SK_EERKSK_lbbbEUlllE0_EEPmJS9_EEE10hipError_tPvRmT3_T4_T5_T6_T7_T9_mT8_P12ihipStream_tbDpT10_ENKUlT_T0_E_clISt17integral_constantIbLb0EES1A_EEDaS15_S16_EUlS15_E_NS1_11comp_targetILNS1_3genE9ELNS1_11target_archE1100ELNS1_3gpuE3ELNS1_3repE0EEENS1_30default_config_static_selectorELNS0_4arch9wavefront6targetE1EEEvT1_, .Lfunc_end1579-_ZN7rocprim17ROCPRIM_400000_NS6detail17trampoline_kernelINS0_14default_configENS1_25partition_config_selectorILNS1_17partition_subalgoE9EllbEEZZNS1_14partition_implILS5_9ELb0ES3_jPlS8_PNS0_10empty_typeENS0_5tupleIJS8_S9_EEENSB_IJS8_SA_EEENS0_18inequality_wrapperIZN2at6native12_GLOBAL__N_124unique_dim_cuda_templateIjEESt5tupleIJNSF_6TensorESK_SK_EERKSK_lbbbEUlllE0_EEPmJS9_EEE10hipError_tPvRmT3_T4_T5_T6_T7_T9_mT8_P12ihipStream_tbDpT10_ENKUlT_T0_E_clISt17integral_constantIbLb0EES1A_EEDaS15_S16_EUlS15_E_NS1_11comp_targetILNS1_3genE9ELNS1_11target_archE1100ELNS1_3gpuE3ELNS1_3repE0EEENS1_30default_config_static_selectorELNS0_4arch9wavefront6targetE1EEEvT1_
                                        ; -- End function
	.set _ZN7rocprim17ROCPRIM_400000_NS6detail17trampoline_kernelINS0_14default_configENS1_25partition_config_selectorILNS1_17partition_subalgoE9EllbEEZZNS1_14partition_implILS5_9ELb0ES3_jPlS8_PNS0_10empty_typeENS0_5tupleIJS8_S9_EEENSB_IJS8_SA_EEENS0_18inequality_wrapperIZN2at6native12_GLOBAL__N_124unique_dim_cuda_templateIjEESt5tupleIJNSF_6TensorESK_SK_EERKSK_lbbbEUlllE0_EEPmJS9_EEE10hipError_tPvRmT3_T4_T5_T6_T7_T9_mT8_P12ihipStream_tbDpT10_ENKUlT_T0_E_clISt17integral_constantIbLb0EES1A_EEDaS15_S16_EUlS15_E_NS1_11comp_targetILNS1_3genE9ELNS1_11target_archE1100ELNS1_3gpuE3ELNS1_3repE0EEENS1_30default_config_static_selectorELNS0_4arch9wavefront6targetE1EEEvT1_.num_vgpr, 0
	.set _ZN7rocprim17ROCPRIM_400000_NS6detail17trampoline_kernelINS0_14default_configENS1_25partition_config_selectorILNS1_17partition_subalgoE9EllbEEZZNS1_14partition_implILS5_9ELb0ES3_jPlS8_PNS0_10empty_typeENS0_5tupleIJS8_S9_EEENSB_IJS8_SA_EEENS0_18inequality_wrapperIZN2at6native12_GLOBAL__N_124unique_dim_cuda_templateIjEESt5tupleIJNSF_6TensorESK_SK_EERKSK_lbbbEUlllE0_EEPmJS9_EEE10hipError_tPvRmT3_T4_T5_T6_T7_T9_mT8_P12ihipStream_tbDpT10_ENKUlT_T0_E_clISt17integral_constantIbLb0EES1A_EEDaS15_S16_EUlS15_E_NS1_11comp_targetILNS1_3genE9ELNS1_11target_archE1100ELNS1_3gpuE3ELNS1_3repE0EEENS1_30default_config_static_selectorELNS0_4arch9wavefront6targetE1EEEvT1_.num_agpr, 0
	.set _ZN7rocprim17ROCPRIM_400000_NS6detail17trampoline_kernelINS0_14default_configENS1_25partition_config_selectorILNS1_17partition_subalgoE9EllbEEZZNS1_14partition_implILS5_9ELb0ES3_jPlS8_PNS0_10empty_typeENS0_5tupleIJS8_S9_EEENSB_IJS8_SA_EEENS0_18inequality_wrapperIZN2at6native12_GLOBAL__N_124unique_dim_cuda_templateIjEESt5tupleIJNSF_6TensorESK_SK_EERKSK_lbbbEUlllE0_EEPmJS9_EEE10hipError_tPvRmT3_T4_T5_T6_T7_T9_mT8_P12ihipStream_tbDpT10_ENKUlT_T0_E_clISt17integral_constantIbLb0EES1A_EEDaS15_S16_EUlS15_E_NS1_11comp_targetILNS1_3genE9ELNS1_11target_archE1100ELNS1_3gpuE3ELNS1_3repE0EEENS1_30default_config_static_selectorELNS0_4arch9wavefront6targetE1EEEvT1_.numbered_sgpr, 0
	.set _ZN7rocprim17ROCPRIM_400000_NS6detail17trampoline_kernelINS0_14default_configENS1_25partition_config_selectorILNS1_17partition_subalgoE9EllbEEZZNS1_14partition_implILS5_9ELb0ES3_jPlS8_PNS0_10empty_typeENS0_5tupleIJS8_S9_EEENSB_IJS8_SA_EEENS0_18inequality_wrapperIZN2at6native12_GLOBAL__N_124unique_dim_cuda_templateIjEESt5tupleIJNSF_6TensorESK_SK_EERKSK_lbbbEUlllE0_EEPmJS9_EEE10hipError_tPvRmT3_T4_T5_T6_T7_T9_mT8_P12ihipStream_tbDpT10_ENKUlT_T0_E_clISt17integral_constantIbLb0EES1A_EEDaS15_S16_EUlS15_E_NS1_11comp_targetILNS1_3genE9ELNS1_11target_archE1100ELNS1_3gpuE3ELNS1_3repE0EEENS1_30default_config_static_selectorELNS0_4arch9wavefront6targetE1EEEvT1_.num_named_barrier, 0
	.set _ZN7rocprim17ROCPRIM_400000_NS6detail17trampoline_kernelINS0_14default_configENS1_25partition_config_selectorILNS1_17partition_subalgoE9EllbEEZZNS1_14partition_implILS5_9ELb0ES3_jPlS8_PNS0_10empty_typeENS0_5tupleIJS8_S9_EEENSB_IJS8_SA_EEENS0_18inequality_wrapperIZN2at6native12_GLOBAL__N_124unique_dim_cuda_templateIjEESt5tupleIJNSF_6TensorESK_SK_EERKSK_lbbbEUlllE0_EEPmJS9_EEE10hipError_tPvRmT3_T4_T5_T6_T7_T9_mT8_P12ihipStream_tbDpT10_ENKUlT_T0_E_clISt17integral_constantIbLb0EES1A_EEDaS15_S16_EUlS15_E_NS1_11comp_targetILNS1_3genE9ELNS1_11target_archE1100ELNS1_3gpuE3ELNS1_3repE0EEENS1_30default_config_static_selectorELNS0_4arch9wavefront6targetE1EEEvT1_.private_seg_size, 0
	.set _ZN7rocprim17ROCPRIM_400000_NS6detail17trampoline_kernelINS0_14default_configENS1_25partition_config_selectorILNS1_17partition_subalgoE9EllbEEZZNS1_14partition_implILS5_9ELb0ES3_jPlS8_PNS0_10empty_typeENS0_5tupleIJS8_S9_EEENSB_IJS8_SA_EEENS0_18inequality_wrapperIZN2at6native12_GLOBAL__N_124unique_dim_cuda_templateIjEESt5tupleIJNSF_6TensorESK_SK_EERKSK_lbbbEUlllE0_EEPmJS9_EEE10hipError_tPvRmT3_T4_T5_T6_T7_T9_mT8_P12ihipStream_tbDpT10_ENKUlT_T0_E_clISt17integral_constantIbLb0EES1A_EEDaS15_S16_EUlS15_E_NS1_11comp_targetILNS1_3genE9ELNS1_11target_archE1100ELNS1_3gpuE3ELNS1_3repE0EEENS1_30default_config_static_selectorELNS0_4arch9wavefront6targetE1EEEvT1_.uses_vcc, 0
	.set _ZN7rocprim17ROCPRIM_400000_NS6detail17trampoline_kernelINS0_14default_configENS1_25partition_config_selectorILNS1_17partition_subalgoE9EllbEEZZNS1_14partition_implILS5_9ELb0ES3_jPlS8_PNS0_10empty_typeENS0_5tupleIJS8_S9_EEENSB_IJS8_SA_EEENS0_18inequality_wrapperIZN2at6native12_GLOBAL__N_124unique_dim_cuda_templateIjEESt5tupleIJNSF_6TensorESK_SK_EERKSK_lbbbEUlllE0_EEPmJS9_EEE10hipError_tPvRmT3_T4_T5_T6_T7_T9_mT8_P12ihipStream_tbDpT10_ENKUlT_T0_E_clISt17integral_constantIbLb0EES1A_EEDaS15_S16_EUlS15_E_NS1_11comp_targetILNS1_3genE9ELNS1_11target_archE1100ELNS1_3gpuE3ELNS1_3repE0EEENS1_30default_config_static_selectorELNS0_4arch9wavefront6targetE1EEEvT1_.uses_flat_scratch, 0
	.set _ZN7rocprim17ROCPRIM_400000_NS6detail17trampoline_kernelINS0_14default_configENS1_25partition_config_selectorILNS1_17partition_subalgoE9EllbEEZZNS1_14partition_implILS5_9ELb0ES3_jPlS8_PNS0_10empty_typeENS0_5tupleIJS8_S9_EEENSB_IJS8_SA_EEENS0_18inequality_wrapperIZN2at6native12_GLOBAL__N_124unique_dim_cuda_templateIjEESt5tupleIJNSF_6TensorESK_SK_EERKSK_lbbbEUlllE0_EEPmJS9_EEE10hipError_tPvRmT3_T4_T5_T6_T7_T9_mT8_P12ihipStream_tbDpT10_ENKUlT_T0_E_clISt17integral_constantIbLb0EES1A_EEDaS15_S16_EUlS15_E_NS1_11comp_targetILNS1_3genE9ELNS1_11target_archE1100ELNS1_3gpuE3ELNS1_3repE0EEENS1_30default_config_static_selectorELNS0_4arch9wavefront6targetE1EEEvT1_.has_dyn_sized_stack, 0
	.set _ZN7rocprim17ROCPRIM_400000_NS6detail17trampoline_kernelINS0_14default_configENS1_25partition_config_selectorILNS1_17partition_subalgoE9EllbEEZZNS1_14partition_implILS5_9ELb0ES3_jPlS8_PNS0_10empty_typeENS0_5tupleIJS8_S9_EEENSB_IJS8_SA_EEENS0_18inequality_wrapperIZN2at6native12_GLOBAL__N_124unique_dim_cuda_templateIjEESt5tupleIJNSF_6TensorESK_SK_EERKSK_lbbbEUlllE0_EEPmJS9_EEE10hipError_tPvRmT3_T4_T5_T6_T7_T9_mT8_P12ihipStream_tbDpT10_ENKUlT_T0_E_clISt17integral_constantIbLb0EES1A_EEDaS15_S16_EUlS15_E_NS1_11comp_targetILNS1_3genE9ELNS1_11target_archE1100ELNS1_3gpuE3ELNS1_3repE0EEENS1_30default_config_static_selectorELNS0_4arch9wavefront6targetE1EEEvT1_.has_recursion, 0
	.set _ZN7rocprim17ROCPRIM_400000_NS6detail17trampoline_kernelINS0_14default_configENS1_25partition_config_selectorILNS1_17partition_subalgoE9EllbEEZZNS1_14partition_implILS5_9ELb0ES3_jPlS8_PNS0_10empty_typeENS0_5tupleIJS8_S9_EEENSB_IJS8_SA_EEENS0_18inequality_wrapperIZN2at6native12_GLOBAL__N_124unique_dim_cuda_templateIjEESt5tupleIJNSF_6TensorESK_SK_EERKSK_lbbbEUlllE0_EEPmJS9_EEE10hipError_tPvRmT3_T4_T5_T6_T7_T9_mT8_P12ihipStream_tbDpT10_ENKUlT_T0_E_clISt17integral_constantIbLb0EES1A_EEDaS15_S16_EUlS15_E_NS1_11comp_targetILNS1_3genE9ELNS1_11target_archE1100ELNS1_3gpuE3ELNS1_3repE0EEENS1_30default_config_static_selectorELNS0_4arch9wavefront6targetE1EEEvT1_.has_indirect_call, 0
	.section	.AMDGPU.csdata,"",@progbits
; Kernel info:
; codeLenInByte = 0
; TotalNumSgprs: 6
; NumVgprs: 0
; NumAgprs: 0
; TotalNumVgprs: 0
; ScratchSize: 0
; MemoryBound: 0
; FloatMode: 240
; IeeeMode: 1
; LDSByteSize: 0 bytes/workgroup (compile time only)
; SGPRBlocks: 0
; VGPRBlocks: 0
; NumSGPRsForWavesPerEU: 6
; NumVGPRsForWavesPerEU: 1
; AccumOffset: 4
; Occupancy: 8
; WaveLimiterHint : 0
; COMPUTE_PGM_RSRC2:SCRATCH_EN: 0
; COMPUTE_PGM_RSRC2:USER_SGPR: 2
; COMPUTE_PGM_RSRC2:TRAP_HANDLER: 0
; COMPUTE_PGM_RSRC2:TGID_X_EN: 1
; COMPUTE_PGM_RSRC2:TGID_Y_EN: 0
; COMPUTE_PGM_RSRC2:TGID_Z_EN: 0
; COMPUTE_PGM_RSRC2:TIDIG_COMP_CNT: 0
; COMPUTE_PGM_RSRC3_GFX90A:ACCUM_OFFSET: 0
; COMPUTE_PGM_RSRC3_GFX90A:TG_SPLIT: 0
	.section	.text._ZN7rocprim17ROCPRIM_400000_NS6detail17trampoline_kernelINS0_14default_configENS1_25partition_config_selectorILNS1_17partition_subalgoE9EllbEEZZNS1_14partition_implILS5_9ELb0ES3_jPlS8_PNS0_10empty_typeENS0_5tupleIJS8_S9_EEENSB_IJS8_SA_EEENS0_18inequality_wrapperIZN2at6native12_GLOBAL__N_124unique_dim_cuda_templateIjEESt5tupleIJNSF_6TensorESK_SK_EERKSK_lbbbEUlllE0_EEPmJS9_EEE10hipError_tPvRmT3_T4_T5_T6_T7_T9_mT8_P12ihipStream_tbDpT10_ENKUlT_T0_E_clISt17integral_constantIbLb0EES1A_EEDaS15_S16_EUlS15_E_NS1_11comp_targetILNS1_3genE8ELNS1_11target_archE1030ELNS1_3gpuE2ELNS1_3repE0EEENS1_30default_config_static_selectorELNS0_4arch9wavefront6targetE1EEEvT1_,"axG",@progbits,_ZN7rocprim17ROCPRIM_400000_NS6detail17trampoline_kernelINS0_14default_configENS1_25partition_config_selectorILNS1_17partition_subalgoE9EllbEEZZNS1_14partition_implILS5_9ELb0ES3_jPlS8_PNS0_10empty_typeENS0_5tupleIJS8_S9_EEENSB_IJS8_SA_EEENS0_18inequality_wrapperIZN2at6native12_GLOBAL__N_124unique_dim_cuda_templateIjEESt5tupleIJNSF_6TensorESK_SK_EERKSK_lbbbEUlllE0_EEPmJS9_EEE10hipError_tPvRmT3_T4_T5_T6_T7_T9_mT8_P12ihipStream_tbDpT10_ENKUlT_T0_E_clISt17integral_constantIbLb0EES1A_EEDaS15_S16_EUlS15_E_NS1_11comp_targetILNS1_3genE8ELNS1_11target_archE1030ELNS1_3gpuE2ELNS1_3repE0EEENS1_30default_config_static_selectorELNS0_4arch9wavefront6targetE1EEEvT1_,comdat
	.globl	_ZN7rocprim17ROCPRIM_400000_NS6detail17trampoline_kernelINS0_14default_configENS1_25partition_config_selectorILNS1_17partition_subalgoE9EllbEEZZNS1_14partition_implILS5_9ELb0ES3_jPlS8_PNS0_10empty_typeENS0_5tupleIJS8_S9_EEENSB_IJS8_SA_EEENS0_18inequality_wrapperIZN2at6native12_GLOBAL__N_124unique_dim_cuda_templateIjEESt5tupleIJNSF_6TensorESK_SK_EERKSK_lbbbEUlllE0_EEPmJS9_EEE10hipError_tPvRmT3_T4_T5_T6_T7_T9_mT8_P12ihipStream_tbDpT10_ENKUlT_T0_E_clISt17integral_constantIbLb0EES1A_EEDaS15_S16_EUlS15_E_NS1_11comp_targetILNS1_3genE8ELNS1_11target_archE1030ELNS1_3gpuE2ELNS1_3repE0EEENS1_30default_config_static_selectorELNS0_4arch9wavefront6targetE1EEEvT1_ ; -- Begin function _ZN7rocprim17ROCPRIM_400000_NS6detail17trampoline_kernelINS0_14default_configENS1_25partition_config_selectorILNS1_17partition_subalgoE9EllbEEZZNS1_14partition_implILS5_9ELb0ES3_jPlS8_PNS0_10empty_typeENS0_5tupleIJS8_S9_EEENSB_IJS8_SA_EEENS0_18inequality_wrapperIZN2at6native12_GLOBAL__N_124unique_dim_cuda_templateIjEESt5tupleIJNSF_6TensorESK_SK_EERKSK_lbbbEUlllE0_EEPmJS9_EEE10hipError_tPvRmT3_T4_T5_T6_T7_T9_mT8_P12ihipStream_tbDpT10_ENKUlT_T0_E_clISt17integral_constantIbLb0EES1A_EEDaS15_S16_EUlS15_E_NS1_11comp_targetILNS1_3genE8ELNS1_11target_archE1030ELNS1_3gpuE2ELNS1_3repE0EEENS1_30default_config_static_selectorELNS0_4arch9wavefront6targetE1EEEvT1_
	.p2align	8
	.type	_ZN7rocprim17ROCPRIM_400000_NS6detail17trampoline_kernelINS0_14default_configENS1_25partition_config_selectorILNS1_17partition_subalgoE9EllbEEZZNS1_14partition_implILS5_9ELb0ES3_jPlS8_PNS0_10empty_typeENS0_5tupleIJS8_S9_EEENSB_IJS8_SA_EEENS0_18inequality_wrapperIZN2at6native12_GLOBAL__N_124unique_dim_cuda_templateIjEESt5tupleIJNSF_6TensorESK_SK_EERKSK_lbbbEUlllE0_EEPmJS9_EEE10hipError_tPvRmT3_T4_T5_T6_T7_T9_mT8_P12ihipStream_tbDpT10_ENKUlT_T0_E_clISt17integral_constantIbLb0EES1A_EEDaS15_S16_EUlS15_E_NS1_11comp_targetILNS1_3genE8ELNS1_11target_archE1030ELNS1_3gpuE2ELNS1_3repE0EEENS1_30default_config_static_selectorELNS0_4arch9wavefront6targetE1EEEvT1_,@function
_ZN7rocprim17ROCPRIM_400000_NS6detail17trampoline_kernelINS0_14default_configENS1_25partition_config_selectorILNS1_17partition_subalgoE9EllbEEZZNS1_14partition_implILS5_9ELb0ES3_jPlS8_PNS0_10empty_typeENS0_5tupleIJS8_S9_EEENSB_IJS8_SA_EEENS0_18inequality_wrapperIZN2at6native12_GLOBAL__N_124unique_dim_cuda_templateIjEESt5tupleIJNSF_6TensorESK_SK_EERKSK_lbbbEUlllE0_EEPmJS9_EEE10hipError_tPvRmT3_T4_T5_T6_T7_T9_mT8_P12ihipStream_tbDpT10_ENKUlT_T0_E_clISt17integral_constantIbLb0EES1A_EEDaS15_S16_EUlS15_E_NS1_11comp_targetILNS1_3genE8ELNS1_11target_archE1030ELNS1_3gpuE2ELNS1_3repE0EEENS1_30default_config_static_selectorELNS0_4arch9wavefront6targetE1EEEvT1_: ; @_ZN7rocprim17ROCPRIM_400000_NS6detail17trampoline_kernelINS0_14default_configENS1_25partition_config_selectorILNS1_17partition_subalgoE9EllbEEZZNS1_14partition_implILS5_9ELb0ES3_jPlS8_PNS0_10empty_typeENS0_5tupleIJS8_S9_EEENSB_IJS8_SA_EEENS0_18inequality_wrapperIZN2at6native12_GLOBAL__N_124unique_dim_cuda_templateIjEESt5tupleIJNSF_6TensorESK_SK_EERKSK_lbbbEUlllE0_EEPmJS9_EEE10hipError_tPvRmT3_T4_T5_T6_T7_T9_mT8_P12ihipStream_tbDpT10_ENKUlT_T0_E_clISt17integral_constantIbLb0EES1A_EEDaS15_S16_EUlS15_E_NS1_11comp_targetILNS1_3genE8ELNS1_11target_archE1030ELNS1_3gpuE2ELNS1_3repE0EEENS1_30default_config_static_selectorELNS0_4arch9wavefront6targetE1EEEvT1_
; %bb.0:
	.section	.rodata,"a",@progbits
	.p2align	6, 0x0
	.amdhsa_kernel _ZN7rocprim17ROCPRIM_400000_NS6detail17trampoline_kernelINS0_14default_configENS1_25partition_config_selectorILNS1_17partition_subalgoE9EllbEEZZNS1_14partition_implILS5_9ELb0ES3_jPlS8_PNS0_10empty_typeENS0_5tupleIJS8_S9_EEENSB_IJS8_SA_EEENS0_18inequality_wrapperIZN2at6native12_GLOBAL__N_124unique_dim_cuda_templateIjEESt5tupleIJNSF_6TensorESK_SK_EERKSK_lbbbEUlllE0_EEPmJS9_EEE10hipError_tPvRmT3_T4_T5_T6_T7_T9_mT8_P12ihipStream_tbDpT10_ENKUlT_T0_E_clISt17integral_constantIbLb0EES1A_EEDaS15_S16_EUlS15_E_NS1_11comp_targetILNS1_3genE8ELNS1_11target_archE1030ELNS1_3gpuE2ELNS1_3repE0EEENS1_30default_config_static_selectorELNS0_4arch9wavefront6targetE1EEEvT1_
		.amdhsa_group_segment_fixed_size 0
		.amdhsa_private_segment_fixed_size 0
		.amdhsa_kernarg_size 120
		.amdhsa_user_sgpr_count 2
		.amdhsa_user_sgpr_dispatch_ptr 0
		.amdhsa_user_sgpr_queue_ptr 0
		.amdhsa_user_sgpr_kernarg_segment_ptr 1
		.amdhsa_user_sgpr_dispatch_id 0
		.amdhsa_user_sgpr_kernarg_preload_length 0
		.amdhsa_user_sgpr_kernarg_preload_offset 0
		.amdhsa_user_sgpr_private_segment_size 0
		.amdhsa_uses_dynamic_stack 0
		.amdhsa_enable_private_segment 0
		.amdhsa_system_sgpr_workgroup_id_x 1
		.amdhsa_system_sgpr_workgroup_id_y 0
		.amdhsa_system_sgpr_workgroup_id_z 0
		.amdhsa_system_sgpr_workgroup_info 0
		.amdhsa_system_vgpr_workitem_id 0
		.amdhsa_next_free_vgpr 1
		.amdhsa_next_free_sgpr 0
		.amdhsa_accum_offset 4
		.amdhsa_reserve_vcc 0
		.amdhsa_float_round_mode_32 0
		.amdhsa_float_round_mode_16_64 0
		.amdhsa_float_denorm_mode_32 3
		.amdhsa_float_denorm_mode_16_64 3
		.amdhsa_dx10_clamp 1
		.amdhsa_ieee_mode 1
		.amdhsa_fp16_overflow 0
		.amdhsa_tg_split 0
		.amdhsa_exception_fp_ieee_invalid_op 0
		.amdhsa_exception_fp_denorm_src 0
		.amdhsa_exception_fp_ieee_div_zero 0
		.amdhsa_exception_fp_ieee_overflow 0
		.amdhsa_exception_fp_ieee_underflow 0
		.amdhsa_exception_fp_ieee_inexact 0
		.amdhsa_exception_int_div_zero 0
	.end_amdhsa_kernel
	.section	.text._ZN7rocprim17ROCPRIM_400000_NS6detail17trampoline_kernelINS0_14default_configENS1_25partition_config_selectorILNS1_17partition_subalgoE9EllbEEZZNS1_14partition_implILS5_9ELb0ES3_jPlS8_PNS0_10empty_typeENS0_5tupleIJS8_S9_EEENSB_IJS8_SA_EEENS0_18inequality_wrapperIZN2at6native12_GLOBAL__N_124unique_dim_cuda_templateIjEESt5tupleIJNSF_6TensorESK_SK_EERKSK_lbbbEUlllE0_EEPmJS9_EEE10hipError_tPvRmT3_T4_T5_T6_T7_T9_mT8_P12ihipStream_tbDpT10_ENKUlT_T0_E_clISt17integral_constantIbLb0EES1A_EEDaS15_S16_EUlS15_E_NS1_11comp_targetILNS1_3genE8ELNS1_11target_archE1030ELNS1_3gpuE2ELNS1_3repE0EEENS1_30default_config_static_selectorELNS0_4arch9wavefront6targetE1EEEvT1_,"axG",@progbits,_ZN7rocprim17ROCPRIM_400000_NS6detail17trampoline_kernelINS0_14default_configENS1_25partition_config_selectorILNS1_17partition_subalgoE9EllbEEZZNS1_14partition_implILS5_9ELb0ES3_jPlS8_PNS0_10empty_typeENS0_5tupleIJS8_S9_EEENSB_IJS8_SA_EEENS0_18inequality_wrapperIZN2at6native12_GLOBAL__N_124unique_dim_cuda_templateIjEESt5tupleIJNSF_6TensorESK_SK_EERKSK_lbbbEUlllE0_EEPmJS9_EEE10hipError_tPvRmT3_T4_T5_T6_T7_T9_mT8_P12ihipStream_tbDpT10_ENKUlT_T0_E_clISt17integral_constantIbLb0EES1A_EEDaS15_S16_EUlS15_E_NS1_11comp_targetILNS1_3genE8ELNS1_11target_archE1030ELNS1_3gpuE2ELNS1_3repE0EEENS1_30default_config_static_selectorELNS0_4arch9wavefront6targetE1EEEvT1_,comdat
.Lfunc_end1580:
	.size	_ZN7rocprim17ROCPRIM_400000_NS6detail17trampoline_kernelINS0_14default_configENS1_25partition_config_selectorILNS1_17partition_subalgoE9EllbEEZZNS1_14partition_implILS5_9ELb0ES3_jPlS8_PNS0_10empty_typeENS0_5tupleIJS8_S9_EEENSB_IJS8_SA_EEENS0_18inequality_wrapperIZN2at6native12_GLOBAL__N_124unique_dim_cuda_templateIjEESt5tupleIJNSF_6TensorESK_SK_EERKSK_lbbbEUlllE0_EEPmJS9_EEE10hipError_tPvRmT3_T4_T5_T6_T7_T9_mT8_P12ihipStream_tbDpT10_ENKUlT_T0_E_clISt17integral_constantIbLb0EES1A_EEDaS15_S16_EUlS15_E_NS1_11comp_targetILNS1_3genE8ELNS1_11target_archE1030ELNS1_3gpuE2ELNS1_3repE0EEENS1_30default_config_static_selectorELNS0_4arch9wavefront6targetE1EEEvT1_, .Lfunc_end1580-_ZN7rocprim17ROCPRIM_400000_NS6detail17trampoline_kernelINS0_14default_configENS1_25partition_config_selectorILNS1_17partition_subalgoE9EllbEEZZNS1_14partition_implILS5_9ELb0ES3_jPlS8_PNS0_10empty_typeENS0_5tupleIJS8_S9_EEENSB_IJS8_SA_EEENS0_18inequality_wrapperIZN2at6native12_GLOBAL__N_124unique_dim_cuda_templateIjEESt5tupleIJNSF_6TensorESK_SK_EERKSK_lbbbEUlllE0_EEPmJS9_EEE10hipError_tPvRmT3_T4_T5_T6_T7_T9_mT8_P12ihipStream_tbDpT10_ENKUlT_T0_E_clISt17integral_constantIbLb0EES1A_EEDaS15_S16_EUlS15_E_NS1_11comp_targetILNS1_3genE8ELNS1_11target_archE1030ELNS1_3gpuE2ELNS1_3repE0EEENS1_30default_config_static_selectorELNS0_4arch9wavefront6targetE1EEEvT1_
                                        ; -- End function
	.set _ZN7rocprim17ROCPRIM_400000_NS6detail17trampoline_kernelINS0_14default_configENS1_25partition_config_selectorILNS1_17partition_subalgoE9EllbEEZZNS1_14partition_implILS5_9ELb0ES3_jPlS8_PNS0_10empty_typeENS0_5tupleIJS8_S9_EEENSB_IJS8_SA_EEENS0_18inequality_wrapperIZN2at6native12_GLOBAL__N_124unique_dim_cuda_templateIjEESt5tupleIJNSF_6TensorESK_SK_EERKSK_lbbbEUlllE0_EEPmJS9_EEE10hipError_tPvRmT3_T4_T5_T6_T7_T9_mT8_P12ihipStream_tbDpT10_ENKUlT_T0_E_clISt17integral_constantIbLb0EES1A_EEDaS15_S16_EUlS15_E_NS1_11comp_targetILNS1_3genE8ELNS1_11target_archE1030ELNS1_3gpuE2ELNS1_3repE0EEENS1_30default_config_static_selectorELNS0_4arch9wavefront6targetE1EEEvT1_.num_vgpr, 0
	.set _ZN7rocprim17ROCPRIM_400000_NS6detail17trampoline_kernelINS0_14default_configENS1_25partition_config_selectorILNS1_17partition_subalgoE9EllbEEZZNS1_14partition_implILS5_9ELb0ES3_jPlS8_PNS0_10empty_typeENS0_5tupleIJS8_S9_EEENSB_IJS8_SA_EEENS0_18inequality_wrapperIZN2at6native12_GLOBAL__N_124unique_dim_cuda_templateIjEESt5tupleIJNSF_6TensorESK_SK_EERKSK_lbbbEUlllE0_EEPmJS9_EEE10hipError_tPvRmT3_T4_T5_T6_T7_T9_mT8_P12ihipStream_tbDpT10_ENKUlT_T0_E_clISt17integral_constantIbLb0EES1A_EEDaS15_S16_EUlS15_E_NS1_11comp_targetILNS1_3genE8ELNS1_11target_archE1030ELNS1_3gpuE2ELNS1_3repE0EEENS1_30default_config_static_selectorELNS0_4arch9wavefront6targetE1EEEvT1_.num_agpr, 0
	.set _ZN7rocprim17ROCPRIM_400000_NS6detail17trampoline_kernelINS0_14default_configENS1_25partition_config_selectorILNS1_17partition_subalgoE9EllbEEZZNS1_14partition_implILS5_9ELb0ES3_jPlS8_PNS0_10empty_typeENS0_5tupleIJS8_S9_EEENSB_IJS8_SA_EEENS0_18inequality_wrapperIZN2at6native12_GLOBAL__N_124unique_dim_cuda_templateIjEESt5tupleIJNSF_6TensorESK_SK_EERKSK_lbbbEUlllE0_EEPmJS9_EEE10hipError_tPvRmT3_T4_T5_T6_T7_T9_mT8_P12ihipStream_tbDpT10_ENKUlT_T0_E_clISt17integral_constantIbLb0EES1A_EEDaS15_S16_EUlS15_E_NS1_11comp_targetILNS1_3genE8ELNS1_11target_archE1030ELNS1_3gpuE2ELNS1_3repE0EEENS1_30default_config_static_selectorELNS0_4arch9wavefront6targetE1EEEvT1_.numbered_sgpr, 0
	.set _ZN7rocprim17ROCPRIM_400000_NS6detail17trampoline_kernelINS0_14default_configENS1_25partition_config_selectorILNS1_17partition_subalgoE9EllbEEZZNS1_14partition_implILS5_9ELb0ES3_jPlS8_PNS0_10empty_typeENS0_5tupleIJS8_S9_EEENSB_IJS8_SA_EEENS0_18inequality_wrapperIZN2at6native12_GLOBAL__N_124unique_dim_cuda_templateIjEESt5tupleIJNSF_6TensorESK_SK_EERKSK_lbbbEUlllE0_EEPmJS9_EEE10hipError_tPvRmT3_T4_T5_T6_T7_T9_mT8_P12ihipStream_tbDpT10_ENKUlT_T0_E_clISt17integral_constantIbLb0EES1A_EEDaS15_S16_EUlS15_E_NS1_11comp_targetILNS1_3genE8ELNS1_11target_archE1030ELNS1_3gpuE2ELNS1_3repE0EEENS1_30default_config_static_selectorELNS0_4arch9wavefront6targetE1EEEvT1_.num_named_barrier, 0
	.set _ZN7rocprim17ROCPRIM_400000_NS6detail17trampoline_kernelINS0_14default_configENS1_25partition_config_selectorILNS1_17partition_subalgoE9EllbEEZZNS1_14partition_implILS5_9ELb0ES3_jPlS8_PNS0_10empty_typeENS0_5tupleIJS8_S9_EEENSB_IJS8_SA_EEENS0_18inequality_wrapperIZN2at6native12_GLOBAL__N_124unique_dim_cuda_templateIjEESt5tupleIJNSF_6TensorESK_SK_EERKSK_lbbbEUlllE0_EEPmJS9_EEE10hipError_tPvRmT3_T4_T5_T6_T7_T9_mT8_P12ihipStream_tbDpT10_ENKUlT_T0_E_clISt17integral_constantIbLb0EES1A_EEDaS15_S16_EUlS15_E_NS1_11comp_targetILNS1_3genE8ELNS1_11target_archE1030ELNS1_3gpuE2ELNS1_3repE0EEENS1_30default_config_static_selectorELNS0_4arch9wavefront6targetE1EEEvT1_.private_seg_size, 0
	.set _ZN7rocprim17ROCPRIM_400000_NS6detail17trampoline_kernelINS0_14default_configENS1_25partition_config_selectorILNS1_17partition_subalgoE9EllbEEZZNS1_14partition_implILS5_9ELb0ES3_jPlS8_PNS0_10empty_typeENS0_5tupleIJS8_S9_EEENSB_IJS8_SA_EEENS0_18inequality_wrapperIZN2at6native12_GLOBAL__N_124unique_dim_cuda_templateIjEESt5tupleIJNSF_6TensorESK_SK_EERKSK_lbbbEUlllE0_EEPmJS9_EEE10hipError_tPvRmT3_T4_T5_T6_T7_T9_mT8_P12ihipStream_tbDpT10_ENKUlT_T0_E_clISt17integral_constantIbLb0EES1A_EEDaS15_S16_EUlS15_E_NS1_11comp_targetILNS1_3genE8ELNS1_11target_archE1030ELNS1_3gpuE2ELNS1_3repE0EEENS1_30default_config_static_selectorELNS0_4arch9wavefront6targetE1EEEvT1_.uses_vcc, 0
	.set _ZN7rocprim17ROCPRIM_400000_NS6detail17trampoline_kernelINS0_14default_configENS1_25partition_config_selectorILNS1_17partition_subalgoE9EllbEEZZNS1_14partition_implILS5_9ELb0ES3_jPlS8_PNS0_10empty_typeENS0_5tupleIJS8_S9_EEENSB_IJS8_SA_EEENS0_18inequality_wrapperIZN2at6native12_GLOBAL__N_124unique_dim_cuda_templateIjEESt5tupleIJNSF_6TensorESK_SK_EERKSK_lbbbEUlllE0_EEPmJS9_EEE10hipError_tPvRmT3_T4_T5_T6_T7_T9_mT8_P12ihipStream_tbDpT10_ENKUlT_T0_E_clISt17integral_constantIbLb0EES1A_EEDaS15_S16_EUlS15_E_NS1_11comp_targetILNS1_3genE8ELNS1_11target_archE1030ELNS1_3gpuE2ELNS1_3repE0EEENS1_30default_config_static_selectorELNS0_4arch9wavefront6targetE1EEEvT1_.uses_flat_scratch, 0
	.set _ZN7rocprim17ROCPRIM_400000_NS6detail17trampoline_kernelINS0_14default_configENS1_25partition_config_selectorILNS1_17partition_subalgoE9EllbEEZZNS1_14partition_implILS5_9ELb0ES3_jPlS8_PNS0_10empty_typeENS0_5tupleIJS8_S9_EEENSB_IJS8_SA_EEENS0_18inequality_wrapperIZN2at6native12_GLOBAL__N_124unique_dim_cuda_templateIjEESt5tupleIJNSF_6TensorESK_SK_EERKSK_lbbbEUlllE0_EEPmJS9_EEE10hipError_tPvRmT3_T4_T5_T6_T7_T9_mT8_P12ihipStream_tbDpT10_ENKUlT_T0_E_clISt17integral_constantIbLb0EES1A_EEDaS15_S16_EUlS15_E_NS1_11comp_targetILNS1_3genE8ELNS1_11target_archE1030ELNS1_3gpuE2ELNS1_3repE0EEENS1_30default_config_static_selectorELNS0_4arch9wavefront6targetE1EEEvT1_.has_dyn_sized_stack, 0
	.set _ZN7rocprim17ROCPRIM_400000_NS6detail17trampoline_kernelINS0_14default_configENS1_25partition_config_selectorILNS1_17partition_subalgoE9EllbEEZZNS1_14partition_implILS5_9ELb0ES3_jPlS8_PNS0_10empty_typeENS0_5tupleIJS8_S9_EEENSB_IJS8_SA_EEENS0_18inequality_wrapperIZN2at6native12_GLOBAL__N_124unique_dim_cuda_templateIjEESt5tupleIJNSF_6TensorESK_SK_EERKSK_lbbbEUlllE0_EEPmJS9_EEE10hipError_tPvRmT3_T4_T5_T6_T7_T9_mT8_P12ihipStream_tbDpT10_ENKUlT_T0_E_clISt17integral_constantIbLb0EES1A_EEDaS15_S16_EUlS15_E_NS1_11comp_targetILNS1_3genE8ELNS1_11target_archE1030ELNS1_3gpuE2ELNS1_3repE0EEENS1_30default_config_static_selectorELNS0_4arch9wavefront6targetE1EEEvT1_.has_recursion, 0
	.set _ZN7rocprim17ROCPRIM_400000_NS6detail17trampoline_kernelINS0_14default_configENS1_25partition_config_selectorILNS1_17partition_subalgoE9EllbEEZZNS1_14partition_implILS5_9ELb0ES3_jPlS8_PNS0_10empty_typeENS0_5tupleIJS8_S9_EEENSB_IJS8_SA_EEENS0_18inequality_wrapperIZN2at6native12_GLOBAL__N_124unique_dim_cuda_templateIjEESt5tupleIJNSF_6TensorESK_SK_EERKSK_lbbbEUlllE0_EEPmJS9_EEE10hipError_tPvRmT3_T4_T5_T6_T7_T9_mT8_P12ihipStream_tbDpT10_ENKUlT_T0_E_clISt17integral_constantIbLb0EES1A_EEDaS15_S16_EUlS15_E_NS1_11comp_targetILNS1_3genE8ELNS1_11target_archE1030ELNS1_3gpuE2ELNS1_3repE0EEENS1_30default_config_static_selectorELNS0_4arch9wavefront6targetE1EEEvT1_.has_indirect_call, 0
	.section	.AMDGPU.csdata,"",@progbits
; Kernel info:
; codeLenInByte = 0
; TotalNumSgprs: 6
; NumVgprs: 0
; NumAgprs: 0
; TotalNumVgprs: 0
; ScratchSize: 0
; MemoryBound: 0
; FloatMode: 240
; IeeeMode: 1
; LDSByteSize: 0 bytes/workgroup (compile time only)
; SGPRBlocks: 0
; VGPRBlocks: 0
; NumSGPRsForWavesPerEU: 6
; NumVGPRsForWavesPerEU: 1
; AccumOffset: 4
; Occupancy: 8
; WaveLimiterHint : 0
; COMPUTE_PGM_RSRC2:SCRATCH_EN: 0
; COMPUTE_PGM_RSRC2:USER_SGPR: 2
; COMPUTE_PGM_RSRC2:TRAP_HANDLER: 0
; COMPUTE_PGM_RSRC2:TGID_X_EN: 1
; COMPUTE_PGM_RSRC2:TGID_Y_EN: 0
; COMPUTE_PGM_RSRC2:TGID_Z_EN: 0
; COMPUTE_PGM_RSRC2:TIDIG_COMP_CNT: 0
; COMPUTE_PGM_RSRC3_GFX90A:ACCUM_OFFSET: 0
; COMPUTE_PGM_RSRC3_GFX90A:TG_SPLIT: 0
	.section	.text._ZN7rocprim17ROCPRIM_400000_NS6detail17trampoline_kernelINS0_14default_configENS1_25partition_config_selectorILNS1_17partition_subalgoE9EllbEEZZNS1_14partition_implILS5_9ELb0ES3_jPlS8_PNS0_10empty_typeENS0_5tupleIJS8_S9_EEENSB_IJS8_SA_EEENS0_18inequality_wrapperIZN2at6native12_GLOBAL__N_124unique_dim_cuda_templateIjEESt5tupleIJNSF_6TensorESK_SK_EERKSK_lbbbEUlllE0_EEPmJS9_EEE10hipError_tPvRmT3_T4_T5_T6_T7_T9_mT8_P12ihipStream_tbDpT10_ENKUlT_T0_E_clISt17integral_constantIbLb1EES1A_EEDaS15_S16_EUlS15_E_NS1_11comp_targetILNS1_3genE0ELNS1_11target_archE4294967295ELNS1_3gpuE0ELNS1_3repE0EEENS1_30default_config_static_selectorELNS0_4arch9wavefront6targetE1EEEvT1_,"axG",@progbits,_ZN7rocprim17ROCPRIM_400000_NS6detail17trampoline_kernelINS0_14default_configENS1_25partition_config_selectorILNS1_17partition_subalgoE9EllbEEZZNS1_14partition_implILS5_9ELb0ES3_jPlS8_PNS0_10empty_typeENS0_5tupleIJS8_S9_EEENSB_IJS8_SA_EEENS0_18inequality_wrapperIZN2at6native12_GLOBAL__N_124unique_dim_cuda_templateIjEESt5tupleIJNSF_6TensorESK_SK_EERKSK_lbbbEUlllE0_EEPmJS9_EEE10hipError_tPvRmT3_T4_T5_T6_T7_T9_mT8_P12ihipStream_tbDpT10_ENKUlT_T0_E_clISt17integral_constantIbLb1EES1A_EEDaS15_S16_EUlS15_E_NS1_11comp_targetILNS1_3genE0ELNS1_11target_archE4294967295ELNS1_3gpuE0ELNS1_3repE0EEENS1_30default_config_static_selectorELNS0_4arch9wavefront6targetE1EEEvT1_,comdat
	.globl	_ZN7rocprim17ROCPRIM_400000_NS6detail17trampoline_kernelINS0_14default_configENS1_25partition_config_selectorILNS1_17partition_subalgoE9EllbEEZZNS1_14partition_implILS5_9ELb0ES3_jPlS8_PNS0_10empty_typeENS0_5tupleIJS8_S9_EEENSB_IJS8_SA_EEENS0_18inequality_wrapperIZN2at6native12_GLOBAL__N_124unique_dim_cuda_templateIjEESt5tupleIJNSF_6TensorESK_SK_EERKSK_lbbbEUlllE0_EEPmJS9_EEE10hipError_tPvRmT3_T4_T5_T6_T7_T9_mT8_P12ihipStream_tbDpT10_ENKUlT_T0_E_clISt17integral_constantIbLb1EES1A_EEDaS15_S16_EUlS15_E_NS1_11comp_targetILNS1_3genE0ELNS1_11target_archE4294967295ELNS1_3gpuE0ELNS1_3repE0EEENS1_30default_config_static_selectorELNS0_4arch9wavefront6targetE1EEEvT1_ ; -- Begin function _ZN7rocprim17ROCPRIM_400000_NS6detail17trampoline_kernelINS0_14default_configENS1_25partition_config_selectorILNS1_17partition_subalgoE9EllbEEZZNS1_14partition_implILS5_9ELb0ES3_jPlS8_PNS0_10empty_typeENS0_5tupleIJS8_S9_EEENSB_IJS8_SA_EEENS0_18inequality_wrapperIZN2at6native12_GLOBAL__N_124unique_dim_cuda_templateIjEESt5tupleIJNSF_6TensorESK_SK_EERKSK_lbbbEUlllE0_EEPmJS9_EEE10hipError_tPvRmT3_T4_T5_T6_T7_T9_mT8_P12ihipStream_tbDpT10_ENKUlT_T0_E_clISt17integral_constantIbLb1EES1A_EEDaS15_S16_EUlS15_E_NS1_11comp_targetILNS1_3genE0ELNS1_11target_archE4294967295ELNS1_3gpuE0ELNS1_3repE0EEENS1_30default_config_static_selectorELNS0_4arch9wavefront6targetE1EEEvT1_
	.p2align	8
	.type	_ZN7rocprim17ROCPRIM_400000_NS6detail17trampoline_kernelINS0_14default_configENS1_25partition_config_selectorILNS1_17partition_subalgoE9EllbEEZZNS1_14partition_implILS5_9ELb0ES3_jPlS8_PNS0_10empty_typeENS0_5tupleIJS8_S9_EEENSB_IJS8_SA_EEENS0_18inequality_wrapperIZN2at6native12_GLOBAL__N_124unique_dim_cuda_templateIjEESt5tupleIJNSF_6TensorESK_SK_EERKSK_lbbbEUlllE0_EEPmJS9_EEE10hipError_tPvRmT3_T4_T5_T6_T7_T9_mT8_P12ihipStream_tbDpT10_ENKUlT_T0_E_clISt17integral_constantIbLb1EES1A_EEDaS15_S16_EUlS15_E_NS1_11comp_targetILNS1_3genE0ELNS1_11target_archE4294967295ELNS1_3gpuE0ELNS1_3repE0EEENS1_30default_config_static_selectorELNS0_4arch9wavefront6targetE1EEEvT1_,@function
_ZN7rocprim17ROCPRIM_400000_NS6detail17trampoline_kernelINS0_14default_configENS1_25partition_config_selectorILNS1_17partition_subalgoE9EllbEEZZNS1_14partition_implILS5_9ELb0ES3_jPlS8_PNS0_10empty_typeENS0_5tupleIJS8_S9_EEENSB_IJS8_SA_EEENS0_18inequality_wrapperIZN2at6native12_GLOBAL__N_124unique_dim_cuda_templateIjEESt5tupleIJNSF_6TensorESK_SK_EERKSK_lbbbEUlllE0_EEPmJS9_EEE10hipError_tPvRmT3_T4_T5_T6_T7_T9_mT8_P12ihipStream_tbDpT10_ENKUlT_T0_E_clISt17integral_constantIbLb1EES1A_EEDaS15_S16_EUlS15_E_NS1_11comp_targetILNS1_3genE0ELNS1_11target_archE4294967295ELNS1_3gpuE0ELNS1_3repE0EEENS1_30default_config_static_selectorELNS0_4arch9wavefront6targetE1EEEvT1_: ; @_ZN7rocprim17ROCPRIM_400000_NS6detail17trampoline_kernelINS0_14default_configENS1_25partition_config_selectorILNS1_17partition_subalgoE9EllbEEZZNS1_14partition_implILS5_9ELb0ES3_jPlS8_PNS0_10empty_typeENS0_5tupleIJS8_S9_EEENSB_IJS8_SA_EEENS0_18inequality_wrapperIZN2at6native12_GLOBAL__N_124unique_dim_cuda_templateIjEESt5tupleIJNSF_6TensorESK_SK_EERKSK_lbbbEUlllE0_EEPmJS9_EEE10hipError_tPvRmT3_T4_T5_T6_T7_T9_mT8_P12ihipStream_tbDpT10_ENKUlT_T0_E_clISt17integral_constantIbLb1EES1A_EEDaS15_S16_EUlS15_E_NS1_11comp_targetILNS1_3genE0ELNS1_11target_archE4294967295ELNS1_3gpuE0ELNS1_3repE0EEENS1_30default_config_static_selectorELNS0_4arch9wavefront6targetE1EEEvT1_
; %bb.0:
	s_endpgm
	.section	.rodata,"a",@progbits
	.p2align	6, 0x0
	.amdhsa_kernel _ZN7rocprim17ROCPRIM_400000_NS6detail17trampoline_kernelINS0_14default_configENS1_25partition_config_selectorILNS1_17partition_subalgoE9EllbEEZZNS1_14partition_implILS5_9ELb0ES3_jPlS8_PNS0_10empty_typeENS0_5tupleIJS8_S9_EEENSB_IJS8_SA_EEENS0_18inequality_wrapperIZN2at6native12_GLOBAL__N_124unique_dim_cuda_templateIjEESt5tupleIJNSF_6TensorESK_SK_EERKSK_lbbbEUlllE0_EEPmJS9_EEE10hipError_tPvRmT3_T4_T5_T6_T7_T9_mT8_P12ihipStream_tbDpT10_ENKUlT_T0_E_clISt17integral_constantIbLb1EES1A_EEDaS15_S16_EUlS15_E_NS1_11comp_targetILNS1_3genE0ELNS1_11target_archE4294967295ELNS1_3gpuE0ELNS1_3repE0EEENS1_30default_config_static_selectorELNS0_4arch9wavefront6targetE1EEEvT1_
		.amdhsa_group_segment_fixed_size 0
		.amdhsa_private_segment_fixed_size 0
		.amdhsa_kernarg_size 136
		.amdhsa_user_sgpr_count 2
		.amdhsa_user_sgpr_dispatch_ptr 0
		.amdhsa_user_sgpr_queue_ptr 0
		.amdhsa_user_sgpr_kernarg_segment_ptr 1
		.amdhsa_user_sgpr_dispatch_id 0
		.amdhsa_user_sgpr_kernarg_preload_length 0
		.amdhsa_user_sgpr_kernarg_preload_offset 0
		.amdhsa_user_sgpr_private_segment_size 0
		.amdhsa_uses_dynamic_stack 0
		.amdhsa_enable_private_segment 0
		.amdhsa_system_sgpr_workgroup_id_x 1
		.amdhsa_system_sgpr_workgroup_id_y 0
		.amdhsa_system_sgpr_workgroup_id_z 0
		.amdhsa_system_sgpr_workgroup_info 0
		.amdhsa_system_vgpr_workitem_id 0
		.amdhsa_next_free_vgpr 1
		.amdhsa_next_free_sgpr 0
		.amdhsa_accum_offset 4
		.amdhsa_reserve_vcc 0
		.amdhsa_float_round_mode_32 0
		.amdhsa_float_round_mode_16_64 0
		.amdhsa_float_denorm_mode_32 3
		.amdhsa_float_denorm_mode_16_64 3
		.amdhsa_dx10_clamp 1
		.amdhsa_ieee_mode 1
		.amdhsa_fp16_overflow 0
		.amdhsa_tg_split 0
		.amdhsa_exception_fp_ieee_invalid_op 0
		.amdhsa_exception_fp_denorm_src 0
		.amdhsa_exception_fp_ieee_div_zero 0
		.amdhsa_exception_fp_ieee_overflow 0
		.amdhsa_exception_fp_ieee_underflow 0
		.amdhsa_exception_fp_ieee_inexact 0
		.amdhsa_exception_int_div_zero 0
	.end_amdhsa_kernel
	.section	.text._ZN7rocprim17ROCPRIM_400000_NS6detail17trampoline_kernelINS0_14default_configENS1_25partition_config_selectorILNS1_17partition_subalgoE9EllbEEZZNS1_14partition_implILS5_9ELb0ES3_jPlS8_PNS0_10empty_typeENS0_5tupleIJS8_S9_EEENSB_IJS8_SA_EEENS0_18inequality_wrapperIZN2at6native12_GLOBAL__N_124unique_dim_cuda_templateIjEESt5tupleIJNSF_6TensorESK_SK_EERKSK_lbbbEUlllE0_EEPmJS9_EEE10hipError_tPvRmT3_T4_T5_T6_T7_T9_mT8_P12ihipStream_tbDpT10_ENKUlT_T0_E_clISt17integral_constantIbLb1EES1A_EEDaS15_S16_EUlS15_E_NS1_11comp_targetILNS1_3genE0ELNS1_11target_archE4294967295ELNS1_3gpuE0ELNS1_3repE0EEENS1_30default_config_static_selectorELNS0_4arch9wavefront6targetE1EEEvT1_,"axG",@progbits,_ZN7rocprim17ROCPRIM_400000_NS6detail17trampoline_kernelINS0_14default_configENS1_25partition_config_selectorILNS1_17partition_subalgoE9EllbEEZZNS1_14partition_implILS5_9ELb0ES3_jPlS8_PNS0_10empty_typeENS0_5tupleIJS8_S9_EEENSB_IJS8_SA_EEENS0_18inequality_wrapperIZN2at6native12_GLOBAL__N_124unique_dim_cuda_templateIjEESt5tupleIJNSF_6TensorESK_SK_EERKSK_lbbbEUlllE0_EEPmJS9_EEE10hipError_tPvRmT3_T4_T5_T6_T7_T9_mT8_P12ihipStream_tbDpT10_ENKUlT_T0_E_clISt17integral_constantIbLb1EES1A_EEDaS15_S16_EUlS15_E_NS1_11comp_targetILNS1_3genE0ELNS1_11target_archE4294967295ELNS1_3gpuE0ELNS1_3repE0EEENS1_30default_config_static_selectorELNS0_4arch9wavefront6targetE1EEEvT1_,comdat
.Lfunc_end1581:
	.size	_ZN7rocprim17ROCPRIM_400000_NS6detail17trampoline_kernelINS0_14default_configENS1_25partition_config_selectorILNS1_17partition_subalgoE9EllbEEZZNS1_14partition_implILS5_9ELb0ES3_jPlS8_PNS0_10empty_typeENS0_5tupleIJS8_S9_EEENSB_IJS8_SA_EEENS0_18inequality_wrapperIZN2at6native12_GLOBAL__N_124unique_dim_cuda_templateIjEESt5tupleIJNSF_6TensorESK_SK_EERKSK_lbbbEUlllE0_EEPmJS9_EEE10hipError_tPvRmT3_T4_T5_T6_T7_T9_mT8_P12ihipStream_tbDpT10_ENKUlT_T0_E_clISt17integral_constantIbLb1EES1A_EEDaS15_S16_EUlS15_E_NS1_11comp_targetILNS1_3genE0ELNS1_11target_archE4294967295ELNS1_3gpuE0ELNS1_3repE0EEENS1_30default_config_static_selectorELNS0_4arch9wavefront6targetE1EEEvT1_, .Lfunc_end1581-_ZN7rocprim17ROCPRIM_400000_NS6detail17trampoline_kernelINS0_14default_configENS1_25partition_config_selectorILNS1_17partition_subalgoE9EllbEEZZNS1_14partition_implILS5_9ELb0ES3_jPlS8_PNS0_10empty_typeENS0_5tupleIJS8_S9_EEENSB_IJS8_SA_EEENS0_18inequality_wrapperIZN2at6native12_GLOBAL__N_124unique_dim_cuda_templateIjEESt5tupleIJNSF_6TensorESK_SK_EERKSK_lbbbEUlllE0_EEPmJS9_EEE10hipError_tPvRmT3_T4_T5_T6_T7_T9_mT8_P12ihipStream_tbDpT10_ENKUlT_T0_E_clISt17integral_constantIbLb1EES1A_EEDaS15_S16_EUlS15_E_NS1_11comp_targetILNS1_3genE0ELNS1_11target_archE4294967295ELNS1_3gpuE0ELNS1_3repE0EEENS1_30default_config_static_selectorELNS0_4arch9wavefront6targetE1EEEvT1_
                                        ; -- End function
	.set _ZN7rocprim17ROCPRIM_400000_NS6detail17trampoline_kernelINS0_14default_configENS1_25partition_config_selectorILNS1_17partition_subalgoE9EllbEEZZNS1_14partition_implILS5_9ELb0ES3_jPlS8_PNS0_10empty_typeENS0_5tupleIJS8_S9_EEENSB_IJS8_SA_EEENS0_18inequality_wrapperIZN2at6native12_GLOBAL__N_124unique_dim_cuda_templateIjEESt5tupleIJNSF_6TensorESK_SK_EERKSK_lbbbEUlllE0_EEPmJS9_EEE10hipError_tPvRmT3_T4_T5_T6_T7_T9_mT8_P12ihipStream_tbDpT10_ENKUlT_T0_E_clISt17integral_constantIbLb1EES1A_EEDaS15_S16_EUlS15_E_NS1_11comp_targetILNS1_3genE0ELNS1_11target_archE4294967295ELNS1_3gpuE0ELNS1_3repE0EEENS1_30default_config_static_selectorELNS0_4arch9wavefront6targetE1EEEvT1_.num_vgpr, 0
	.set _ZN7rocprim17ROCPRIM_400000_NS6detail17trampoline_kernelINS0_14default_configENS1_25partition_config_selectorILNS1_17partition_subalgoE9EllbEEZZNS1_14partition_implILS5_9ELb0ES3_jPlS8_PNS0_10empty_typeENS0_5tupleIJS8_S9_EEENSB_IJS8_SA_EEENS0_18inequality_wrapperIZN2at6native12_GLOBAL__N_124unique_dim_cuda_templateIjEESt5tupleIJNSF_6TensorESK_SK_EERKSK_lbbbEUlllE0_EEPmJS9_EEE10hipError_tPvRmT3_T4_T5_T6_T7_T9_mT8_P12ihipStream_tbDpT10_ENKUlT_T0_E_clISt17integral_constantIbLb1EES1A_EEDaS15_S16_EUlS15_E_NS1_11comp_targetILNS1_3genE0ELNS1_11target_archE4294967295ELNS1_3gpuE0ELNS1_3repE0EEENS1_30default_config_static_selectorELNS0_4arch9wavefront6targetE1EEEvT1_.num_agpr, 0
	.set _ZN7rocprim17ROCPRIM_400000_NS6detail17trampoline_kernelINS0_14default_configENS1_25partition_config_selectorILNS1_17partition_subalgoE9EllbEEZZNS1_14partition_implILS5_9ELb0ES3_jPlS8_PNS0_10empty_typeENS0_5tupleIJS8_S9_EEENSB_IJS8_SA_EEENS0_18inequality_wrapperIZN2at6native12_GLOBAL__N_124unique_dim_cuda_templateIjEESt5tupleIJNSF_6TensorESK_SK_EERKSK_lbbbEUlllE0_EEPmJS9_EEE10hipError_tPvRmT3_T4_T5_T6_T7_T9_mT8_P12ihipStream_tbDpT10_ENKUlT_T0_E_clISt17integral_constantIbLb1EES1A_EEDaS15_S16_EUlS15_E_NS1_11comp_targetILNS1_3genE0ELNS1_11target_archE4294967295ELNS1_3gpuE0ELNS1_3repE0EEENS1_30default_config_static_selectorELNS0_4arch9wavefront6targetE1EEEvT1_.numbered_sgpr, 0
	.set _ZN7rocprim17ROCPRIM_400000_NS6detail17trampoline_kernelINS0_14default_configENS1_25partition_config_selectorILNS1_17partition_subalgoE9EllbEEZZNS1_14partition_implILS5_9ELb0ES3_jPlS8_PNS0_10empty_typeENS0_5tupleIJS8_S9_EEENSB_IJS8_SA_EEENS0_18inequality_wrapperIZN2at6native12_GLOBAL__N_124unique_dim_cuda_templateIjEESt5tupleIJNSF_6TensorESK_SK_EERKSK_lbbbEUlllE0_EEPmJS9_EEE10hipError_tPvRmT3_T4_T5_T6_T7_T9_mT8_P12ihipStream_tbDpT10_ENKUlT_T0_E_clISt17integral_constantIbLb1EES1A_EEDaS15_S16_EUlS15_E_NS1_11comp_targetILNS1_3genE0ELNS1_11target_archE4294967295ELNS1_3gpuE0ELNS1_3repE0EEENS1_30default_config_static_selectorELNS0_4arch9wavefront6targetE1EEEvT1_.num_named_barrier, 0
	.set _ZN7rocprim17ROCPRIM_400000_NS6detail17trampoline_kernelINS0_14default_configENS1_25partition_config_selectorILNS1_17partition_subalgoE9EllbEEZZNS1_14partition_implILS5_9ELb0ES3_jPlS8_PNS0_10empty_typeENS0_5tupleIJS8_S9_EEENSB_IJS8_SA_EEENS0_18inequality_wrapperIZN2at6native12_GLOBAL__N_124unique_dim_cuda_templateIjEESt5tupleIJNSF_6TensorESK_SK_EERKSK_lbbbEUlllE0_EEPmJS9_EEE10hipError_tPvRmT3_T4_T5_T6_T7_T9_mT8_P12ihipStream_tbDpT10_ENKUlT_T0_E_clISt17integral_constantIbLb1EES1A_EEDaS15_S16_EUlS15_E_NS1_11comp_targetILNS1_3genE0ELNS1_11target_archE4294967295ELNS1_3gpuE0ELNS1_3repE0EEENS1_30default_config_static_selectorELNS0_4arch9wavefront6targetE1EEEvT1_.private_seg_size, 0
	.set _ZN7rocprim17ROCPRIM_400000_NS6detail17trampoline_kernelINS0_14default_configENS1_25partition_config_selectorILNS1_17partition_subalgoE9EllbEEZZNS1_14partition_implILS5_9ELb0ES3_jPlS8_PNS0_10empty_typeENS0_5tupleIJS8_S9_EEENSB_IJS8_SA_EEENS0_18inequality_wrapperIZN2at6native12_GLOBAL__N_124unique_dim_cuda_templateIjEESt5tupleIJNSF_6TensorESK_SK_EERKSK_lbbbEUlllE0_EEPmJS9_EEE10hipError_tPvRmT3_T4_T5_T6_T7_T9_mT8_P12ihipStream_tbDpT10_ENKUlT_T0_E_clISt17integral_constantIbLb1EES1A_EEDaS15_S16_EUlS15_E_NS1_11comp_targetILNS1_3genE0ELNS1_11target_archE4294967295ELNS1_3gpuE0ELNS1_3repE0EEENS1_30default_config_static_selectorELNS0_4arch9wavefront6targetE1EEEvT1_.uses_vcc, 0
	.set _ZN7rocprim17ROCPRIM_400000_NS6detail17trampoline_kernelINS0_14default_configENS1_25partition_config_selectorILNS1_17partition_subalgoE9EllbEEZZNS1_14partition_implILS5_9ELb0ES3_jPlS8_PNS0_10empty_typeENS0_5tupleIJS8_S9_EEENSB_IJS8_SA_EEENS0_18inequality_wrapperIZN2at6native12_GLOBAL__N_124unique_dim_cuda_templateIjEESt5tupleIJNSF_6TensorESK_SK_EERKSK_lbbbEUlllE0_EEPmJS9_EEE10hipError_tPvRmT3_T4_T5_T6_T7_T9_mT8_P12ihipStream_tbDpT10_ENKUlT_T0_E_clISt17integral_constantIbLb1EES1A_EEDaS15_S16_EUlS15_E_NS1_11comp_targetILNS1_3genE0ELNS1_11target_archE4294967295ELNS1_3gpuE0ELNS1_3repE0EEENS1_30default_config_static_selectorELNS0_4arch9wavefront6targetE1EEEvT1_.uses_flat_scratch, 0
	.set _ZN7rocprim17ROCPRIM_400000_NS6detail17trampoline_kernelINS0_14default_configENS1_25partition_config_selectorILNS1_17partition_subalgoE9EllbEEZZNS1_14partition_implILS5_9ELb0ES3_jPlS8_PNS0_10empty_typeENS0_5tupleIJS8_S9_EEENSB_IJS8_SA_EEENS0_18inequality_wrapperIZN2at6native12_GLOBAL__N_124unique_dim_cuda_templateIjEESt5tupleIJNSF_6TensorESK_SK_EERKSK_lbbbEUlllE0_EEPmJS9_EEE10hipError_tPvRmT3_T4_T5_T6_T7_T9_mT8_P12ihipStream_tbDpT10_ENKUlT_T0_E_clISt17integral_constantIbLb1EES1A_EEDaS15_S16_EUlS15_E_NS1_11comp_targetILNS1_3genE0ELNS1_11target_archE4294967295ELNS1_3gpuE0ELNS1_3repE0EEENS1_30default_config_static_selectorELNS0_4arch9wavefront6targetE1EEEvT1_.has_dyn_sized_stack, 0
	.set _ZN7rocprim17ROCPRIM_400000_NS6detail17trampoline_kernelINS0_14default_configENS1_25partition_config_selectorILNS1_17partition_subalgoE9EllbEEZZNS1_14partition_implILS5_9ELb0ES3_jPlS8_PNS0_10empty_typeENS0_5tupleIJS8_S9_EEENSB_IJS8_SA_EEENS0_18inequality_wrapperIZN2at6native12_GLOBAL__N_124unique_dim_cuda_templateIjEESt5tupleIJNSF_6TensorESK_SK_EERKSK_lbbbEUlllE0_EEPmJS9_EEE10hipError_tPvRmT3_T4_T5_T6_T7_T9_mT8_P12ihipStream_tbDpT10_ENKUlT_T0_E_clISt17integral_constantIbLb1EES1A_EEDaS15_S16_EUlS15_E_NS1_11comp_targetILNS1_3genE0ELNS1_11target_archE4294967295ELNS1_3gpuE0ELNS1_3repE0EEENS1_30default_config_static_selectorELNS0_4arch9wavefront6targetE1EEEvT1_.has_recursion, 0
	.set _ZN7rocprim17ROCPRIM_400000_NS6detail17trampoline_kernelINS0_14default_configENS1_25partition_config_selectorILNS1_17partition_subalgoE9EllbEEZZNS1_14partition_implILS5_9ELb0ES3_jPlS8_PNS0_10empty_typeENS0_5tupleIJS8_S9_EEENSB_IJS8_SA_EEENS0_18inequality_wrapperIZN2at6native12_GLOBAL__N_124unique_dim_cuda_templateIjEESt5tupleIJNSF_6TensorESK_SK_EERKSK_lbbbEUlllE0_EEPmJS9_EEE10hipError_tPvRmT3_T4_T5_T6_T7_T9_mT8_P12ihipStream_tbDpT10_ENKUlT_T0_E_clISt17integral_constantIbLb1EES1A_EEDaS15_S16_EUlS15_E_NS1_11comp_targetILNS1_3genE0ELNS1_11target_archE4294967295ELNS1_3gpuE0ELNS1_3repE0EEENS1_30default_config_static_selectorELNS0_4arch9wavefront6targetE1EEEvT1_.has_indirect_call, 0
	.section	.AMDGPU.csdata,"",@progbits
; Kernel info:
; codeLenInByte = 4
; TotalNumSgprs: 6
; NumVgprs: 0
; NumAgprs: 0
; TotalNumVgprs: 0
; ScratchSize: 0
; MemoryBound: 0
; FloatMode: 240
; IeeeMode: 1
; LDSByteSize: 0 bytes/workgroup (compile time only)
; SGPRBlocks: 0
; VGPRBlocks: 0
; NumSGPRsForWavesPerEU: 6
; NumVGPRsForWavesPerEU: 1
; AccumOffset: 4
; Occupancy: 8
; WaveLimiterHint : 0
; COMPUTE_PGM_RSRC2:SCRATCH_EN: 0
; COMPUTE_PGM_RSRC2:USER_SGPR: 2
; COMPUTE_PGM_RSRC2:TRAP_HANDLER: 0
; COMPUTE_PGM_RSRC2:TGID_X_EN: 1
; COMPUTE_PGM_RSRC2:TGID_Y_EN: 0
; COMPUTE_PGM_RSRC2:TGID_Z_EN: 0
; COMPUTE_PGM_RSRC2:TIDIG_COMP_CNT: 0
; COMPUTE_PGM_RSRC3_GFX90A:ACCUM_OFFSET: 0
; COMPUTE_PGM_RSRC3_GFX90A:TG_SPLIT: 0
	.section	.text._ZN7rocprim17ROCPRIM_400000_NS6detail17trampoline_kernelINS0_14default_configENS1_25partition_config_selectorILNS1_17partition_subalgoE9EllbEEZZNS1_14partition_implILS5_9ELb0ES3_jPlS8_PNS0_10empty_typeENS0_5tupleIJS8_S9_EEENSB_IJS8_SA_EEENS0_18inequality_wrapperIZN2at6native12_GLOBAL__N_124unique_dim_cuda_templateIjEESt5tupleIJNSF_6TensorESK_SK_EERKSK_lbbbEUlllE0_EEPmJS9_EEE10hipError_tPvRmT3_T4_T5_T6_T7_T9_mT8_P12ihipStream_tbDpT10_ENKUlT_T0_E_clISt17integral_constantIbLb1EES1A_EEDaS15_S16_EUlS15_E_NS1_11comp_targetILNS1_3genE5ELNS1_11target_archE942ELNS1_3gpuE9ELNS1_3repE0EEENS1_30default_config_static_selectorELNS0_4arch9wavefront6targetE1EEEvT1_,"axG",@progbits,_ZN7rocprim17ROCPRIM_400000_NS6detail17trampoline_kernelINS0_14default_configENS1_25partition_config_selectorILNS1_17partition_subalgoE9EllbEEZZNS1_14partition_implILS5_9ELb0ES3_jPlS8_PNS0_10empty_typeENS0_5tupleIJS8_S9_EEENSB_IJS8_SA_EEENS0_18inequality_wrapperIZN2at6native12_GLOBAL__N_124unique_dim_cuda_templateIjEESt5tupleIJNSF_6TensorESK_SK_EERKSK_lbbbEUlllE0_EEPmJS9_EEE10hipError_tPvRmT3_T4_T5_T6_T7_T9_mT8_P12ihipStream_tbDpT10_ENKUlT_T0_E_clISt17integral_constantIbLb1EES1A_EEDaS15_S16_EUlS15_E_NS1_11comp_targetILNS1_3genE5ELNS1_11target_archE942ELNS1_3gpuE9ELNS1_3repE0EEENS1_30default_config_static_selectorELNS0_4arch9wavefront6targetE1EEEvT1_,comdat
	.globl	_ZN7rocprim17ROCPRIM_400000_NS6detail17trampoline_kernelINS0_14default_configENS1_25partition_config_selectorILNS1_17partition_subalgoE9EllbEEZZNS1_14partition_implILS5_9ELb0ES3_jPlS8_PNS0_10empty_typeENS0_5tupleIJS8_S9_EEENSB_IJS8_SA_EEENS0_18inequality_wrapperIZN2at6native12_GLOBAL__N_124unique_dim_cuda_templateIjEESt5tupleIJNSF_6TensorESK_SK_EERKSK_lbbbEUlllE0_EEPmJS9_EEE10hipError_tPvRmT3_T4_T5_T6_T7_T9_mT8_P12ihipStream_tbDpT10_ENKUlT_T0_E_clISt17integral_constantIbLb1EES1A_EEDaS15_S16_EUlS15_E_NS1_11comp_targetILNS1_3genE5ELNS1_11target_archE942ELNS1_3gpuE9ELNS1_3repE0EEENS1_30default_config_static_selectorELNS0_4arch9wavefront6targetE1EEEvT1_ ; -- Begin function _ZN7rocprim17ROCPRIM_400000_NS6detail17trampoline_kernelINS0_14default_configENS1_25partition_config_selectorILNS1_17partition_subalgoE9EllbEEZZNS1_14partition_implILS5_9ELb0ES3_jPlS8_PNS0_10empty_typeENS0_5tupleIJS8_S9_EEENSB_IJS8_SA_EEENS0_18inequality_wrapperIZN2at6native12_GLOBAL__N_124unique_dim_cuda_templateIjEESt5tupleIJNSF_6TensorESK_SK_EERKSK_lbbbEUlllE0_EEPmJS9_EEE10hipError_tPvRmT3_T4_T5_T6_T7_T9_mT8_P12ihipStream_tbDpT10_ENKUlT_T0_E_clISt17integral_constantIbLb1EES1A_EEDaS15_S16_EUlS15_E_NS1_11comp_targetILNS1_3genE5ELNS1_11target_archE942ELNS1_3gpuE9ELNS1_3repE0EEENS1_30default_config_static_selectorELNS0_4arch9wavefront6targetE1EEEvT1_
	.p2align	8
	.type	_ZN7rocprim17ROCPRIM_400000_NS6detail17trampoline_kernelINS0_14default_configENS1_25partition_config_selectorILNS1_17partition_subalgoE9EllbEEZZNS1_14partition_implILS5_9ELb0ES3_jPlS8_PNS0_10empty_typeENS0_5tupleIJS8_S9_EEENSB_IJS8_SA_EEENS0_18inequality_wrapperIZN2at6native12_GLOBAL__N_124unique_dim_cuda_templateIjEESt5tupleIJNSF_6TensorESK_SK_EERKSK_lbbbEUlllE0_EEPmJS9_EEE10hipError_tPvRmT3_T4_T5_T6_T7_T9_mT8_P12ihipStream_tbDpT10_ENKUlT_T0_E_clISt17integral_constantIbLb1EES1A_EEDaS15_S16_EUlS15_E_NS1_11comp_targetILNS1_3genE5ELNS1_11target_archE942ELNS1_3gpuE9ELNS1_3repE0EEENS1_30default_config_static_selectorELNS0_4arch9wavefront6targetE1EEEvT1_,@function
_ZN7rocprim17ROCPRIM_400000_NS6detail17trampoline_kernelINS0_14default_configENS1_25partition_config_selectorILNS1_17partition_subalgoE9EllbEEZZNS1_14partition_implILS5_9ELb0ES3_jPlS8_PNS0_10empty_typeENS0_5tupleIJS8_S9_EEENSB_IJS8_SA_EEENS0_18inequality_wrapperIZN2at6native12_GLOBAL__N_124unique_dim_cuda_templateIjEESt5tupleIJNSF_6TensorESK_SK_EERKSK_lbbbEUlllE0_EEPmJS9_EEE10hipError_tPvRmT3_T4_T5_T6_T7_T9_mT8_P12ihipStream_tbDpT10_ENKUlT_T0_E_clISt17integral_constantIbLb1EES1A_EEDaS15_S16_EUlS15_E_NS1_11comp_targetILNS1_3genE5ELNS1_11target_archE942ELNS1_3gpuE9ELNS1_3repE0EEENS1_30default_config_static_selectorELNS0_4arch9wavefront6targetE1EEEvT1_: ; @_ZN7rocprim17ROCPRIM_400000_NS6detail17trampoline_kernelINS0_14default_configENS1_25partition_config_selectorILNS1_17partition_subalgoE9EllbEEZZNS1_14partition_implILS5_9ELb0ES3_jPlS8_PNS0_10empty_typeENS0_5tupleIJS8_S9_EEENSB_IJS8_SA_EEENS0_18inequality_wrapperIZN2at6native12_GLOBAL__N_124unique_dim_cuda_templateIjEESt5tupleIJNSF_6TensorESK_SK_EERKSK_lbbbEUlllE0_EEPmJS9_EEE10hipError_tPvRmT3_T4_T5_T6_T7_T9_mT8_P12ihipStream_tbDpT10_ENKUlT_T0_E_clISt17integral_constantIbLb1EES1A_EEDaS15_S16_EUlS15_E_NS1_11comp_targetILNS1_3genE5ELNS1_11target_archE942ELNS1_3gpuE9ELNS1_3repE0EEENS1_30default_config_static_selectorELNS0_4arch9wavefront6targetE1EEEvT1_
; %bb.0:
	.section	.rodata,"a",@progbits
	.p2align	6, 0x0
	.amdhsa_kernel _ZN7rocprim17ROCPRIM_400000_NS6detail17trampoline_kernelINS0_14default_configENS1_25partition_config_selectorILNS1_17partition_subalgoE9EllbEEZZNS1_14partition_implILS5_9ELb0ES3_jPlS8_PNS0_10empty_typeENS0_5tupleIJS8_S9_EEENSB_IJS8_SA_EEENS0_18inequality_wrapperIZN2at6native12_GLOBAL__N_124unique_dim_cuda_templateIjEESt5tupleIJNSF_6TensorESK_SK_EERKSK_lbbbEUlllE0_EEPmJS9_EEE10hipError_tPvRmT3_T4_T5_T6_T7_T9_mT8_P12ihipStream_tbDpT10_ENKUlT_T0_E_clISt17integral_constantIbLb1EES1A_EEDaS15_S16_EUlS15_E_NS1_11comp_targetILNS1_3genE5ELNS1_11target_archE942ELNS1_3gpuE9ELNS1_3repE0EEENS1_30default_config_static_selectorELNS0_4arch9wavefront6targetE1EEEvT1_
		.amdhsa_group_segment_fixed_size 0
		.amdhsa_private_segment_fixed_size 0
		.amdhsa_kernarg_size 136
		.amdhsa_user_sgpr_count 2
		.amdhsa_user_sgpr_dispatch_ptr 0
		.amdhsa_user_sgpr_queue_ptr 0
		.amdhsa_user_sgpr_kernarg_segment_ptr 1
		.amdhsa_user_sgpr_dispatch_id 0
		.amdhsa_user_sgpr_kernarg_preload_length 0
		.amdhsa_user_sgpr_kernarg_preload_offset 0
		.amdhsa_user_sgpr_private_segment_size 0
		.amdhsa_uses_dynamic_stack 0
		.amdhsa_enable_private_segment 0
		.amdhsa_system_sgpr_workgroup_id_x 1
		.amdhsa_system_sgpr_workgroup_id_y 0
		.amdhsa_system_sgpr_workgroup_id_z 0
		.amdhsa_system_sgpr_workgroup_info 0
		.amdhsa_system_vgpr_workitem_id 0
		.amdhsa_next_free_vgpr 1
		.amdhsa_next_free_sgpr 0
		.amdhsa_accum_offset 4
		.amdhsa_reserve_vcc 0
		.amdhsa_float_round_mode_32 0
		.amdhsa_float_round_mode_16_64 0
		.amdhsa_float_denorm_mode_32 3
		.amdhsa_float_denorm_mode_16_64 3
		.amdhsa_dx10_clamp 1
		.amdhsa_ieee_mode 1
		.amdhsa_fp16_overflow 0
		.amdhsa_tg_split 0
		.amdhsa_exception_fp_ieee_invalid_op 0
		.amdhsa_exception_fp_denorm_src 0
		.amdhsa_exception_fp_ieee_div_zero 0
		.amdhsa_exception_fp_ieee_overflow 0
		.amdhsa_exception_fp_ieee_underflow 0
		.amdhsa_exception_fp_ieee_inexact 0
		.amdhsa_exception_int_div_zero 0
	.end_amdhsa_kernel
	.section	.text._ZN7rocprim17ROCPRIM_400000_NS6detail17trampoline_kernelINS0_14default_configENS1_25partition_config_selectorILNS1_17partition_subalgoE9EllbEEZZNS1_14partition_implILS5_9ELb0ES3_jPlS8_PNS0_10empty_typeENS0_5tupleIJS8_S9_EEENSB_IJS8_SA_EEENS0_18inequality_wrapperIZN2at6native12_GLOBAL__N_124unique_dim_cuda_templateIjEESt5tupleIJNSF_6TensorESK_SK_EERKSK_lbbbEUlllE0_EEPmJS9_EEE10hipError_tPvRmT3_T4_T5_T6_T7_T9_mT8_P12ihipStream_tbDpT10_ENKUlT_T0_E_clISt17integral_constantIbLb1EES1A_EEDaS15_S16_EUlS15_E_NS1_11comp_targetILNS1_3genE5ELNS1_11target_archE942ELNS1_3gpuE9ELNS1_3repE0EEENS1_30default_config_static_selectorELNS0_4arch9wavefront6targetE1EEEvT1_,"axG",@progbits,_ZN7rocprim17ROCPRIM_400000_NS6detail17trampoline_kernelINS0_14default_configENS1_25partition_config_selectorILNS1_17partition_subalgoE9EllbEEZZNS1_14partition_implILS5_9ELb0ES3_jPlS8_PNS0_10empty_typeENS0_5tupleIJS8_S9_EEENSB_IJS8_SA_EEENS0_18inequality_wrapperIZN2at6native12_GLOBAL__N_124unique_dim_cuda_templateIjEESt5tupleIJNSF_6TensorESK_SK_EERKSK_lbbbEUlllE0_EEPmJS9_EEE10hipError_tPvRmT3_T4_T5_T6_T7_T9_mT8_P12ihipStream_tbDpT10_ENKUlT_T0_E_clISt17integral_constantIbLb1EES1A_EEDaS15_S16_EUlS15_E_NS1_11comp_targetILNS1_3genE5ELNS1_11target_archE942ELNS1_3gpuE9ELNS1_3repE0EEENS1_30default_config_static_selectorELNS0_4arch9wavefront6targetE1EEEvT1_,comdat
.Lfunc_end1582:
	.size	_ZN7rocprim17ROCPRIM_400000_NS6detail17trampoline_kernelINS0_14default_configENS1_25partition_config_selectorILNS1_17partition_subalgoE9EllbEEZZNS1_14partition_implILS5_9ELb0ES3_jPlS8_PNS0_10empty_typeENS0_5tupleIJS8_S9_EEENSB_IJS8_SA_EEENS0_18inequality_wrapperIZN2at6native12_GLOBAL__N_124unique_dim_cuda_templateIjEESt5tupleIJNSF_6TensorESK_SK_EERKSK_lbbbEUlllE0_EEPmJS9_EEE10hipError_tPvRmT3_T4_T5_T6_T7_T9_mT8_P12ihipStream_tbDpT10_ENKUlT_T0_E_clISt17integral_constantIbLb1EES1A_EEDaS15_S16_EUlS15_E_NS1_11comp_targetILNS1_3genE5ELNS1_11target_archE942ELNS1_3gpuE9ELNS1_3repE0EEENS1_30default_config_static_selectorELNS0_4arch9wavefront6targetE1EEEvT1_, .Lfunc_end1582-_ZN7rocprim17ROCPRIM_400000_NS6detail17trampoline_kernelINS0_14default_configENS1_25partition_config_selectorILNS1_17partition_subalgoE9EllbEEZZNS1_14partition_implILS5_9ELb0ES3_jPlS8_PNS0_10empty_typeENS0_5tupleIJS8_S9_EEENSB_IJS8_SA_EEENS0_18inequality_wrapperIZN2at6native12_GLOBAL__N_124unique_dim_cuda_templateIjEESt5tupleIJNSF_6TensorESK_SK_EERKSK_lbbbEUlllE0_EEPmJS9_EEE10hipError_tPvRmT3_T4_T5_T6_T7_T9_mT8_P12ihipStream_tbDpT10_ENKUlT_T0_E_clISt17integral_constantIbLb1EES1A_EEDaS15_S16_EUlS15_E_NS1_11comp_targetILNS1_3genE5ELNS1_11target_archE942ELNS1_3gpuE9ELNS1_3repE0EEENS1_30default_config_static_selectorELNS0_4arch9wavefront6targetE1EEEvT1_
                                        ; -- End function
	.set _ZN7rocprim17ROCPRIM_400000_NS6detail17trampoline_kernelINS0_14default_configENS1_25partition_config_selectorILNS1_17partition_subalgoE9EllbEEZZNS1_14partition_implILS5_9ELb0ES3_jPlS8_PNS0_10empty_typeENS0_5tupleIJS8_S9_EEENSB_IJS8_SA_EEENS0_18inequality_wrapperIZN2at6native12_GLOBAL__N_124unique_dim_cuda_templateIjEESt5tupleIJNSF_6TensorESK_SK_EERKSK_lbbbEUlllE0_EEPmJS9_EEE10hipError_tPvRmT3_T4_T5_T6_T7_T9_mT8_P12ihipStream_tbDpT10_ENKUlT_T0_E_clISt17integral_constantIbLb1EES1A_EEDaS15_S16_EUlS15_E_NS1_11comp_targetILNS1_3genE5ELNS1_11target_archE942ELNS1_3gpuE9ELNS1_3repE0EEENS1_30default_config_static_selectorELNS0_4arch9wavefront6targetE1EEEvT1_.num_vgpr, 0
	.set _ZN7rocprim17ROCPRIM_400000_NS6detail17trampoline_kernelINS0_14default_configENS1_25partition_config_selectorILNS1_17partition_subalgoE9EllbEEZZNS1_14partition_implILS5_9ELb0ES3_jPlS8_PNS0_10empty_typeENS0_5tupleIJS8_S9_EEENSB_IJS8_SA_EEENS0_18inequality_wrapperIZN2at6native12_GLOBAL__N_124unique_dim_cuda_templateIjEESt5tupleIJNSF_6TensorESK_SK_EERKSK_lbbbEUlllE0_EEPmJS9_EEE10hipError_tPvRmT3_T4_T5_T6_T7_T9_mT8_P12ihipStream_tbDpT10_ENKUlT_T0_E_clISt17integral_constantIbLb1EES1A_EEDaS15_S16_EUlS15_E_NS1_11comp_targetILNS1_3genE5ELNS1_11target_archE942ELNS1_3gpuE9ELNS1_3repE0EEENS1_30default_config_static_selectorELNS0_4arch9wavefront6targetE1EEEvT1_.num_agpr, 0
	.set _ZN7rocprim17ROCPRIM_400000_NS6detail17trampoline_kernelINS0_14default_configENS1_25partition_config_selectorILNS1_17partition_subalgoE9EllbEEZZNS1_14partition_implILS5_9ELb0ES3_jPlS8_PNS0_10empty_typeENS0_5tupleIJS8_S9_EEENSB_IJS8_SA_EEENS0_18inequality_wrapperIZN2at6native12_GLOBAL__N_124unique_dim_cuda_templateIjEESt5tupleIJNSF_6TensorESK_SK_EERKSK_lbbbEUlllE0_EEPmJS9_EEE10hipError_tPvRmT3_T4_T5_T6_T7_T9_mT8_P12ihipStream_tbDpT10_ENKUlT_T0_E_clISt17integral_constantIbLb1EES1A_EEDaS15_S16_EUlS15_E_NS1_11comp_targetILNS1_3genE5ELNS1_11target_archE942ELNS1_3gpuE9ELNS1_3repE0EEENS1_30default_config_static_selectorELNS0_4arch9wavefront6targetE1EEEvT1_.numbered_sgpr, 0
	.set _ZN7rocprim17ROCPRIM_400000_NS6detail17trampoline_kernelINS0_14default_configENS1_25partition_config_selectorILNS1_17partition_subalgoE9EllbEEZZNS1_14partition_implILS5_9ELb0ES3_jPlS8_PNS0_10empty_typeENS0_5tupleIJS8_S9_EEENSB_IJS8_SA_EEENS0_18inequality_wrapperIZN2at6native12_GLOBAL__N_124unique_dim_cuda_templateIjEESt5tupleIJNSF_6TensorESK_SK_EERKSK_lbbbEUlllE0_EEPmJS9_EEE10hipError_tPvRmT3_T4_T5_T6_T7_T9_mT8_P12ihipStream_tbDpT10_ENKUlT_T0_E_clISt17integral_constantIbLb1EES1A_EEDaS15_S16_EUlS15_E_NS1_11comp_targetILNS1_3genE5ELNS1_11target_archE942ELNS1_3gpuE9ELNS1_3repE0EEENS1_30default_config_static_selectorELNS0_4arch9wavefront6targetE1EEEvT1_.num_named_barrier, 0
	.set _ZN7rocprim17ROCPRIM_400000_NS6detail17trampoline_kernelINS0_14default_configENS1_25partition_config_selectorILNS1_17partition_subalgoE9EllbEEZZNS1_14partition_implILS5_9ELb0ES3_jPlS8_PNS0_10empty_typeENS0_5tupleIJS8_S9_EEENSB_IJS8_SA_EEENS0_18inequality_wrapperIZN2at6native12_GLOBAL__N_124unique_dim_cuda_templateIjEESt5tupleIJNSF_6TensorESK_SK_EERKSK_lbbbEUlllE0_EEPmJS9_EEE10hipError_tPvRmT3_T4_T5_T6_T7_T9_mT8_P12ihipStream_tbDpT10_ENKUlT_T0_E_clISt17integral_constantIbLb1EES1A_EEDaS15_S16_EUlS15_E_NS1_11comp_targetILNS1_3genE5ELNS1_11target_archE942ELNS1_3gpuE9ELNS1_3repE0EEENS1_30default_config_static_selectorELNS0_4arch9wavefront6targetE1EEEvT1_.private_seg_size, 0
	.set _ZN7rocprim17ROCPRIM_400000_NS6detail17trampoline_kernelINS0_14default_configENS1_25partition_config_selectorILNS1_17partition_subalgoE9EllbEEZZNS1_14partition_implILS5_9ELb0ES3_jPlS8_PNS0_10empty_typeENS0_5tupleIJS8_S9_EEENSB_IJS8_SA_EEENS0_18inequality_wrapperIZN2at6native12_GLOBAL__N_124unique_dim_cuda_templateIjEESt5tupleIJNSF_6TensorESK_SK_EERKSK_lbbbEUlllE0_EEPmJS9_EEE10hipError_tPvRmT3_T4_T5_T6_T7_T9_mT8_P12ihipStream_tbDpT10_ENKUlT_T0_E_clISt17integral_constantIbLb1EES1A_EEDaS15_S16_EUlS15_E_NS1_11comp_targetILNS1_3genE5ELNS1_11target_archE942ELNS1_3gpuE9ELNS1_3repE0EEENS1_30default_config_static_selectorELNS0_4arch9wavefront6targetE1EEEvT1_.uses_vcc, 0
	.set _ZN7rocprim17ROCPRIM_400000_NS6detail17trampoline_kernelINS0_14default_configENS1_25partition_config_selectorILNS1_17partition_subalgoE9EllbEEZZNS1_14partition_implILS5_9ELb0ES3_jPlS8_PNS0_10empty_typeENS0_5tupleIJS8_S9_EEENSB_IJS8_SA_EEENS0_18inequality_wrapperIZN2at6native12_GLOBAL__N_124unique_dim_cuda_templateIjEESt5tupleIJNSF_6TensorESK_SK_EERKSK_lbbbEUlllE0_EEPmJS9_EEE10hipError_tPvRmT3_T4_T5_T6_T7_T9_mT8_P12ihipStream_tbDpT10_ENKUlT_T0_E_clISt17integral_constantIbLb1EES1A_EEDaS15_S16_EUlS15_E_NS1_11comp_targetILNS1_3genE5ELNS1_11target_archE942ELNS1_3gpuE9ELNS1_3repE0EEENS1_30default_config_static_selectorELNS0_4arch9wavefront6targetE1EEEvT1_.uses_flat_scratch, 0
	.set _ZN7rocprim17ROCPRIM_400000_NS6detail17trampoline_kernelINS0_14default_configENS1_25partition_config_selectorILNS1_17partition_subalgoE9EllbEEZZNS1_14partition_implILS5_9ELb0ES3_jPlS8_PNS0_10empty_typeENS0_5tupleIJS8_S9_EEENSB_IJS8_SA_EEENS0_18inequality_wrapperIZN2at6native12_GLOBAL__N_124unique_dim_cuda_templateIjEESt5tupleIJNSF_6TensorESK_SK_EERKSK_lbbbEUlllE0_EEPmJS9_EEE10hipError_tPvRmT3_T4_T5_T6_T7_T9_mT8_P12ihipStream_tbDpT10_ENKUlT_T0_E_clISt17integral_constantIbLb1EES1A_EEDaS15_S16_EUlS15_E_NS1_11comp_targetILNS1_3genE5ELNS1_11target_archE942ELNS1_3gpuE9ELNS1_3repE0EEENS1_30default_config_static_selectorELNS0_4arch9wavefront6targetE1EEEvT1_.has_dyn_sized_stack, 0
	.set _ZN7rocprim17ROCPRIM_400000_NS6detail17trampoline_kernelINS0_14default_configENS1_25partition_config_selectorILNS1_17partition_subalgoE9EllbEEZZNS1_14partition_implILS5_9ELb0ES3_jPlS8_PNS0_10empty_typeENS0_5tupleIJS8_S9_EEENSB_IJS8_SA_EEENS0_18inequality_wrapperIZN2at6native12_GLOBAL__N_124unique_dim_cuda_templateIjEESt5tupleIJNSF_6TensorESK_SK_EERKSK_lbbbEUlllE0_EEPmJS9_EEE10hipError_tPvRmT3_T4_T5_T6_T7_T9_mT8_P12ihipStream_tbDpT10_ENKUlT_T0_E_clISt17integral_constantIbLb1EES1A_EEDaS15_S16_EUlS15_E_NS1_11comp_targetILNS1_3genE5ELNS1_11target_archE942ELNS1_3gpuE9ELNS1_3repE0EEENS1_30default_config_static_selectorELNS0_4arch9wavefront6targetE1EEEvT1_.has_recursion, 0
	.set _ZN7rocprim17ROCPRIM_400000_NS6detail17trampoline_kernelINS0_14default_configENS1_25partition_config_selectorILNS1_17partition_subalgoE9EllbEEZZNS1_14partition_implILS5_9ELb0ES3_jPlS8_PNS0_10empty_typeENS0_5tupleIJS8_S9_EEENSB_IJS8_SA_EEENS0_18inequality_wrapperIZN2at6native12_GLOBAL__N_124unique_dim_cuda_templateIjEESt5tupleIJNSF_6TensorESK_SK_EERKSK_lbbbEUlllE0_EEPmJS9_EEE10hipError_tPvRmT3_T4_T5_T6_T7_T9_mT8_P12ihipStream_tbDpT10_ENKUlT_T0_E_clISt17integral_constantIbLb1EES1A_EEDaS15_S16_EUlS15_E_NS1_11comp_targetILNS1_3genE5ELNS1_11target_archE942ELNS1_3gpuE9ELNS1_3repE0EEENS1_30default_config_static_selectorELNS0_4arch9wavefront6targetE1EEEvT1_.has_indirect_call, 0
	.section	.AMDGPU.csdata,"",@progbits
; Kernel info:
; codeLenInByte = 0
; TotalNumSgprs: 6
; NumVgprs: 0
; NumAgprs: 0
; TotalNumVgprs: 0
; ScratchSize: 0
; MemoryBound: 0
; FloatMode: 240
; IeeeMode: 1
; LDSByteSize: 0 bytes/workgroup (compile time only)
; SGPRBlocks: 0
; VGPRBlocks: 0
; NumSGPRsForWavesPerEU: 6
; NumVGPRsForWavesPerEU: 1
; AccumOffset: 4
; Occupancy: 8
; WaveLimiterHint : 0
; COMPUTE_PGM_RSRC2:SCRATCH_EN: 0
; COMPUTE_PGM_RSRC2:USER_SGPR: 2
; COMPUTE_PGM_RSRC2:TRAP_HANDLER: 0
; COMPUTE_PGM_RSRC2:TGID_X_EN: 1
; COMPUTE_PGM_RSRC2:TGID_Y_EN: 0
; COMPUTE_PGM_RSRC2:TGID_Z_EN: 0
; COMPUTE_PGM_RSRC2:TIDIG_COMP_CNT: 0
; COMPUTE_PGM_RSRC3_GFX90A:ACCUM_OFFSET: 0
; COMPUTE_PGM_RSRC3_GFX90A:TG_SPLIT: 0
	.section	.text._ZN7rocprim17ROCPRIM_400000_NS6detail17trampoline_kernelINS0_14default_configENS1_25partition_config_selectorILNS1_17partition_subalgoE9EllbEEZZNS1_14partition_implILS5_9ELb0ES3_jPlS8_PNS0_10empty_typeENS0_5tupleIJS8_S9_EEENSB_IJS8_SA_EEENS0_18inequality_wrapperIZN2at6native12_GLOBAL__N_124unique_dim_cuda_templateIjEESt5tupleIJNSF_6TensorESK_SK_EERKSK_lbbbEUlllE0_EEPmJS9_EEE10hipError_tPvRmT3_T4_T5_T6_T7_T9_mT8_P12ihipStream_tbDpT10_ENKUlT_T0_E_clISt17integral_constantIbLb1EES1A_EEDaS15_S16_EUlS15_E_NS1_11comp_targetILNS1_3genE4ELNS1_11target_archE910ELNS1_3gpuE8ELNS1_3repE0EEENS1_30default_config_static_selectorELNS0_4arch9wavefront6targetE1EEEvT1_,"axG",@progbits,_ZN7rocprim17ROCPRIM_400000_NS6detail17trampoline_kernelINS0_14default_configENS1_25partition_config_selectorILNS1_17partition_subalgoE9EllbEEZZNS1_14partition_implILS5_9ELb0ES3_jPlS8_PNS0_10empty_typeENS0_5tupleIJS8_S9_EEENSB_IJS8_SA_EEENS0_18inequality_wrapperIZN2at6native12_GLOBAL__N_124unique_dim_cuda_templateIjEESt5tupleIJNSF_6TensorESK_SK_EERKSK_lbbbEUlllE0_EEPmJS9_EEE10hipError_tPvRmT3_T4_T5_T6_T7_T9_mT8_P12ihipStream_tbDpT10_ENKUlT_T0_E_clISt17integral_constantIbLb1EES1A_EEDaS15_S16_EUlS15_E_NS1_11comp_targetILNS1_3genE4ELNS1_11target_archE910ELNS1_3gpuE8ELNS1_3repE0EEENS1_30default_config_static_selectorELNS0_4arch9wavefront6targetE1EEEvT1_,comdat
	.globl	_ZN7rocprim17ROCPRIM_400000_NS6detail17trampoline_kernelINS0_14default_configENS1_25partition_config_selectorILNS1_17partition_subalgoE9EllbEEZZNS1_14partition_implILS5_9ELb0ES3_jPlS8_PNS0_10empty_typeENS0_5tupleIJS8_S9_EEENSB_IJS8_SA_EEENS0_18inequality_wrapperIZN2at6native12_GLOBAL__N_124unique_dim_cuda_templateIjEESt5tupleIJNSF_6TensorESK_SK_EERKSK_lbbbEUlllE0_EEPmJS9_EEE10hipError_tPvRmT3_T4_T5_T6_T7_T9_mT8_P12ihipStream_tbDpT10_ENKUlT_T0_E_clISt17integral_constantIbLb1EES1A_EEDaS15_S16_EUlS15_E_NS1_11comp_targetILNS1_3genE4ELNS1_11target_archE910ELNS1_3gpuE8ELNS1_3repE0EEENS1_30default_config_static_selectorELNS0_4arch9wavefront6targetE1EEEvT1_ ; -- Begin function _ZN7rocprim17ROCPRIM_400000_NS6detail17trampoline_kernelINS0_14default_configENS1_25partition_config_selectorILNS1_17partition_subalgoE9EllbEEZZNS1_14partition_implILS5_9ELb0ES3_jPlS8_PNS0_10empty_typeENS0_5tupleIJS8_S9_EEENSB_IJS8_SA_EEENS0_18inequality_wrapperIZN2at6native12_GLOBAL__N_124unique_dim_cuda_templateIjEESt5tupleIJNSF_6TensorESK_SK_EERKSK_lbbbEUlllE0_EEPmJS9_EEE10hipError_tPvRmT3_T4_T5_T6_T7_T9_mT8_P12ihipStream_tbDpT10_ENKUlT_T0_E_clISt17integral_constantIbLb1EES1A_EEDaS15_S16_EUlS15_E_NS1_11comp_targetILNS1_3genE4ELNS1_11target_archE910ELNS1_3gpuE8ELNS1_3repE0EEENS1_30default_config_static_selectorELNS0_4arch9wavefront6targetE1EEEvT1_
	.p2align	8
	.type	_ZN7rocprim17ROCPRIM_400000_NS6detail17trampoline_kernelINS0_14default_configENS1_25partition_config_selectorILNS1_17partition_subalgoE9EllbEEZZNS1_14partition_implILS5_9ELb0ES3_jPlS8_PNS0_10empty_typeENS0_5tupleIJS8_S9_EEENSB_IJS8_SA_EEENS0_18inequality_wrapperIZN2at6native12_GLOBAL__N_124unique_dim_cuda_templateIjEESt5tupleIJNSF_6TensorESK_SK_EERKSK_lbbbEUlllE0_EEPmJS9_EEE10hipError_tPvRmT3_T4_T5_T6_T7_T9_mT8_P12ihipStream_tbDpT10_ENKUlT_T0_E_clISt17integral_constantIbLb1EES1A_EEDaS15_S16_EUlS15_E_NS1_11comp_targetILNS1_3genE4ELNS1_11target_archE910ELNS1_3gpuE8ELNS1_3repE0EEENS1_30default_config_static_selectorELNS0_4arch9wavefront6targetE1EEEvT1_,@function
_ZN7rocprim17ROCPRIM_400000_NS6detail17trampoline_kernelINS0_14default_configENS1_25partition_config_selectorILNS1_17partition_subalgoE9EllbEEZZNS1_14partition_implILS5_9ELb0ES3_jPlS8_PNS0_10empty_typeENS0_5tupleIJS8_S9_EEENSB_IJS8_SA_EEENS0_18inequality_wrapperIZN2at6native12_GLOBAL__N_124unique_dim_cuda_templateIjEESt5tupleIJNSF_6TensorESK_SK_EERKSK_lbbbEUlllE0_EEPmJS9_EEE10hipError_tPvRmT3_T4_T5_T6_T7_T9_mT8_P12ihipStream_tbDpT10_ENKUlT_T0_E_clISt17integral_constantIbLb1EES1A_EEDaS15_S16_EUlS15_E_NS1_11comp_targetILNS1_3genE4ELNS1_11target_archE910ELNS1_3gpuE8ELNS1_3repE0EEENS1_30default_config_static_selectorELNS0_4arch9wavefront6targetE1EEEvT1_: ; @_ZN7rocprim17ROCPRIM_400000_NS6detail17trampoline_kernelINS0_14default_configENS1_25partition_config_selectorILNS1_17partition_subalgoE9EllbEEZZNS1_14partition_implILS5_9ELb0ES3_jPlS8_PNS0_10empty_typeENS0_5tupleIJS8_S9_EEENSB_IJS8_SA_EEENS0_18inequality_wrapperIZN2at6native12_GLOBAL__N_124unique_dim_cuda_templateIjEESt5tupleIJNSF_6TensorESK_SK_EERKSK_lbbbEUlllE0_EEPmJS9_EEE10hipError_tPvRmT3_T4_T5_T6_T7_T9_mT8_P12ihipStream_tbDpT10_ENKUlT_T0_E_clISt17integral_constantIbLb1EES1A_EEDaS15_S16_EUlS15_E_NS1_11comp_targetILNS1_3genE4ELNS1_11target_archE910ELNS1_3gpuE8ELNS1_3repE0EEENS1_30default_config_static_selectorELNS0_4arch9wavefront6targetE1EEEvT1_
; %bb.0:
	.section	.rodata,"a",@progbits
	.p2align	6, 0x0
	.amdhsa_kernel _ZN7rocprim17ROCPRIM_400000_NS6detail17trampoline_kernelINS0_14default_configENS1_25partition_config_selectorILNS1_17partition_subalgoE9EllbEEZZNS1_14partition_implILS5_9ELb0ES3_jPlS8_PNS0_10empty_typeENS0_5tupleIJS8_S9_EEENSB_IJS8_SA_EEENS0_18inequality_wrapperIZN2at6native12_GLOBAL__N_124unique_dim_cuda_templateIjEESt5tupleIJNSF_6TensorESK_SK_EERKSK_lbbbEUlllE0_EEPmJS9_EEE10hipError_tPvRmT3_T4_T5_T6_T7_T9_mT8_P12ihipStream_tbDpT10_ENKUlT_T0_E_clISt17integral_constantIbLb1EES1A_EEDaS15_S16_EUlS15_E_NS1_11comp_targetILNS1_3genE4ELNS1_11target_archE910ELNS1_3gpuE8ELNS1_3repE0EEENS1_30default_config_static_selectorELNS0_4arch9wavefront6targetE1EEEvT1_
		.amdhsa_group_segment_fixed_size 0
		.amdhsa_private_segment_fixed_size 0
		.amdhsa_kernarg_size 136
		.amdhsa_user_sgpr_count 2
		.amdhsa_user_sgpr_dispatch_ptr 0
		.amdhsa_user_sgpr_queue_ptr 0
		.amdhsa_user_sgpr_kernarg_segment_ptr 1
		.amdhsa_user_sgpr_dispatch_id 0
		.amdhsa_user_sgpr_kernarg_preload_length 0
		.amdhsa_user_sgpr_kernarg_preload_offset 0
		.amdhsa_user_sgpr_private_segment_size 0
		.amdhsa_uses_dynamic_stack 0
		.amdhsa_enable_private_segment 0
		.amdhsa_system_sgpr_workgroup_id_x 1
		.amdhsa_system_sgpr_workgroup_id_y 0
		.amdhsa_system_sgpr_workgroup_id_z 0
		.amdhsa_system_sgpr_workgroup_info 0
		.amdhsa_system_vgpr_workitem_id 0
		.amdhsa_next_free_vgpr 1
		.amdhsa_next_free_sgpr 0
		.amdhsa_accum_offset 4
		.amdhsa_reserve_vcc 0
		.amdhsa_float_round_mode_32 0
		.amdhsa_float_round_mode_16_64 0
		.amdhsa_float_denorm_mode_32 3
		.amdhsa_float_denorm_mode_16_64 3
		.amdhsa_dx10_clamp 1
		.amdhsa_ieee_mode 1
		.amdhsa_fp16_overflow 0
		.amdhsa_tg_split 0
		.amdhsa_exception_fp_ieee_invalid_op 0
		.amdhsa_exception_fp_denorm_src 0
		.amdhsa_exception_fp_ieee_div_zero 0
		.amdhsa_exception_fp_ieee_overflow 0
		.amdhsa_exception_fp_ieee_underflow 0
		.amdhsa_exception_fp_ieee_inexact 0
		.amdhsa_exception_int_div_zero 0
	.end_amdhsa_kernel
	.section	.text._ZN7rocprim17ROCPRIM_400000_NS6detail17trampoline_kernelINS0_14default_configENS1_25partition_config_selectorILNS1_17partition_subalgoE9EllbEEZZNS1_14partition_implILS5_9ELb0ES3_jPlS8_PNS0_10empty_typeENS0_5tupleIJS8_S9_EEENSB_IJS8_SA_EEENS0_18inequality_wrapperIZN2at6native12_GLOBAL__N_124unique_dim_cuda_templateIjEESt5tupleIJNSF_6TensorESK_SK_EERKSK_lbbbEUlllE0_EEPmJS9_EEE10hipError_tPvRmT3_T4_T5_T6_T7_T9_mT8_P12ihipStream_tbDpT10_ENKUlT_T0_E_clISt17integral_constantIbLb1EES1A_EEDaS15_S16_EUlS15_E_NS1_11comp_targetILNS1_3genE4ELNS1_11target_archE910ELNS1_3gpuE8ELNS1_3repE0EEENS1_30default_config_static_selectorELNS0_4arch9wavefront6targetE1EEEvT1_,"axG",@progbits,_ZN7rocprim17ROCPRIM_400000_NS6detail17trampoline_kernelINS0_14default_configENS1_25partition_config_selectorILNS1_17partition_subalgoE9EllbEEZZNS1_14partition_implILS5_9ELb0ES3_jPlS8_PNS0_10empty_typeENS0_5tupleIJS8_S9_EEENSB_IJS8_SA_EEENS0_18inequality_wrapperIZN2at6native12_GLOBAL__N_124unique_dim_cuda_templateIjEESt5tupleIJNSF_6TensorESK_SK_EERKSK_lbbbEUlllE0_EEPmJS9_EEE10hipError_tPvRmT3_T4_T5_T6_T7_T9_mT8_P12ihipStream_tbDpT10_ENKUlT_T0_E_clISt17integral_constantIbLb1EES1A_EEDaS15_S16_EUlS15_E_NS1_11comp_targetILNS1_3genE4ELNS1_11target_archE910ELNS1_3gpuE8ELNS1_3repE0EEENS1_30default_config_static_selectorELNS0_4arch9wavefront6targetE1EEEvT1_,comdat
.Lfunc_end1583:
	.size	_ZN7rocprim17ROCPRIM_400000_NS6detail17trampoline_kernelINS0_14default_configENS1_25partition_config_selectorILNS1_17partition_subalgoE9EllbEEZZNS1_14partition_implILS5_9ELb0ES3_jPlS8_PNS0_10empty_typeENS0_5tupleIJS8_S9_EEENSB_IJS8_SA_EEENS0_18inequality_wrapperIZN2at6native12_GLOBAL__N_124unique_dim_cuda_templateIjEESt5tupleIJNSF_6TensorESK_SK_EERKSK_lbbbEUlllE0_EEPmJS9_EEE10hipError_tPvRmT3_T4_T5_T6_T7_T9_mT8_P12ihipStream_tbDpT10_ENKUlT_T0_E_clISt17integral_constantIbLb1EES1A_EEDaS15_S16_EUlS15_E_NS1_11comp_targetILNS1_3genE4ELNS1_11target_archE910ELNS1_3gpuE8ELNS1_3repE0EEENS1_30default_config_static_selectorELNS0_4arch9wavefront6targetE1EEEvT1_, .Lfunc_end1583-_ZN7rocprim17ROCPRIM_400000_NS6detail17trampoline_kernelINS0_14default_configENS1_25partition_config_selectorILNS1_17partition_subalgoE9EllbEEZZNS1_14partition_implILS5_9ELb0ES3_jPlS8_PNS0_10empty_typeENS0_5tupleIJS8_S9_EEENSB_IJS8_SA_EEENS0_18inequality_wrapperIZN2at6native12_GLOBAL__N_124unique_dim_cuda_templateIjEESt5tupleIJNSF_6TensorESK_SK_EERKSK_lbbbEUlllE0_EEPmJS9_EEE10hipError_tPvRmT3_T4_T5_T6_T7_T9_mT8_P12ihipStream_tbDpT10_ENKUlT_T0_E_clISt17integral_constantIbLb1EES1A_EEDaS15_S16_EUlS15_E_NS1_11comp_targetILNS1_3genE4ELNS1_11target_archE910ELNS1_3gpuE8ELNS1_3repE0EEENS1_30default_config_static_selectorELNS0_4arch9wavefront6targetE1EEEvT1_
                                        ; -- End function
	.set _ZN7rocprim17ROCPRIM_400000_NS6detail17trampoline_kernelINS0_14default_configENS1_25partition_config_selectorILNS1_17partition_subalgoE9EllbEEZZNS1_14partition_implILS5_9ELb0ES3_jPlS8_PNS0_10empty_typeENS0_5tupleIJS8_S9_EEENSB_IJS8_SA_EEENS0_18inequality_wrapperIZN2at6native12_GLOBAL__N_124unique_dim_cuda_templateIjEESt5tupleIJNSF_6TensorESK_SK_EERKSK_lbbbEUlllE0_EEPmJS9_EEE10hipError_tPvRmT3_T4_T5_T6_T7_T9_mT8_P12ihipStream_tbDpT10_ENKUlT_T0_E_clISt17integral_constantIbLb1EES1A_EEDaS15_S16_EUlS15_E_NS1_11comp_targetILNS1_3genE4ELNS1_11target_archE910ELNS1_3gpuE8ELNS1_3repE0EEENS1_30default_config_static_selectorELNS0_4arch9wavefront6targetE1EEEvT1_.num_vgpr, 0
	.set _ZN7rocprim17ROCPRIM_400000_NS6detail17trampoline_kernelINS0_14default_configENS1_25partition_config_selectorILNS1_17partition_subalgoE9EllbEEZZNS1_14partition_implILS5_9ELb0ES3_jPlS8_PNS0_10empty_typeENS0_5tupleIJS8_S9_EEENSB_IJS8_SA_EEENS0_18inequality_wrapperIZN2at6native12_GLOBAL__N_124unique_dim_cuda_templateIjEESt5tupleIJNSF_6TensorESK_SK_EERKSK_lbbbEUlllE0_EEPmJS9_EEE10hipError_tPvRmT3_T4_T5_T6_T7_T9_mT8_P12ihipStream_tbDpT10_ENKUlT_T0_E_clISt17integral_constantIbLb1EES1A_EEDaS15_S16_EUlS15_E_NS1_11comp_targetILNS1_3genE4ELNS1_11target_archE910ELNS1_3gpuE8ELNS1_3repE0EEENS1_30default_config_static_selectorELNS0_4arch9wavefront6targetE1EEEvT1_.num_agpr, 0
	.set _ZN7rocprim17ROCPRIM_400000_NS6detail17trampoline_kernelINS0_14default_configENS1_25partition_config_selectorILNS1_17partition_subalgoE9EllbEEZZNS1_14partition_implILS5_9ELb0ES3_jPlS8_PNS0_10empty_typeENS0_5tupleIJS8_S9_EEENSB_IJS8_SA_EEENS0_18inequality_wrapperIZN2at6native12_GLOBAL__N_124unique_dim_cuda_templateIjEESt5tupleIJNSF_6TensorESK_SK_EERKSK_lbbbEUlllE0_EEPmJS9_EEE10hipError_tPvRmT3_T4_T5_T6_T7_T9_mT8_P12ihipStream_tbDpT10_ENKUlT_T0_E_clISt17integral_constantIbLb1EES1A_EEDaS15_S16_EUlS15_E_NS1_11comp_targetILNS1_3genE4ELNS1_11target_archE910ELNS1_3gpuE8ELNS1_3repE0EEENS1_30default_config_static_selectorELNS0_4arch9wavefront6targetE1EEEvT1_.numbered_sgpr, 0
	.set _ZN7rocprim17ROCPRIM_400000_NS6detail17trampoline_kernelINS0_14default_configENS1_25partition_config_selectorILNS1_17partition_subalgoE9EllbEEZZNS1_14partition_implILS5_9ELb0ES3_jPlS8_PNS0_10empty_typeENS0_5tupleIJS8_S9_EEENSB_IJS8_SA_EEENS0_18inequality_wrapperIZN2at6native12_GLOBAL__N_124unique_dim_cuda_templateIjEESt5tupleIJNSF_6TensorESK_SK_EERKSK_lbbbEUlllE0_EEPmJS9_EEE10hipError_tPvRmT3_T4_T5_T6_T7_T9_mT8_P12ihipStream_tbDpT10_ENKUlT_T0_E_clISt17integral_constantIbLb1EES1A_EEDaS15_S16_EUlS15_E_NS1_11comp_targetILNS1_3genE4ELNS1_11target_archE910ELNS1_3gpuE8ELNS1_3repE0EEENS1_30default_config_static_selectorELNS0_4arch9wavefront6targetE1EEEvT1_.num_named_barrier, 0
	.set _ZN7rocprim17ROCPRIM_400000_NS6detail17trampoline_kernelINS0_14default_configENS1_25partition_config_selectorILNS1_17partition_subalgoE9EllbEEZZNS1_14partition_implILS5_9ELb0ES3_jPlS8_PNS0_10empty_typeENS0_5tupleIJS8_S9_EEENSB_IJS8_SA_EEENS0_18inequality_wrapperIZN2at6native12_GLOBAL__N_124unique_dim_cuda_templateIjEESt5tupleIJNSF_6TensorESK_SK_EERKSK_lbbbEUlllE0_EEPmJS9_EEE10hipError_tPvRmT3_T4_T5_T6_T7_T9_mT8_P12ihipStream_tbDpT10_ENKUlT_T0_E_clISt17integral_constantIbLb1EES1A_EEDaS15_S16_EUlS15_E_NS1_11comp_targetILNS1_3genE4ELNS1_11target_archE910ELNS1_3gpuE8ELNS1_3repE0EEENS1_30default_config_static_selectorELNS0_4arch9wavefront6targetE1EEEvT1_.private_seg_size, 0
	.set _ZN7rocprim17ROCPRIM_400000_NS6detail17trampoline_kernelINS0_14default_configENS1_25partition_config_selectorILNS1_17partition_subalgoE9EllbEEZZNS1_14partition_implILS5_9ELb0ES3_jPlS8_PNS0_10empty_typeENS0_5tupleIJS8_S9_EEENSB_IJS8_SA_EEENS0_18inequality_wrapperIZN2at6native12_GLOBAL__N_124unique_dim_cuda_templateIjEESt5tupleIJNSF_6TensorESK_SK_EERKSK_lbbbEUlllE0_EEPmJS9_EEE10hipError_tPvRmT3_T4_T5_T6_T7_T9_mT8_P12ihipStream_tbDpT10_ENKUlT_T0_E_clISt17integral_constantIbLb1EES1A_EEDaS15_S16_EUlS15_E_NS1_11comp_targetILNS1_3genE4ELNS1_11target_archE910ELNS1_3gpuE8ELNS1_3repE0EEENS1_30default_config_static_selectorELNS0_4arch9wavefront6targetE1EEEvT1_.uses_vcc, 0
	.set _ZN7rocprim17ROCPRIM_400000_NS6detail17trampoline_kernelINS0_14default_configENS1_25partition_config_selectorILNS1_17partition_subalgoE9EllbEEZZNS1_14partition_implILS5_9ELb0ES3_jPlS8_PNS0_10empty_typeENS0_5tupleIJS8_S9_EEENSB_IJS8_SA_EEENS0_18inequality_wrapperIZN2at6native12_GLOBAL__N_124unique_dim_cuda_templateIjEESt5tupleIJNSF_6TensorESK_SK_EERKSK_lbbbEUlllE0_EEPmJS9_EEE10hipError_tPvRmT3_T4_T5_T6_T7_T9_mT8_P12ihipStream_tbDpT10_ENKUlT_T0_E_clISt17integral_constantIbLb1EES1A_EEDaS15_S16_EUlS15_E_NS1_11comp_targetILNS1_3genE4ELNS1_11target_archE910ELNS1_3gpuE8ELNS1_3repE0EEENS1_30default_config_static_selectorELNS0_4arch9wavefront6targetE1EEEvT1_.uses_flat_scratch, 0
	.set _ZN7rocprim17ROCPRIM_400000_NS6detail17trampoline_kernelINS0_14default_configENS1_25partition_config_selectorILNS1_17partition_subalgoE9EllbEEZZNS1_14partition_implILS5_9ELb0ES3_jPlS8_PNS0_10empty_typeENS0_5tupleIJS8_S9_EEENSB_IJS8_SA_EEENS0_18inequality_wrapperIZN2at6native12_GLOBAL__N_124unique_dim_cuda_templateIjEESt5tupleIJNSF_6TensorESK_SK_EERKSK_lbbbEUlllE0_EEPmJS9_EEE10hipError_tPvRmT3_T4_T5_T6_T7_T9_mT8_P12ihipStream_tbDpT10_ENKUlT_T0_E_clISt17integral_constantIbLb1EES1A_EEDaS15_S16_EUlS15_E_NS1_11comp_targetILNS1_3genE4ELNS1_11target_archE910ELNS1_3gpuE8ELNS1_3repE0EEENS1_30default_config_static_selectorELNS0_4arch9wavefront6targetE1EEEvT1_.has_dyn_sized_stack, 0
	.set _ZN7rocprim17ROCPRIM_400000_NS6detail17trampoline_kernelINS0_14default_configENS1_25partition_config_selectorILNS1_17partition_subalgoE9EllbEEZZNS1_14partition_implILS5_9ELb0ES3_jPlS8_PNS0_10empty_typeENS0_5tupleIJS8_S9_EEENSB_IJS8_SA_EEENS0_18inequality_wrapperIZN2at6native12_GLOBAL__N_124unique_dim_cuda_templateIjEESt5tupleIJNSF_6TensorESK_SK_EERKSK_lbbbEUlllE0_EEPmJS9_EEE10hipError_tPvRmT3_T4_T5_T6_T7_T9_mT8_P12ihipStream_tbDpT10_ENKUlT_T0_E_clISt17integral_constantIbLb1EES1A_EEDaS15_S16_EUlS15_E_NS1_11comp_targetILNS1_3genE4ELNS1_11target_archE910ELNS1_3gpuE8ELNS1_3repE0EEENS1_30default_config_static_selectorELNS0_4arch9wavefront6targetE1EEEvT1_.has_recursion, 0
	.set _ZN7rocprim17ROCPRIM_400000_NS6detail17trampoline_kernelINS0_14default_configENS1_25partition_config_selectorILNS1_17partition_subalgoE9EllbEEZZNS1_14partition_implILS5_9ELb0ES3_jPlS8_PNS0_10empty_typeENS0_5tupleIJS8_S9_EEENSB_IJS8_SA_EEENS0_18inequality_wrapperIZN2at6native12_GLOBAL__N_124unique_dim_cuda_templateIjEESt5tupleIJNSF_6TensorESK_SK_EERKSK_lbbbEUlllE0_EEPmJS9_EEE10hipError_tPvRmT3_T4_T5_T6_T7_T9_mT8_P12ihipStream_tbDpT10_ENKUlT_T0_E_clISt17integral_constantIbLb1EES1A_EEDaS15_S16_EUlS15_E_NS1_11comp_targetILNS1_3genE4ELNS1_11target_archE910ELNS1_3gpuE8ELNS1_3repE0EEENS1_30default_config_static_selectorELNS0_4arch9wavefront6targetE1EEEvT1_.has_indirect_call, 0
	.section	.AMDGPU.csdata,"",@progbits
; Kernel info:
; codeLenInByte = 0
; TotalNumSgprs: 6
; NumVgprs: 0
; NumAgprs: 0
; TotalNumVgprs: 0
; ScratchSize: 0
; MemoryBound: 0
; FloatMode: 240
; IeeeMode: 1
; LDSByteSize: 0 bytes/workgroup (compile time only)
; SGPRBlocks: 0
; VGPRBlocks: 0
; NumSGPRsForWavesPerEU: 6
; NumVGPRsForWavesPerEU: 1
; AccumOffset: 4
; Occupancy: 8
; WaveLimiterHint : 0
; COMPUTE_PGM_RSRC2:SCRATCH_EN: 0
; COMPUTE_PGM_RSRC2:USER_SGPR: 2
; COMPUTE_PGM_RSRC2:TRAP_HANDLER: 0
; COMPUTE_PGM_RSRC2:TGID_X_EN: 1
; COMPUTE_PGM_RSRC2:TGID_Y_EN: 0
; COMPUTE_PGM_RSRC2:TGID_Z_EN: 0
; COMPUTE_PGM_RSRC2:TIDIG_COMP_CNT: 0
; COMPUTE_PGM_RSRC3_GFX90A:ACCUM_OFFSET: 0
; COMPUTE_PGM_RSRC3_GFX90A:TG_SPLIT: 0
	.section	.text._ZN7rocprim17ROCPRIM_400000_NS6detail17trampoline_kernelINS0_14default_configENS1_25partition_config_selectorILNS1_17partition_subalgoE9EllbEEZZNS1_14partition_implILS5_9ELb0ES3_jPlS8_PNS0_10empty_typeENS0_5tupleIJS8_S9_EEENSB_IJS8_SA_EEENS0_18inequality_wrapperIZN2at6native12_GLOBAL__N_124unique_dim_cuda_templateIjEESt5tupleIJNSF_6TensorESK_SK_EERKSK_lbbbEUlllE0_EEPmJS9_EEE10hipError_tPvRmT3_T4_T5_T6_T7_T9_mT8_P12ihipStream_tbDpT10_ENKUlT_T0_E_clISt17integral_constantIbLb1EES1A_EEDaS15_S16_EUlS15_E_NS1_11comp_targetILNS1_3genE3ELNS1_11target_archE908ELNS1_3gpuE7ELNS1_3repE0EEENS1_30default_config_static_selectorELNS0_4arch9wavefront6targetE1EEEvT1_,"axG",@progbits,_ZN7rocprim17ROCPRIM_400000_NS6detail17trampoline_kernelINS0_14default_configENS1_25partition_config_selectorILNS1_17partition_subalgoE9EllbEEZZNS1_14partition_implILS5_9ELb0ES3_jPlS8_PNS0_10empty_typeENS0_5tupleIJS8_S9_EEENSB_IJS8_SA_EEENS0_18inequality_wrapperIZN2at6native12_GLOBAL__N_124unique_dim_cuda_templateIjEESt5tupleIJNSF_6TensorESK_SK_EERKSK_lbbbEUlllE0_EEPmJS9_EEE10hipError_tPvRmT3_T4_T5_T6_T7_T9_mT8_P12ihipStream_tbDpT10_ENKUlT_T0_E_clISt17integral_constantIbLb1EES1A_EEDaS15_S16_EUlS15_E_NS1_11comp_targetILNS1_3genE3ELNS1_11target_archE908ELNS1_3gpuE7ELNS1_3repE0EEENS1_30default_config_static_selectorELNS0_4arch9wavefront6targetE1EEEvT1_,comdat
	.globl	_ZN7rocprim17ROCPRIM_400000_NS6detail17trampoline_kernelINS0_14default_configENS1_25partition_config_selectorILNS1_17partition_subalgoE9EllbEEZZNS1_14partition_implILS5_9ELb0ES3_jPlS8_PNS0_10empty_typeENS0_5tupleIJS8_S9_EEENSB_IJS8_SA_EEENS0_18inequality_wrapperIZN2at6native12_GLOBAL__N_124unique_dim_cuda_templateIjEESt5tupleIJNSF_6TensorESK_SK_EERKSK_lbbbEUlllE0_EEPmJS9_EEE10hipError_tPvRmT3_T4_T5_T6_T7_T9_mT8_P12ihipStream_tbDpT10_ENKUlT_T0_E_clISt17integral_constantIbLb1EES1A_EEDaS15_S16_EUlS15_E_NS1_11comp_targetILNS1_3genE3ELNS1_11target_archE908ELNS1_3gpuE7ELNS1_3repE0EEENS1_30default_config_static_selectorELNS0_4arch9wavefront6targetE1EEEvT1_ ; -- Begin function _ZN7rocprim17ROCPRIM_400000_NS6detail17trampoline_kernelINS0_14default_configENS1_25partition_config_selectorILNS1_17partition_subalgoE9EllbEEZZNS1_14partition_implILS5_9ELb0ES3_jPlS8_PNS0_10empty_typeENS0_5tupleIJS8_S9_EEENSB_IJS8_SA_EEENS0_18inequality_wrapperIZN2at6native12_GLOBAL__N_124unique_dim_cuda_templateIjEESt5tupleIJNSF_6TensorESK_SK_EERKSK_lbbbEUlllE0_EEPmJS9_EEE10hipError_tPvRmT3_T4_T5_T6_T7_T9_mT8_P12ihipStream_tbDpT10_ENKUlT_T0_E_clISt17integral_constantIbLb1EES1A_EEDaS15_S16_EUlS15_E_NS1_11comp_targetILNS1_3genE3ELNS1_11target_archE908ELNS1_3gpuE7ELNS1_3repE0EEENS1_30default_config_static_selectorELNS0_4arch9wavefront6targetE1EEEvT1_
	.p2align	8
	.type	_ZN7rocprim17ROCPRIM_400000_NS6detail17trampoline_kernelINS0_14default_configENS1_25partition_config_selectorILNS1_17partition_subalgoE9EllbEEZZNS1_14partition_implILS5_9ELb0ES3_jPlS8_PNS0_10empty_typeENS0_5tupleIJS8_S9_EEENSB_IJS8_SA_EEENS0_18inequality_wrapperIZN2at6native12_GLOBAL__N_124unique_dim_cuda_templateIjEESt5tupleIJNSF_6TensorESK_SK_EERKSK_lbbbEUlllE0_EEPmJS9_EEE10hipError_tPvRmT3_T4_T5_T6_T7_T9_mT8_P12ihipStream_tbDpT10_ENKUlT_T0_E_clISt17integral_constantIbLb1EES1A_EEDaS15_S16_EUlS15_E_NS1_11comp_targetILNS1_3genE3ELNS1_11target_archE908ELNS1_3gpuE7ELNS1_3repE0EEENS1_30default_config_static_selectorELNS0_4arch9wavefront6targetE1EEEvT1_,@function
_ZN7rocprim17ROCPRIM_400000_NS6detail17trampoline_kernelINS0_14default_configENS1_25partition_config_selectorILNS1_17partition_subalgoE9EllbEEZZNS1_14partition_implILS5_9ELb0ES3_jPlS8_PNS0_10empty_typeENS0_5tupleIJS8_S9_EEENSB_IJS8_SA_EEENS0_18inequality_wrapperIZN2at6native12_GLOBAL__N_124unique_dim_cuda_templateIjEESt5tupleIJNSF_6TensorESK_SK_EERKSK_lbbbEUlllE0_EEPmJS9_EEE10hipError_tPvRmT3_T4_T5_T6_T7_T9_mT8_P12ihipStream_tbDpT10_ENKUlT_T0_E_clISt17integral_constantIbLb1EES1A_EEDaS15_S16_EUlS15_E_NS1_11comp_targetILNS1_3genE3ELNS1_11target_archE908ELNS1_3gpuE7ELNS1_3repE0EEENS1_30default_config_static_selectorELNS0_4arch9wavefront6targetE1EEEvT1_: ; @_ZN7rocprim17ROCPRIM_400000_NS6detail17trampoline_kernelINS0_14default_configENS1_25partition_config_selectorILNS1_17partition_subalgoE9EllbEEZZNS1_14partition_implILS5_9ELb0ES3_jPlS8_PNS0_10empty_typeENS0_5tupleIJS8_S9_EEENSB_IJS8_SA_EEENS0_18inequality_wrapperIZN2at6native12_GLOBAL__N_124unique_dim_cuda_templateIjEESt5tupleIJNSF_6TensorESK_SK_EERKSK_lbbbEUlllE0_EEPmJS9_EEE10hipError_tPvRmT3_T4_T5_T6_T7_T9_mT8_P12ihipStream_tbDpT10_ENKUlT_T0_E_clISt17integral_constantIbLb1EES1A_EEDaS15_S16_EUlS15_E_NS1_11comp_targetILNS1_3genE3ELNS1_11target_archE908ELNS1_3gpuE7ELNS1_3repE0EEENS1_30default_config_static_selectorELNS0_4arch9wavefront6targetE1EEEvT1_
; %bb.0:
	.section	.rodata,"a",@progbits
	.p2align	6, 0x0
	.amdhsa_kernel _ZN7rocprim17ROCPRIM_400000_NS6detail17trampoline_kernelINS0_14default_configENS1_25partition_config_selectorILNS1_17partition_subalgoE9EllbEEZZNS1_14partition_implILS5_9ELb0ES3_jPlS8_PNS0_10empty_typeENS0_5tupleIJS8_S9_EEENSB_IJS8_SA_EEENS0_18inequality_wrapperIZN2at6native12_GLOBAL__N_124unique_dim_cuda_templateIjEESt5tupleIJNSF_6TensorESK_SK_EERKSK_lbbbEUlllE0_EEPmJS9_EEE10hipError_tPvRmT3_T4_T5_T6_T7_T9_mT8_P12ihipStream_tbDpT10_ENKUlT_T0_E_clISt17integral_constantIbLb1EES1A_EEDaS15_S16_EUlS15_E_NS1_11comp_targetILNS1_3genE3ELNS1_11target_archE908ELNS1_3gpuE7ELNS1_3repE0EEENS1_30default_config_static_selectorELNS0_4arch9wavefront6targetE1EEEvT1_
		.amdhsa_group_segment_fixed_size 0
		.amdhsa_private_segment_fixed_size 0
		.amdhsa_kernarg_size 136
		.amdhsa_user_sgpr_count 2
		.amdhsa_user_sgpr_dispatch_ptr 0
		.amdhsa_user_sgpr_queue_ptr 0
		.amdhsa_user_sgpr_kernarg_segment_ptr 1
		.amdhsa_user_sgpr_dispatch_id 0
		.amdhsa_user_sgpr_kernarg_preload_length 0
		.amdhsa_user_sgpr_kernarg_preload_offset 0
		.amdhsa_user_sgpr_private_segment_size 0
		.amdhsa_uses_dynamic_stack 0
		.amdhsa_enable_private_segment 0
		.amdhsa_system_sgpr_workgroup_id_x 1
		.amdhsa_system_sgpr_workgroup_id_y 0
		.amdhsa_system_sgpr_workgroup_id_z 0
		.amdhsa_system_sgpr_workgroup_info 0
		.amdhsa_system_vgpr_workitem_id 0
		.amdhsa_next_free_vgpr 1
		.amdhsa_next_free_sgpr 0
		.amdhsa_accum_offset 4
		.amdhsa_reserve_vcc 0
		.amdhsa_float_round_mode_32 0
		.amdhsa_float_round_mode_16_64 0
		.amdhsa_float_denorm_mode_32 3
		.amdhsa_float_denorm_mode_16_64 3
		.amdhsa_dx10_clamp 1
		.amdhsa_ieee_mode 1
		.amdhsa_fp16_overflow 0
		.amdhsa_tg_split 0
		.amdhsa_exception_fp_ieee_invalid_op 0
		.amdhsa_exception_fp_denorm_src 0
		.amdhsa_exception_fp_ieee_div_zero 0
		.amdhsa_exception_fp_ieee_overflow 0
		.amdhsa_exception_fp_ieee_underflow 0
		.amdhsa_exception_fp_ieee_inexact 0
		.amdhsa_exception_int_div_zero 0
	.end_amdhsa_kernel
	.section	.text._ZN7rocprim17ROCPRIM_400000_NS6detail17trampoline_kernelINS0_14default_configENS1_25partition_config_selectorILNS1_17partition_subalgoE9EllbEEZZNS1_14partition_implILS5_9ELb0ES3_jPlS8_PNS0_10empty_typeENS0_5tupleIJS8_S9_EEENSB_IJS8_SA_EEENS0_18inequality_wrapperIZN2at6native12_GLOBAL__N_124unique_dim_cuda_templateIjEESt5tupleIJNSF_6TensorESK_SK_EERKSK_lbbbEUlllE0_EEPmJS9_EEE10hipError_tPvRmT3_T4_T5_T6_T7_T9_mT8_P12ihipStream_tbDpT10_ENKUlT_T0_E_clISt17integral_constantIbLb1EES1A_EEDaS15_S16_EUlS15_E_NS1_11comp_targetILNS1_3genE3ELNS1_11target_archE908ELNS1_3gpuE7ELNS1_3repE0EEENS1_30default_config_static_selectorELNS0_4arch9wavefront6targetE1EEEvT1_,"axG",@progbits,_ZN7rocprim17ROCPRIM_400000_NS6detail17trampoline_kernelINS0_14default_configENS1_25partition_config_selectorILNS1_17partition_subalgoE9EllbEEZZNS1_14partition_implILS5_9ELb0ES3_jPlS8_PNS0_10empty_typeENS0_5tupleIJS8_S9_EEENSB_IJS8_SA_EEENS0_18inequality_wrapperIZN2at6native12_GLOBAL__N_124unique_dim_cuda_templateIjEESt5tupleIJNSF_6TensorESK_SK_EERKSK_lbbbEUlllE0_EEPmJS9_EEE10hipError_tPvRmT3_T4_T5_T6_T7_T9_mT8_P12ihipStream_tbDpT10_ENKUlT_T0_E_clISt17integral_constantIbLb1EES1A_EEDaS15_S16_EUlS15_E_NS1_11comp_targetILNS1_3genE3ELNS1_11target_archE908ELNS1_3gpuE7ELNS1_3repE0EEENS1_30default_config_static_selectorELNS0_4arch9wavefront6targetE1EEEvT1_,comdat
.Lfunc_end1584:
	.size	_ZN7rocprim17ROCPRIM_400000_NS6detail17trampoline_kernelINS0_14default_configENS1_25partition_config_selectorILNS1_17partition_subalgoE9EllbEEZZNS1_14partition_implILS5_9ELb0ES3_jPlS8_PNS0_10empty_typeENS0_5tupleIJS8_S9_EEENSB_IJS8_SA_EEENS0_18inequality_wrapperIZN2at6native12_GLOBAL__N_124unique_dim_cuda_templateIjEESt5tupleIJNSF_6TensorESK_SK_EERKSK_lbbbEUlllE0_EEPmJS9_EEE10hipError_tPvRmT3_T4_T5_T6_T7_T9_mT8_P12ihipStream_tbDpT10_ENKUlT_T0_E_clISt17integral_constantIbLb1EES1A_EEDaS15_S16_EUlS15_E_NS1_11comp_targetILNS1_3genE3ELNS1_11target_archE908ELNS1_3gpuE7ELNS1_3repE0EEENS1_30default_config_static_selectorELNS0_4arch9wavefront6targetE1EEEvT1_, .Lfunc_end1584-_ZN7rocprim17ROCPRIM_400000_NS6detail17trampoline_kernelINS0_14default_configENS1_25partition_config_selectorILNS1_17partition_subalgoE9EllbEEZZNS1_14partition_implILS5_9ELb0ES3_jPlS8_PNS0_10empty_typeENS0_5tupleIJS8_S9_EEENSB_IJS8_SA_EEENS0_18inequality_wrapperIZN2at6native12_GLOBAL__N_124unique_dim_cuda_templateIjEESt5tupleIJNSF_6TensorESK_SK_EERKSK_lbbbEUlllE0_EEPmJS9_EEE10hipError_tPvRmT3_T4_T5_T6_T7_T9_mT8_P12ihipStream_tbDpT10_ENKUlT_T0_E_clISt17integral_constantIbLb1EES1A_EEDaS15_S16_EUlS15_E_NS1_11comp_targetILNS1_3genE3ELNS1_11target_archE908ELNS1_3gpuE7ELNS1_3repE0EEENS1_30default_config_static_selectorELNS0_4arch9wavefront6targetE1EEEvT1_
                                        ; -- End function
	.set _ZN7rocprim17ROCPRIM_400000_NS6detail17trampoline_kernelINS0_14default_configENS1_25partition_config_selectorILNS1_17partition_subalgoE9EllbEEZZNS1_14partition_implILS5_9ELb0ES3_jPlS8_PNS0_10empty_typeENS0_5tupleIJS8_S9_EEENSB_IJS8_SA_EEENS0_18inequality_wrapperIZN2at6native12_GLOBAL__N_124unique_dim_cuda_templateIjEESt5tupleIJNSF_6TensorESK_SK_EERKSK_lbbbEUlllE0_EEPmJS9_EEE10hipError_tPvRmT3_T4_T5_T6_T7_T9_mT8_P12ihipStream_tbDpT10_ENKUlT_T0_E_clISt17integral_constantIbLb1EES1A_EEDaS15_S16_EUlS15_E_NS1_11comp_targetILNS1_3genE3ELNS1_11target_archE908ELNS1_3gpuE7ELNS1_3repE0EEENS1_30default_config_static_selectorELNS0_4arch9wavefront6targetE1EEEvT1_.num_vgpr, 0
	.set _ZN7rocprim17ROCPRIM_400000_NS6detail17trampoline_kernelINS0_14default_configENS1_25partition_config_selectorILNS1_17partition_subalgoE9EllbEEZZNS1_14partition_implILS5_9ELb0ES3_jPlS8_PNS0_10empty_typeENS0_5tupleIJS8_S9_EEENSB_IJS8_SA_EEENS0_18inequality_wrapperIZN2at6native12_GLOBAL__N_124unique_dim_cuda_templateIjEESt5tupleIJNSF_6TensorESK_SK_EERKSK_lbbbEUlllE0_EEPmJS9_EEE10hipError_tPvRmT3_T4_T5_T6_T7_T9_mT8_P12ihipStream_tbDpT10_ENKUlT_T0_E_clISt17integral_constantIbLb1EES1A_EEDaS15_S16_EUlS15_E_NS1_11comp_targetILNS1_3genE3ELNS1_11target_archE908ELNS1_3gpuE7ELNS1_3repE0EEENS1_30default_config_static_selectorELNS0_4arch9wavefront6targetE1EEEvT1_.num_agpr, 0
	.set _ZN7rocprim17ROCPRIM_400000_NS6detail17trampoline_kernelINS0_14default_configENS1_25partition_config_selectorILNS1_17partition_subalgoE9EllbEEZZNS1_14partition_implILS5_9ELb0ES3_jPlS8_PNS0_10empty_typeENS0_5tupleIJS8_S9_EEENSB_IJS8_SA_EEENS0_18inequality_wrapperIZN2at6native12_GLOBAL__N_124unique_dim_cuda_templateIjEESt5tupleIJNSF_6TensorESK_SK_EERKSK_lbbbEUlllE0_EEPmJS9_EEE10hipError_tPvRmT3_T4_T5_T6_T7_T9_mT8_P12ihipStream_tbDpT10_ENKUlT_T0_E_clISt17integral_constantIbLb1EES1A_EEDaS15_S16_EUlS15_E_NS1_11comp_targetILNS1_3genE3ELNS1_11target_archE908ELNS1_3gpuE7ELNS1_3repE0EEENS1_30default_config_static_selectorELNS0_4arch9wavefront6targetE1EEEvT1_.numbered_sgpr, 0
	.set _ZN7rocprim17ROCPRIM_400000_NS6detail17trampoline_kernelINS0_14default_configENS1_25partition_config_selectorILNS1_17partition_subalgoE9EllbEEZZNS1_14partition_implILS5_9ELb0ES3_jPlS8_PNS0_10empty_typeENS0_5tupleIJS8_S9_EEENSB_IJS8_SA_EEENS0_18inequality_wrapperIZN2at6native12_GLOBAL__N_124unique_dim_cuda_templateIjEESt5tupleIJNSF_6TensorESK_SK_EERKSK_lbbbEUlllE0_EEPmJS9_EEE10hipError_tPvRmT3_T4_T5_T6_T7_T9_mT8_P12ihipStream_tbDpT10_ENKUlT_T0_E_clISt17integral_constantIbLb1EES1A_EEDaS15_S16_EUlS15_E_NS1_11comp_targetILNS1_3genE3ELNS1_11target_archE908ELNS1_3gpuE7ELNS1_3repE0EEENS1_30default_config_static_selectorELNS0_4arch9wavefront6targetE1EEEvT1_.num_named_barrier, 0
	.set _ZN7rocprim17ROCPRIM_400000_NS6detail17trampoline_kernelINS0_14default_configENS1_25partition_config_selectorILNS1_17partition_subalgoE9EllbEEZZNS1_14partition_implILS5_9ELb0ES3_jPlS8_PNS0_10empty_typeENS0_5tupleIJS8_S9_EEENSB_IJS8_SA_EEENS0_18inequality_wrapperIZN2at6native12_GLOBAL__N_124unique_dim_cuda_templateIjEESt5tupleIJNSF_6TensorESK_SK_EERKSK_lbbbEUlllE0_EEPmJS9_EEE10hipError_tPvRmT3_T4_T5_T6_T7_T9_mT8_P12ihipStream_tbDpT10_ENKUlT_T0_E_clISt17integral_constantIbLb1EES1A_EEDaS15_S16_EUlS15_E_NS1_11comp_targetILNS1_3genE3ELNS1_11target_archE908ELNS1_3gpuE7ELNS1_3repE0EEENS1_30default_config_static_selectorELNS0_4arch9wavefront6targetE1EEEvT1_.private_seg_size, 0
	.set _ZN7rocprim17ROCPRIM_400000_NS6detail17trampoline_kernelINS0_14default_configENS1_25partition_config_selectorILNS1_17partition_subalgoE9EllbEEZZNS1_14partition_implILS5_9ELb0ES3_jPlS8_PNS0_10empty_typeENS0_5tupleIJS8_S9_EEENSB_IJS8_SA_EEENS0_18inequality_wrapperIZN2at6native12_GLOBAL__N_124unique_dim_cuda_templateIjEESt5tupleIJNSF_6TensorESK_SK_EERKSK_lbbbEUlllE0_EEPmJS9_EEE10hipError_tPvRmT3_T4_T5_T6_T7_T9_mT8_P12ihipStream_tbDpT10_ENKUlT_T0_E_clISt17integral_constantIbLb1EES1A_EEDaS15_S16_EUlS15_E_NS1_11comp_targetILNS1_3genE3ELNS1_11target_archE908ELNS1_3gpuE7ELNS1_3repE0EEENS1_30default_config_static_selectorELNS0_4arch9wavefront6targetE1EEEvT1_.uses_vcc, 0
	.set _ZN7rocprim17ROCPRIM_400000_NS6detail17trampoline_kernelINS0_14default_configENS1_25partition_config_selectorILNS1_17partition_subalgoE9EllbEEZZNS1_14partition_implILS5_9ELb0ES3_jPlS8_PNS0_10empty_typeENS0_5tupleIJS8_S9_EEENSB_IJS8_SA_EEENS0_18inequality_wrapperIZN2at6native12_GLOBAL__N_124unique_dim_cuda_templateIjEESt5tupleIJNSF_6TensorESK_SK_EERKSK_lbbbEUlllE0_EEPmJS9_EEE10hipError_tPvRmT3_T4_T5_T6_T7_T9_mT8_P12ihipStream_tbDpT10_ENKUlT_T0_E_clISt17integral_constantIbLb1EES1A_EEDaS15_S16_EUlS15_E_NS1_11comp_targetILNS1_3genE3ELNS1_11target_archE908ELNS1_3gpuE7ELNS1_3repE0EEENS1_30default_config_static_selectorELNS0_4arch9wavefront6targetE1EEEvT1_.uses_flat_scratch, 0
	.set _ZN7rocprim17ROCPRIM_400000_NS6detail17trampoline_kernelINS0_14default_configENS1_25partition_config_selectorILNS1_17partition_subalgoE9EllbEEZZNS1_14partition_implILS5_9ELb0ES3_jPlS8_PNS0_10empty_typeENS0_5tupleIJS8_S9_EEENSB_IJS8_SA_EEENS0_18inequality_wrapperIZN2at6native12_GLOBAL__N_124unique_dim_cuda_templateIjEESt5tupleIJNSF_6TensorESK_SK_EERKSK_lbbbEUlllE0_EEPmJS9_EEE10hipError_tPvRmT3_T4_T5_T6_T7_T9_mT8_P12ihipStream_tbDpT10_ENKUlT_T0_E_clISt17integral_constantIbLb1EES1A_EEDaS15_S16_EUlS15_E_NS1_11comp_targetILNS1_3genE3ELNS1_11target_archE908ELNS1_3gpuE7ELNS1_3repE0EEENS1_30default_config_static_selectorELNS0_4arch9wavefront6targetE1EEEvT1_.has_dyn_sized_stack, 0
	.set _ZN7rocprim17ROCPRIM_400000_NS6detail17trampoline_kernelINS0_14default_configENS1_25partition_config_selectorILNS1_17partition_subalgoE9EllbEEZZNS1_14partition_implILS5_9ELb0ES3_jPlS8_PNS0_10empty_typeENS0_5tupleIJS8_S9_EEENSB_IJS8_SA_EEENS0_18inequality_wrapperIZN2at6native12_GLOBAL__N_124unique_dim_cuda_templateIjEESt5tupleIJNSF_6TensorESK_SK_EERKSK_lbbbEUlllE0_EEPmJS9_EEE10hipError_tPvRmT3_T4_T5_T6_T7_T9_mT8_P12ihipStream_tbDpT10_ENKUlT_T0_E_clISt17integral_constantIbLb1EES1A_EEDaS15_S16_EUlS15_E_NS1_11comp_targetILNS1_3genE3ELNS1_11target_archE908ELNS1_3gpuE7ELNS1_3repE0EEENS1_30default_config_static_selectorELNS0_4arch9wavefront6targetE1EEEvT1_.has_recursion, 0
	.set _ZN7rocprim17ROCPRIM_400000_NS6detail17trampoline_kernelINS0_14default_configENS1_25partition_config_selectorILNS1_17partition_subalgoE9EllbEEZZNS1_14partition_implILS5_9ELb0ES3_jPlS8_PNS0_10empty_typeENS0_5tupleIJS8_S9_EEENSB_IJS8_SA_EEENS0_18inequality_wrapperIZN2at6native12_GLOBAL__N_124unique_dim_cuda_templateIjEESt5tupleIJNSF_6TensorESK_SK_EERKSK_lbbbEUlllE0_EEPmJS9_EEE10hipError_tPvRmT3_T4_T5_T6_T7_T9_mT8_P12ihipStream_tbDpT10_ENKUlT_T0_E_clISt17integral_constantIbLb1EES1A_EEDaS15_S16_EUlS15_E_NS1_11comp_targetILNS1_3genE3ELNS1_11target_archE908ELNS1_3gpuE7ELNS1_3repE0EEENS1_30default_config_static_selectorELNS0_4arch9wavefront6targetE1EEEvT1_.has_indirect_call, 0
	.section	.AMDGPU.csdata,"",@progbits
; Kernel info:
; codeLenInByte = 0
; TotalNumSgprs: 6
; NumVgprs: 0
; NumAgprs: 0
; TotalNumVgprs: 0
; ScratchSize: 0
; MemoryBound: 0
; FloatMode: 240
; IeeeMode: 1
; LDSByteSize: 0 bytes/workgroup (compile time only)
; SGPRBlocks: 0
; VGPRBlocks: 0
; NumSGPRsForWavesPerEU: 6
; NumVGPRsForWavesPerEU: 1
; AccumOffset: 4
; Occupancy: 8
; WaveLimiterHint : 0
; COMPUTE_PGM_RSRC2:SCRATCH_EN: 0
; COMPUTE_PGM_RSRC2:USER_SGPR: 2
; COMPUTE_PGM_RSRC2:TRAP_HANDLER: 0
; COMPUTE_PGM_RSRC2:TGID_X_EN: 1
; COMPUTE_PGM_RSRC2:TGID_Y_EN: 0
; COMPUTE_PGM_RSRC2:TGID_Z_EN: 0
; COMPUTE_PGM_RSRC2:TIDIG_COMP_CNT: 0
; COMPUTE_PGM_RSRC3_GFX90A:ACCUM_OFFSET: 0
; COMPUTE_PGM_RSRC3_GFX90A:TG_SPLIT: 0
	.section	.text._ZN7rocprim17ROCPRIM_400000_NS6detail17trampoline_kernelINS0_14default_configENS1_25partition_config_selectorILNS1_17partition_subalgoE9EllbEEZZNS1_14partition_implILS5_9ELb0ES3_jPlS8_PNS0_10empty_typeENS0_5tupleIJS8_S9_EEENSB_IJS8_SA_EEENS0_18inequality_wrapperIZN2at6native12_GLOBAL__N_124unique_dim_cuda_templateIjEESt5tupleIJNSF_6TensorESK_SK_EERKSK_lbbbEUlllE0_EEPmJS9_EEE10hipError_tPvRmT3_T4_T5_T6_T7_T9_mT8_P12ihipStream_tbDpT10_ENKUlT_T0_E_clISt17integral_constantIbLb1EES1A_EEDaS15_S16_EUlS15_E_NS1_11comp_targetILNS1_3genE2ELNS1_11target_archE906ELNS1_3gpuE6ELNS1_3repE0EEENS1_30default_config_static_selectorELNS0_4arch9wavefront6targetE1EEEvT1_,"axG",@progbits,_ZN7rocprim17ROCPRIM_400000_NS6detail17trampoline_kernelINS0_14default_configENS1_25partition_config_selectorILNS1_17partition_subalgoE9EllbEEZZNS1_14partition_implILS5_9ELb0ES3_jPlS8_PNS0_10empty_typeENS0_5tupleIJS8_S9_EEENSB_IJS8_SA_EEENS0_18inequality_wrapperIZN2at6native12_GLOBAL__N_124unique_dim_cuda_templateIjEESt5tupleIJNSF_6TensorESK_SK_EERKSK_lbbbEUlllE0_EEPmJS9_EEE10hipError_tPvRmT3_T4_T5_T6_T7_T9_mT8_P12ihipStream_tbDpT10_ENKUlT_T0_E_clISt17integral_constantIbLb1EES1A_EEDaS15_S16_EUlS15_E_NS1_11comp_targetILNS1_3genE2ELNS1_11target_archE906ELNS1_3gpuE6ELNS1_3repE0EEENS1_30default_config_static_selectorELNS0_4arch9wavefront6targetE1EEEvT1_,comdat
	.globl	_ZN7rocprim17ROCPRIM_400000_NS6detail17trampoline_kernelINS0_14default_configENS1_25partition_config_selectorILNS1_17partition_subalgoE9EllbEEZZNS1_14partition_implILS5_9ELb0ES3_jPlS8_PNS0_10empty_typeENS0_5tupleIJS8_S9_EEENSB_IJS8_SA_EEENS0_18inequality_wrapperIZN2at6native12_GLOBAL__N_124unique_dim_cuda_templateIjEESt5tupleIJNSF_6TensorESK_SK_EERKSK_lbbbEUlllE0_EEPmJS9_EEE10hipError_tPvRmT3_T4_T5_T6_T7_T9_mT8_P12ihipStream_tbDpT10_ENKUlT_T0_E_clISt17integral_constantIbLb1EES1A_EEDaS15_S16_EUlS15_E_NS1_11comp_targetILNS1_3genE2ELNS1_11target_archE906ELNS1_3gpuE6ELNS1_3repE0EEENS1_30default_config_static_selectorELNS0_4arch9wavefront6targetE1EEEvT1_ ; -- Begin function _ZN7rocprim17ROCPRIM_400000_NS6detail17trampoline_kernelINS0_14default_configENS1_25partition_config_selectorILNS1_17partition_subalgoE9EllbEEZZNS1_14partition_implILS5_9ELb0ES3_jPlS8_PNS0_10empty_typeENS0_5tupleIJS8_S9_EEENSB_IJS8_SA_EEENS0_18inequality_wrapperIZN2at6native12_GLOBAL__N_124unique_dim_cuda_templateIjEESt5tupleIJNSF_6TensorESK_SK_EERKSK_lbbbEUlllE0_EEPmJS9_EEE10hipError_tPvRmT3_T4_T5_T6_T7_T9_mT8_P12ihipStream_tbDpT10_ENKUlT_T0_E_clISt17integral_constantIbLb1EES1A_EEDaS15_S16_EUlS15_E_NS1_11comp_targetILNS1_3genE2ELNS1_11target_archE906ELNS1_3gpuE6ELNS1_3repE0EEENS1_30default_config_static_selectorELNS0_4arch9wavefront6targetE1EEEvT1_
	.p2align	8
	.type	_ZN7rocprim17ROCPRIM_400000_NS6detail17trampoline_kernelINS0_14default_configENS1_25partition_config_selectorILNS1_17partition_subalgoE9EllbEEZZNS1_14partition_implILS5_9ELb0ES3_jPlS8_PNS0_10empty_typeENS0_5tupleIJS8_S9_EEENSB_IJS8_SA_EEENS0_18inequality_wrapperIZN2at6native12_GLOBAL__N_124unique_dim_cuda_templateIjEESt5tupleIJNSF_6TensorESK_SK_EERKSK_lbbbEUlllE0_EEPmJS9_EEE10hipError_tPvRmT3_T4_T5_T6_T7_T9_mT8_P12ihipStream_tbDpT10_ENKUlT_T0_E_clISt17integral_constantIbLb1EES1A_EEDaS15_S16_EUlS15_E_NS1_11comp_targetILNS1_3genE2ELNS1_11target_archE906ELNS1_3gpuE6ELNS1_3repE0EEENS1_30default_config_static_selectorELNS0_4arch9wavefront6targetE1EEEvT1_,@function
_ZN7rocprim17ROCPRIM_400000_NS6detail17trampoline_kernelINS0_14default_configENS1_25partition_config_selectorILNS1_17partition_subalgoE9EllbEEZZNS1_14partition_implILS5_9ELb0ES3_jPlS8_PNS0_10empty_typeENS0_5tupleIJS8_S9_EEENSB_IJS8_SA_EEENS0_18inequality_wrapperIZN2at6native12_GLOBAL__N_124unique_dim_cuda_templateIjEESt5tupleIJNSF_6TensorESK_SK_EERKSK_lbbbEUlllE0_EEPmJS9_EEE10hipError_tPvRmT3_T4_T5_T6_T7_T9_mT8_P12ihipStream_tbDpT10_ENKUlT_T0_E_clISt17integral_constantIbLb1EES1A_EEDaS15_S16_EUlS15_E_NS1_11comp_targetILNS1_3genE2ELNS1_11target_archE906ELNS1_3gpuE6ELNS1_3repE0EEENS1_30default_config_static_selectorELNS0_4arch9wavefront6targetE1EEEvT1_: ; @_ZN7rocprim17ROCPRIM_400000_NS6detail17trampoline_kernelINS0_14default_configENS1_25partition_config_selectorILNS1_17partition_subalgoE9EllbEEZZNS1_14partition_implILS5_9ELb0ES3_jPlS8_PNS0_10empty_typeENS0_5tupleIJS8_S9_EEENSB_IJS8_SA_EEENS0_18inequality_wrapperIZN2at6native12_GLOBAL__N_124unique_dim_cuda_templateIjEESt5tupleIJNSF_6TensorESK_SK_EERKSK_lbbbEUlllE0_EEPmJS9_EEE10hipError_tPvRmT3_T4_T5_T6_T7_T9_mT8_P12ihipStream_tbDpT10_ENKUlT_T0_E_clISt17integral_constantIbLb1EES1A_EEDaS15_S16_EUlS15_E_NS1_11comp_targetILNS1_3genE2ELNS1_11target_archE906ELNS1_3gpuE6ELNS1_3repE0EEENS1_30default_config_static_selectorELNS0_4arch9wavefront6targetE1EEEvT1_
; %bb.0:
	.section	.rodata,"a",@progbits
	.p2align	6, 0x0
	.amdhsa_kernel _ZN7rocprim17ROCPRIM_400000_NS6detail17trampoline_kernelINS0_14default_configENS1_25partition_config_selectorILNS1_17partition_subalgoE9EllbEEZZNS1_14partition_implILS5_9ELb0ES3_jPlS8_PNS0_10empty_typeENS0_5tupleIJS8_S9_EEENSB_IJS8_SA_EEENS0_18inequality_wrapperIZN2at6native12_GLOBAL__N_124unique_dim_cuda_templateIjEESt5tupleIJNSF_6TensorESK_SK_EERKSK_lbbbEUlllE0_EEPmJS9_EEE10hipError_tPvRmT3_T4_T5_T6_T7_T9_mT8_P12ihipStream_tbDpT10_ENKUlT_T0_E_clISt17integral_constantIbLb1EES1A_EEDaS15_S16_EUlS15_E_NS1_11comp_targetILNS1_3genE2ELNS1_11target_archE906ELNS1_3gpuE6ELNS1_3repE0EEENS1_30default_config_static_selectorELNS0_4arch9wavefront6targetE1EEEvT1_
		.amdhsa_group_segment_fixed_size 0
		.amdhsa_private_segment_fixed_size 0
		.amdhsa_kernarg_size 136
		.amdhsa_user_sgpr_count 2
		.amdhsa_user_sgpr_dispatch_ptr 0
		.amdhsa_user_sgpr_queue_ptr 0
		.amdhsa_user_sgpr_kernarg_segment_ptr 1
		.amdhsa_user_sgpr_dispatch_id 0
		.amdhsa_user_sgpr_kernarg_preload_length 0
		.amdhsa_user_sgpr_kernarg_preload_offset 0
		.amdhsa_user_sgpr_private_segment_size 0
		.amdhsa_uses_dynamic_stack 0
		.amdhsa_enable_private_segment 0
		.amdhsa_system_sgpr_workgroup_id_x 1
		.amdhsa_system_sgpr_workgroup_id_y 0
		.amdhsa_system_sgpr_workgroup_id_z 0
		.amdhsa_system_sgpr_workgroup_info 0
		.amdhsa_system_vgpr_workitem_id 0
		.amdhsa_next_free_vgpr 1
		.amdhsa_next_free_sgpr 0
		.amdhsa_accum_offset 4
		.amdhsa_reserve_vcc 0
		.amdhsa_float_round_mode_32 0
		.amdhsa_float_round_mode_16_64 0
		.amdhsa_float_denorm_mode_32 3
		.amdhsa_float_denorm_mode_16_64 3
		.amdhsa_dx10_clamp 1
		.amdhsa_ieee_mode 1
		.amdhsa_fp16_overflow 0
		.amdhsa_tg_split 0
		.amdhsa_exception_fp_ieee_invalid_op 0
		.amdhsa_exception_fp_denorm_src 0
		.amdhsa_exception_fp_ieee_div_zero 0
		.amdhsa_exception_fp_ieee_overflow 0
		.amdhsa_exception_fp_ieee_underflow 0
		.amdhsa_exception_fp_ieee_inexact 0
		.amdhsa_exception_int_div_zero 0
	.end_amdhsa_kernel
	.section	.text._ZN7rocprim17ROCPRIM_400000_NS6detail17trampoline_kernelINS0_14default_configENS1_25partition_config_selectorILNS1_17partition_subalgoE9EllbEEZZNS1_14partition_implILS5_9ELb0ES3_jPlS8_PNS0_10empty_typeENS0_5tupleIJS8_S9_EEENSB_IJS8_SA_EEENS0_18inequality_wrapperIZN2at6native12_GLOBAL__N_124unique_dim_cuda_templateIjEESt5tupleIJNSF_6TensorESK_SK_EERKSK_lbbbEUlllE0_EEPmJS9_EEE10hipError_tPvRmT3_T4_T5_T6_T7_T9_mT8_P12ihipStream_tbDpT10_ENKUlT_T0_E_clISt17integral_constantIbLb1EES1A_EEDaS15_S16_EUlS15_E_NS1_11comp_targetILNS1_3genE2ELNS1_11target_archE906ELNS1_3gpuE6ELNS1_3repE0EEENS1_30default_config_static_selectorELNS0_4arch9wavefront6targetE1EEEvT1_,"axG",@progbits,_ZN7rocprim17ROCPRIM_400000_NS6detail17trampoline_kernelINS0_14default_configENS1_25partition_config_selectorILNS1_17partition_subalgoE9EllbEEZZNS1_14partition_implILS5_9ELb0ES3_jPlS8_PNS0_10empty_typeENS0_5tupleIJS8_S9_EEENSB_IJS8_SA_EEENS0_18inequality_wrapperIZN2at6native12_GLOBAL__N_124unique_dim_cuda_templateIjEESt5tupleIJNSF_6TensorESK_SK_EERKSK_lbbbEUlllE0_EEPmJS9_EEE10hipError_tPvRmT3_T4_T5_T6_T7_T9_mT8_P12ihipStream_tbDpT10_ENKUlT_T0_E_clISt17integral_constantIbLb1EES1A_EEDaS15_S16_EUlS15_E_NS1_11comp_targetILNS1_3genE2ELNS1_11target_archE906ELNS1_3gpuE6ELNS1_3repE0EEENS1_30default_config_static_selectorELNS0_4arch9wavefront6targetE1EEEvT1_,comdat
.Lfunc_end1585:
	.size	_ZN7rocprim17ROCPRIM_400000_NS6detail17trampoline_kernelINS0_14default_configENS1_25partition_config_selectorILNS1_17partition_subalgoE9EllbEEZZNS1_14partition_implILS5_9ELb0ES3_jPlS8_PNS0_10empty_typeENS0_5tupleIJS8_S9_EEENSB_IJS8_SA_EEENS0_18inequality_wrapperIZN2at6native12_GLOBAL__N_124unique_dim_cuda_templateIjEESt5tupleIJNSF_6TensorESK_SK_EERKSK_lbbbEUlllE0_EEPmJS9_EEE10hipError_tPvRmT3_T4_T5_T6_T7_T9_mT8_P12ihipStream_tbDpT10_ENKUlT_T0_E_clISt17integral_constantIbLb1EES1A_EEDaS15_S16_EUlS15_E_NS1_11comp_targetILNS1_3genE2ELNS1_11target_archE906ELNS1_3gpuE6ELNS1_3repE0EEENS1_30default_config_static_selectorELNS0_4arch9wavefront6targetE1EEEvT1_, .Lfunc_end1585-_ZN7rocprim17ROCPRIM_400000_NS6detail17trampoline_kernelINS0_14default_configENS1_25partition_config_selectorILNS1_17partition_subalgoE9EllbEEZZNS1_14partition_implILS5_9ELb0ES3_jPlS8_PNS0_10empty_typeENS0_5tupleIJS8_S9_EEENSB_IJS8_SA_EEENS0_18inequality_wrapperIZN2at6native12_GLOBAL__N_124unique_dim_cuda_templateIjEESt5tupleIJNSF_6TensorESK_SK_EERKSK_lbbbEUlllE0_EEPmJS9_EEE10hipError_tPvRmT3_T4_T5_T6_T7_T9_mT8_P12ihipStream_tbDpT10_ENKUlT_T0_E_clISt17integral_constantIbLb1EES1A_EEDaS15_S16_EUlS15_E_NS1_11comp_targetILNS1_3genE2ELNS1_11target_archE906ELNS1_3gpuE6ELNS1_3repE0EEENS1_30default_config_static_selectorELNS0_4arch9wavefront6targetE1EEEvT1_
                                        ; -- End function
	.set _ZN7rocprim17ROCPRIM_400000_NS6detail17trampoline_kernelINS0_14default_configENS1_25partition_config_selectorILNS1_17partition_subalgoE9EllbEEZZNS1_14partition_implILS5_9ELb0ES3_jPlS8_PNS0_10empty_typeENS0_5tupleIJS8_S9_EEENSB_IJS8_SA_EEENS0_18inequality_wrapperIZN2at6native12_GLOBAL__N_124unique_dim_cuda_templateIjEESt5tupleIJNSF_6TensorESK_SK_EERKSK_lbbbEUlllE0_EEPmJS9_EEE10hipError_tPvRmT3_T4_T5_T6_T7_T9_mT8_P12ihipStream_tbDpT10_ENKUlT_T0_E_clISt17integral_constantIbLb1EES1A_EEDaS15_S16_EUlS15_E_NS1_11comp_targetILNS1_3genE2ELNS1_11target_archE906ELNS1_3gpuE6ELNS1_3repE0EEENS1_30default_config_static_selectorELNS0_4arch9wavefront6targetE1EEEvT1_.num_vgpr, 0
	.set _ZN7rocprim17ROCPRIM_400000_NS6detail17trampoline_kernelINS0_14default_configENS1_25partition_config_selectorILNS1_17partition_subalgoE9EllbEEZZNS1_14partition_implILS5_9ELb0ES3_jPlS8_PNS0_10empty_typeENS0_5tupleIJS8_S9_EEENSB_IJS8_SA_EEENS0_18inequality_wrapperIZN2at6native12_GLOBAL__N_124unique_dim_cuda_templateIjEESt5tupleIJNSF_6TensorESK_SK_EERKSK_lbbbEUlllE0_EEPmJS9_EEE10hipError_tPvRmT3_T4_T5_T6_T7_T9_mT8_P12ihipStream_tbDpT10_ENKUlT_T0_E_clISt17integral_constantIbLb1EES1A_EEDaS15_S16_EUlS15_E_NS1_11comp_targetILNS1_3genE2ELNS1_11target_archE906ELNS1_3gpuE6ELNS1_3repE0EEENS1_30default_config_static_selectorELNS0_4arch9wavefront6targetE1EEEvT1_.num_agpr, 0
	.set _ZN7rocprim17ROCPRIM_400000_NS6detail17trampoline_kernelINS0_14default_configENS1_25partition_config_selectorILNS1_17partition_subalgoE9EllbEEZZNS1_14partition_implILS5_9ELb0ES3_jPlS8_PNS0_10empty_typeENS0_5tupleIJS8_S9_EEENSB_IJS8_SA_EEENS0_18inequality_wrapperIZN2at6native12_GLOBAL__N_124unique_dim_cuda_templateIjEESt5tupleIJNSF_6TensorESK_SK_EERKSK_lbbbEUlllE0_EEPmJS9_EEE10hipError_tPvRmT3_T4_T5_T6_T7_T9_mT8_P12ihipStream_tbDpT10_ENKUlT_T0_E_clISt17integral_constantIbLb1EES1A_EEDaS15_S16_EUlS15_E_NS1_11comp_targetILNS1_3genE2ELNS1_11target_archE906ELNS1_3gpuE6ELNS1_3repE0EEENS1_30default_config_static_selectorELNS0_4arch9wavefront6targetE1EEEvT1_.numbered_sgpr, 0
	.set _ZN7rocprim17ROCPRIM_400000_NS6detail17trampoline_kernelINS0_14default_configENS1_25partition_config_selectorILNS1_17partition_subalgoE9EllbEEZZNS1_14partition_implILS5_9ELb0ES3_jPlS8_PNS0_10empty_typeENS0_5tupleIJS8_S9_EEENSB_IJS8_SA_EEENS0_18inequality_wrapperIZN2at6native12_GLOBAL__N_124unique_dim_cuda_templateIjEESt5tupleIJNSF_6TensorESK_SK_EERKSK_lbbbEUlllE0_EEPmJS9_EEE10hipError_tPvRmT3_T4_T5_T6_T7_T9_mT8_P12ihipStream_tbDpT10_ENKUlT_T0_E_clISt17integral_constantIbLb1EES1A_EEDaS15_S16_EUlS15_E_NS1_11comp_targetILNS1_3genE2ELNS1_11target_archE906ELNS1_3gpuE6ELNS1_3repE0EEENS1_30default_config_static_selectorELNS0_4arch9wavefront6targetE1EEEvT1_.num_named_barrier, 0
	.set _ZN7rocprim17ROCPRIM_400000_NS6detail17trampoline_kernelINS0_14default_configENS1_25partition_config_selectorILNS1_17partition_subalgoE9EllbEEZZNS1_14partition_implILS5_9ELb0ES3_jPlS8_PNS0_10empty_typeENS0_5tupleIJS8_S9_EEENSB_IJS8_SA_EEENS0_18inequality_wrapperIZN2at6native12_GLOBAL__N_124unique_dim_cuda_templateIjEESt5tupleIJNSF_6TensorESK_SK_EERKSK_lbbbEUlllE0_EEPmJS9_EEE10hipError_tPvRmT3_T4_T5_T6_T7_T9_mT8_P12ihipStream_tbDpT10_ENKUlT_T0_E_clISt17integral_constantIbLb1EES1A_EEDaS15_S16_EUlS15_E_NS1_11comp_targetILNS1_3genE2ELNS1_11target_archE906ELNS1_3gpuE6ELNS1_3repE0EEENS1_30default_config_static_selectorELNS0_4arch9wavefront6targetE1EEEvT1_.private_seg_size, 0
	.set _ZN7rocprim17ROCPRIM_400000_NS6detail17trampoline_kernelINS0_14default_configENS1_25partition_config_selectorILNS1_17partition_subalgoE9EllbEEZZNS1_14partition_implILS5_9ELb0ES3_jPlS8_PNS0_10empty_typeENS0_5tupleIJS8_S9_EEENSB_IJS8_SA_EEENS0_18inequality_wrapperIZN2at6native12_GLOBAL__N_124unique_dim_cuda_templateIjEESt5tupleIJNSF_6TensorESK_SK_EERKSK_lbbbEUlllE0_EEPmJS9_EEE10hipError_tPvRmT3_T4_T5_T6_T7_T9_mT8_P12ihipStream_tbDpT10_ENKUlT_T0_E_clISt17integral_constantIbLb1EES1A_EEDaS15_S16_EUlS15_E_NS1_11comp_targetILNS1_3genE2ELNS1_11target_archE906ELNS1_3gpuE6ELNS1_3repE0EEENS1_30default_config_static_selectorELNS0_4arch9wavefront6targetE1EEEvT1_.uses_vcc, 0
	.set _ZN7rocprim17ROCPRIM_400000_NS6detail17trampoline_kernelINS0_14default_configENS1_25partition_config_selectorILNS1_17partition_subalgoE9EllbEEZZNS1_14partition_implILS5_9ELb0ES3_jPlS8_PNS0_10empty_typeENS0_5tupleIJS8_S9_EEENSB_IJS8_SA_EEENS0_18inequality_wrapperIZN2at6native12_GLOBAL__N_124unique_dim_cuda_templateIjEESt5tupleIJNSF_6TensorESK_SK_EERKSK_lbbbEUlllE0_EEPmJS9_EEE10hipError_tPvRmT3_T4_T5_T6_T7_T9_mT8_P12ihipStream_tbDpT10_ENKUlT_T0_E_clISt17integral_constantIbLb1EES1A_EEDaS15_S16_EUlS15_E_NS1_11comp_targetILNS1_3genE2ELNS1_11target_archE906ELNS1_3gpuE6ELNS1_3repE0EEENS1_30default_config_static_selectorELNS0_4arch9wavefront6targetE1EEEvT1_.uses_flat_scratch, 0
	.set _ZN7rocprim17ROCPRIM_400000_NS6detail17trampoline_kernelINS0_14default_configENS1_25partition_config_selectorILNS1_17partition_subalgoE9EllbEEZZNS1_14partition_implILS5_9ELb0ES3_jPlS8_PNS0_10empty_typeENS0_5tupleIJS8_S9_EEENSB_IJS8_SA_EEENS0_18inequality_wrapperIZN2at6native12_GLOBAL__N_124unique_dim_cuda_templateIjEESt5tupleIJNSF_6TensorESK_SK_EERKSK_lbbbEUlllE0_EEPmJS9_EEE10hipError_tPvRmT3_T4_T5_T6_T7_T9_mT8_P12ihipStream_tbDpT10_ENKUlT_T0_E_clISt17integral_constantIbLb1EES1A_EEDaS15_S16_EUlS15_E_NS1_11comp_targetILNS1_3genE2ELNS1_11target_archE906ELNS1_3gpuE6ELNS1_3repE0EEENS1_30default_config_static_selectorELNS0_4arch9wavefront6targetE1EEEvT1_.has_dyn_sized_stack, 0
	.set _ZN7rocprim17ROCPRIM_400000_NS6detail17trampoline_kernelINS0_14default_configENS1_25partition_config_selectorILNS1_17partition_subalgoE9EllbEEZZNS1_14partition_implILS5_9ELb0ES3_jPlS8_PNS0_10empty_typeENS0_5tupleIJS8_S9_EEENSB_IJS8_SA_EEENS0_18inequality_wrapperIZN2at6native12_GLOBAL__N_124unique_dim_cuda_templateIjEESt5tupleIJNSF_6TensorESK_SK_EERKSK_lbbbEUlllE0_EEPmJS9_EEE10hipError_tPvRmT3_T4_T5_T6_T7_T9_mT8_P12ihipStream_tbDpT10_ENKUlT_T0_E_clISt17integral_constantIbLb1EES1A_EEDaS15_S16_EUlS15_E_NS1_11comp_targetILNS1_3genE2ELNS1_11target_archE906ELNS1_3gpuE6ELNS1_3repE0EEENS1_30default_config_static_selectorELNS0_4arch9wavefront6targetE1EEEvT1_.has_recursion, 0
	.set _ZN7rocprim17ROCPRIM_400000_NS6detail17trampoline_kernelINS0_14default_configENS1_25partition_config_selectorILNS1_17partition_subalgoE9EllbEEZZNS1_14partition_implILS5_9ELb0ES3_jPlS8_PNS0_10empty_typeENS0_5tupleIJS8_S9_EEENSB_IJS8_SA_EEENS0_18inequality_wrapperIZN2at6native12_GLOBAL__N_124unique_dim_cuda_templateIjEESt5tupleIJNSF_6TensorESK_SK_EERKSK_lbbbEUlllE0_EEPmJS9_EEE10hipError_tPvRmT3_T4_T5_T6_T7_T9_mT8_P12ihipStream_tbDpT10_ENKUlT_T0_E_clISt17integral_constantIbLb1EES1A_EEDaS15_S16_EUlS15_E_NS1_11comp_targetILNS1_3genE2ELNS1_11target_archE906ELNS1_3gpuE6ELNS1_3repE0EEENS1_30default_config_static_selectorELNS0_4arch9wavefront6targetE1EEEvT1_.has_indirect_call, 0
	.section	.AMDGPU.csdata,"",@progbits
; Kernel info:
; codeLenInByte = 0
; TotalNumSgprs: 6
; NumVgprs: 0
; NumAgprs: 0
; TotalNumVgprs: 0
; ScratchSize: 0
; MemoryBound: 0
; FloatMode: 240
; IeeeMode: 1
; LDSByteSize: 0 bytes/workgroup (compile time only)
; SGPRBlocks: 0
; VGPRBlocks: 0
; NumSGPRsForWavesPerEU: 6
; NumVGPRsForWavesPerEU: 1
; AccumOffset: 4
; Occupancy: 8
; WaveLimiterHint : 0
; COMPUTE_PGM_RSRC2:SCRATCH_EN: 0
; COMPUTE_PGM_RSRC2:USER_SGPR: 2
; COMPUTE_PGM_RSRC2:TRAP_HANDLER: 0
; COMPUTE_PGM_RSRC2:TGID_X_EN: 1
; COMPUTE_PGM_RSRC2:TGID_Y_EN: 0
; COMPUTE_PGM_RSRC2:TGID_Z_EN: 0
; COMPUTE_PGM_RSRC2:TIDIG_COMP_CNT: 0
; COMPUTE_PGM_RSRC3_GFX90A:ACCUM_OFFSET: 0
; COMPUTE_PGM_RSRC3_GFX90A:TG_SPLIT: 0
	.section	.text._ZN7rocprim17ROCPRIM_400000_NS6detail17trampoline_kernelINS0_14default_configENS1_25partition_config_selectorILNS1_17partition_subalgoE9EllbEEZZNS1_14partition_implILS5_9ELb0ES3_jPlS8_PNS0_10empty_typeENS0_5tupleIJS8_S9_EEENSB_IJS8_SA_EEENS0_18inequality_wrapperIZN2at6native12_GLOBAL__N_124unique_dim_cuda_templateIjEESt5tupleIJNSF_6TensorESK_SK_EERKSK_lbbbEUlllE0_EEPmJS9_EEE10hipError_tPvRmT3_T4_T5_T6_T7_T9_mT8_P12ihipStream_tbDpT10_ENKUlT_T0_E_clISt17integral_constantIbLb1EES1A_EEDaS15_S16_EUlS15_E_NS1_11comp_targetILNS1_3genE10ELNS1_11target_archE1200ELNS1_3gpuE4ELNS1_3repE0EEENS1_30default_config_static_selectorELNS0_4arch9wavefront6targetE1EEEvT1_,"axG",@progbits,_ZN7rocprim17ROCPRIM_400000_NS6detail17trampoline_kernelINS0_14default_configENS1_25partition_config_selectorILNS1_17partition_subalgoE9EllbEEZZNS1_14partition_implILS5_9ELb0ES3_jPlS8_PNS0_10empty_typeENS0_5tupleIJS8_S9_EEENSB_IJS8_SA_EEENS0_18inequality_wrapperIZN2at6native12_GLOBAL__N_124unique_dim_cuda_templateIjEESt5tupleIJNSF_6TensorESK_SK_EERKSK_lbbbEUlllE0_EEPmJS9_EEE10hipError_tPvRmT3_T4_T5_T6_T7_T9_mT8_P12ihipStream_tbDpT10_ENKUlT_T0_E_clISt17integral_constantIbLb1EES1A_EEDaS15_S16_EUlS15_E_NS1_11comp_targetILNS1_3genE10ELNS1_11target_archE1200ELNS1_3gpuE4ELNS1_3repE0EEENS1_30default_config_static_selectorELNS0_4arch9wavefront6targetE1EEEvT1_,comdat
	.globl	_ZN7rocprim17ROCPRIM_400000_NS6detail17trampoline_kernelINS0_14default_configENS1_25partition_config_selectorILNS1_17partition_subalgoE9EllbEEZZNS1_14partition_implILS5_9ELb0ES3_jPlS8_PNS0_10empty_typeENS0_5tupleIJS8_S9_EEENSB_IJS8_SA_EEENS0_18inequality_wrapperIZN2at6native12_GLOBAL__N_124unique_dim_cuda_templateIjEESt5tupleIJNSF_6TensorESK_SK_EERKSK_lbbbEUlllE0_EEPmJS9_EEE10hipError_tPvRmT3_T4_T5_T6_T7_T9_mT8_P12ihipStream_tbDpT10_ENKUlT_T0_E_clISt17integral_constantIbLb1EES1A_EEDaS15_S16_EUlS15_E_NS1_11comp_targetILNS1_3genE10ELNS1_11target_archE1200ELNS1_3gpuE4ELNS1_3repE0EEENS1_30default_config_static_selectorELNS0_4arch9wavefront6targetE1EEEvT1_ ; -- Begin function _ZN7rocprim17ROCPRIM_400000_NS6detail17trampoline_kernelINS0_14default_configENS1_25partition_config_selectorILNS1_17partition_subalgoE9EllbEEZZNS1_14partition_implILS5_9ELb0ES3_jPlS8_PNS0_10empty_typeENS0_5tupleIJS8_S9_EEENSB_IJS8_SA_EEENS0_18inequality_wrapperIZN2at6native12_GLOBAL__N_124unique_dim_cuda_templateIjEESt5tupleIJNSF_6TensorESK_SK_EERKSK_lbbbEUlllE0_EEPmJS9_EEE10hipError_tPvRmT3_T4_T5_T6_T7_T9_mT8_P12ihipStream_tbDpT10_ENKUlT_T0_E_clISt17integral_constantIbLb1EES1A_EEDaS15_S16_EUlS15_E_NS1_11comp_targetILNS1_3genE10ELNS1_11target_archE1200ELNS1_3gpuE4ELNS1_3repE0EEENS1_30default_config_static_selectorELNS0_4arch9wavefront6targetE1EEEvT1_
	.p2align	8
	.type	_ZN7rocprim17ROCPRIM_400000_NS6detail17trampoline_kernelINS0_14default_configENS1_25partition_config_selectorILNS1_17partition_subalgoE9EllbEEZZNS1_14partition_implILS5_9ELb0ES3_jPlS8_PNS0_10empty_typeENS0_5tupleIJS8_S9_EEENSB_IJS8_SA_EEENS0_18inequality_wrapperIZN2at6native12_GLOBAL__N_124unique_dim_cuda_templateIjEESt5tupleIJNSF_6TensorESK_SK_EERKSK_lbbbEUlllE0_EEPmJS9_EEE10hipError_tPvRmT3_T4_T5_T6_T7_T9_mT8_P12ihipStream_tbDpT10_ENKUlT_T0_E_clISt17integral_constantIbLb1EES1A_EEDaS15_S16_EUlS15_E_NS1_11comp_targetILNS1_3genE10ELNS1_11target_archE1200ELNS1_3gpuE4ELNS1_3repE0EEENS1_30default_config_static_selectorELNS0_4arch9wavefront6targetE1EEEvT1_,@function
_ZN7rocprim17ROCPRIM_400000_NS6detail17trampoline_kernelINS0_14default_configENS1_25partition_config_selectorILNS1_17partition_subalgoE9EllbEEZZNS1_14partition_implILS5_9ELb0ES3_jPlS8_PNS0_10empty_typeENS0_5tupleIJS8_S9_EEENSB_IJS8_SA_EEENS0_18inequality_wrapperIZN2at6native12_GLOBAL__N_124unique_dim_cuda_templateIjEESt5tupleIJNSF_6TensorESK_SK_EERKSK_lbbbEUlllE0_EEPmJS9_EEE10hipError_tPvRmT3_T4_T5_T6_T7_T9_mT8_P12ihipStream_tbDpT10_ENKUlT_T0_E_clISt17integral_constantIbLb1EES1A_EEDaS15_S16_EUlS15_E_NS1_11comp_targetILNS1_3genE10ELNS1_11target_archE1200ELNS1_3gpuE4ELNS1_3repE0EEENS1_30default_config_static_selectorELNS0_4arch9wavefront6targetE1EEEvT1_: ; @_ZN7rocprim17ROCPRIM_400000_NS6detail17trampoline_kernelINS0_14default_configENS1_25partition_config_selectorILNS1_17partition_subalgoE9EllbEEZZNS1_14partition_implILS5_9ELb0ES3_jPlS8_PNS0_10empty_typeENS0_5tupleIJS8_S9_EEENSB_IJS8_SA_EEENS0_18inequality_wrapperIZN2at6native12_GLOBAL__N_124unique_dim_cuda_templateIjEESt5tupleIJNSF_6TensorESK_SK_EERKSK_lbbbEUlllE0_EEPmJS9_EEE10hipError_tPvRmT3_T4_T5_T6_T7_T9_mT8_P12ihipStream_tbDpT10_ENKUlT_T0_E_clISt17integral_constantIbLb1EES1A_EEDaS15_S16_EUlS15_E_NS1_11comp_targetILNS1_3genE10ELNS1_11target_archE1200ELNS1_3gpuE4ELNS1_3repE0EEENS1_30default_config_static_selectorELNS0_4arch9wavefront6targetE1EEEvT1_
; %bb.0:
	.section	.rodata,"a",@progbits
	.p2align	6, 0x0
	.amdhsa_kernel _ZN7rocprim17ROCPRIM_400000_NS6detail17trampoline_kernelINS0_14default_configENS1_25partition_config_selectorILNS1_17partition_subalgoE9EllbEEZZNS1_14partition_implILS5_9ELb0ES3_jPlS8_PNS0_10empty_typeENS0_5tupleIJS8_S9_EEENSB_IJS8_SA_EEENS0_18inequality_wrapperIZN2at6native12_GLOBAL__N_124unique_dim_cuda_templateIjEESt5tupleIJNSF_6TensorESK_SK_EERKSK_lbbbEUlllE0_EEPmJS9_EEE10hipError_tPvRmT3_T4_T5_T6_T7_T9_mT8_P12ihipStream_tbDpT10_ENKUlT_T0_E_clISt17integral_constantIbLb1EES1A_EEDaS15_S16_EUlS15_E_NS1_11comp_targetILNS1_3genE10ELNS1_11target_archE1200ELNS1_3gpuE4ELNS1_3repE0EEENS1_30default_config_static_selectorELNS0_4arch9wavefront6targetE1EEEvT1_
		.amdhsa_group_segment_fixed_size 0
		.amdhsa_private_segment_fixed_size 0
		.amdhsa_kernarg_size 136
		.amdhsa_user_sgpr_count 2
		.amdhsa_user_sgpr_dispatch_ptr 0
		.amdhsa_user_sgpr_queue_ptr 0
		.amdhsa_user_sgpr_kernarg_segment_ptr 1
		.amdhsa_user_sgpr_dispatch_id 0
		.amdhsa_user_sgpr_kernarg_preload_length 0
		.amdhsa_user_sgpr_kernarg_preload_offset 0
		.amdhsa_user_sgpr_private_segment_size 0
		.amdhsa_uses_dynamic_stack 0
		.amdhsa_enable_private_segment 0
		.amdhsa_system_sgpr_workgroup_id_x 1
		.amdhsa_system_sgpr_workgroup_id_y 0
		.amdhsa_system_sgpr_workgroup_id_z 0
		.amdhsa_system_sgpr_workgroup_info 0
		.amdhsa_system_vgpr_workitem_id 0
		.amdhsa_next_free_vgpr 1
		.amdhsa_next_free_sgpr 0
		.amdhsa_accum_offset 4
		.amdhsa_reserve_vcc 0
		.amdhsa_float_round_mode_32 0
		.amdhsa_float_round_mode_16_64 0
		.amdhsa_float_denorm_mode_32 3
		.amdhsa_float_denorm_mode_16_64 3
		.amdhsa_dx10_clamp 1
		.amdhsa_ieee_mode 1
		.amdhsa_fp16_overflow 0
		.amdhsa_tg_split 0
		.amdhsa_exception_fp_ieee_invalid_op 0
		.amdhsa_exception_fp_denorm_src 0
		.amdhsa_exception_fp_ieee_div_zero 0
		.amdhsa_exception_fp_ieee_overflow 0
		.amdhsa_exception_fp_ieee_underflow 0
		.amdhsa_exception_fp_ieee_inexact 0
		.amdhsa_exception_int_div_zero 0
	.end_amdhsa_kernel
	.section	.text._ZN7rocprim17ROCPRIM_400000_NS6detail17trampoline_kernelINS0_14default_configENS1_25partition_config_selectorILNS1_17partition_subalgoE9EllbEEZZNS1_14partition_implILS5_9ELb0ES3_jPlS8_PNS0_10empty_typeENS0_5tupleIJS8_S9_EEENSB_IJS8_SA_EEENS0_18inequality_wrapperIZN2at6native12_GLOBAL__N_124unique_dim_cuda_templateIjEESt5tupleIJNSF_6TensorESK_SK_EERKSK_lbbbEUlllE0_EEPmJS9_EEE10hipError_tPvRmT3_T4_T5_T6_T7_T9_mT8_P12ihipStream_tbDpT10_ENKUlT_T0_E_clISt17integral_constantIbLb1EES1A_EEDaS15_S16_EUlS15_E_NS1_11comp_targetILNS1_3genE10ELNS1_11target_archE1200ELNS1_3gpuE4ELNS1_3repE0EEENS1_30default_config_static_selectorELNS0_4arch9wavefront6targetE1EEEvT1_,"axG",@progbits,_ZN7rocprim17ROCPRIM_400000_NS6detail17trampoline_kernelINS0_14default_configENS1_25partition_config_selectorILNS1_17partition_subalgoE9EllbEEZZNS1_14partition_implILS5_9ELb0ES3_jPlS8_PNS0_10empty_typeENS0_5tupleIJS8_S9_EEENSB_IJS8_SA_EEENS0_18inequality_wrapperIZN2at6native12_GLOBAL__N_124unique_dim_cuda_templateIjEESt5tupleIJNSF_6TensorESK_SK_EERKSK_lbbbEUlllE0_EEPmJS9_EEE10hipError_tPvRmT3_T4_T5_T6_T7_T9_mT8_P12ihipStream_tbDpT10_ENKUlT_T0_E_clISt17integral_constantIbLb1EES1A_EEDaS15_S16_EUlS15_E_NS1_11comp_targetILNS1_3genE10ELNS1_11target_archE1200ELNS1_3gpuE4ELNS1_3repE0EEENS1_30default_config_static_selectorELNS0_4arch9wavefront6targetE1EEEvT1_,comdat
.Lfunc_end1586:
	.size	_ZN7rocprim17ROCPRIM_400000_NS6detail17trampoline_kernelINS0_14default_configENS1_25partition_config_selectorILNS1_17partition_subalgoE9EllbEEZZNS1_14partition_implILS5_9ELb0ES3_jPlS8_PNS0_10empty_typeENS0_5tupleIJS8_S9_EEENSB_IJS8_SA_EEENS0_18inequality_wrapperIZN2at6native12_GLOBAL__N_124unique_dim_cuda_templateIjEESt5tupleIJNSF_6TensorESK_SK_EERKSK_lbbbEUlllE0_EEPmJS9_EEE10hipError_tPvRmT3_T4_T5_T6_T7_T9_mT8_P12ihipStream_tbDpT10_ENKUlT_T0_E_clISt17integral_constantIbLb1EES1A_EEDaS15_S16_EUlS15_E_NS1_11comp_targetILNS1_3genE10ELNS1_11target_archE1200ELNS1_3gpuE4ELNS1_3repE0EEENS1_30default_config_static_selectorELNS0_4arch9wavefront6targetE1EEEvT1_, .Lfunc_end1586-_ZN7rocprim17ROCPRIM_400000_NS6detail17trampoline_kernelINS0_14default_configENS1_25partition_config_selectorILNS1_17partition_subalgoE9EllbEEZZNS1_14partition_implILS5_9ELb0ES3_jPlS8_PNS0_10empty_typeENS0_5tupleIJS8_S9_EEENSB_IJS8_SA_EEENS0_18inequality_wrapperIZN2at6native12_GLOBAL__N_124unique_dim_cuda_templateIjEESt5tupleIJNSF_6TensorESK_SK_EERKSK_lbbbEUlllE0_EEPmJS9_EEE10hipError_tPvRmT3_T4_T5_T6_T7_T9_mT8_P12ihipStream_tbDpT10_ENKUlT_T0_E_clISt17integral_constantIbLb1EES1A_EEDaS15_S16_EUlS15_E_NS1_11comp_targetILNS1_3genE10ELNS1_11target_archE1200ELNS1_3gpuE4ELNS1_3repE0EEENS1_30default_config_static_selectorELNS0_4arch9wavefront6targetE1EEEvT1_
                                        ; -- End function
	.set _ZN7rocprim17ROCPRIM_400000_NS6detail17trampoline_kernelINS0_14default_configENS1_25partition_config_selectorILNS1_17partition_subalgoE9EllbEEZZNS1_14partition_implILS5_9ELb0ES3_jPlS8_PNS0_10empty_typeENS0_5tupleIJS8_S9_EEENSB_IJS8_SA_EEENS0_18inequality_wrapperIZN2at6native12_GLOBAL__N_124unique_dim_cuda_templateIjEESt5tupleIJNSF_6TensorESK_SK_EERKSK_lbbbEUlllE0_EEPmJS9_EEE10hipError_tPvRmT3_T4_T5_T6_T7_T9_mT8_P12ihipStream_tbDpT10_ENKUlT_T0_E_clISt17integral_constantIbLb1EES1A_EEDaS15_S16_EUlS15_E_NS1_11comp_targetILNS1_3genE10ELNS1_11target_archE1200ELNS1_3gpuE4ELNS1_3repE0EEENS1_30default_config_static_selectorELNS0_4arch9wavefront6targetE1EEEvT1_.num_vgpr, 0
	.set _ZN7rocprim17ROCPRIM_400000_NS6detail17trampoline_kernelINS0_14default_configENS1_25partition_config_selectorILNS1_17partition_subalgoE9EllbEEZZNS1_14partition_implILS5_9ELb0ES3_jPlS8_PNS0_10empty_typeENS0_5tupleIJS8_S9_EEENSB_IJS8_SA_EEENS0_18inequality_wrapperIZN2at6native12_GLOBAL__N_124unique_dim_cuda_templateIjEESt5tupleIJNSF_6TensorESK_SK_EERKSK_lbbbEUlllE0_EEPmJS9_EEE10hipError_tPvRmT3_T4_T5_T6_T7_T9_mT8_P12ihipStream_tbDpT10_ENKUlT_T0_E_clISt17integral_constantIbLb1EES1A_EEDaS15_S16_EUlS15_E_NS1_11comp_targetILNS1_3genE10ELNS1_11target_archE1200ELNS1_3gpuE4ELNS1_3repE0EEENS1_30default_config_static_selectorELNS0_4arch9wavefront6targetE1EEEvT1_.num_agpr, 0
	.set _ZN7rocprim17ROCPRIM_400000_NS6detail17trampoline_kernelINS0_14default_configENS1_25partition_config_selectorILNS1_17partition_subalgoE9EllbEEZZNS1_14partition_implILS5_9ELb0ES3_jPlS8_PNS0_10empty_typeENS0_5tupleIJS8_S9_EEENSB_IJS8_SA_EEENS0_18inequality_wrapperIZN2at6native12_GLOBAL__N_124unique_dim_cuda_templateIjEESt5tupleIJNSF_6TensorESK_SK_EERKSK_lbbbEUlllE0_EEPmJS9_EEE10hipError_tPvRmT3_T4_T5_T6_T7_T9_mT8_P12ihipStream_tbDpT10_ENKUlT_T0_E_clISt17integral_constantIbLb1EES1A_EEDaS15_S16_EUlS15_E_NS1_11comp_targetILNS1_3genE10ELNS1_11target_archE1200ELNS1_3gpuE4ELNS1_3repE0EEENS1_30default_config_static_selectorELNS0_4arch9wavefront6targetE1EEEvT1_.numbered_sgpr, 0
	.set _ZN7rocprim17ROCPRIM_400000_NS6detail17trampoline_kernelINS0_14default_configENS1_25partition_config_selectorILNS1_17partition_subalgoE9EllbEEZZNS1_14partition_implILS5_9ELb0ES3_jPlS8_PNS0_10empty_typeENS0_5tupleIJS8_S9_EEENSB_IJS8_SA_EEENS0_18inequality_wrapperIZN2at6native12_GLOBAL__N_124unique_dim_cuda_templateIjEESt5tupleIJNSF_6TensorESK_SK_EERKSK_lbbbEUlllE0_EEPmJS9_EEE10hipError_tPvRmT3_T4_T5_T6_T7_T9_mT8_P12ihipStream_tbDpT10_ENKUlT_T0_E_clISt17integral_constantIbLb1EES1A_EEDaS15_S16_EUlS15_E_NS1_11comp_targetILNS1_3genE10ELNS1_11target_archE1200ELNS1_3gpuE4ELNS1_3repE0EEENS1_30default_config_static_selectorELNS0_4arch9wavefront6targetE1EEEvT1_.num_named_barrier, 0
	.set _ZN7rocprim17ROCPRIM_400000_NS6detail17trampoline_kernelINS0_14default_configENS1_25partition_config_selectorILNS1_17partition_subalgoE9EllbEEZZNS1_14partition_implILS5_9ELb0ES3_jPlS8_PNS0_10empty_typeENS0_5tupleIJS8_S9_EEENSB_IJS8_SA_EEENS0_18inequality_wrapperIZN2at6native12_GLOBAL__N_124unique_dim_cuda_templateIjEESt5tupleIJNSF_6TensorESK_SK_EERKSK_lbbbEUlllE0_EEPmJS9_EEE10hipError_tPvRmT3_T4_T5_T6_T7_T9_mT8_P12ihipStream_tbDpT10_ENKUlT_T0_E_clISt17integral_constantIbLb1EES1A_EEDaS15_S16_EUlS15_E_NS1_11comp_targetILNS1_3genE10ELNS1_11target_archE1200ELNS1_3gpuE4ELNS1_3repE0EEENS1_30default_config_static_selectorELNS0_4arch9wavefront6targetE1EEEvT1_.private_seg_size, 0
	.set _ZN7rocprim17ROCPRIM_400000_NS6detail17trampoline_kernelINS0_14default_configENS1_25partition_config_selectorILNS1_17partition_subalgoE9EllbEEZZNS1_14partition_implILS5_9ELb0ES3_jPlS8_PNS0_10empty_typeENS0_5tupleIJS8_S9_EEENSB_IJS8_SA_EEENS0_18inequality_wrapperIZN2at6native12_GLOBAL__N_124unique_dim_cuda_templateIjEESt5tupleIJNSF_6TensorESK_SK_EERKSK_lbbbEUlllE0_EEPmJS9_EEE10hipError_tPvRmT3_T4_T5_T6_T7_T9_mT8_P12ihipStream_tbDpT10_ENKUlT_T0_E_clISt17integral_constantIbLb1EES1A_EEDaS15_S16_EUlS15_E_NS1_11comp_targetILNS1_3genE10ELNS1_11target_archE1200ELNS1_3gpuE4ELNS1_3repE0EEENS1_30default_config_static_selectorELNS0_4arch9wavefront6targetE1EEEvT1_.uses_vcc, 0
	.set _ZN7rocprim17ROCPRIM_400000_NS6detail17trampoline_kernelINS0_14default_configENS1_25partition_config_selectorILNS1_17partition_subalgoE9EllbEEZZNS1_14partition_implILS5_9ELb0ES3_jPlS8_PNS0_10empty_typeENS0_5tupleIJS8_S9_EEENSB_IJS8_SA_EEENS0_18inequality_wrapperIZN2at6native12_GLOBAL__N_124unique_dim_cuda_templateIjEESt5tupleIJNSF_6TensorESK_SK_EERKSK_lbbbEUlllE0_EEPmJS9_EEE10hipError_tPvRmT3_T4_T5_T6_T7_T9_mT8_P12ihipStream_tbDpT10_ENKUlT_T0_E_clISt17integral_constantIbLb1EES1A_EEDaS15_S16_EUlS15_E_NS1_11comp_targetILNS1_3genE10ELNS1_11target_archE1200ELNS1_3gpuE4ELNS1_3repE0EEENS1_30default_config_static_selectorELNS0_4arch9wavefront6targetE1EEEvT1_.uses_flat_scratch, 0
	.set _ZN7rocprim17ROCPRIM_400000_NS6detail17trampoline_kernelINS0_14default_configENS1_25partition_config_selectorILNS1_17partition_subalgoE9EllbEEZZNS1_14partition_implILS5_9ELb0ES3_jPlS8_PNS0_10empty_typeENS0_5tupleIJS8_S9_EEENSB_IJS8_SA_EEENS0_18inequality_wrapperIZN2at6native12_GLOBAL__N_124unique_dim_cuda_templateIjEESt5tupleIJNSF_6TensorESK_SK_EERKSK_lbbbEUlllE0_EEPmJS9_EEE10hipError_tPvRmT3_T4_T5_T6_T7_T9_mT8_P12ihipStream_tbDpT10_ENKUlT_T0_E_clISt17integral_constantIbLb1EES1A_EEDaS15_S16_EUlS15_E_NS1_11comp_targetILNS1_3genE10ELNS1_11target_archE1200ELNS1_3gpuE4ELNS1_3repE0EEENS1_30default_config_static_selectorELNS0_4arch9wavefront6targetE1EEEvT1_.has_dyn_sized_stack, 0
	.set _ZN7rocprim17ROCPRIM_400000_NS6detail17trampoline_kernelINS0_14default_configENS1_25partition_config_selectorILNS1_17partition_subalgoE9EllbEEZZNS1_14partition_implILS5_9ELb0ES3_jPlS8_PNS0_10empty_typeENS0_5tupleIJS8_S9_EEENSB_IJS8_SA_EEENS0_18inequality_wrapperIZN2at6native12_GLOBAL__N_124unique_dim_cuda_templateIjEESt5tupleIJNSF_6TensorESK_SK_EERKSK_lbbbEUlllE0_EEPmJS9_EEE10hipError_tPvRmT3_T4_T5_T6_T7_T9_mT8_P12ihipStream_tbDpT10_ENKUlT_T0_E_clISt17integral_constantIbLb1EES1A_EEDaS15_S16_EUlS15_E_NS1_11comp_targetILNS1_3genE10ELNS1_11target_archE1200ELNS1_3gpuE4ELNS1_3repE0EEENS1_30default_config_static_selectorELNS0_4arch9wavefront6targetE1EEEvT1_.has_recursion, 0
	.set _ZN7rocprim17ROCPRIM_400000_NS6detail17trampoline_kernelINS0_14default_configENS1_25partition_config_selectorILNS1_17partition_subalgoE9EllbEEZZNS1_14partition_implILS5_9ELb0ES3_jPlS8_PNS0_10empty_typeENS0_5tupleIJS8_S9_EEENSB_IJS8_SA_EEENS0_18inequality_wrapperIZN2at6native12_GLOBAL__N_124unique_dim_cuda_templateIjEESt5tupleIJNSF_6TensorESK_SK_EERKSK_lbbbEUlllE0_EEPmJS9_EEE10hipError_tPvRmT3_T4_T5_T6_T7_T9_mT8_P12ihipStream_tbDpT10_ENKUlT_T0_E_clISt17integral_constantIbLb1EES1A_EEDaS15_S16_EUlS15_E_NS1_11comp_targetILNS1_3genE10ELNS1_11target_archE1200ELNS1_3gpuE4ELNS1_3repE0EEENS1_30default_config_static_selectorELNS0_4arch9wavefront6targetE1EEEvT1_.has_indirect_call, 0
	.section	.AMDGPU.csdata,"",@progbits
; Kernel info:
; codeLenInByte = 0
; TotalNumSgprs: 6
; NumVgprs: 0
; NumAgprs: 0
; TotalNumVgprs: 0
; ScratchSize: 0
; MemoryBound: 0
; FloatMode: 240
; IeeeMode: 1
; LDSByteSize: 0 bytes/workgroup (compile time only)
; SGPRBlocks: 0
; VGPRBlocks: 0
; NumSGPRsForWavesPerEU: 6
; NumVGPRsForWavesPerEU: 1
; AccumOffset: 4
; Occupancy: 8
; WaveLimiterHint : 0
; COMPUTE_PGM_RSRC2:SCRATCH_EN: 0
; COMPUTE_PGM_RSRC2:USER_SGPR: 2
; COMPUTE_PGM_RSRC2:TRAP_HANDLER: 0
; COMPUTE_PGM_RSRC2:TGID_X_EN: 1
; COMPUTE_PGM_RSRC2:TGID_Y_EN: 0
; COMPUTE_PGM_RSRC2:TGID_Z_EN: 0
; COMPUTE_PGM_RSRC2:TIDIG_COMP_CNT: 0
; COMPUTE_PGM_RSRC3_GFX90A:ACCUM_OFFSET: 0
; COMPUTE_PGM_RSRC3_GFX90A:TG_SPLIT: 0
	.section	.text._ZN7rocprim17ROCPRIM_400000_NS6detail17trampoline_kernelINS0_14default_configENS1_25partition_config_selectorILNS1_17partition_subalgoE9EllbEEZZNS1_14partition_implILS5_9ELb0ES3_jPlS8_PNS0_10empty_typeENS0_5tupleIJS8_S9_EEENSB_IJS8_SA_EEENS0_18inequality_wrapperIZN2at6native12_GLOBAL__N_124unique_dim_cuda_templateIjEESt5tupleIJNSF_6TensorESK_SK_EERKSK_lbbbEUlllE0_EEPmJS9_EEE10hipError_tPvRmT3_T4_T5_T6_T7_T9_mT8_P12ihipStream_tbDpT10_ENKUlT_T0_E_clISt17integral_constantIbLb1EES1A_EEDaS15_S16_EUlS15_E_NS1_11comp_targetILNS1_3genE9ELNS1_11target_archE1100ELNS1_3gpuE3ELNS1_3repE0EEENS1_30default_config_static_selectorELNS0_4arch9wavefront6targetE1EEEvT1_,"axG",@progbits,_ZN7rocprim17ROCPRIM_400000_NS6detail17trampoline_kernelINS0_14default_configENS1_25partition_config_selectorILNS1_17partition_subalgoE9EllbEEZZNS1_14partition_implILS5_9ELb0ES3_jPlS8_PNS0_10empty_typeENS0_5tupleIJS8_S9_EEENSB_IJS8_SA_EEENS0_18inequality_wrapperIZN2at6native12_GLOBAL__N_124unique_dim_cuda_templateIjEESt5tupleIJNSF_6TensorESK_SK_EERKSK_lbbbEUlllE0_EEPmJS9_EEE10hipError_tPvRmT3_T4_T5_T6_T7_T9_mT8_P12ihipStream_tbDpT10_ENKUlT_T0_E_clISt17integral_constantIbLb1EES1A_EEDaS15_S16_EUlS15_E_NS1_11comp_targetILNS1_3genE9ELNS1_11target_archE1100ELNS1_3gpuE3ELNS1_3repE0EEENS1_30default_config_static_selectorELNS0_4arch9wavefront6targetE1EEEvT1_,comdat
	.globl	_ZN7rocprim17ROCPRIM_400000_NS6detail17trampoline_kernelINS0_14default_configENS1_25partition_config_selectorILNS1_17partition_subalgoE9EllbEEZZNS1_14partition_implILS5_9ELb0ES3_jPlS8_PNS0_10empty_typeENS0_5tupleIJS8_S9_EEENSB_IJS8_SA_EEENS0_18inequality_wrapperIZN2at6native12_GLOBAL__N_124unique_dim_cuda_templateIjEESt5tupleIJNSF_6TensorESK_SK_EERKSK_lbbbEUlllE0_EEPmJS9_EEE10hipError_tPvRmT3_T4_T5_T6_T7_T9_mT8_P12ihipStream_tbDpT10_ENKUlT_T0_E_clISt17integral_constantIbLb1EES1A_EEDaS15_S16_EUlS15_E_NS1_11comp_targetILNS1_3genE9ELNS1_11target_archE1100ELNS1_3gpuE3ELNS1_3repE0EEENS1_30default_config_static_selectorELNS0_4arch9wavefront6targetE1EEEvT1_ ; -- Begin function _ZN7rocprim17ROCPRIM_400000_NS6detail17trampoline_kernelINS0_14default_configENS1_25partition_config_selectorILNS1_17partition_subalgoE9EllbEEZZNS1_14partition_implILS5_9ELb0ES3_jPlS8_PNS0_10empty_typeENS0_5tupleIJS8_S9_EEENSB_IJS8_SA_EEENS0_18inequality_wrapperIZN2at6native12_GLOBAL__N_124unique_dim_cuda_templateIjEESt5tupleIJNSF_6TensorESK_SK_EERKSK_lbbbEUlllE0_EEPmJS9_EEE10hipError_tPvRmT3_T4_T5_T6_T7_T9_mT8_P12ihipStream_tbDpT10_ENKUlT_T0_E_clISt17integral_constantIbLb1EES1A_EEDaS15_S16_EUlS15_E_NS1_11comp_targetILNS1_3genE9ELNS1_11target_archE1100ELNS1_3gpuE3ELNS1_3repE0EEENS1_30default_config_static_selectorELNS0_4arch9wavefront6targetE1EEEvT1_
	.p2align	8
	.type	_ZN7rocprim17ROCPRIM_400000_NS6detail17trampoline_kernelINS0_14default_configENS1_25partition_config_selectorILNS1_17partition_subalgoE9EllbEEZZNS1_14partition_implILS5_9ELb0ES3_jPlS8_PNS0_10empty_typeENS0_5tupleIJS8_S9_EEENSB_IJS8_SA_EEENS0_18inequality_wrapperIZN2at6native12_GLOBAL__N_124unique_dim_cuda_templateIjEESt5tupleIJNSF_6TensorESK_SK_EERKSK_lbbbEUlllE0_EEPmJS9_EEE10hipError_tPvRmT3_T4_T5_T6_T7_T9_mT8_P12ihipStream_tbDpT10_ENKUlT_T0_E_clISt17integral_constantIbLb1EES1A_EEDaS15_S16_EUlS15_E_NS1_11comp_targetILNS1_3genE9ELNS1_11target_archE1100ELNS1_3gpuE3ELNS1_3repE0EEENS1_30default_config_static_selectorELNS0_4arch9wavefront6targetE1EEEvT1_,@function
_ZN7rocprim17ROCPRIM_400000_NS6detail17trampoline_kernelINS0_14default_configENS1_25partition_config_selectorILNS1_17partition_subalgoE9EllbEEZZNS1_14partition_implILS5_9ELb0ES3_jPlS8_PNS0_10empty_typeENS0_5tupleIJS8_S9_EEENSB_IJS8_SA_EEENS0_18inequality_wrapperIZN2at6native12_GLOBAL__N_124unique_dim_cuda_templateIjEESt5tupleIJNSF_6TensorESK_SK_EERKSK_lbbbEUlllE0_EEPmJS9_EEE10hipError_tPvRmT3_T4_T5_T6_T7_T9_mT8_P12ihipStream_tbDpT10_ENKUlT_T0_E_clISt17integral_constantIbLb1EES1A_EEDaS15_S16_EUlS15_E_NS1_11comp_targetILNS1_3genE9ELNS1_11target_archE1100ELNS1_3gpuE3ELNS1_3repE0EEENS1_30default_config_static_selectorELNS0_4arch9wavefront6targetE1EEEvT1_: ; @_ZN7rocprim17ROCPRIM_400000_NS6detail17trampoline_kernelINS0_14default_configENS1_25partition_config_selectorILNS1_17partition_subalgoE9EllbEEZZNS1_14partition_implILS5_9ELb0ES3_jPlS8_PNS0_10empty_typeENS0_5tupleIJS8_S9_EEENSB_IJS8_SA_EEENS0_18inequality_wrapperIZN2at6native12_GLOBAL__N_124unique_dim_cuda_templateIjEESt5tupleIJNSF_6TensorESK_SK_EERKSK_lbbbEUlllE0_EEPmJS9_EEE10hipError_tPvRmT3_T4_T5_T6_T7_T9_mT8_P12ihipStream_tbDpT10_ENKUlT_T0_E_clISt17integral_constantIbLb1EES1A_EEDaS15_S16_EUlS15_E_NS1_11comp_targetILNS1_3genE9ELNS1_11target_archE1100ELNS1_3gpuE3ELNS1_3repE0EEENS1_30default_config_static_selectorELNS0_4arch9wavefront6targetE1EEEvT1_
; %bb.0:
	.section	.rodata,"a",@progbits
	.p2align	6, 0x0
	.amdhsa_kernel _ZN7rocprim17ROCPRIM_400000_NS6detail17trampoline_kernelINS0_14default_configENS1_25partition_config_selectorILNS1_17partition_subalgoE9EllbEEZZNS1_14partition_implILS5_9ELb0ES3_jPlS8_PNS0_10empty_typeENS0_5tupleIJS8_S9_EEENSB_IJS8_SA_EEENS0_18inequality_wrapperIZN2at6native12_GLOBAL__N_124unique_dim_cuda_templateIjEESt5tupleIJNSF_6TensorESK_SK_EERKSK_lbbbEUlllE0_EEPmJS9_EEE10hipError_tPvRmT3_T4_T5_T6_T7_T9_mT8_P12ihipStream_tbDpT10_ENKUlT_T0_E_clISt17integral_constantIbLb1EES1A_EEDaS15_S16_EUlS15_E_NS1_11comp_targetILNS1_3genE9ELNS1_11target_archE1100ELNS1_3gpuE3ELNS1_3repE0EEENS1_30default_config_static_selectorELNS0_4arch9wavefront6targetE1EEEvT1_
		.amdhsa_group_segment_fixed_size 0
		.amdhsa_private_segment_fixed_size 0
		.amdhsa_kernarg_size 136
		.amdhsa_user_sgpr_count 2
		.amdhsa_user_sgpr_dispatch_ptr 0
		.amdhsa_user_sgpr_queue_ptr 0
		.amdhsa_user_sgpr_kernarg_segment_ptr 1
		.amdhsa_user_sgpr_dispatch_id 0
		.amdhsa_user_sgpr_kernarg_preload_length 0
		.amdhsa_user_sgpr_kernarg_preload_offset 0
		.amdhsa_user_sgpr_private_segment_size 0
		.amdhsa_uses_dynamic_stack 0
		.amdhsa_enable_private_segment 0
		.amdhsa_system_sgpr_workgroup_id_x 1
		.amdhsa_system_sgpr_workgroup_id_y 0
		.amdhsa_system_sgpr_workgroup_id_z 0
		.amdhsa_system_sgpr_workgroup_info 0
		.amdhsa_system_vgpr_workitem_id 0
		.amdhsa_next_free_vgpr 1
		.amdhsa_next_free_sgpr 0
		.amdhsa_accum_offset 4
		.amdhsa_reserve_vcc 0
		.amdhsa_float_round_mode_32 0
		.amdhsa_float_round_mode_16_64 0
		.amdhsa_float_denorm_mode_32 3
		.amdhsa_float_denorm_mode_16_64 3
		.amdhsa_dx10_clamp 1
		.amdhsa_ieee_mode 1
		.amdhsa_fp16_overflow 0
		.amdhsa_tg_split 0
		.amdhsa_exception_fp_ieee_invalid_op 0
		.amdhsa_exception_fp_denorm_src 0
		.amdhsa_exception_fp_ieee_div_zero 0
		.amdhsa_exception_fp_ieee_overflow 0
		.amdhsa_exception_fp_ieee_underflow 0
		.amdhsa_exception_fp_ieee_inexact 0
		.amdhsa_exception_int_div_zero 0
	.end_amdhsa_kernel
	.section	.text._ZN7rocprim17ROCPRIM_400000_NS6detail17trampoline_kernelINS0_14default_configENS1_25partition_config_selectorILNS1_17partition_subalgoE9EllbEEZZNS1_14partition_implILS5_9ELb0ES3_jPlS8_PNS0_10empty_typeENS0_5tupleIJS8_S9_EEENSB_IJS8_SA_EEENS0_18inequality_wrapperIZN2at6native12_GLOBAL__N_124unique_dim_cuda_templateIjEESt5tupleIJNSF_6TensorESK_SK_EERKSK_lbbbEUlllE0_EEPmJS9_EEE10hipError_tPvRmT3_T4_T5_T6_T7_T9_mT8_P12ihipStream_tbDpT10_ENKUlT_T0_E_clISt17integral_constantIbLb1EES1A_EEDaS15_S16_EUlS15_E_NS1_11comp_targetILNS1_3genE9ELNS1_11target_archE1100ELNS1_3gpuE3ELNS1_3repE0EEENS1_30default_config_static_selectorELNS0_4arch9wavefront6targetE1EEEvT1_,"axG",@progbits,_ZN7rocprim17ROCPRIM_400000_NS6detail17trampoline_kernelINS0_14default_configENS1_25partition_config_selectorILNS1_17partition_subalgoE9EllbEEZZNS1_14partition_implILS5_9ELb0ES3_jPlS8_PNS0_10empty_typeENS0_5tupleIJS8_S9_EEENSB_IJS8_SA_EEENS0_18inequality_wrapperIZN2at6native12_GLOBAL__N_124unique_dim_cuda_templateIjEESt5tupleIJNSF_6TensorESK_SK_EERKSK_lbbbEUlllE0_EEPmJS9_EEE10hipError_tPvRmT3_T4_T5_T6_T7_T9_mT8_P12ihipStream_tbDpT10_ENKUlT_T0_E_clISt17integral_constantIbLb1EES1A_EEDaS15_S16_EUlS15_E_NS1_11comp_targetILNS1_3genE9ELNS1_11target_archE1100ELNS1_3gpuE3ELNS1_3repE0EEENS1_30default_config_static_selectorELNS0_4arch9wavefront6targetE1EEEvT1_,comdat
.Lfunc_end1587:
	.size	_ZN7rocprim17ROCPRIM_400000_NS6detail17trampoline_kernelINS0_14default_configENS1_25partition_config_selectorILNS1_17partition_subalgoE9EllbEEZZNS1_14partition_implILS5_9ELb0ES3_jPlS8_PNS0_10empty_typeENS0_5tupleIJS8_S9_EEENSB_IJS8_SA_EEENS0_18inequality_wrapperIZN2at6native12_GLOBAL__N_124unique_dim_cuda_templateIjEESt5tupleIJNSF_6TensorESK_SK_EERKSK_lbbbEUlllE0_EEPmJS9_EEE10hipError_tPvRmT3_T4_T5_T6_T7_T9_mT8_P12ihipStream_tbDpT10_ENKUlT_T0_E_clISt17integral_constantIbLb1EES1A_EEDaS15_S16_EUlS15_E_NS1_11comp_targetILNS1_3genE9ELNS1_11target_archE1100ELNS1_3gpuE3ELNS1_3repE0EEENS1_30default_config_static_selectorELNS0_4arch9wavefront6targetE1EEEvT1_, .Lfunc_end1587-_ZN7rocprim17ROCPRIM_400000_NS6detail17trampoline_kernelINS0_14default_configENS1_25partition_config_selectorILNS1_17partition_subalgoE9EllbEEZZNS1_14partition_implILS5_9ELb0ES3_jPlS8_PNS0_10empty_typeENS0_5tupleIJS8_S9_EEENSB_IJS8_SA_EEENS0_18inequality_wrapperIZN2at6native12_GLOBAL__N_124unique_dim_cuda_templateIjEESt5tupleIJNSF_6TensorESK_SK_EERKSK_lbbbEUlllE0_EEPmJS9_EEE10hipError_tPvRmT3_T4_T5_T6_T7_T9_mT8_P12ihipStream_tbDpT10_ENKUlT_T0_E_clISt17integral_constantIbLb1EES1A_EEDaS15_S16_EUlS15_E_NS1_11comp_targetILNS1_3genE9ELNS1_11target_archE1100ELNS1_3gpuE3ELNS1_3repE0EEENS1_30default_config_static_selectorELNS0_4arch9wavefront6targetE1EEEvT1_
                                        ; -- End function
	.set _ZN7rocprim17ROCPRIM_400000_NS6detail17trampoline_kernelINS0_14default_configENS1_25partition_config_selectorILNS1_17partition_subalgoE9EllbEEZZNS1_14partition_implILS5_9ELb0ES3_jPlS8_PNS0_10empty_typeENS0_5tupleIJS8_S9_EEENSB_IJS8_SA_EEENS0_18inequality_wrapperIZN2at6native12_GLOBAL__N_124unique_dim_cuda_templateIjEESt5tupleIJNSF_6TensorESK_SK_EERKSK_lbbbEUlllE0_EEPmJS9_EEE10hipError_tPvRmT3_T4_T5_T6_T7_T9_mT8_P12ihipStream_tbDpT10_ENKUlT_T0_E_clISt17integral_constantIbLb1EES1A_EEDaS15_S16_EUlS15_E_NS1_11comp_targetILNS1_3genE9ELNS1_11target_archE1100ELNS1_3gpuE3ELNS1_3repE0EEENS1_30default_config_static_selectorELNS0_4arch9wavefront6targetE1EEEvT1_.num_vgpr, 0
	.set _ZN7rocprim17ROCPRIM_400000_NS6detail17trampoline_kernelINS0_14default_configENS1_25partition_config_selectorILNS1_17partition_subalgoE9EllbEEZZNS1_14partition_implILS5_9ELb0ES3_jPlS8_PNS0_10empty_typeENS0_5tupleIJS8_S9_EEENSB_IJS8_SA_EEENS0_18inequality_wrapperIZN2at6native12_GLOBAL__N_124unique_dim_cuda_templateIjEESt5tupleIJNSF_6TensorESK_SK_EERKSK_lbbbEUlllE0_EEPmJS9_EEE10hipError_tPvRmT3_T4_T5_T6_T7_T9_mT8_P12ihipStream_tbDpT10_ENKUlT_T0_E_clISt17integral_constantIbLb1EES1A_EEDaS15_S16_EUlS15_E_NS1_11comp_targetILNS1_3genE9ELNS1_11target_archE1100ELNS1_3gpuE3ELNS1_3repE0EEENS1_30default_config_static_selectorELNS0_4arch9wavefront6targetE1EEEvT1_.num_agpr, 0
	.set _ZN7rocprim17ROCPRIM_400000_NS6detail17trampoline_kernelINS0_14default_configENS1_25partition_config_selectorILNS1_17partition_subalgoE9EllbEEZZNS1_14partition_implILS5_9ELb0ES3_jPlS8_PNS0_10empty_typeENS0_5tupleIJS8_S9_EEENSB_IJS8_SA_EEENS0_18inequality_wrapperIZN2at6native12_GLOBAL__N_124unique_dim_cuda_templateIjEESt5tupleIJNSF_6TensorESK_SK_EERKSK_lbbbEUlllE0_EEPmJS9_EEE10hipError_tPvRmT3_T4_T5_T6_T7_T9_mT8_P12ihipStream_tbDpT10_ENKUlT_T0_E_clISt17integral_constantIbLb1EES1A_EEDaS15_S16_EUlS15_E_NS1_11comp_targetILNS1_3genE9ELNS1_11target_archE1100ELNS1_3gpuE3ELNS1_3repE0EEENS1_30default_config_static_selectorELNS0_4arch9wavefront6targetE1EEEvT1_.numbered_sgpr, 0
	.set _ZN7rocprim17ROCPRIM_400000_NS6detail17trampoline_kernelINS0_14default_configENS1_25partition_config_selectorILNS1_17partition_subalgoE9EllbEEZZNS1_14partition_implILS5_9ELb0ES3_jPlS8_PNS0_10empty_typeENS0_5tupleIJS8_S9_EEENSB_IJS8_SA_EEENS0_18inequality_wrapperIZN2at6native12_GLOBAL__N_124unique_dim_cuda_templateIjEESt5tupleIJNSF_6TensorESK_SK_EERKSK_lbbbEUlllE0_EEPmJS9_EEE10hipError_tPvRmT3_T4_T5_T6_T7_T9_mT8_P12ihipStream_tbDpT10_ENKUlT_T0_E_clISt17integral_constantIbLb1EES1A_EEDaS15_S16_EUlS15_E_NS1_11comp_targetILNS1_3genE9ELNS1_11target_archE1100ELNS1_3gpuE3ELNS1_3repE0EEENS1_30default_config_static_selectorELNS0_4arch9wavefront6targetE1EEEvT1_.num_named_barrier, 0
	.set _ZN7rocprim17ROCPRIM_400000_NS6detail17trampoline_kernelINS0_14default_configENS1_25partition_config_selectorILNS1_17partition_subalgoE9EllbEEZZNS1_14partition_implILS5_9ELb0ES3_jPlS8_PNS0_10empty_typeENS0_5tupleIJS8_S9_EEENSB_IJS8_SA_EEENS0_18inequality_wrapperIZN2at6native12_GLOBAL__N_124unique_dim_cuda_templateIjEESt5tupleIJNSF_6TensorESK_SK_EERKSK_lbbbEUlllE0_EEPmJS9_EEE10hipError_tPvRmT3_T4_T5_T6_T7_T9_mT8_P12ihipStream_tbDpT10_ENKUlT_T0_E_clISt17integral_constantIbLb1EES1A_EEDaS15_S16_EUlS15_E_NS1_11comp_targetILNS1_3genE9ELNS1_11target_archE1100ELNS1_3gpuE3ELNS1_3repE0EEENS1_30default_config_static_selectorELNS0_4arch9wavefront6targetE1EEEvT1_.private_seg_size, 0
	.set _ZN7rocprim17ROCPRIM_400000_NS6detail17trampoline_kernelINS0_14default_configENS1_25partition_config_selectorILNS1_17partition_subalgoE9EllbEEZZNS1_14partition_implILS5_9ELb0ES3_jPlS8_PNS0_10empty_typeENS0_5tupleIJS8_S9_EEENSB_IJS8_SA_EEENS0_18inequality_wrapperIZN2at6native12_GLOBAL__N_124unique_dim_cuda_templateIjEESt5tupleIJNSF_6TensorESK_SK_EERKSK_lbbbEUlllE0_EEPmJS9_EEE10hipError_tPvRmT3_T4_T5_T6_T7_T9_mT8_P12ihipStream_tbDpT10_ENKUlT_T0_E_clISt17integral_constantIbLb1EES1A_EEDaS15_S16_EUlS15_E_NS1_11comp_targetILNS1_3genE9ELNS1_11target_archE1100ELNS1_3gpuE3ELNS1_3repE0EEENS1_30default_config_static_selectorELNS0_4arch9wavefront6targetE1EEEvT1_.uses_vcc, 0
	.set _ZN7rocprim17ROCPRIM_400000_NS6detail17trampoline_kernelINS0_14default_configENS1_25partition_config_selectorILNS1_17partition_subalgoE9EllbEEZZNS1_14partition_implILS5_9ELb0ES3_jPlS8_PNS0_10empty_typeENS0_5tupleIJS8_S9_EEENSB_IJS8_SA_EEENS0_18inequality_wrapperIZN2at6native12_GLOBAL__N_124unique_dim_cuda_templateIjEESt5tupleIJNSF_6TensorESK_SK_EERKSK_lbbbEUlllE0_EEPmJS9_EEE10hipError_tPvRmT3_T4_T5_T6_T7_T9_mT8_P12ihipStream_tbDpT10_ENKUlT_T0_E_clISt17integral_constantIbLb1EES1A_EEDaS15_S16_EUlS15_E_NS1_11comp_targetILNS1_3genE9ELNS1_11target_archE1100ELNS1_3gpuE3ELNS1_3repE0EEENS1_30default_config_static_selectorELNS0_4arch9wavefront6targetE1EEEvT1_.uses_flat_scratch, 0
	.set _ZN7rocprim17ROCPRIM_400000_NS6detail17trampoline_kernelINS0_14default_configENS1_25partition_config_selectorILNS1_17partition_subalgoE9EllbEEZZNS1_14partition_implILS5_9ELb0ES3_jPlS8_PNS0_10empty_typeENS0_5tupleIJS8_S9_EEENSB_IJS8_SA_EEENS0_18inequality_wrapperIZN2at6native12_GLOBAL__N_124unique_dim_cuda_templateIjEESt5tupleIJNSF_6TensorESK_SK_EERKSK_lbbbEUlllE0_EEPmJS9_EEE10hipError_tPvRmT3_T4_T5_T6_T7_T9_mT8_P12ihipStream_tbDpT10_ENKUlT_T0_E_clISt17integral_constantIbLb1EES1A_EEDaS15_S16_EUlS15_E_NS1_11comp_targetILNS1_3genE9ELNS1_11target_archE1100ELNS1_3gpuE3ELNS1_3repE0EEENS1_30default_config_static_selectorELNS0_4arch9wavefront6targetE1EEEvT1_.has_dyn_sized_stack, 0
	.set _ZN7rocprim17ROCPRIM_400000_NS6detail17trampoline_kernelINS0_14default_configENS1_25partition_config_selectorILNS1_17partition_subalgoE9EllbEEZZNS1_14partition_implILS5_9ELb0ES3_jPlS8_PNS0_10empty_typeENS0_5tupleIJS8_S9_EEENSB_IJS8_SA_EEENS0_18inequality_wrapperIZN2at6native12_GLOBAL__N_124unique_dim_cuda_templateIjEESt5tupleIJNSF_6TensorESK_SK_EERKSK_lbbbEUlllE0_EEPmJS9_EEE10hipError_tPvRmT3_T4_T5_T6_T7_T9_mT8_P12ihipStream_tbDpT10_ENKUlT_T0_E_clISt17integral_constantIbLb1EES1A_EEDaS15_S16_EUlS15_E_NS1_11comp_targetILNS1_3genE9ELNS1_11target_archE1100ELNS1_3gpuE3ELNS1_3repE0EEENS1_30default_config_static_selectorELNS0_4arch9wavefront6targetE1EEEvT1_.has_recursion, 0
	.set _ZN7rocprim17ROCPRIM_400000_NS6detail17trampoline_kernelINS0_14default_configENS1_25partition_config_selectorILNS1_17partition_subalgoE9EllbEEZZNS1_14partition_implILS5_9ELb0ES3_jPlS8_PNS0_10empty_typeENS0_5tupleIJS8_S9_EEENSB_IJS8_SA_EEENS0_18inequality_wrapperIZN2at6native12_GLOBAL__N_124unique_dim_cuda_templateIjEESt5tupleIJNSF_6TensorESK_SK_EERKSK_lbbbEUlllE0_EEPmJS9_EEE10hipError_tPvRmT3_T4_T5_T6_T7_T9_mT8_P12ihipStream_tbDpT10_ENKUlT_T0_E_clISt17integral_constantIbLb1EES1A_EEDaS15_S16_EUlS15_E_NS1_11comp_targetILNS1_3genE9ELNS1_11target_archE1100ELNS1_3gpuE3ELNS1_3repE0EEENS1_30default_config_static_selectorELNS0_4arch9wavefront6targetE1EEEvT1_.has_indirect_call, 0
	.section	.AMDGPU.csdata,"",@progbits
; Kernel info:
; codeLenInByte = 0
; TotalNumSgprs: 6
; NumVgprs: 0
; NumAgprs: 0
; TotalNumVgprs: 0
; ScratchSize: 0
; MemoryBound: 0
; FloatMode: 240
; IeeeMode: 1
; LDSByteSize: 0 bytes/workgroup (compile time only)
; SGPRBlocks: 0
; VGPRBlocks: 0
; NumSGPRsForWavesPerEU: 6
; NumVGPRsForWavesPerEU: 1
; AccumOffset: 4
; Occupancy: 8
; WaveLimiterHint : 0
; COMPUTE_PGM_RSRC2:SCRATCH_EN: 0
; COMPUTE_PGM_RSRC2:USER_SGPR: 2
; COMPUTE_PGM_RSRC2:TRAP_HANDLER: 0
; COMPUTE_PGM_RSRC2:TGID_X_EN: 1
; COMPUTE_PGM_RSRC2:TGID_Y_EN: 0
; COMPUTE_PGM_RSRC2:TGID_Z_EN: 0
; COMPUTE_PGM_RSRC2:TIDIG_COMP_CNT: 0
; COMPUTE_PGM_RSRC3_GFX90A:ACCUM_OFFSET: 0
; COMPUTE_PGM_RSRC3_GFX90A:TG_SPLIT: 0
	.section	.text._ZN7rocprim17ROCPRIM_400000_NS6detail17trampoline_kernelINS0_14default_configENS1_25partition_config_selectorILNS1_17partition_subalgoE9EllbEEZZNS1_14partition_implILS5_9ELb0ES3_jPlS8_PNS0_10empty_typeENS0_5tupleIJS8_S9_EEENSB_IJS8_SA_EEENS0_18inequality_wrapperIZN2at6native12_GLOBAL__N_124unique_dim_cuda_templateIjEESt5tupleIJNSF_6TensorESK_SK_EERKSK_lbbbEUlllE0_EEPmJS9_EEE10hipError_tPvRmT3_T4_T5_T6_T7_T9_mT8_P12ihipStream_tbDpT10_ENKUlT_T0_E_clISt17integral_constantIbLb1EES1A_EEDaS15_S16_EUlS15_E_NS1_11comp_targetILNS1_3genE8ELNS1_11target_archE1030ELNS1_3gpuE2ELNS1_3repE0EEENS1_30default_config_static_selectorELNS0_4arch9wavefront6targetE1EEEvT1_,"axG",@progbits,_ZN7rocprim17ROCPRIM_400000_NS6detail17trampoline_kernelINS0_14default_configENS1_25partition_config_selectorILNS1_17partition_subalgoE9EllbEEZZNS1_14partition_implILS5_9ELb0ES3_jPlS8_PNS0_10empty_typeENS0_5tupleIJS8_S9_EEENSB_IJS8_SA_EEENS0_18inequality_wrapperIZN2at6native12_GLOBAL__N_124unique_dim_cuda_templateIjEESt5tupleIJNSF_6TensorESK_SK_EERKSK_lbbbEUlllE0_EEPmJS9_EEE10hipError_tPvRmT3_T4_T5_T6_T7_T9_mT8_P12ihipStream_tbDpT10_ENKUlT_T0_E_clISt17integral_constantIbLb1EES1A_EEDaS15_S16_EUlS15_E_NS1_11comp_targetILNS1_3genE8ELNS1_11target_archE1030ELNS1_3gpuE2ELNS1_3repE0EEENS1_30default_config_static_selectorELNS0_4arch9wavefront6targetE1EEEvT1_,comdat
	.globl	_ZN7rocprim17ROCPRIM_400000_NS6detail17trampoline_kernelINS0_14default_configENS1_25partition_config_selectorILNS1_17partition_subalgoE9EllbEEZZNS1_14partition_implILS5_9ELb0ES3_jPlS8_PNS0_10empty_typeENS0_5tupleIJS8_S9_EEENSB_IJS8_SA_EEENS0_18inequality_wrapperIZN2at6native12_GLOBAL__N_124unique_dim_cuda_templateIjEESt5tupleIJNSF_6TensorESK_SK_EERKSK_lbbbEUlllE0_EEPmJS9_EEE10hipError_tPvRmT3_T4_T5_T6_T7_T9_mT8_P12ihipStream_tbDpT10_ENKUlT_T0_E_clISt17integral_constantIbLb1EES1A_EEDaS15_S16_EUlS15_E_NS1_11comp_targetILNS1_3genE8ELNS1_11target_archE1030ELNS1_3gpuE2ELNS1_3repE0EEENS1_30default_config_static_selectorELNS0_4arch9wavefront6targetE1EEEvT1_ ; -- Begin function _ZN7rocprim17ROCPRIM_400000_NS6detail17trampoline_kernelINS0_14default_configENS1_25partition_config_selectorILNS1_17partition_subalgoE9EllbEEZZNS1_14partition_implILS5_9ELb0ES3_jPlS8_PNS0_10empty_typeENS0_5tupleIJS8_S9_EEENSB_IJS8_SA_EEENS0_18inequality_wrapperIZN2at6native12_GLOBAL__N_124unique_dim_cuda_templateIjEESt5tupleIJNSF_6TensorESK_SK_EERKSK_lbbbEUlllE0_EEPmJS9_EEE10hipError_tPvRmT3_T4_T5_T6_T7_T9_mT8_P12ihipStream_tbDpT10_ENKUlT_T0_E_clISt17integral_constantIbLb1EES1A_EEDaS15_S16_EUlS15_E_NS1_11comp_targetILNS1_3genE8ELNS1_11target_archE1030ELNS1_3gpuE2ELNS1_3repE0EEENS1_30default_config_static_selectorELNS0_4arch9wavefront6targetE1EEEvT1_
	.p2align	8
	.type	_ZN7rocprim17ROCPRIM_400000_NS6detail17trampoline_kernelINS0_14default_configENS1_25partition_config_selectorILNS1_17partition_subalgoE9EllbEEZZNS1_14partition_implILS5_9ELb0ES3_jPlS8_PNS0_10empty_typeENS0_5tupleIJS8_S9_EEENSB_IJS8_SA_EEENS0_18inequality_wrapperIZN2at6native12_GLOBAL__N_124unique_dim_cuda_templateIjEESt5tupleIJNSF_6TensorESK_SK_EERKSK_lbbbEUlllE0_EEPmJS9_EEE10hipError_tPvRmT3_T4_T5_T6_T7_T9_mT8_P12ihipStream_tbDpT10_ENKUlT_T0_E_clISt17integral_constantIbLb1EES1A_EEDaS15_S16_EUlS15_E_NS1_11comp_targetILNS1_3genE8ELNS1_11target_archE1030ELNS1_3gpuE2ELNS1_3repE0EEENS1_30default_config_static_selectorELNS0_4arch9wavefront6targetE1EEEvT1_,@function
_ZN7rocprim17ROCPRIM_400000_NS6detail17trampoline_kernelINS0_14default_configENS1_25partition_config_selectorILNS1_17partition_subalgoE9EllbEEZZNS1_14partition_implILS5_9ELb0ES3_jPlS8_PNS0_10empty_typeENS0_5tupleIJS8_S9_EEENSB_IJS8_SA_EEENS0_18inequality_wrapperIZN2at6native12_GLOBAL__N_124unique_dim_cuda_templateIjEESt5tupleIJNSF_6TensorESK_SK_EERKSK_lbbbEUlllE0_EEPmJS9_EEE10hipError_tPvRmT3_T4_T5_T6_T7_T9_mT8_P12ihipStream_tbDpT10_ENKUlT_T0_E_clISt17integral_constantIbLb1EES1A_EEDaS15_S16_EUlS15_E_NS1_11comp_targetILNS1_3genE8ELNS1_11target_archE1030ELNS1_3gpuE2ELNS1_3repE0EEENS1_30default_config_static_selectorELNS0_4arch9wavefront6targetE1EEEvT1_: ; @_ZN7rocprim17ROCPRIM_400000_NS6detail17trampoline_kernelINS0_14default_configENS1_25partition_config_selectorILNS1_17partition_subalgoE9EllbEEZZNS1_14partition_implILS5_9ELb0ES3_jPlS8_PNS0_10empty_typeENS0_5tupleIJS8_S9_EEENSB_IJS8_SA_EEENS0_18inequality_wrapperIZN2at6native12_GLOBAL__N_124unique_dim_cuda_templateIjEESt5tupleIJNSF_6TensorESK_SK_EERKSK_lbbbEUlllE0_EEPmJS9_EEE10hipError_tPvRmT3_T4_T5_T6_T7_T9_mT8_P12ihipStream_tbDpT10_ENKUlT_T0_E_clISt17integral_constantIbLb1EES1A_EEDaS15_S16_EUlS15_E_NS1_11comp_targetILNS1_3genE8ELNS1_11target_archE1030ELNS1_3gpuE2ELNS1_3repE0EEENS1_30default_config_static_selectorELNS0_4arch9wavefront6targetE1EEEvT1_
; %bb.0:
	.section	.rodata,"a",@progbits
	.p2align	6, 0x0
	.amdhsa_kernel _ZN7rocprim17ROCPRIM_400000_NS6detail17trampoline_kernelINS0_14default_configENS1_25partition_config_selectorILNS1_17partition_subalgoE9EllbEEZZNS1_14partition_implILS5_9ELb0ES3_jPlS8_PNS0_10empty_typeENS0_5tupleIJS8_S9_EEENSB_IJS8_SA_EEENS0_18inequality_wrapperIZN2at6native12_GLOBAL__N_124unique_dim_cuda_templateIjEESt5tupleIJNSF_6TensorESK_SK_EERKSK_lbbbEUlllE0_EEPmJS9_EEE10hipError_tPvRmT3_T4_T5_T6_T7_T9_mT8_P12ihipStream_tbDpT10_ENKUlT_T0_E_clISt17integral_constantIbLb1EES1A_EEDaS15_S16_EUlS15_E_NS1_11comp_targetILNS1_3genE8ELNS1_11target_archE1030ELNS1_3gpuE2ELNS1_3repE0EEENS1_30default_config_static_selectorELNS0_4arch9wavefront6targetE1EEEvT1_
		.amdhsa_group_segment_fixed_size 0
		.amdhsa_private_segment_fixed_size 0
		.amdhsa_kernarg_size 136
		.amdhsa_user_sgpr_count 2
		.amdhsa_user_sgpr_dispatch_ptr 0
		.amdhsa_user_sgpr_queue_ptr 0
		.amdhsa_user_sgpr_kernarg_segment_ptr 1
		.amdhsa_user_sgpr_dispatch_id 0
		.amdhsa_user_sgpr_kernarg_preload_length 0
		.amdhsa_user_sgpr_kernarg_preload_offset 0
		.amdhsa_user_sgpr_private_segment_size 0
		.amdhsa_uses_dynamic_stack 0
		.amdhsa_enable_private_segment 0
		.amdhsa_system_sgpr_workgroup_id_x 1
		.amdhsa_system_sgpr_workgroup_id_y 0
		.amdhsa_system_sgpr_workgroup_id_z 0
		.amdhsa_system_sgpr_workgroup_info 0
		.amdhsa_system_vgpr_workitem_id 0
		.amdhsa_next_free_vgpr 1
		.amdhsa_next_free_sgpr 0
		.amdhsa_accum_offset 4
		.amdhsa_reserve_vcc 0
		.amdhsa_float_round_mode_32 0
		.amdhsa_float_round_mode_16_64 0
		.amdhsa_float_denorm_mode_32 3
		.amdhsa_float_denorm_mode_16_64 3
		.amdhsa_dx10_clamp 1
		.amdhsa_ieee_mode 1
		.amdhsa_fp16_overflow 0
		.amdhsa_tg_split 0
		.amdhsa_exception_fp_ieee_invalid_op 0
		.amdhsa_exception_fp_denorm_src 0
		.amdhsa_exception_fp_ieee_div_zero 0
		.amdhsa_exception_fp_ieee_overflow 0
		.amdhsa_exception_fp_ieee_underflow 0
		.amdhsa_exception_fp_ieee_inexact 0
		.amdhsa_exception_int_div_zero 0
	.end_amdhsa_kernel
	.section	.text._ZN7rocprim17ROCPRIM_400000_NS6detail17trampoline_kernelINS0_14default_configENS1_25partition_config_selectorILNS1_17partition_subalgoE9EllbEEZZNS1_14partition_implILS5_9ELb0ES3_jPlS8_PNS0_10empty_typeENS0_5tupleIJS8_S9_EEENSB_IJS8_SA_EEENS0_18inequality_wrapperIZN2at6native12_GLOBAL__N_124unique_dim_cuda_templateIjEESt5tupleIJNSF_6TensorESK_SK_EERKSK_lbbbEUlllE0_EEPmJS9_EEE10hipError_tPvRmT3_T4_T5_T6_T7_T9_mT8_P12ihipStream_tbDpT10_ENKUlT_T0_E_clISt17integral_constantIbLb1EES1A_EEDaS15_S16_EUlS15_E_NS1_11comp_targetILNS1_3genE8ELNS1_11target_archE1030ELNS1_3gpuE2ELNS1_3repE0EEENS1_30default_config_static_selectorELNS0_4arch9wavefront6targetE1EEEvT1_,"axG",@progbits,_ZN7rocprim17ROCPRIM_400000_NS6detail17trampoline_kernelINS0_14default_configENS1_25partition_config_selectorILNS1_17partition_subalgoE9EllbEEZZNS1_14partition_implILS5_9ELb0ES3_jPlS8_PNS0_10empty_typeENS0_5tupleIJS8_S9_EEENSB_IJS8_SA_EEENS0_18inequality_wrapperIZN2at6native12_GLOBAL__N_124unique_dim_cuda_templateIjEESt5tupleIJNSF_6TensorESK_SK_EERKSK_lbbbEUlllE0_EEPmJS9_EEE10hipError_tPvRmT3_T4_T5_T6_T7_T9_mT8_P12ihipStream_tbDpT10_ENKUlT_T0_E_clISt17integral_constantIbLb1EES1A_EEDaS15_S16_EUlS15_E_NS1_11comp_targetILNS1_3genE8ELNS1_11target_archE1030ELNS1_3gpuE2ELNS1_3repE0EEENS1_30default_config_static_selectorELNS0_4arch9wavefront6targetE1EEEvT1_,comdat
.Lfunc_end1588:
	.size	_ZN7rocprim17ROCPRIM_400000_NS6detail17trampoline_kernelINS0_14default_configENS1_25partition_config_selectorILNS1_17partition_subalgoE9EllbEEZZNS1_14partition_implILS5_9ELb0ES3_jPlS8_PNS0_10empty_typeENS0_5tupleIJS8_S9_EEENSB_IJS8_SA_EEENS0_18inequality_wrapperIZN2at6native12_GLOBAL__N_124unique_dim_cuda_templateIjEESt5tupleIJNSF_6TensorESK_SK_EERKSK_lbbbEUlllE0_EEPmJS9_EEE10hipError_tPvRmT3_T4_T5_T6_T7_T9_mT8_P12ihipStream_tbDpT10_ENKUlT_T0_E_clISt17integral_constantIbLb1EES1A_EEDaS15_S16_EUlS15_E_NS1_11comp_targetILNS1_3genE8ELNS1_11target_archE1030ELNS1_3gpuE2ELNS1_3repE0EEENS1_30default_config_static_selectorELNS0_4arch9wavefront6targetE1EEEvT1_, .Lfunc_end1588-_ZN7rocprim17ROCPRIM_400000_NS6detail17trampoline_kernelINS0_14default_configENS1_25partition_config_selectorILNS1_17partition_subalgoE9EllbEEZZNS1_14partition_implILS5_9ELb0ES3_jPlS8_PNS0_10empty_typeENS0_5tupleIJS8_S9_EEENSB_IJS8_SA_EEENS0_18inequality_wrapperIZN2at6native12_GLOBAL__N_124unique_dim_cuda_templateIjEESt5tupleIJNSF_6TensorESK_SK_EERKSK_lbbbEUlllE0_EEPmJS9_EEE10hipError_tPvRmT3_T4_T5_T6_T7_T9_mT8_P12ihipStream_tbDpT10_ENKUlT_T0_E_clISt17integral_constantIbLb1EES1A_EEDaS15_S16_EUlS15_E_NS1_11comp_targetILNS1_3genE8ELNS1_11target_archE1030ELNS1_3gpuE2ELNS1_3repE0EEENS1_30default_config_static_selectorELNS0_4arch9wavefront6targetE1EEEvT1_
                                        ; -- End function
	.set _ZN7rocprim17ROCPRIM_400000_NS6detail17trampoline_kernelINS0_14default_configENS1_25partition_config_selectorILNS1_17partition_subalgoE9EllbEEZZNS1_14partition_implILS5_9ELb0ES3_jPlS8_PNS0_10empty_typeENS0_5tupleIJS8_S9_EEENSB_IJS8_SA_EEENS0_18inequality_wrapperIZN2at6native12_GLOBAL__N_124unique_dim_cuda_templateIjEESt5tupleIJNSF_6TensorESK_SK_EERKSK_lbbbEUlllE0_EEPmJS9_EEE10hipError_tPvRmT3_T4_T5_T6_T7_T9_mT8_P12ihipStream_tbDpT10_ENKUlT_T0_E_clISt17integral_constantIbLb1EES1A_EEDaS15_S16_EUlS15_E_NS1_11comp_targetILNS1_3genE8ELNS1_11target_archE1030ELNS1_3gpuE2ELNS1_3repE0EEENS1_30default_config_static_selectorELNS0_4arch9wavefront6targetE1EEEvT1_.num_vgpr, 0
	.set _ZN7rocprim17ROCPRIM_400000_NS6detail17trampoline_kernelINS0_14default_configENS1_25partition_config_selectorILNS1_17partition_subalgoE9EllbEEZZNS1_14partition_implILS5_9ELb0ES3_jPlS8_PNS0_10empty_typeENS0_5tupleIJS8_S9_EEENSB_IJS8_SA_EEENS0_18inequality_wrapperIZN2at6native12_GLOBAL__N_124unique_dim_cuda_templateIjEESt5tupleIJNSF_6TensorESK_SK_EERKSK_lbbbEUlllE0_EEPmJS9_EEE10hipError_tPvRmT3_T4_T5_T6_T7_T9_mT8_P12ihipStream_tbDpT10_ENKUlT_T0_E_clISt17integral_constantIbLb1EES1A_EEDaS15_S16_EUlS15_E_NS1_11comp_targetILNS1_3genE8ELNS1_11target_archE1030ELNS1_3gpuE2ELNS1_3repE0EEENS1_30default_config_static_selectorELNS0_4arch9wavefront6targetE1EEEvT1_.num_agpr, 0
	.set _ZN7rocprim17ROCPRIM_400000_NS6detail17trampoline_kernelINS0_14default_configENS1_25partition_config_selectorILNS1_17partition_subalgoE9EllbEEZZNS1_14partition_implILS5_9ELb0ES3_jPlS8_PNS0_10empty_typeENS0_5tupleIJS8_S9_EEENSB_IJS8_SA_EEENS0_18inequality_wrapperIZN2at6native12_GLOBAL__N_124unique_dim_cuda_templateIjEESt5tupleIJNSF_6TensorESK_SK_EERKSK_lbbbEUlllE0_EEPmJS9_EEE10hipError_tPvRmT3_T4_T5_T6_T7_T9_mT8_P12ihipStream_tbDpT10_ENKUlT_T0_E_clISt17integral_constantIbLb1EES1A_EEDaS15_S16_EUlS15_E_NS1_11comp_targetILNS1_3genE8ELNS1_11target_archE1030ELNS1_3gpuE2ELNS1_3repE0EEENS1_30default_config_static_selectorELNS0_4arch9wavefront6targetE1EEEvT1_.numbered_sgpr, 0
	.set _ZN7rocprim17ROCPRIM_400000_NS6detail17trampoline_kernelINS0_14default_configENS1_25partition_config_selectorILNS1_17partition_subalgoE9EllbEEZZNS1_14partition_implILS5_9ELb0ES3_jPlS8_PNS0_10empty_typeENS0_5tupleIJS8_S9_EEENSB_IJS8_SA_EEENS0_18inequality_wrapperIZN2at6native12_GLOBAL__N_124unique_dim_cuda_templateIjEESt5tupleIJNSF_6TensorESK_SK_EERKSK_lbbbEUlllE0_EEPmJS9_EEE10hipError_tPvRmT3_T4_T5_T6_T7_T9_mT8_P12ihipStream_tbDpT10_ENKUlT_T0_E_clISt17integral_constantIbLb1EES1A_EEDaS15_S16_EUlS15_E_NS1_11comp_targetILNS1_3genE8ELNS1_11target_archE1030ELNS1_3gpuE2ELNS1_3repE0EEENS1_30default_config_static_selectorELNS0_4arch9wavefront6targetE1EEEvT1_.num_named_barrier, 0
	.set _ZN7rocprim17ROCPRIM_400000_NS6detail17trampoline_kernelINS0_14default_configENS1_25partition_config_selectorILNS1_17partition_subalgoE9EllbEEZZNS1_14partition_implILS5_9ELb0ES3_jPlS8_PNS0_10empty_typeENS0_5tupleIJS8_S9_EEENSB_IJS8_SA_EEENS0_18inequality_wrapperIZN2at6native12_GLOBAL__N_124unique_dim_cuda_templateIjEESt5tupleIJNSF_6TensorESK_SK_EERKSK_lbbbEUlllE0_EEPmJS9_EEE10hipError_tPvRmT3_T4_T5_T6_T7_T9_mT8_P12ihipStream_tbDpT10_ENKUlT_T0_E_clISt17integral_constantIbLb1EES1A_EEDaS15_S16_EUlS15_E_NS1_11comp_targetILNS1_3genE8ELNS1_11target_archE1030ELNS1_3gpuE2ELNS1_3repE0EEENS1_30default_config_static_selectorELNS0_4arch9wavefront6targetE1EEEvT1_.private_seg_size, 0
	.set _ZN7rocprim17ROCPRIM_400000_NS6detail17trampoline_kernelINS0_14default_configENS1_25partition_config_selectorILNS1_17partition_subalgoE9EllbEEZZNS1_14partition_implILS5_9ELb0ES3_jPlS8_PNS0_10empty_typeENS0_5tupleIJS8_S9_EEENSB_IJS8_SA_EEENS0_18inequality_wrapperIZN2at6native12_GLOBAL__N_124unique_dim_cuda_templateIjEESt5tupleIJNSF_6TensorESK_SK_EERKSK_lbbbEUlllE0_EEPmJS9_EEE10hipError_tPvRmT3_T4_T5_T6_T7_T9_mT8_P12ihipStream_tbDpT10_ENKUlT_T0_E_clISt17integral_constantIbLb1EES1A_EEDaS15_S16_EUlS15_E_NS1_11comp_targetILNS1_3genE8ELNS1_11target_archE1030ELNS1_3gpuE2ELNS1_3repE0EEENS1_30default_config_static_selectorELNS0_4arch9wavefront6targetE1EEEvT1_.uses_vcc, 0
	.set _ZN7rocprim17ROCPRIM_400000_NS6detail17trampoline_kernelINS0_14default_configENS1_25partition_config_selectorILNS1_17partition_subalgoE9EllbEEZZNS1_14partition_implILS5_9ELb0ES3_jPlS8_PNS0_10empty_typeENS0_5tupleIJS8_S9_EEENSB_IJS8_SA_EEENS0_18inequality_wrapperIZN2at6native12_GLOBAL__N_124unique_dim_cuda_templateIjEESt5tupleIJNSF_6TensorESK_SK_EERKSK_lbbbEUlllE0_EEPmJS9_EEE10hipError_tPvRmT3_T4_T5_T6_T7_T9_mT8_P12ihipStream_tbDpT10_ENKUlT_T0_E_clISt17integral_constantIbLb1EES1A_EEDaS15_S16_EUlS15_E_NS1_11comp_targetILNS1_3genE8ELNS1_11target_archE1030ELNS1_3gpuE2ELNS1_3repE0EEENS1_30default_config_static_selectorELNS0_4arch9wavefront6targetE1EEEvT1_.uses_flat_scratch, 0
	.set _ZN7rocprim17ROCPRIM_400000_NS6detail17trampoline_kernelINS0_14default_configENS1_25partition_config_selectorILNS1_17partition_subalgoE9EllbEEZZNS1_14partition_implILS5_9ELb0ES3_jPlS8_PNS0_10empty_typeENS0_5tupleIJS8_S9_EEENSB_IJS8_SA_EEENS0_18inequality_wrapperIZN2at6native12_GLOBAL__N_124unique_dim_cuda_templateIjEESt5tupleIJNSF_6TensorESK_SK_EERKSK_lbbbEUlllE0_EEPmJS9_EEE10hipError_tPvRmT3_T4_T5_T6_T7_T9_mT8_P12ihipStream_tbDpT10_ENKUlT_T0_E_clISt17integral_constantIbLb1EES1A_EEDaS15_S16_EUlS15_E_NS1_11comp_targetILNS1_3genE8ELNS1_11target_archE1030ELNS1_3gpuE2ELNS1_3repE0EEENS1_30default_config_static_selectorELNS0_4arch9wavefront6targetE1EEEvT1_.has_dyn_sized_stack, 0
	.set _ZN7rocprim17ROCPRIM_400000_NS6detail17trampoline_kernelINS0_14default_configENS1_25partition_config_selectorILNS1_17partition_subalgoE9EllbEEZZNS1_14partition_implILS5_9ELb0ES3_jPlS8_PNS0_10empty_typeENS0_5tupleIJS8_S9_EEENSB_IJS8_SA_EEENS0_18inequality_wrapperIZN2at6native12_GLOBAL__N_124unique_dim_cuda_templateIjEESt5tupleIJNSF_6TensorESK_SK_EERKSK_lbbbEUlllE0_EEPmJS9_EEE10hipError_tPvRmT3_T4_T5_T6_T7_T9_mT8_P12ihipStream_tbDpT10_ENKUlT_T0_E_clISt17integral_constantIbLb1EES1A_EEDaS15_S16_EUlS15_E_NS1_11comp_targetILNS1_3genE8ELNS1_11target_archE1030ELNS1_3gpuE2ELNS1_3repE0EEENS1_30default_config_static_selectorELNS0_4arch9wavefront6targetE1EEEvT1_.has_recursion, 0
	.set _ZN7rocprim17ROCPRIM_400000_NS6detail17trampoline_kernelINS0_14default_configENS1_25partition_config_selectorILNS1_17partition_subalgoE9EllbEEZZNS1_14partition_implILS5_9ELb0ES3_jPlS8_PNS0_10empty_typeENS0_5tupleIJS8_S9_EEENSB_IJS8_SA_EEENS0_18inequality_wrapperIZN2at6native12_GLOBAL__N_124unique_dim_cuda_templateIjEESt5tupleIJNSF_6TensorESK_SK_EERKSK_lbbbEUlllE0_EEPmJS9_EEE10hipError_tPvRmT3_T4_T5_T6_T7_T9_mT8_P12ihipStream_tbDpT10_ENKUlT_T0_E_clISt17integral_constantIbLb1EES1A_EEDaS15_S16_EUlS15_E_NS1_11comp_targetILNS1_3genE8ELNS1_11target_archE1030ELNS1_3gpuE2ELNS1_3repE0EEENS1_30default_config_static_selectorELNS0_4arch9wavefront6targetE1EEEvT1_.has_indirect_call, 0
	.section	.AMDGPU.csdata,"",@progbits
; Kernel info:
; codeLenInByte = 0
; TotalNumSgprs: 6
; NumVgprs: 0
; NumAgprs: 0
; TotalNumVgprs: 0
; ScratchSize: 0
; MemoryBound: 0
; FloatMode: 240
; IeeeMode: 1
; LDSByteSize: 0 bytes/workgroup (compile time only)
; SGPRBlocks: 0
; VGPRBlocks: 0
; NumSGPRsForWavesPerEU: 6
; NumVGPRsForWavesPerEU: 1
; AccumOffset: 4
; Occupancy: 8
; WaveLimiterHint : 0
; COMPUTE_PGM_RSRC2:SCRATCH_EN: 0
; COMPUTE_PGM_RSRC2:USER_SGPR: 2
; COMPUTE_PGM_RSRC2:TRAP_HANDLER: 0
; COMPUTE_PGM_RSRC2:TGID_X_EN: 1
; COMPUTE_PGM_RSRC2:TGID_Y_EN: 0
; COMPUTE_PGM_RSRC2:TGID_Z_EN: 0
; COMPUTE_PGM_RSRC2:TIDIG_COMP_CNT: 0
; COMPUTE_PGM_RSRC3_GFX90A:ACCUM_OFFSET: 0
; COMPUTE_PGM_RSRC3_GFX90A:TG_SPLIT: 0
	.section	.text._ZN7rocprim17ROCPRIM_400000_NS6detail17trampoline_kernelINS0_14default_configENS1_25partition_config_selectorILNS1_17partition_subalgoE9EllbEEZZNS1_14partition_implILS5_9ELb0ES3_jPlS8_PNS0_10empty_typeENS0_5tupleIJS8_S9_EEENSB_IJS8_SA_EEENS0_18inequality_wrapperIZN2at6native12_GLOBAL__N_124unique_dim_cuda_templateIjEESt5tupleIJNSF_6TensorESK_SK_EERKSK_lbbbEUlllE0_EEPmJS9_EEE10hipError_tPvRmT3_T4_T5_T6_T7_T9_mT8_P12ihipStream_tbDpT10_ENKUlT_T0_E_clISt17integral_constantIbLb1EES19_IbLb0EEEEDaS15_S16_EUlS15_E_NS1_11comp_targetILNS1_3genE0ELNS1_11target_archE4294967295ELNS1_3gpuE0ELNS1_3repE0EEENS1_30default_config_static_selectorELNS0_4arch9wavefront6targetE1EEEvT1_,"axG",@progbits,_ZN7rocprim17ROCPRIM_400000_NS6detail17trampoline_kernelINS0_14default_configENS1_25partition_config_selectorILNS1_17partition_subalgoE9EllbEEZZNS1_14partition_implILS5_9ELb0ES3_jPlS8_PNS0_10empty_typeENS0_5tupleIJS8_S9_EEENSB_IJS8_SA_EEENS0_18inequality_wrapperIZN2at6native12_GLOBAL__N_124unique_dim_cuda_templateIjEESt5tupleIJNSF_6TensorESK_SK_EERKSK_lbbbEUlllE0_EEPmJS9_EEE10hipError_tPvRmT3_T4_T5_T6_T7_T9_mT8_P12ihipStream_tbDpT10_ENKUlT_T0_E_clISt17integral_constantIbLb1EES19_IbLb0EEEEDaS15_S16_EUlS15_E_NS1_11comp_targetILNS1_3genE0ELNS1_11target_archE4294967295ELNS1_3gpuE0ELNS1_3repE0EEENS1_30default_config_static_selectorELNS0_4arch9wavefront6targetE1EEEvT1_,comdat
	.globl	_ZN7rocprim17ROCPRIM_400000_NS6detail17trampoline_kernelINS0_14default_configENS1_25partition_config_selectorILNS1_17partition_subalgoE9EllbEEZZNS1_14partition_implILS5_9ELb0ES3_jPlS8_PNS0_10empty_typeENS0_5tupleIJS8_S9_EEENSB_IJS8_SA_EEENS0_18inequality_wrapperIZN2at6native12_GLOBAL__N_124unique_dim_cuda_templateIjEESt5tupleIJNSF_6TensorESK_SK_EERKSK_lbbbEUlllE0_EEPmJS9_EEE10hipError_tPvRmT3_T4_T5_T6_T7_T9_mT8_P12ihipStream_tbDpT10_ENKUlT_T0_E_clISt17integral_constantIbLb1EES19_IbLb0EEEEDaS15_S16_EUlS15_E_NS1_11comp_targetILNS1_3genE0ELNS1_11target_archE4294967295ELNS1_3gpuE0ELNS1_3repE0EEENS1_30default_config_static_selectorELNS0_4arch9wavefront6targetE1EEEvT1_ ; -- Begin function _ZN7rocprim17ROCPRIM_400000_NS6detail17trampoline_kernelINS0_14default_configENS1_25partition_config_selectorILNS1_17partition_subalgoE9EllbEEZZNS1_14partition_implILS5_9ELb0ES3_jPlS8_PNS0_10empty_typeENS0_5tupleIJS8_S9_EEENSB_IJS8_SA_EEENS0_18inequality_wrapperIZN2at6native12_GLOBAL__N_124unique_dim_cuda_templateIjEESt5tupleIJNSF_6TensorESK_SK_EERKSK_lbbbEUlllE0_EEPmJS9_EEE10hipError_tPvRmT3_T4_T5_T6_T7_T9_mT8_P12ihipStream_tbDpT10_ENKUlT_T0_E_clISt17integral_constantIbLb1EES19_IbLb0EEEEDaS15_S16_EUlS15_E_NS1_11comp_targetILNS1_3genE0ELNS1_11target_archE4294967295ELNS1_3gpuE0ELNS1_3repE0EEENS1_30default_config_static_selectorELNS0_4arch9wavefront6targetE1EEEvT1_
	.p2align	8
	.type	_ZN7rocprim17ROCPRIM_400000_NS6detail17trampoline_kernelINS0_14default_configENS1_25partition_config_selectorILNS1_17partition_subalgoE9EllbEEZZNS1_14partition_implILS5_9ELb0ES3_jPlS8_PNS0_10empty_typeENS0_5tupleIJS8_S9_EEENSB_IJS8_SA_EEENS0_18inequality_wrapperIZN2at6native12_GLOBAL__N_124unique_dim_cuda_templateIjEESt5tupleIJNSF_6TensorESK_SK_EERKSK_lbbbEUlllE0_EEPmJS9_EEE10hipError_tPvRmT3_T4_T5_T6_T7_T9_mT8_P12ihipStream_tbDpT10_ENKUlT_T0_E_clISt17integral_constantIbLb1EES19_IbLb0EEEEDaS15_S16_EUlS15_E_NS1_11comp_targetILNS1_3genE0ELNS1_11target_archE4294967295ELNS1_3gpuE0ELNS1_3repE0EEENS1_30default_config_static_selectorELNS0_4arch9wavefront6targetE1EEEvT1_,@function
_ZN7rocprim17ROCPRIM_400000_NS6detail17trampoline_kernelINS0_14default_configENS1_25partition_config_selectorILNS1_17partition_subalgoE9EllbEEZZNS1_14partition_implILS5_9ELb0ES3_jPlS8_PNS0_10empty_typeENS0_5tupleIJS8_S9_EEENSB_IJS8_SA_EEENS0_18inequality_wrapperIZN2at6native12_GLOBAL__N_124unique_dim_cuda_templateIjEESt5tupleIJNSF_6TensorESK_SK_EERKSK_lbbbEUlllE0_EEPmJS9_EEE10hipError_tPvRmT3_T4_T5_T6_T7_T9_mT8_P12ihipStream_tbDpT10_ENKUlT_T0_E_clISt17integral_constantIbLb1EES19_IbLb0EEEEDaS15_S16_EUlS15_E_NS1_11comp_targetILNS1_3genE0ELNS1_11target_archE4294967295ELNS1_3gpuE0ELNS1_3repE0EEENS1_30default_config_static_selectorELNS0_4arch9wavefront6targetE1EEEvT1_: ; @_ZN7rocprim17ROCPRIM_400000_NS6detail17trampoline_kernelINS0_14default_configENS1_25partition_config_selectorILNS1_17partition_subalgoE9EllbEEZZNS1_14partition_implILS5_9ELb0ES3_jPlS8_PNS0_10empty_typeENS0_5tupleIJS8_S9_EEENSB_IJS8_SA_EEENS0_18inequality_wrapperIZN2at6native12_GLOBAL__N_124unique_dim_cuda_templateIjEESt5tupleIJNSF_6TensorESK_SK_EERKSK_lbbbEUlllE0_EEPmJS9_EEE10hipError_tPvRmT3_T4_T5_T6_T7_T9_mT8_P12ihipStream_tbDpT10_ENKUlT_T0_E_clISt17integral_constantIbLb1EES19_IbLb0EEEEDaS15_S16_EUlS15_E_NS1_11comp_targetILNS1_3genE0ELNS1_11target_archE4294967295ELNS1_3gpuE0ELNS1_3repE0EEENS1_30default_config_static_selectorELNS0_4arch9wavefront6targetE1EEEvT1_
; %bb.0:
	s_endpgm
	.section	.rodata,"a",@progbits
	.p2align	6, 0x0
	.amdhsa_kernel _ZN7rocprim17ROCPRIM_400000_NS6detail17trampoline_kernelINS0_14default_configENS1_25partition_config_selectorILNS1_17partition_subalgoE9EllbEEZZNS1_14partition_implILS5_9ELb0ES3_jPlS8_PNS0_10empty_typeENS0_5tupleIJS8_S9_EEENSB_IJS8_SA_EEENS0_18inequality_wrapperIZN2at6native12_GLOBAL__N_124unique_dim_cuda_templateIjEESt5tupleIJNSF_6TensorESK_SK_EERKSK_lbbbEUlllE0_EEPmJS9_EEE10hipError_tPvRmT3_T4_T5_T6_T7_T9_mT8_P12ihipStream_tbDpT10_ENKUlT_T0_E_clISt17integral_constantIbLb1EES19_IbLb0EEEEDaS15_S16_EUlS15_E_NS1_11comp_targetILNS1_3genE0ELNS1_11target_archE4294967295ELNS1_3gpuE0ELNS1_3repE0EEENS1_30default_config_static_selectorELNS0_4arch9wavefront6targetE1EEEvT1_
		.amdhsa_group_segment_fixed_size 0
		.amdhsa_private_segment_fixed_size 0
		.amdhsa_kernarg_size 120
		.amdhsa_user_sgpr_count 2
		.amdhsa_user_sgpr_dispatch_ptr 0
		.amdhsa_user_sgpr_queue_ptr 0
		.amdhsa_user_sgpr_kernarg_segment_ptr 1
		.amdhsa_user_sgpr_dispatch_id 0
		.amdhsa_user_sgpr_kernarg_preload_length 0
		.amdhsa_user_sgpr_kernarg_preload_offset 0
		.amdhsa_user_sgpr_private_segment_size 0
		.amdhsa_uses_dynamic_stack 0
		.amdhsa_enable_private_segment 0
		.amdhsa_system_sgpr_workgroup_id_x 1
		.amdhsa_system_sgpr_workgroup_id_y 0
		.amdhsa_system_sgpr_workgroup_id_z 0
		.amdhsa_system_sgpr_workgroup_info 0
		.amdhsa_system_vgpr_workitem_id 0
		.amdhsa_next_free_vgpr 1
		.amdhsa_next_free_sgpr 0
		.amdhsa_accum_offset 4
		.amdhsa_reserve_vcc 0
		.amdhsa_float_round_mode_32 0
		.amdhsa_float_round_mode_16_64 0
		.amdhsa_float_denorm_mode_32 3
		.amdhsa_float_denorm_mode_16_64 3
		.amdhsa_dx10_clamp 1
		.amdhsa_ieee_mode 1
		.amdhsa_fp16_overflow 0
		.amdhsa_tg_split 0
		.amdhsa_exception_fp_ieee_invalid_op 0
		.amdhsa_exception_fp_denorm_src 0
		.amdhsa_exception_fp_ieee_div_zero 0
		.amdhsa_exception_fp_ieee_overflow 0
		.amdhsa_exception_fp_ieee_underflow 0
		.amdhsa_exception_fp_ieee_inexact 0
		.amdhsa_exception_int_div_zero 0
	.end_amdhsa_kernel
	.section	.text._ZN7rocprim17ROCPRIM_400000_NS6detail17trampoline_kernelINS0_14default_configENS1_25partition_config_selectorILNS1_17partition_subalgoE9EllbEEZZNS1_14partition_implILS5_9ELb0ES3_jPlS8_PNS0_10empty_typeENS0_5tupleIJS8_S9_EEENSB_IJS8_SA_EEENS0_18inequality_wrapperIZN2at6native12_GLOBAL__N_124unique_dim_cuda_templateIjEESt5tupleIJNSF_6TensorESK_SK_EERKSK_lbbbEUlllE0_EEPmJS9_EEE10hipError_tPvRmT3_T4_T5_T6_T7_T9_mT8_P12ihipStream_tbDpT10_ENKUlT_T0_E_clISt17integral_constantIbLb1EES19_IbLb0EEEEDaS15_S16_EUlS15_E_NS1_11comp_targetILNS1_3genE0ELNS1_11target_archE4294967295ELNS1_3gpuE0ELNS1_3repE0EEENS1_30default_config_static_selectorELNS0_4arch9wavefront6targetE1EEEvT1_,"axG",@progbits,_ZN7rocprim17ROCPRIM_400000_NS6detail17trampoline_kernelINS0_14default_configENS1_25partition_config_selectorILNS1_17partition_subalgoE9EllbEEZZNS1_14partition_implILS5_9ELb0ES3_jPlS8_PNS0_10empty_typeENS0_5tupleIJS8_S9_EEENSB_IJS8_SA_EEENS0_18inequality_wrapperIZN2at6native12_GLOBAL__N_124unique_dim_cuda_templateIjEESt5tupleIJNSF_6TensorESK_SK_EERKSK_lbbbEUlllE0_EEPmJS9_EEE10hipError_tPvRmT3_T4_T5_T6_T7_T9_mT8_P12ihipStream_tbDpT10_ENKUlT_T0_E_clISt17integral_constantIbLb1EES19_IbLb0EEEEDaS15_S16_EUlS15_E_NS1_11comp_targetILNS1_3genE0ELNS1_11target_archE4294967295ELNS1_3gpuE0ELNS1_3repE0EEENS1_30default_config_static_selectorELNS0_4arch9wavefront6targetE1EEEvT1_,comdat
.Lfunc_end1589:
	.size	_ZN7rocprim17ROCPRIM_400000_NS6detail17trampoline_kernelINS0_14default_configENS1_25partition_config_selectorILNS1_17partition_subalgoE9EllbEEZZNS1_14partition_implILS5_9ELb0ES3_jPlS8_PNS0_10empty_typeENS0_5tupleIJS8_S9_EEENSB_IJS8_SA_EEENS0_18inequality_wrapperIZN2at6native12_GLOBAL__N_124unique_dim_cuda_templateIjEESt5tupleIJNSF_6TensorESK_SK_EERKSK_lbbbEUlllE0_EEPmJS9_EEE10hipError_tPvRmT3_T4_T5_T6_T7_T9_mT8_P12ihipStream_tbDpT10_ENKUlT_T0_E_clISt17integral_constantIbLb1EES19_IbLb0EEEEDaS15_S16_EUlS15_E_NS1_11comp_targetILNS1_3genE0ELNS1_11target_archE4294967295ELNS1_3gpuE0ELNS1_3repE0EEENS1_30default_config_static_selectorELNS0_4arch9wavefront6targetE1EEEvT1_, .Lfunc_end1589-_ZN7rocprim17ROCPRIM_400000_NS6detail17trampoline_kernelINS0_14default_configENS1_25partition_config_selectorILNS1_17partition_subalgoE9EllbEEZZNS1_14partition_implILS5_9ELb0ES3_jPlS8_PNS0_10empty_typeENS0_5tupleIJS8_S9_EEENSB_IJS8_SA_EEENS0_18inequality_wrapperIZN2at6native12_GLOBAL__N_124unique_dim_cuda_templateIjEESt5tupleIJNSF_6TensorESK_SK_EERKSK_lbbbEUlllE0_EEPmJS9_EEE10hipError_tPvRmT3_T4_T5_T6_T7_T9_mT8_P12ihipStream_tbDpT10_ENKUlT_T0_E_clISt17integral_constantIbLb1EES19_IbLb0EEEEDaS15_S16_EUlS15_E_NS1_11comp_targetILNS1_3genE0ELNS1_11target_archE4294967295ELNS1_3gpuE0ELNS1_3repE0EEENS1_30default_config_static_selectorELNS0_4arch9wavefront6targetE1EEEvT1_
                                        ; -- End function
	.set _ZN7rocprim17ROCPRIM_400000_NS6detail17trampoline_kernelINS0_14default_configENS1_25partition_config_selectorILNS1_17partition_subalgoE9EllbEEZZNS1_14partition_implILS5_9ELb0ES3_jPlS8_PNS0_10empty_typeENS0_5tupleIJS8_S9_EEENSB_IJS8_SA_EEENS0_18inequality_wrapperIZN2at6native12_GLOBAL__N_124unique_dim_cuda_templateIjEESt5tupleIJNSF_6TensorESK_SK_EERKSK_lbbbEUlllE0_EEPmJS9_EEE10hipError_tPvRmT3_T4_T5_T6_T7_T9_mT8_P12ihipStream_tbDpT10_ENKUlT_T0_E_clISt17integral_constantIbLb1EES19_IbLb0EEEEDaS15_S16_EUlS15_E_NS1_11comp_targetILNS1_3genE0ELNS1_11target_archE4294967295ELNS1_3gpuE0ELNS1_3repE0EEENS1_30default_config_static_selectorELNS0_4arch9wavefront6targetE1EEEvT1_.num_vgpr, 0
	.set _ZN7rocprim17ROCPRIM_400000_NS6detail17trampoline_kernelINS0_14default_configENS1_25partition_config_selectorILNS1_17partition_subalgoE9EllbEEZZNS1_14partition_implILS5_9ELb0ES3_jPlS8_PNS0_10empty_typeENS0_5tupleIJS8_S9_EEENSB_IJS8_SA_EEENS0_18inequality_wrapperIZN2at6native12_GLOBAL__N_124unique_dim_cuda_templateIjEESt5tupleIJNSF_6TensorESK_SK_EERKSK_lbbbEUlllE0_EEPmJS9_EEE10hipError_tPvRmT3_T4_T5_T6_T7_T9_mT8_P12ihipStream_tbDpT10_ENKUlT_T0_E_clISt17integral_constantIbLb1EES19_IbLb0EEEEDaS15_S16_EUlS15_E_NS1_11comp_targetILNS1_3genE0ELNS1_11target_archE4294967295ELNS1_3gpuE0ELNS1_3repE0EEENS1_30default_config_static_selectorELNS0_4arch9wavefront6targetE1EEEvT1_.num_agpr, 0
	.set _ZN7rocprim17ROCPRIM_400000_NS6detail17trampoline_kernelINS0_14default_configENS1_25partition_config_selectorILNS1_17partition_subalgoE9EllbEEZZNS1_14partition_implILS5_9ELb0ES3_jPlS8_PNS0_10empty_typeENS0_5tupleIJS8_S9_EEENSB_IJS8_SA_EEENS0_18inequality_wrapperIZN2at6native12_GLOBAL__N_124unique_dim_cuda_templateIjEESt5tupleIJNSF_6TensorESK_SK_EERKSK_lbbbEUlllE0_EEPmJS9_EEE10hipError_tPvRmT3_T4_T5_T6_T7_T9_mT8_P12ihipStream_tbDpT10_ENKUlT_T0_E_clISt17integral_constantIbLb1EES19_IbLb0EEEEDaS15_S16_EUlS15_E_NS1_11comp_targetILNS1_3genE0ELNS1_11target_archE4294967295ELNS1_3gpuE0ELNS1_3repE0EEENS1_30default_config_static_selectorELNS0_4arch9wavefront6targetE1EEEvT1_.numbered_sgpr, 0
	.set _ZN7rocprim17ROCPRIM_400000_NS6detail17trampoline_kernelINS0_14default_configENS1_25partition_config_selectorILNS1_17partition_subalgoE9EllbEEZZNS1_14partition_implILS5_9ELb0ES3_jPlS8_PNS0_10empty_typeENS0_5tupleIJS8_S9_EEENSB_IJS8_SA_EEENS0_18inequality_wrapperIZN2at6native12_GLOBAL__N_124unique_dim_cuda_templateIjEESt5tupleIJNSF_6TensorESK_SK_EERKSK_lbbbEUlllE0_EEPmJS9_EEE10hipError_tPvRmT3_T4_T5_T6_T7_T9_mT8_P12ihipStream_tbDpT10_ENKUlT_T0_E_clISt17integral_constantIbLb1EES19_IbLb0EEEEDaS15_S16_EUlS15_E_NS1_11comp_targetILNS1_3genE0ELNS1_11target_archE4294967295ELNS1_3gpuE0ELNS1_3repE0EEENS1_30default_config_static_selectorELNS0_4arch9wavefront6targetE1EEEvT1_.num_named_barrier, 0
	.set _ZN7rocprim17ROCPRIM_400000_NS6detail17trampoline_kernelINS0_14default_configENS1_25partition_config_selectorILNS1_17partition_subalgoE9EllbEEZZNS1_14partition_implILS5_9ELb0ES3_jPlS8_PNS0_10empty_typeENS0_5tupleIJS8_S9_EEENSB_IJS8_SA_EEENS0_18inequality_wrapperIZN2at6native12_GLOBAL__N_124unique_dim_cuda_templateIjEESt5tupleIJNSF_6TensorESK_SK_EERKSK_lbbbEUlllE0_EEPmJS9_EEE10hipError_tPvRmT3_T4_T5_T6_T7_T9_mT8_P12ihipStream_tbDpT10_ENKUlT_T0_E_clISt17integral_constantIbLb1EES19_IbLb0EEEEDaS15_S16_EUlS15_E_NS1_11comp_targetILNS1_3genE0ELNS1_11target_archE4294967295ELNS1_3gpuE0ELNS1_3repE0EEENS1_30default_config_static_selectorELNS0_4arch9wavefront6targetE1EEEvT1_.private_seg_size, 0
	.set _ZN7rocprim17ROCPRIM_400000_NS6detail17trampoline_kernelINS0_14default_configENS1_25partition_config_selectorILNS1_17partition_subalgoE9EllbEEZZNS1_14partition_implILS5_9ELb0ES3_jPlS8_PNS0_10empty_typeENS0_5tupleIJS8_S9_EEENSB_IJS8_SA_EEENS0_18inequality_wrapperIZN2at6native12_GLOBAL__N_124unique_dim_cuda_templateIjEESt5tupleIJNSF_6TensorESK_SK_EERKSK_lbbbEUlllE0_EEPmJS9_EEE10hipError_tPvRmT3_T4_T5_T6_T7_T9_mT8_P12ihipStream_tbDpT10_ENKUlT_T0_E_clISt17integral_constantIbLb1EES19_IbLb0EEEEDaS15_S16_EUlS15_E_NS1_11comp_targetILNS1_3genE0ELNS1_11target_archE4294967295ELNS1_3gpuE0ELNS1_3repE0EEENS1_30default_config_static_selectorELNS0_4arch9wavefront6targetE1EEEvT1_.uses_vcc, 0
	.set _ZN7rocprim17ROCPRIM_400000_NS6detail17trampoline_kernelINS0_14default_configENS1_25partition_config_selectorILNS1_17partition_subalgoE9EllbEEZZNS1_14partition_implILS5_9ELb0ES3_jPlS8_PNS0_10empty_typeENS0_5tupleIJS8_S9_EEENSB_IJS8_SA_EEENS0_18inequality_wrapperIZN2at6native12_GLOBAL__N_124unique_dim_cuda_templateIjEESt5tupleIJNSF_6TensorESK_SK_EERKSK_lbbbEUlllE0_EEPmJS9_EEE10hipError_tPvRmT3_T4_T5_T6_T7_T9_mT8_P12ihipStream_tbDpT10_ENKUlT_T0_E_clISt17integral_constantIbLb1EES19_IbLb0EEEEDaS15_S16_EUlS15_E_NS1_11comp_targetILNS1_3genE0ELNS1_11target_archE4294967295ELNS1_3gpuE0ELNS1_3repE0EEENS1_30default_config_static_selectorELNS0_4arch9wavefront6targetE1EEEvT1_.uses_flat_scratch, 0
	.set _ZN7rocprim17ROCPRIM_400000_NS6detail17trampoline_kernelINS0_14default_configENS1_25partition_config_selectorILNS1_17partition_subalgoE9EllbEEZZNS1_14partition_implILS5_9ELb0ES3_jPlS8_PNS0_10empty_typeENS0_5tupleIJS8_S9_EEENSB_IJS8_SA_EEENS0_18inequality_wrapperIZN2at6native12_GLOBAL__N_124unique_dim_cuda_templateIjEESt5tupleIJNSF_6TensorESK_SK_EERKSK_lbbbEUlllE0_EEPmJS9_EEE10hipError_tPvRmT3_T4_T5_T6_T7_T9_mT8_P12ihipStream_tbDpT10_ENKUlT_T0_E_clISt17integral_constantIbLb1EES19_IbLb0EEEEDaS15_S16_EUlS15_E_NS1_11comp_targetILNS1_3genE0ELNS1_11target_archE4294967295ELNS1_3gpuE0ELNS1_3repE0EEENS1_30default_config_static_selectorELNS0_4arch9wavefront6targetE1EEEvT1_.has_dyn_sized_stack, 0
	.set _ZN7rocprim17ROCPRIM_400000_NS6detail17trampoline_kernelINS0_14default_configENS1_25partition_config_selectorILNS1_17partition_subalgoE9EllbEEZZNS1_14partition_implILS5_9ELb0ES3_jPlS8_PNS0_10empty_typeENS0_5tupleIJS8_S9_EEENSB_IJS8_SA_EEENS0_18inequality_wrapperIZN2at6native12_GLOBAL__N_124unique_dim_cuda_templateIjEESt5tupleIJNSF_6TensorESK_SK_EERKSK_lbbbEUlllE0_EEPmJS9_EEE10hipError_tPvRmT3_T4_T5_T6_T7_T9_mT8_P12ihipStream_tbDpT10_ENKUlT_T0_E_clISt17integral_constantIbLb1EES19_IbLb0EEEEDaS15_S16_EUlS15_E_NS1_11comp_targetILNS1_3genE0ELNS1_11target_archE4294967295ELNS1_3gpuE0ELNS1_3repE0EEENS1_30default_config_static_selectorELNS0_4arch9wavefront6targetE1EEEvT1_.has_recursion, 0
	.set _ZN7rocprim17ROCPRIM_400000_NS6detail17trampoline_kernelINS0_14default_configENS1_25partition_config_selectorILNS1_17partition_subalgoE9EllbEEZZNS1_14partition_implILS5_9ELb0ES3_jPlS8_PNS0_10empty_typeENS0_5tupleIJS8_S9_EEENSB_IJS8_SA_EEENS0_18inequality_wrapperIZN2at6native12_GLOBAL__N_124unique_dim_cuda_templateIjEESt5tupleIJNSF_6TensorESK_SK_EERKSK_lbbbEUlllE0_EEPmJS9_EEE10hipError_tPvRmT3_T4_T5_T6_T7_T9_mT8_P12ihipStream_tbDpT10_ENKUlT_T0_E_clISt17integral_constantIbLb1EES19_IbLb0EEEEDaS15_S16_EUlS15_E_NS1_11comp_targetILNS1_3genE0ELNS1_11target_archE4294967295ELNS1_3gpuE0ELNS1_3repE0EEENS1_30default_config_static_selectorELNS0_4arch9wavefront6targetE1EEEvT1_.has_indirect_call, 0
	.section	.AMDGPU.csdata,"",@progbits
; Kernel info:
; codeLenInByte = 4
; TotalNumSgprs: 6
; NumVgprs: 0
; NumAgprs: 0
; TotalNumVgprs: 0
; ScratchSize: 0
; MemoryBound: 0
; FloatMode: 240
; IeeeMode: 1
; LDSByteSize: 0 bytes/workgroup (compile time only)
; SGPRBlocks: 0
; VGPRBlocks: 0
; NumSGPRsForWavesPerEU: 6
; NumVGPRsForWavesPerEU: 1
; AccumOffset: 4
; Occupancy: 8
; WaveLimiterHint : 0
; COMPUTE_PGM_RSRC2:SCRATCH_EN: 0
; COMPUTE_PGM_RSRC2:USER_SGPR: 2
; COMPUTE_PGM_RSRC2:TRAP_HANDLER: 0
; COMPUTE_PGM_RSRC2:TGID_X_EN: 1
; COMPUTE_PGM_RSRC2:TGID_Y_EN: 0
; COMPUTE_PGM_RSRC2:TGID_Z_EN: 0
; COMPUTE_PGM_RSRC2:TIDIG_COMP_CNT: 0
; COMPUTE_PGM_RSRC3_GFX90A:ACCUM_OFFSET: 0
; COMPUTE_PGM_RSRC3_GFX90A:TG_SPLIT: 0
	.section	.text._ZN7rocprim17ROCPRIM_400000_NS6detail17trampoline_kernelINS0_14default_configENS1_25partition_config_selectorILNS1_17partition_subalgoE9EllbEEZZNS1_14partition_implILS5_9ELb0ES3_jPlS8_PNS0_10empty_typeENS0_5tupleIJS8_S9_EEENSB_IJS8_SA_EEENS0_18inequality_wrapperIZN2at6native12_GLOBAL__N_124unique_dim_cuda_templateIjEESt5tupleIJNSF_6TensorESK_SK_EERKSK_lbbbEUlllE0_EEPmJS9_EEE10hipError_tPvRmT3_T4_T5_T6_T7_T9_mT8_P12ihipStream_tbDpT10_ENKUlT_T0_E_clISt17integral_constantIbLb1EES19_IbLb0EEEEDaS15_S16_EUlS15_E_NS1_11comp_targetILNS1_3genE5ELNS1_11target_archE942ELNS1_3gpuE9ELNS1_3repE0EEENS1_30default_config_static_selectorELNS0_4arch9wavefront6targetE1EEEvT1_,"axG",@progbits,_ZN7rocprim17ROCPRIM_400000_NS6detail17trampoline_kernelINS0_14default_configENS1_25partition_config_selectorILNS1_17partition_subalgoE9EllbEEZZNS1_14partition_implILS5_9ELb0ES3_jPlS8_PNS0_10empty_typeENS0_5tupleIJS8_S9_EEENSB_IJS8_SA_EEENS0_18inequality_wrapperIZN2at6native12_GLOBAL__N_124unique_dim_cuda_templateIjEESt5tupleIJNSF_6TensorESK_SK_EERKSK_lbbbEUlllE0_EEPmJS9_EEE10hipError_tPvRmT3_T4_T5_T6_T7_T9_mT8_P12ihipStream_tbDpT10_ENKUlT_T0_E_clISt17integral_constantIbLb1EES19_IbLb0EEEEDaS15_S16_EUlS15_E_NS1_11comp_targetILNS1_3genE5ELNS1_11target_archE942ELNS1_3gpuE9ELNS1_3repE0EEENS1_30default_config_static_selectorELNS0_4arch9wavefront6targetE1EEEvT1_,comdat
	.globl	_ZN7rocprim17ROCPRIM_400000_NS6detail17trampoline_kernelINS0_14default_configENS1_25partition_config_selectorILNS1_17partition_subalgoE9EllbEEZZNS1_14partition_implILS5_9ELb0ES3_jPlS8_PNS0_10empty_typeENS0_5tupleIJS8_S9_EEENSB_IJS8_SA_EEENS0_18inequality_wrapperIZN2at6native12_GLOBAL__N_124unique_dim_cuda_templateIjEESt5tupleIJNSF_6TensorESK_SK_EERKSK_lbbbEUlllE0_EEPmJS9_EEE10hipError_tPvRmT3_T4_T5_T6_T7_T9_mT8_P12ihipStream_tbDpT10_ENKUlT_T0_E_clISt17integral_constantIbLb1EES19_IbLb0EEEEDaS15_S16_EUlS15_E_NS1_11comp_targetILNS1_3genE5ELNS1_11target_archE942ELNS1_3gpuE9ELNS1_3repE0EEENS1_30default_config_static_selectorELNS0_4arch9wavefront6targetE1EEEvT1_ ; -- Begin function _ZN7rocprim17ROCPRIM_400000_NS6detail17trampoline_kernelINS0_14default_configENS1_25partition_config_selectorILNS1_17partition_subalgoE9EllbEEZZNS1_14partition_implILS5_9ELb0ES3_jPlS8_PNS0_10empty_typeENS0_5tupleIJS8_S9_EEENSB_IJS8_SA_EEENS0_18inequality_wrapperIZN2at6native12_GLOBAL__N_124unique_dim_cuda_templateIjEESt5tupleIJNSF_6TensorESK_SK_EERKSK_lbbbEUlllE0_EEPmJS9_EEE10hipError_tPvRmT3_T4_T5_T6_T7_T9_mT8_P12ihipStream_tbDpT10_ENKUlT_T0_E_clISt17integral_constantIbLb1EES19_IbLb0EEEEDaS15_S16_EUlS15_E_NS1_11comp_targetILNS1_3genE5ELNS1_11target_archE942ELNS1_3gpuE9ELNS1_3repE0EEENS1_30default_config_static_selectorELNS0_4arch9wavefront6targetE1EEEvT1_
	.p2align	8
	.type	_ZN7rocprim17ROCPRIM_400000_NS6detail17trampoline_kernelINS0_14default_configENS1_25partition_config_selectorILNS1_17partition_subalgoE9EllbEEZZNS1_14partition_implILS5_9ELb0ES3_jPlS8_PNS0_10empty_typeENS0_5tupleIJS8_S9_EEENSB_IJS8_SA_EEENS0_18inequality_wrapperIZN2at6native12_GLOBAL__N_124unique_dim_cuda_templateIjEESt5tupleIJNSF_6TensorESK_SK_EERKSK_lbbbEUlllE0_EEPmJS9_EEE10hipError_tPvRmT3_T4_T5_T6_T7_T9_mT8_P12ihipStream_tbDpT10_ENKUlT_T0_E_clISt17integral_constantIbLb1EES19_IbLb0EEEEDaS15_S16_EUlS15_E_NS1_11comp_targetILNS1_3genE5ELNS1_11target_archE942ELNS1_3gpuE9ELNS1_3repE0EEENS1_30default_config_static_selectorELNS0_4arch9wavefront6targetE1EEEvT1_,@function
_ZN7rocprim17ROCPRIM_400000_NS6detail17trampoline_kernelINS0_14default_configENS1_25partition_config_selectorILNS1_17partition_subalgoE9EllbEEZZNS1_14partition_implILS5_9ELb0ES3_jPlS8_PNS0_10empty_typeENS0_5tupleIJS8_S9_EEENSB_IJS8_SA_EEENS0_18inequality_wrapperIZN2at6native12_GLOBAL__N_124unique_dim_cuda_templateIjEESt5tupleIJNSF_6TensorESK_SK_EERKSK_lbbbEUlllE0_EEPmJS9_EEE10hipError_tPvRmT3_T4_T5_T6_T7_T9_mT8_P12ihipStream_tbDpT10_ENKUlT_T0_E_clISt17integral_constantIbLb1EES19_IbLb0EEEEDaS15_S16_EUlS15_E_NS1_11comp_targetILNS1_3genE5ELNS1_11target_archE942ELNS1_3gpuE9ELNS1_3repE0EEENS1_30default_config_static_selectorELNS0_4arch9wavefront6targetE1EEEvT1_: ; @_ZN7rocprim17ROCPRIM_400000_NS6detail17trampoline_kernelINS0_14default_configENS1_25partition_config_selectorILNS1_17partition_subalgoE9EllbEEZZNS1_14partition_implILS5_9ELb0ES3_jPlS8_PNS0_10empty_typeENS0_5tupleIJS8_S9_EEENSB_IJS8_SA_EEENS0_18inequality_wrapperIZN2at6native12_GLOBAL__N_124unique_dim_cuda_templateIjEESt5tupleIJNSF_6TensorESK_SK_EERKSK_lbbbEUlllE0_EEPmJS9_EEE10hipError_tPvRmT3_T4_T5_T6_T7_T9_mT8_P12ihipStream_tbDpT10_ENKUlT_T0_E_clISt17integral_constantIbLb1EES19_IbLb0EEEEDaS15_S16_EUlS15_E_NS1_11comp_targetILNS1_3genE5ELNS1_11target_archE942ELNS1_3gpuE9ELNS1_3repE0EEENS1_30default_config_static_selectorELNS0_4arch9wavefront6targetE1EEEvT1_
; %bb.0:
	.section	.rodata,"a",@progbits
	.p2align	6, 0x0
	.amdhsa_kernel _ZN7rocprim17ROCPRIM_400000_NS6detail17trampoline_kernelINS0_14default_configENS1_25partition_config_selectorILNS1_17partition_subalgoE9EllbEEZZNS1_14partition_implILS5_9ELb0ES3_jPlS8_PNS0_10empty_typeENS0_5tupleIJS8_S9_EEENSB_IJS8_SA_EEENS0_18inequality_wrapperIZN2at6native12_GLOBAL__N_124unique_dim_cuda_templateIjEESt5tupleIJNSF_6TensorESK_SK_EERKSK_lbbbEUlllE0_EEPmJS9_EEE10hipError_tPvRmT3_T4_T5_T6_T7_T9_mT8_P12ihipStream_tbDpT10_ENKUlT_T0_E_clISt17integral_constantIbLb1EES19_IbLb0EEEEDaS15_S16_EUlS15_E_NS1_11comp_targetILNS1_3genE5ELNS1_11target_archE942ELNS1_3gpuE9ELNS1_3repE0EEENS1_30default_config_static_selectorELNS0_4arch9wavefront6targetE1EEEvT1_
		.amdhsa_group_segment_fixed_size 0
		.amdhsa_private_segment_fixed_size 0
		.amdhsa_kernarg_size 120
		.amdhsa_user_sgpr_count 2
		.amdhsa_user_sgpr_dispatch_ptr 0
		.amdhsa_user_sgpr_queue_ptr 0
		.amdhsa_user_sgpr_kernarg_segment_ptr 1
		.amdhsa_user_sgpr_dispatch_id 0
		.amdhsa_user_sgpr_kernarg_preload_length 0
		.amdhsa_user_sgpr_kernarg_preload_offset 0
		.amdhsa_user_sgpr_private_segment_size 0
		.amdhsa_uses_dynamic_stack 0
		.amdhsa_enable_private_segment 0
		.amdhsa_system_sgpr_workgroup_id_x 1
		.amdhsa_system_sgpr_workgroup_id_y 0
		.amdhsa_system_sgpr_workgroup_id_z 0
		.amdhsa_system_sgpr_workgroup_info 0
		.amdhsa_system_vgpr_workitem_id 0
		.amdhsa_next_free_vgpr 1
		.amdhsa_next_free_sgpr 0
		.amdhsa_accum_offset 4
		.amdhsa_reserve_vcc 0
		.amdhsa_float_round_mode_32 0
		.amdhsa_float_round_mode_16_64 0
		.amdhsa_float_denorm_mode_32 3
		.amdhsa_float_denorm_mode_16_64 3
		.amdhsa_dx10_clamp 1
		.amdhsa_ieee_mode 1
		.amdhsa_fp16_overflow 0
		.amdhsa_tg_split 0
		.amdhsa_exception_fp_ieee_invalid_op 0
		.amdhsa_exception_fp_denorm_src 0
		.amdhsa_exception_fp_ieee_div_zero 0
		.amdhsa_exception_fp_ieee_overflow 0
		.amdhsa_exception_fp_ieee_underflow 0
		.amdhsa_exception_fp_ieee_inexact 0
		.amdhsa_exception_int_div_zero 0
	.end_amdhsa_kernel
	.section	.text._ZN7rocprim17ROCPRIM_400000_NS6detail17trampoline_kernelINS0_14default_configENS1_25partition_config_selectorILNS1_17partition_subalgoE9EllbEEZZNS1_14partition_implILS5_9ELb0ES3_jPlS8_PNS0_10empty_typeENS0_5tupleIJS8_S9_EEENSB_IJS8_SA_EEENS0_18inequality_wrapperIZN2at6native12_GLOBAL__N_124unique_dim_cuda_templateIjEESt5tupleIJNSF_6TensorESK_SK_EERKSK_lbbbEUlllE0_EEPmJS9_EEE10hipError_tPvRmT3_T4_T5_T6_T7_T9_mT8_P12ihipStream_tbDpT10_ENKUlT_T0_E_clISt17integral_constantIbLb1EES19_IbLb0EEEEDaS15_S16_EUlS15_E_NS1_11comp_targetILNS1_3genE5ELNS1_11target_archE942ELNS1_3gpuE9ELNS1_3repE0EEENS1_30default_config_static_selectorELNS0_4arch9wavefront6targetE1EEEvT1_,"axG",@progbits,_ZN7rocprim17ROCPRIM_400000_NS6detail17trampoline_kernelINS0_14default_configENS1_25partition_config_selectorILNS1_17partition_subalgoE9EllbEEZZNS1_14partition_implILS5_9ELb0ES3_jPlS8_PNS0_10empty_typeENS0_5tupleIJS8_S9_EEENSB_IJS8_SA_EEENS0_18inequality_wrapperIZN2at6native12_GLOBAL__N_124unique_dim_cuda_templateIjEESt5tupleIJNSF_6TensorESK_SK_EERKSK_lbbbEUlllE0_EEPmJS9_EEE10hipError_tPvRmT3_T4_T5_T6_T7_T9_mT8_P12ihipStream_tbDpT10_ENKUlT_T0_E_clISt17integral_constantIbLb1EES19_IbLb0EEEEDaS15_S16_EUlS15_E_NS1_11comp_targetILNS1_3genE5ELNS1_11target_archE942ELNS1_3gpuE9ELNS1_3repE0EEENS1_30default_config_static_selectorELNS0_4arch9wavefront6targetE1EEEvT1_,comdat
.Lfunc_end1590:
	.size	_ZN7rocprim17ROCPRIM_400000_NS6detail17trampoline_kernelINS0_14default_configENS1_25partition_config_selectorILNS1_17partition_subalgoE9EllbEEZZNS1_14partition_implILS5_9ELb0ES3_jPlS8_PNS0_10empty_typeENS0_5tupleIJS8_S9_EEENSB_IJS8_SA_EEENS0_18inequality_wrapperIZN2at6native12_GLOBAL__N_124unique_dim_cuda_templateIjEESt5tupleIJNSF_6TensorESK_SK_EERKSK_lbbbEUlllE0_EEPmJS9_EEE10hipError_tPvRmT3_T4_T5_T6_T7_T9_mT8_P12ihipStream_tbDpT10_ENKUlT_T0_E_clISt17integral_constantIbLb1EES19_IbLb0EEEEDaS15_S16_EUlS15_E_NS1_11comp_targetILNS1_3genE5ELNS1_11target_archE942ELNS1_3gpuE9ELNS1_3repE0EEENS1_30default_config_static_selectorELNS0_4arch9wavefront6targetE1EEEvT1_, .Lfunc_end1590-_ZN7rocprim17ROCPRIM_400000_NS6detail17trampoline_kernelINS0_14default_configENS1_25partition_config_selectorILNS1_17partition_subalgoE9EllbEEZZNS1_14partition_implILS5_9ELb0ES3_jPlS8_PNS0_10empty_typeENS0_5tupleIJS8_S9_EEENSB_IJS8_SA_EEENS0_18inequality_wrapperIZN2at6native12_GLOBAL__N_124unique_dim_cuda_templateIjEESt5tupleIJNSF_6TensorESK_SK_EERKSK_lbbbEUlllE0_EEPmJS9_EEE10hipError_tPvRmT3_T4_T5_T6_T7_T9_mT8_P12ihipStream_tbDpT10_ENKUlT_T0_E_clISt17integral_constantIbLb1EES19_IbLb0EEEEDaS15_S16_EUlS15_E_NS1_11comp_targetILNS1_3genE5ELNS1_11target_archE942ELNS1_3gpuE9ELNS1_3repE0EEENS1_30default_config_static_selectorELNS0_4arch9wavefront6targetE1EEEvT1_
                                        ; -- End function
	.set _ZN7rocprim17ROCPRIM_400000_NS6detail17trampoline_kernelINS0_14default_configENS1_25partition_config_selectorILNS1_17partition_subalgoE9EllbEEZZNS1_14partition_implILS5_9ELb0ES3_jPlS8_PNS0_10empty_typeENS0_5tupleIJS8_S9_EEENSB_IJS8_SA_EEENS0_18inequality_wrapperIZN2at6native12_GLOBAL__N_124unique_dim_cuda_templateIjEESt5tupleIJNSF_6TensorESK_SK_EERKSK_lbbbEUlllE0_EEPmJS9_EEE10hipError_tPvRmT3_T4_T5_T6_T7_T9_mT8_P12ihipStream_tbDpT10_ENKUlT_T0_E_clISt17integral_constantIbLb1EES19_IbLb0EEEEDaS15_S16_EUlS15_E_NS1_11comp_targetILNS1_3genE5ELNS1_11target_archE942ELNS1_3gpuE9ELNS1_3repE0EEENS1_30default_config_static_selectorELNS0_4arch9wavefront6targetE1EEEvT1_.num_vgpr, 0
	.set _ZN7rocprim17ROCPRIM_400000_NS6detail17trampoline_kernelINS0_14default_configENS1_25partition_config_selectorILNS1_17partition_subalgoE9EllbEEZZNS1_14partition_implILS5_9ELb0ES3_jPlS8_PNS0_10empty_typeENS0_5tupleIJS8_S9_EEENSB_IJS8_SA_EEENS0_18inequality_wrapperIZN2at6native12_GLOBAL__N_124unique_dim_cuda_templateIjEESt5tupleIJNSF_6TensorESK_SK_EERKSK_lbbbEUlllE0_EEPmJS9_EEE10hipError_tPvRmT3_T4_T5_T6_T7_T9_mT8_P12ihipStream_tbDpT10_ENKUlT_T0_E_clISt17integral_constantIbLb1EES19_IbLb0EEEEDaS15_S16_EUlS15_E_NS1_11comp_targetILNS1_3genE5ELNS1_11target_archE942ELNS1_3gpuE9ELNS1_3repE0EEENS1_30default_config_static_selectorELNS0_4arch9wavefront6targetE1EEEvT1_.num_agpr, 0
	.set _ZN7rocprim17ROCPRIM_400000_NS6detail17trampoline_kernelINS0_14default_configENS1_25partition_config_selectorILNS1_17partition_subalgoE9EllbEEZZNS1_14partition_implILS5_9ELb0ES3_jPlS8_PNS0_10empty_typeENS0_5tupleIJS8_S9_EEENSB_IJS8_SA_EEENS0_18inequality_wrapperIZN2at6native12_GLOBAL__N_124unique_dim_cuda_templateIjEESt5tupleIJNSF_6TensorESK_SK_EERKSK_lbbbEUlllE0_EEPmJS9_EEE10hipError_tPvRmT3_T4_T5_T6_T7_T9_mT8_P12ihipStream_tbDpT10_ENKUlT_T0_E_clISt17integral_constantIbLb1EES19_IbLb0EEEEDaS15_S16_EUlS15_E_NS1_11comp_targetILNS1_3genE5ELNS1_11target_archE942ELNS1_3gpuE9ELNS1_3repE0EEENS1_30default_config_static_selectorELNS0_4arch9wavefront6targetE1EEEvT1_.numbered_sgpr, 0
	.set _ZN7rocprim17ROCPRIM_400000_NS6detail17trampoline_kernelINS0_14default_configENS1_25partition_config_selectorILNS1_17partition_subalgoE9EllbEEZZNS1_14partition_implILS5_9ELb0ES3_jPlS8_PNS0_10empty_typeENS0_5tupleIJS8_S9_EEENSB_IJS8_SA_EEENS0_18inequality_wrapperIZN2at6native12_GLOBAL__N_124unique_dim_cuda_templateIjEESt5tupleIJNSF_6TensorESK_SK_EERKSK_lbbbEUlllE0_EEPmJS9_EEE10hipError_tPvRmT3_T4_T5_T6_T7_T9_mT8_P12ihipStream_tbDpT10_ENKUlT_T0_E_clISt17integral_constantIbLb1EES19_IbLb0EEEEDaS15_S16_EUlS15_E_NS1_11comp_targetILNS1_3genE5ELNS1_11target_archE942ELNS1_3gpuE9ELNS1_3repE0EEENS1_30default_config_static_selectorELNS0_4arch9wavefront6targetE1EEEvT1_.num_named_barrier, 0
	.set _ZN7rocprim17ROCPRIM_400000_NS6detail17trampoline_kernelINS0_14default_configENS1_25partition_config_selectorILNS1_17partition_subalgoE9EllbEEZZNS1_14partition_implILS5_9ELb0ES3_jPlS8_PNS0_10empty_typeENS0_5tupleIJS8_S9_EEENSB_IJS8_SA_EEENS0_18inequality_wrapperIZN2at6native12_GLOBAL__N_124unique_dim_cuda_templateIjEESt5tupleIJNSF_6TensorESK_SK_EERKSK_lbbbEUlllE0_EEPmJS9_EEE10hipError_tPvRmT3_T4_T5_T6_T7_T9_mT8_P12ihipStream_tbDpT10_ENKUlT_T0_E_clISt17integral_constantIbLb1EES19_IbLb0EEEEDaS15_S16_EUlS15_E_NS1_11comp_targetILNS1_3genE5ELNS1_11target_archE942ELNS1_3gpuE9ELNS1_3repE0EEENS1_30default_config_static_selectorELNS0_4arch9wavefront6targetE1EEEvT1_.private_seg_size, 0
	.set _ZN7rocprim17ROCPRIM_400000_NS6detail17trampoline_kernelINS0_14default_configENS1_25partition_config_selectorILNS1_17partition_subalgoE9EllbEEZZNS1_14partition_implILS5_9ELb0ES3_jPlS8_PNS0_10empty_typeENS0_5tupleIJS8_S9_EEENSB_IJS8_SA_EEENS0_18inequality_wrapperIZN2at6native12_GLOBAL__N_124unique_dim_cuda_templateIjEESt5tupleIJNSF_6TensorESK_SK_EERKSK_lbbbEUlllE0_EEPmJS9_EEE10hipError_tPvRmT3_T4_T5_T6_T7_T9_mT8_P12ihipStream_tbDpT10_ENKUlT_T0_E_clISt17integral_constantIbLb1EES19_IbLb0EEEEDaS15_S16_EUlS15_E_NS1_11comp_targetILNS1_3genE5ELNS1_11target_archE942ELNS1_3gpuE9ELNS1_3repE0EEENS1_30default_config_static_selectorELNS0_4arch9wavefront6targetE1EEEvT1_.uses_vcc, 0
	.set _ZN7rocprim17ROCPRIM_400000_NS6detail17trampoline_kernelINS0_14default_configENS1_25partition_config_selectorILNS1_17partition_subalgoE9EllbEEZZNS1_14partition_implILS5_9ELb0ES3_jPlS8_PNS0_10empty_typeENS0_5tupleIJS8_S9_EEENSB_IJS8_SA_EEENS0_18inequality_wrapperIZN2at6native12_GLOBAL__N_124unique_dim_cuda_templateIjEESt5tupleIJNSF_6TensorESK_SK_EERKSK_lbbbEUlllE0_EEPmJS9_EEE10hipError_tPvRmT3_T4_T5_T6_T7_T9_mT8_P12ihipStream_tbDpT10_ENKUlT_T0_E_clISt17integral_constantIbLb1EES19_IbLb0EEEEDaS15_S16_EUlS15_E_NS1_11comp_targetILNS1_3genE5ELNS1_11target_archE942ELNS1_3gpuE9ELNS1_3repE0EEENS1_30default_config_static_selectorELNS0_4arch9wavefront6targetE1EEEvT1_.uses_flat_scratch, 0
	.set _ZN7rocprim17ROCPRIM_400000_NS6detail17trampoline_kernelINS0_14default_configENS1_25partition_config_selectorILNS1_17partition_subalgoE9EllbEEZZNS1_14partition_implILS5_9ELb0ES3_jPlS8_PNS0_10empty_typeENS0_5tupleIJS8_S9_EEENSB_IJS8_SA_EEENS0_18inequality_wrapperIZN2at6native12_GLOBAL__N_124unique_dim_cuda_templateIjEESt5tupleIJNSF_6TensorESK_SK_EERKSK_lbbbEUlllE0_EEPmJS9_EEE10hipError_tPvRmT3_T4_T5_T6_T7_T9_mT8_P12ihipStream_tbDpT10_ENKUlT_T0_E_clISt17integral_constantIbLb1EES19_IbLb0EEEEDaS15_S16_EUlS15_E_NS1_11comp_targetILNS1_3genE5ELNS1_11target_archE942ELNS1_3gpuE9ELNS1_3repE0EEENS1_30default_config_static_selectorELNS0_4arch9wavefront6targetE1EEEvT1_.has_dyn_sized_stack, 0
	.set _ZN7rocprim17ROCPRIM_400000_NS6detail17trampoline_kernelINS0_14default_configENS1_25partition_config_selectorILNS1_17partition_subalgoE9EllbEEZZNS1_14partition_implILS5_9ELb0ES3_jPlS8_PNS0_10empty_typeENS0_5tupleIJS8_S9_EEENSB_IJS8_SA_EEENS0_18inequality_wrapperIZN2at6native12_GLOBAL__N_124unique_dim_cuda_templateIjEESt5tupleIJNSF_6TensorESK_SK_EERKSK_lbbbEUlllE0_EEPmJS9_EEE10hipError_tPvRmT3_T4_T5_T6_T7_T9_mT8_P12ihipStream_tbDpT10_ENKUlT_T0_E_clISt17integral_constantIbLb1EES19_IbLb0EEEEDaS15_S16_EUlS15_E_NS1_11comp_targetILNS1_3genE5ELNS1_11target_archE942ELNS1_3gpuE9ELNS1_3repE0EEENS1_30default_config_static_selectorELNS0_4arch9wavefront6targetE1EEEvT1_.has_recursion, 0
	.set _ZN7rocprim17ROCPRIM_400000_NS6detail17trampoline_kernelINS0_14default_configENS1_25partition_config_selectorILNS1_17partition_subalgoE9EllbEEZZNS1_14partition_implILS5_9ELb0ES3_jPlS8_PNS0_10empty_typeENS0_5tupleIJS8_S9_EEENSB_IJS8_SA_EEENS0_18inequality_wrapperIZN2at6native12_GLOBAL__N_124unique_dim_cuda_templateIjEESt5tupleIJNSF_6TensorESK_SK_EERKSK_lbbbEUlllE0_EEPmJS9_EEE10hipError_tPvRmT3_T4_T5_T6_T7_T9_mT8_P12ihipStream_tbDpT10_ENKUlT_T0_E_clISt17integral_constantIbLb1EES19_IbLb0EEEEDaS15_S16_EUlS15_E_NS1_11comp_targetILNS1_3genE5ELNS1_11target_archE942ELNS1_3gpuE9ELNS1_3repE0EEENS1_30default_config_static_selectorELNS0_4arch9wavefront6targetE1EEEvT1_.has_indirect_call, 0
	.section	.AMDGPU.csdata,"",@progbits
; Kernel info:
; codeLenInByte = 0
; TotalNumSgprs: 6
; NumVgprs: 0
; NumAgprs: 0
; TotalNumVgprs: 0
; ScratchSize: 0
; MemoryBound: 0
; FloatMode: 240
; IeeeMode: 1
; LDSByteSize: 0 bytes/workgroup (compile time only)
; SGPRBlocks: 0
; VGPRBlocks: 0
; NumSGPRsForWavesPerEU: 6
; NumVGPRsForWavesPerEU: 1
; AccumOffset: 4
; Occupancy: 8
; WaveLimiterHint : 0
; COMPUTE_PGM_RSRC2:SCRATCH_EN: 0
; COMPUTE_PGM_RSRC2:USER_SGPR: 2
; COMPUTE_PGM_RSRC2:TRAP_HANDLER: 0
; COMPUTE_PGM_RSRC2:TGID_X_EN: 1
; COMPUTE_PGM_RSRC2:TGID_Y_EN: 0
; COMPUTE_PGM_RSRC2:TGID_Z_EN: 0
; COMPUTE_PGM_RSRC2:TIDIG_COMP_CNT: 0
; COMPUTE_PGM_RSRC3_GFX90A:ACCUM_OFFSET: 0
; COMPUTE_PGM_RSRC3_GFX90A:TG_SPLIT: 0
	.section	.text._ZN7rocprim17ROCPRIM_400000_NS6detail17trampoline_kernelINS0_14default_configENS1_25partition_config_selectorILNS1_17partition_subalgoE9EllbEEZZNS1_14partition_implILS5_9ELb0ES3_jPlS8_PNS0_10empty_typeENS0_5tupleIJS8_S9_EEENSB_IJS8_SA_EEENS0_18inequality_wrapperIZN2at6native12_GLOBAL__N_124unique_dim_cuda_templateIjEESt5tupleIJNSF_6TensorESK_SK_EERKSK_lbbbEUlllE0_EEPmJS9_EEE10hipError_tPvRmT3_T4_T5_T6_T7_T9_mT8_P12ihipStream_tbDpT10_ENKUlT_T0_E_clISt17integral_constantIbLb1EES19_IbLb0EEEEDaS15_S16_EUlS15_E_NS1_11comp_targetILNS1_3genE4ELNS1_11target_archE910ELNS1_3gpuE8ELNS1_3repE0EEENS1_30default_config_static_selectorELNS0_4arch9wavefront6targetE1EEEvT1_,"axG",@progbits,_ZN7rocprim17ROCPRIM_400000_NS6detail17trampoline_kernelINS0_14default_configENS1_25partition_config_selectorILNS1_17partition_subalgoE9EllbEEZZNS1_14partition_implILS5_9ELb0ES3_jPlS8_PNS0_10empty_typeENS0_5tupleIJS8_S9_EEENSB_IJS8_SA_EEENS0_18inequality_wrapperIZN2at6native12_GLOBAL__N_124unique_dim_cuda_templateIjEESt5tupleIJNSF_6TensorESK_SK_EERKSK_lbbbEUlllE0_EEPmJS9_EEE10hipError_tPvRmT3_T4_T5_T6_T7_T9_mT8_P12ihipStream_tbDpT10_ENKUlT_T0_E_clISt17integral_constantIbLb1EES19_IbLb0EEEEDaS15_S16_EUlS15_E_NS1_11comp_targetILNS1_3genE4ELNS1_11target_archE910ELNS1_3gpuE8ELNS1_3repE0EEENS1_30default_config_static_selectorELNS0_4arch9wavefront6targetE1EEEvT1_,comdat
	.globl	_ZN7rocprim17ROCPRIM_400000_NS6detail17trampoline_kernelINS0_14default_configENS1_25partition_config_selectorILNS1_17partition_subalgoE9EllbEEZZNS1_14partition_implILS5_9ELb0ES3_jPlS8_PNS0_10empty_typeENS0_5tupleIJS8_S9_EEENSB_IJS8_SA_EEENS0_18inequality_wrapperIZN2at6native12_GLOBAL__N_124unique_dim_cuda_templateIjEESt5tupleIJNSF_6TensorESK_SK_EERKSK_lbbbEUlllE0_EEPmJS9_EEE10hipError_tPvRmT3_T4_T5_T6_T7_T9_mT8_P12ihipStream_tbDpT10_ENKUlT_T0_E_clISt17integral_constantIbLb1EES19_IbLb0EEEEDaS15_S16_EUlS15_E_NS1_11comp_targetILNS1_3genE4ELNS1_11target_archE910ELNS1_3gpuE8ELNS1_3repE0EEENS1_30default_config_static_selectorELNS0_4arch9wavefront6targetE1EEEvT1_ ; -- Begin function _ZN7rocprim17ROCPRIM_400000_NS6detail17trampoline_kernelINS0_14default_configENS1_25partition_config_selectorILNS1_17partition_subalgoE9EllbEEZZNS1_14partition_implILS5_9ELb0ES3_jPlS8_PNS0_10empty_typeENS0_5tupleIJS8_S9_EEENSB_IJS8_SA_EEENS0_18inequality_wrapperIZN2at6native12_GLOBAL__N_124unique_dim_cuda_templateIjEESt5tupleIJNSF_6TensorESK_SK_EERKSK_lbbbEUlllE0_EEPmJS9_EEE10hipError_tPvRmT3_T4_T5_T6_T7_T9_mT8_P12ihipStream_tbDpT10_ENKUlT_T0_E_clISt17integral_constantIbLb1EES19_IbLb0EEEEDaS15_S16_EUlS15_E_NS1_11comp_targetILNS1_3genE4ELNS1_11target_archE910ELNS1_3gpuE8ELNS1_3repE0EEENS1_30default_config_static_selectorELNS0_4arch9wavefront6targetE1EEEvT1_
	.p2align	8
	.type	_ZN7rocprim17ROCPRIM_400000_NS6detail17trampoline_kernelINS0_14default_configENS1_25partition_config_selectorILNS1_17partition_subalgoE9EllbEEZZNS1_14partition_implILS5_9ELb0ES3_jPlS8_PNS0_10empty_typeENS0_5tupleIJS8_S9_EEENSB_IJS8_SA_EEENS0_18inequality_wrapperIZN2at6native12_GLOBAL__N_124unique_dim_cuda_templateIjEESt5tupleIJNSF_6TensorESK_SK_EERKSK_lbbbEUlllE0_EEPmJS9_EEE10hipError_tPvRmT3_T4_T5_T6_T7_T9_mT8_P12ihipStream_tbDpT10_ENKUlT_T0_E_clISt17integral_constantIbLb1EES19_IbLb0EEEEDaS15_S16_EUlS15_E_NS1_11comp_targetILNS1_3genE4ELNS1_11target_archE910ELNS1_3gpuE8ELNS1_3repE0EEENS1_30default_config_static_selectorELNS0_4arch9wavefront6targetE1EEEvT1_,@function
_ZN7rocprim17ROCPRIM_400000_NS6detail17trampoline_kernelINS0_14default_configENS1_25partition_config_selectorILNS1_17partition_subalgoE9EllbEEZZNS1_14partition_implILS5_9ELb0ES3_jPlS8_PNS0_10empty_typeENS0_5tupleIJS8_S9_EEENSB_IJS8_SA_EEENS0_18inequality_wrapperIZN2at6native12_GLOBAL__N_124unique_dim_cuda_templateIjEESt5tupleIJNSF_6TensorESK_SK_EERKSK_lbbbEUlllE0_EEPmJS9_EEE10hipError_tPvRmT3_T4_T5_T6_T7_T9_mT8_P12ihipStream_tbDpT10_ENKUlT_T0_E_clISt17integral_constantIbLb1EES19_IbLb0EEEEDaS15_S16_EUlS15_E_NS1_11comp_targetILNS1_3genE4ELNS1_11target_archE910ELNS1_3gpuE8ELNS1_3repE0EEENS1_30default_config_static_selectorELNS0_4arch9wavefront6targetE1EEEvT1_: ; @_ZN7rocprim17ROCPRIM_400000_NS6detail17trampoline_kernelINS0_14default_configENS1_25partition_config_selectorILNS1_17partition_subalgoE9EllbEEZZNS1_14partition_implILS5_9ELb0ES3_jPlS8_PNS0_10empty_typeENS0_5tupleIJS8_S9_EEENSB_IJS8_SA_EEENS0_18inequality_wrapperIZN2at6native12_GLOBAL__N_124unique_dim_cuda_templateIjEESt5tupleIJNSF_6TensorESK_SK_EERKSK_lbbbEUlllE0_EEPmJS9_EEE10hipError_tPvRmT3_T4_T5_T6_T7_T9_mT8_P12ihipStream_tbDpT10_ENKUlT_T0_E_clISt17integral_constantIbLb1EES19_IbLb0EEEEDaS15_S16_EUlS15_E_NS1_11comp_targetILNS1_3genE4ELNS1_11target_archE910ELNS1_3gpuE8ELNS1_3repE0EEENS1_30default_config_static_selectorELNS0_4arch9wavefront6targetE1EEEvT1_
; %bb.0:
	.section	.rodata,"a",@progbits
	.p2align	6, 0x0
	.amdhsa_kernel _ZN7rocprim17ROCPRIM_400000_NS6detail17trampoline_kernelINS0_14default_configENS1_25partition_config_selectorILNS1_17partition_subalgoE9EllbEEZZNS1_14partition_implILS5_9ELb0ES3_jPlS8_PNS0_10empty_typeENS0_5tupleIJS8_S9_EEENSB_IJS8_SA_EEENS0_18inequality_wrapperIZN2at6native12_GLOBAL__N_124unique_dim_cuda_templateIjEESt5tupleIJNSF_6TensorESK_SK_EERKSK_lbbbEUlllE0_EEPmJS9_EEE10hipError_tPvRmT3_T4_T5_T6_T7_T9_mT8_P12ihipStream_tbDpT10_ENKUlT_T0_E_clISt17integral_constantIbLb1EES19_IbLb0EEEEDaS15_S16_EUlS15_E_NS1_11comp_targetILNS1_3genE4ELNS1_11target_archE910ELNS1_3gpuE8ELNS1_3repE0EEENS1_30default_config_static_selectorELNS0_4arch9wavefront6targetE1EEEvT1_
		.amdhsa_group_segment_fixed_size 0
		.amdhsa_private_segment_fixed_size 0
		.amdhsa_kernarg_size 120
		.amdhsa_user_sgpr_count 2
		.amdhsa_user_sgpr_dispatch_ptr 0
		.amdhsa_user_sgpr_queue_ptr 0
		.amdhsa_user_sgpr_kernarg_segment_ptr 1
		.amdhsa_user_sgpr_dispatch_id 0
		.amdhsa_user_sgpr_kernarg_preload_length 0
		.amdhsa_user_sgpr_kernarg_preload_offset 0
		.amdhsa_user_sgpr_private_segment_size 0
		.amdhsa_uses_dynamic_stack 0
		.amdhsa_enable_private_segment 0
		.amdhsa_system_sgpr_workgroup_id_x 1
		.amdhsa_system_sgpr_workgroup_id_y 0
		.amdhsa_system_sgpr_workgroup_id_z 0
		.amdhsa_system_sgpr_workgroup_info 0
		.amdhsa_system_vgpr_workitem_id 0
		.amdhsa_next_free_vgpr 1
		.amdhsa_next_free_sgpr 0
		.amdhsa_accum_offset 4
		.amdhsa_reserve_vcc 0
		.amdhsa_float_round_mode_32 0
		.amdhsa_float_round_mode_16_64 0
		.amdhsa_float_denorm_mode_32 3
		.amdhsa_float_denorm_mode_16_64 3
		.amdhsa_dx10_clamp 1
		.amdhsa_ieee_mode 1
		.amdhsa_fp16_overflow 0
		.amdhsa_tg_split 0
		.amdhsa_exception_fp_ieee_invalid_op 0
		.amdhsa_exception_fp_denorm_src 0
		.amdhsa_exception_fp_ieee_div_zero 0
		.amdhsa_exception_fp_ieee_overflow 0
		.amdhsa_exception_fp_ieee_underflow 0
		.amdhsa_exception_fp_ieee_inexact 0
		.amdhsa_exception_int_div_zero 0
	.end_amdhsa_kernel
	.section	.text._ZN7rocprim17ROCPRIM_400000_NS6detail17trampoline_kernelINS0_14default_configENS1_25partition_config_selectorILNS1_17partition_subalgoE9EllbEEZZNS1_14partition_implILS5_9ELb0ES3_jPlS8_PNS0_10empty_typeENS0_5tupleIJS8_S9_EEENSB_IJS8_SA_EEENS0_18inequality_wrapperIZN2at6native12_GLOBAL__N_124unique_dim_cuda_templateIjEESt5tupleIJNSF_6TensorESK_SK_EERKSK_lbbbEUlllE0_EEPmJS9_EEE10hipError_tPvRmT3_T4_T5_T6_T7_T9_mT8_P12ihipStream_tbDpT10_ENKUlT_T0_E_clISt17integral_constantIbLb1EES19_IbLb0EEEEDaS15_S16_EUlS15_E_NS1_11comp_targetILNS1_3genE4ELNS1_11target_archE910ELNS1_3gpuE8ELNS1_3repE0EEENS1_30default_config_static_selectorELNS0_4arch9wavefront6targetE1EEEvT1_,"axG",@progbits,_ZN7rocprim17ROCPRIM_400000_NS6detail17trampoline_kernelINS0_14default_configENS1_25partition_config_selectorILNS1_17partition_subalgoE9EllbEEZZNS1_14partition_implILS5_9ELb0ES3_jPlS8_PNS0_10empty_typeENS0_5tupleIJS8_S9_EEENSB_IJS8_SA_EEENS0_18inequality_wrapperIZN2at6native12_GLOBAL__N_124unique_dim_cuda_templateIjEESt5tupleIJNSF_6TensorESK_SK_EERKSK_lbbbEUlllE0_EEPmJS9_EEE10hipError_tPvRmT3_T4_T5_T6_T7_T9_mT8_P12ihipStream_tbDpT10_ENKUlT_T0_E_clISt17integral_constantIbLb1EES19_IbLb0EEEEDaS15_S16_EUlS15_E_NS1_11comp_targetILNS1_3genE4ELNS1_11target_archE910ELNS1_3gpuE8ELNS1_3repE0EEENS1_30default_config_static_selectorELNS0_4arch9wavefront6targetE1EEEvT1_,comdat
.Lfunc_end1591:
	.size	_ZN7rocprim17ROCPRIM_400000_NS6detail17trampoline_kernelINS0_14default_configENS1_25partition_config_selectorILNS1_17partition_subalgoE9EllbEEZZNS1_14partition_implILS5_9ELb0ES3_jPlS8_PNS0_10empty_typeENS0_5tupleIJS8_S9_EEENSB_IJS8_SA_EEENS0_18inequality_wrapperIZN2at6native12_GLOBAL__N_124unique_dim_cuda_templateIjEESt5tupleIJNSF_6TensorESK_SK_EERKSK_lbbbEUlllE0_EEPmJS9_EEE10hipError_tPvRmT3_T4_T5_T6_T7_T9_mT8_P12ihipStream_tbDpT10_ENKUlT_T0_E_clISt17integral_constantIbLb1EES19_IbLb0EEEEDaS15_S16_EUlS15_E_NS1_11comp_targetILNS1_3genE4ELNS1_11target_archE910ELNS1_3gpuE8ELNS1_3repE0EEENS1_30default_config_static_selectorELNS0_4arch9wavefront6targetE1EEEvT1_, .Lfunc_end1591-_ZN7rocprim17ROCPRIM_400000_NS6detail17trampoline_kernelINS0_14default_configENS1_25partition_config_selectorILNS1_17partition_subalgoE9EllbEEZZNS1_14partition_implILS5_9ELb0ES3_jPlS8_PNS0_10empty_typeENS0_5tupleIJS8_S9_EEENSB_IJS8_SA_EEENS0_18inequality_wrapperIZN2at6native12_GLOBAL__N_124unique_dim_cuda_templateIjEESt5tupleIJNSF_6TensorESK_SK_EERKSK_lbbbEUlllE0_EEPmJS9_EEE10hipError_tPvRmT3_T4_T5_T6_T7_T9_mT8_P12ihipStream_tbDpT10_ENKUlT_T0_E_clISt17integral_constantIbLb1EES19_IbLb0EEEEDaS15_S16_EUlS15_E_NS1_11comp_targetILNS1_3genE4ELNS1_11target_archE910ELNS1_3gpuE8ELNS1_3repE0EEENS1_30default_config_static_selectorELNS0_4arch9wavefront6targetE1EEEvT1_
                                        ; -- End function
	.set _ZN7rocprim17ROCPRIM_400000_NS6detail17trampoline_kernelINS0_14default_configENS1_25partition_config_selectorILNS1_17partition_subalgoE9EllbEEZZNS1_14partition_implILS5_9ELb0ES3_jPlS8_PNS0_10empty_typeENS0_5tupleIJS8_S9_EEENSB_IJS8_SA_EEENS0_18inequality_wrapperIZN2at6native12_GLOBAL__N_124unique_dim_cuda_templateIjEESt5tupleIJNSF_6TensorESK_SK_EERKSK_lbbbEUlllE0_EEPmJS9_EEE10hipError_tPvRmT3_T4_T5_T6_T7_T9_mT8_P12ihipStream_tbDpT10_ENKUlT_T0_E_clISt17integral_constantIbLb1EES19_IbLb0EEEEDaS15_S16_EUlS15_E_NS1_11comp_targetILNS1_3genE4ELNS1_11target_archE910ELNS1_3gpuE8ELNS1_3repE0EEENS1_30default_config_static_selectorELNS0_4arch9wavefront6targetE1EEEvT1_.num_vgpr, 0
	.set _ZN7rocprim17ROCPRIM_400000_NS6detail17trampoline_kernelINS0_14default_configENS1_25partition_config_selectorILNS1_17partition_subalgoE9EllbEEZZNS1_14partition_implILS5_9ELb0ES3_jPlS8_PNS0_10empty_typeENS0_5tupleIJS8_S9_EEENSB_IJS8_SA_EEENS0_18inequality_wrapperIZN2at6native12_GLOBAL__N_124unique_dim_cuda_templateIjEESt5tupleIJNSF_6TensorESK_SK_EERKSK_lbbbEUlllE0_EEPmJS9_EEE10hipError_tPvRmT3_T4_T5_T6_T7_T9_mT8_P12ihipStream_tbDpT10_ENKUlT_T0_E_clISt17integral_constantIbLb1EES19_IbLb0EEEEDaS15_S16_EUlS15_E_NS1_11comp_targetILNS1_3genE4ELNS1_11target_archE910ELNS1_3gpuE8ELNS1_3repE0EEENS1_30default_config_static_selectorELNS0_4arch9wavefront6targetE1EEEvT1_.num_agpr, 0
	.set _ZN7rocprim17ROCPRIM_400000_NS6detail17trampoline_kernelINS0_14default_configENS1_25partition_config_selectorILNS1_17partition_subalgoE9EllbEEZZNS1_14partition_implILS5_9ELb0ES3_jPlS8_PNS0_10empty_typeENS0_5tupleIJS8_S9_EEENSB_IJS8_SA_EEENS0_18inequality_wrapperIZN2at6native12_GLOBAL__N_124unique_dim_cuda_templateIjEESt5tupleIJNSF_6TensorESK_SK_EERKSK_lbbbEUlllE0_EEPmJS9_EEE10hipError_tPvRmT3_T4_T5_T6_T7_T9_mT8_P12ihipStream_tbDpT10_ENKUlT_T0_E_clISt17integral_constantIbLb1EES19_IbLb0EEEEDaS15_S16_EUlS15_E_NS1_11comp_targetILNS1_3genE4ELNS1_11target_archE910ELNS1_3gpuE8ELNS1_3repE0EEENS1_30default_config_static_selectorELNS0_4arch9wavefront6targetE1EEEvT1_.numbered_sgpr, 0
	.set _ZN7rocprim17ROCPRIM_400000_NS6detail17trampoline_kernelINS0_14default_configENS1_25partition_config_selectorILNS1_17partition_subalgoE9EllbEEZZNS1_14partition_implILS5_9ELb0ES3_jPlS8_PNS0_10empty_typeENS0_5tupleIJS8_S9_EEENSB_IJS8_SA_EEENS0_18inequality_wrapperIZN2at6native12_GLOBAL__N_124unique_dim_cuda_templateIjEESt5tupleIJNSF_6TensorESK_SK_EERKSK_lbbbEUlllE0_EEPmJS9_EEE10hipError_tPvRmT3_T4_T5_T6_T7_T9_mT8_P12ihipStream_tbDpT10_ENKUlT_T0_E_clISt17integral_constantIbLb1EES19_IbLb0EEEEDaS15_S16_EUlS15_E_NS1_11comp_targetILNS1_3genE4ELNS1_11target_archE910ELNS1_3gpuE8ELNS1_3repE0EEENS1_30default_config_static_selectorELNS0_4arch9wavefront6targetE1EEEvT1_.num_named_barrier, 0
	.set _ZN7rocprim17ROCPRIM_400000_NS6detail17trampoline_kernelINS0_14default_configENS1_25partition_config_selectorILNS1_17partition_subalgoE9EllbEEZZNS1_14partition_implILS5_9ELb0ES3_jPlS8_PNS0_10empty_typeENS0_5tupleIJS8_S9_EEENSB_IJS8_SA_EEENS0_18inequality_wrapperIZN2at6native12_GLOBAL__N_124unique_dim_cuda_templateIjEESt5tupleIJNSF_6TensorESK_SK_EERKSK_lbbbEUlllE0_EEPmJS9_EEE10hipError_tPvRmT3_T4_T5_T6_T7_T9_mT8_P12ihipStream_tbDpT10_ENKUlT_T0_E_clISt17integral_constantIbLb1EES19_IbLb0EEEEDaS15_S16_EUlS15_E_NS1_11comp_targetILNS1_3genE4ELNS1_11target_archE910ELNS1_3gpuE8ELNS1_3repE0EEENS1_30default_config_static_selectorELNS0_4arch9wavefront6targetE1EEEvT1_.private_seg_size, 0
	.set _ZN7rocprim17ROCPRIM_400000_NS6detail17trampoline_kernelINS0_14default_configENS1_25partition_config_selectorILNS1_17partition_subalgoE9EllbEEZZNS1_14partition_implILS5_9ELb0ES3_jPlS8_PNS0_10empty_typeENS0_5tupleIJS8_S9_EEENSB_IJS8_SA_EEENS0_18inequality_wrapperIZN2at6native12_GLOBAL__N_124unique_dim_cuda_templateIjEESt5tupleIJNSF_6TensorESK_SK_EERKSK_lbbbEUlllE0_EEPmJS9_EEE10hipError_tPvRmT3_T4_T5_T6_T7_T9_mT8_P12ihipStream_tbDpT10_ENKUlT_T0_E_clISt17integral_constantIbLb1EES19_IbLb0EEEEDaS15_S16_EUlS15_E_NS1_11comp_targetILNS1_3genE4ELNS1_11target_archE910ELNS1_3gpuE8ELNS1_3repE0EEENS1_30default_config_static_selectorELNS0_4arch9wavefront6targetE1EEEvT1_.uses_vcc, 0
	.set _ZN7rocprim17ROCPRIM_400000_NS6detail17trampoline_kernelINS0_14default_configENS1_25partition_config_selectorILNS1_17partition_subalgoE9EllbEEZZNS1_14partition_implILS5_9ELb0ES3_jPlS8_PNS0_10empty_typeENS0_5tupleIJS8_S9_EEENSB_IJS8_SA_EEENS0_18inequality_wrapperIZN2at6native12_GLOBAL__N_124unique_dim_cuda_templateIjEESt5tupleIJNSF_6TensorESK_SK_EERKSK_lbbbEUlllE0_EEPmJS9_EEE10hipError_tPvRmT3_T4_T5_T6_T7_T9_mT8_P12ihipStream_tbDpT10_ENKUlT_T0_E_clISt17integral_constantIbLb1EES19_IbLb0EEEEDaS15_S16_EUlS15_E_NS1_11comp_targetILNS1_3genE4ELNS1_11target_archE910ELNS1_3gpuE8ELNS1_3repE0EEENS1_30default_config_static_selectorELNS0_4arch9wavefront6targetE1EEEvT1_.uses_flat_scratch, 0
	.set _ZN7rocprim17ROCPRIM_400000_NS6detail17trampoline_kernelINS0_14default_configENS1_25partition_config_selectorILNS1_17partition_subalgoE9EllbEEZZNS1_14partition_implILS5_9ELb0ES3_jPlS8_PNS0_10empty_typeENS0_5tupleIJS8_S9_EEENSB_IJS8_SA_EEENS0_18inequality_wrapperIZN2at6native12_GLOBAL__N_124unique_dim_cuda_templateIjEESt5tupleIJNSF_6TensorESK_SK_EERKSK_lbbbEUlllE0_EEPmJS9_EEE10hipError_tPvRmT3_T4_T5_T6_T7_T9_mT8_P12ihipStream_tbDpT10_ENKUlT_T0_E_clISt17integral_constantIbLb1EES19_IbLb0EEEEDaS15_S16_EUlS15_E_NS1_11comp_targetILNS1_3genE4ELNS1_11target_archE910ELNS1_3gpuE8ELNS1_3repE0EEENS1_30default_config_static_selectorELNS0_4arch9wavefront6targetE1EEEvT1_.has_dyn_sized_stack, 0
	.set _ZN7rocprim17ROCPRIM_400000_NS6detail17trampoline_kernelINS0_14default_configENS1_25partition_config_selectorILNS1_17partition_subalgoE9EllbEEZZNS1_14partition_implILS5_9ELb0ES3_jPlS8_PNS0_10empty_typeENS0_5tupleIJS8_S9_EEENSB_IJS8_SA_EEENS0_18inequality_wrapperIZN2at6native12_GLOBAL__N_124unique_dim_cuda_templateIjEESt5tupleIJNSF_6TensorESK_SK_EERKSK_lbbbEUlllE0_EEPmJS9_EEE10hipError_tPvRmT3_T4_T5_T6_T7_T9_mT8_P12ihipStream_tbDpT10_ENKUlT_T0_E_clISt17integral_constantIbLb1EES19_IbLb0EEEEDaS15_S16_EUlS15_E_NS1_11comp_targetILNS1_3genE4ELNS1_11target_archE910ELNS1_3gpuE8ELNS1_3repE0EEENS1_30default_config_static_selectorELNS0_4arch9wavefront6targetE1EEEvT1_.has_recursion, 0
	.set _ZN7rocprim17ROCPRIM_400000_NS6detail17trampoline_kernelINS0_14default_configENS1_25partition_config_selectorILNS1_17partition_subalgoE9EllbEEZZNS1_14partition_implILS5_9ELb0ES3_jPlS8_PNS0_10empty_typeENS0_5tupleIJS8_S9_EEENSB_IJS8_SA_EEENS0_18inequality_wrapperIZN2at6native12_GLOBAL__N_124unique_dim_cuda_templateIjEESt5tupleIJNSF_6TensorESK_SK_EERKSK_lbbbEUlllE0_EEPmJS9_EEE10hipError_tPvRmT3_T4_T5_T6_T7_T9_mT8_P12ihipStream_tbDpT10_ENKUlT_T0_E_clISt17integral_constantIbLb1EES19_IbLb0EEEEDaS15_S16_EUlS15_E_NS1_11comp_targetILNS1_3genE4ELNS1_11target_archE910ELNS1_3gpuE8ELNS1_3repE0EEENS1_30default_config_static_selectorELNS0_4arch9wavefront6targetE1EEEvT1_.has_indirect_call, 0
	.section	.AMDGPU.csdata,"",@progbits
; Kernel info:
; codeLenInByte = 0
; TotalNumSgprs: 6
; NumVgprs: 0
; NumAgprs: 0
; TotalNumVgprs: 0
; ScratchSize: 0
; MemoryBound: 0
; FloatMode: 240
; IeeeMode: 1
; LDSByteSize: 0 bytes/workgroup (compile time only)
; SGPRBlocks: 0
; VGPRBlocks: 0
; NumSGPRsForWavesPerEU: 6
; NumVGPRsForWavesPerEU: 1
; AccumOffset: 4
; Occupancy: 8
; WaveLimiterHint : 0
; COMPUTE_PGM_RSRC2:SCRATCH_EN: 0
; COMPUTE_PGM_RSRC2:USER_SGPR: 2
; COMPUTE_PGM_RSRC2:TRAP_HANDLER: 0
; COMPUTE_PGM_RSRC2:TGID_X_EN: 1
; COMPUTE_PGM_RSRC2:TGID_Y_EN: 0
; COMPUTE_PGM_RSRC2:TGID_Z_EN: 0
; COMPUTE_PGM_RSRC2:TIDIG_COMP_CNT: 0
; COMPUTE_PGM_RSRC3_GFX90A:ACCUM_OFFSET: 0
; COMPUTE_PGM_RSRC3_GFX90A:TG_SPLIT: 0
	.section	.text._ZN7rocprim17ROCPRIM_400000_NS6detail17trampoline_kernelINS0_14default_configENS1_25partition_config_selectorILNS1_17partition_subalgoE9EllbEEZZNS1_14partition_implILS5_9ELb0ES3_jPlS8_PNS0_10empty_typeENS0_5tupleIJS8_S9_EEENSB_IJS8_SA_EEENS0_18inequality_wrapperIZN2at6native12_GLOBAL__N_124unique_dim_cuda_templateIjEESt5tupleIJNSF_6TensorESK_SK_EERKSK_lbbbEUlllE0_EEPmJS9_EEE10hipError_tPvRmT3_T4_T5_T6_T7_T9_mT8_P12ihipStream_tbDpT10_ENKUlT_T0_E_clISt17integral_constantIbLb1EES19_IbLb0EEEEDaS15_S16_EUlS15_E_NS1_11comp_targetILNS1_3genE3ELNS1_11target_archE908ELNS1_3gpuE7ELNS1_3repE0EEENS1_30default_config_static_selectorELNS0_4arch9wavefront6targetE1EEEvT1_,"axG",@progbits,_ZN7rocprim17ROCPRIM_400000_NS6detail17trampoline_kernelINS0_14default_configENS1_25partition_config_selectorILNS1_17partition_subalgoE9EllbEEZZNS1_14partition_implILS5_9ELb0ES3_jPlS8_PNS0_10empty_typeENS0_5tupleIJS8_S9_EEENSB_IJS8_SA_EEENS0_18inequality_wrapperIZN2at6native12_GLOBAL__N_124unique_dim_cuda_templateIjEESt5tupleIJNSF_6TensorESK_SK_EERKSK_lbbbEUlllE0_EEPmJS9_EEE10hipError_tPvRmT3_T4_T5_T6_T7_T9_mT8_P12ihipStream_tbDpT10_ENKUlT_T0_E_clISt17integral_constantIbLb1EES19_IbLb0EEEEDaS15_S16_EUlS15_E_NS1_11comp_targetILNS1_3genE3ELNS1_11target_archE908ELNS1_3gpuE7ELNS1_3repE0EEENS1_30default_config_static_selectorELNS0_4arch9wavefront6targetE1EEEvT1_,comdat
	.globl	_ZN7rocprim17ROCPRIM_400000_NS6detail17trampoline_kernelINS0_14default_configENS1_25partition_config_selectorILNS1_17partition_subalgoE9EllbEEZZNS1_14partition_implILS5_9ELb0ES3_jPlS8_PNS0_10empty_typeENS0_5tupleIJS8_S9_EEENSB_IJS8_SA_EEENS0_18inequality_wrapperIZN2at6native12_GLOBAL__N_124unique_dim_cuda_templateIjEESt5tupleIJNSF_6TensorESK_SK_EERKSK_lbbbEUlllE0_EEPmJS9_EEE10hipError_tPvRmT3_T4_T5_T6_T7_T9_mT8_P12ihipStream_tbDpT10_ENKUlT_T0_E_clISt17integral_constantIbLb1EES19_IbLb0EEEEDaS15_S16_EUlS15_E_NS1_11comp_targetILNS1_3genE3ELNS1_11target_archE908ELNS1_3gpuE7ELNS1_3repE0EEENS1_30default_config_static_selectorELNS0_4arch9wavefront6targetE1EEEvT1_ ; -- Begin function _ZN7rocprim17ROCPRIM_400000_NS6detail17trampoline_kernelINS0_14default_configENS1_25partition_config_selectorILNS1_17partition_subalgoE9EllbEEZZNS1_14partition_implILS5_9ELb0ES3_jPlS8_PNS0_10empty_typeENS0_5tupleIJS8_S9_EEENSB_IJS8_SA_EEENS0_18inequality_wrapperIZN2at6native12_GLOBAL__N_124unique_dim_cuda_templateIjEESt5tupleIJNSF_6TensorESK_SK_EERKSK_lbbbEUlllE0_EEPmJS9_EEE10hipError_tPvRmT3_T4_T5_T6_T7_T9_mT8_P12ihipStream_tbDpT10_ENKUlT_T0_E_clISt17integral_constantIbLb1EES19_IbLb0EEEEDaS15_S16_EUlS15_E_NS1_11comp_targetILNS1_3genE3ELNS1_11target_archE908ELNS1_3gpuE7ELNS1_3repE0EEENS1_30default_config_static_selectorELNS0_4arch9wavefront6targetE1EEEvT1_
	.p2align	8
	.type	_ZN7rocprim17ROCPRIM_400000_NS6detail17trampoline_kernelINS0_14default_configENS1_25partition_config_selectorILNS1_17partition_subalgoE9EllbEEZZNS1_14partition_implILS5_9ELb0ES3_jPlS8_PNS0_10empty_typeENS0_5tupleIJS8_S9_EEENSB_IJS8_SA_EEENS0_18inequality_wrapperIZN2at6native12_GLOBAL__N_124unique_dim_cuda_templateIjEESt5tupleIJNSF_6TensorESK_SK_EERKSK_lbbbEUlllE0_EEPmJS9_EEE10hipError_tPvRmT3_T4_T5_T6_T7_T9_mT8_P12ihipStream_tbDpT10_ENKUlT_T0_E_clISt17integral_constantIbLb1EES19_IbLb0EEEEDaS15_S16_EUlS15_E_NS1_11comp_targetILNS1_3genE3ELNS1_11target_archE908ELNS1_3gpuE7ELNS1_3repE0EEENS1_30default_config_static_selectorELNS0_4arch9wavefront6targetE1EEEvT1_,@function
_ZN7rocprim17ROCPRIM_400000_NS6detail17trampoline_kernelINS0_14default_configENS1_25partition_config_selectorILNS1_17partition_subalgoE9EllbEEZZNS1_14partition_implILS5_9ELb0ES3_jPlS8_PNS0_10empty_typeENS0_5tupleIJS8_S9_EEENSB_IJS8_SA_EEENS0_18inequality_wrapperIZN2at6native12_GLOBAL__N_124unique_dim_cuda_templateIjEESt5tupleIJNSF_6TensorESK_SK_EERKSK_lbbbEUlllE0_EEPmJS9_EEE10hipError_tPvRmT3_T4_T5_T6_T7_T9_mT8_P12ihipStream_tbDpT10_ENKUlT_T0_E_clISt17integral_constantIbLb1EES19_IbLb0EEEEDaS15_S16_EUlS15_E_NS1_11comp_targetILNS1_3genE3ELNS1_11target_archE908ELNS1_3gpuE7ELNS1_3repE0EEENS1_30default_config_static_selectorELNS0_4arch9wavefront6targetE1EEEvT1_: ; @_ZN7rocprim17ROCPRIM_400000_NS6detail17trampoline_kernelINS0_14default_configENS1_25partition_config_selectorILNS1_17partition_subalgoE9EllbEEZZNS1_14partition_implILS5_9ELb0ES3_jPlS8_PNS0_10empty_typeENS0_5tupleIJS8_S9_EEENSB_IJS8_SA_EEENS0_18inequality_wrapperIZN2at6native12_GLOBAL__N_124unique_dim_cuda_templateIjEESt5tupleIJNSF_6TensorESK_SK_EERKSK_lbbbEUlllE0_EEPmJS9_EEE10hipError_tPvRmT3_T4_T5_T6_T7_T9_mT8_P12ihipStream_tbDpT10_ENKUlT_T0_E_clISt17integral_constantIbLb1EES19_IbLb0EEEEDaS15_S16_EUlS15_E_NS1_11comp_targetILNS1_3genE3ELNS1_11target_archE908ELNS1_3gpuE7ELNS1_3repE0EEENS1_30default_config_static_selectorELNS0_4arch9wavefront6targetE1EEEvT1_
; %bb.0:
	.section	.rodata,"a",@progbits
	.p2align	6, 0x0
	.amdhsa_kernel _ZN7rocprim17ROCPRIM_400000_NS6detail17trampoline_kernelINS0_14default_configENS1_25partition_config_selectorILNS1_17partition_subalgoE9EllbEEZZNS1_14partition_implILS5_9ELb0ES3_jPlS8_PNS0_10empty_typeENS0_5tupleIJS8_S9_EEENSB_IJS8_SA_EEENS0_18inequality_wrapperIZN2at6native12_GLOBAL__N_124unique_dim_cuda_templateIjEESt5tupleIJNSF_6TensorESK_SK_EERKSK_lbbbEUlllE0_EEPmJS9_EEE10hipError_tPvRmT3_T4_T5_T6_T7_T9_mT8_P12ihipStream_tbDpT10_ENKUlT_T0_E_clISt17integral_constantIbLb1EES19_IbLb0EEEEDaS15_S16_EUlS15_E_NS1_11comp_targetILNS1_3genE3ELNS1_11target_archE908ELNS1_3gpuE7ELNS1_3repE0EEENS1_30default_config_static_selectorELNS0_4arch9wavefront6targetE1EEEvT1_
		.amdhsa_group_segment_fixed_size 0
		.amdhsa_private_segment_fixed_size 0
		.amdhsa_kernarg_size 120
		.amdhsa_user_sgpr_count 2
		.amdhsa_user_sgpr_dispatch_ptr 0
		.amdhsa_user_sgpr_queue_ptr 0
		.amdhsa_user_sgpr_kernarg_segment_ptr 1
		.amdhsa_user_sgpr_dispatch_id 0
		.amdhsa_user_sgpr_kernarg_preload_length 0
		.amdhsa_user_sgpr_kernarg_preload_offset 0
		.amdhsa_user_sgpr_private_segment_size 0
		.amdhsa_uses_dynamic_stack 0
		.amdhsa_enable_private_segment 0
		.amdhsa_system_sgpr_workgroup_id_x 1
		.amdhsa_system_sgpr_workgroup_id_y 0
		.amdhsa_system_sgpr_workgroup_id_z 0
		.amdhsa_system_sgpr_workgroup_info 0
		.amdhsa_system_vgpr_workitem_id 0
		.amdhsa_next_free_vgpr 1
		.amdhsa_next_free_sgpr 0
		.amdhsa_accum_offset 4
		.amdhsa_reserve_vcc 0
		.amdhsa_float_round_mode_32 0
		.amdhsa_float_round_mode_16_64 0
		.amdhsa_float_denorm_mode_32 3
		.amdhsa_float_denorm_mode_16_64 3
		.amdhsa_dx10_clamp 1
		.amdhsa_ieee_mode 1
		.amdhsa_fp16_overflow 0
		.amdhsa_tg_split 0
		.amdhsa_exception_fp_ieee_invalid_op 0
		.amdhsa_exception_fp_denorm_src 0
		.amdhsa_exception_fp_ieee_div_zero 0
		.amdhsa_exception_fp_ieee_overflow 0
		.amdhsa_exception_fp_ieee_underflow 0
		.amdhsa_exception_fp_ieee_inexact 0
		.amdhsa_exception_int_div_zero 0
	.end_amdhsa_kernel
	.section	.text._ZN7rocprim17ROCPRIM_400000_NS6detail17trampoline_kernelINS0_14default_configENS1_25partition_config_selectorILNS1_17partition_subalgoE9EllbEEZZNS1_14partition_implILS5_9ELb0ES3_jPlS8_PNS0_10empty_typeENS0_5tupleIJS8_S9_EEENSB_IJS8_SA_EEENS0_18inequality_wrapperIZN2at6native12_GLOBAL__N_124unique_dim_cuda_templateIjEESt5tupleIJNSF_6TensorESK_SK_EERKSK_lbbbEUlllE0_EEPmJS9_EEE10hipError_tPvRmT3_T4_T5_T6_T7_T9_mT8_P12ihipStream_tbDpT10_ENKUlT_T0_E_clISt17integral_constantIbLb1EES19_IbLb0EEEEDaS15_S16_EUlS15_E_NS1_11comp_targetILNS1_3genE3ELNS1_11target_archE908ELNS1_3gpuE7ELNS1_3repE0EEENS1_30default_config_static_selectorELNS0_4arch9wavefront6targetE1EEEvT1_,"axG",@progbits,_ZN7rocprim17ROCPRIM_400000_NS6detail17trampoline_kernelINS0_14default_configENS1_25partition_config_selectorILNS1_17partition_subalgoE9EllbEEZZNS1_14partition_implILS5_9ELb0ES3_jPlS8_PNS0_10empty_typeENS0_5tupleIJS8_S9_EEENSB_IJS8_SA_EEENS0_18inequality_wrapperIZN2at6native12_GLOBAL__N_124unique_dim_cuda_templateIjEESt5tupleIJNSF_6TensorESK_SK_EERKSK_lbbbEUlllE0_EEPmJS9_EEE10hipError_tPvRmT3_T4_T5_T6_T7_T9_mT8_P12ihipStream_tbDpT10_ENKUlT_T0_E_clISt17integral_constantIbLb1EES19_IbLb0EEEEDaS15_S16_EUlS15_E_NS1_11comp_targetILNS1_3genE3ELNS1_11target_archE908ELNS1_3gpuE7ELNS1_3repE0EEENS1_30default_config_static_selectorELNS0_4arch9wavefront6targetE1EEEvT1_,comdat
.Lfunc_end1592:
	.size	_ZN7rocprim17ROCPRIM_400000_NS6detail17trampoline_kernelINS0_14default_configENS1_25partition_config_selectorILNS1_17partition_subalgoE9EllbEEZZNS1_14partition_implILS5_9ELb0ES3_jPlS8_PNS0_10empty_typeENS0_5tupleIJS8_S9_EEENSB_IJS8_SA_EEENS0_18inequality_wrapperIZN2at6native12_GLOBAL__N_124unique_dim_cuda_templateIjEESt5tupleIJNSF_6TensorESK_SK_EERKSK_lbbbEUlllE0_EEPmJS9_EEE10hipError_tPvRmT3_T4_T5_T6_T7_T9_mT8_P12ihipStream_tbDpT10_ENKUlT_T0_E_clISt17integral_constantIbLb1EES19_IbLb0EEEEDaS15_S16_EUlS15_E_NS1_11comp_targetILNS1_3genE3ELNS1_11target_archE908ELNS1_3gpuE7ELNS1_3repE0EEENS1_30default_config_static_selectorELNS0_4arch9wavefront6targetE1EEEvT1_, .Lfunc_end1592-_ZN7rocprim17ROCPRIM_400000_NS6detail17trampoline_kernelINS0_14default_configENS1_25partition_config_selectorILNS1_17partition_subalgoE9EllbEEZZNS1_14partition_implILS5_9ELb0ES3_jPlS8_PNS0_10empty_typeENS0_5tupleIJS8_S9_EEENSB_IJS8_SA_EEENS0_18inequality_wrapperIZN2at6native12_GLOBAL__N_124unique_dim_cuda_templateIjEESt5tupleIJNSF_6TensorESK_SK_EERKSK_lbbbEUlllE0_EEPmJS9_EEE10hipError_tPvRmT3_T4_T5_T6_T7_T9_mT8_P12ihipStream_tbDpT10_ENKUlT_T0_E_clISt17integral_constantIbLb1EES19_IbLb0EEEEDaS15_S16_EUlS15_E_NS1_11comp_targetILNS1_3genE3ELNS1_11target_archE908ELNS1_3gpuE7ELNS1_3repE0EEENS1_30default_config_static_selectorELNS0_4arch9wavefront6targetE1EEEvT1_
                                        ; -- End function
	.set _ZN7rocprim17ROCPRIM_400000_NS6detail17trampoline_kernelINS0_14default_configENS1_25partition_config_selectorILNS1_17partition_subalgoE9EllbEEZZNS1_14partition_implILS5_9ELb0ES3_jPlS8_PNS0_10empty_typeENS0_5tupleIJS8_S9_EEENSB_IJS8_SA_EEENS0_18inequality_wrapperIZN2at6native12_GLOBAL__N_124unique_dim_cuda_templateIjEESt5tupleIJNSF_6TensorESK_SK_EERKSK_lbbbEUlllE0_EEPmJS9_EEE10hipError_tPvRmT3_T4_T5_T6_T7_T9_mT8_P12ihipStream_tbDpT10_ENKUlT_T0_E_clISt17integral_constantIbLb1EES19_IbLb0EEEEDaS15_S16_EUlS15_E_NS1_11comp_targetILNS1_3genE3ELNS1_11target_archE908ELNS1_3gpuE7ELNS1_3repE0EEENS1_30default_config_static_selectorELNS0_4arch9wavefront6targetE1EEEvT1_.num_vgpr, 0
	.set _ZN7rocprim17ROCPRIM_400000_NS6detail17trampoline_kernelINS0_14default_configENS1_25partition_config_selectorILNS1_17partition_subalgoE9EllbEEZZNS1_14partition_implILS5_9ELb0ES3_jPlS8_PNS0_10empty_typeENS0_5tupleIJS8_S9_EEENSB_IJS8_SA_EEENS0_18inequality_wrapperIZN2at6native12_GLOBAL__N_124unique_dim_cuda_templateIjEESt5tupleIJNSF_6TensorESK_SK_EERKSK_lbbbEUlllE0_EEPmJS9_EEE10hipError_tPvRmT3_T4_T5_T6_T7_T9_mT8_P12ihipStream_tbDpT10_ENKUlT_T0_E_clISt17integral_constantIbLb1EES19_IbLb0EEEEDaS15_S16_EUlS15_E_NS1_11comp_targetILNS1_3genE3ELNS1_11target_archE908ELNS1_3gpuE7ELNS1_3repE0EEENS1_30default_config_static_selectorELNS0_4arch9wavefront6targetE1EEEvT1_.num_agpr, 0
	.set _ZN7rocprim17ROCPRIM_400000_NS6detail17trampoline_kernelINS0_14default_configENS1_25partition_config_selectorILNS1_17partition_subalgoE9EllbEEZZNS1_14partition_implILS5_9ELb0ES3_jPlS8_PNS0_10empty_typeENS0_5tupleIJS8_S9_EEENSB_IJS8_SA_EEENS0_18inequality_wrapperIZN2at6native12_GLOBAL__N_124unique_dim_cuda_templateIjEESt5tupleIJNSF_6TensorESK_SK_EERKSK_lbbbEUlllE0_EEPmJS9_EEE10hipError_tPvRmT3_T4_T5_T6_T7_T9_mT8_P12ihipStream_tbDpT10_ENKUlT_T0_E_clISt17integral_constantIbLb1EES19_IbLb0EEEEDaS15_S16_EUlS15_E_NS1_11comp_targetILNS1_3genE3ELNS1_11target_archE908ELNS1_3gpuE7ELNS1_3repE0EEENS1_30default_config_static_selectorELNS0_4arch9wavefront6targetE1EEEvT1_.numbered_sgpr, 0
	.set _ZN7rocprim17ROCPRIM_400000_NS6detail17trampoline_kernelINS0_14default_configENS1_25partition_config_selectorILNS1_17partition_subalgoE9EllbEEZZNS1_14partition_implILS5_9ELb0ES3_jPlS8_PNS0_10empty_typeENS0_5tupleIJS8_S9_EEENSB_IJS8_SA_EEENS0_18inequality_wrapperIZN2at6native12_GLOBAL__N_124unique_dim_cuda_templateIjEESt5tupleIJNSF_6TensorESK_SK_EERKSK_lbbbEUlllE0_EEPmJS9_EEE10hipError_tPvRmT3_T4_T5_T6_T7_T9_mT8_P12ihipStream_tbDpT10_ENKUlT_T0_E_clISt17integral_constantIbLb1EES19_IbLb0EEEEDaS15_S16_EUlS15_E_NS1_11comp_targetILNS1_3genE3ELNS1_11target_archE908ELNS1_3gpuE7ELNS1_3repE0EEENS1_30default_config_static_selectorELNS0_4arch9wavefront6targetE1EEEvT1_.num_named_barrier, 0
	.set _ZN7rocprim17ROCPRIM_400000_NS6detail17trampoline_kernelINS0_14default_configENS1_25partition_config_selectorILNS1_17partition_subalgoE9EllbEEZZNS1_14partition_implILS5_9ELb0ES3_jPlS8_PNS0_10empty_typeENS0_5tupleIJS8_S9_EEENSB_IJS8_SA_EEENS0_18inequality_wrapperIZN2at6native12_GLOBAL__N_124unique_dim_cuda_templateIjEESt5tupleIJNSF_6TensorESK_SK_EERKSK_lbbbEUlllE0_EEPmJS9_EEE10hipError_tPvRmT3_T4_T5_T6_T7_T9_mT8_P12ihipStream_tbDpT10_ENKUlT_T0_E_clISt17integral_constantIbLb1EES19_IbLb0EEEEDaS15_S16_EUlS15_E_NS1_11comp_targetILNS1_3genE3ELNS1_11target_archE908ELNS1_3gpuE7ELNS1_3repE0EEENS1_30default_config_static_selectorELNS0_4arch9wavefront6targetE1EEEvT1_.private_seg_size, 0
	.set _ZN7rocprim17ROCPRIM_400000_NS6detail17trampoline_kernelINS0_14default_configENS1_25partition_config_selectorILNS1_17partition_subalgoE9EllbEEZZNS1_14partition_implILS5_9ELb0ES3_jPlS8_PNS0_10empty_typeENS0_5tupleIJS8_S9_EEENSB_IJS8_SA_EEENS0_18inequality_wrapperIZN2at6native12_GLOBAL__N_124unique_dim_cuda_templateIjEESt5tupleIJNSF_6TensorESK_SK_EERKSK_lbbbEUlllE0_EEPmJS9_EEE10hipError_tPvRmT3_T4_T5_T6_T7_T9_mT8_P12ihipStream_tbDpT10_ENKUlT_T0_E_clISt17integral_constantIbLb1EES19_IbLb0EEEEDaS15_S16_EUlS15_E_NS1_11comp_targetILNS1_3genE3ELNS1_11target_archE908ELNS1_3gpuE7ELNS1_3repE0EEENS1_30default_config_static_selectorELNS0_4arch9wavefront6targetE1EEEvT1_.uses_vcc, 0
	.set _ZN7rocprim17ROCPRIM_400000_NS6detail17trampoline_kernelINS0_14default_configENS1_25partition_config_selectorILNS1_17partition_subalgoE9EllbEEZZNS1_14partition_implILS5_9ELb0ES3_jPlS8_PNS0_10empty_typeENS0_5tupleIJS8_S9_EEENSB_IJS8_SA_EEENS0_18inequality_wrapperIZN2at6native12_GLOBAL__N_124unique_dim_cuda_templateIjEESt5tupleIJNSF_6TensorESK_SK_EERKSK_lbbbEUlllE0_EEPmJS9_EEE10hipError_tPvRmT3_T4_T5_T6_T7_T9_mT8_P12ihipStream_tbDpT10_ENKUlT_T0_E_clISt17integral_constantIbLb1EES19_IbLb0EEEEDaS15_S16_EUlS15_E_NS1_11comp_targetILNS1_3genE3ELNS1_11target_archE908ELNS1_3gpuE7ELNS1_3repE0EEENS1_30default_config_static_selectorELNS0_4arch9wavefront6targetE1EEEvT1_.uses_flat_scratch, 0
	.set _ZN7rocprim17ROCPRIM_400000_NS6detail17trampoline_kernelINS0_14default_configENS1_25partition_config_selectorILNS1_17partition_subalgoE9EllbEEZZNS1_14partition_implILS5_9ELb0ES3_jPlS8_PNS0_10empty_typeENS0_5tupleIJS8_S9_EEENSB_IJS8_SA_EEENS0_18inequality_wrapperIZN2at6native12_GLOBAL__N_124unique_dim_cuda_templateIjEESt5tupleIJNSF_6TensorESK_SK_EERKSK_lbbbEUlllE0_EEPmJS9_EEE10hipError_tPvRmT3_T4_T5_T6_T7_T9_mT8_P12ihipStream_tbDpT10_ENKUlT_T0_E_clISt17integral_constantIbLb1EES19_IbLb0EEEEDaS15_S16_EUlS15_E_NS1_11comp_targetILNS1_3genE3ELNS1_11target_archE908ELNS1_3gpuE7ELNS1_3repE0EEENS1_30default_config_static_selectorELNS0_4arch9wavefront6targetE1EEEvT1_.has_dyn_sized_stack, 0
	.set _ZN7rocprim17ROCPRIM_400000_NS6detail17trampoline_kernelINS0_14default_configENS1_25partition_config_selectorILNS1_17partition_subalgoE9EllbEEZZNS1_14partition_implILS5_9ELb0ES3_jPlS8_PNS0_10empty_typeENS0_5tupleIJS8_S9_EEENSB_IJS8_SA_EEENS0_18inequality_wrapperIZN2at6native12_GLOBAL__N_124unique_dim_cuda_templateIjEESt5tupleIJNSF_6TensorESK_SK_EERKSK_lbbbEUlllE0_EEPmJS9_EEE10hipError_tPvRmT3_T4_T5_T6_T7_T9_mT8_P12ihipStream_tbDpT10_ENKUlT_T0_E_clISt17integral_constantIbLb1EES19_IbLb0EEEEDaS15_S16_EUlS15_E_NS1_11comp_targetILNS1_3genE3ELNS1_11target_archE908ELNS1_3gpuE7ELNS1_3repE0EEENS1_30default_config_static_selectorELNS0_4arch9wavefront6targetE1EEEvT1_.has_recursion, 0
	.set _ZN7rocprim17ROCPRIM_400000_NS6detail17trampoline_kernelINS0_14default_configENS1_25partition_config_selectorILNS1_17partition_subalgoE9EllbEEZZNS1_14partition_implILS5_9ELb0ES3_jPlS8_PNS0_10empty_typeENS0_5tupleIJS8_S9_EEENSB_IJS8_SA_EEENS0_18inequality_wrapperIZN2at6native12_GLOBAL__N_124unique_dim_cuda_templateIjEESt5tupleIJNSF_6TensorESK_SK_EERKSK_lbbbEUlllE0_EEPmJS9_EEE10hipError_tPvRmT3_T4_T5_T6_T7_T9_mT8_P12ihipStream_tbDpT10_ENKUlT_T0_E_clISt17integral_constantIbLb1EES19_IbLb0EEEEDaS15_S16_EUlS15_E_NS1_11comp_targetILNS1_3genE3ELNS1_11target_archE908ELNS1_3gpuE7ELNS1_3repE0EEENS1_30default_config_static_selectorELNS0_4arch9wavefront6targetE1EEEvT1_.has_indirect_call, 0
	.section	.AMDGPU.csdata,"",@progbits
; Kernel info:
; codeLenInByte = 0
; TotalNumSgprs: 6
; NumVgprs: 0
; NumAgprs: 0
; TotalNumVgprs: 0
; ScratchSize: 0
; MemoryBound: 0
; FloatMode: 240
; IeeeMode: 1
; LDSByteSize: 0 bytes/workgroup (compile time only)
; SGPRBlocks: 0
; VGPRBlocks: 0
; NumSGPRsForWavesPerEU: 6
; NumVGPRsForWavesPerEU: 1
; AccumOffset: 4
; Occupancy: 8
; WaveLimiterHint : 0
; COMPUTE_PGM_RSRC2:SCRATCH_EN: 0
; COMPUTE_PGM_RSRC2:USER_SGPR: 2
; COMPUTE_PGM_RSRC2:TRAP_HANDLER: 0
; COMPUTE_PGM_RSRC2:TGID_X_EN: 1
; COMPUTE_PGM_RSRC2:TGID_Y_EN: 0
; COMPUTE_PGM_RSRC2:TGID_Z_EN: 0
; COMPUTE_PGM_RSRC2:TIDIG_COMP_CNT: 0
; COMPUTE_PGM_RSRC3_GFX90A:ACCUM_OFFSET: 0
; COMPUTE_PGM_RSRC3_GFX90A:TG_SPLIT: 0
	.section	.text._ZN7rocprim17ROCPRIM_400000_NS6detail17trampoline_kernelINS0_14default_configENS1_25partition_config_selectorILNS1_17partition_subalgoE9EllbEEZZNS1_14partition_implILS5_9ELb0ES3_jPlS8_PNS0_10empty_typeENS0_5tupleIJS8_S9_EEENSB_IJS8_SA_EEENS0_18inequality_wrapperIZN2at6native12_GLOBAL__N_124unique_dim_cuda_templateIjEESt5tupleIJNSF_6TensorESK_SK_EERKSK_lbbbEUlllE0_EEPmJS9_EEE10hipError_tPvRmT3_T4_T5_T6_T7_T9_mT8_P12ihipStream_tbDpT10_ENKUlT_T0_E_clISt17integral_constantIbLb1EES19_IbLb0EEEEDaS15_S16_EUlS15_E_NS1_11comp_targetILNS1_3genE2ELNS1_11target_archE906ELNS1_3gpuE6ELNS1_3repE0EEENS1_30default_config_static_selectorELNS0_4arch9wavefront6targetE1EEEvT1_,"axG",@progbits,_ZN7rocprim17ROCPRIM_400000_NS6detail17trampoline_kernelINS0_14default_configENS1_25partition_config_selectorILNS1_17partition_subalgoE9EllbEEZZNS1_14partition_implILS5_9ELb0ES3_jPlS8_PNS0_10empty_typeENS0_5tupleIJS8_S9_EEENSB_IJS8_SA_EEENS0_18inequality_wrapperIZN2at6native12_GLOBAL__N_124unique_dim_cuda_templateIjEESt5tupleIJNSF_6TensorESK_SK_EERKSK_lbbbEUlllE0_EEPmJS9_EEE10hipError_tPvRmT3_T4_T5_T6_T7_T9_mT8_P12ihipStream_tbDpT10_ENKUlT_T0_E_clISt17integral_constantIbLb1EES19_IbLb0EEEEDaS15_S16_EUlS15_E_NS1_11comp_targetILNS1_3genE2ELNS1_11target_archE906ELNS1_3gpuE6ELNS1_3repE0EEENS1_30default_config_static_selectorELNS0_4arch9wavefront6targetE1EEEvT1_,comdat
	.globl	_ZN7rocprim17ROCPRIM_400000_NS6detail17trampoline_kernelINS0_14default_configENS1_25partition_config_selectorILNS1_17partition_subalgoE9EllbEEZZNS1_14partition_implILS5_9ELb0ES3_jPlS8_PNS0_10empty_typeENS0_5tupleIJS8_S9_EEENSB_IJS8_SA_EEENS0_18inequality_wrapperIZN2at6native12_GLOBAL__N_124unique_dim_cuda_templateIjEESt5tupleIJNSF_6TensorESK_SK_EERKSK_lbbbEUlllE0_EEPmJS9_EEE10hipError_tPvRmT3_T4_T5_T6_T7_T9_mT8_P12ihipStream_tbDpT10_ENKUlT_T0_E_clISt17integral_constantIbLb1EES19_IbLb0EEEEDaS15_S16_EUlS15_E_NS1_11comp_targetILNS1_3genE2ELNS1_11target_archE906ELNS1_3gpuE6ELNS1_3repE0EEENS1_30default_config_static_selectorELNS0_4arch9wavefront6targetE1EEEvT1_ ; -- Begin function _ZN7rocprim17ROCPRIM_400000_NS6detail17trampoline_kernelINS0_14default_configENS1_25partition_config_selectorILNS1_17partition_subalgoE9EllbEEZZNS1_14partition_implILS5_9ELb0ES3_jPlS8_PNS0_10empty_typeENS0_5tupleIJS8_S9_EEENSB_IJS8_SA_EEENS0_18inequality_wrapperIZN2at6native12_GLOBAL__N_124unique_dim_cuda_templateIjEESt5tupleIJNSF_6TensorESK_SK_EERKSK_lbbbEUlllE0_EEPmJS9_EEE10hipError_tPvRmT3_T4_T5_T6_T7_T9_mT8_P12ihipStream_tbDpT10_ENKUlT_T0_E_clISt17integral_constantIbLb1EES19_IbLb0EEEEDaS15_S16_EUlS15_E_NS1_11comp_targetILNS1_3genE2ELNS1_11target_archE906ELNS1_3gpuE6ELNS1_3repE0EEENS1_30default_config_static_selectorELNS0_4arch9wavefront6targetE1EEEvT1_
	.p2align	8
	.type	_ZN7rocprim17ROCPRIM_400000_NS6detail17trampoline_kernelINS0_14default_configENS1_25partition_config_selectorILNS1_17partition_subalgoE9EllbEEZZNS1_14partition_implILS5_9ELb0ES3_jPlS8_PNS0_10empty_typeENS0_5tupleIJS8_S9_EEENSB_IJS8_SA_EEENS0_18inequality_wrapperIZN2at6native12_GLOBAL__N_124unique_dim_cuda_templateIjEESt5tupleIJNSF_6TensorESK_SK_EERKSK_lbbbEUlllE0_EEPmJS9_EEE10hipError_tPvRmT3_T4_T5_T6_T7_T9_mT8_P12ihipStream_tbDpT10_ENKUlT_T0_E_clISt17integral_constantIbLb1EES19_IbLb0EEEEDaS15_S16_EUlS15_E_NS1_11comp_targetILNS1_3genE2ELNS1_11target_archE906ELNS1_3gpuE6ELNS1_3repE0EEENS1_30default_config_static_selectorELNS0_4arch9wavefront6targetE1EEEvT1_,@function
_ZN7rocprim17ROCPRIM_400000_NS6detail17trampoline_kernelINS0_14default_configENS1_25partition_config_selectorILNS1_17partition_subalgoE9EllbEEZZNS1_14partition_implILS5_9ELb0ES3_jPlS8_PNS0_10empty_typeENS0_5tupleIJS8_S9_EEENSB_IJS8_SA_EEENS0_18inequality_wrapperIZN2at6native12_GLOBAL__N_124unique_dim_cuda_templateIjEESt5tupleIJNSF_6TensorESK_SK_EERKSK_lbbbEUlllE0_EEPmJS9_EEE10hipError_tPvRmT3_T4_T5_T6_T7_T9_mT8_P12ihipStream_tbDpT10_ENKUlT_T0_E_clISt17integral_constantIbLb1EES19_IbLb0EEEEDaS15_S16_EUlS15_E_NS1_11comp_targetILNS1_3genE2ELNS1_11target_archE906ELNS1_3gpuE6ELNS1_3repE0EEENS1_30default_config_static_selectorELNS0_4arch9wavefront6targetE1EEEvT1_: ; @_ZN7rocprim17ROCPRIM_400000_NS6detail17trampoline_kernelINS0_14default_configENS1_25partition_config_selectorILNS1_17partition_subalgoE9EllbEEZZNS1_14partition_implILS5_9ELb0ES3_jPlS8_PNS0_10empty_typeENS0_5tupleIJS8_S9_EEENSB_IJS8_SA_EEENS0_18inequality_wrapperIZN2at6native12_GLOBAL__N_124unique_dim_cuda_templateIjEESt5tupleIJNSF_6TensorESK_SK_EERKSK_lbbbEUlllE0_EEPmJS9_EEE10hipError_tPvRmT3_T4_T5_T6_T7_T9_mT8_P12ihipStream_tbDpT10_ENKUlT_T0_E_clISt17integral_constantIbLb1EES19_IbLb0EEEEDaS15_S16_EUlS15_E_NS1_11comp_targetILNS1_3genE2ELNS1_11target_archE906ELNS1_3gpuE6ELNS1_3repE0EEENS1_30default_config_static_selectorELNS0_4arch9wavefront6targetE1EEEvT1_
; %bb.0:
	.section	.rodata,"a",@progbits
	.p2align	6, 0x0
	.amdhsa_kernel _ZN7rocprim17ROCPRIM_400000_NS6detail17trampoline_kernelINS0_14default_configENS1_25partition_config_selectorILNS1_17partition_subalgoE9EllbEEZZNS1_14partition_implILS5_9ELb0ES3_jPlS8_PNS0_10empty_typeENS0_5tupleIJS8_S9_EEENSB_IJS8_SA_EEENS0_18inequality_wrapperIZN2at6native12_GLOBAL__N_124unique_dim_cuda_templateIjEESt5tupleIJNSF_6TensorESK_SK_EERKSK_lbbbEUlllE0_EEPmJS9_EEE10hipError_tPvRmT3_T4_T5_T6_T7_T9_mT8_P12ihipStream_tbDpT10_ENKUlT_T0_E_clISt17integral_constantIbLb1EES19_IbLb0EEEEDaS15_S16_EUlS15_E_NS1_11comp_targetILNS1_3genE2ELNS1_11target_archE906ELNS1_3gpuE6ELNS1_3repE0EEENS1_30default_config_static_selectorELNS0_4arch9wavefront6targetE1EEEvT1_
		.amdhsa_group_segment_fixed_size 0
		.amdhsa_private_segment_fixed_size 0
		.amdhsa_kernarg_size 120
		.amdhsa_user_sgpr_count 2
		.amdhsa_user_sgpr_dispatch_ptr 0
		.amdhsa_user_sgpr_queue_ptr 0
		.amdhsa_user_sgpr_kernarg_segment_ptr 1
		.amdhsa_user_sgpr_dispatch_id 0
		.amdhsa_user_sgpr_kernarg_preload_length 0
		.amdhsa_user_sgpr_kernarg_preload_offset 0
		.amdhsa_user_sgpr_private_segment_size 0
		.amdhsa_uses_dynamic_stack 0
		.amdhsa_enable_private_segment 0
		.amdhsa_system_sgpr_workgroup_id_x 1
		.amdhsa_system_sgpr_workgroup_id_y 0
		.amdhsa_system_sgpr_workgroup_id_z 0
		.amdhsa_system_sgpr_workgroup_info 0
		.amdhsa_system_vgpr_workitem_id 0
		.amdhsa_next_free_vgpr 1
		.amdhsa_next_free_sgpr 0
		.amdhsa_accum_offset 4
		.amdhsa_reserve_vcc 0
		.amdhsa_float_round_mode_32 0
		.amdhsa_float_round_mode_16_64 0
		.amdhsa_float_denorm_mode_32 3
		.amdhsa_float_denorm_mode_16_64 3
		.amdhsa_dx10_clamp 1
		.amdhsa_ieee_mode 1
		.amdhsa_fp16_overflow 0
		.amdhsa_tg_split 0
		.amdhsa_exception_fp_ieee_invalid_op 0
		.amdhsa_exception_fp_denorm_src 0
		.amdhsa_exception_fp_ieee_div_zero 0
		.amdhsa_exception_fp_ieee_overflow 0
		.amdhsa_exception_fp_ieee_underflow 0
		.amdhsa_exception_fp_ieee_inexact 0
		.amdhsa_exception_int_div_zero 0
	.end_amdhsa_kernel
	.section	.text._ZN7rocprim17ROCPRIM_400000_NS6detail17trampoline_kernelINS0_14default_configENS1_25partition_config_selectorILNS1_17partition_subalgoE9EllbEEZZNS1_14partition_implILS5_9ELb0ES3_jPlS8_PNS0_10empty_typeENS0_5tupleIJS8_S9_EEENSB_IJS8_SA_EEENS0_18inequality_wrapperIZN2at6native12_GLOBAL__N_124unique_dim_cuda_templateIjEESt5tupleIJNSF_6TensorESK_SK_EERKSK_lbbbEUlllE0_EEPmJS9_EEE10hipError_tPvRmT3_T4_T5_T6_T7_T9_mT8_P12ihipStream_tbDpT10_ENKUlT_T0_E_clISt17integral_constantIbLb1EES19_IbLb0EEEEDaS15_S16_EUlS15_E_NS1_11comp_targetILNS1_3genE2ELNS1_11target_archE906ELNS1_3gpuE6ELNS1_3repE0EEENS1_30default_config_static_selectorELNS0_4arch9wavefront6targetE1EEEvT1_,"axG",@progbits,_ZN7rocprim17ROCPRIM_400000_NS6detail17trampoline_kernelINS0_14default_configENS1_25partition_config_selectorILNS1_17partition_subalgoE9EllbEEZZNS1_14partition_implILS5_9ELb0ES3_jPlS8_PNS0_10empty_typeENS0_5tupleIJS8_S9_EEENSB_IJS8_SA_EEENS0_18inequality_wrapperIZN2at6native12_GLOBAL__N_124unique_dim_cuda_templateIjEESt5tupleIJNSF_6TensorESK_SK_EERKSK_lbbbEUlllE0_EEPmJS9_EEE10hipError_tPvRmT3_T4_T5_T6_T7_T9_mT8_P12ihipStream_tbDpT10_ENKUlT_T0_E_clISt17integral_constantIbLb1EES19_IbLb0EEEEDaS15_S16_EUlS15_E_NS1_11comp_targetILNS1_3genE2ELNS1_11target_archE906ELNS1_3gpuE6ELNS1_3repE0EEENS1_30default_config_static_selectorELNS0_4arch9wavefront6targetE1EEEvT1_,comdat
.Lfunc_end1593:
	.size	_ZN7rocprim17ROCPRIM_400000_NS6detail17trampoline_kernelINS0_14default_configENS1_25partition_config_selectorILNS1_17partition_subalgoE9EllbEEZZNS1_14partition_implILS5_9ELb0ES3_jPlS8_PNS0_10empty_typeENS0_5tupleIJS8_S9_EEENSB_IJS8_SA_EEENS0_18inequality_wrapperIZN2at6native12_GLOBAL__N_124unique_dim_cuda_templateIjEESt5tupleIJNSF_6TensorESK_SK_EERKSK_lbbbEUlllE0_EEPmJS9_EEE10hipError_tPvRmT3_T4_T5_T6_T7_T9_mT8_P12ihipStream_tbDpT10_ENKUlT_T0_E_clISt17integral_constantIbLb1EES19_IbLb0EEEEDaS15_S16_EUlS15_E_NS1_11comp_targetILNS1_3genE2ELNS1_11target_archE906ELNS1_3gpuE6ELNS1_3repE0EEENS1_30default_config_static_selectorELNS0_4arch9wavefront6targetE1EEEvT1_, .Lfunc_end1593-_ZN7rocprim17ROCPRIM_400000_NS6detail17trampoline_kernelINS0_14default_configENS1_25partition_config_selectorILNS1_17partition_subalgoE9EllbEEZZNS1_14partition_implILS5_9ELb0ES3_jPlS8_PNS0_10empty_typeENS0_5tupleIJS8_S9_EEENSB_IJS8_SA_EEENS0_18inequality_wrapperIZN2at6native12_GLOBAL__N_124unique_dim_cuda_templateIjEESt5tupleIJNSF_6TensorESK_SK_EERKSK_lbbbEUlllE0_EEPmJS9_EEE10hipError_tPvRmT3_T4_T5_T6_T7_T9_mT8_P12ihipStream_tbDpT10_ENKUlT_T0_E_clISt17integral_constantIbLb1EES19_IbLb0EEEEDaS15_S16_EUlS15_E_NS1_11comp_targetILNS1_3genE2ELNS1_11target_archE906ELNS1_3gpuE6ELNS1_3repE0EEENS1_30default_config_static_selectorELNS0_4arch9wavefront6targetE1EEEvT1_
                                        ; -- End function
	.set _ZN7rocprim17ROCPRIM_400000_NS6detail17trampoline_kernelINS0_14default_configENS1_25partition_config_selectorILNS1_17partition_subalgoE9EllbEEZZNS1_14partition_implILS5_9ELb0ES3_jPlS8_PNS0_10empty_typeENS0_5tupleIJS8_S9_EEENSB_IJS8_SA_EEENS0_18inequality_wrapperIZN2at6native12_GLOBAL__N_124unique_dim_cuda_templateIjEESt5tupleIJNSF_6TensorESK_SK_EERKSK_lbbbEUlllE0_EEPmJS9_EEE10hipError_tPvRmT3_T4_T5_T6_T7_T9_mT8_P12ihipStream_tbDpT10_ENKUlT_T0_E_clISt17integral_constantIbLb1EES19_IbLb0EEEEDaS15_S16_EUlS15_E_NS1_11comp_targetILNS1_3genE2ELNS1_11target_archE906ELNS1_3gpuE6ELNS1_3repE0EEENS1_30default_config_static_selectorELNS0_4arch9wavefront6targetE1EEEvT1_.num_vgpr, 0
	.set _ZN7rocprim17ROCPRIM_400000_NS6detail17trampoline_kernelINS0_14default_configENS1_25partition_config_selectorILNS1_17partition_subalgoE9EllbEEZZNS1_14partition_implILS5_9ELb0ES3_jPlS8_PNS0_10empty_typeENS0_5tupleIJS8_S9_EEENSB_IJS8_SA_EEENS0_18inequality_wrapperIZN2at6native12_GLOBAL__N_124unique_dim_cuda_templateIjEESt5tupleIJNSF_6TensorESK_SK_EERKSK_lbbbEUlllE0_EEPmJS9_EEE10hipError_tPvRmT3_T4_T5_T6_T7_T9_mT8_P12ihipStream_tbDpT10_ENKUlT_T0_E_clISt17integral_constantIbLb1EES19_IbLb0EEEEDaS15_S16_EUlS15_E_NS1_11comp_targetILNS1_3genE2ELNS1_11target_archE906ELNS1_3gpuE6ELNS1_3repE0EEENS1_30default_config_static_selectorELNS0_4arch9wavefront6targetE1EEEvT1_.num_agpr, 0
	.set _ZN7rocprim17ROCPRIM_400000_NS6detail17trampoline_kernelINS0_14default_configENS1_25partition_config_selectorILNS1_17partition_subalgoE9EllbEEZZNS1_14partition_implILS5_9ELb0ES3_jPlS8_PNS0_10empty_typeENS0_5tupleIJS8_S9_EEENSB_IJS8_SA_EEENS0_18inequality_wrapperIZN2at6native12_GLOBAL__N_124unique_dim_cuda_templateIjEESt5tupleIJNSF_6TensorESK_SK_EERKSK_lbbbEUlllE0_EEPmJS9_EEE10hipError_tPvRmT3_T4_T5_T6_T7_T9_mT8_P12ihipStream_tbDpT10_ENKUlT_T0_E_clISt17integral_constantIbLb1EES19_IbLb0EEEEDaS15_S16_EUlS15_E_NS1_11comp_targetILNS1_3genE2ELNS1_11target_archE906ELNS1_3gpuE6ELNS1_3repE0EEENS1_30default_config_static_selectorELNS0_4arch9wavefront6targetE1EEEvT1_.numbered_sgpr, 0
	.set _ZN7rocprim17ROCPRIM_400000_NS6detail17trampoline_kernelINS0_14default_configENS1_25partition_config_selectorILNS1_17partition_subalgoE9EllbEEZZNS1_14partition_implILS5_9ELb0ES3_jPlS8_PNS0_10empty_typeENS0_5tupleIJS8_S9_EEENSB_IJS8_SA_EEENS0_18inequality_wrapperIZN2at6native12_GLOBAL__N_124unique_dim_cuda_templateIjEESt5tupleIJNSF_6TensorESK_SK_EERKSK_lbbbEUlllE0_EEPmJS9_EEE10hipError_tPvRmT3_T4_T5_T6_T7_T9_mT8_P12ihipStream_tbDpT10_ENKUlT_T0_E_clISt17integral_constantIbLb1EES19_IbLb0EEEEDaS15_S16_EUlS15_E_NS1_11comp_targetILNS1_3genE2ELNS1_11target_archE906ELNS1_3gpuE6ELNS1_3repE0EEENS1_30default_config_static_selectorELNS0_4arch9wavefront6targetE1EEEvT1_.num_named_barrier, 0
	.set _ZN7rocprim17ROCPRIM_400000_NS6detail17trampoline_kernelINS0_14default_configENS1_25partition_config_selectorILNS1_17partition_subalgoE9EllbEEZZNS1_14partition_implILS5_9ELb0ES3_jPlS8_PNS0_10empty_typeENS0_5tupleIJS8_S9_EEENSB_IJS8_SA_EEENS0_18inequality_wrapperIZN2at6native12_GLOBAL__N_124unique_dim_cuda_templateIjEESt5tupleIJNSF_6TensorESK_SK_EERKSK_lbbbEUlllE0_EEPmJS9_EEE10hipError_tPvRmT3_T4_T5_T6_T7_T9_mT8_P12ihipStream_tbDpT10_ENKUlT_T0_E_clISt17integral_constantIbLb1EES19_IbLb0EEEEDaS15_S16_EUlS15_E_NS1_11comp_targetILNS1_3genE2ELNS1_11target_archE906ELNS1_3gpuE6ELNS1_3repE0EEENS1_30default_config_static_selectorELNS0_4arch9wavefront6targetE1EEEvT1_.private_seg_size, 0
	.set _ZN7rocprim17ROCPRIM_400000_NS6detail17trampoline_kernelINS0_14default_configENS1_25partition_config_selectorILNS1_17partition_subalgoE9EllbEEZZNS1_14partition_implILS5_9ELb0ES3_jPlS8_PNS0_10empty_typeENS0_5tupleIJS8_S9_EEENSB_IJS8_SA_EEENS0_18inequality_wrapperIZN2at6native12_GLOBAL__N_124unique_dim_cuda_templateIjEESt5tupleIJNSF_6TensorESK_SK_EERKSK_lbbbEUlllE0_EEPmJS9_EEE10hipError_tPvRmT3_T4_T5_T6_T7_T9_mT8_P12ihipStream_tbDpT10_ENKUlT_T0_E_clISt17integral_constantIbLb1EES19_IbLb0EEEEDaS15_S16_EUlS15_E_NS1_11comp_targetILNS1_3genE2ELNS1_11target_archE906ELNS1_3gpuE6ELNS1_3repE0EEENS1_30default_config_static_selectorELNS0_4arch9wavefront6targetE1EEEvT1_.uses_vcc, 0
	.set _ZN7rocprim17ROCPRIM_400000_NS6detail17trampoline_kernelINS0_14default_configENS1_25partition_config_selectorILNS1_17partition_subalgoE9EllbEEZZNS1_14partition_implILS5_9ELb0ES3_jPlS8_PNS0_10empty_typeENS0_5tupleIJS8_S9_EEENSB_IJS8_SA_EEENS0_18inequality_wrapperIZN2at6native12_GLOBAL__N_124unique_dim_cuda_templateIjEESt5tupleIJNSF_6TensorESK_SK_EERKSK_lbbbEUlllE0_EEPmJS9_EEE10hipError_tPvRmT3_T4_T5_T6_T7_T9_mT8_P12ihipStream_tbDpT10_ENKUlT_T0_E_clISt17integral_constantIbLb1EES19_IbLb0EEEEDaS15_S16_EUlS15_E_NS1_11comp_targetILNS1_3genE2ELNS1_11target_archE906ELNS1_3gpuE6ELNS1_3repE0EEENS1_30default_config_static_selectorELNS0_4arch9wavefront6targetE1EEEvT1_.uses_flat_scratch, 0
	.set _ZN7rocprim17ROCPRIM_400000_NS6detail17trampoline_kernelINS0_14default_configENS1_25partition_config_selectorILNS1_17partition_subalgoE9EllbEEZZNS1_14partition_implILS5_9ELb0ES3_jPlS8_PNS0_10empty_typeENS0_5tupleIJS8_S9_EEENSB_IJS8_SA_EEENS0_18inequality_wrapperIZN2at6native12_GLOBAL__N_124unique_dim_cuda_templateIjEESt5tupleIJNSF_6TensorESK_SK_EERKSK_lbbbEUlllE0_EEPmJS9_EEE10hipError_tPvRmT3_T4_T5_T6_T7_T9_mT8_P12ihipStream_tbDpT10_ENKUlT_T0_E_clISt17integral_constantIbLb1EES19_IbLb0EEEEDaS15_S16_EUlS15_E_NS1_11comp_targetILNS1_3genE2ELNS1_11target_archE906ELNS1_3gpuE6ELNS1_3repE0EEENS1_30default_config_static_selectorELNS0_4arch9wavefront6targetE1EEEvT1_.has_dyn_sized_stack, 0
	.set _ZN7rocprim17ROCPRIM_400000_NS6detail17trampoline_kernelINS0_14default_configENS1_25partition_config_selectorILNS1_17partition_subalgoE9EllbEEZZNS1_14partition_implILS5_9ELb0ES3_jPlS8_PNS0_10empty_typeENS0_5tupleIJS8_S9_EEENSB_IJS8_SA_EEENS0_18inequality_wrapperIZN2at6native12_GLOBAL__N_124unique_dim_cuda_templateIjEESt5tupleIJNSF_6TensorESK_SK_EERKSK_lbbbEUlllE0_EEPmJS9_EEE10hipError_tPvRmT3_T4_T5_T6_T7_T9_mT8_P12ihipStream_tbDpT10_ENKUlT_T0_E_clISt17integral_constantIbLb1EES19_IbLb0EEEEDaS15_S16_EUlS15_E_NS1_11comp_targetILNS1_3genE2ELNS1_11target_archE906ELNS1_3gpuE6ELNS1_3repE0EEENS1_30default_config_static_selectorELNS0_4arch9wavefront6targetE1EEEvT1_.has_recursion, 0
	.set _ZN7rocprim17ROCPRIM_400000_NS6detail17trampoline_kernelINS0_14default_configENS1_25partition_config_selectorILNS1_17partition_subalgoE9EllbEEZZNS1_14partition_implILS5_9ELb0ES3_jPlS8_PNS0_10empty_typeENS0_5tupleIJS8_S9_EEENSB_IJS8_SA_EEENS0_18inequality_wrapperIZN2at6native12_GLOBAL__N_124unique_dim_cuda_templateIjEESt5tupleIJNSF_6TensorESK_SK_EERKSK_lbbbEUlllE0_EEPmJS9_EEE10hipError_tPvRmT3_T4_T5_T6_T7_T9_mT8_P12ihipStream_tbDpT10_ENKUlT_T0_E_clISt17integral_constantIbLb1EES19_IbLb0EEEEDaS15_S16_EUlS15_E_NS1_11comp_targetILNS1_3genE2ELNS1_11target_archE906ELNS1_3gpuE6ELNS1_3repE0EEENS1_30default_config_static_selectorELNS0_4arch9wavefront6targetE1EEEvT1_.has_indirect_call, 0
	.section	.AMDGPU.csdata,"",@progbits
; Kernel info:
; codeLenInByte = 0
; TotalNumSgprs: 6
; NumVgprs: 0
; NumAgprs: 0
; TotalNumVgprs: 0
; ScratchSize: 0
; MemoryBound: 0
; FloatMode: 240
; IeeeMode: 1
; LDSByteSize: 0 bytes/workgroup (compile time only)
; SGPRBlocks: 0
; VGPRBlocks: 0
; NumSGPRsForWavesPerEU: 6
; NumVGPRsForWavesPerEU: 1
; AccumOffset: 4
; Occupancy: 8
; WaveLimiterHint : 0
; COMPUTE_PGM_RSRC2:SCRATCH_EN: 0
; COMPUTE_PGM_RSRC2:USER_SGPR: 2
; COMPUTE_PGM_RSRC2:TRAP_HANDLER: 0
; COMPUTE_PGM_RSRC2:TGID_X_EN: 1
; COMPUTE_PGM_RSRC2:TGID_Y_EN: 0
; COMPUTE_PGM_RSRC2:TGID_Z_EN: 0
; COMPUTE_PGM_RSRC2:TIDIG_COMP_CNT: 0
; COMPUTE_PGM_RSRC3_GFX90A:ACCUM_OFFSET: 0
; COMPUTE_PGM_RSRC3_GFX90A:TG_SPLIT: 0
	.section	.text._ZN7rocprim17ROCPRIM_400000_NS6detail17trampoline_kernelINS0_14default_configENS1_25partition_config_selectorILNS1_17partition_subalgoE9EllbEEZZNS1_14partition_implILS5_9ELb0ES3_jPlS8_PNS0_10empty_typeENS0_5tupleIJS8_S9_EEENSB_IJS8_SA_EEENS0_18inequality_wrapperIZN2at6native12_GLOBAL__N_124unique_dim_cuda_templateIjEESt5tupleIJNSF_6TensorESK_SK_EERKSK_lbbbEUlllE0_EEPmJS9_EEE10hipError_tPvRmT3_T4_T5_T6_T7_T9_mT8_P12ihipStream_tbDpT10_ENKUlT_T0_E_clISt17integral_constantIbLb1EES19_IbLb0EEEEDaS15_S16_EUlS15_E_NS1_11comp_targetILNS1_3genE10ELNS1_11target_archE1200ELNS1_3gpuE4ELNS1_3repE0EEENS1_30default_config_static_selectorELNS0_4arch9wavefront6targetE1EEEvT1_,"axG",@progbits,_ZN7rocprim17ROCPRIM_400000_NS6detail17trampoline_kernelINS0_14default_configENS1_25partition_config_selectorILNS1_17partition_subalgoE9EllbEEZZNS1_14partition_implILS5_9ELb0ES3_jPlS8_PNS0_10empty_typeENS0_5tupleIJS8_S9_EEENSB_IJS8_SA_EEENS0_18inequality_wrapperIZN2at6native12_GLOBAL__N_124unique_dim_cuda_templateIjEESt5tupleIJNSF_6TensorESK_SK_EERKSK_lbbbEUlllE0_EEPmJS9_EEE10hipError_tPvRmT3_T4_T5_T6_T7_T9_mT8_P12ihipStream_tbDpT10_ENKUlT_T0_E_clISt17integral_constantIbLb1EES19_IbLb0EEEEDaS15_S16_EUlS15_E_NS1_11comp_targetILNS1_3genE10ELNS1_11target_archE1200ELNS1_3gpuE4ELNS1_3repE0EEENS1_30default_config_static_selectorELNS0_4arch9wavefront6targetE1EEEvT1_,comdat
	.globl	_ZN7rocprim17ROCPRIM_400000_NS6detail17trampoline_kernelINS0_14default_configENS1_25partition_config_selectorILNS1_17partition_subalgoE9EllbEEZZNS1_14partition_implILS5_9ELb0ES3_jPlS8_PNS0_10empty_typeENS0_5tupleIJS8_S9_EEENSB_IJS8_SA_EEENS0_18inequality_wrapperIZN2at6native12_GLOBAL__N_124unique_dim_cuda_templateIjEESt5tupleIJNSF_6TensorESK_SK_EERKSK_lbbbEUlllE0_EEPmJS9_EEE10hipError_tPvRmT3_T4_T5_T6_T7_T9_mT8_P12ihipStream_tbDpT10_ENKUlT_T0_E_clISt17integral_constantIbLb1EES19_IbLb0EEEEDaS15_S16_EUlS15_E_NS1_11comp_targetILNS1_3genE10ELNS1_11target_archE1200ELNS1_3gpuE4ELNS1_3repE0EEENS1_30default_config_static_selectorELNS0_4arch9wavefront6targetE1EEEvT1_ ; -- Begin function _ZN7rocprim17ROCPRIM_400000_NS6detail17trampoline_kernelINS0_14default_configENS1_25partition_config_selectorILNS1_17partition_subalgoE9EllbEEZZNS1_14partition_implILS5_9ELb0ES3_jPlS8_PNS0_10empty_typeENS0_5tupleIJS8_S9_EEENSB_IJS8_SA_EEENS0_18inequality_wrapperIZN2at6native12_GLOBAL__N_124unique_dim_cuda_templateIjEESt5tupleIJNSF_6TensorESK_SK_EERKSK_lbbbEUlllE0_EEPmJS9_EEE10hipError_tPvRmT3_T4_T5_T6_T7_T9_mT8_P12ihipStream_tbDpT10_ENKUlT_T0_E_clISt17integral_constantIbLb1EES19_IbLb0EEEEDaS15_S16_EUlS15_E_NS1_11comp_targetILNS1_3genE10ELNS1_11target_archE1200ELNS1_3gpuE4ELNS1_3repE0EEENS1_30default_config_static_selectorELNS0_4arch9wavefront6targetE1EEEvT1_
	.p2align	8
	.type	_ZN7rocprim17ROCPRIM_400000_NS6detail17trampoline_kernelINS0_14default_configENS1_25partition_config_selectorILNS1_17partition_subalgoE9EllbEEZZNS1_14partition_implILS5_9ELb0ES3_jPlS8_PNS0_10empty_typeENS0_5tupleIJS8_S9_EEENSB_IJS8_SA_EEENS0_18inequality_wrapperIZN2at6native12_GLOBAL__N_124unique_dim_cuda_templateIjEESt5tupleIJNSF_6TensorESK_SK_EERKSK_lbbbEUlllE0_EEPmJS9_EEE10hipError_tPvRmT3_T4_T5_T6_T7_T9_mT8_P12ihipStream_tbDpT10_ENKUlT_T0_E_clISt17integral_constantIbLb1EES19_IbLb0EEEEDaS15_S16_EUlS15_E_NS1_11comp_targetILNS1_3genE10ELNS1_11target_archE1200ELNS1_3gpuE4ELNS1_3repE0EEENS1_30default_config_static_selectorELNS0_4arch9wavefront6targetE1EEEvT1_,@function
_ZN7rocprim17ROCPRIM_400000_NS6detail17trampoline_kernelINS0_14default_configENS1_25partition_config_selectorILNS1_17partition_subalgoE9EllbEEZZNS1_14partition_implILS5_9ELb0ES3_jPlS8_PNS0_10empty_typeENS0_5tupleIJS8_S9_EEENSB_IJS8_SA_EEENS0_18inequality_wrapperIZN2at6native12_GLOBAL__N_124unique_dim_cuda_templateIjEESt5tupleIJNSF_6TensorESK_SK_EERKSK_lbbbEUlllE0_EEPmJS9_EEE10hipError_tPvRmT3_T4_T5_T6_T7_T9_mT8_P12ihipStream_tbDpT10_ENKUlT_T0_E_clISt17integral_constantIbLb1EES19_IbLb0EEEEDaS15_S16_EUlS15_E_NS1_11comp_targetILNS1_3genE10ELNS1_11target_archE1200ELNS1_3gpuE4ELNS1_3repE0EEENS1_30default_config_static_selectorELNS0_4arch9wavefront6targetE1EEEvT1_: ; @_ZN7rocprim17ROCPRIM_400000_NS6detail17trampoline_kernelINS0_14default_configENS1_25partition_config_selectorILNS1_17partition_subalgoE9EllbEEZZNS1_14partition_implILS5_9ELb0ES3_jPlS8_PNS0_10empty_typeENS0_5tupleIJS8_S9_EEENSB_IJS8_SA_EEENS0_18inequality_wrapperIZN2at6native12_GLOBAL__N_124unique_dim_cuda_templateIjEESt5tupleIJNSF_6TensorESK_SK_EERKSK_lbbbEUlllE0_EEPmJS9_EEE10hipError_tPvRmT3_T4_T5_T6_T7_T9_mT8_P12ihipStream_tbDpT10_ENKUlT_T0_E_clISt17integral_constantIbLb1EES19_IbLb0EEEEDaS15_S16_EUlS15_E_NS1_11comp_targetILNS1_3genE10ELNS1_11target_archE1200ELNS1_3gpuE4ELNS1_3repE0EEENS1_30default_config_static_selectorELNS0_4arch9wavefront6targetE1EEEvT1_
; %bb.0:
	.section	.rodata,"a",@progbits
	.p2align	6, 0x0
	.amdhsa_kernel _ZN7rocprim17ROCPRIM_400000_NS6detail17trampoline_kernelINS0_14default_configENS1_25partition_config_selectorILNS1_17partition_subalgoE9EllbEEZZNS1_14partition_implILS5_9ELb0ES3_jPlS8_PNS0_10empty_typeENS0_5tupleIJS8_S9_EEENSB_IJS8_SA_EEENS0_18inequality_wrapperIZN2at6native12_GLOBAL__N_124unique_dim_cuda_templateIjEESt5tupleIJNSF_6TensorESK_SK_EERKSK_lbbbEUlllE0_EEPmJS9_EEE10hipError_tPvRmT3_T4_T5_T6_T7_T9_mT8_P12ihipStream_tbDpT10_ENKUlT_T0_E_clISt17integral_constantIbLb1EES19_IbLb0EEEEDaS15_S16_EUlS15_E_NS1_11comp_targetILNS1_3genE10ELNS1_11target_archE1200ELNS1_3gpuE4ELNS1_3repE0EEENS1_30default_config_static_selectorELNS0_4arch9wavefront6targetE1EEEvT1_
		.amdhsa_group_segment_fixed_size 0
		.amdhsa_private_segment_fixed_size 0
		.amdhsa_kernarg_size 120
		.amdhsa_user_sgpr_count 2
		.amdhsa_user_sgpr_dispatch_ptr 0
		.amdhsa_user_sgpr_queue_ptr 0
		.amdhsa_user_sgpr_kernarg_segment_ptr 1
		.amdhsa_user_sgpr_dispatch_id 0
		.amdhsa_user_sgpr_kernarg_preload_length 0
		.amdhsa_user_sgpr_kernarg_preload_offset 0
		.amdhsa_user_sgpr_private_segment_size 0
		.amdhsa_uses_dynamic_stack 0
		.amdhsa_enable_private_segment 0
		.amdhsa_system_sgpr_workgroup_id_x 1
		.amdhsa_system_sgpr_workgroup_id_y 0
		.amdhsa_system_sgpr_workgroup_id_z 0
		.amdhsa_system_sgpr_workgroup_info 0
		.amdhsa_system_vgpr_workitem_id 0
		.amdhsa_next_free_vgpr 1
		.amdhsa_next_free_sgpr 0
		.amdhsa_accum_offset 4
		.amdhsa_reserve_vcc 0
		.amdhsa_float_round_mode_32 0
		.amdhsa_float_round_mode_16_64 0
		.amdhsa_float_denorm_mode_32 3
		.amdhsa_float_denorm_mode_16_64 3
		.amdhsa_dx10_clamp 1
		.amdhsa_ieee_mode 1
		.amdhsa_fp16_overflow 0
		.amdhsa_tg_split 0
		.amdhsa_exception_fp_ieee_invalid_op 0
		.amdhsa_exception_fp_denorm_src 0
		.amdhsa_exception_fp_ieee_div_zero 0
		.amdhsa_exception_fp_ieee_overflow 0
		.amdhsa_exception_fp_ieee_underflow 0
		.amdhsa_exception_fp_ieee_inexact 0
		.amdhsa_exception_int_div_zero 0
	.end_amdhsa_kernel
	.section	.text._ZN7rocprim17ROCPRIM_400000_NS6detail17trampoline_kernelINS0_14default_configENS1_25partition_config_selectorILNS1_17partition_subalgoE9EllbEEZZNS1_14partition_implILS5_9ELb0ES3_jPlS8_PNS0_10empty_typeENS0_5tupleIJS8_S9_EEENSB_IJS8_SA_EEENS0_18inequality_wrapperIZN2at6native12_GLOBAL__N_124unique_dim_cuda_templateIjEESt5tupleIJNSF_6TensorESK_SK_EERKSK_lbbbEUlllE0_EEPmJS9_EEE10hipError_tPvRmT3_T4_T5_T6_T7_T9_mT8_P12ihipStream_tbDpT10_ENKUlT_T0_E_clISt17integral_constantIbLb1EES19_IbLb0EEEEDaS15_S16_EUlS15_E_NS1_11comp_targetILNS1_3genE10ELNS1_11target_archE1200ELNS1_3gpuE4ELNS1_3repE0EEENS1_30default_config_static_selectorELNS0_4arch9wavefront6targetE1EEEvT1_,"axG",@progbits,_ZN7rocprim17ROCPRIM_400000_NS6detail17trampoline_kernelINS0_14default_configENS1_25partition_config_selectorILNS1_17partition_subalgoE9EllbEEZZNS1_14partition_implILS5_9ELb0ES3_jPlS8_PNS0_10empty_typeENS0_5tupleIJS8_S9_EEENSB_IJS8_SA_EEENS0_18inequality_wrapperIZN2at6native12_GLOBAL__N_124unique_dim_cuda_templateIjEESt5tupleIJNSF_6TensorESK_SK_EERKSK_lbbbEUlllE0_EEPmJS9_EEE10hipError_tPvRmT3_T4_T5_T6_T7_T9_mT8_P12ihipStream_tbDpT10_ENKUlT_T0_E_clISt17integral_constantIbLb1EES19_IbLb0EEEEDaS15_S16_EUlS15_E_NS1_11comp_targetILNS1_3genE10ELNS1_11target_archE1200ELNS1_3gpuE4ELNS1_3repE0EEENS1_30default_config_static_selectorELNS0_4arch9wavefront6targetE1EEEvT1_,comdat
.Lfunc_end1594:
	.size	_ZN7rocprim17ROCPRIM_400000_NS6detail17trampoline_kernelINS0_14default_configENS1_25partition_config_selectorILNS1_17partition_subalgoE9EllbEEZZNS1_14partition_implILS5_9ELb0ES3_jPlS8_PNS0_10empty_typeENS0_5tupleIJS8_S9_EEENSB_IJS8_SA_EEENS0_18inequality_wrapperIZN2at6native12_GLOBAL__N_124unique_dim_cuda_templateIjEESt5tupleIJNSF_6TensorESK_SK_EERKSK_lbbbEUlllE0_EEPmJS9_EEE10hipError_tPvRmT3_T4_T5_T6_T7_T9_mT8_P12ihipStream_tbDpT10_ENKUlT_T0_E_clISt17integral_constantIbLb1EES19_IbLb0EEEEDaS15_S16_EUlS15_E_NS1_11comp_targetILNS1_3genE10ELNS1_11target_archE1200ELNS1_3gpuE4ELNS1_3repE0EEENS1_30default_config_static_selectorELNS0_4arch9wavefront6targetE1EEEvT1_, .Lfunc_end1594-_ZN7rocprim17ROCPRIM_400000_NS6detail17trampoline_kernelINS0_14default_configENS1_25partition_config_selectorILNS1_17partition_subalgoE9EllbEEZZNS1_14partition_implILS5_9ELb0ES3_jPlS8_PNS0_10empty_typeENS0_5tupleIJS8_S9_EEENSB_IJS8_SA_EEENS0_18inequality_wrapperIZN2at6native12_GLOBAL__N_124unique_dim_cuda_templateIjEESt5tupleIJNSF_6TensorESK_SK_EERKSK_lbbbEUlllE0_EEPmJS9_EEE10hipError_tPvRmT3_T4_T5_T6_T7_T9_mT8_P12ihipStream_tbDpT10_ENKUlT_T0_E_clISt17integral_constantIbLb1EES19_IbLb0EEEEDaS15_S16_EUlS15_E_NS1_11comp_targetILNS1_3genE10ELNS1_11target_archE1200ELNS1_3gpuE4ELNS1_3repE0EEENS1_30default_config_static_selectorELNS0_4arch9wavefront6targetE1EEEvT1_
                                        ; -- End function
	.set _ZN7rocprim17ROCPRIM_400000_NS6detail17trampoline_kernelINS0_14default_configENS1_25partition_config_selectorILNS1_17partition_subalgoE9EllbEEZZNS1_14partition_implILS5_9ELb0ES3_jPlS8_PNS0_10empty_typeENS0_5tupleIJS8_S9_EEENSB_IJS8_SA_EEENS0_18inequality_wrapperIZN2at6native12_GLOBAL__N_124unique_dim_cuda_templateIjEESt5tupleIJNSF_6TensorESK_SK_EERKSK_lbbbEUlllE0_EEPmJS9_EEE10hipError_tPvRmT3_T4_T5_T6_T7_T9_mT8_P12ihipStream_tbDpT10_ENKUlT_T0_E_clISt17integral_constantIbLb1EES19_IbLb0EEEEDaS15_S16_EUlS15_E_NS1_11comp_targetILNS1_3genE10ELNS1_11target_archE1200ELNS1_3gpuE4ELNS1_3repE0EEENS1_30default_config_static_selectorELNS0_4arch9wavefront6targetE1EEEvT1_.num_vgpr, 0
	.set _ZN7rocprim17ROCPRIM_400000_NS6detail17trampoline_kernelINS0_14default_configENS1_25partition_config_selectorILNS1_17partition_subalgoE9EllbEEZZNS1_14partition_implILS5_9ELb0ES3_jPlS8_PNS0_10empty_typeENS0_5tupleIJS8_S9_EEENSB_IJS8_SA_EEENS0_18inequality_wrapperIZN2at6native12_GLOBAL__N_124unique_dim_cuda_templateIjEESt5tupleIJNSF_6TensorESK_SK_EERKSK_lbbbEUlllE0_EEPmJS9_EEE10hipError_tPvRmT3_T4_T5_T6_T7_T9_mT8_P12ihipStream_tbDpT10_ENKUlT_T0_E_clISt17integral_constantIbLb1EES19_IbLb0EEEEDaS15_S16_EUlS15_E_NS1_11comp_targetILNS1_3genE10ELNS1_11target_archE1200ELNS1_3gpuE4ELNS1_3repE0EEENS1_30default_config_static_selectorELNS0_4arch9wavefront6targetE1EEEvT1_.num_agpr, 0
	.set _ZN7rocprim17ROCPRIM_400000_NS6detail17trampoline_kernelINS0_14default_configENS1_25partition_config_selectorILNS1_17partition_subalgoE9EllbEEZZNS1_14partition_implILS5_9ELb0ES3_jPlS8_PNS0_10empty_typeENS0_5tupleIJS8_S9_EEENSB_IJS8_SA_EEENS0_18inequality_wrapperIZN2at6native12_GLOBAL__N_124unique_dim_cuda_templateIjEESt5tupleIJNSF_6TensorESK_SK_EERKSK_lbbbEUlllE0_EEPmJS9_EEE10hipError_tPvRmT3_T4_T5_T6_T7_T9_mT8_P12ihipStream_tbDpT10_ENKUlT_T0_E_clISt17integral_constantIbLb1EES19_IbLb0EEEEDaS15_S16_EUlS15_E_NS1_11comp_targetILNS1_3genE10ELNS1_11target_archE1200ELNS1_3gpuE4ELNS1_3repE0EEENS1_30default_config_static_selectorELNS0_4arch9wavefront6targetE1EEEvT1_.numbered_sgpr, 0
	.set _ZN7rocprim17ROCPRIM_400000_NS6detail17trampoline_kernelINS0_14default_configENS1_25partition_config_selectorILNS1_17partition_subalgoE9EllbEEZZNS1_14partition_implILS5_9ELb0ES3_jPlS8_PNS0_10empty_typeENS0_5tupleIJS8_S9_EEENSB_IJS8_SA_EEENS0_18inequality_wrapperIZN2at6native12_GLOBAL__N_124unique_dim_cuda_templateIjEESt5tupleIJNSF_6TensorESK_SK_EERKSK_lbbbEUlllE0_EEPmJS9_EEE10hipError_tPvRmT3_T4_T5_T6_T7_T9_mT8_P12ihipStream_tbDpT10_ENKUlT_T0_E_clISt17integral_constantIbLb1EES19_IbLb0EEEEDaS15_S16_EUlS15_E_NS1_11comp_targetILNS1_3genE10ELNS1_11target_archE1200ELNS1_3gpuE4ELNS1_3repE0EEENS1_30default_config_static_selectorELNS0_4arch9wavefront6targetE1EEEvT1_.num_named_barrier, 0
	.set _ZN7rocprim17ROCPRIM_400000_NS6detail17trampoline_kernelINS0_14default_configENS1_25partition_config_selectorILNS1_17partition_subalgoE9EllbEEZZNS1_14partition_implILS5_9ELb0ES3_jPlS8_PNS0_10empty_typeENS0_5tupleIJS8_S9_EEENSB_IJS8_SA_EEENS0_18inequality_wrapperIZN2at6native12_GLOBAL__N_124unique_dim_cuda_templateIjEESt5tupleIJNSF_6TensorESK_SK_EERKSK_lbbbEUlllE0_EEPmJS9_EEE10hipError_tPvRmT3_T4_T5_T6_T7_T9_mT8_P12ihipStream_tbDpT10_ENKUlT_T0_E_clISt17integral_constantIbLb1EES19_IbLb0EEEEDaS15_S16_EUlS15_E_NS1_11comp_targetILNS1_3genE10ELNS1_11target_archE1200ELNS1_3gpuE4ELNS1_3repE0EEENS1_30default_config_static_selectorELNS0_4arch9wavefront6targetE1EEEvT1_.private_seg_size, 0
	.set _ZN7rocprim17ROCPRIM_400000_NS6detail17trampoline_kernelINS0_14default_configENS1_25partition_config_selectorILNS1_17partition_subalgoE9EllbEEZZNS1_14partition_implILS5_9ELb0ES3_jPlS8_PNS0_10empty_typeENS0_5tupleIJS8_S9_EEENSB_IJS8_SA_EEENS0_18inequality_wrapperIZN2at6native12_GLOBAL__N_124unique_dim_cuda_templateIjEESt5tupleIJNSF_6TensorESK_SK_EERKSK_lbbbEUlllE0_EEPmJS9_EEE10hipError_tPvRmT3_T4_T5_T6_T7_T9_mT8_P12ihipStream_tbDpT10_ENKUlT_T0_E_clISt17integral_constantIbLb1EES19_IbLb0EEEEDaS15_S16_EUlS15_E_NS1_11comp_targetILNS1_3genE10ELNS1_11target_archE1200ELNS1_3gpuE4ELNS1_3repE0EEENS1_30default_config_static_selectorELNS0_4arch9wavefront6targetE1EEEvT1_.uses_vcc, 0
	.set _ZN7rocprim17ROCPRIM_400000_NS6detail17trampoline_kernelINS0_14default_configENS1_25partition_config_selectorILNS1_17partition_subalgoE9EllbEEZZNS1_14partition_implILS5_9ELb0ES3_jPlS8_PNS0_10empty_typeENS0_5tupleIJS8_S9_EEENSB_IJS8_SA_EEENS0_18inequality_wrapperIZN2at6native12_GLOBAL__N_124unique_dim_cuda_templateIjEESt5tupleIJNSF_6TensorESK_SK_EERKSK_lbbbEUlllE0_EEPmJS9_EEE10hipError_tPvRmT3_T4_T5_T6_T7_T9_mT8_P12ihipStream_tbDpT10_ENKUlT_T0_E_clISt17integral_constantIbLb1EES19_IbLb0EEEEDaS15_S16_EUlS15_E_NS1_11comp_targetILNS1_3genE10ELNS1_11target_archE1200ELNS1_3gpuE4ELNS1_3repE0EEENS1_30default_config_static_selectorELNS0_4arch9wavefront6targetE1EEEvT1_.uses_flat_scratch, 0
	.set _ZN7rocprim17ROCPRIM_400000_NS6detail17trampoline_kernelINS0_14default_configENS1_25partition_config_selectorILNS1_17partition_subalgoE9EllbEEZZNS1_14partition_implILS5_9ELb0ES3_jPlS8_PNS0_10empty_typeENS0_5tupleIJS8_S9_EEENSB_IJS8_SA_EEENS0_18inequality_wrapperIZN2at6native12_GLOBAL__N_124unique_dim_cuda_templateIjEESt5tupleIJNSF_6TensorESK_SK_EERKSK_lbbbEUlllE0_EEPmJS9_EEE10hipError_tPvRmT3_T4_T5_T6_T7_T9_mT8_P12ihipStream_tbDpT10_ENKUlT_T0_E_clISt17integral_constantIbLb1EES19_IbLb0EEEEDaS15_S16_EUlS15_E_NS1_11comp_targetILNS1_3genE10ELNS1_11target_archE1200ELNS1_3gpuE4ELNS1_3repE0EEENS1_30default_config_static_selectorELNS0_4arch9wavefront6targetE1EEEvT1_.has_dyn_sized_stack, 0
	.set _ZN7rocprim17ROCPRIM_400000_NS6detail17trampoline_kernelINS0_14default_configENS1_25partition_config_selectorILNS1_17partition_subalgoE9EllbEEZZNS1_14partition_implILS5_9ELb0ES3_jPlS8_PNS0_10empty_typeENS0_5tupleIJS8_S9_EEENSB_IJS8_SA_EEENS0_18inequality_wrapperIZN2at6native12_GLOBAL__N_124unique_dim_cuda_templateIjEESt5tupleIJNSF_6TensorESK_SK_EERKSK_lbbbEUlllE0_EEPmJS9_EEE10hipError_tPvRmT3_T4_T5_T6_T7_T9_mT8_P12ihipStream_tbDpT10_ENKUlT_T0_E_clISt17integral_constantIbLb1EES19_IbLb0EEEEDaS15_S16_EUlS15_E_NS1_11comp_targetILNS1_3genE10ELNS1_11target_archE1200ELNS1_3gpuE4ELNS1_3repE0EEENS1_30default_config_static_selectorELNS0_4arch9wavefront6targetE1EEEvT1_.has_recursion, 0
	.set _ZN7rocprim17ROCPRIM_400000_NS6detail17trampoline_kernelINS0_14default_configENS1_25partition_config_selectorILNS1_17partition_subalgoE9EllbEEZZNS1_14partition_implILS5_9ELb0ES3_jPlS8_PNS0_10empty_typeENS0_5tupleIJS8_S9_EEENSB_IJS8_SA_EEENS0_18inequality_wrapperIZN2at6native12_GLOBAL__N_124unique_dim_cuda_templateIjEESt5tupleIJNSF_6TensorESK_SK_EERKSK_lbbbEUlllE0_EEPmJS9_EEE10hipError_tPvRmT3_T4_T5_T6_T7_T9_mT8_P12ihipStream_tbDpT10_ENKUlT_T0_E_clISt17integral_constantIbLb1EES19_IbLb0EEEEDaS15_S16_EUlS15_E_NS1_11comp_targetILNS1_3genE10ELNS1_11target_archE1200ELNS1_3gpuE4ELNS1_3repE0EEENS1_30default_config_static_selectorELNS0_4arch9wavefront6targetE1EEEvT1_.has_indirect_call, 0
	.section	.AMDGPU.csdata,"",@progbits
; Kernel info:
; codeLenInByte = 0
; TotalNumSgprs: 6
; NumVgprs: 0
; NumAgprs: 0
; TotalNumVgprs: 0
; ScratchSize: 0
; MemoryBound: 0
; FloatMode: 240
; IeeeMode: 1
; LDSByteSize: 0 bytes/workgroup (compile time only)
; SGPRBlocks: 0
; VGPRBlocks: 0
; NumSGPRsForWavesPerEU: 6
; NumVGPRsForWavesPerEU: 1
; AccumOffset: 4
; Occupancy: 8
; WaveLimiterHint : 0
; COMPUTE_PGM_RSRC2:SCRATCH_EN: 0
; COMPUTE_PGM_RSRC2:USER_SGPR: 2
; COMPUTE_PGM_RSRC2:TRAP_HANDLER: 0
; COMPUTE_PGM_RSRC2:TGID_X_EN: 1
; COMPUTE_PGM_RSRC2:TGID_Y_EN: 0
; COMPUTE_PGM_RSRC2:TGID_Z_EN: 0
; COMPUTE_PGM_RSRC2:TIDIG_COMP_CNT: 0
; COMPUTE_PGM_RSRC3_GFX90A:ACCUM_OFFSET: 0
; COMPUTE_PGM_RSRC3_GFX90A:TG_SPLIT: 0
	.section	.text._ZN7rocprim17ROCPRIM_400000_NS6detail17trampoline_kernelINS0_14default_configENS1_25partition_config_selectorILNS1_17partition_subalgoE9EllbEEZZNS1_14partition_implILS5_9ELb0ES3_jPlS8_PNS0_10empty_typeENS0_5tupleIJS8_S9_EEENSB_IJS8_SA_EEENS0_18inequality_wrapperIZN2at6native12_GLOBAL__N_124unique_dim_cuda_templateIjEESt5tupleIJNSF_6TensorESK_SK_EERKSK_lbbbEUlllE0_EEPmJS9_EEE10hipError_tPvRmT3_T4_T5_T6_T7_T9_mT8_P12ihipStream_tbDpT10_ENKUlT_T0_E_clISt17integral_constantIbLb1EES19_IbLb0EEEEDaS15_S16_EUlS15_E_NS1_11comp_targetILNS1_3genE9ELNS1_11target_archE1100ELNS1_3gpuE3ELNS1_3repE0EEENS1_30default_config_static_selectorELNS0_4arch9wavefront6targetE1EEEvT1_,"axG",@progbits,_ZN7rocprim17ROCPRIM_400000_NS6detail17trampoline_kernelINS0_14default_configENS1_25partition_config_selectorILNS1_17partition_subalgoE9EllbEEZZNS1_14partition_implILS5_9ELb0ES3_jPlS8_PNS0_10empty_typeENS0_5tupleIJS8_S9_EEENSB_IJS8_SA_EEENS0_18inequality_wrapperIZN2at6native12_GLOBAL__N_124unique_dim_cuda_templateIjEESt5tupleIJNSF_6TensorESK_SK_EERKSK_lbbbEUlllE0_EEPmJS9_EEE10hipError_tPvRmT3_T4_T5_T6_T7_T9_mT8_P12ihipStream_tbDpT10_ENKUlT_T0_E_clISt17integral_constantIbLb1EES19_IbLb0EEEEDaS15_S16_EUlS15_E_NS1_11comp_targetILNS1_3genE9ELNS1_11target_archE1100ELNS1_3gpuE3ELNS1_3repE0EEENS1_30default_config_static_selectorELNS0_4arch9wavefront6targetE1EEEvT1_,comdat
	.globl	_ZN7rocprim17ROCPRIM_400000_NS6detail17trampoline_kernelINS0_14default_configENS1_25partition_config_selectorILNS1_17partition_subalgoE9EllbEEZZNS1_14partition_implILS5_9ELb0ES3_jPlS8_PNS0_10empty_typeENS0_5tupleIJS8_S9_EEENSB_IJS8_SA_EEENS0_18inequality_wrapperIZN2at6native12_GLOBAL__N_124unique_dim_cuda_templateIjEESt5tupleIJNSF_6TensorESK_SK_EERKSK_lbbbEUlllE0_EEPmJS9_EEE10hipError_tPvRmT3_T4_T5_T6_T7_T9_mT8_P12ihipStream_tbDpT10_ENKUlT_T0_E_clISt17integral_constantIbLb1EES19_IbLb0EEEEDaS15_S16_EUlS15_E_NS1_11comp_targetILNS1_3genE9ELNS1_11target_archE1100ELNS1_3gpuE3ELNS1_3repE0EEENS1_30default_config_static_selectorELNS0_4arch9wavefront6targetE1EEEvT1_ ; -- Begin function _ZN7rocprim17ROCPRIM_400000_NS6detail17trampoline_kernelINS0_14default_configENS1_25partition_config_selectorILNS1_17partition_subalgoE9EllbEEZZNS1_14partition_implILS5_9ELb0ES3_jPlS8_PNS0_10empty_typeENS0_5tupleIJS8_S9_EEENSB_IJS8_SA_EEENS0_18inequality_wrapperIZN2at6native12_GLOBAL__N_124unique_dim_cuda_templateIjEESt5tupleIJNSF_6TensorESK_SK_EERKSK_lbbbEUlllE0_EEPmJS9_EEE10hipError_tPvRmT3_T4_T5_T6_T7_T9_mT8_P12ihipStream_tbDpT10_ENKUlT_T0_E_clISt17integral_constantIbLb1EES19_IbLb0EEEEDaS15_S16_EUlS15_E_NS1_11comp_targetILNS1_3genE9ELNS1_11target_archE1100ELNS1_3gpuE3ELNS1_3repE0EEENS1_30default_config_static_selectorELNS0_4arch9wavefront6targetE1EEEvT1_
	.p2align	8
	.type	_ZN7rocprim17ROCPRIM_400000_NS6detail17trampoline_kernelINS0_14default_configENS1_25partition_config_selectorILNS1_17partition_subalgoE9EllbEEZZNS1_14partition_implILS5_9ELb0ES3_jPlS8_PNS0_10empty_typeENS0_5tupleIJS8_S9_EEENSB_IJS8_SA_EEENS0_18inequality_wrapperIZN2at6native12_GLOBAL__N_124unique_dim_cuda_templateIjEESt5tupleIJNSF_6TensorESK_SK_EERKSK_lbbbEUlllE0_EEPmJS9_EEE10hipError_tPvRmT3_T4_T5_T6_T7_T9_mT8_P12ihipStream_tbDpT10_ENKUlT_T0_E_clISt17integral_constantIbLb1EES19_IbLb0EEEEDaS15_S16_EUlS15_E_NS1_11comp_targetILNS1_3genE9ELNS1_11target_archE1100ELNS1_3gpuE3ELNS1_3repE0EEENS1_30default_config_static_selectorELNS0_4arch9wavefront6targetE1EEEvT1_,@function
_ZN7rocprim17ROCPRIM_400000_NS6detail17trampoline_kernelINS0_14default_configENS1_25partition_config_selectorILNS1_17partition_subalgoE9EllbEEZZNS1_14partition_implILS5_9ELb0ES3_jPlS8_PNS0_10empty_typeENS0_5tupleIJS8_S9_EEENSB_IJS8_SA_EEENS0_18inequality_wrapperIZN2at6native12_GLOBAL__N_124unique_dim_cuda_templateIjEESt5tupleIJNSF_6TensorESK_SK_EERKSK_lbbbEUlllE0_EEPmJS9_EEE10hipError_tPvRmT3_T4_T5_T6_T7_T9_mT8_P12ihipStream_tbDpT10_ENKUlT_T0_E_clISt17integral_constantIbLb1EES19_IbLb0EEEEDaS15_S16_EUlS15_E_NS1_11comp_targetILNS1_3genE9ELNS1_11target_archE1100ELNS1_3gpuE3ELNS1_3repE0EEENS1_30default_config_static_selectorELNS0_4arch9wavefront6targetE1EEEvT1_: ; @_ZN7rocprim17ROCPRIM_400000_NS6detail17trampoline_kernelINS0_14default_configENS1_25partition_config_selectorILNS1_17partition_subalgoE9EllbEEZZNS1_14partition_implILS5_9ELb0ES3_jPlS8_PNS0_10empty_typeENS0_5tupleIJS8_S9_EEENSB_IJS8_SA_EEENS0_18inequality_wrapperIZN2at6native12_GLOBAL__N_124unique_dim_cuda_templateIjEESt5tupleIJNSF_6TensorESK_SK_EERKSK_lbbbEUlllE0_EEPmJS9_EEE10hipError_tPvRmT3_T4_T5_T6_T7_T9_mT8_P12ihipStream_tbDpT10_ENKUlT_T0_E_clISt17integral_constantIbLb1EES19_IbLb0EEEEDaS15_S16_EUlS15_E_NS1_11comp_targetILNS1_3genE9ELNS1_11target_archE1100ELNS1_3gpuE3ELNS1_3repE0EEENS1_30default_config_static_selectorELNS0_4arch9wavefront6targetE1EEEvT1_
; %bb.0:
	.section	.rodata,"a",@progbits
	.p2align	6, 0x0
	.amdhsa_kernel _ZN7rocprim17ROCPRIM_400000_NS6detail17trampoline_kernelINS0_14default_configENS1_25partition_config_selectorILNS1_17partition_subalgoE9EllbEEZZNS1_14partition_implILS5_9ELb0ES3_jPlS8_PNS0_10empty_typeENS0_5tupleIJS8_S9_EEENSB_IJS8_SA_EEENS0_18inequality_wrapperIZN2at6native12_GLOBAL__N_124unique_dim_cuda_templateIjEESt5tupleIJNSF_6TensorESK_SK_EERKSK_lbbbEUlllE0_EEPmJS9_EEE10hipError_tPvRmT3_T4_T5_T6_T7_T9_mT8_P12ihipStream_tbDpT10_ENKUlT_T0_E_clISt17integral_constantIbLb1EES19_IbLb0EEEEDaS15_S16_EUlS15_E_NS1_11comp_targetILNS1_3genE9ELNS1_11target_archE1100ELNS1_3gpuE3ELNS1_3repE0EEENS1_30default_config_static_selectorELNS0_4arch9wavefront6targetE1EEEvT1_
		.amdhsa_group_segment_fixed_size 0
		.amdhsa_private_segment_fixed_size 0
		.amdhsa_kernarg_size 120
		.amdhsa_user_sgpr_count 2
		.amdhsa_user_sgpr_dispatch_ptr 0
		.amdhsa_user_sgpr_queue_ptr 0
		.amdhsa_user_sgpr_kernarg_segment_ptr 1
		.amdhsa_user_sgpr_dispatch_id 0
		.amdhsa_user_sgpr_kernarg_preload_length 0
		.amdhsa_user_sgpr_kernarg_preload_offset 0
		.amdhsa_user_sgpr_private_segment_size 0
		.amdhsa_uses_dynamic_stack 0
		.amdhsa_enable_private_segment 0
		.amdhsa_system_sgpr_workgroup_id_x 1
		.amdhsa_system_sgpr_workgroup_id_y 0
		.amdhsa_system_sgpr_workgroup_id_z 0
		.amdhsa_system_sgpr_workgroup_info 0
		.amdhsa_system_vgpr_workitem_id 0
		.amdhsa_next_free_vgpr 1
		.amdhsa_next_free_sgpr 0
		.amdhsa_accum_offset 4
		.amdhsa_reserve_vcc 0
		.amdhsa_float_round_mode_32 0
		.amdhsa_float_round_mode_16_64 0
		.amdhsa_float_denorm_mode_32 3
		.amdhsa_float_denorm_mode_16_64 3
		.amdhsa_dx10_clamp 1
		.amdhsa_ieee_mode 1
		.amdhsa_fp16_overflow 0
		.amdhsa_tg_split 0
		.amdhsa_exception_fp_ieee_invalid_op 0
		.amdhsa_exception_fp_denorm_src 0
		.amdhsa_exception_fp_ieee_div_zero 0
		.amdhsa_exception_fp_ieee_overflow 0
		.amdhsa_exception_fp_ieee_underflow 0
		.amdhsa_exception_fp_ieee_inexact 0
		.amdhsa_exception_int_div_zero 0
	.end_amdhsa_kernel
	.section	.text._ZN7rocprim17ROCPRIM_400000_NS6detail17trampoline_kernelINS0_14default_configENS1_25partition_config_selectorILNS1_17partition_subalgoE9EllbEEZZNS1_14partition_implILS5_9ELb0ES3_jPlS8_PNS0_10empty_typeENS0_5tupleIJS8_S9_EEENSB_IJS8_SA_EEENS0_18inequality_wrapperIZN2at6native12_GLOBAL__N_124unique_dim_cuda_templateIjEESt5tupleIJNSF_6TensorESK_SK_EERKSK_lbbbEUlllE0_EEPmJS9_EEE10hipError_tPvRmT3_T4_T5_T6_T7_T9_mT8_P12ihipStream_tbDpT10_ENKUlT_T0_E_clISt17integral_constantIbLb1EES19_IbLb0EEEEDaS15_S16_EUlS15_E_NS1_11comp_targetILNS1_3genE9ELNS1_11target_archE1100ELNS1_3gpuE3ELNS1_3repE0EEENS1_30default_config_static_selectorELNS0_4arch9wavefront6targetE1EEEvT1_,"axG",@progbits,_ZN7rocprim17ROCPRIM_400000_NS6detail17trampoline_kernelINS0_14default_configENS1_25partition_config_selectorILNS1_17partition_subalgoE9EllbEEZZNS1_14partition_implILS5_9ELb0ES3_jPlS8_PNS0_10empty_typeENS0_5tupleIJS8_S9_EEENSB_IJS8_SA_EEENS0_18inequality_wrapperIZN2at6native12_GLOBAL__N_124unique_dim_cuda_templateIjEESt5tupleIJNSF_6TensorESK_SK_EERKSK_lbbbEUlllE0_EEPmJS9_EEE10hipError_tPvRmT3_T4_T5_T6_T7_T9_mT8_P12ihipStream_tbDpT10_ENKUlT_T0_E_clISt17integral_constantIbLb1EES19_IbLb0EEEEDaS15_S16_EUlS15_E_NS1_11comp_targetILNS1_3genE9ELNS1_11target_archE1100ELNS1_3gpuE3ELNS1_3repE0EEENS1_30default_config_static_selectorELNS0_4arch9wavefront6targetE1EEEvT1_,comdat
.Lfunc_end1595:
	.size	_ZN7rocprim17ROCPRIM_400000_NS6detail17trampoline_kernelINS0_14default_configENS1_25partition_config_selectorILNS1_17partition_subalgoE9EllbEEZZNS1_14partition_implILS5_9ELb0ES3_jPlS8_PNS0_10empty_typeENS0_5tupleIJS8_S9_EEENSB_IJS8_SA_EEENS0_18inequality_wrapperIZN2at6native12_GLOBAL__N_124unique_dim_cuda_templateIjEESt5tupleIJNSF_6TensorESK_SK_EERKSK_lbbbEUlllE0_EEPmJS9_EEE10hipError_tPvRmT3_T4_T5_T6_T7_T9_mT8_P12ihipStream_tbDpT10_ENKUlT_T0_E_clISt17integral_constantIbLb1EES19_IbLb0EEEEDaS15_S16_EUlS15_E_NS1_11comp_targetILNS1_3genE9ELNS1_11target_archE1100ELNS1_3gpuE3ELNS1_3repE0EEENS1_30default_config_static_selectorELNS0_4arch9wavefront6targetE1EEEvT1_, .Lfunc_end1595-_ZN7rocprim17ROCPRIM_400000_NS6detail17trampoline_kernelINS0_14default_configENS1_25partition_config_selectorILNS1_17partition_subalgoE9EllbEEZZNS1_14partition_implILS5_9ELb0ES3_jPlS8_PNS0_10empty_typeENS0_5tupleIJS8_S9_EEENSB_IJS8_SA_EEENS0_18inequality_wrapperIZN2at6native12_GLOBAL__N_124unique_dim_cuda_templateIjEESt5tupleIJNSF_6TensorESK_SK_EERKSK_lbbbEUlllE0_EEPmJS9_EEE10hipError_tPvRmT3_T4_T5_T6_T7_T9_mT8_P12ihipStream_tbDpT10_ENKUlT_T0_E_clISt17integral_constantIbLb1EES19_IbLb0EEEEDaS15_S16_EUlS15_E_NS1_11comp_targetILNS1_3genE9ELNS1_11target_archE1100ELNS1_3gpuE3ELNS1_3repE0EEENS1_30default_config_static_selectorELNS0_4arch9wavefront6targetE1EEEvT1_
                                        ; -- End function
	.set _ZN7rocprim17ROCPRIM_400000_NS6detail17trampoline_kernelINS0_14default_configENS1_25partition_config_selectorILNS1_17partition_subalgoE9EllbEEZZNS1_14partition_implILS5_9ELb0ES3_jPlS8_PNS0_10empty_typeENS0_5tupleIJS8_S9_EEENSB_IJS8_SA_EEENS0_18inequality_wrapperIZN2at6native12_GLOBAL__N_124unique_dim_cuda_templateIjEESt5tupleIJNSF_6TensorESK_SK_EERKSK_lbbbEUlllE0_EEPmJS9_EEE10hipError_tPvRmT3_T4_T5_T6_T7_T9_mT8_P12ihipStream_tbDpT10_ENKUlT_T0_E_clISt17integral_constantIbLb1EES19_IbLb0EEEEDaS15_S16_EUlS15_E_NS1_11comp_targetILNS1_3genE9ELNS1_11target_archE1100ELNS1_3gpuE3ELNS1_3repE0EEENS1_30default_config_static_selectorELNS0_4arch9wavefront6targetE1EEEvT1_.num_vgpr, 0
	.set _ZN7rocprim17ROCPRIM_400000_NS6detail17trampoline_kernelINS0_14default_configENS1_25partition_config_selectorILNS1_17partition_subalgoE9EllbEEZZNS1_14partition_implILS5_9ELb0ES3_jPlS8_PNS0_10empty_typeENS0_5tupleIJS8_S9_EEENSB_IJS8_SA_EEENS0_18inequality_wrapperIZN2at6native12_GLOBAL__N_124unique_dim_cuda_templateIjEESt5tupleIJNSF_6TensorESK_SK_EERKSK_lbbbEUlllE0_EEPmJS9_EEE10hipError_tPvRmT3_T4_T5_T6_T7_T9_mT8_P12ihipStream_tbDpT10_ENKUlT_T0_E_clISt17integral_constantIbLb1EES19_IbLb0EEEEDaS15_S16_EUlS15_E_NS1_11comp_targetILNS1_3genE9ELNS1_11target_archE1100ELNS1_3gpuE3ELNS1_3repE0EEENS1_30default_config_static_selectorELNS0_4arch9wavefront6targetE1EEEvT1_.num_agpr, 0
	.set _ZN7rocprim17ROCPRIM_400000_NS6detail17trampoline_kernelINS0_14default_configENS1_25partition_config_selectorILNS1_17partition_subalgoE9EllbEEZZNS1_14partition_implILS5_9ELb0ES3_jPlS8_PNS0_10empty_typeENS0_5tupleIJS8_S9_EEENSB_IJS8_SA_EEENS0_18inequality_wrapperIZN2at6native12_GLOBAL__N_124unique_dim_cuda_templateIjEESt5tupleIJNSF_6TensorESK_SK_EERKSK_lbbbEUlllE0_EEPmJS9_EEE10hipError_tPvRmT3_T4_T5_T6_T7_T9_mT8_P12ihipStream_tbDpT10_ENKUlT_T0_E_clISt17integral_constantIbLb1EES19_IbLb0EEEEDaS15_S16_EUlS15_E_NS1_11comp_targetILNS1_3genE9ELNS1_11target_archE1100ELNS1_3gpuE3ELNS1_3repE0EEENS1_30default_config_static_selectorELNS0_4arch9wavefront6targetE1EEEvT1_.numbered_sgpr, 0
	.set _ZN7rocprim17ROCPRIM_400000_NS6detail17trampoline_kernelINS0_14default_configENS1_25partition_config_selectorILNS1_17partition_subalgoE9EllbEEZZNS1_14partition_implILS5_9ELb0ES3_jPlS8_PNS0_10empty_typeENS0_5tupleIJS8_S9_EEENSB_IJS8_SA_EEENS0_18inequality_wrapperIZN2at6native12_GLOBAL__N_124unique_dim_cuda_templateIjEESt5tupleIJNSF_6TensorESK_SK_EERKSK_lbbbEUlllE0_EEPmJS9_EEE10hipError_tPvRmT3_T4_T5_T6_T7_T9_mT8_P12ihipStream_tbDpT10_ENKUlT_T0_E_clISt17integral_constantIbLb1EES19_IbLb0EEEEDaS15_S16_EUlS15_E_NS1_11comp_targetILNS1_3genE9ELNS1_11target_archE1100ELNS1_3gpuE3ELNS1_3repE0EEENS1_30default_config_static_selectorELNS0_4arch9wavefront6targetE1EEEvT1_.num_named_barrier, 0
	.set _ZN7rocprim17ROCPRIM_400000_NS6detail17trampoline_kernelINS0_14default_configENS1_25partition_config_selectorILNS1_17partition_subalgoE9EllbEEZZNS1_14partition_implILS5_9ELb0ES3_jPlS8_PNS0_10empty_typeENS0_5tupleIJS8_S9_EEENSB_IJS8_SA_EEENS0_18inequality_wrapperIZN2at6native12_GLOBAL__N_124unique_dim_cuda_templateIjEESt5tupleIJNSF_6TensorESK_SK_EERKSK_lbbbEUlllE0_EEPmJS9_EEE10hipError_tPvRmT3_T4_T5_T6_T7_T9_mT8_P12ihipStream_tbDpT10_ENKUlT_T0_E_clISt17integral_constantIbLb1EES19_IbLb0EEEEDaS15_S16_EUlS15_E_NS1_11comp_targetILNS1_3genE9ELNS1_11target_archE1100ELNS1_3gpuE3ELNS1_3repE0EEENS1_30default_config_static_selectorELNS0_4arch9wavefront6targetE1EEEvT1_.private_seg_size, 0
	.set _ZN7rocprim17ROCPRIM_400000_NS6detail17trampoline_kernelINS0_14default_configENS1_25partition_config_selectorILNS1_17partition_subalgoE9EllbEEZZNS1_14partition_implILS5_9ELb0ES3_jPlS8_PNS0_10empty_typeENS0_5tupleIJS8_S9_EEENSB_IJS8_SA_EEENS0_18inequality_wrapperIZN2at6native12_GLOBAL__N_124unique_dim_cuda_templateIjEESt5tupleIJNSF_6TensorESK_SK_EERKSK_lbbbEUlllE0_EEPmJS9_EEE10hipError_tPvRmT3_T4_T5_T6_T7_T9_mT8_P12ihipStream_tbDpT10_ENKUlT_T0_E_clISt17integral_constantIbLb1EES19_IbLb0EEEEDaS15_S16_EUlS15_E_NS1_11comp_targetILNS1_3genE9ELNS1_11target_archE1100ELNS1_3gpuE3ELNS1_3repE0EEENS1_30default_config_static_selectorELNS0_4arch9wavefront6targetE1EEEvT1_.uses_vcc, 0
	.set _ZN7rocprim17ROCPRIM_400000_NS6detail17trampoline_kernelINS0_14default_configENS1_25partition_config_selectorILNS1_17partition_subalgoE9EllbEEZZNS1_14partition_implILS5_9ELb0ES3_jPlS8_PNS0_10empty_typeENS0_5tupleIJS8_S9_EEENSB_IJS8_SA_EEENS0_18inequality_wrapperIZN2at6native12_GLOBAL__N_124unique_dim_cuda_templateIjEESt5tupleIJNSF_6TensorESK_SK_EERKSK_lbbbEUlllE0_EEPmJS9_EEE10hipError_tPvRmT3_T4_T5_T6_T7_T9_mT8_P12ihipStream_tbDpT10_ENKUlT_T0_E_clISt17integral_constantIbLb1EES19_IbLb0EEEEDaS15_S16_EUlS15_E_NS1_11comp_targetILNS1_3genE9ELNS1_11target_archE1100ELNS1_3gpuE3ELNS1_3repE0EEENS1_30default_config_static_selectorELNS0_4arch9wavefront6targetE1EEEvT1_.uses_flat_scratch, 0
	.set _ZN7rocprim17ROCPRIM_400000_NS6detail17trampoline_kernelINS0_14default_configENS1_25partition_config_selectorILNS1_17partition_subalgoE9EllbEEZZNS1_14partition_implILS5_9ELb0ES3_jPlS8_PNS0_10empty_typeENS0_5tupleIJS8_S9_EEENSB_IJS8_SA_EEENS0_18inequality_wrapperIZN2at6native12_GLOBAL__N_124unique_dim_cuda_templateIjEESt5tupleIJNSF_6TensorESK_SK_EERKSK_lbbbEUlllE0_EEPmJS9_EEE10hipError_tPvRmT3_T4_T5_T6_T7_T9_mT8_P12ihipStream_tbDpT10_ENKUlT_T0_E_clISt17integral_constantIbLb1EES19_IbLb0EEEEDaS15_S16_EUlS15_E_NS1_11comp_targetILNS1_3genE9ELNS1_11target_archE1100ELNS1_3gpuE3ELNS1_3repE0EEENS1_30default_config_static_selectorELNS0_4arch9wavefront6targetE1EEEvT1_.has_dyn_sized_stack, 0
	.set _ZN7rocprim17ROCPRIM_400000_NS6detail17trampoline_kernelINS0_14default_configENS1_25partition_config_selectorILNS1_17partition_subalgoE9EllbEEZZNS1_14partition_implILS5_9ELb0ES3_jPlS8_PNS0_10empty_typeENS0_5tupleIJS8_S9_EEENSB_IJS8_SA_EEENS0_18inequality_wrapperIZN2at6native12_GLOBAL__N_124unique_dim_cuda_templateIjEESt5tupleIJNSF_6TensorESK_SK_EERKSK_lbbbEUlllE0_EEPmJS9_EEE10hipError_tPvRmT3_T4_T5_T6_T7_T9_mT8_P12ihipStream_tbDpT10_ENKUlT_T0_E_clISt17integral_constantIbLb1EES19_IbLb0EEEEDaS15_S16_EUlS15_E_NS1_11comp_targetILNS1_3genE9ELNS1_11target_archE1100ELNS1_3gpuE3ELNS1_3repE0EEENS1_30default_config_static_selectorELNS0_4arch9wavefront6targetE1EEEvT1_.has_recursion, 0
	.set _ZN7rocprim17ROCPRIM_400000_NS6detail17trampoline_kernelINS0_14default_configENS1_25partition_config_selectorILNS1_17partition_subalgoE9EllbEEZZNS1_14partition_implILS5_9ELb0ES3_jPlS8_PNS0_10empty_typeENS0_5tupleIJS8_S9_EEENSB_IJS8_SA_EEENS0_18inequality_wrapperIZN2at6native12_GLOBAL__N_124unique_dim_cuda_templateIjEESt5tupleIJNSF_6TensorESK_SK_EERKSK_lbbbEUlllE0_EEPmJS9_EEE10hipError_tPvRmT3_T4_T5_T6_T7_T9_mT8_P12ihipStream_tbDpT10_ENKUlT_T0_E_clISt17integral_constantIbLb1EES19_IbLb0EEEEDaS15_S16_EUlS15_E_NS1_11comp_targetILNS1_3genE9ELNS1_11target_archE1100ELNS1_3gpuE3ELNS1_3repE0EEENS1_30default_config_static_selectorELNS0_4arch9wavefront6targetE1EEEvT1_.has_indirect_call, 0
	.section	.AMDGPU.csdata,"",@progbits
; Kernel info:
; codeLenInByte = 0
; TotalNumSgprs: 6
; NumVgprs: 0
; NumAgprs: 0
; TotalNumVgprs: 0
; ScratchSize: 0
; MemoryBound: 0
; FloatMode: 240
; IeeeMode: 1
; LDSByteSize: 0 bytes/workgroup (compile time only)
; SGPRBlocks: 0
; VGPRBlocks: 0
; NumSGPRsForWavesPerEU: 6
; NumVGPRsForWavesPerEU: 1
; AccumOffset: 4
; Occupancy: 8
; WaveLimiterHint : 0
; COMPUTE_PGM_RSRC2:SCRATCH_EN: 0
; COMPUTE_PGM_RSRC2:USER_SGPR: 2
; COMPUTE_PGM_RSRC2:TRAP_HANDLER: 0
; COMPUTE_PGM_RSRC2:TGID_X_EN: 1
; COMPUTE_PGM_RSRC2:TGID_Y_EN: 0
; COMPUTE_PGM_RSRC2:TGID_Z_EN: 0
; COMPUTE_PGM_RSRC2:TIDIG_COMP_CNT: 0
; COMPUTE_PGM_RSRC3_GFX90A:ACCUM_OFFSET: 0
; COMPUTE_PGM_RSRC3_GFX90A:TG_SPLIT: 0
	.section	.text._ZN7rocprim17ROCPRIM_400000_NS6detail17trampoline_kernelINS0_14default_configENS1_25partition_config_selectorILNS1_17partition_subalgoE9EllbEEZZNS1_14partition_implILS5_9ELb0ES3_jPlS8_PNS0_10empty_typeENS0_5tupleIJS8_S9_EEENSB_IJS8_SA_EEENS0_18inequality_wrapperIZN2at6native12_GLOBAL__N_124unique_dim_cuda_templateIjEESt5tupleIJNSF_6TensorESK_SK_EERKSK_lbbbEUlllE0_EEPmJS9_EEE10hipError_tPvRmT3_T4_T5_T6_T7_T9_mT8_P12ihipStream_tbDpT10_ENKUlT_T0_E_clISt17integral_constantIbLb1EES19_IbLb0EEEEDaS15_S16_EUlS15_E_NS1_11comp_targetILNS1_3genE8ELNS1_11target_archE1030ELNS1_3gpuE2ELNS1_3repE0EEENS1_30default_config_static_selectorELNS0_4arch9wavefront6targetE1EEEvT1_,"axG",@progbits,_ZN7rocprim17ROCPRIM_400000_NS6detail17trampoline_kernelINS0_14default_configENS1_25partition_config_selectorILNS1_17partition_subalgoE9EllbEEZZNS1_14partition_implILS5_9ELb0ES3_jPlS8_PNS0_10empty_typeENS0_5tupleIJS8_S9_EEENSB_IJS8_SA_EEENS0_18inequality_wrapperIZN2at6native12_GLOBAL__N_124unique_dim_cuda_templateIjEESt5tupleIJNSF_6TensorESK_SK_EERKSK_lbbbEUlllE0_EEPmJS9_EEE10hipError_tPvRmT3_T4_T5_T6_T7_T9_mT8_P12ihipStream_tbDpT10_ENKUlT_T0_E_clISt17integral_constantIbLb1EES19_IbLb0EEEEDaS15_S16_EUlS15_E_NS1_11comp_targetILNS1_3genE8ELNS1_11target_archE1030ELNS1_3gpuE2ELNS1_3repE0EEENS1_30default_config_static_selectorELNS0_4arch9wavefront6targetE1EEEvT1_,comdat
	.globl	_ZN7rocprim17ROCPRIM_400000_NS6detail17trampoline_kernelINS0_14default_configENS1_25partition_config_selectorILNS1_17partition_subalgoE9EllbEEZZNS1_14partition_implILS5_9ELb0ES3_jPlS8_PNS0_10empty_typeENS0_5tupleIJS8_S9_EEENSB_IJS8_SA_EEENS0_18inequality_wrapperIZN2at6native12_GLOBAL__N_124unique_dim_cuda_templateIjEESt5tupleIJNSF_6TensorESK_SK_EERKSK_lbbbEUlllE0_EEPmJS9_EEE10hipError_tPvRmT3_T4_T5_T6_T7_T9_mT8_P12ihipStream_tbDpT10_ENKUlT_T0_E_clISt17integral_constantIbLb1EES19_IbLb0EEEEDaS15_S16_EUlS15_E_NS1_11comp_targetILNS1_3genE8ELNS1_11target_archE1030ELNS1_3gpuE2ELNS1_3repE0EEENS1_30default_config_static_selectorELNS0_4arch9wavefront6targetE1EEEvT1_ ; -- Begin function _ZN7rocprim17ROCPRIM_400000_NS6detail17trampoline_kernelINS0_14default_configENS1_25partition_config_selectorILNS1_17partition_subalgoE9EllbEEZZNS1_14partition_implILS5_9ELb0ES3_jPlS8_PNS0_10empty_typeENS0_5tupleIJS8_S9_EEENSB_IJS8_SA_EEENS0_18inequality_wrapperIZN2at6native12_GLOBAL__N_124unique_dim_cuda_templateIjEESt5tupleIJNSF_6TensorESK_SK_EERKSK_lbbbEUlllE0_EEPmJS9_EEE10hipError_tPvRmT3_T4_T5_T6_T7_T9_mT8_P12ihipStream_tbDpT10_ENKUlT_T0_E_clISt17integral_constantIbLb1EES19_IbLb0EEEEDaS15_S16_EUlS15_E_NS1_11comp_targetILNS1_3genE8ELNS1_11target_archE1030ELNS1_3gpuE2ELNS1_3repE0EEENS1_30default_config_static_selectorELNS0_4arch9wavefront6targetE1EEEvT1_
	.p2align	8
	.type	_ZN7rocprim17ROCPRIM_400000_NS6detail17trampoline_kernelINS0_14default_configENS1_25partition_config_selectorILNS1_17partition_subalgoE9EllbEEZZNS1_14partition_implILS5_9ELb0ES3_jPlS8_PNS0_10empty_typeENS0_5tupleIJS8_S9_EEENSB_IJS8_SA_EEENS0_18inequality_wrapperIZN2at6native12_GLOBAL__N_124unique_dim_cuda_templateIjEESt5tupleIJNSF_6TensorESK_SK_EERKSK_lbbbEUlllE0_EEPmJS9_EEE10hipError_tPvRmT3_T4_T5_T6_T7_T9_mT8_P12ihipStream_tbDpT10_ENKUlT_T0_E_clISt17integral_constantIbLb1EES19_IbLb0EEEEDaS15_S16_EUlS15_E_NS1_11comp_targetILNS1_3genE8ELNS1_11target_archE1030ELNS1_3gpuE2ELNS1_3repE0EEENS1_30default_config_static_selectorELNS0_4arch9wavefront6targetE1EEEvT1_,@function
_ZN7rocprim17ROCPRIM_400000_NS6detail17trampoline_kernelINS0_14default_configENS1_25partition_config_selectorILNS1_17partition_subalgoE9EllbEEZZNS1_14partition_implILS5_9ELb0ES3_jPlS8_PNS0_10empty_typeENS0_5tupleIJS8_S9_EEENSB_IJS8_SA_EEENS0_18inequality_wrapperIZN2at6native12_GLOBAL__N_124unique_dim_cuda_templateIjEESt5tupleIJNSF_6TensorESK_SK_EERKSK_lbbbEUlllE0_EEPmJS9_EEE10hipError_tPvRmT3_T4_T5_T6_T7_T9_mT8_P12ihipStream_tbDpT10_ENKUlT_T0_E_clISt17integral_constantIbLb1EES19_IbLb0EEEEDaS15_S16_EUlS15_E_NS1_11comp_targetILNS1_3genE8ELNS1_11target_archE1030ELNS1_3gpuE2ELNS1_3repE0EEENS1_30default_config_static_selectorELNS0_4arch9wavefront6targetE1EEEvT1_: ; @_ZN7rocprim17ROCPRIM_400000_NS6detail17trampoline_kernelINS0_14default_configENS1_25partition_config_selectorILNS1_17partition_subalgoE9EllbEEZZNS1_14partition_implILS5_9ELb0ES3_jPlS8_PNS0_10empty_typeENS0_5tupleIJS8_S9_EEENSB_IJS8_SA_EEENS0_18inequality_wrapperIZN2at6native12_GLOBAL__N_124unique_dim_cuda_templateIjEESt5tupleIJNSF_6TensorESK_SK_EERKSK_lbbbEUlllE0_EEPmJS9_EEE10hipError_tPvRmT3_T4_T5_T6_T7_T9_mT8_P12ihipStream_tbDpT10_ENKUlT_T0_E_clISt17integral_constantIbLb1EES19_IbLb0EEEEDaS15_S16_EUlS15_E_NS1_11comp_targetILNS1_3genE8ELNS1_11target_archE1030ELNS1_3gpuE2ELNS1_3repE0EEENS1_30default_config_static_selectorELNS0_4arch9wavefront6targetE1EEEvT1_
; %bb.0:
	.section	.rodata,"a",@progbits
	.p2align	6, 0x0
	.amdhsa_kernel _ZN7rocprim17ROCPRIM_400000_NS6detail17trampoline_kernelINS0_14default_configENS1_25partition_config_selectorILNS1_17partition_subalgoE9EllbEEZZNS1_14partition_implILS5_9ELb0ES3_jPlS8_PNS0_10empty_typeENS0_5tupleIJS8_S9_EEENSB_IJS8_SA_EEENS0_18inequality_wrapperIZN2at6native12_GLOBAL__N_124unique_dim_cuda_templateIjEESt5tupleIJNSF_6TensorESK_SK_EERKSK_lbbbEUlllE0_EEPmJS9_EEE10hipError_tPvRmT3_T4_T5_T6_T7_T9_mT8_P12ihipStream_tbDpT10_ENKUlT_T0_E_clISt17integral_constantIbLb1EES19_IbLb0EEEEDaS15_S16_EUlS15_E_NS1_11comp_targetILNS1_3genE8ELNS1_11target_archE1030ELNS1_3gpuE2ELNS1_3repE0EEENS1_30default_config_static_selectorELNS0_4arch9wavefront6targetE1EEEvT1_
		.amdhsa_group_segment_fixed_size 0
		.amdhsa_private_segment_fixed_size 0
		.amdhsa_kernarg_size 120
		.amdhsa_user_sgpr_count 2
		.amdhsa_user_sgpr_dispatch_ptr 0
		.amdhsa_user_sgpr_queue_ptr 0
		.amdhsa_user_sgpr_kernarg_segment_ptr 1
		.amdhsa_user_sgpr_dispatch_id 0
		.amdhsa_user_sgpr_kernarg_preload_length 0
		.amdhsa_user_sgpr_kernarg_preload_offset 0
		.amdhsa_user_sgpr_private_segment_size 0
		.amdhsa_uses_dynamic_stack 0
		.amdhsa_enable_private_segment 0
		.amdhsa_system_sgpr_workgroup_id_x 1
		.amdhsa_system_sgpr_workgroup_id_y 0
		.amdhsa_system_sgpr_workgroup_id_z 0
		.amdhsa_system_sgpr_workgroup_info 0
		.amdhsa_system_vgpr_workitem_id 0
		.amdhsa_next_free_vgpr 1
		.amdhsa_next_free_sgpr 0
		.amdhsa_accum_offset 4
		.amdhsa_reserve_vcc 0
		.amdhsa_float_round_mode_32 0
		.amdhsa_float_round_mode_16_64 0
		.amdhsa_float_denorm_mode_32 3
		.amdhsa_float_denorm_mode_16_64 3
		.amdhsa_dx10_clamp 1
		.amdhsa_ieee_mode 1
		.amdhsa_fp16_overflow 0
		.amdhsa_tg_split 0
		.amdhsa_exception_fp_ieee_invalid_op 0
		.amdhsa_exception_fp_denorm_src 0
		.amdhsa_exception_fp_ieee_div_zero 0
		.amdhsa_exception_fp_ieee_overflow 0
		.amdhsa_exception_fp_ieee_underflow 0
		.amdhsa_exception_fp_ieee_inexact 0
		.amdhsa_exception_int_div_zero 0
	.end_amdhsa_kernel
	.section	.text._ZN7rocprim17ROCPRIM_400000_NS6detail17trampoline_kernelINS0_14default_configENS1_25partition_config_selectorILNS1_17partition_subalgoE9EllbEEZZNS1_14partition_implILS5_9ELb0ES3_jPlS8_PNS0_10empty_typeENS0_5tupleIJS8_S9_EEENSB_IJS8_SA_EEENS0_18inequality_wrapperIZN2at6native12_GLOBAL__N_124unique_dim_cuda_templateIjEESt5tupleIJNSF_6TensorESK_SK_EERKSK_lbbbEUlllE0_EEPmJS9_EEE10hipError_tPvRmT3_T4_T5_T6_T7_T9_mT8_P12ihipStream_tbDpT10_ENKUlT_T0_E_clISt17integral_constantIbLb1EES19_IbLb0EEEEDaS15_S16_EUlS15_E_NS1_11comp_targetILNS1_3genE8ELNS1_11target_archE1030ELNS1_3gpuE2ELNS1_3repE0EEENS1_30default_config_static_selectorELNS0_4arch9wavefront6targetE1EEEvT1_,"axG",@progbits,_ZN7rocprim17ROCPRIM_400000_NS6detail17trampoline_kernelINS0_14default_configENS1_25partition_config_selectorILNS1_17partition_subalgoE9EllbEEZZNS1_14partition_implILS5_9ELb0ES3_jPlS8_PNS0_10empty_typeENS0_5tupleIJS8_S9_EEENSB_IJS8_SA_EEENS0_18inequality_wrapperIZN2at6native12_GLOBAL__N_124unique_dim_cuda_templateIjEESt5tupleIJNSF_6TensorESK_SK_EERKSK_lbbbEUlllE0_EEPmJS9_EEE10hipError_tPvRmT3_T4_T5_T6_T7_T9_mT8_P12ihipStream_tbDpT10_ENKUlT_T0_E_clISt17integral_constantIbLb1EES19_IbLb0EEEEDaS15_S16_EUlS15_E_NS1_11comp_targetILNS1_3genE8ELNS1_11target_archE1030ELNS1_3gpuE2ELNS1_3repE0EEENS1_30default_config_static_selectorELNS0_4arch9wavefront6targetE1EEEvT1_,comdat
.Lfunc_end1596:
	.size	_ZN7rocprim17ROCPRIM_400000_NS6detail17trampoline_kernelINS0_14default_configENS1_25partition_config_selectorILNS1_17partition_subalgoE9EllbEEZZNS1_14partition_implILS5_9ELb0ES3_jPlS8_PNS0_10empty_typeENS0_5tupleIJS8_S9_EEENSB_IJS8_SA_EEENS0_18inequality_wrapperIZN2at6native12_GLOBAL__N_124unique_dim_cuda_templateIjEESt5tupleIJNSF_6TensorESK_SK_EERKSK_lbbbEUlllE0_EEPmJS9_EEE10hipError_tPvRmT3_T4_T5_T6_T7_T9_mT8_P12ihipStream_tbDpT10_ENKUlT_T0_E_clISt17integral_constantIbLb1EES19_IbLb0EEEEDaS15_S16_EUlS15_E_NS1_11comp_targetILNS1_3genE8ELNS1_11target_archE1030ELNS1_3gpuE2ELNS1_3repE0EEENS1_30default_config_static_selectorELNS0_4arch9wavefront6targetE1EEEvT1_, .Lfunc_end1596-_ZN7rocprim17ROCPRIM_400000_NS6detail17trampoline_kernelINS0_14default_configENS1_25partition_config_selectorILNS1_17partition_subalgoE9EllbEEZZNS1_14partition_implILS5_9ELb0ES3_jPlS8_PNS0_10empty_typeENS0_5tupleIJS8_S9_EEENSB_IJS8_SA_EEENS0_18inequality_wrapperIZN2at6native12_GLOBAL__N_124unique_dim_cuda_templateIjEESt5tupleIJNSF_6TensorESK_SK_EERKSK_lbbbEUlllE0_EEPmJS9_EEE10hipError_tPvRmT3_T4_T5_T6_T7_T9_mT8_P12ihipStream_tbDpT10_ENKUlT_T0_E_clISt17integral_constantIbLb1EES19_IbLb0EEEEDaS15_S16_EUlS15_E_NS1_11comp_targetILNS1_3genE8ELNS1_11target_archE1030ELNS1_3gpuE2ELNS1_3repE0EEENS1_30default_config_static_selectorELNS0_4arch9wavefront6targetE1EEEvT1_
                                        ; -- End function
	.set _ZN7rocprim17ROCPRIM_400000_NS6detail17trampoline_kernelINS0_14default_configENS1_25partition_config_selectorILNS1_17partition_subalgoE9EllbEEZZNS1_14partition_implILS5_9ELb0ES3_jPlS8_PNS0_10empty_typeENS0_5tupleIJS8_S9_EEENSB_IJS8_SA_EEENS0_18inequality_wrapperIZN2at6native12_GLOBAL__N_124unique_dim_cuda_templateIjEESt5tupleIJNSF_6TensorESK_SK_EERKSK_lbbbEUlllE0_EEPmJS9_EEE10hipError_tPvRmT3_T4_T5_T6_T7_T9_mT8_P12ihipStream_tbDpT10_ENKUlT_T0_E_clISt17integral_constantIbLb1EES19_IbLb0EEEEDaS15_S16_EUlS15_E_NS1_11comp_targetILNS1_3genE8ELNS1_11target_archE1030ELNS1_3gpuE2ELNS1_3repE0EEENS1_30default_config_static_selectorELNS0_4arch9wavefront6targetE1EEEvT1_.num_vgpr, 0
	.set _ZN7rocprim17ROCPRIM_400000_NS6detail17trampoline_kernelINS0_14default_configENS1_25partition_config_selectorILNS1_17partition_subalgoE9EllbEEZZNS1_14partition_implILS5_9ELb0ES3_jPlS8_PNS0_10empty_typeENS0_5tupleIJS8_S9_EEENSB_IJS8_SA_EEENS0_18inequality_wrapperIZN2at6native12_GLOBAL__N_124unique_dim_cuda_templateIjEESt5tupleIJNSF_6TensorESK_SK_EERKSK_lbbbEUlllE0_EEPmJS9_EEE10hipError_tPvRmT3_T4_T5_T6_T7_T9_mT8_P12ihipStream_tbDpT10_ENKUlT_T0_E_clISt17integral_constantIbLb1EES19_IbLb0EEEEDaS15_S16_EUlS15_E_NS1_11comp_targetILNS1_3genE8ELNS1_11target_archE1030ELNS1_3gpuE2ELNS1_3repE0EEENS1_30default_config_static_selectorELNS0_4arch9wavefront6targetE1EEEvT1_.num_agpr, 0
	.set _ZN7rocprim17ROCPRIM_400000_NS6detail17trampoline_kernelINS0_14default_configENS1_25partition_config_selectorILNS1_17partition_subalgoE9EllbEEZZNS1_14partition_implILS5_9ELb0ES3_jPlS8_PNS0_10empty_typeENS0_5tupleIJS8_S9_EEENSB_IJS8_SA_EEENS0_18inequality_wrapperIZN2at6native12_GLOBAL__N_124unique_dim_cuda_templateIjEESt5tupleIJNSF_6TensorESK_SK_EERKSK_lbbbEUlllE0_EEPmJS9_EEE10hipError_tPvRmT3_T4_T5_T6_T7_T9_mT8_P12ihipStream_tbDpT10_ENKUlT_T0_E_clISt17integral_constantIbLb1EES19_IbLb0EEEEDaS15_S16_EUlS15_E_NS1_11comp_targetILNS1_3genE8ELNS1_11target_archE1030ELNS1_3gpuE2ELNS1_3repE0EEENS1_30default_config_static_selectorELNS0_4arch9wavefront6targetE1EEEvT1_.numbered_sgpr, 0
	.set _ZN7rocprim17ROCPRIM_400000_NS6detail17trampoline_kernelINS0_14default_configENS1_25partition_config_selectorILNS1_17partition_subalgoE9EllbEEZZNS1_14partition_implILS5_9ELb0ES3_jPlS8_PNS0_10empty_typeENS0_5tupleIJS8_S9_EEENSB_IJS8_SA_EEENS0_18inequality_wrapperIZN2at6native12_GLOBAL__N_124unique_dim_cuda_templateIjEESt5tupleIJNSF_6TensorESK_SK_EERKSK_lbbbEUlllE0_EEPmJS9_EEE10hipError_tPvRmT3_T4_T5_T6_T7_T9_mT8_P12ihipStream_tbDpT10_ENKUlT_T0_E_clISt17integral_constantIbLb1EES19_IbLb0EEEEDaS15_S16_EUlS15_E_NS1_11comp_targetILNS1_3genE8ELNS1_11target_archE1030ELNS1_3gpuE2ELNS1_3repE0EEENS1_30default_config_static_selectorELNS0_4arch9wavefront6targetE1EEEvT1_.num_named_barrier, 0
	.set _ZN7rocprim17ROCPRIM_400000_NS6detail17trampoline_kernelINS0_14default_configENS1_25partition_config_selectorILNS1_17partition_subalgoE9EllbEEZZNS1_14partition_implILS5_9ELb0ES3_jPlS8_PNS0_10empty_typeENS0_5tupleIJS8_S9_EEENSB_IJS8_SA_EEENS0_18inequality_wrapperIZN2at6native12_GLOBAL__N_124unique_dim_cuda_templateIjEESt5tupleIJNSF_6TensorESK_SK_EERKSK_lbbbEUlllE0_EEPmJS9_EEE10hipError_tPvRmT3_T4_T5_T6_T7_T9_mT8_P12ihipStream_tbDpT10_ENKUlT_T0_E_clISt17integral_constantIbLb1EES19_IbLb0EEEEDaS15_S16_EUlS15_E_NS1_11comp_targetILNS1_3genE8ELNS1_11target_archE1030ELNS1_3gpuE2ELNS1_3repE0EEENS1_30default_config_static_selectorELNS0_4arch9wavefront6targetE1EEEvT1_.private_seg_size, 0
	.set _ZN7rocprim17ROCPRIM_400000_NS6detail17trampoline_kernelINS0_14default_configENS1_25partition_config_selectorILNS1_17partition_subalgoE9EllbEEZZNS1_14partition_implILS5_9ELb0ES3_jPlS8_PNS0_10empty_typeENS0_5tupleIJS8_S9_EEENSB_IJS8_SA_EEENS0_18inequality_wrapperIZN2at6native12_GLOBAL__N_124unique_dim_cuda_templateIjEESt5tupleIJNSF_6TensorESK_SK_EERKSK_lbbbEUlllE0_EEPmJS9_EEE10hipError_tPvRmT3_T4_T5_T6_T7_T9_mT8_P12ihipStream_tbDpT10_ENKUlT_T0_E_clISt17integral_constantIbLb1EES19_IbLb0EEEEDaS15_S16_EUlS15_E_NS1_11comp_targetILNS1_3genE8ELNS1_11target_archE1030ELNS1_3gpuE2ELNS1_3repE0EEENS1_30default_config_static_selectorELNS0_4arch9wavefront6targetE1EEEvT1_.uses_vcc, 0
	.set _ZN7rocprim17ROCPRIM_400000_NS6detail17trampoline_kernelINS0_14default_configENS1_25partition_config_selectorILNS1_17partition_subalgoE9EllbEEZZNS1_14partition_implILS5_9ELb0ES3_jPlS8_PNS0_10empty_typeENS0_5tupleIJS8_S9_EEENSB_IJS8_SA_EEENS0_18inequality_wrapperIZN2at6native12_GLOBAL__N_124unique_dim_cuda_templateIjEESt5tupleIJNSF_6TensorESK_SK_EERKSK_lbbbEUlllE0_EEPmJS9_EEE10hipError_tPvRmT3_T4_T5_T6_T7_T9_mT8_P12ihipStream_tbDpT10_ENKUlT_T0_E_clISt17integral_constantIbLb1EES19_IbLb0EEEEDaS15_S16_EUlS15_E_NS1_11comp_targetILNS1_3genE8ELNS1_11target_archE1030ELNS1_3gpuE2ELNS1_3repE0EEENS1_30default_config_static_selectorELNS0_4arch9wavefront6targetE1EEEvT1_.uses_flat_scratch, 0
	.set _ZN7rocprim17ROCPRIM_400000_NS6detail17trampoline_kernelINS0_14default_configENS1_25partition_config_selectorILNS1_17partition_subalgoE9EllbEEZZNS1_14partition_implILS5_9ELb0ES3_jPlS8_PNS0_10empty_typeENS0_5tupleIJS8_S9_EEENSB_IJS8_SA_EEENS0_18inequality_wrapperIZN2at6native12_GLOBAL__N_124unique_dim_cuda_templateIjEESt5tupleIJNSF_6TensorESK_SK_EERKSK_lbbbEUlllE0_EEPmJS9_EEE10hipError_tPvRmT3_T4_T5_T6_T7_T9_mT8_P12ihipStream_tbDpT10_ENKUlT_T0_E_clISt17integral_constantIbLb1EES19_IbLb0EEEEDaS15_S16_EUlS15_E_NS1_11comp_targetILNS1_3genE8ELNS1_11target_archE1030ELNS1_3gpuE2ELNS1_3repE0EEENS1_30default_config_static_selectorELNS0_4arch9wavefront6targetE1EEEvT1_.has_dyn_sized_stack, 0
	.set _ZN7rocprim17ROCPRIM_400000_NS6detail17trampoline_kernelINS0_14default_configENS1_25partition_config_selectorILNS1_17partition_subalgoE9EllbEEZZNS1_14partition_implILS5_9ELb0ES3_jPlS8_PNS0_10empty_typeENS0_5tupleIJS8_S9_EEENSB_IJS8_SA_EEENS0_18inequality_wrapperIZN2at6native12_GLOBAL__N_124unique_dim_cuda_templateIjEESt5tupleIJNSF_6TensorESK_SK_EERKSK_lbbbEUlllE0_EEPmJS9_EEE10hipError_tPvRmT3_T4_T5_T6_T7_T9_mT8_P12ihipStream_tbDpT10_ENKUlT_T0_E_clISt17integral_constantIbLb1EES19_IbLb0EEEEDaS15_S16_EUlS15_E_NS1_11comp_targetILNS1_3genE8ELNS1_11target_archE1030ELNS1_3gpuE2ELNS1_3repE0EEENS1_30default_config_static_selectorELNS0_4arch9wavefront6targetE1EEEvT1_.has_recursion, 0
	.set _ZN7rocprim17ROCPRIM_400000_NS6detail17trampoline_kernelINS0_14default_configENS1_25partition_config_selectorILNS1_17partition_subalgoE9EllbEEZZNS1_14partition_implILS5_9ELb0ES3_jPlS8_PNS0_10empty_typeENS0_5tupleIJS8_S9_EEENSB_IJS8_SA_EEENS0_18inequality_wrapperIZN2at6native12_GLOBAL__N_124unique_dim_cuda_templateIjEESt5tupleIJNSF_6TensorESK_SK_EERKSK_lbbbEUlllE0_EEPmJS9_EEE10hipError_tPvRmT3_T4_T5_T6_T7_T9_mT8_P12ihipStream_tbDpT10_ENKUlT_T0_E_clISt17integral_constantIbLb1EES19_IbLb0EEEEDaS15_S16_EUlS15_E_NS1_11comp_targetILNS1_3genE8ELNS1_11target_archE1030ELNS1_3gpuE2ELNS1_3repE0EEENS1_30default_config_static_selectorELNS0_4arch9wavefront6targetE1EEEvT1_.has_indirect_call, 0
	.section	.AMDGPU.csdata,"",@progbits
; Kernel info:
; codeLenInByte = 0
; TotalNumSgprs: 6
; NumVgprs: 0
; NumAgprs: 0
; TotalNumVgprs: 0
; ScratchSize: 0
; MemoryBound: 0
; FloatMode: 240
; IeeeMode: 1
; LDSByteSize: 0 bytes/workgroup (compile time only)
; SGPRBlocks: 0
; VGPRBlocks: 0
; NumSGPRsForWavesPerEU: 6
; NumVGPRsForWavesPerEU: 1
; AccumOffset: 4
; Occupancy: 8
; WaveLimiterHint : 0
; COMPUTE_PGM_RSRC2:SCRATCH_EN: 0
; COMPUTE_PGM_RSRC2:USER_SGPR: 2
; COMPUTE_PGM_RSRC2:TRAP_HANDLER: 0
; COMPUTE_PGM_RSRC2:TGID_X_EN: 1
; COMPUTE_PGM_RSRC2:TGID_Y_EN: 0
; COMPUTE_PGM_RSRC2:TGID_Z_EN: 0
; COMPUTE_PGM_RSRC2:TIDIG_COMP_CNT: 0
; COMPUTE_PGM_RSRC3_GFX90A:ACCUM_OFFSET: 0
; COMPUTE_PGM_RSRC3_GFX90A:TG_SPLIT: 0
	.section	.text._ZN7rocprim17ROCPRIM_400000_NS6detail17trampoline_kernelINS0_14default_configENS1_25partition_config_selectorILNS1_17partition_subalgoE9EllbEEZZNS1_14partition_implILS5_9ELb0ES3_jPlS8_PNS0_10empty_typeENS0_5tupleIJS8_S9_EEENSB_IJS8_SA_EEENS0_18inequality_wrapperIZN2at6native12_GLOBAL__N_124unique_dim_cuda_templateIjEESt5tupleIJNSF_6TensorESK_SK_EERKSK_lbbbEUlllE0_EEPmJS9_EEE10hipError_tPvRmT3_T4_T5_T6_T7_T9_mT8_P12ihipStream_tbDpT10_ENKUlT_T0_E_clISt17integral_constantIbLb0EES19_IbLb1EEEEDaS15_S16_EUlS15_E_NS1_11comp_targetILNS1_3genE0ELNS1_11target_archE4294967295ELNS1_3gpuE0ELNS1_3repE0EEENS1_30default_config_static_selectorELNS0_4arch9wavefront6targetE1EEEvT1_,"axG",@progbits,_ZN7rocprim17ROCPRIM_400000_NS6detail17trampoline_kernelINS0_14default_configENS1_25partition_config_selectorILNS1_17partition_subalgoE9EllbEEZZNS1_14partition_implILS5_9ELb0ES3_jPlS8_PNS0_10empty_typeENS0_5tupleIJS8_S9_EEENSB_IJS8_SA_EEENS0_18inequality_wrapperIZN2at6native12_GLOBAL__N_124unique_dim_cuda_templateIjEESt5tupleIJNSF_6TensorESK_SK_EERKSK_lbbbEUlllE0_EEPmJS9_EEE10hipError_tPvRmT3_T4_T5_T6_T7_T9_mT8_P12ihipStream_tbDpT10_ENKUlT_T0_E_clISt17integral_constantIbLb0EES19_IbLb1EEEEDaS15_S16_EUlS15_E_NS1_11comp_targetILNS1_3genE0ELNS1_11target_archE4294967295ELNS1_3gpuE0ELNS1_3repE0EEENS1_30default_config_static_selectorELNS0_4arch9wavefront6targetE1EEEvT1_,comdat
	.globl	_ZN7rocprim17ROCPRIM_400000_NS6detail17trampoline_kernelINS0_14default_configENS1_25partition_config_selectorILNS1_17partition_subalgoE9EllbEEZZNS1_14partition_implILS5_9ELb0ES3_jPlS8_PNS0_10empty_typeENS0_5tupleIJS8_S9_EEENSB_IJS8_SA_EEENS0_18inequality_wrapperIZN2at6native12_GLOBAL__N_124unique_dim_cuda_templateIjEESt5tupleIJNSF_6TensorESK_SK_EERKSK_lbbbEUlllE0_EEPmJS9_EEE10hipError_tPvRmT3_T4_T5_T6_T7_T9_mT8_P12ihipStream_tbDpT10_ENKUlT_T0_E_clISt17integral_constantIbLb0EES19_IbLb1EEEEDaS15_S16_EUlS15_E_NS1_11comp_targetILNS1_3genE0ELNS1_11target_archE4294967295ELNS1_3gpuE0ELNS1_3repE0EEENS1_30default_config_static_selectorELNS0_4arch9wavefront6targetE1EEEvT1_ ; -- Begin function _ZN7rocprim17ROCPRIM_400000_NS6detail17trampoline_kernelINS0_14default_configENS1_25partition_config_selectorILNS1_17partition_subalgoE9EllbEEZZNS1_14partition_implILS5_9ELb0ES3_jPlS8_PNS0_10empty_typeENS0_5tupleIJS8_S9_EEENSB_IJS8_SA_EEENS0_18inequality_wrapperIZN2at6native12_GLOBAL__N_124unique_dim_cuda_templateIjEESt5tupleIJNSF_6TensorESK_SK_EERKSK_lbbbEUlllE0_EEPmJS9_EEE10hipError_tPvRmT3_T4_T5_T6_T7_T9_mT8_P12ihipStream_tbDpT10_ENKUlT_T0_E_clISt17integral_constantIbLb0EES19_IbLb1EEEEDaS15_S16_EUlS15_E_NS1_11comp_targetILNS1_3genE0ELNS1_11target_archE4294967295ELNS1_3gpuE0ELNS1_3repE0EEENS1_30default_config_static_selectorELNS0_4arch9wavefront6targetE1EEEvT1_
	.p2align	8
	.type	_ZN7rocprim17ROCPRIM_400000_NS6detail17trampoline_kernelINS0_14default_configENS1_25partition_config_selectorILNS1_17partition_subalgoE9EllbEEZZNS1_14partition_implILS5_9ELb0ES3_jPlS8_PNS0_10empty_typeENS0_5tupleIJS8_S9_EEENSB_IJS8_SA_EEENS0_18inequality_wrapperIZN2at6native12_GLOBAL__N_124unique_dim_cuda_templateIjEESt5tupleIJNSF_6TensorESK_SK_EERKSK_lbbbEUlllE0_EEPmJS9_EEE10hipError_tPvRmT3_T4_T5_T6_T7_T9_mT8_P12ihipStream_tbDpT10_ENKUlT_T0_E_clISt17integral_constantIbLb0EES19_IbLb1EEEEDaS15_S16_EUlS15_E_NS1_11comp_targetILNS1_3genE0ELNS1_11target_archE4294967295ELNS1_3gpuE0ELNS1_3repE0EEENS1_30default_config_static_selectorELNS0_4arch9wavefront6targetE1EEEvT1_,@function
_ZN7rocprim17ROCPRIM_400000_NS6detail17trampoline_kernelINS0_14default_configENS1_25partition_config_selectorILNS1_17partition_subalgoE9EllbEEZZNS1_14partition_implILS5_9ELb0ES3_jPlS8_PNS0_10empty_typeENS0_5tupleIJS8_S9_EEENSB_IJS8_SA_EEENS0_18inequality_wrapperIZN2at6native12_GLOBAL__N_124unique_dim_cuda_templateIjEESt5tupleIJNSF_6TensorESK_SK_EERKSK_lbbbEUlllE0_EEPmJS9_EEE10hipError_tPvRmT3_T4_T5_T6_T7_T9_mT8_P12ihipStream_tbDpT10_ENKUlT_T0_E_clISt17integral_constantIbLb0EES19_IbLb1EEEEDaS15_S16_EUlS15_E_NS1_11comp_targetILNS1_3genE0ELNS1_11target_archE4294967295ELNS1_3gpuE0ELNS1_3repE0EEENS1_30default_config_static_selectorELNS0_4arch9wavefront6targetE1EEEvT1_: ; @_ZN7rocprim17ROCPRIM_400000_NS6detail17trampoline_kernelINS0_14default_configENS1_25partition_config_selectorILNS1_17partition_subalgoE9EllbEEZZNS1_14partition_implILS5_9ELb0ES3_jPlS8_PNS0_10empty_typeENS0_5tupleIJS8_S9_EEENSB_IJS8_SA_EEENS0_18inequality_wrapperIZN2at6native12_GLOBAL__N_124unique_dim_cuda_templateIjEESt5tupleIJNSF_6TensorESK_SK_EERKSK_lbbbEUlllE0_EEPmJS9_EEE10hipError_tPvRmT3_T4_T5_T6_T7_T9_mT8_P12ihipStream_tbDpT10_ENKUlT_T0_E_clISt17integral_constantIbLb0EES19_IbLb1EEEEDaS15_S16_EUlS15_E_NS1_11comp_targetILNS1_3genE0ELNS1_11target_archE4294967295ELNS1_3gpuE0ELNS1_3repE0EEENS1_30default_config_static_selectorELNS0_4arch9wavefront6targetE1EEEvT1_
; %bb.0:
	s_load_dwordx4 s[4:7], s[0:1], 0x8
	s_load_dwordx2 s[10:11], s[0:1], 0x18
	s_load_dwordx8 s[20:27], s[0:1], 0x40
	s_load_dwordx4 s[36:39], s[0:1], 0x60
	v_cmp_ne_u32_e64 s[2:3], 0, v0
	v_cmp_eq_u32_e64 s[18:19], 0, v0
	s_and_saveexec_b64 s[8:9], s[18:19]
	s_cbranch_execz .LBB1597_4
; %bb.1:
	s_mov_b64 s[14:15], exec
	v_mbcnt_lo_u32_b32 v1, s14, 0
	v_mbcnt_hi_u32_b32 v1, s15, v1
	v_cmp_eq_u32_e32 vcc, 0, v1
                                        ; implicit-def: $vgpr2
	s_and_saveexec_b64 s[12:13], vcc
	s_cbranch_execz .LBB1597_3
; %bb.2:
	s_load_dwordx2 s[16:17], s[0:1], 0x78
	s_bcnt1_i32_b64 s14, s[14:15]
	v_mov_b32_e32 v2, 0
	v_mov_b32_e32 v3, s14
	s_waitcnt lgkmcnt(0)
	global_atomic_add v2, v2, v3, s[16:17] sc0
.LBB1597_3:
	s_or_b64 exec, exec, s[12:13]
	s_waitcnt vmcnt(0)
	v_readfirstlane_b32 s12, v2
	v_mov_b32_e32 v2, 0
	s_nop 0
	v_add_u32_e32 v1, s12, v1
	ds_write_b32 v2, v1
.LBB1597_4:
	s_or_b64 exec, exec, s[8:9]
	v_mov_b32_e32 v3, 0
	s_load_dwordx4 s[28:31], s[0:1], 0x28
	s_load_dword s8, s[0:1], 0x70
	s_waitcnt lgkmcnt(0)
	s_barrier
	ds_read_b32 v1, v3
	s_waitcnt lgkmcnt(0)
	s_barrier
	global_load_dwordx2 v[4:5], v3, s[22:23]
	s_lshl_b64 s[12:13], s[6:7], 3
	s_mul_i32 s14, s8, 0x280
	s_add_u32 s16, s4, s12
	s_addc_u32 s17, s5, s13
	s_add_i32 s4, s14, s6
	s_sub_i32 s48, s24, s4
	s_add_i32 s15, s8, -1
	s_addk_i32 s48, 0x280
	s_add_u32 s4, s6, s14
	v_readfirstlane_b32 s33, v1
	s_addc_u32 s5, s7, 0
	v_mov_b64_e32 v[6:7], s[4:5]
	s_cmp_eq_u32 s33, s15
	s_mov_b32 s9, 0
	s_mul_i32 s8, s33, 0x280
	v_cmp_le_u64_e32 vcc, s[24:25], v[6:7]
	s_cselect_b64 s[24:25], -1, 0
	s_lshl_b64 s[14:15], s[8:9], 3
	s_and_b64 s[8:9], vcc, s[24:25]
	s_xor_b64 s[34:35], s[8:9], -1
	s_add_u32 s4, s16, s14
	s_mov_b64 s[0:1], -1
	v_lshlrev_b32_e32 v32, 3, v0
	s_addc_u32 s5, s17, s15
	s_and_b64 vcc, exec, s[34:35]
	s_waitcnt vmcnt(0)
	v_readfirstlane_b32 s22, v4
	v_readfirstlane_b32 s23, v5
	s_cbranch_vccz .LBB1597_6
; %bb.5:
	v_lshlrev_b32_e32 v2, 3, v0
	v_lshl_add_u64 v[4:5], s[4:5], 0, v[2:3]
	v_add_co_u32_e32 v4, vcc, 0x1000, v4
	global_load_dwordx2 v[6:7], v2, s[4:5] offset:3072
	s_nop 0
	v_addc_co_u32_e32 v5, vcc, 0, v5, vcc
	global_load_dwordx2 v[8:9], v2, s[4:5]
	global_load_dwordx2 v[10:11], v2, s[4:5] offset:1024
	global_load_dwordx2 v[12:13], v2, s[4:5] offset:2048
	global_load_dwordx2 v[14:15], v[4:5], off
	s_mov_b64 s[0:1], 0
	s_waitcnt vmcnt(2)
	ds_write2st64_b64 v2, v[8:9], v[10:11] offset1:2
	s_waitcnt vmcnt(1)
	ds_write2st64_b64 v2, v[12:13], v[6:7] offset0:4 offset1:6
	s_waitcnt vmcnt(0)
	ds_write_b64 v2, v[14:15] offset:4096
	s_waitcnt lgkmcnt(0)
	s_barrier
.LBB1597_6:
	s_andn2_b64 vcc, exec, s[0:1]
	v_cmp_gt_u32_e64 s[0:1], s48, v0
	s_cbranch_vccnz .LBB1597_18
; %bb.7:
	v_mov_b32_e32 v2, 0
	v_mov_b32_e32 v3, v2
	;; [unrolled: 1-line block ×10, first 2 shown]
	s_and_saveexec_b64 s[16:17], s[0:1]
	s_cbranch_execz .LBB1597_9
; %bb.8:
	v_lshlrev_b32_e32 v1, 3, v0
	global_load_dwordx2 v[4:5], v1, s[4:5]
	v_mov_b32_e32 v6, v2
	v_mov_b32_e32 v7, v2
	;; [unrolled: 1-line block ×8, first 2 shown]
	s_waitcnt vmcnt(0)
	v_mov_b64_e32 v[2:3], v[4:5]
	v_mov_b64_e32 v[4:5], v[6:7]
	;; [unrolled: 1-line block ×8, first 2 shown]
.LBB1597_9:
	s_or_b64 exec, exec, s[16:17]
	v_or_b32_e32 v1, 0x80, v0
	v_cmp_gt_u32_e32 vcc, s48, v1
	s_and_saveexec_b64 s[0:1], vcc
	s_cbranch_execz .LBB1597_11
; %bb.10:
	v_lshlrev_b32_e32 v1, 3, v0
	global_load_dwordx2 v[4:5], v1, s[4:5] offset:1024
.LBB1597_11:
	s_or_b64 exec, exec, s[0:1]
	v_or_b32_e32 v1, 0x100, v0
	v_cmp_gt_u32_e32 vcc, s48, v1
	s_and_saveexec_b64 s[0:1], vcc
	s_cbranch_execz .LBB1597_13
; %bb.12:
	v_lshlrev_b32_e32 v1, 3, v0
	global_load_dwordx2 v[6:7], v1, s[4:5] offset:2048
.LBB1597_13:
	;; [unrolled: 9-line block ×3, first 2 shown]
	s_or_b64 exec, exec, s[0:1]
	v_or_b32_e32 v1, 0x200, v0
	v_cmp_gt_u32_e32 vcc, s48, v1
	s_and_saveexec_b64 s[0:1], vcc
	s_cbranch_execz .LBB1597_17
; %bb.16:
	v_lshlrev_b32_e32 v1, 3, v1
	global_load_dwordx2 v[10:11], v1, s[4:5]
.LBB1597_17:
	s_or_b64 exec, exec, s[0:1]
	v_lshlrev_b32_e32 v1, 3, v0
	s_waitcnt vmcnt(0)
	ds_write2st64_b64 v1, v[2:3], v[4:5] offset1:2
	ds_write2st64_b64 v1, v[6:7], v[8:9] offset0:4 offset1:6
	ds_write_b64 v1, v[10:11] offset:4096
	s_waitcnt lgkmcnt(0)
	s_barrier
.LBB1597_18:
	v_mul_u32_u24_e32 v1, 5, v0
	v_lshlrev_b32_e32 v22, 3, v1
	ds_read2_b64 v[6:9], v22 offset1:1
	ds_read2_b64 v[2:5], v22 offset0:2 offset1:3
	ds_read_b64 v[12:13], v22 offset:32
	s_add_u32 s0, s10, s12
	s_addc_u32 s1, s11, s13
	s_add_u32 s0, s0, s14
	s_addc_u32 s1, s1, s15
	s_mov_b64 s[10:11], -1
	s_and_b64 vcc, exec, s[34:35]
	s_waitcnt lgkmcnt(0)
	s_barrier
	s_cbranch_vccz .LBB1597_20
; %bb.19:
	v_lshlrev_b32_e32 v10, 3, v0
	v_mov_b32_e32 v11, 0
	v_lshl_add_u64 v[14:15], s[0:1], 0, v[10:11]
	v_add_co_u32_e32 v14, vcc, 0x1000, v14
	global_load_dwordx2 v[16:17], v10, s[0:1] offset:3072
	s_nop 0
	v_addc_co_u32_e32 v15, vcc, 0, v15, vcc
	global_load_dwordx2 v[18:19], v10, s[0:1]
	global_load_dwordx2 v[20:21], v10, s[0:1] offset:1024
	global_load_dwordx2 v[24:25], v10, s[0:1] offset:2048
	global_load_dwordx2 v[26:27], v[14:15], off
	s_mov_b64 s[10:11], 0
	s_waitcnt vmcnt(2)
	ds_write2st64_b64 v10, v[18:19], v[20:21] offset1:2
	s_waitcnt vmcnt(1)
	ds_write2st64_b64 v10, v[24:25], v[16:17] offset0:4 offset1:6
	s_waitcnt vmcnt(0)
	ds_write_b64 v10, v[26:27] offset:4096
	s_waitcnt lgkmcnt(0)
	s_barrier
.LBB1597_20:
	s_andn2_b64 vcc, exec, s[10:11]
	s_cbranch_vccnz .LBB1597_32
; %bb.21:
	v_cmp_gt_u32_e32 vcc, s48, v0
                                        ; implicit-def: $vgpr10_vgpr11
	s_and_saveexec_b64 s[10:11], vcc
	s_cbranch_execz .LBB1597_23
; %bb.22:
	v_lshlrev_b32_e32 v10, 3, v0
	global_load_dwordx2 v[10:11], v10, s[0:1]
.LBB1597_23:
	s_or_b64 exec, exec, s[10:11]
	v_or_b32_e32 v14, 0x80, v0
	v_cmp_gt_u32_e32 vcc, s48, v14
                                        ; implicit-def: $vgpr14_vgpr15
	s_and_saveexec_b64 s[10:11], vcc
	s_cbranch_execz .LBB1597_25
; %bb.24:
	v_lshlrev_b32_e32 v14, 3, v0
	global_load_dwordx2 v[14:15], v14, s[0:1] offset:1024
.LBB1597_25:
	s_or_b64 exec, exec, s[10:11]
	v_or_b32_e32 v16, 0x100, v0
	v_cmp_gt_u32_e32 vcc, s48, v16
                                        ; implicit-def: $vgpr16_vgpr17
	s_and_saveexec_b64 s[10:11], vcc
	s_cbranch_execz .LBB1597_27
; %bb.26:
	v_lshlrev_b32_e32 v16, 3, v0
	global_load_dwordx2 v[16:17], v16, s[0:1] offset:2048
.LBB1597_27:
	s_or_b64 exec, exec, s[10:11]
	v_or_b32_e32 v18, 0x180, v0
	v_cmp_gt_u32_e32 vcc, s48, v18
                                        ; implicit-def: $vgpr18_vgpr19
	s_and_saveexec_b64 s[10:11], vcc
	s_cbranch_execz .LBB1597_29
; %bb.28:
	v_lshlrev_b32_e32 v18, 3, v0
	global_load_dwordx2 v[18:19], v18, s[0:1] offset:3072
.LBB1597_29:
	s_or_b64 exec, exec, s[10:11]
	v_or_b32_e32 v20, 0x200, v0
	v_cmp_gt_u32_e32 vcc, s48, v20
                                        ; implicit-def: $vgpr24_vgpr25
	s_and_saveexec_b64 s[10:11], vcc
	s_cbranch_execz .LBB1597_31
; %bb.30:
	v_lshlrev_b32_e32 v20, 3, v20
	global_load_dwordx2 v[24:25], v20, s[0:1]
.LBB1597_31:
	s_or_b64 exec, exec, s[10:11]
	v_lshlrev_b32_e32 v20, 5, v0
	v_sub_u32_e32 v20, v22, v20
	s_waitcnt vmcnt(0)
	ds_write2st64_b64 v20, v[10:11], v[14:15] offset1:2
	ds_write2st64_b64 v20, v[16:17], v[18:19] offset0:4 offset1:6
	ds_write_b64 v20, v[24:25] offset:4096
	s_waitcnt lgkmcnt(0)
	s_barrier
.LBB1597_32:
	ds_read_b64 v[10:11], v22 offset:32
	ds_read2_b64 v[52:55], v22 offset0:2 offset1:3
	ds_read2_b64 v[56:59], v22 offset1:1
	s_cmp_lg_u32 s33, 0
	s_cselect_b64 s[16:17], -1, 0
	s_cmp_lg_u64 s[6:7], 0
	s_cselect_b64 s[0:1], -1, 0
	s_or_b64 s[0:1], s[0:1], s[16:17]
	s_mov_b64 s[10:11], 0
	s_and_b64 vcc, exec, s[0:1]
	v_cmp_gt_i64_e64 s[6:7], s[26:27], 0
	s_waitcnt lgkmcnt(0)
	s_barrier
	s_cbranch_vccz .LBB1597_51
; %bb.33:
	v_mov_b32_e32 v18, 0
	global_load_dwordx2 v[14:15], v18, s[4:5] offset:-8
	v_cndmask_b32_e64 v16, 0, 1, s[6:7]
	v_lshlrev_b32_e32 v23, 3, v0
	s_mov_b64 s[0:1], 0
	s_and_b64 vcc, exec, s[34:35]
	v_cmp_ne_u32_e64 s[4:5], 1, v16
	ds_write_b64 v23, v[12:13]
	s_cbranch_vccz .LBB1597_53
; %bb.34:
	s_and_b64 vcc, exec, s[4:5]
	v_mov_b32_e32 v33, 0
	s_cbranch_vccnz .LBB1597_44
; %bb.35:
	v_mul_lo_u32 v18, v5, s26
	v_mul_lo_u32 v19, v4, s27
	v_mad_u64_u32 v[16:17], s[0:1], v4, s26, 0
	v_add3_u32 v17, v17, v19, v18
	v_mul_lo_u32 v20, v13, s26
	v_mul_lo_u32 v21, v12, s27
	v_mad_u64_u32 v[18:19], s[0:1], v12, s26, 0
	s_add_u32 s10, s26, -1
	v_lshl_add_u64 v[16:17], v[16:17], 2, s[36:37]
	v_add3_u32 v19, v19, v21, v20
	s_addc_u32 s11, s27, -1
	v_lshl_add_u64 v[18:19], v[18:19], 2, s[36:37]
	s_mov_b64 s[12:13], 0
	s_mov_b64 s[14:15], s[10:11]
	v_mov_b64_e32 v[20:21], v[16:17]
                                        ; implicit-def: $sgpr6_sgpr7
.LBB1597_36:                            ; =>This Inner Loop Header: Depth=1
	global_load_dword v24, v[20:21], off
	global_load_dword v25, v[18:19], off
	s_add_u32 s0, s14, -1
	s_addc_u32 s1, s15, -1
	s_cmp_eq_u64 s[14:15], 0
	s_mov_b64 s[14:15], s[0:1]
	s_cselect_b64 s[40:41], -1, 0
	v_lshl_add_u64 v[20:21], v[20:21], 0, 4
	v_lshl_add_u64 v[18:19], v[18:19], 0, 4
	s_waitcnt vmcnt(0)
	v_cmp_ne_u32_e64 s[0:1], v24, v25
	s_or_b64 s[0:1], s[0:1], s[40:41]
	s_and_b64 s[0:1], exec, s[0:1]
	v_cmp_eq_u32_e32 vcc, v24, v25
	s_or_b64 s[12:13], s[0:1], s[12:13]
	s_andn2_b64 s[0:1], s[6:7], exec
	s_and_b64 s[6:7], vcc, exec
	s_or_b64 s[6:7], s[0:1], s[6:7]
	s_andn2_b64 exec, exec, s[12:13]
	s_cbranch_execnz .LBB1597_36
; %bb.37:
	s_or_b64 exec, exec, s[12:13]
	v_mul_lo_u32 v20, v3, s26
	v_mul_lo_u32 v21, v2, s27
	v_mad_u64_u32 v[18:19], s[0:1], v2, s26, 0
	v_add3_u32 v19, v19, v21, v20
	v_lshl_add_u64 v[18:19], v[18:19], 2, s[36:37]
	s_mov_b64 s[14:15], 0
	s_mov_b64 s[40:41], s[10:11]
	v_mov_b64_e32 v[20:21], v[18:19]
                                        ; implicit-def: $sgpr12_sgpr13
.LBB1597_38:                            ; =>This Inner Loop Header: Depth=1
	global_load_dword v24, v[20:21], off
	global_load_dword v25, v[16:17], off
	s_add_u32 s0, s40, -1
	s_addc_u32 s1, s41, -1
	s_cmp_eq_u64 s[40:41], 0
	s_mov_b64 s[40:41], s[0:1]
	s_cselect_b64 s[42:43], -1, 0
	v_lshl_add_u64 v[20:21], v[20:21], 0, 4
	v_lshl_add_u64 v[16:17], v[16:17], 0, 4
	s_waitcnt vmcnt(0)
	v_cmp_ne_u32_e64 s[0:1], v24, v25
	s_or_b64 s[0:1], s[0:1], s[42:43]
	s_and_b64 s[0:1], exec, s[0:1]
	v_cmp_eq_u32_e32 vcc, v24, v25
	s_or_b64 s[14:15], s[0:1], s[14:15]
	s_andn2_b64 s[0:1], s[12:13], exec
	s_and_b64 s[12:13], vcc, exec
	s_or_b64 s[12:13], s[0:1], s[12:13]
	s_andn2_b64 exec, exec, s[14:15]
	s_cbranch_execnz .LBB1597_38
; %bb.39:
	s_or_b64 exec, exec, s[14:15]
	v_mul_lo_u32 v20, v9, s26
	v_mul_lo_u32 v21, v8, s27
	v_mad_u64_u32 v[16:17], s[0:1], v8, s26, 0
	v_add3_u32 v17, v17, v21, v20
	v_lshl_add_u64 v[16:17], v[16:17], 2, s[36:37]
	s_mov_b64 s[40:41], 0
	s_mov_b64 s[42:43], s[10:11]
	v_mov_b64_e32 v[20:21], v[16:17]
                                        ; implicit-def: $sgpr14_sgpr15
.LBB1597_40:                            ; =>This Inner Loop Header: Depth=1
	global_load_dword v24, v[20:21], off
	global_load_dword v25, v[18:19], off
	s_add_u32 s0, s42, -1
	s_addc_u32 s1, s43, -1
	s_cmp_eq_u64 s[42:43], 0
	s_mov_b64 s[42:43], s[0:1]
	s_cselect_b64 s[44:45], -1, 0
	v_lshl_add_u64 v[20:21], v[20:21], 0, 4
	v_lshl_add_u64 v[18:19], v[18:19], 0, 4
	s_waitcnt vmcnt(0)
	v_cmp_ne_u32_e64 s[0:1], v24, v25
	s_or_b64 s[0:1], s[0:1], s[44:45]
	s_and_b64 s[0:1], exec, s[0:1]
	v_cmp_eq_u32_e32 vcc, v24, v25
	s_or_b64 s[40:41], s[0:1], s[40:41]
	s_andn2_b64 s[0:1], s[14:15], exec
	s_and_b64 s[14:15], vcc, exec
	s_or_b64 s[14:15], s[0:1], s[14:15]
	s_andn2_b64 exec, exec, s[40:41]
	s_cbranch_execnz .LBB1597_40
; %bb.41:
	s_or_b64 exec, exec, s[40:41]
	v_mul_lo_u32 v20, v7, s26
	v_mul_lo_u32 v21, v6, s27
	v_mad_u64_u32 v[18:19], s[0:1], v6, s26, 0
	v_add3_u32 v19, v19, v21, v20
	v_lshl_add_u64 v[18:19], v[18:19], 2, s[36:37]
	s_mov_b64 s[42:43], 0
                                        ; implicit-def: $sgpr40_sgpr41
.LBB1597_42:                            ; =>This Inner Loop Header: Depth=1
	global_load_dword v20, v[18:19], off
	global_load_dword v21, v[16:17], off
	s_add_u32 s0, s10, -1
	s_addc_u32 s1, s11, -1
	s_cmp_eq_u64 s[10:11], 0
	s_mov_b64 s[10:11], s[0:1]
	s_cselect_b64 s[44:45], -1, 0
	v_lshl_add_u64 v[18:19], v[18:19], 0, 4
	v_lshl_add_u64 v[16:17], v[16:17], 0, 4
	s_waitcnt vmcnt(0)
	v_cmp_ne_u32_e64 s[0:1], v20, v21
	s_or_b64 s[0:1], s[0:1], s[44:45]
	s_and_b64 s[0:1], exec, s[0:1]
	v_cmp_eq_u32_e32 vcc, v20, v21
	s_or_b64 s[42:43], s[0:1], s[42:43]
	s_andn2_b64 s[0:1], s[40:41], exec
	s_and_b64 s[40:41], vcc, exec
	s_or_b64 s[40:41], s[0:1], s[40:41]
	s_andn2_b64 exec, exec, s[42:43]
	s_cbranch_execnz .LBB1597_42
; %bb.43:
	s_or_b64 exec, exec, s[42:43]
	s_xor_b64 s[0:1], s[6:7], -1
	v_cndmask_b32_e64 v33, 0, 1, s[0:1]
	s_xor_b64 s[0:1], s[12:13], -1
	v_cndmask_b32_e64 v16, 0, 1, s[0:1]
	v_lshlrev_b16_e32 v16, 8, v16
	v_mov_b32_e32 v17, 8
	s_xor_b64 s[6:7], s[14:15], -1
	v_lshrrev_b32_sdwa v16, v17, v16 dst_sel:BYTE_1 dst_unused:UNUSED_PAD src0_sel:DWORD src1_sel:DWORD
	v_cndmask_b32_e64 v17, 0, 1, s[6:7]
	s_xor_b64 s[0:1], s[40:41], -1
	v_or_b32_sdwa v18, v17, v16 dst_sel:WORD_1 dst_unused:UNUSED_PAD src0_sel:DWORD src1_sel:DWORD
.LBB1597_44:
	s_waitcnt vmcnt(0)
	v_mov_b64_e32 v[16:17], v[14:15]
	s_waitcnt lgkmcnt(0)
	s_barrier
	s_and_saveexec_b64 s[6:7], s[2:3]
; %bb.45:
	v_add_u32_e32 v16, -8, v23
	ds_read_b64 v[16:17], v16
; %bb.46:
	s_or_b64 exec, exec, s[6:7]
	v_cndmask_b32_e64 v19, 0, 1, s[0:1]
	v_lshrrev_b32_e32 v20, 16, v18
	s_mov_b32 s0, 0xc0c0304
	v_perm_b32 v20, v20, v18, s0
	v_lshlrev_b16_e32 v19, 8, v19
	s_movk_i32 s0, 0xff
	v_bitop3_b16 v18, v18, v19, s0 bitop3:0xec
	v_and_b32_e32 v21, 0xffff, v18
	s_mov_b64 s[6:7], 0
	s_and_b64 vcc, exec, s[4:5]
	s_mov_b64 s[0:1], 0
	s_cbranch_vccnz .LBB1597_50
; %bb.47:
	s_waitcnt lgkmcnt(0)
	v_mul_lo_u32 v18, v17, s26
	v_mul_lo_u32 v19, v16, s27
	v_mad_u64_u32 v[16:17], s[0:1], v16, s26, 0
	v_add3_u32 v17, v17, v19, v18
	v_mul_lo_u32 v24, v7, s26
	v_mul_lo_u32 v25, v6, s27
	v_mad_u64_u32 v[18:19], s[0:1], v6, s26, 0
	v_add3_u32 v19, v19, v25, v24
	s_add_u32 s14, s26, -1
	v_lshl_add_u64 v[16:17], v[16:17], 2, s[36:37]
	v_lshl_add_u64 v[18:19], v[18:19], 2, s[36:37]
	s_addc_u32 s15, s27, -1
	s_mov_b64 s[10:11], 0
                                        ; implicit-def: $sgpr12_sgpr13
.LBB1597_48:                            ; =>This Inner Loop Header: Depth=1
	global_load_dword v24, v[16:17], off
	global_load_dword v25, v[18:19], off
	s_add_u32 s0, s14, -1
	s_addc_u32 s1, s15, -1
	s_cmp_eq_u64 s[14:15], 0
	s_mov_b64 s[14:15], s[0:1]
	s_cselect_b64 s[40:41], -1, 0
	v_lshl_add_u64 v[16:17], v[16:17], 0, 4
	v_lshl_add_u64 v[18:19], v[18:19], 0, 4
	s_waitcnt vmcnt(0)
	v_cmp_ne_u32_e64 s[0:1], v24, v25
	s_or_b64 s[0:1], s[0:1], s[40:41]
	s_and_b64 s[0:1], exec, s[0:1]
	v_cmp_eq_u32_e32 vcc, v24, v25
	s_or_b64 s[10:11], s[0:1], s[10:11]
	s_andn2_b64 s[0:1], s[12:13], exec
	s_and_b64 s[12:13], vcc, exec
	s_or_b64 s[12:13], s[0:1], s[12:13]
	s_andn2_b64 exec, exec, s[10:11]
	s_cbranch_execnz .LBB1597_48
; %bb.49:
	s_or_b64 exec, exec, s[10:11]
	s_xor_b64 s[0:1], s[12:13], -1
.LBB1597_50:
	s_waitcnt lgkmcnt(0)
	v_lshl_or_b32 v17, v20, 16, v21
	s_and_b64 vcc, exec, s[6:7]
	s_cbranch_vccnz .LBB1597_54
	s_branch .LBB1597_87
.LBB1597_51:
                                        ; implicit-def: $sgpr0_sgpr1
                                        ; implicit-def: $vgpr33
                                        ; implicit-def: $vgpr17
	s_branch .LBB1597_88
.LBB1597_52:
                                        ; implicit-def: $vgpr16
                                        ; implicit-def: $vgpr35
                                        ; implicit-def: $vgpr34
                                        ; implicit-def: $vgpr14
	s_branch .LBB1597_141
.LBB1597_53:
                                        ; implicit-def: $sgpr0_sgpr1
                                        ; implicit-def: $vgpr33
                                        ; implicit-def: $vgpr17
	s_cbranch_execz .LBB1597_87
.LBB1597_54:
	v_add_u32_e32 v16, 4, v1
	v_cmp_gt_u32_e32 vcc, s48, v16
	s_mov_b64 s[10:11], 0
	s_mov_b64 s[6:7], 0
	s_and_saveexec_b64 s[12:13], vcc
	s_cbranch_execz .LBB1597_60
; %bb.55:
	s_and_b64 vcc, exec, s[4:5]
	s_mov_b64 s[0:1], 0
	s_cbranch_vccnz .LBB1597_59
; %bb.56:
	v_mul_lo_u32 v18, v5, s26
	v_mul_lo_u32 v19, v4, s27
	v_mad_u64_u32 v[16:17], s[0:1], v4, s26, 0
	v_add3_u32 v17, v17, v19, v18
	v_mul_lo_u32 v20, v13, s26
	v_mul_lo_u32 v21, v12, s27
	v_mad_u64_u32 v[18:19], s[0:1], v12, s26, 0
	v_add3_u32 v19, v19, v21, v20
	s_add_u32 s40, s26, -1
	v_lshl_add_u64 v[16:17], v[16:17], 2, s[36:37]
	v_lshl_add_u64 v[18:19], v[18:19], 2, s[36:37]
	s_addc_u32 s41, s27, -1
                                        ; implicit-def: $sgpr14_sgpr15
.LBB1597_57:                            ; =>This Inner Loop Header: Depth=1
	global_load_dword v20, v[16:17], off
	global_load_dword v21, v[18:19], off
	s_add_u32 s0, s40, -1
	s_addc_u32 s1, s41, -1
	s_cmp_eq_u64 s[40:41], 0
	s_mov_b64 s[40:41], s[0:1]
	s_cselect_b64 s[42:43], -1, 0
	v_lshl_add_u64 v[16:17], v[16:17], 0, 4
	v_lshl_add_u64 v[18:19], v[18:19], 0, 4
	s_waitcnt vmcnt(0)
	v_cmp_ne_u32_e64 s[0:1], v20, v21
	s_or_b64 s[0:1], s[0:1], s[42:43]
	s_and_b64 s[0:1], exec, s[0:1]
	v_cmp_eq_u32_e32 vcc, v20, v21
	s_or_b64 s[6:7], s[0:1], s[6:7]
	s_andn2_b64 s[0:1], s[14:15], exec
	s_and_b64 s[14:15], vcc, exec
	s_or_b64 s[14:15], s[0:1], s[14:15]
	s_andn2_b64 exec, exec, s[6:7]
	s_cbranch_execnz .LBB1597_57
; %bb.58:
	s_or_b64 exec, exec, s[6:7]
	s_xor_b64 s[0:1], s[14:15], -1
.LBB1597_59:
	s_and_b64 s[6:7], s[0:1], exec
.LBB1597_60:
	s_or_b64 exec, exec, s[12:13]
	v_add_u32_e32 v16, 3, v1
	v_cmp_gt_u32_e32 vcc, s48, v16
	s_and_saveexec_b64 s[12:13], vcc
	s_cbranch_execz .LBB1597_66
; %bb.61:
	s_and_b64 vcc, exec, s[4:5]
	s_mov_b64 s[0:1], 0
	s_cbranch_vccnz .LBB1597_65
; %bb.62:
	v_mul_lo_u32 v18, v3, s26
	v_mul_lo_u32 v19, v2, s27
	v_mad_u64_u32 v[16:17], s[0:1], v2, s26, 0
	v_add3_u32 v17, v17, v19, v18
	v_mul_lo_u32 v20, v5, s26
	v_mul_lo_u32 v21, v4, s27
	v_mad_u64_u32 v[18:19], s[0:1], v4, s26, 0
	v_add3_u32 v19, v19, v21, v20
	s_add_u32 s40, s26, -1
	v_lshl_add_u64 v[16:17], v[16:17], 2, s[36:37]
	v_lshl_add_u64 v[18:19], v[18:19], 2, s[36:37]
	s_addc_u32 s41, s27, -1
	s_mov_b64 s[10:11], 0
                                        ; implicit-def: $sgpr14_sgpr15
.LBB1597_63:                            ; =>This Inner Loop Header: Depth=1
	global_load_dword v20, v[16:17], off
	global_load_dword v21, v[18:19], off
	s_add_u32 s0, s40, -1
	s_addc_u32 s1, s41, -1
	s_cmp_eq_u64 s[40:41], 0
	s_mov_b64 s[40:41], s[0:1]
	s_cselect_b64 s[42:43], -1, 0
	v_lshl_add_u64 v[16:17], v[16:17], 0, 4
	v_lshl_add_u64 v[18:19], v[18:19], 0, 4
	s_waitcnt vmcnt(0)
	v_cmp_ne_u32_e64 s[0:1], v20, v21
	s_or_b64 s[0:1], s[0:1], s[42:43]
	s_and_b64 s[0:1], exec, s[0:1]
	v_cmp_eq_u32_e32 vcc, v20, v21
	s_or_b64 s[10:11], s[0:1], s[10:11]
	s_andn2_b64 s[0:1], s[14:15], exec
	s_and_b64 s[14:15], vcc, exec
	s_or_b64 s[14:15], s[0:1], s[14:15]
	s_andn2_b64 exec, exec, s[10:11]
	s_cbranch_execnz .LBB1597_63
; %bb.64:
	s_or_b64 exec, exec, s[10:11]
	s_xor_b64 s[0:1], s[14:15], -1
.LBB1597_65:
	s_and_b64 s[10:11], s[0:1], exec
.LBB1597_66:
	s_or_b64 exec, exec, s[12:13]
	v_add_u32_e32 v16, 2, v1
	v_cmp_gt_u32_e32 vcc, s48, v16
	s_mov_b64 s[12:13], 0
	s_mov_b64 s[14:15], 0
	s_and_saveexec_b64 s[40:41], vcc
	s_cbranch_execz .LBB1597_72
; %bb.67:
	s_and_b64 vcc, exec, s[4:5]
	s_mov_b64 s[0:1], 0
	s_cbranch_vccnz .LBB1597_71
; %bb.68:
	v_mul_lo_u32 v18, v9, s26
	v_mul_lo_u32 v19, v8, s27
	v_mad_u64_u32 v[16:17], s[0:1], v8, s26, 0
	v_add3_u32 v17, v17, v19, v18
	v_mul_lo_u32 v20, v3, s26
	v_mul_lo_u32 v21, v2, s27
	v_mad_u64_u32 v[18:19], s[0:1], v2, s26, 0
	v_add3_u32 v19, v19, v21, v20
	s_add_u32 s44, s26, -1
	v_lshl_add_u64 v[16:17], v[16:17], 2, s[36:37]
	v_lshl_add_u64 v[18:19], v[18:19], 2, s[36:37]
	s_addc_u32 s45, s27, -1
                                        ; implicit-def: $sgpr42_sgpr43
.LBB1597_69:                            ; =>This Inner Loop Header: Depth=1
	global_load_dword v20, v[16:17], off
	global_load_dword v21, v[18:19], off
	s_add_u32 s0, s44, -1
	s_addc_u32 s1, s45, -1
	s_cmp_eq_u64 s[44:45], 0
	s_mov_b64 s[44:45], s[0:1]
	s_cselect_b64 s[46:47], -1, 0
	v_lshl_add_u64 v[16:17], v[16:17], 0, 4
	v_lshl_add_u64 v[18:19], v[18:19], 0, 4
	s_waitcnt vmcnt(0)
	v_cmp_ne_u32_e64 s[0:1], v20, v21
	s_or_b64 s[0:1], s[0:1], s[46:47]
	s_and_b64 s[0:1], exec, s[0:1]
	v_cmp_eq_u32_e32 vcc, v20, v21
	s_or_b64 s[14:15], s[0:1], s[14:15]
	s_andn2_b64 s[0:1], s[42:43], exec
	s_and_b64 s[42:43], vcc, exec
	s_or_b64 s[42:43], s[0:1], s[42:43]
	s_andn2_b64 exec, exec, s[14:15]
	s_cbranch_execnz .LBB1597_69
; %bb.70:
	s_or_b64 exec, exec, s[14:15]
	s_xor_b64 s[0:1], s[42:43], -1
.LBB1597_71:
	s_and_b64 s[14:15], s[0:1], exec
.LBB1597_72:
	s_or_b64 exec, exec, s[40:41]
	v_add_u32_e32 v16, 1, v1
	v_cmp_gt_u32_e32 vcc, s48, v16
	s_and_saveexec_b64 s[40:41], vcc
	s_cbranch_execz .LBB1597_78
; %bb.73:
	s_and_b64 vcc, exec, s[4:5]
	s_mov_b64 s[0:1], 0
	s_cbranch_vccnz .LBB1597_77
; %bb.74:
	v_mul_lo_u32 v18, v7, s26
	v_mul_lo_u32 v19, v6, s27
	v_mad_u64_u32 v[16:17], s[0:1], v6, s26, 0
	v_add3_u32 v17, v17, v19, v18
	v_mul_lo_u32 v20, v9, s26
	v_mul_lo_u32 v21, v8, s27
	v_mad_u64_u32 v[18:19], s[0:1], v8, s26, 0
	v_add3_u32 v19, v19, v21, v20
	s_add_u32 s44, s26, -1
	v_lshl_add_u64 v[16:17], v[16:17], 2, s[36:37]
	v_lshl_add_u64 v[18:19], v[18:19], 2, s[36:37]
	s_addc_u32 s45, s27, -1
	s_mov_b64 s[12:13], 0
                                        ; implicit-def: $sgpr42_sgpr43
.LBB1597_75:                            ; =>This Inner Loop Header: Depth=1
	global_load_dword v20, v[16:17], off
	global_load_dword v21, v[18:19], off
	s_add_u32 s0, s44, -1
	s_addc_u32 s1, s45, -1
	s_cmp_eq_u64 s[44:45], 0
	s_mov_b64 s[44:45], s[0:1]
	s_cselect_b64 s[46:47], -1, 0
	v_lshl_add_u64 v[16:17], v[16:17], 0, 4
	v_lshl_add_u64 v[18:19], v[18:19], 0, 4
	s_waitcnt vmcnt(0)
	v_cmp_ne_u32_e64 s[0:1], v20, v21
	s_or_b64 s[0:1], s[0:1], s[46:47]
	s_and_b64 s[0:1], exec, s[0:1]
	v_cmp_eq_u32_e32 vcc, v20, v21
	s_or_b64 s[12:13], s[0:1], s[12:13]
	s_andn2_b64 s[0:1], s[42:43], exec
	s_and_b64 s[42:43], vcc, exec
	s_or_b64 s[42:43], s[0:1], s[42:43]
	s_andn2_b64 exec, exec, s[12:13]
	s_cbranch_execnz .LBB1597_75
; %bb.76:
	s_or_b64 exec, exec, s[12:13]
	s_xor_b64 s[0:1], s[42:43], -1
.LBB1597_77:
	s_and_b64 s[12:13], s[0:1], exec
.LBB1597_78:
	s_or_b64 exec, exec, s[40:41]
	s_waitcnt lgkmcnt(0)
	s_barrier
	s_and_saveexec_b64 s[0:1], s[2:3]
	s_cbranch_execz .LBB1597_80
; %bb.79:
	s_waitcnt vmcnt(0)
	v_add_u32_e32 v14, -8, v23
	ds_read_b64 v[14:15], v14
.LBB1597_80:
	s_or_b64 exec, exec, s[0:1]
	v_cndmask_b32_e64 v17, 0, 1, s[10:11]
	v_cndmask_b32_e64 v16, 0, 1, s[14:15]
	;; [unrolled: 1-line block ×3, first 2 shown]
	v_lshlrev_b16_e32 v17, 8, v17
	v_cmp_gt_u32_e32 vcc, s48, v1
	v_lshlrev_b16_e32 v18, 8, v18
	v_or_b32_sdwa v19, v16, v17 dst_sel:WORD_1 dst_unused:UNUSED_PAD src0_sel:DWORD src1_sel:DWORD
	s_mov_b64 s[0:1], 0
	s_and_saveexec_b64 s[10:11], vcc
	s_cbranch_execz .LBB1597_86
; %bb.81:
	s_and_b64 vcc, exec, s[4:5]
	s_cbranch_vccnz .LBB1597_85
; %bb.82:
	s_waitcnt vmcnt(0) lgkmcnt(0)
	v_mul_lo_u32 v16, v15, s26
	v_mul_lo_u32 v17, v14, s27
	v_mad_u64_u32 v[14:15], s[0:1], v14, s26, 0
	v_add3_u32 v15, v15, v17, v16
	v_mul_lo_u32 v20, v7, s26
	v_mul_lo_u32 v21, v6, s27
	v_mad_u64_u32 v[16:17], s[0:1], v6, s26, 0
	v_add3_u32 v17, v17, v21, v20
	s_add_u32 s14, s26, -1
	v_lshl_add_u64 v[14:15], v[14:15], 2, s[36:37]
	v_lshl_add_u64 v[16:17], v[16:17], 2, s[36:37]
	s_addc_u32 s15, s27, -1
	s_mov_b64 s[4:5], 0
                                        ; implicit-def: $sgpr12_sgpr13
.LBB1597_83:                            ; =>This Inner Loop Header: Depth=1
	global_load_dword v20, v[14:15], off
	global_load_dword v21, v[16:17], off
	s_add_u32 s0, s14, -1
	s_addc_u32 s1, s15, -1
	s_cmp_eq_u64 s[14:15], 0
	s_mov_b64 s[14:15], s[0:1]
	s_cselect_b64 s[40:41], -1, 0
	v_lshl_add_u64 v[14:15], v[14:15], 0, 4
	v_lshl_add_u64 v[16:17], v[16:17], 0, 4
	s_waitcnt vmcnt(0)
	v_cmp_ne_u32_e64 s[0:1], v20, v21
	s_or_b64 s[0:1], s[0:1], s[40:41]
	s_and_b64 s[0:1], exec, s[0:1]
	v_cmp_eq_u32_e32 vcc, v20, v21
	s_or_b64 s[4:5], s[0:1], s[4:5]
	s_andn2_b64 s[0:1], s[12:13], exec
	s_and_b64 s[12:13], vcc, exec
	s_or_b64 s[12:13], s[0:1], s[12:13]
	s_andn2_b64 exec, exec, s[4:5]
	s_cbranch_execnz .LBB1597_83
; %bb.84:
	s_or_b64 exec, exec, s[4:5]
	s_xor_b64 s[0:1], s[12:13], -1
.LBB1597_85:
	s_and_b64 s[0:1], s[0:1], exec
.LBB1597_86:
	s_or_b64 exec, exec, s[10:11]
	v_cndmask_b32_e64 v33, 0, 1, s[6:7]
	v_or_b32_e32 v17, v18, v19
.LBB1597_87:
	s_mov_b64 s[10:11], -1
	s_cbranch_execnz .LBB1597_52
.LBB1597_88:
	s_waitcnt vmcnt(0) lgkmcnt(0)
	v_lshlrev_b32_e32 v14, 5, v0
	v_sub_u32_e32 v22, v22, v14
	s_mov_b64 s[0:1], 0
	v_cmp_gt_i64_e64 s[6:7], s[26:27], 0
	s_and_b64 vcc, exec, s[34:35]
	ds_write_b64 v22, v[12:13]
	s_cbranch_vccz .LBB1597_99
; %bb.89:
	v_cndmask_b32_e64 v14, 0, 1, s[6:7]
	v_cmp_ne_u32_e64 s[4:5], 1, v14
	s_andn2_b64 vcc, exec, s[6:7]
	s_cbranch_vccnz .LBB1597_100
; %bb.90:
	v_mul_lo_u32 v16, v5, s26
	v_mul_lo_u32 v17, v4, s27
	v_mad_u64_u32 v[14:15], s[0:1], v4, s26, 0
	v_add3_u32 v15, v15, v17, v16
	v_mul_lo_u32 v18, v13, s26
	v_mul_lo_u32 v19, v12, s27
	v_mad_u64_u32 v[16:17], s[0:1], v12, s26, 0
	s_add_u32 s14, s26, -1
	v_lshl_add_u64 v[14:15], v[14:15], 2, s[36:37]
	v_add3_u32 v17, v17, v19, v18
	s_addc_u32 s15, s27, -1
	v_lshl_add_u64 v[16:17], v[16:17], 2, s[36:37]
	s_mov_b64 s[40:41], 0
	s_mov_b64 s[42:43], s[14:15]
	v_mov_b64_e32 v[18:19], v[14:15]
                                        ; implicit-def: $sgpr12_sgpr13
.LBB1597_91:                            ; =>This Inner Loop Header: Depth=1
	global_load_dword v20, v[18:19], off
	global_load_dword v21, v[16:17], off
	s_add_u32 s0, s42, -1
	s_addc_u32 s1, s43, -1
	s_cmp_eq_u64 s[42:43], 0
	s_mov_b64 s[42:43], s[0:1]
	s_cselect_b64 s[44:45], -1, 0
	v_lshl_add_u64 v[18:19], v[18:19], 0, 4
	v_lshl_add_u64 v[16:17], v[16:17], 0, 4
	s_waitcnt vmcnt(0)
	v_cmp_ne_u32_e64 s[0:1], v20, v21
	s_or_b64 s[0:1], s[0:1], s[44:45]
	s_and_b64 s[0:1], exec, s[0:1]
	v_cmp_eq_u32_e32 vcc, v20, v21
	s_or_b64 s[40:41], s[0:1], s[40:41]
	s_andn2_b64 s[0:1], s[12:13], exec
	s_and_b64 s[12:13], vcc, exec
	s_or_b64 s[12:13], s[0:1], s[12:13]
	s_andn2_b64 exec, exec, s[40:41]
	s_cbranch_execnz .LBB1597_91
; %bb.92:
	s_or_b64 exec, exec, s[40:41]
	v_mul_lo_u32 v18, v3, s26
	v_mul_lo_u32 v19, v2, s27
	v_mad_u64_u32 v[16:17], s[0:1], v2, s26, 0
	v_add3_u32 v17, v17, v19, v18
	v_lshl_add_u64 v[16:17], v[16:17], 2, s[36:37]
	s_mov_b64 s[42:43], 0
	s_mov_b64 s[44:45], s[14:15]
	v_mov_b64_e32 v[18:19], v[16:17]
                                        ; implicit-def: $sgpr40_sgpr41
.LBB1597_93:                            ; =>This Inner Loop Header: Depth=1
	global_load_dword v20, v[18:19], off
	global_load_dword v21, v[14:15], off
	s_add_u32 s0, s44, -1
	s_addc_u32 s1, s45, -1
	s_cmp_eq_u64 s[44:45], 0
	s_mov_b64 s[44:45], s[0:1]
	s_cselect_b64 s[46:47], -1, 0
	v_lshl_add_u64 v[18:19], v[18:19], 0, 4
	v_lshl_add_u64 v[14:15], v[14:15], 0, 4
	s_waitcnt vmcnt(0)
	v_cmp_ne_u32_e64 s[0:1], v20, v21
	s_or_b64 s[0:1], s[0:1], s[46:47]
	s_and_b64 s[0:1], exec, s[0:1]
	v_cmp_eq_u32_e32 vcc, v20, v21
	s_or_b64 s[42:43], s[0:1], s[42:43]
	s_andn2_b64 s[0:1], s[40:41], exec
	s_and_b64 s[40:41], vcc, exec
	s_or_b64 s[40:41], s[0:1], s[40:41]
	s_andn2_b64 exec, exec, s[42:43]
	s_cbranch_execnz .LBB1597_93
; %bb.94:
	s_or_b64 exec, exec, s[42:43]
	v_mul_lo_u32 v18, v9, s26
	v_mul_lo_u32 v19, v8, s27
	v_mad_u64_u32 v[14:15], s[0:1], v8, s26, 0
	v_add3_u32 v15, v15, v19, v18
	v_lshl_add_u64 v[14:15], v[14:15], 2, s[36:37]
	s_mov_b64 s[44:45], 0
	s_mov_b64 s[46:47], s[14:15]
	v_mov_b64_e32 v[18:19], v[14:15]
                                        ; implicit-def: $sgpr42_sgpr43
.LBB1597_95:                            ; =>This Inner Loop Header: Depth=1
	global_load_dword v20, v[18:19], off
	global_load_dword v21, v[16:17], off
	s_add_u32 s0, s46, -1
	s_addc_u32 s1, s47, -1
	s_cmp_eq_u64 s[46:47], 0
	s_mov_b64 s[46:47], s[0:1]
	s_cselect_b64 s[50:51], -1, 0
	v_lshl_add_u64 v[18:19], v[18:19], 0, 4
	v_lshl_add_u64 v[16:17], v[16:17], 0, 4
	s_waitcnt vmcnt(0)
	v_cmp_ne_u32_e64 s[0:1], v20, v21
	s_or_b64 s[0:1], s[0:1], s[50:51]
	s_and_b64 s[0:1], exec, s[0:1]
	v_cmp_eq_u32_e32 vcc, v20, v21
	s_or_b64 s[44:45], s[0:1], s[44:45]
	s_andn2_b64 s[0:1], s[42:43], exec
	s_and_b64 s[42:43], vcc, exec
	s_or_b64 s[42:43], s[0:1], s[42:43]
	s_andn2_b64 exec, exec, s[44:45]
	s_cbranch_execnz .LBB1597_95
; %bb.96:
	s_or_b64 exec, exec, s[44:45]
	v_mul_lo_u32 v18, v7, s26
	v_mul_lo_u32 v19, v6, s27
	v_mad_u64_u32 v[16:17], s[0:1], v6, s26, 0
	v_add3_u32 v17, v17, v19, v18
	v_lshl_add_u64 v[16:17], v[16:17], 2, s[36:37]
	s_mov_b64 s[46:47], 0
                                        ; implicit-def: $sgpr44_sgpr45
.LBB1597_97:                            ; =>This Inner Loop Header: Depth=1
	global_load_dword v18, v[16:17], off
	global_load_dword v19, v[14:15], off
	s_add_u32 s0, s14, -1
	s_addc_u32 s1, s15, -1
	s_cmp_eq_u64 s[14:15], 0
	s_mov_b64 s[14:15], s[0:1]
	s_cselect_b64 s[50:51], -1, 0
	v_lshl_add_u64 v[16:17], v[16:17], 0, 4
	v_lshl_add_u64 v[14:15], v[14:15], 0, 4
	s_waitcnt vmcnt(0)
	v_cmp_ne_u32_e64 s[0:1], v18, v19
	s_or_b64 s[0:1], s[0:1], s[50:51]
	s_and_b64 s[0:1], exec, s[0:1]
	v_cmp_eq_u32_e32 vcc, v18, v19
	s_or_b64 s[46:47], s[0:1], s[46:47]
	s_andn2_b64 s[0:1], s[44:45], exec
	s_and_b64 s[44:45], vcc, exec
	s_or_b64 s[44:45], s[0:1], s[44:45]
	s_andn2_b64 exec, exec, s[46:47]
	s_cbranch_execnz .LBB1597_97
; %bb.98:
	s_or_b64 exec, exec, s[46:47]
	s_xor_b64 s[0:1], s[12:13], -1
	v_cndmask_b32_e64 v33, 0, 1, s[0:1]
	s_xor_b64 s[0:1], s[40:41], -1
	v_cndmask_b32_e64 v14, 0, 1, s[0:1]
	v_lshlrev_b16_e32 v14, 8, v14
	v_mov_b32_e32 v15, 8
	s_xor_b64 s[12:13], s[42:43], -1
	v_lshrrev_b32_sdwa v14, v15, v14 dst_sel:BYTE_1 dst_unused:UNUSED_PAD src0_sel:DWORD src1_sel:DWORD
	v_cndmask_b32_e64 v15, 0, 1, s[12:13]
	s_xor_b64 s[0:1], s[44:45], -1
	v_or_b32_sdwa v14, v15, v14 dst_sel:WORD_1 dst_unused:UNUSED_PAD src0_sel:DWORD src1_sel:DWORD
	s_branch .LBB1597_101
.LBB1597_99:
                                        ; implicit-def: $sgpr0_sgpr1
                                        ; implicit-def: $vgpr33
                                        ; implicit-def: $vgpr17
                                        ; implicit-def: $vgpr16
                                        ; implicit-def: $vgpr35
                                        ; implicit-def: $vgpr34
                                        ; implicit-def: $vgpr14
	s_cbranch_execnz .LBB1597_108
	s_branch .LBB1597_141
.LBB1597_100:
	v_mov_b32_e32 v14, 0
	v_mov_b32_e32 v33, 0
.LBB1597_101:
	v_lshrrev_b32_e32 v34, 16, v14
	v_lshrrev_b32_e32 v14, 24, v14
	v_cndmask_b32_e64 v35, 0, 1, s[0:1]
	v_mov_b32_e32 v16, 1
	s_waitcnt lgkmcnt(0)
	s_barrier
                                        ; implicit-def: $sgpr0_sgpr1
                                        ; implicit-def: $vgpr17
	s_and_saveexec_b64 s[12:13], s[2:3]
	s_xor_b64 s[12:13], exec, s[12:13]
	s_cbranch_execz .LBB1597_107
; %bb.102:
	v_lshlrev_b16_e32 v15, 8, v14
	s_movk_i32 s0, 0xff
	v_bitop3_b16 v15, v34, v15, s0 bitop3:0xec
	v_lshlrev_b16_e32 v17, 8, v35
	v_lshlrev_b32_e32 v15, 16, v15
	v_or_b32_e32 v17, 1, v17
	v_or_b32_sdwa v15, v17, v15 dst_sel:DWORD dst_unused:UNUSED_PAD src0_sel:WORD_0 src1_sel:DWORD
	s_mov_b32 s42, 0x3020104
	s_and_b64 vcc, exec, s[4:5]
	s_mov_b64 s[0:1], 0
	s_cbranch_vccnz .LBB1597_106
; %bb.103:
	v_add_u32_e32 v17, -8, v22
	ds_read_b64 v[18:19], v17
	v_mul_lo_u32 v17, v7, s26
	v_mul_lo_u32 v23, v6, s27
	s_add_u32 s40, s26, -1
	s_addc_u32 s41, s27, -1
	s_waitcnt lgkmcnt(0)
	v_mul_lo_u32 v20, v19, s26
	v_mul_lo_u32 v21, v18, s27
	v_mad_u64_u32 v[18:19], s[0:1], v18, s26, 0
	v_add3_u32 v19, v19, v21, v20
	v_mad_u64_u32 v[20:21], s[0:1], v6, s26, 0
	v_add3_u32 v21, v21, v23, v17
	v_lshl_add_u64 v[18:19], v[18:19], 2, s[36:37]
	v_lshl_add_u64 v[20:21], v[20:21], 2, s[36:37]
	s_mov_b64 s[4:5], 0
                                        ; implicit-def: $sgpr14_sgpr15
.LBB1597_104:                           ; =>This Inner Loop Header: Depth=1
	global_load_dword v17, v[18:19], off
	global_load_dword v23, v[20:21], off
	s_add_u32 s0, s40, -1
	s_addc_u32 s1, s41, -1
	s_cmp_eq_u64 s[40:41], 0
	s_mov_b64 s[40:41], s[0:1]
	s_cselect_b64 s[44:45], -1, 0
	v_lshl_add_u64 v[18:19], v[18:19], 0, 4
	v_lshl_add_u64 v[20:21], v[20:21], 0, 4
	s_waitcnt vmcnt(0)
	v_cmp_ne_u32_e64 s[0:1], v17, v23
	s_or_b64 s[0:1], s[0:1], s[44:45]
	s_and_b64 s[0:1], exec, s[0:1]
	v_cmp_eq_u32_e32 vcc, v17, v23
	s_or_b64 s[4:5], s[0:1], s[4:5]
	s_andn2_b64 s[0:1], s[14:15], exec
	s_and_b64 s[14:15], vcc, exec
	s_or_b64 s[14:15], s[0:1], s[14:15]
	s_andn2_b64 exec, exec, s[4:5]
	s_cbranch_execnz .LBB1597_104
; %bb.105:
	s_or_b64 exec, exec, s[4:5]
	s_xor_b64 s[0:1], s[14:15], -1
.LBB1597_106:
	v_perm_b32 v17, v15, v15, s42
	s_or_b64 s[10:11], s[10:11], exec
.LBB1597_107:
	s_or_b64 exec, exec, s[12:13]
	s_branch .LBB1597_141
.LBB1597_108:
	v_add_u32_e32 v14, 4, v1
	v_cmp_gt_u32_e32 vcc, s48, v14
	s_mov_b64 s[4:5], 0
	s_mov_b64 s[12:13], 0
	s_and_saveexec_b64 s[14:15], vcc
	s_cbranch_execz .LBB1597_114
; %bb.109:
	s_andn2_b64 vcc, exec, s[6:7]
	s_mov_b64 s[0:1], 0
	s_cbranch_vccnz .LBB1597_113
; %bb.110:
	v_mul_lo_u32 v16, v5, s26
	v_mul_lo_u32 v17, v4, s27
	v_mad_u64_u32 v[14:15], s[0:1], v4, s26, 0
	v_add3_u32 v15, v15, v17, v16
	v_mul_lo_u32 v18, v13, s26
	v_mul_lo_u32 v19, v12, s27
	v_mad_u64_u32 v[16:17], s[0:1], v12, s26, 0
	v_add3_u32 v17, v17, v19, v18
	s_add_u32 s42, s26, -1
	v_lshl_add_u64 v[14:15], v[14:15], 2, s[36:37]
	v_lshl_add_u64 v[16:17], v[16:17], 2, s[36:37]
	s_addc_u32 s43, s27, -1
                                        ; implicit-def: $sgpr40_sgpr41
.LBB1597_111:                           ; =>This Inner Loop Header: Depth=1
	global_load_dword v18, v[14:15], off
	global_load_dword v19, v[16:17], off
	s_add_u32 s0, s42, -1
	s_addc_u32 s1, s43, -1
	s_cmp_eq_u64 s[42:43], 0
	s_mov_b64 s[42:43], s[0:1]
	s_cselect_b64 s[44:45], -1, 0
	v_lshl_add_u64 v[14:15], v[14:15], 0, 4
	v_lshl_add_u64 v[16:17], v[16:17], 0, 4
	s_waitcnt vmcnt(0)
	v_cmp_ne_u32_e64 s[0:1], v18, v19
	s_or_b64 s[0:1], s[0:1], s[44:45]
	s_and_b64 s[0:1], exec, s[0:1]
	v_cmp_eq_u32_e32 vcc, v18, v19
	s_or_b64 s[12:13], s[0:1], s[12:13]
	s_andn2_b64 s[0:1], s[40:41], exec
	s_and_b64 s[40:41], vcc, exec
	s_or_b64 s[40:41], s[0:1], s[40:41]
	s_andn2_b64 exec, exec, s[12:13]
	s_cbranch_execnz .LBB1597_111
; %bb.112:
	s_or_b64 exec, exec, s[12:13]
	s_xor_b64 s[0:1], s[40:41], -1
.LBB1597_113:
	s_and_b64 s[12:13], s[0:1], exec
.LBB1597_114:
	s_or_b64 exec, exec, s[14:15]
	v_add_u32_e32 v14, 3, v1
	v_cmp_gt_u32_e32 vcc, s48, v14
	s_and_saveexec_b64 s[14:15], vcc
	s_cbranch_execz .LBB1597_120
; %bb.115:
	s_andn2_b64 vcc, exec, s[6:7]
	s_mov_b64 s[0:1], 0
	s_cbranch_vccnz .LBB1597_119
; %bb.116:
	v_mul_lo_u32 v16, v3, s26
	v_mul_lo_u32 v17, v2, s27
	v_mad_u64_u32 v[14:15], s[0:1], v2, s26, 0
	v_add3_u32 v15, v15, v17, v16
	v_mul_lo_u32 v18, v5, s26
	v_mul_lo_u32 v19, v4, s27
	v_mad_u64_u32 v[16:17], s[0:1], v4, s26, 0
	v_add3_u32 v17, v17, v19, v18
	s_add_u32 s42, s26, -1
	v_lshl_add_u64 v[14:15], v[14:15], 2, s[36:37]
	v_lshl_add_u64 v[16:17], v[16:17], 2, s[36:37]
	s_addc_u32 s43, s27, -1
	s_mov_b64 s[4:5], 0
                                        ; implicit-def: $sgpr40_sgpr41
.LBB1597_117:                           ; =>This Inner Loop Header: Depth=1
	global_load_dword v18, v[14:15], off
	global_load_dword v19, v[16:17], off
	s_add_u32 s0, s42, -1
	s_addc_u32 s1, s43, -1
	s_cmp_eq_u64 s[42:43], 0
	s_mov_b64 s[42:43], s[0:1]
	s_cselect_b64 s[44:45], -1, 0
	v_lshl_add_u64 v[14:15], v[14:15], 0, 4
	v_lshl_add_u64 v[16:17], v[16:17], 0, 4
	s_waitcnt vmcnt(0)
	v_cmp_ne_u32_e64 s[0:1], v18, v19
	s_or_b64 s[0:1], s[0:1], s[44:45]
	s_and_b64 s[0:1], exec, s[0:1]
	v_cmp_eq_u32_e32 vcc, v18, v19
	s_or_b64 s[4:5], s[0:1], s[4:5]
	s_andn2_b64 s[0:1], s[40:41], exec
	s_and_b64 s[40:41], vcc, exec
	s_or_b64 s[40:41], s[0:1], s[40:41]
	s_andn2_b64 exec, exec, s[4:5]
	s_cbranch_execnz .LBB1597_117
; %bb.118:
	s_or_b64 exec, exec, s[4:5]
	s_xor_b64 s[0:1], s[40:41], -1
.LBB1597_119:
	s_and_b64 s[4:5], s[0:1], exec
.LBB1597_120:
	s_or_b64 exec, exec, s[14:15]
	v_add_u32_e32 v14, 2, v1
	v_cmp_gt_u32_e32 vcc, s48, v14
	s_mov_b64 s[14:15], 0
	s_mov_b64 s[40:41], 0
	s_and_saveexec_b64 s[42:43], vcc
	s_cbranch_execz .LBB1597_126
; %bb.121:
	s_andn2_b64 vcc, exec, s[6:7]
	s_mov_b64 s[0:1], 0
	s_cbranch_vccnz .LBB1597_125
; %bb.122:
	v_mul_lo_u32 v16, v9, s26
	v_mul_lo_u32 v17, v8, s27
	v_mad_u64_u32 v[14:15], s[0:1], v8, s26, 0
	v_add3_u32 v15, v15, v17, v16
	v_mul_lo_u32 v18, v3, s26
	v_mul_lo_u32 v19, v2, s27
	v_mad_u64_u32 v[16:17], s[0:1], v2, s26, 0
	v_add3_u32 v17, v17, v19, v18
	s_add_u32 s46, s26, -1
	v_lshl_add_u64 v[14:15], v[14:15], 2, s[36:37]
	v_lshl_add_u64 v[16:17], v[16:17], 2, s[36:37]
	s_addc_u32 s47, s27, -1
                                        ; implicit-def: $sgpr44_sgpr45
.LBB1597_123:                           ; =>This Inner Loop Header: Depth=1
	global_load_dword v18, v[14:15], off
	global_load_dword v19, v[16:17], off
	s_add_u32 s0, s46, -1
	s_addc_u32 s1, s47, -1
	s_cmp_eq_u64 s[46:47], 0
	s_mov_b64 s[46:47], s[0:1]
	s_cselect_b64 s[50:51], -1, 0
	v_lshl_add_u64 v[14:15], v[14:15], 0, 4
	v_lshl_add_u64 v[16:17], v[16:17], 0, 4
	s_waitcnt vmcnt(0)
	v_cmp_ne_u32_e64 s[0:1], v18, v19
	s_or_b64 s[0:1], s[0:1], s[50:51]
	s_and_b64 s[0:1], exec, s[0:1]
	v_cmp_eq_u32_e32 vcc, v18, v19
	s_or_b64 s[40:41], s[0:1], s[40:41]
	s_andn2_b64 s[0:1], s[44:45], exec
	s_and_b64 s[44:45], vcc, exec
	s_or_b64 s[44:45], s[0:1], s[44:45]
	s_andn2_b64 exec, exec, s[40:41]
	s_cbranch_execnz .LBB1597_123
; %bb.124:
	s_or_b64 exec, exec, s[40:41]
	s_xor_b64 s[0:1], s[44:45], -1
.LBB1597_125:
	s_and_b64 s[40:41], s[0:1], exec
.LBB1597_126:
	s_or_b64 exec, exec, s[42:43]
	v_add_u32_e32 v14, 1, v1
	v_cmp_gt_u32_e32 vcc, s48, v14
	s_and_saveexec_b64 s[42:43], vcc
	s_cbranch_execz .LBB1597_132
; %bb.127:
	s_andn2_b64 vcc, exec, s[6:7]
	s_mov_b64 s[0:1], 0
	s_cbranch_vccnz .LBB1597_131
; %bb.128:
	v_mul_lo_u32 v16, v7, s26
	v_mul_lo_u32 v17, v6, s27
	v_mad_u64_u32 v[14:15], s[0:1], v6, s26, 0
	v_add3_u32 v15, v15, v17, v16
	v_mul_lo_u32 v18, v9, s26
	v_mul_lo_u32 v19, v8, s27
	v_mad_u64_u32 v[16:17], s[0:1], v8, s26, 0
	v_add3_u32 v17, v17, v19, v18
	s_add_u32 s46, s26, -1
	v_lshl_add_u64 v[14:15], v[14:15], 2, s[36:37]
	v_lshl_add_u64 v[16:17], v[16:17], 2, s[36:37]
	s_addc_u32 s47, s27, -1
	s_mov_b64 s[14:15], 0
                                        ; implicit-def: $sgpr44_sgpr45
.LBB1597_129:                           ; =>This Inner Loop Header: Depth=1
	global_load_dword v18, v[14:15], off
	global_load_dword v19, v[16:17], off
	s_add_u32 s0, s46, -1
	s_addc_u32 s1, s47, -1
	s_cmp_eq_u64 s[46:47], 0
	s_mov_b64 s[46:47], s[0:1]
	s_cselect_b64 s[50:51], -1, 0
	v_lshl_add_u64 v[14:15], v[14:15], 0, 4
	v_lshl_add_u64 v[16:17], v[16:17], 0, 4
	s_waitcnt vmcnt(0)
	v_cmp_ne_u32_e64 s[0:1], v18, v19
	s_or_b64 s[0:1], s[0:1], s[50:51]
	s_and_b64 s[0:1], exec, s[0:1]
	v_cmp_eq_u32_e32 vcc, v18, v19
	s_or_b64 s[14:15], s[0:1], s[14:15]
	s_andn2_b64 s[0:1], s[44:45], exec
	s_and_b64 s[44:45], vcc, exec
	s_or_b64 s[44:45], s[0:1], s[44:45]
	s_andn2_b64 exec, exec, s[14:15]
	s_cbranch_execnz .LBB1597_129
; %bb.130:
	s_or_b64 exec, exec, s[14:15]
	s_xor_b64 s[0:1], s[44:45], -1
.LBB1597_131:
	s_and_b64 s[14:15], s[0:1], exec
.LBB1597_132:
	s_or_b64 exec, exec, s[42:43]
	v_cndmask_b32_e64 v33, 0, 1, s[12:13]
	v_cndmask_b32_e64 v34, 0, 1, s[40:41]
	;; [unrolled: 1-line block ×4, first 2 shown]
	v_mov_b32_e32 v16, 1
	s_waitcnt lgkmcnt(0)
	s_barrier
                                        ; implicit-def: $sgpr0_sgpr1
                                        ; implicit-def: $vgpr17
	s_and_saveexec_b64 s[4:5], s[2:3]
	s_cbranch_execz .LBB1597_140
; %bb.133:
	v_lshlrev_b16_e32 v15, 8, v35
	v_lshlrev_b16_e32 v17, 8, v14
	v_or_b32_e32 v15, 1, v15
	v_or_b32_sdwa v17, v34, v17 dst_sel:WORD_1 dst_unused:UNUSED_PAD src0_sel:DWORD src1_sel:DWORD
	v_cmp_gt_u32_e32 vcc, s48, v1
	v_or_b32_sdwa v15, v15, v17 dst_sel:DWORD dst_unused:UNUSED_PAD src0_sel:WORD_0 src1_sel:DWORD
	s_mov_b32 s40, 0x3020104
	s_mov_b64 s[0:1], 0
	s_and_saveexec_b64 s[2:3], vcc
	s_cbranch_execz .LBB1597_139
; %bb.134:
	s_andn2_b64 vcc, exec, s[6:7]
	s_cbranch_vccnz .LBB1597_138
; %bb.135:
	v_add_u32_e32 v17, -8, v22
	ds_read_b64 v[18:19], v17
	v_mul_lo_u32 v17, v7, s26
	v_mul_lo_u32 v22, v6, s27
	s_add_u32 s14, s26, -1
	s_addc_u32 s15, s27, -1
	s_waitcnt lgkmcnt(0)
	v_mul_lo_u32 v20, v19, s26
	v_mul_lo_u32 v21, v18, s27
	v_mad_u64_u32 v[18:19], s[0:1], v18, s26, 0
	v_add3_u32 v19, v19, v21, v20
	v_mad_u64_u32 v[20:21], s[0:1], v6, s26, 0
	v_add3_u32 v21, v21, v22, v17
	v_lshl_add_u64 v[18:19], v[18:19], 2, s[36:37]
	v_lshl_add_u64 v[20:21], v[20:21], 2, s[36:37]
	s_mov_b64 s[6:7], 0
                                        ; implicit-def: $sgpr12_sgpr13
.LBB1597_136:                           ; =>This Inner Loop Header: Depth=1
	global_load_dword v17, v[18:19], off
	global_load_dword v22, v[20:21], off
	s_add_u32 s0, s14, -1
	s_addc_u32 s1, s15, -1
	s_cmp_eq_u64 s[14:15], 0
	s_mov_b64 s[14:15], s[0:1]
	s_cselect_b64 s[26:27], -1, 0
	v_lshl_add_u64 v[18:19], v[18:19], 0, 4
	v_lshl_add_u64 v[20:21], v[20:21], 0, 4
	s_waitcnt vmcnt(0)
	v_cmp_ne_u32_e64 s[0:1], v17, v22
	s_or_b64 s[0:1], s[0:1], s[26:27]
	s_and_b64 s[0:1], exec, s[0:1]
	v_cmp_eq_u32_e32 vcc, v17, v22
	s_or_b64 s[6:7], s[0:1], s[6:7]
	s_andn2_b64 s[0:1], s[12:13], exec
	s_and_b64 s[12:13], vcc, exec
	s_or_b64 s[12:13], s[0:1], s[12:13]
	s_andn2_b64 exec, exec, s[6:7]
	s_cbranch_execnz .LBB1597_136
; %bb.137:
	s_or_b64 exec, exec, s[6:7]
	s_xor_b64 s[0:1], s[12:13], -1
.LBB1597_138:
	s_and_b64 s[0:1], s[0:1], exec
.LBB1597_139:
	s_or_b64 exec, exec, s[2:3]
	v_perm_b32 v17, v15, v15, s40
	s_or_b64 s[10:11], s[10:11], exec
.LBB1597_140:
	s_or_b64 exec, exec, s[4:5]
.LBB1597_141:
	s_and_saveexec_b64 s[2:3], s[10:11]
	s_cbranch_execz .LBB1597_143
; %bb.142:
	s_waitcnt vmcnt(0) lgkmcnt(0)
	v_lshrrev_b32_e32 v14, 24, v17
	v_lshrrev_b32_e32 v34, 16, v17
	;; [unrolled: 1-line block ×3, first 2 shown]
	v_cndmask_b32_e64 v16, 0, 1, s[0:1]
.LBB1597_143:
	s_or_b64 exec, exec, s[2:3]
	s_andn2_b64 vcc, exec, s[8:9]
	s_cbranch_vccnz .LBB1597_147
; %bb.144:
	s_mov_b32 s0, 0xc0c0004
	s_waitcnt vmcnt(0) lgkmcnt(0)
	v_perm_b32 v14, v34, v14, s0
	v_perm_b32 v15, v16, v35, s0
	v_lshlrev_b32_e32 v14, 16, v14
	v_or_b32_e32 v15, v15, v14
	v_cmp_gt_u32_e32 vcc, s48, v1
	v_add_u32_e32 v16, 1, v1
	s_mov_b32 s0, 0x40c0100
	v_cndmask_b32_e32 v14, v14, v15, vcc
	v_and_b32_e32 v14, 0xffff00ff, v14
	v_cmp_gt_u32_e32 vcc, s48, v16
	v_add_u32_e32 v16, 2, v1
	v_and_b32_e32 v33, 0xff, v33
	v_cndmask_b32_e32 v14, v14, v15, vcc
	v_lshrrev_b32_e32 v18, 24, v14
	v_perm_b32 v14, v18, v14, s0
	v_cmp_gt_u32_e32 vcc, s48, v16
	v_add_u32_e32 v16, 3, v1
	v_and_b32_e32 v17, 0xffff, v33
	v_cndmask_b32_e32 v14, v14, v15, vcc
	v_and_b32_e32 v14, 0xffffff, v14
	v_cmp_gt_u32_e32 vcc, s48, v16
	v_add_u32_e32 v1, 4, v1
	s_nop 0
	v_cndmask_b32_e32 v16, v14, v15, vcc
	v_lshrrev_b32_e32 v34, 16, v16
	v_lshrrev_b32_e32 v35, 8, v16
	v_lshrrev_b64 v[14:15], 24, v[16:17]
	v_cmp_le_u32_e32 vcc, s48, v1
	s_and_saveexec_b64 s[0:1], vcc
; %bb.145:
	v_mov_b32_e32 v33, 0
; %bb.146:
	s_or_b64 exec, exec, s[0:1]
.LBB1597_147:
	v_and_b32_e32 v1, 0xff, v16
	s_waitcnt vmcnt(0) lgkmcnt(0)
	v_and_b32_e32 v15, 0xff, v35
	v_and_b32_e32 v17, 0xff, v34
	;; [unrolled: 1-line block ×4, first 2 shown]
	v_add3_u32 v19, v15, v1, v17
	v_add3_u32 v37, v19, v29, v18
	v_mbcnt_lo_u32_b32 v18, -1, 0
	v_mbcnt_hi_u32_b32 v31, -1, v18
	v_and_b32_e32 v18, 15, v31
	v_cmp_eq_u32_e64 s[14:15], 0, v18
	v_cmp_lt_u32_e64 s[12:13], 1, v18
	v_cmp_lt_u32_e64 s[10:11], 3, v18
	;; [unrolled: 1-line block ×3, first 2 shown]
	v_and_b32_e32 v18, 16, v31
	v_cmp_eq_u32_e64 s[6:7], 0, v18
	v_or_b32_e32 v18, 63, v0
	v_cmp_lt_u32_e64 s[2:3], 31, v31
	v_lshrrev_b32_e32 v36, 6, v0
	v_cmp_eq_u32_e64 s[4:5], v0, v18
	s_and_b64 vcc, exec, s[16:17]
	s_barrier
	s_cbranch_vccz .LBB1597_169
; %bb.148:
	v_mov_b32_dpp v18, v37 row_shr:1 row_mask:0xf bank_mask:0xf
	v_cndmask_b32_e64 v18, v18, 0, s[14:15]
	v_add_u32_e32 v18, v18, v37
	s_nop 1
	v_mov_b32_dpp v19, v18 row_shr:2 row_mask:0xf bank_mask:0xf
	v_cndmask_b32_e64 v19, 0, v19, s[12:13]
	v_add_u32_e32 v18, v18, v19
	s_nop 1
	;; [unrolled: 4-line block ×4, first 2 shown]
	v_mov_b32_dpp v19, v18 row_bcast:15 row_mask:0xf bank_mask:0xf
	v_cndmask_b32_e64 v19, v19, 0, s[6:7]
	v_add_u32_e32 v18, v18, v19
	s_nop 1
	v_mov_b32_dpp v19, v18 row_bcast:31 row_mask:0xf bank_mask:0xf
	v_cndmask_b32_e64 v19, 0, v19, s[2:3]
	v_add_u32_e32 v18, v18, v19
	s_and_saveexec_b64 s[0:1], s[4:5]
; %bb.149:
	v_lshlrev_b32_e32 v19, 2, v36
	ds_write_b32 v19, v18
; %bb.150:
	s_or_b64 exec, exec, s[0:1]
	v_cmp_gt_u32_e32 vcc, 2, v0
	s_waitcnt lgkmcnt(0)
	s_barrier
	s_and_saveexec_b64 s[0:1], vcc
	s_cbranch_execz .LBB1597_152
; %bb.151:
	v_lshlrev_b32_e32 v19, 2, v0
	ds_read_b32 v20, v19
	v_bfe_i32 v21, v31, 0, 1
	s_waitcnt lgkmcnt(0)
	v_mov_b32_dpp v22, v20 row_shr:1 row_mask:0xf bank_mask:0xf
	v_and_b32_e32 v21, v21, v22
	v_add_u32_e32 v20, v21, v20
	ds_write_b32 v19, v20
.LBB1597_152:
	s_or_b64 exec, exec, s[0:1]
	v_cmp_gt_u32_e32 vcc, 64, v0
	v_cmp_lt_u32_e64 s[0:1], 63, v0
	s_waitcnt lgkmcnt(0)
	s_barrier
                                        ; implicit-def: $vgpr28
	s_and_saveexec_b64 s[16:17], s[0:1]
	s_cbranch_execz .LBB1597_154
; %bb.153:
	v_lshl_add_u32 v19, v36, 2, -4
	ds_read_b32 v28, v19
	s_waitcnt lgkmcnt(0)
	v_add_u32_e32 v18, v28, v18
.LBB1597_154:
	s_or_b64 exec, exec, s[16:17]
	v_subrev_co_u32_e64 v19, s[16:17], 1, v31
	v_and_b32_e32 v20, 64, v31
	v_cmp_lt_i32_e64 s[0:1], v19, v20
	s_nop 1
	v_cndmask_b32_e64 v19, v19, v31, s[0:1]
	v_lshlrev_b32_e32 v19, 2, v19
	ds_bpermute_b32 v30, v19, v18
	s_and_saveexec_b64 s[0:1], vcc
	s_cbranch_execz .LBB1597_174
; %bb.155:
	v_mov_b32_e32 v25, 0
	ds_read_b32 v18, v25 offset:4
	s_and_saveexec_b64 s[26:27], s[16:17]
	s_cbranch_execz .LBB1597_157
; %bb.156:
	s_add_i32 s36, s33, 64
	s_mov_b32 s37, 0
	s_lshl_b64 s[36:37], s[36:37], 3
	s_add_u32 s36, s38, s36
	v_mov_b32_e32 v19, 1
	s_addc_u32 s37, s39, s37
	s_waitcnt lgkmcnt(0)
	global_store_dwordx2 v25, v[18:19], s[36:37] sc1
.LBB1597_157:
	s_or_b64 exec, exec, s[26:27]
	v_xad_u32 v20, v31, -1, s33
	v_add_u32_e32 v24, 64, v20
	v_lshl_add_u64 v[26:27], v[24:25], 3, s[38:39]
	global_load_dwordx2 v[22:23], v[26:27], off sc1
	s_waitcnt vmcnt(0)
	v_cmp_eq_u16_sdwa s[36:37], v23, v25 src0_sel:BYTE_0 src1_sel:DWORD
	s_and_saveexec_b64 s[26:27], s[36:37]
	s_cbranch_execz .LBB1597_161
; %bb.158:
	s_mov_b64 s[36:37], 0
	v_mov_b32_e32 v19, 0
.LBB1597_159:                           ; =>This Inner Loop Header: Depth=1
	global_load_dwordx2 v[22:23], v[26:27], off sc1
	s_waitcnt vmcnt(0)
	v_cmp_ne_u16_sdwa s[40:41], v23, v19 src0_sel:BYTE_0 src1_sel:DWORD
	s_or_b64 s[36:37], s[40:41], s[36:37]
	s_andn2_b64 exec, exec, s[36:37]
	s_cbranch_execnz .LBB1597_159
; %bb.160:
	s_or_b64 exec, exec, s[36:37]
.LBB1597_161:
	s_or_b64 exec, exec, s[26:27]
	v_and_b32_e32 v39, 63, v31
	v_mov_b32_e32 v38, 2
	v_cmp_ne_u32_e32 vcc, 63, v39
	v_cmp_eq_u16_sdwa s[26:27], v23, v38 src0_sel:BYTE_0 src1_sel:DWORD
	v_lshlrev_b64 v[24:25], v31, -1
	v_addc_co_u32_e32 v26, vcc, 0, v31, vcc
	v_and_b32_e32 v19, s27, v25
	v_lshlrev_b32_e32 v40, 2, v26
	v_or_b32_e32 v19, 0x80000000, v19
	ds_bpermute_b32 v26, v40, v22
	v_and_b32_e32 v21, s26, v24
	v_ffbl_b32_e32 v19, v19
	v_add_u32_e32 v19, 32, v19
	v_ffbl_b32_e32 v21, v21
	v_min_u32_e32 v19, v21, v19
	v_cmp_lt_u32_e32 vcc, v39, v19
	v_add_u32_e32 v42, 2, v39
	v_add_u32_e32 v44, 4, v39
	s_waitcnt lgkmcnt(0)
	v_cndmask_b32_e32 v21, 0, v26, vcc
	v_cmp_gt_u32_e32 vcc, 62, v39
	v_add_u32_e32 v21, v21, v22
	v_add_u32_e32 v46, 8, v39
	v_cndmask_b32_e64 v22, 0, 2, vcc
	v_add_lshl_u32 v41, v22, v31, 2
	ds_bpermute_b32 v22, v41, v21
	v_cmp_le_u32_e32 vcc, v42, v19
	v_add_u32_e32 v48, 16, v39
	v_add_u32_e32 v50, 32, v39
	s_waitcnt lgkmcnt(0)
	v_cndmask_b32_e32 v22, 0, v22, vcc
	v_cmp_gt_u32_e32 vcc, 60, v39
	v_add_u32_e32 v21, v21, v22
	s_nop 0
	v_cndmask_b32_e64 v22, 0, 4, vcc
	v_add_lshl_u32 v43, v22, v31, 2
	ds_bpermute_b32 v22, v43, v21
	v_cmp_le_u32_e32 vcc, v44, v19
	s_waitcnt lgkmcnt(0)
	s_nop 0
	v_cndmask_b32_e32 v22, 0, v22, vcc
	v_cmp_gt_u32_e32 vcc, 56, v39
	v_add_u32_e32 v21, v21, v22
	s_nop 0
	v_cndmask_b32_e64 v22, 0, 8, vcc
	v_add_lshl_u32 v45, v22, v31, 2
	ds_bpermute_b32 v22, v45, v21
	v_cmp_le_u32_e32 vcc, v46, v19
	s_waitcnt lgkmcnt(0)
	s_nop 0
	;; [unrolled: 10-line block ×3, first 2 shown]
	v_cndmask_b32_e32 v22, 0, v22, vcc
	v_add_u32_e32 v21, v21, v22
	v_mov_b32_e32 v22, 0x80
	v_lshl_or_b32 v49, v31, 2, v22
	ds_bpermute_b32 v22, v49, v21
	v_cmp_le_u32_e32 vcc, v50, v19
	s_waitcnt lgkmcnt(0)
	s_nop 0
	v_cndmask_b32_e32 v19, 0, v22, vcc
	v_add_u32_e32 v22, v21, v19
	v_mov_b32_e32 v21, 0
	s_branch .LBB1597_164
.LBB1597_162:                           ;   in Loop: Header=BB1597_164 Depth=1
	s_or_b64 exec, exec, s[26:27]
	v_cmp_eq_u16_sdwa s[26:27], v23, v38 src0_sel:BYTE_0 src1_sel:DWORD
	ds_bpermute_b32 v51, v40, v22
	v_subrev_u32_e32 v20, 64, v20
	v_and_b32_e32 v26, s27, v25
	v_or_b32_e32 v26, 0x80000000, v26
	v_and_b32_e32 v27, s26, v24
	v_ffbl_b32_e32 v26, v26
	v_add_u32_e32 v26, 32, v26
	v_ffbl_b32_e32 v27, v27
	v_min_u32_e32 v26, v27, v26
	v_cmp_lt_u32_e32 vcc, v39, v26
	s_mov_b64 s[26:27], 0
	s_waitcnt lgkmcnt(0)
	v_cndmask_b32_e32 v27, 0, v51, vcc
	v_add_u32_e32 v22, v27, v22
	ds_bpermute_b32 v27, v41, v22
	v_cmp_le_u32_e32 vcc, v42, v26
	s_waitcnt lgkmcnt(0)
	s_nop 0
	v_cndmask_b32_e32 v27, 0, v27, vcc
	v_add_u32_e32 v22, v22, v27
	ds_bpermute_b32 v27, v43, v22
	v_cmp_le_u32_e32 vcc, v44, v26
	s_waitcnt lgkmcnt(0)
	s_nop 0
	;; [unrolled: 6-line block ×5, first 2 shown]
	v_cndmask_b32_e32 v26, 0, v27, vcc
	v_add3_u32 v22, v26, v19, v22
.LBB1597_163:                           ;   in Loop: Header=BB1597_164 Depth=1
	s_and_b64 vcc, exec, s[26:27]
	s_cbranch_vccnz .LBB1597_170
.LBB1597_164:                           ; =>This Loop Header: Depth=1
                                        ;     Child Loop BB1597_167 Depth 2
	v_cmp_ne_u16_sdwa s[26:27], v23, v38 src0_sel:BYTE_0 src1_sel:DWORD
	v_mov_b32_e32 v19, v22
	s_cmp_lg_u64 s[26:27], exec
	s_mov_b64 s[26:27], -1
                                        ; implicit-def: $vgpr22
                                        ; implicit-def: $vgpr23
	s_cbranch_scc1 .LBB1597_163
; %bb.165:                              ;   in Loop: Header=BB1597_164 Depth=1
	v_lshl_add_u64 v[26:27], v[20:21], 3, s[38:39]
	global_load_dwordx2 v[22:23], v[26:27], off sc1
	s_waitcnt vmcnt(0)
	v_cmp_eq_u16_sdwa s[36:37], v23, v21 src0_sel:BYTE_0 src1_sel:DWORD
	s_and_saveexec_b64 s[26:27], s[36:37]
	s_cbranch_execz .LBB1597_162
; %bb.166:                              ;   in Loop: Header=BB1597_164 Depth=1
	s_mov_b64 s[36:37], 0
.LBB1597_167:                           ;   Parent Loop BB1597_164 Depth=1
                                        ; =>  This Inner Loop Header: Depth=2
	global_load_dwordx2 v[22:23], v[26:27], off sc1
	s_waitcnt vmcnt(0)
	v_cmp_ne_u16_sdwa s[40:41], v23, v21 src0_sel:BYTE_0 src1_sel:DWORD
	s_or_b64 s[36:37], s[40:41], s[36:37]
	s_andn2_b64 exec, exec, s[36:37]
	s_cbranch_execnz .LBB1597_167
; %bb.168:                              ;   in Loop: Header=BB1597_164 Depth=1
	s_or_b64 exec, exec, s[36:37]
	s_branch .LBB1597_162
.LBB1597_169:
                                        ; implicit-def: $vgpr22
                                        ; implicit-def: $vgpr24
                                        ; implicit-def: $vgpr26
                                        ; implicit-def: $vgpr28
                                        ; implicit-def: $vgpr30
                                        ; implicit-def: $vgpr20
                                        ; implicit-def: $vgpr18
	s_cbranch_execnz .LBB1597_175
	s_branch .LBB1597_184
.LBB1597_170:
	s_and_saveexec_b64 s[26:27], s[16:17]
	s_cbranch_execz .LBB1597_172
; %bb.171:
	s_add_i32 s36, s33, 64
	s_mov_b32 s37, 0
	s_lshl_b64 s[36:37], s[36:37], 3
	s_add_u32 s36, s38, s36
	v_add_u32_e32 v20, v19, v18
	v_mov_b32_e32 v21, 2
	s_addc_u32 s37, s39, s37
	v_mov_b32_e32 v22, 0
	global_store_dwordx2 v22, v[20:21], s[36:37] sc1
	ds_write_b64 v22, v[18:19] offset:5120
.LBB1597_172:
	s_or_b64 exec, exec, s[26:27]
	s_and_b64 exec, exec, s[18:19]
; %bb.173:
	v_mov_b32_e32 v18, 0
	ds_write_b32 v18, v19 offset:4
.LBB1597_174:
	s_or_b64 exec, exec, s[0:1]
	v_mov_b32_e32 v18, 0
	s_waitcnt lgkmcnt(0)
	s_barrier
	ds_read_b32 v19, v18 offset:4
	v_cndmask_b32_e64 v20, v30, v28, s[16:17]
	v_cndmask_b32_e64 v20, v20, 0, s[18:19]
	s_waitcnt lgkmcnt(0)
	s_barrier
	v_add_u32_e32 v30, v19, v20
	ds_read_b64 v[18:19], v18 offset:5120
	v_add_u32_e32 v28, v30, v1
	v_add_u32_e32 v26, v28, v15
	;; [unrolled: 1-line block ×4, first 2 shown]
	s_waitcnt lgkmcnt(0)
	v_mov_b32_e32 v20, v19
	s_branch .LBB1597_184
.LBB1597_175:
	v_mov_b32_dpp v18, v37 row_shr:1 row_mask:0xf bank_mask:0xf
	v_cndmask_b32_e64 v18, v18, 0, s[14:15]
	v_add_u32_e32 v18, v18, v37
	s_nop 1
	v_mov_b32_dpp v19, v18 row_shr:2 row_mask:0xf bank_mask:0xf
	v_cndmask_b32_e64 v19, 0, v19, s[12:13]
	v_add_u32_e32 v18, v18, v19
	s_nop 1
	;; [unrolled: 4-line block ×4, first 2 shown]
	v_mov_b32_dpp v19, v18 row_bcast:15 row_mask:0xf bank_mask:0xf
	v_cndmask_b32_e64 v19, v19, 0, s[6:7]
	v_add_u32_e32 v18, v18, v19
	s_nop 1
	v_mov_b32_dpp v19, v18 row_bcast:31 row_mask:0xf bank_mask:0xf
	v_cndmask_b32_e64 v19, 0, v19, s[2:3]
	v_add_u32_e32 v18, v18, v19
	s_and_saveexec_b64 s[0:1], s[4:5]
; %bb.176:
	v_lshlrev_b32_e32 v19, 2, v36
	ds_write_b32 v19, v18
; %bb.177:
	s_or_b64 exec, exec, s[0:1]
	v_cmp_gt_u32_e32 vcc, 2, v0
	s_waitcnt lgkmcnt(0)
	s_barrier
	s_and_saveexec_b64 s[0:1], vcc
	s_cbranch_execz .LBB1597_179
; %bb.178:
	v_lshlrev_b32_e32 v19, 2, v0
	ds_read_b32 v20, v19
	v_bfe_i32 v21, v31, 0, 1
	s_waitcnt lgkmcnt(0)
	v_mov_b32_dpp v22, v20 row_shr:1 row_mask:0xf bank_mask:0xf
	v_and_b32_e32 v21, v21, v22
	v_add_u32_e32 v20, v21, v20
	ds_write_b32 v19, v20
.LBB1597_179:
	s_or_b64 exec, exec, s[0:1]
	v_cmp_lt_u32_e32 vcc, 63, v0
	v_mov_b32_e32 v19, 0
	v_mov_b32_e32 v20, 0
	s_waitcnt lgkmcnt(0)
	s_barrier
	s_and_saveexec_b64 s[0:1], vcc
; %bb.180:
	v_lshl_add_u32 v20, v36, 2, -4
	ds_read_b32 v20, v20
; %bb.181:
	s_or_b64 exec, exec, s[0:1]
	v_subrev_co_u32_e32 v21, vcc, 1, v31
	v_and_b32_e32 v22, 64, v31
	v_cmp_lt_i32_e64 s[0:1], v21, v22
	s_waitcnt lgkmcnt(0)
	v_add_u32_e32 v18, v20, v18
	v_cndmask_b32_e64 v21, v21, v31, s[0:1]
	v_lshlrev_b32_e32 v21, 2, v21
	ds_bpermute_b32 v21, v21, v18
	ds_read_b32 v18, v19 offset:4
	s_and_saveexec_b64 s[0:1], s[18:19]
	s_cbranch_execz .LBB1597_183
; %bb.182:
	v_mov_b32_e32 v22, 0
	v_mov_b32_e32 v19, 2
	s_waitcnt lgkmcnt(0)
	global_store_dwordx2 v22, v[18:19], s[38:39] offset:512 sc1
.LBB1597_183:
	s_or_b64 exec, exec, s[0:1]
	s_waitcnt lgkmcnt(1)
	v_cndmask_b32_e32 v19, v21, v20, vcc
	v_cndmask_b32_e64 v30, v19, 0, s[18:19]
	v_add_u32_e32 v28, v30, v1
	v_add_u32_e32 v26, v28, v15
	;; [unrolled: 1-line block ×4, first 2 shown]
	s_waitcnt lgkmcnt(0)
	s_barrier
	v_mov_b32_e32 v20, 0
.LBB1597_184:
	s_movk_i32 s0, 0x81
	v_cmp_gt_u32_e64 s[2:3], s0, v18
	v_add_u32_e32 v15, v20, v18
	v_and_b32_e32 v1, 1, v16
	s_mov_b64 s[6:7], -1
	s_and_b64 vcc, exec, s[2:3]
	v_cmp_lt_u32_e64 s[0:1], v30, v15
	v_cmp_eq_u32_e64 s[4:5], 1, v1
	s_cbranch_vccz .LBB1597_196
; %bb.185:
	s_or_b64 s[0:1], s[34:35], s[0:1]
	s_and_b64 s[4:5], s[0:1], s[4:5]
	s_and_saveexec_b64 s[0:1], s[4:5]
	s_cbranch_execz .LBB1597_187
; %bb.186:
	s_lshl_b64 s[4:5], s[22:23], 3
	s_add_u32 s4, s28, s4
	s_addc_u32 s5, s29, s5
	v_mov_b32_e32 v31, 0
	v_lshl_add_u64 v[16:17], v[30:31], 3, s[4:5]
	global_store_dwordx2 v[16:17], v[6:7], off
.LBB1597_187:
	s_or_b64 exec, exec, s[0:1]
	v_cmp_lt_u32_e32 vcc, v28, v15
	v_and_b32_e32 v16, 1, v35
	s_or_b64 s[0:1], s[34:35], vcc
	v_cmp_eq_u32_e32 vcc, 1, v16
	s_and_b64 s[4:5], s[0:1], vcc
	s_and_saveexec_b64 s[0:1], s[4:5]
	s_cbranch_execz .LBB1597_189
; %bb.188:
	s_lshl_b64 s[4:5], s[22:23], 3
	s_add_u32 s4, s28, s4
	s_addc_u32 s5, s29, s5
	v_mov_b32_e32 v29, 0
	v_lshl_add_u64 v[16:17], v[28:29], 3, s[4:5]
	global_store_dwordx2 v[16:17], v[8:9], off
.LBB1597_189:
	s_or_b64 exec, exec, s[0:1]
	v_cmp_lt_u32_e32 vcc, v26, v15
	v_and_b32_e32 v16, 1, v34
	s_or_b64 s[0:1], s[34:35], vcc
	v_cmp_eq_u32_e32 vcc, 1, v16
	s_and_b64 s[4:5], s[0:1], vcc
	;; [unrolled: 16-line block ×4, first 2 shown]
	s_and_saveexec_b64 s[0:1], s[4:5]
	s_cbranch_execz .LBB1597_195
; %bb.194:
	s_lshl_b64 s[4:5], s[22:23], 3
	s_add_u32 s4, s28, s4
	s_addc_u32 s5, s29, s5
	v_mov_b32_e32 v23, 0
	v_lshl_add_u64 v[16:17], v[22:23], 3, s[4:5]
	global_store_dwordx2 v[16:17], v[12:13], off
.LBB1597_195:
	s_or_b64 exec, exec, s[0:1]
	s_mov_b64 s[6:7], 0
.LBB1597_196:
	s_and_b64 vcc, exec, s[6:7]
	s_cbranch_vccz .LBB1597_210
; %bb.197:
	v_cmp_eq_u32_e32 vcc, 1, v1
	s_and_saveexec_b64 s[0:1], vcc
; %bb.198:
	v_sub_u32_e32 v16, v30, v20
	v_lshlrev_b32_e32 v16, 3, v16
	ds_write_b64 v16, v[6:7]
; %bb.199:
	s_or_b64 exec, exec, s[0:1]
	v_and_b32_e32 v6, 1, v35
	v_cmp_eq_u32_e32 vcc, 1, v6
	s_and_saveexec_b64 s[0:1], vcc
; %bb.200:
	v_sub_u32_e32 v6, v28, v20
	v_lshlrev_b32_e32 v6, 3, v6
	ds_write_b64 v6, v[8:9]
; %bb.201:
	s_or_b64 exec, exec, s[0:1]
	v_and_b32_e32 v6, 1, v34
	;; [unrolled: 9-line block ×4, first 2 shown]
	v_cmp_eq_u32_e32 vcc, 1, v2
	s_and_saveexec_b64 s[0:1], vcc
; %bb.206:
	v_sub_u32_e32 v2, v22, v20
	v_lshlrev_b32_e32 v2, 3, v2
	ds_write_b64 v2, v[12:13]
; %bb.207:
	s_or_b64 exec, exec, s[0:1]
	v_mov_b32_e32 v3, 0
	v_mov_b32_e32 v21, v3
	v_lshlrev_b64 v[4:5], 3, v[20:21]
	v_lshl_add_u64 v[4:5], s[28:29], 0, v[4:5]
	s_lshl_b64 s[0:1], s[22:23], 3
	v_lshl_add_u64 v[4:5], v[4:5], 0, s[0:1]
	v_lshlrev_b32_e32 v6, 3, v0
	s_mov_b64 s[0:1], 0
	v_mov_b32_e32 v2, v0
	s_waitcnt lgkmcnt(0)
	s_barrier
.LBB1597_208:                           ; =>This Inner Loop Header: Depth=1
	ds_read_b64 v[8:9], v6
	v_lshl_add_u64 v[12:13], v[2:3], 3, v[4:5]
	v_add_u32_e32 v2, 0x80, v2
	v_cmp_ge_u32_e32 vcc, v2, v18
	v_add_u32_e32 v6, 0x400, v6
	s_or_b64 s[0:1], vcc, s[0:1]
	s_waitcnt lgkmcnt(0)
	global_store_dwordx2 v[12:13], v[8:9], off
	s_andn2_b64 exec, exec, s[0:1]
	s_cbranch_execnz .LBB1597_208
; %bb.209:
	s_or_b64 exec, exec, s[0:1]
.LBB1597_210:
	s_mov_b64 s[0:1], -1
	s_and_b64 vcc, exec, s[2:3]
	s_barrier
	s_cbranch_vccnz .LBB1597_214
; %bb.211:
	s_and_b64 vcc, exec, s[0:1]
	s_cbranch_vccnz .LBB1597_225
.LBB1597_212:
	s_and_b64 s[0:1], s[18:19], s[24:25]
	s_and_saveexec_b64 s[2:3], s[0:1]
	s_cbranch_execnz .LBB1597_238
.LBB1597_213:
	s_endpgm
.LBB1597_214:
	v_cmp_lt_u32_e32 vcc, v30, v15
	s_or_b64 s[0:1], s[34:35], vcc
	v_cmp_eq_u32_e32 vcc, 1, v1
	s_and_b64 s[2:3], s[0:1], vcc
	s_and_saveexec_b64 s[0:1], s[2:3]
	s_cbranch_execz .LBB1597_216
; %bb.215:
	s_lshl_b64 s[2:3], s[22:23], 3
	s_add_u32 s2, s30, s2
	s_addc_u32 s3, s31, s3
	v_mov_b32_e32 v31, 0
	v_lshl_add_u64 v[2:3], v[30:31], 3, s[2:3]
	global_store_dwordx2 v[2:3], v[56:57], off
.LBB1597_216:
	s_or_b64 exec, exec, s[0:1]
	v_cmp_lt_u32_e32 vcc, v28, v15
	v_and_b32_e32 v2, 1, v35
	s_or_b64 s[0:1], s[34:35], vcc
	v_cmp_eq_u32_e32 vcc, 1, v2
	s_and_b64 s[2:3], s[0:1], vcc
	s_and_saveexec_b64 s[0:1], s[2:3]
	s_cbranch_execz .LBB1597_218
; %bb.217:
	s_lshl_b64 s[2:3], s[22:23], 3
	s_add_u32 s2, s30, s2
	s_addc_u32 s3, s31, s3
	v_mov_b32_e32 v29, 0
	v_lshl_add_u64 v[2:3], v[28:29], 3, s[2:3]
	global_store_dwordx2 v[2:3], v[58:59], off
.LBB1597_218:
	s_or_b64 exec, exec, s[0:1]
	v_cmp_lt_u32_e32 vcc, v26, v15
	v_and_b32_e32 v2, 1, v34
	;; [unrolled: 16-line block ×4, first 2 shown]
	s_or_b64 s[0:1], s[34:35], vcc
	v_cmp_eq_u32_e32 vcc, 1, v2
	s_and_b64 s[2:3], s[0:1], vcc
	s_and_saveexec_b64 s[0:1], s[2:3]
	s_cbranch_execz .LBB1597_224
; %bb.223:
	s_lshl_b64 s[2:3], s[22:23], 3
	s_add_u32 s2, s30, s2
	s_addc_u32 s3, s31, s3
	v_mov_b32_e32 v23, 0
	v_lshl_add_u64 v[2:3], v[22:23], 3, s[2:3]
	global_store_dwordx2 v[2:3], v[10:11], off
.LBB1597_224:
	s_or_b64 exec, exec, s[0:1]
	s_branch .LBB1597_212
.LBB1597_225:
	v_cmp_eq_u32_e32 vcc, 1, v1
	s_and_saveexec_b64 s[0:1], vcc
; %bb.226:
	v_sub_u32_e32 v1, v30, v20
	v_lshlrev_b32_e32 v1, 3, v1
	ds_write_b64 v1, v[56:57]
; %bb.227:
	s_or_b64 exec, exec, s[0:1]
	v_and_b32_e32 v1, 1, v35
	v_cmp_eq_u32_e32 vcc, 1, v1
	s_and_saveexec_b64 s[0:1], vcc
; %bb.228:
	v_sub_u32_e32 v1, v28, v20
	v_lshlrev_b32_e32 v1, 3, v1
	ds_write_b64 v1, v[58:59]
; %bb.229:
	s_or_b64 exec, exec, s[0:1]
	v_and_b32_e32 v1, 1, v34
	;; [unrolled: 9-line block ×4, first 2 shown]
	v_cmp_eq_u32_e32 vcc, 1, v1
	s_and_saveexec_b64 s[0:1], vcc
; %bb.234:
	v_sub_u32_e32 v1, v22, v20
	v_lshlrev_b32_e32 v1, 3, v1
	ds_write_b64 v1, v[10:11]
; %bb.235:
	s_or_b64 exec, exec, s[0:1]
	v_mov_b32_e32 v1, 0
	v_mov_b32_e32 v21, v1
	v_lshlrev_b64 v[2:3], 3, v[20:21]
	v_lshl_add_u64 v[2:3], s[30:31], 0, v[2:3]
	s_lshl_b64 s[0:1], s[22:23], 3
	v_lshl_add_u64 v[2:3], v[2:3], 0, s[0:1]
	s_mov_b64 s[0:1], 0
	s_waitcnt lgkmcnt(0)
	s_barrier
.LBB1597_236:                           ; =>This Inner Loop Header: Depth=1
	ds_read_b64 v[4:5], v32
	v_lshl_add_u64 v[6:7], v[0:1], 3, v[2:3]
	v_add_u32_e32 v0, 0x80, v0
	v_cmp_ge_u32_e32 vcc, v0, v18
	v_add_u32_e32 v32, 0x400, v32
	s_or_b64 s[0:1], vcc, s[0:1]
	s_waitcnt lgkmcnt(0)
	global_store_dwordx2 v[6:7], v[4:5], off
	s_andn2_b64 exec, exec, s[0:1]
	s_cbranch_execnz .LBB1597_236
; %bb.237:
	s_or_b64 exec, exec, s[0:1]
	s_and_b64 s[0:1], s[18:19], s[24:25]
	s_and_saveexec_b64 s[2:3], s[0:1]
	s_cbranch_execz .LBB1597_213
.LBB1597_238:
	v_mov_b32_e32 v19, 0
	v_lshl_add_u64 v[0:1], s[22:23], 0, v[18:19]
	v_mov_b32_e32 v21, v19
	v_lshl_add_u64 v[0:1], v[0:1], 0, v[20:21]
	global_store_dwordx2 v19, v[0:1], s[20:21]
	s_endpgm
	.section	.rodata,"a",@progbits
	.p2align	6, 0x0
	.amdhsa_kernel _ZN7rocprim17ROCPRIM_400000_NS6detail17trampoline_kernelINS0_14default_configENS1_25partition_config_selectorILNS1_17partition_subalgoE9EllbEEZZNS1_14partition_implILS5_9ELb0ES3_jPlS8_PNS0_10empty_typeENS0_5tupleIJS8_S9_EEENSB_IJS8_SA_EEENS0_18inequality_wrapperIZN2at6native12_GLOBAL__N_124unique_dim_cuda_templateIjEESt5tupleIJNSF_6TensorESK_SK_EERKSK_lbbbEUlllE0_EEPmJS9_EEE10hipError_tPvRmT3_T4_T5_T6_T7_T9_mT8_P12ihipStream_tbDpT10_ENKUlT_T0_E_clISt17integral_constantIbLb0EES19_IbLb1EEEEDaS15_S16_EUlS15_E_NS1_11comp_targetILNS1_3genE0ELNS1_11target_archE4294967295ELNS1_3gpuE0ELNS1_3repE0EEENS1_30default_config_static_selectorELNS0_4arch9wavefront6targetE1EEEvT1_
		.amdhsa_group_segment_fixed_size 5128
		.amdhsa_private_segment_fixed_size 0
		.amdhsa_kernarg_size 136
		.amdhsa_user_sgpr_count 2
		.amdhsa_user_sgpr_dispatch_ptr 0
		.amdhsa_user_sgpr_queue_ptr 0
		.amdhsa_user_sgpr_kernarg_segment_ptr 1
		.amdhsa_user_sgpr_dispatch_id 0
		.amdhsa_user_sgpr_kernarg_preload_length 0
		.amdhsa_user_sgpr_kernarg_preload_offset 0
		.amdhsa_user_sgpr_private_segment_size 0
		.amdhsa_uses_dynamic_stack 0
		.amdhsa_enable_private_segment 0
		.amdhsa_system_sgpr_workgroup_id_x 1
		.amdhsa_system_sgpr_workgroup_id_y 0
		.amdhsa_system_sgpr_workgroup_id_z 0
		.amdhsa_system_sgpr_workgroup_info 0
		.amdhsa_system_vgpr_workitem_id 0
		.amdhsa_next_free_vgpr 60
		.amdhsa_next_free_sgpr 52
		.amdhsa_accum_offset 60
		.amdhsa_reserve_vcc 1
		.amdhsa_float_round_mode_32 0
		.amdhsa_float_round_mode_16_64 0
		.amdhsa_float_denorm_mode_32 3
		.amdhsa_float_denorm_mode_16_64 3
		.amdhsa_dx10_clamp 1
		.amdhsa_ieee_mode 1
		.amdhsa_fp16_overflow 0
		.amdhsa_tg_split 0
		.amdhsa_exception_fp_ieee_invalid_op 0
		.amdhsa_exception_fp_denorm_src 0
		.amdhsa_exception_fp_ieee_div_zero 0
		.amdhsa_exception_fp_ieee_overflow 0
		.amdhsa_exception_fp_ieee_underflow 0
		.amdhsa_exception_fp_ieee_inexact 0
		.amdhsa_exception_int_div_zero 0
	.end_amdhsa_kernel
	.section	.text._ZN7rocprim17ROCPRIM_400000_NS6detail17trampoline_kernelINS0_14default_configENS1_25partition_config_selectorILNS1_17partition_subalgoE9EllbEEZZNS1_14partition_implILS5_9ELb0ES3_jPlS8_PNS0_10empty_typeENS0_5tupleIJS8_S9_EEENSB_IJS8_SA_EEENS0_18inequality_wrapperIZN2at6native12_GLOBAL__N_124unique_dim_cuda_templateIjEESt5tupleIJNSF_6TensorESK_SK_EERKSK_lbbbEUlllE0_EEPmJS9_EEE10hipError_tPvRmT3_T4_T5_T6_T7_T9_mT8_P12ihipStream_tbDpT10_ENKUlT_T0_E_clISt17integral_constantIbLb0EES19_IbLb1EEEEDaS15_S16_EUlS15_E_NS1_11comp_targetILNS1_3genE0ELNS1_11target_archE4294967295ELNS1_3gpuE0ELNS1_3repE0EEENS1_30default_config_static_selectorELNS0_4arch9wavefront6targetE1EEEvT1_,"axG",@progbits,_ZN7rocprim17ROCPRIM_400000_NS6detail17trampoline_kernelINS0_14default_configENS1_25partition_config_selectorILNS1_17partition_subalgoE9EllbEEZZNS1_14partition_implILS5_9ELb0ES3_jPlS8_PNS0_10empty_typeENS0_5tupleIJS8_S9_EEENSB_IJS8_SA_EEENS0_18inequality_wrapperIZN2at6native12_GLOBAL__N_124unique_dim_cuda_templateIjEESt5tupleIJNSF_6TensorESK_SK_EERKSK_lbbbEUlllE0_EEPmJS9_EEE10hipError_tPvRmT3_T4_T5_T6_T7_T9_mT8_P12ihipStream_tbDpT10_ENKUlT_T0_E_clISt17integral_constantIbLb0EES19_IbLb1EEEEDaS15_S16_EUlS15_E_NS1_11comp_targetILNS1_3genE0ELNS1_11target_archE4294967295ELNS1_3gpuE0ELNS1_3repE0EEENS1_30default_config_static_selectorELNS0_4arch9wavefront6targetE1EEEvT1_,comdat
.Lfunc_end1597:
	.size	_ZN7rocprim17ROCPRIM_400000_NS6detail17trampoline_kernelINS0_14default_configENS1_25partition_config_selectorILNS1_17partition_subalgoE9EllbEEZZNS1_14partition_implILS5_9ELb0ES3_jPlS8_PNS0_10empty_typeENS0_5tupleIJS8_S9_EEENSB_IJS8_SA_EEENS0_18inequality_wrapperIZN2at6native12_GLOBAL__N_124unique_dim_cuda_templateIjEESt5tupleIJNSF_6TensorESK_SK_EERKSK_lbbbEUlllE0_EEPmJS9_EEE10hipError_tPvRmT3_T4_T5_T6_T7_T9_mT8_P12ihipStream_tbDpT10_ENKUlT_T0_E_clISt17integral_constantIbLb0EES19_IbLb1EEEEDaS15_S16_EUlS15_E_NS1_11comp_targetILNS1_3genE0ELNS1_11target_archE4294967295ELNS1_3gpuE0ELNS1_3repE0EEENS1_30default_config_static_selectorELNS0_4arch9wavefront6targetE1EEEvT1_, .Lfunc_end1597-_ZN7rocprim17ROCPRIM_400000_NS6detail17trampoline_kernelINS0_14default_configENS1_25partition_config_selectorILNS1_17partition_subalgoE9EllbEEZZNS1_14partition_implILS5_9ELb0ES3_jPlS8_PNS0_10empty_typeENS0_5tupleIJS8_S9_EEENSB_IJS8_SA_EEENS0_18inequality_wrapperIZN2at6native12_GLOBAL__N_124unique_dim_cuda_templateIjEESt5tupleIJNSF_6TensorESK_SK_EERKSK_lbbbEUlllE0_EEPmJS9_EEE10hipError_tPvRmT3_T4_T5_T6_T7_T9_mT8_P12ihipStream_tbDpT10_ENKUlT_T0_E_clISt17integral_constantIbLb0EES19_IbLb1EEEEDaS15_S16_EUlS15_E_NS1_11comp_targetILNS1_3genE0ELNS1_11target_archE4294967295ELNS1_3gpuE0ELNS1_3repE0EEENS1_30default_config_static_selectorELNS0_4arch9wavefront6targetE1EEEvT1_
                                        ; -- End function
	.set _ZN7rocprim17ROCPRIM_400000_NS6detail17trampoline_kernelINS0_14default_configENS1_25partition_config_selectorILNS1_17partition_subalgoE9EllbEEZZNS1_14partition_implILS5_9ELb0ES3_jPlS8_PNS0_10empty_typeENS0_5tupleIJS8_S9_EEENSB_IJS8_SA_EEENS0_18inequality_wrapperIZN2at6native12_GLOBAL__N_124unique_dim_cuda_templateIjEESt5tupleIJNSF_6TensorESK_SK_EERKSK_lbbbEUlllE0_EEPmJS9_EEE10hipError_tPvRmT3_T4_T5_T6_T7_T9_mT8_P12ihipStream_tbDpT10_ENKUlT_T0_E_clISt17integral_constantIbLb0EES19_IbLb1EEEEDaS15_S16_EUlS15_E_NS1_11comp_targetILNS1_3genE0ELNS1_11target_archE4294967295ELNS1_3gpuE0ELNS1_3repE0EEENS1_30default_config_static_selectorELNS0_4arch9wavefront6targetE1EEEvT1_.num_vgpr, 60
	.set _ZN7rocprim17ROCPRIM_400000_NS6detail17trampoline_kernelINS0_14default_configENS1_25partition_config_selectorILNS1_17partition_subalgoE9EllbEEZZNS1_14partition_implILS5_9ELb0ES3_jPlS8_PNS0_10empty_typeENS0_5tupleIJS8_S9_EEENSB_IJS8_SA_EEENS0_18inequality_wrapperIZN2at6native12_GLOBAL__N_124unique_dim_cuda_templateIjEESt5tupleIJNSF_6TensorESK_SK_EERKSK_lbbbEUlllE0_EEPmJS9_EEE10hipError_tPvRmT3_T4_T5_T6_T7_T9_mT8_P12ihipStream_tbDpT10_ENKUlT_T0_E_clISt17integral_constantIbLb0EES19_IbLb1EEEEDaS15_S16_EUlS15_E_NS1_11comp_targetILNS1_3genE0ELNS1_11target_archE4294967295ELNS1_3gpuE0ELNS1_3repE0EEENS1_30default_config_static_selectorELNS0_4arch9wavefront6targetE1EEEvT1_.num_agpr, 0
	.set _ZN7rocprim17ROCPRIM_400000_NS6detail17trampoline_kernelINS0_14default_configENS1_25partition_config_selectorILNS1_17partition_subalgoE9EllbEEZZNS1_14partition_implILS5_9ELb0ES3_jPlS8_PNS0_10empty_typeENS0_5tupleIJS8_S9_EEENSB_IJS8_SA_EEENS0_18inequality_wrapperIZN2at6native12_GLOBAL__N_124unique_dim_cuda_templateIjEESt5tupleIJNSF_6TensorESK_SK_EERKSK_lbbbEUlllE0_EEPmJS9_EEE10hipError_tPvRmT3_T4_T5_T6_T7_T9_mT8_P12ihipStream_tbDpT10_ENKUlT_T0_E_clISt17integral_constantIbLb0EES19_IbLb1EEEEDaS15_S16_EUlS15_E_NS1_11comp_targetILNS1_3genE0ELNS1_11target_archE4294967295ELNS1_3gpuE0ELNS1_3repE0EEENS1_30default_config_static_selectorELNS0_4arch9wavefront6targetE1EEEvT1_.numbered_sgpr, 52
	.set _ZN7rocprim17ROCPRIM_400000_NS6detail17trampoline_kernelINS0_14default_configENS1_25partition_config_selectorILNS1_17partition_subalgoE9EllbEEZZNS1_14partition_implILS5_9ELb0ES3_jPlS8_PNS0_10empty_typeENS0_5tupleIJS8_S9_EEENSB_IJS8_SA_EEENS0_18inequality_wrapperIZN2at6native12_GLOBAL__N_124unique_dim_cuda_templateIjEESt5tupleIJNSF_6TensorESK_SK_EERKSK_lbbbEUlllE0_EEPmJS9_EEE10hipError_tPvRmT3_T4_T5_T6_T7_T9_mT8_P12ihipStream_tbDpT10_ENKUlT_T0_E_clISt17integral_constantIbLb0EES19_IbLb1EEEEDaS15_S16_EUlS15_E_NS1_11comp_targetILNS1_3genE0ELNS1_11target_archE4294967295ELNS1_3gpuE0ELNS1_3repE0EEENS1_30default_config_static_selectorELNS0_4arch9wavefront6targetE1EEEvT1_.num_named_barrier, 0
	.set _ZN7rocprim17ROCPRIM_400000_NS6detail17trampoline_kernelINS0_14default_configENS1_25partition_config_selectorILNS1_17partition_subalgoE9EllbEEZZNS1_14partition_implILS5_9ELb0ES3_jPlS8_PNS0_10empty_typeENS0_5tupleIJS8_S9_EEENSB_IJS8_SA_EEENS0_18inequality_wrapperIZN2at6native12_GLOBAL__N_124unique_dim_cuda_templateIjEESt5tupleIJNSF_6TensorESK_SK_EERKSK_lbbbEUlllE0_EEPmJS9_EEE10hipError_tPvRmT3_T4_T5_T6_T7_T9_mT8_P12ihipStream_tbDpT10_ENKUlT_T0_E_clISt17integral_constantIbLb0EES19_IbLb1EEEEDaS15_S16_EUlS15_E_NS1_11comp_targetILNS1_3genE0ELNS1_11target_archE4294967295ELNS1_3gpuE0ELNS1_3repE0EEENS1_30default_config_static_selectorELNS0_4arch9wavefront6targetE1EEEvT1_.private_seg_size, 0
	.set _ZN7rocprim17ROCPRIM_400000_NS6detail17trampoline_kernelINS0_14default_configENS1_25partition_config_selectorILNS1_17partition_subalgoE9EllbEEZZNS1_14partition_implILS5_9ELb0ES3_jPlS8_PNS0_10empty_typeENS0_5tupleIJS8_S9_EEENSB_IJS8_SA_EEENS0_18inequality_wrapperIZN2at6native12_GLOBAL__N_124unique_dim_cuda_templateIjEESt5tupleIJNSF_6TensorESK_SK_EERKSK_lbbbEUlllE0_EEPmJS9_EEE10hipError_tPvRmT3_T4_T5_T6_T7_T9_mT8_P12ihipStream_tbDpT10_ENKUlT_T0_E_clISt17integral_constantIbLb0EES19_IbLb1EEEEDaS15_S16_EUlS15_E_NS1_11comp_targetILNS1_3genE0ELNS1_11target_archE4294967295ELNS1_3gpuE0ELNS1_3repE0EEENS1_30default_config_static_selectorELNS0_4arch9wavefront6targetE1EEEvT1_.uses_vcc, 1
	.set _ZN7rocprim17ROCPRIM_400000_NS6detail17trampoline_kernelINS0_14default_configENS1_25partition_config_selectorILNS1_17partition_subalgoE9EllbEEZZNS1_14partition_implILS5_9ELb0ES3_jPlS8_PNS0_10empty_typeENS0_5tupleIJS8_S9_EEENSB_IJS8_SA_EEENS0_18inequality_wrapperIZN2at6native12_GLOBAL__N_124unique_dim_cuda_templateIjEESt5tupleIJNSF_6TensorESK_SK_EERKSK_lbbbEUlllE0_EEPmJS9_EEE10hipError_tPvRmT3_T4_T5_T6_T7_T9_mT8_P12ihipStream_tbDpT10_ENKUlT_T0_E_clISt17integral_constantIbLb0EES19_IbLb1EEEEDaS15_S16_EUlS15_E_NS1_11comp_targetILNS1_3genE0ELNS1_11target_archE4294967295ELNS1_3gpuE0ELNS1_3repE0EEENS1_30default_config_static_selectorELNS0_4arch9wavefront6targetE1EEEvT1_.uses_flat_scratch, 0
	.set _ZN7rocprim17ROCPRIM_400000_NS6detail17trampoline_kernelINS0_14default_configENS1_25partition_config_selectorILNS1_17partition_subalgoE9EllbEEZZNS1_14partition_implILS5_9ELb0ES3_jPlS8_PNS0_10empty_typeENS0_5tupleIJS8_S9_EEENSB_IJS8_SA_EEENS0_18inequality_wrapperIZN2at6native12_GLOBAL__N_124unique_dim_cuda_templateIjEESt5tupleIJNSF_6TensorESK_SK_EERKSK_lbbbEUlllE0_EEPmJS9_EEE10hipError_tPvRmT3_T4_T5_T6_T7_T9_mT8_P12ihipStream_tbDpT10_ENKUlT_T0_E_clISt17integral_constantIbLb0EES19_IbLb1EEEEDaS15_S16_EUlS15_E_NS1_11comp_targetILNS1_3genE0ELNS1_11target_archE4294967295ELNS1_3gpuE0ELNS1_3repE0EEENS1_30default_config_static_selectorELNS0_4arch9wavefront6targetE1EEEvT1_.has_dyn_sized_stack, 0
	.set _ZN7rocprim17ROCPRIM_400000_NS6detail17trampoline_kernelINS0_14default_configENS1_25partition_config_selectorILNS1_17partition_subalgoE9EllbEEZZNS1_14partition_implILS5_9ELb0ES3_jPlS8_PNS0_10empty_typeENS0_5tupleIJS8_S9_EEENSB_IJS8_SA_EEENS0_18inequality_wrapperIZN2at6native12_GLOBAL__N_124unique_dim_cuda_templateIjEESt5tupleIJNSF_6TensorESK_SK_EERKSK_lbbbEUlllE0_EEPmJS9_EEE10hipError_tPvRmT3_T4_T5_T6_T7_T9_mT8_P12ihipStream_tbDpT10_ENKUlT_T0_E_clISt17integral_constantIbLb0EES19_IbLb1EEEEDaS15_S16_EUlS15_E_NS1_11comp_targetILNS1_3genE0ELNS1_11target_archE4294967295ELNS1_3gpuE0ELNS1_3repE0EEENS1_30default_config_static_selectorELNS0_4arch9wavefront6targetE1EEEvT1_.has_recursion, 0
	.set _ZN7rocprim17ROCPRIM_400000_NS6detail17trampoline_kernelINS0_14default_configENS1_25partition_config_selectorILNS1_17partition_subalgoE9EllbEEZZNS1_14partition_implILS5_9ELb0ES3_jPlS8_PNS0_10empty_typeENS0_5tupleIJS8_S9_EEENSB_IJS8_SA_EEENS0_18inequality_wrapperIZN2at6native12_GLOBAL__N_124unique_dim_cuda_templateIjEESt5tupleIJNSF_6TensorESK_SK_EERKSK_lbbbEUlllE0_EEPmJS9_EEE10hipError_tPvRmT3_T4_T5_T6_T7_T9_mT8_P12ihipStream_tbDpT10_ENKUlT_T0_E_clISt17integral_constantIbLb0EES19_IbLb1EEEEDaS15_S16_EUlS15_E_NS1_11comp_targetILNS1_3genE0ELNS1_11target_archE4294967295ELNS1_3gpuE0ELNS1_3repE0EEENS1_30default_config_static_selectorELNS0_4arch9wavefront6targetE1EEEvT1_.has_indirect_call, 0
	.section	.AMDGPU.csdata,"",@progbits
; Kernel info:
; codeLenInByte = 9596
; TotalNumSgprs: 58
; NumVgprs: 60
; NumAgprs: 0
; TotalNumVgprs: 60
; ScratchSize: 0
; MemoryBound: 0
; FloatMode: 240
; IeeeMode: 1
; LDSByteSize: 5128 bytes/workgroup (compile time only)
; SGPRBlocks: 7
; VGPRBlocks: 7
; NumSGPRsForWavesPerEU: 58
; NumVGPRsForWavesPerEU: 60
; AccumOffset: 60
; Occupancy: 8
; WaveLimiterHint : 1
; COMPUTE_PGM_RSRC2:SCRATCH_EN: 0
; COMPUTE_PGM_RSRC2:USER_SGPR: 2
; COMPUTE_PGM_RSRC2:TRAP_HANDLER: 0
; COMPUTE_PGM_RSRC2:TGID_X_EN: 1
; COMPUTE_PGM_RSRC2:TGID_Y_EN: 0
; COMPUTE_PGM_RSRC2:TGID_Z_EN: 0
; COMPUTE_PGM_RSRC2:TIDIG_COMP_CNT: 0
; COMPUTE_PGM_RSRC3_GFX90A:ACCUM_OFFSET: 14
; COMPUTE_PGM_RSRC3_GFX90A:TG_SPLIT: 0
	.section	.text._ZN7rocprim17ROCPRIM_400000_NS6detail17trampoline_kernelINS0_14default_configENS1_25partition_config_selectorILNS1_17partition_subalgoE9EllbEEZZNS1_14partition_implILS5_9ELb0ES3_jPlS8_PNS0_10empty_typeENS0_5tupleIJS8_S9_EEENSB_IJS8_SA_EEENS0_18inequality_wrapperIZN2at6native12_GLOBAL__N_124unique_dim_cuda_templateIjEESt5tupleIJNSF_6TensorESK_SK_EERKSK_lbbbEUlllE0_EEPmJS9_EEE10hipError_tPvRmT3_T4_T5_T6_T7_T9_mT8_P12ihipStream_tbDpT10_ENKUlT_T0_E_clISt17integral_constantIbLb0EES19_IbLb1EEEEDaS15_S16_EUlS15_E_NS1_11comp_targetILNS1_3genE5ELNS1_11target_archE942ELNS1_3gpuE9ELNS1_3repE0EEENS1_30default_config_static_selectorELNS0_4arch9wavefront6targetE1EEEvT1_,"axG",@progbits,_ZN7rocprim17ROCPRIM_400000_NS6detail17trampoline_kernelINS0_14default_configENS1_25partition_config_selectorILNS1_17partition_subalgoE9EllbEEZZNS1_14partition_implILS5_9ELb0ES3_jPlS8_PNS0_10empty_typeENS0_5tupleIJS8_S9_EEENSB_IJS8_SA_EEENS0_18inequality_wrapperIZN2at6native12_GLOBAL__N_124unique_dim_cuda_templateIjEESt5tupleIJNSF_6TensorESK_SK_EERKSK_lbbbEUlllE0_EEPmJS9_EEE10hipError_tPvRmT3_T4_T5_T6_T7_T9_mT8_P12ihipStream_tbDpT10_ENKUlT_T0_E_clISt17integral_constantIbLb0EES19_IbLb1EEEEDaS15_S16_EUlS15_E_NS1_11comp_targetILNS1_3genE5ELNS1_11target_archE942ELNS1_3gpuE9ELNS1_3repE0EEENS1_30default_config_static_selectorELNS0_4arch9wavefront6targetE1EEEvT1_,comdat
	.globl	_ZN7rocprim17ROCPRIM_400000_NS6detail17trampoline_kernelINS0_14default_configENS1_25partition_config_selectorILNS1_17partition_subalgoE9EllbEEZZNS1_14partition_implILS5_9ELb0ES3_jPlS8_PNS0_10empty_typeENS0_5tupleIJS8_S9_EEENSB_IJS8_SA_EEENS0_18inequality_wrapperIZN2at6native12_GLOBAL__N_124unique_dim_cuda_templateIjEESt5tupleIJNSF_6TensorESK_SK_EERKSK_lbbbEUlllE0_EEPmJS9_EEE10hipError_tPvRmT3_T4_T5_T6_T7_T9_mT8_P12ihipStream_tbDpT10_ENKUlT_T0_E_clISt17integral_constantIbLb0EES19_IbLb1EEEEDaS15_S16_EUlS15_E_NS1_11comp_targetILNS1_3genE5ELNS1_11target_archE942ELNS1_3gpuE9ELNS1_3repE0EEENS1_30default_config_static_selectorELNS0_4arch9wavefront6targetE1EEEvT1_ ; -- Begin function _ZN7rocprim17ROCPRIM_400000_NS6detail17trampoline_kernelINS0_14default_configENS1_25partition_config_selectorILNS1_17partition_subalgoE9EllbEEZZNS1_14partition_implILS5_9ELb0ES3_jPlS8_PNS0_10empty_typeENS0_5tupleIJS8_S9_EEENSB_IJS8_SA_EEENS0_18inequality_wrapperIZN2at6native12_GLOBAL__N_124unique_dim_cuda_templateIjEESt5tupleIJNSF_6TensorESK_SK_EERKSK_lbbbEUlllE0_EEPmJS9_EEE10hipError_tPvRmT3_T4_T5_T6_T7_T9_mT8_P12ihipStream_tbDpT10_ENKUlT_T0_E_clISt17integral_constantIbLb0EES19_IbLb1EEEEDaS15_S16_EUlS15_E_NS1_11comp_targetILNS1_3genE5ELNS1_11target_archE942ELNS1_3gpuE9ELNS1_3repE0EEENS1_30default_config_static_selectorELNS0_4arch9wavefront6targetE1EEEvT1_
	.p2align	8
	.type	_ZN7rocprim17ROCPRIM_400000_NS6detail17trampoline_kernelINS0_14default_configENS1_25partition_config_selectorILNS1_17partition_subalgoE9EllbEEZZNS1_14partition_implILS5_9ELb0ES3_jPlS8_PNS0_10empty_typeENS0_5tupleIJS8_S9_EEENSB_IJS8_SA_EEENS0_18inequality_wrapperIZN2at6native12_GLOBAL__N_124unique_dim_cuda_templateIjEESt5tupleIJNSF_6TensorESK_SK_EERKSK_lbbbEUlllE0_EEPmJS9_EEE10hipError_tPvRmT3_T4_T5_T6_T7_T9_mT8_P12ihipStream_tbDpT10_ENKUlT_T0_E_clISt17integral_constantIbLb0EES19_IbLb1EEEEDaS15_S16_EUlS15_E_NS1_11comp_targetILNS1_3genE5ELNS1_11target_archE942ELNS1_3gpuE9ELNS1_3repE0EEENS1_30default_config_static_selectorELNS0_4arch9wavefront6targetE1EEEvT1_,@function
_ZN7rocprim17ROCPRIM_400000_NS6detail17trampoline_kernelINS0_14default_configENS1_25partition_config_selectorILNS1_17partition_subalgoE9EllbEEZZNS1_14partition_implILS5_9ELb0ES3_jPlS8_PNS0_10empty_typeENS0_5tupleIJS8_S9_EEENSB_IJS8_SA_EEENS0_18inequality_wrapperIZN2at6native12_GLOBAL__N_124unique_dim_cuda_templateIjEESt5tupleIJNSF_6TensorESK_SK_EERKSK_lbbbEUlllE0_EEPmJS9_EEE10hipError_tPvRmT3_T4_T5_T6_T7_T9_mT8_P12ihipStream_tbDpT10_ENKUlT_T0_E_clISt17integral_constantIbLb0EES19_IbLb1EEEEDaS15_S16_EUlS15_E_NS1_11comp_targetILNS1_3genE5ELNS1_11target_archE942ELNS1_3gpuE9ELNS1_3repE0EEENS1_30default_config_static_selectorELNS0_4arch9wavefront6targetE1EEEvT1_: ; @_ZN7rocprim17ROCPRIM_400000_NS6detail17trampoline_kernelINS0_14default_configENS1_25partition_config_selectorILNS1_17partition_subalgoE9EllbEEZZNS1_14partition_implILS5_9ELb0ES3_jPlS8_PNS0_10empty_typeENS0_5tupleIJS8_S9_EEENSB_IJS8_SA_EEENS0_18inequality_wrapperIZN2at6native12_GLOBAL__N_124unique_dim_cuda_templateIjEESt5tupleIJNSF_6TensorESK_SK_EERKSK_lbbbEUlllE0_EEPmJS9_EEE10hipError_tPvRmT3_T4_T5_T6_T7_T9_mT8_P12ihipStream_tbDpT10_ENKUlT_T0_E_clISt17integral_constantIbLb0EES19_IbLb1EEEEDaS15_S16_EUlS15_E_NS1_11comp_targetILNS1_3genE5ELNS1_11target_archE942ELNS1_3gpuE9ELNS1_3repE0EEENS1_30default_config_static_selectorELNS0_4arch9wavefront6targetE1EEEvT1_
; %bb.0:
	.section	.rodata,"a",@progbits
	.p2align	6, 0x0
	.amdhsa_kernel _ZN7rocprim17ROCPRIM_400000_NS6detail17trampoline_kernelINS0_14default_configENS1_25partition_config_selectorILNS1_17partition_subalgoE9EllbEEZZNS1_14partition_implILS5_9ELb0ES3_jPlS8_PNS0_10empty_typeENS0_5tupleIJS8_S9_EEENSB_IJS8_SA_EEENS0_18inequality_wrapperIZN2at6native12_GLOBAL__N_124unique_dim_cuda_templateIjEESt5tupleIJNSF_6TensorESK_SK_EERKSK_lbbbEUlllE0_EEPmJS9_EEE10hipError_tPvRmT3_T4_T5_T6_T7_T9_mT8_P12ihipStream_tbDpT10_ENKUlT_T0_E_clISt17integral_constantIbLb0EES19_IbLb1EEEEDaS15_S16_EUlS15_E_NS1_11comp_targetILNS1_3genE5ELNS1_11target_archE942ELNS1_3gpuE9ELNS1_3repE0EEENS1_30default_config_static_selectorELNS0_4arch9wavefront6targetE1EEEvT1_
		.amdhsa_group_segment_fixed_size 0
		.amdhsa_private_segment_fixed_size 0
		.amdhsa_kernarg_size 136
		.amdhsa_user_sgpr_count 2
		.amdhsa_user_sgpr_dispatch_ptr 0
		.amdhsa_user_sgpr_queue_ptr 0
		.amdhsa_user_sgpr_kernarg_segment_ptr 1
		.amdhsa_user_sgpr_dispatch_id 0
		.amdhsa_user_sgpr_kernarg_preload_length 0
		.amdhsa_user_sgpr_kernarg_preload_offset 0
		.amdhsa_user_sgpr_private_segment_size 0
		.amdhsa_uses_dynamic_stack 0
		.amdhsa_enable_private_segment 0
		.amdhsa_system_sgpr_workgroup_id_x 1
		.amdhsa_system_sgpr_workgroup_id_y 0
		.amdhsa_system_sgpr_workgroup_id_z 0
		.amdhsa_system_sgpr_workgroup_info 0
		.amdhsa_system_vgpr_workitem_id 0
		.amdhsa_next_free_vgpr 1
		.amdhsa_next_free_sgpr 0
		.amdhsa_accum_offset 4
		.amdhsa_reserve_vcc 0
		.amdhsa_float_round_mode_32 0
		.amdhsa_float_round_mode_16_64 0
		.amdhsa_float_denorm_mode_32 3
		.amdhsa_float_denorm_mode_16_64 3
		.amdhsa_dx10_clamp 1
		.amdhsa_ieee_mode 1
		.amdhsa_fp16_overflow 0
		.amdhsa_tg_split 0
		.amdhsa_exception_fp_ieee_invalid_op 0
		.amdhsa_exception_fp_denorm_src 0
		.amdhsa_exception_fp_ieee_div_zero 0
		.amdhsa_exception_fp_ieee_overflow 0
		.amdhsa_exception_fp_ieee_underflow 0
		.amdhsa_exception_fp_ieee_inexact 0
		.amdhsa_exception_int_div_zero 0
	.end_amdhsa_kernel
	.section	.text._ZN7rocprim17ROCPRIM_400000_NS6detail17trampoline_kernelINS0_14default_configENS1_25partition_config_selectorILNS1_17partition_subalgoE9EllbEEZZNS1_14partition_implILS5_9ELb0ES3_jPlS8_PNS0_10empty_typeENS0_5tupleIJS8_S9_EEENSB_IJS8_SA_EEENS0_18inequality_wrapperIZN2at6native12_GLOBAL__N_124unique_dim_cuda_templateIjEESt5tupleIJNSF_6TensorESK_SK_EERKSK_lbbbEUlllE0_EEPmJS9_EEE10hipError_tPvRmT3_T4_T5_T6_T7_T9_mT8_P12ihipStream_tbDpT10_ENKUlT_T0_E_clISt17integral_constantIbLb0EES19_IbLb1EEEEDaS15_S16_EUlS15_E_NS1_11comp_targetILNS1_3genE5ELNS1_11target_archE942ELNS1_3gpuE9ELNS1_3repE0EEENS1_30default_config_static_selectorELNS0_4arch9wavefront6targetE1EEEvT1_,"axG",@progbits,_ZN7rocprim17ROCPRIM_400000_NS6detail17trampoline_kernelINS0_14default_configENS1_25partition_config_selectorILNS1_17partition_subalgoE9EllbEEZZNS1_14partition_implILS5_9ELb0ES3_jPlS8_PNS0_10empty_typeENS0_5tupleIJS8_S9_EEENSB_IJS8_SA_EEENS0_18inequality_wrapperIZN2at6native12_GLOBAL__N_124unique_dim_cuda_templateIjEESt5tupleIJNSF_6TensorESK_SK_EERKSK_lbbbEUlllE0_EEPmJS9_EEE10hipError_tPvRmT3_T4_T5_T6_T7_T9_mT8_P12ihipStream_tbDpT10_ENKUlT_T0_E_clISt17integral_constantIbLb0EES19_IbLb1EEEEDaS15_S16_EUlS15_E_NS1_11comp_targetILNS1_3genE5ELNS1_11target_archE942ELNS1_3gpuE9ELNS1_3repE0EEENS1_30default_config_static_selectorELNS0_4arch9wavefront6targetE1EEEvT1_,comdat
.Lfunc_end1598:
	.size	_ZN7rocprim17ROCPRIM_400000_NS6detail17trampoline_kernelINS0_14default_configENS1_25partition_config_selectorILNS1_17partition_subalgoE9EllbEEZZNS1_14partition_implILS5_9ELb0ES3_jPlS8_PNS0_10empty_typeENS0_5tupleIJS8_S9_EEENSB_IJS8_SA_EEENS0_18inequality_wrapperIZN2at6native12_GLOBAL__N_124unique_dim_cuda_templateIjEESt5tupleIJNSF_6TensorESK_SK_EERKSK_lbbbEUlllE0_EEPmJS9_EEE10hipError_tPvRmT3_T4_T5_T6_T7_T9_mT8_P12ihipStream_tbDpT10_ENKUlT_T0_E_clISt17integral_constantIbLb0EES19_IbLb1EEEEDaS15_S16_EUlS15_E_NS1_11comp_targetILNS1_3genE5ELNS1_11target_archE942ELNS1_3gpuE9ELNS1_3repE0EEENS1_30default_config_static_selectorELNS0_4arch9wavefront6targetE1EEEvT1_, .Lfunc_end1598-_ZN7rocprim17ROCPRIM_400000_NS6detail17trampoline_kernelINS0_14default_configENS1_25partition_config_selectorILNS1_17partition_subalgoE9EllbEEZZNS1_14partition_implILS5_9ELb0ES3_jPlS8_PNS0_10empty_typeENS0_5tupleIJS8_S9_EEENSB_IJS8_SA_EEENS0_18inequality_wrapperIZN2at6native12_GLOBAL__N_124unique_dim_cuda_templateIjEESt5tupleIJNSF_6TensorESK_SK_EERKSK_lbbbEUlllE0_EEPmJS9_EEE10hipError_tPvRmT3_T4_T5_T6_T7_T9_mT8_P12ihipStream_tbDpT10_ENKUlT_T0_E_clISt17integral_constantIbLb0EES19_IbLb1EEEEDaS15_S16_EUlS15_E_NS1_11comp_targetILNS1_3genE5ELNS1_11target_archE942ELNS1_3gpuE9ELNS1_3repE0EEENS1_30default_config_static_selectorELNS0_4arch9wavefront6targetE1EEEvT1_
                                        ; -- End function
	.set _ZN7rocprim17ROCPRIM_400000_NS6detail17trampoline_kernelINS0_14default_configENS1_25partition_config_selectorILNS1_17partition_subalgoE9EllbEEZZNS1_14partition_implILS5_9ELb0ES3_jPlS8_PNS0_10empty_typeENS0_5tupleIJS8_S9_EEENSB_IJS8_SA_EEENS0_18inequality_wrapperIZN2at6native12_GLOBAL__N_124unique_dim_cuda_templateIjEESt5tupleIJNSF_6TensorESK_SK_EERKSK_lbbbEUlllE0_EEPmJS9_EEE10hipError_tPvRmT3_T4_T5_T6_T7_T9_mT8_P12ihipStream_tbDpT10_ENKUlT_T0_E_clISt17integral_constantIbLb0EES19_IbLb1EEEEDaS15_S16_EUlS15_E_NS1_11comp_targetILNS1_3genE5ELNS1_11target_archE942ELNS1_3gpuE9ELNS1_3repE0EEENS1_30default_config_static_selectorELNS0_4arch9wavefront6targetE1EEEvT1_.num_vgpr, 0
	.set _ZN7rocprim17ROCPRIM_400000_NS6detail17trampoline_kernelINS0_14default_configENS1_25partition_config_selectorILNS1_17partition_subalgoE9EllbEEZZNS1_14partition_implILS5_9ELb0ES3_jPlS8_PNS0_10empty_typeENS0_5tupleIJS8_S9_EEENSB_IJS8_SA_EEENS0_18inequality_wrapperIZN2at6native12_GLOBAL__N_124unique_dim_cuda_templateIjEESt5tupleIJNSF_6TensorESK_SK_EERKSK_lbbbEUlllE0_EEPmJS9_EEE10hipError_tPvRmT3_T4_T5_T6_T7_T9_mT8_P12ihipStream_tbDpT10_ENKUlT_T0_E_clISt17integral_constantIbLb0EES19_IbLb1EEEEDaS15_S16_EUlS15_E_NS1_11comp_targetILNS1_3genE5ELNS1_11target_archE942ELNS1_3gpuE9ELNS1_3repE0EEENS1_30default_config_static_selectorELNS0_4arch9wavefront6targetE1EEEvT1_.num_agpr, 0
	.set _ZN7rocprim17ROCPRIM_400000_NS6detail17trampoline_kernelINS0_14default_configENS1_25partition_config_selectorILNS1_17partition_subalgoE9EllbEEZZNS1_14partition_implILS5_9ELb0ES3_jPlS8_PNS0_10empty_typeENS0_5tupleIJS8_S9_EEENSB_IJS8_SA_EEENS0_18inequality_wrapperIZN2at6native12_GLOBAL__N_124unique_dim_cuda_templateIjEESt5tupleIJNSF_6TensorESK_SK_EERKSK_lbbbEUlllE0_EEPmJS9_EEE10hipError_tPvRmT3_T4_T5_T6_T7_T9_mT8_P12ihipStream_tbDpT10_ENKUlT_T0_E_clISt17integral_constantIbLb0EES19_IbLb1EEEEDaS15_S16_EUlS15_E_NS1_11comp_targetILNS1_3genE5ELNS1_11target_archE942ELNS1_3gpuE9ELNS1_3repE0EEENS1_30default_config_static_selectorELNS0_4arch9wavefront6targetE1EEEvT1_.numbered_sgpr, 0
	.set _ZN7rocprim17ROCPRIM_400000_NS6detail17trampoline_kernelINS0_14default_configENS1_25partition_config_selectorILNS1_17partition_subalgoE9EllbEEZZNS1_14partition_implILS5_9ELb0ES3_jPlS8_PNS0_10empty_typeENS0_5tupleIJS8_S9_EEENSB_IJS8_SA_EEENS0_18inequality_wrapperIZN2at6native12_GLOBAL__N_124unique_dim_cuda_templateIjEESt5tupleIJNSF_6TensorESK_SK_EERKSK_lbbbEUlllE0_EEPmJS9_EEE10hipError_tPvRmT3_T4_T5_T6_T7_T9_mT8_P12ihipStream_tbDpT10_ENKUlT_T0_E_clISt17integral_constantIbLb0EES19_IbLb1EEEEDaS15_S16_EUlS15_E_NS1_11comp_targetILNS1_3genE5ELNS1_11target_archE942ELNS1_3gpuE9ELNS1_3repE0EEENS1_30default_config_static_selectorELNS0_4arch9wavefront6targetE1EEEvT1_.num_named_barrier, 0
	.set _ZN7rocprim17ROCPRIM_400000_NS6detail17trampoline_kernelINS0_14default_configENS1_25partition_config_selectorILNS1_17partition_subalgoE9EllbEEZZNS1_14partition_implILS5_9ELb0ES3_jPlS8_PNS0_10empty_typeENS0_5tupleIJS8_S9_EEENSB_IJS8_SA_EEENS0_18inequality_wrapperIZN2at6native12_GLOBAL__N_124unique_dim_cuda_templateIjEESt5tupleIJNSF_6TensorESK_SK_EERKSK_lbbbEUlllE0_EEPmJS9_EEE10hipError_tPvRmT3_T4_T5_T6_T7_T9_mT8_P12ihipStream_tbDpT10_ENKUlT_T0_E_clISt17integral_constantIbLb0EES19_IbLb1EEEEDaS15_S16_EUlS15_E_NS1_11comp_targetILNS1_3genE5ELNS1_11target_archE942ELNS1_3gpuE9ELNS1_3repE0EEENS1_30default_config_static_selectorELNS0_4arch9wavefront6targetE1EEEvT1_.private_seg_size, 0
	.set _ZN7rocprim17ROCPRIM_400000_NS6detail17trampoline_kernelINS0_14default_configENS1_25partition_config_selectorILNS1_17partition_subalgoE9EllbEEZZNS1_14partition_implILS5_9ELb0ES3_jPlS8_PNS0_10empty_typeENS0_5tupleIJS8_S9_EEENSB_IJS8_SA_EEENS0_18inequality_wrapperIZN2at6native12_GLOBAL__N_124unique_dim_cuda_templateIjEESt5tupleIJNSF_6TensorESK_SK_EERKSK_lbbbEUlllE0_EEPmJS9_EEE10hipError_tPvRmT3_T4_T5_T6_T7_T9_mT8_P12ihipStream_tbDpT10_ENKUlT_T0_E_clISt17integral_constantIbLb0EES19_IbLb1EEEEDaS15_S16_EUlS15_E_NS1_11comp_targetILNS1_3genE5ELNS1_11target_archE942ELNS1_3gpuE9ELNS1_3repE0EEENS1_30default_config_static_selectorELNS0_4arch9wavefront6targetE1EEEvT1_.uses_vcc, 0
	.set _ZN7rocprim17ROCPRIM_400000_NS6detail17trampoline_kernelINS0_14default_configENS1_25partition_config_selectorILNS1_17partition_subalgoE9EllbEEZZNS1_14partition_implILS5_9ELb0ES3_jPlS8_PNS0_10empty_typeENS0_5tupleIJS8_S9_EEENSB_IJS8_SA_EEENS0_18inequality_wrapperIZN2at6native12_GLOBAL__N_124unique_dim_cuda_templateIjEESt5tupleIJNSF_6TensorESK_SK_EERKSK_lbbbEUlllE0_EEPmJS9_EEE10hipError_tPvRmT3_T4_T5_T6_T7_T9_mT8_P12ihipStream_tbDpT10_ENKUlT_T0_E_clISt17integral_constantIbLb0EES19_IbLb1EEEEDaS15_S16_EUlS15_E_NS1_11comp_targetILNS1_3genE5ELNS1_11target_archE942ELNS1_3gpuE9ELNS1_3repE0EEENS1_30default_config_static_selectorELNS0_4arch9wavefront6targetE1EEEvT1_.uses_flat_scratch, 0
	.set _ZN7rocprim17ROCPRIM_400000_NS6detail17trampoline_kernelINS0_14default_configENS1_25partition_config_selectorILNS1_17partition_subalgoE9EllbEEZZNS1_14partition_implILS5_9ELb0ES3_jPlS8_PNS0_10empty_typeENS0_5tupleIJS8_S9_EEENSB_IJS8_SA_EEENS0_18inequality_wrapperIZN2at6native12_GLOBAL__N_124unique_dim_cuda_templateIjEESt5tupleIJNSF_6TensorESK_SK_EERKSK_lbbbEUlllE0_EEPmJS9_EEE10hipError_tPvRmT3_T4_T5_T6_T7_T9_mT8_P12ihipStream_tbDpT10_ENKUlT_T0_E_clISt17integral_constantIbLb0EES19_IbLb1EEEEDaS15_S16_EUlS15_E_NS1_11comp_targetILNS1_3genE5ELNS1_11target_archE942ELNS1_3gpuE9ELNS1_3repE0EEENS1_30default_config_static_selectorELNS0_4arch9wavefront6targetE1EEEvT1_.has_dyn_sized_stack, 0
	.set _ZN7rocprim17ROCPRIM_400000_NS6detail17trampoline_kernelINS0_14default_configENS1_25partition_config_selectorILNS1_17partition_subalgoE9EllbEEZZNS1_14partition_implILS5_9ELb0ES3_jPlS8_PNS0_10empty_typeENS0_5tupleIJS8_S9_EEENSB_IJS8_SA_EEENS0_18inequality_wrapperIZN2at6native12_GLOBAL__N_124unique_dim_cuda_templateIjEESt5tupleIJNSF_6TensorESK_SK_EERKSK_lbbbEUlllE0_EEPmJS9_EEE10hipError_tPvRmT3_T4_T5_T6_T7_T9_mT8_P12ihipStream_tbDpT10_ENKUlT_T0_E_clISt17integral_constantIbLb0EES19_IbLb1EEEEDaS15_S16_EUlS15_E_NS1_11comp_targetILNS1_3genE5ELNS1_11target_archE942ELNS1_3gpuE9ELNS1_3repE0EEENS1_30default_config_static_selectorELNS0_4arch9wavefront6targetE1EEEvT1_.has_recursion, 0
	.set _ZN7rocprim17ROCPRIM_400000_NS6detail17trampoline_kernelINS0_14default_configENS1_25partition_config_selectorILNS1_17partition_subalgoE9EllbEEZZNS1_14partition_implILS5_9ELb0ES3_jPlS8_PNS0_10empty_typeENS0_5tupleIJS8_S9_EEENSB_IJS8_SA_EEENS0_18inequality_wrapperIZN2at6native12_GLOBAL__N_124unique_dim_cuda_templateIjEESt5tupleIJNSF_6TensorESK_SK_EERKSK_lbbbEUlllE0_EEPmJS9_EEE10hipError_tPvRmT3_T4_T5_T6_T7_T9_mT8_P12ihipStream_tbDpT10_ENKUlT_T0_E_clISt17integral_constantIbLb0EES19_IbLb1EEEEDaS15_S16_EUlS15_E_NS1_11comp_targetILNS1_3genE5ELNS1_11target_archE942ELNS1_3gpuE9ELNS1_3repE0EEENS1_30default_config_static_selectorELNS0_4arch9wavefront6targetE1EEEvT1_.has_indirect_call, 0
	.section	.AMDGPU.csdata,"",@progbits
; Kernel info:
; codeLenInByte = 0
; TotalNumSgprs: 6
; NumVgprs: 0
; NumAgprs: 0
; TotalNumVgprs: 0
; ScratchSize: 0
; MemoryBound: 0
; FloatMode: 240
; IeeeMode: 1
; LDSByteSize: 0 bytes/workgroup (compile time only)
; SGPRBlocks: 0
; VGPRBlocks: 0
; NumSGPRsForWavesPerEU: 6
; NumVGPRsForWavesPerEU: 1
; AccumOffset: 4
; Occupancy: 8
; WaveLimiterHint : 0
; COMPUTE_PGM_RSRC2:SCRATCH_EN: 0
; COMPUTE_PGM_RSRC2:USER_SGPR: 2
; COMPUTE_PGM_RSRC2:TRAP_HANDLER: 0
; COMPUTE_PGM_RSRC2:TGID_X_EN: 1
; COMPUTE_PGM_RSRC2:TGID_Y_EN: 0
; COMPUTE_PGM_RSRC2:TGID_Z_EN: 0
; COMPUTE_PGM_RSRC2:TIDIG_COMP_CNT: 0
; COMPUTE_PGM_RSRC3_GFX90A:ACCUM_OFFSET: 0
; COMPUTE_PGM_RSRC3_GFX90A:TG_SPLIT: 0
	.section	.text._ZN7rocprim17ROCPRIM_400000_NS6detail17trampoline_kernelINS0_14default_configENS1_25partition_config_selectorILNS1_17partition_subalgoE9EllbEEZZNS1_14partition_implILS5_9ELb0ES3_jPlS8_PNS0_10empty_typeENS0_5tupleIJS8_S9_EEENSB_IJS8_SA_EEENS0_18inequality_wrapperIZN2at6native12_GLOBAL__N_124unique_dim_cuda_templateIjEESt5tupleIJNSF_6TensorESK_SK_EERKSK_lbbbEUlllE0_EEPmJS9_EEE10hipError_tPvRmT3_T4_T5_T6_T7_T9_mT8_P12ihipStream_tbDpT10_ENKUlT_T0_E_clISt17integral_constantIbLb0EES19_IbLb1EEEEDaS15_S16_EUlS15_E_NS1_11comp_targetILNS1_3genE4ELNS1_11target_archE910ELNS1_3gpuE8ELNS1_3repE0EEENS1_30default_config_static_selectorELNS0_4arch9wavefront6targetE1EEEvT1_,"axG",@progbits,_ZN7rocprim17ROCPRIM_400000_NS6detail17trampoline_kernelINS0_14default_configENS1_25partition_config_selectorILNS1_17partition_subalgoE9EllbEEZZNS1_14partition_implILS5_9ELb0ES3_jPlS8_PNS0_10empty_typeENS0_5tupleIJS8_S9_EEENSB_IJS8_SA_EEENS0_18inequality_wrapperIZN2at6native12_GLOBAL__N_124unique_dim_cuda_templateIjEESt5tupleIJNSF_6TensorESK_SK_EERKSK_lbbbEUlllE0_EEPmJS9_EEE10hipError_tPvRmT3_T4_T5_T6_T7_T9_mT8_P12ihipStream_tbDpT10_ENKUlT_T0_E_clISt17integral_constantIbLb0EES19_IbLb1EEEEDaS15_S16_EUlS15_E_NS1_11comp_targetILNS1_3genE4ELNS1_11target_archE910ELNS1_3gpuE8ELNS1_3repE0EEENS1_30default_config_static_selectorELNS0_4arch9wavefront6targetE1EEEvT1_,comdat
	.globl	_ZN7rocprim17ROCPRIM_400000_NS6detail17trampoline_kernelINS0_14default_configENS1_25partition_config_selectorILNS1_17partition_subalgoE9EllbEEZZNS1_14partition_implILS5_9ELb0ES3_jPlS8_PNS0_10empty_typeENS0_5tupleIJS8_S9_EEENSB_IJS8_SA_EEENS0_18inequality_wrapperIZN2at6native12_GLOBAL__N_124unique_dim_cuda_templateIjEESt5tupleIJNSF_6TensorESK_SK_EERKSK_lbbbEUlllE0_EEPmJS9_EEE10hipError_tPvRmT3_T4_T5_T6_T7_T9_mT8_P12ihipStream_tbDpT10_ENKUlT_T0_E_clISt17integral_constantIbLb0EES19_IbLb1EEEEDaS15_S16_EUlS15_E_NS1_11comp_targetILNS1_3genE4ELNS1_11target_archE910ELNS1_3gpuE8ELNS1_3repE0EEENS1_30default_config_static_selectorELNS0_4arch9wavefront6targetE1EEEvT1_ ; -- Begin function _ZN7rocprim17ROCPRIM_400000_NS6detail17trampoline_kernelINS0_14default_configENS1_25partition_config_selectorILNS1_17partition_subalgoE9EllbEEZZNS1_14partition_implILS5_9ELb0ES3_jPlS8_PNS0_10empty_typeENS0_5tupleIJS8_S9_EEENSB_IJS8_SA_EEENS0_18inequality_wrapperIZN2at6native12_GLOBAL__N_124unique_dim_cuda_templateIjEESt5tupleIJNSF_6TensorESK_SK_EERKSK_lbbbEUlllE0_EEPmJS9_EEE10hipError_tPvRmT3_T4_T5_T6_T7_T9_mT8_P12ihipStream_tbDpT10_ENKUlT_T0_E_clISt17integral_constantIbLb0EES19_IbLb1EEEEDaS15_S16_EUlS15_E_NS1_11comp_targetILNS1_3genE4ELNS1_11target_archE910ELNS1_3gpuE8ELNS1_3repE0EEENS1_30default_config_static_selectorELNS0_4arch9wavefront6targetE1EEEvT1_
	.p2align	8
	.type	_ZN7rocprim17ROCPRIM_400000_NS6detail17trampoline_kernelINS0_14default_configENS1_25partition_config_selectorILNS1_17partition_subalgoE9EllbEEZZNS1_14partition_implILS5_9ELb0ES3_jPlS8_PNS0_10empty_typeENS0_5tupleIJS8_S9_EEENSB_IJS8_SA_EEENS0_18inequality_wrapperIZN2at6native12_GLOBAL__N_124unique_dim_cuda_templateIjEESt5tupleIJNSF_6TensorESK_SK_EERKSK_lbbbEUlllE0_EEPmJS9_EEE10hipError_tPvRmT3_T4_T5_T6_T7_T9_mT8_P12ihipStream_tbDpT10_ENKUlT_T0_E_clISt17integral_constantIbLb0EES19_IbLb1EEEEDaS15_S16_EUlS15_E_NS1_11comp_targetILNS1_3genE4ELNS1_11target_archE910ELNS1_3gpuE8ELNS1_3repE0EEENS1_30default_config_static_selectorELNS0_4arch9wavefront6targetE1EEEvT1_,@function
_ZN7rocprim17ROCPRIM_400000_NS6detail17trampoline_kernelINS0_14default_configENS1_25partition_config_selectorILNS1_17partition_subalgoE9EllbEEZZNS1_14partition_implILS5_9ELb0ES3_jPlS8_PNS0_10empty_typeENS0_5tupleIJS8_S9_EEENSB_IJS8_SA_EEENS0_18inequality_wrapperIZN2at6native12_GLOBAL__N_124unique_dim_cuda_templateIjEESt5tupleIJNSF_6TensorESK_SK_EERKSK_lbbbEUlllE0_EEPmJS9_EEE10hipError_tPvRmT3_T4_T5_T6_T7_T9_mT8_P12ihipStream_tbDpT10_ENKUlT_T0_E_clISt17integral_constantIbLb0EES19_IbLb1EEEEDaS15_S16_EUlS15_E_NS1_11comp_targetILNS1_3genE4ELNS1_11target_archE910ELNS1_3gpuE8ELNS1_3repE0EEENS1_30default_config_static_selectorELNS0_4arch9wavefront6targetE1EEEvT1_: ; @_ZN7rocprim17ROCPRIM_400000_NS6detail17trampoline_kernelINS0_14default_configENS1_25partition_config_selectorILNS1_17partition_subalgoE9EllbEEZZNS1_14partition_implILS5_9ELb0ES3_jPlS8_PNS0_10empty_typeENS0_5tupleIJS8_S9_EEENSB_IJS8_SA_EEENS0_18inequality_wrapperIZN2at6native12_GLOBAL__N_124unique_dim_cuda_templateIjEESt5tupleIJNSF_6TensorESK_SK_EERKSK_lbbbEUlllE0_EEPmJS9_EEE10hipError_tPvRmT3_T4_T5_T6_T7_T9_mT8_P12ihipStream_tbDpT10_ENKUlT_T0_E_clISt17integral_constantIbLb0EES19_IbLb1EEEEDaS15_S16_EUlS15_E_NS1_11comp_targetILNS1_3genE4ELNS1_11target_archE910ELNS1_3gpuE8ELNS1_3repE0EEENS1_30default_config_static_selectorELNS0_4arch9wavefront6targetE1EEEvT1_
; %bb.0:
	.section	.rodata,"a",@progbits
	.p2align	6, 0x0
	.amdhsa_kernel _ZN7rocprim17ROCPRIM_400000_NS6detail17trampoline_kernelINS0_14default_configENS1_25partition_config_selectorILNS1_17partition_subalgoE9EllbEEZZNS1_14partition_implILS5_9ELb0ES3_jPlS8_PNS0_10empty_typeENS0_5tupleIJS8_S9_EEENSB_IJS8_SA_EEENS0_18inequality_wrapperIZN2at6native12_GLOBAL__N_124unique_dim_cuda_templateIjEESt5tupleIJNSF_6TensorESK_SK_EERKSK_lbbbEUlllE0_EEPmJS9_EEE10hipError_tPvRmT3_T4_T5_T6_T7_T9_mT8_P12ihipStream_tbDpT10_ENKUlT_T0_E_clISt17integral_constantIbLb0EES19_IbLb1EEEEDaS15_S16_EUlS15_E_NS1_11comp_targetILNS1_3genE4ELNS1_11target_archE910ELNS1_3gpuE8ELNS1_3repE0EEENS1_30default_config_static_selectorELNS0_4arch9wavefront6targetE1EEEvT1_
		.amdhsa_group_segment_fixed_size 0
		.amdhsa_private_segment_fixed_size 0
		.amdhsa_kernarg_size 136
		.amdhsa_user_sgpr_count 2
		.amdhsa_user_sgpr_dispatch_ptr 0
		.amdhsa_user_sgpr_queue_ptr 0
		.amdhsa_user_sgpr_kernarg_segment_ptr 1
		.amdhsa_user_sgpr_dispatch_id 0
		.amdhsa_user_sgpr_kernarg_preload_length 0
		.amdhsa_user_sgpr_kernarg_preload_offset 0
		.amdhsa_user_sgpr_private_segment_size 0
		.amdhsa_uses_dynamic_stack 0
		.amdhsa_enable_private_segment 0
		.amdhsa_system_sgpr_workgroup_id_x 1
		.amdhsa_system_sgpr_workgroup_id_y 0
		.amdhsa_system_sgpr_workgroup_id_z 0
		.amdhsa_system_sgpr_workgroup_info 0
		.amdhsa_system_vgpr_workitem_id 0
		.amdhsa_next_free_vgpr 1
		.amdhsa_next_free_sgpr 0
		.amdhsa_accum_offset 4
		.amdhsa_reserve_vcc 0
		.amdhsa_float_round_mode_32 0
		.amdhsa_float_round_mode_16_64 0
		.amdhsa_float_denorm_mode_32 3
		.amdhsa_float_denorm_mode_16_64 3
		.amdhsa_dx10_clamp 1
		.amdhsa_ieee_mode 1
		.amdhsa_fp16_overflow 0
		.amdhsa_tg_split 0
		.amdhsa_exception_fp_ieee_invalid_op 0
		.amdhsa_exception_fp_denorm_src 0
		.amdhsa_exception_fp_ieee_div_zero 0
		.amdhsa_exception_fp_ieee_overflow 0
		.amdhsa_exception_fp_ieee_underflow 0
		.amdhsa_exception_fp_ieee_inexact 0
		.amdhsa_exception_int_div_zero 0
	.end_amdhsa_kernel
	.section	.text._ZN7rocprim17ROCPRIM_400000_NS6detail17trampoline_kernelINS0_14default_configENS1_25partition_config_selectorILNS1_17partition_subalgoE9EllbEEZZNS1_14partition_implILS5_9ELb0ES3_jPlS8_PNS0_10empty_typeENS0_5tupleIJS8_S9_EEENSB_IJS8_SA_EEENS0_18inequality_wrapperIZN2at6native12_GLOBAL__N_124unique_dim_cuda_templateIjEESt5tupleIJNSF_6TensorESK_SK_EERKSK_lbbbEUlllE0_EEPmJS9_EEE10hipError_tPvRmT3_T4_T5_T6_T7_T9_mT8_P12ihipStream_tbDpT10_ENKUlT_T0_E_clISt17integral_constantIbLb0EES19_IbLb1EEEEDaS15_S16_EUlS15_E_NS1_11comp_targetILNS1_3genE4ELNS1_11target_archE910ELNS1_3gpuE8ELNS1_3repE0EEENS1_30default_config_static_selectorELNS0_4arch9wavefront6targetE1EEEvT1_,"axG",@progbits,_ZN7rocprim17ROCPRIM_400000_NS6detail17trampoline_kernelINS0_14default_configENS1_25partition_config_selectorILNS1_17partition_subalgoE9EllbEEZZNS1_14partition_implILS5_9ELb0ES3_jPlS8_PNS0_10empty_typeENS0_5tupleIJS8_S9_EEENSB_IJS8_SA_EEENS0_18inequality_wrapperIZN2at6native12_GLOBAL__N_124unique_dim_cuda_templateIjEESt5tupleIJNSF_6TensorESK_SK_EERKSK_lbbbEUlllE0_EEPmJS9_EEE10hipError_tPvRmT3_T4_T5_T6_T7_T9_mT8_P12ihipStream_tbDpT10_ENKUlT_T0_E_clISt17integral_constantIbLb0EES19_IbLb1EEEEDaS15_S16_EUlS15_E_NS1_11comp_targetILNS1_3genE4ELNS1_11target_archE910ELNS1_3gpuE8ELNS1_3repE0EEENS1_30default_config_static_selectorELNS0_4arch9wavefront6targetE1EEEvT1_,comdat
.Lfunc_end1599:
	.size	_ZN7rocprim17ROCPRIM_400000_NS6detail17trampoline_kernelINS0_14default_configENS1_25partition_config_selectorILNS1_17partition_subalgoE9EllbEEZZNS1_14partition_implILS5_9ELb0ES3_jPlS8_PNS0_10empty_typeENS0_5tupleIJS8_S9_EEENSB_IJS8_SA_EEENS0_18inequality_wrapperIZN2at6native12_GLOBAL__N_124unique_dim_cuda_templateIjEESt5tupleIJNSF_6TensorESK_SK_EERKSK_lbbbEUlllE0_EEPmJS9_EEE10hipError_tPvRmT3_T4_T5_T6_T7_T9_mT8_P12ihipStream_tbDpT10_ENKUlT_T0_E_clISt17integral_constantIbLb0EES19_IbLb1EEEEDaS15_S16_EUlS15_E_NS1_11comp_targetILNS1_3genE4ELNS1_11target_archE910ELNS1_3gpuE8ELNS1_3repE0EEENS1_30default_config_static_selectorELNS0_4arch9wavefront6targetE1EEEvT1_, .Lfunc_end1599-_ZN7rocprim17ROCPRIM_400000_NS6detail17trampoline_kernelINS0_14default_configENS1_25partition_config_selectorILNS1_17partition_subalgoE9EllbEEZZNS1_14partition_implILS5_9ELb0ES3_jPlS8_PNS0_10empty_typeENS0_5tupleIJS8_S9_EEENSB_IJS8_SA_EEENS0_18inequality_wrapperIZN2at6native12_GLOBAL__N_124unique_dim_cuda_templateIjEESt5tupleIJNSF_6TensorESK_SK_EERKSK_lbbbEUlllE0_EEPmJS9_EEE10hipError_tPvRmT3_T4_T5_T6_T7_T9_mT8_P12ihipStream_tbDpT10_ENKUlT_T0_E_clISt17integral_constantIbLb0EES19_IbLb1EEEEDaS15_S16_EUlS15_E_NS1_11comp_targetILNS1_3genE4ELNS1_11target_archE910ELNS1_3gpuE8ELNS1_3repE0EEENS1_30default_config_static_selectorELNS0_4arch9wavefront6targetE1EEEvT1_
                                        ; -- End function
	.set _ZN7rocprim17ROCPRIM_400000_NS6detail17trampoline_kernelINS0_14default_configENS1_25partition_config_selectorILNS1_17partition_subalgoE9EllbEEZZNS1_14partition_implILS5_9ELb0ES3_jPlS8_PNS0_10empty_typeENS0_5tupleIJS8_S9_EEENSB_IJS8_SA_EEENS0_18inequality_wrapperIZN2at6native12_GLOBAL__N_124unique_dim_cuda_templateIjEESt5tupleIJNSF_6TensorESK_SK_EERKSK_lbbbEUlllE0_EEPmJS9_EEE10hipError_tPvRmT3_T4_T5_T6_T7_T9_mT8_P12ihipStream_tbDpT10_ENKUlT_T0_E_clISt17integral_constantIbLb0EES19_IbLb1EEEEDaS15_S16_EUlS15_E_NS1_11comp_targetILNS1_3genE4ELNS1_11target_archE910ELNS1_3gpuE8ELNS1_3repE0EEENS1_30default_config_static_selectorELNS0_4arch9wavefront6targetE1EEEvT1_.num_vgpr, 0
	.set _ZN7rocprim17ROCPRIM_400000_NS6detail17trampoline_kernelINS0_14default_configENS1_25partition_config_selectorILNS1_17partition_subalgoE9EllbEEZZNS1_14partition_implILS5_9ELb0ES3_jPlS8_PNS0_10empty_typeENS0_5tupleIJS8_S9_EEENSB_IJS8_SA_EEENS0_18inequality_wrapperIZN2at6native12_GLOBAL__N_124unique_dim_cuda_templateIjEESt5tupleIJNSF_6TensorESK_SK_EERKSK_lbbbEUlllE0_EEPmJS9_EEE10hipError_tPvRmT3_T4_T5_T6_T7_T9_mT8_P12ihipStream_tbDpT10_ENKUlT_T0_E_clISt17integral_constantIbLb0EES19_IbLb1EEEEDaS15_S16_EUlS15_E_NS1_11comp_targetILNS1_3genE4ELNS1_11target_archE910ELNS1_3gpuE8ELNS1_3repE0EEENS1_30default_config_static_selectorELNS0_4arch9wavefront6targetE1EEEvT1_.num_agpr, 0
	.set _ZN7rocprim17ROCPRIM_400000_NS6detail17trampoline_kernelINS0_14default_configENS1_25partition_config_selectorILNS1_17partition_subalgoE9EllbEEZZNS1_14partition_implILS5_9ELb0ES3_jPlS8_PNS0_10empty_typeENS0_5tupleIJS8_S9_EEENSB_IJS8_SA_EEENS0_18inequality_wrapperIZN2at6native12_GLOBAL__N_124unique_dim_cuda_templateIjEESt5tupleIJNSF_6TensorESK_SK_EERKSK_lbbbEUlllE0_EEPmJS9_EEE10hipError_tPvRmT3_T4_T5_T6_T7_T9_mT8_P12ihipStream_tbDpT10_ENKUlT_T0_E_clISt17integral_constantIbLb0EES19_IbLb1EEEEDaS15_S16_EUlS15_E_NS1_11comp_targetILNS1_3genE4ELNS1_11target_archE910ELNS1_3gpuE8ELNS1_3repE0EEENS1_30default_config_static_selectorELNS0_4arch9wavefront6targetE1EEEvT1_.numbered_sgpr, 0
	.set _ZN7rocprim17ROCPRIM_400000_NS6detail17trampoline_kernelINS0_14default_configENS1_25partition_config_selectorILNS1_17partition_subalgoE9EllbEEZZNS1_14partition_implILS5_9ELb0ES3_jPlS8_PNS0_10empty_typeENS0_5tupleIJS8_S9_EEENSB_IJS8_SA_EEENS0_18inequality_wrapperIZN2at6native12_GLOBAL__N_124unique_dim_cuda_templateIjEESt5tupleIJNSF_6TensorESK_SK_EERKSK_lbbbEUlllE0_EEPmJS9_EEE10hipError_tPvRmT3_T4_T5_T6_T7_T9_mT8_P12ihipStream_tbDpT10_ENKUlT_T0_E_clISt17integral_constantIbLb0EES19_IbLb1EEEEDaS15_S16_EUlS15_E_NS1_11comp_targetILNS1_3genE4ELNS1_11target_archE910ELNS1_3gpuE8ELNS1_3repE0EEENS1_30default_config_static_selectorELNS0_4arch9wavefront6targetE1EEEvT1_.num_named_barrier, 0
	.set _ZN7rocprim17ROCPRIM_400000_NS6detail17trampoline_kernelINS0_14default_configENS1_25partition_config_selectorILNS1_17partition_subalgoE9EllbEEZZNS1_14partition_implILS5_9ELb0ES3_jPlS8_PNS0_10empty_typeENS0_5tupleIJS8_S9_EEENSB_IJS8_SA_EEENS0_18inequality_wrapperIZN2at6native12_GLOBAL__N_124unique_dim_cuda_templateIjEESt5tupleIJNSF_6TensorESK_SK_EERKSK_lbbbEUlllE0_EEPmJS9_EEE10hipError_tPvRmT3_T4_T5_T6_T7_T9_mT8_P12ihipStream_tbDpT10_ENKUlT_T0_E_clISt17integral_constantIbLb0EES19_IbLb1EEEEDaS15_S16_EUlS15_E_NS1_11comp_targetILNS1_3genE4ELNS1_11target_archE910ELNS1_3gpuE8ELNS1_3repE0EEENS1_30default_config_static_selectorELNS0_4arch9wavefront6targetE1EEEvT1_.private_seg_size, 0
	.set _ZN7rocprim17ROCPRIM_400000_NS6detail17trampoline_kernelINS0_14default_configENS1_25partition_config_selectorILNS1_17partition_subalgoE9EllbEEZZNS1_14partition_implILS5_9ELb0ES3_jPlS8_PNS0_10empty_typeENS0_5tupleIJS8_S9_EEENSB_IJS8_SA_EEENS0_18inequality_wrapperIZN2at6native12_GLOBAL__N_124unique_dim_cuda_templateIjEESt5tupleIJNSF_6TensorESK_SK_EERKSK_lbbbEUlllE0_EEPmJS9_EEE10hipError_tPvRmT3_T4_T5_T6_T7_T9_mT8_P12ihipStream_tbDpT10_ENKUlT_T0_E_clISt17integral_constantIbLb0EES19_IbLb1EEEEDaS15_S16_EUlS15_E_NS1_11comp_targetILNS1_3genE4ELNS1_11target_archE910ELNS1_3gpuE8ELNS1_3repE0EEENS1_30default_config_static_selectorELNS0_4arch9wavefront6targetE1EEEvT1_.uses_vcc, 0
	.set _ZN7rocprim17ROCPRIM_400000_NS6detail17trampoline_kernelINS0_14default_configENS1_25partition_config_selectorILNS1_17partition_subalgoE9EllbEEZZNS1_14partition_implILS5_9ELb0ES3_jPlS8_PNS0_10empty_typeENS0_5tupleIJS8_S9_EEENSB_IJS8_SA_EEENS0_18inequality_wrapperIZN2at6native12_GLOBAL__N_124unique_dim_cuda_templateIjEESt5tupleIJNSF_6TensorESK_SK_EERKSK_lbbbEUlllE0_EEPmJS9_EEE10hipError_tPvRmT3_T4_T5_T6_T7_T9_mT8_P12ihipStream_tbDpT10_ENKUlT_T0_E_clISt17integral_constantIbLb0EES19_IbLb1EEEEDaS15_S16_EUlS15_E_NS1_11comp_targetILNS1_3genE4ELNS1_11target_archE910ELNS1_3gpuE8ELNS1_3repE0EEENS1_30default_config_static_selectorELNS0_4arch9wavefront6targetE1EEEvT1_.uses_flat_scratch, 0
	.set _ZN7rocprim17ROCPRIM_400000_NS6detail17trampoline_kernelINS0_14default_configENS1_25partition_config_selectorILNS1_17partition_subalgoE9EllbEEZZNS1_14partition_implILS5_9ELb0ES3_jPlS8_PNS0_10empty_typeENS0_5tupleIJS8_S9_EEENSB_IJS8_SA_EEENS0_18inequality_wrapperIZN2at6native12_GLOBAL__N_124unique_dim_cuda_templateIjEESt5tupleIJNSF_6TensorESK_SK_EERKSK_lbbbEUlllE0_EEPmJS9_EEE10hipError_tPvRmT3_T4_T5_T6_T7_T9_mT8_P12ihipStream_tbDpT10_ENKUlT_T0_E_clISt17integral_constantIbLb0EES19_IbLb1EEEEDaS15_S16_EUlS15_E_NS1_11comp_targetILNS1_3genE4ELNS1_11target_archE910ELNS1_3gpuE8ELNS1_3repE0EEENS1_30default_config_static_selectorELNS0_4arch9wavefront6targetE1EEEvT1_.has_dyn_sized_stack, 0
	.set _ZN7rocprim17ROCPRIM_400000_NS6detail17trampoline_kernelINS0_14default_configENS1_25partition_config_selectorILNS1_17partition_subalgoE9EllbEEZZNS1_14partition_implILS5_9ELb0ES3_jPlS8_PNS0_10empty_typeENS0_5tupleIJS8_S9_EEENSB_IJS8_SA_EEENS0_18inequality_wrapperIZN2at6native12_GLOBAL__N_124unique_dim_cuda_templateIjEESt5tupleIJNSF_6TensorESK_SK_EERKSK_lbbbEUlllE0_EEPmJS9_EEE10hipError_tPvRmT3_T4_T5_T6_T7_T9_mT8_P12ihipStream_tbDpT10_ENKUlT_T0_E_clISt17integral_constantIbLb0EES19_IbLb1EEEEDaS15_S16_EUlS15_E_NS1_11comp_targetILNS1_3genE4ELNS1_11target_archE910ELNS1_3gpuE8ELNS1_3repE0EEENS1_30default_config_static_selectorELNS0_4arch9wavefront6targetE1EEEvT1_.has_recursion, 0
	.set _ZN7rocprim17ROCPRIM_400000_NS6detail17trampoline_kernelINS0_14default_configENS1_25partition_config_selectorILNS1_17partition_subalgoE9EllbEEZZNS1_14partition_implILS5_9ELb0ES3_jPlS8_PNS0_10empty_typeENS0_5tupleIJS8_S9_EEENSB_IJS8_SA_EEENS0_18inequality_wrapperIZN2at6native12_GLOBAL__N_124unique_dim_cuda_templateIjEESt5tupleIJNSF_6TensorESK_SK_EERKSK_lbbbEUlllE0_EEPmJS9_EEE10hipError_tPvRmT3_T4_T5_T6_T7_T9_mT8_P12ihipStream_tbDpT10_ENKUlT_T0_E_clISt17integral_constantIbLb0EES19_IbLb1EEEEDaS15_S16_EUlS15_E_NS1_11comp_targetILNS1_3genE4ELNS1_11target_archE910ELNS1_3gpuE8ELNS1_3repE0EEENS1_30default_config_static_selectorELNS0_4arch9wavefront6targetE1EEEvT1_.has_indirect_call, 0
	.section	.AMDGPU.csdata,"",@progbits
; Kernel info:
; codeLenInByte = 0
; TotalNumSgprs: 6
; NumVgprs: 0
; NumAgprs: 0
; TotalNumVgprs: 0
; ScratchSize: 0
; MemoryBound: 0
; FloatMode: 240
; IeeeMode: 1
; LDSByteSize: 0 bytes/workgroup (compile time only)
; SGPRBlocks: 0
; VGPRBlocks: 0
; NumSGPRsForWavesPerEU: 6
; NumVGPRsForWavesPerEU: 1
; AccumOffset: 4
; Occupancy: 8
; WaveLimiterHint : 0
; COMPUTE_PGM_RSRC2:SCRATCH_EN: 0
; COMPUTE_PGM_RSRC2:USER_SGPR: 2
; COMPUTE_PGM_RSRC2:TRAP_HANDLER: 0
; COMPUTE_PGM_RSRC2:TGID_X_EN: 1
; COMPUTE_PGM_RSRC2:TGID_Y_EN: 0
; COMPUTE_PGM_RSRC2:TGID_Z_EN: 0
; COMPUTE_PGM_RSRC2:TIDIG_COMP_CNT: 0
; COMPUTE_PGM_RSRC3_GFX90A:ACCUM_OFFSET: 0
; COMPUTE_PGM_RSRC3_GFX90A:TG_SPLIT: 0
	.section	.text._ZN7rocprim17ROCPRIM_400000_NS6detail17trampoline_kernelINS0_14default_configENS1_25partition_config_selectorILNS1_17partition_subalgoE9EllbEEZZNS1_14partition_implILS5_9ELb0ES3_jPlS8_PNS0_10empty_typeENS0_5tupleIJS8_S9_EEENSB_IJS8_SA_EEENS0_18inequality_wrapperIZN2at6native12_GLOBAL__N_124unique_dim_cuda_templateIjEESt5tupleIJNSF_6TensorESK_SK_EERKSK_lbbbEUlllE0_EEPmJS9_EEE10hipError_tPvRmT3_T4_T5_T6_T7_T9_mT8_P12ihipStream_tbDpT10_ENKUlT_T0_E_clISt17integral_constantIbLb0EES19_IbLb1EEEEDaS15_S16_EUlS15_E_NS1_11comp_targetILNS1_3genE3ELNS1_11target_archE908ELNS1_3gpuE7ELNS1_3repE0EEENS1_30default_config_static_selectorELNS0_4arch9wavefront6targetE1EEEvT1_,"axG",@progbits,_ZN7rocprim17ROCPRIM_400000_NS6detail17trampoline_kernelINS0_14default_configENS1_25partition_config_selectorILNS1_17partition_subalgoE9EllbEEZZNS1_14partition_implILS5_9ELb0ES3_jPlS8_PNS0_10empty_typeENS0_5tupleIJS8_S9_EEENSB_IJS8_SA_EEENS0_18inequality_wrapperIZN2at6native12_GLOBAL__N_124unique_dim_cuda_templateIjEESt5tupleIJNSF_6TensorESK_SK_EERKSK_lbbbEUlllE0_EEPmJS9_EEE10hipError_tPvRmT3_T4_T5_T6_T7_T9_mT8_P12ihipStream_tbDpT10_ENKUlT_T0_E_clISt17integral_constantIbLb0EES19_IbLb1EEEEDaS15_S16_EUlS15_E_NS1_11comp_targetILNS1_3genE3ELNS1_11target_archE908ELNS1_3gpuE7ELNS1_3repE0EEENS1_30default_config_static_selectorELNS0_4arch9wavefront6targetE1EEEvT1_,comdat
	.globl	_ZN7rocprim17ROCPRIM_400000_NS6detail17trampoline_kernelINS0_14default_configENS1_25partition_config_selectorILNS1_17partition_subalgoE9EllbEEZZNS1_14partition_implILS5_9ELb0ES3_jPlS8_PNS0_10empty_typeENS0_5tupleIJS8_S9_EEENSB_IJS8_SA_EEENS0_18inequality_wrapperIZN2at6native12_GLOBAL__N_124unique_dim_cuda_templateIjEESt5tupleIJNSF_6TensorESK_SK_EERKSK_lbbbEUlllE0_EEPmJS9_EEE10hipError_tPvRmT3_T4_T5_T6_T7_T9_mT8_P12ihipStream_tbDpT10_ENKUlT_T0_E_clISt17integral_constantIbLb0EES19_IbLb1EEEEDaS15_S16_EUlS15_E_NS1_11comp_targetILNS1_3genE3ELNS1_11target_archE908ELNS1_3gpuE7ELNS1_3repE0EEENS1_30default_config_static_selectorELNS0_4arch9wavefront6targetE1EEEvT1_ ; -- Begin function _ZN7rocprim17ROCPRIM_400000_NS6detail17trampoline_kernelINS0_14default_configENS1_25partition_config_selectorILNS1_17partition_subalgoE9EllbEEZZNS1_14partition_implILS5_9ELb0ES3_jPlS8_PNS0_10empty_typeENS0_5tupleIJS8_S9_EEENSB_IJS8_SA_EEENS0_18inequality_wrapperIZN2at6native12_GLOBAL__N_124unique_dim_cuda_templateIjEESt5tupleIJNSF_6TensorESK_SK_EERKSK_lbbbEUlllE0_EEPmJS9_EEE10hipError_tPvRmT3_T4_T5_T6_T7_T9_mT8_P12ihipStream_tbDpT10_ENKUlT_T0_E_clISt17integral_constantIbLb0EES19_IbLb1EEEEDaS15_S16_EUlS15_E_NS1_11comp_targetILNS1_3genE3ELNS1_11target_archE908ELNS1_3gpuE7ELNS1_3repE0EEENS1_30default_config_static_selectorELNS0_4arch9wavefront6targetE1EEEvT1_
	.p2align	8
	.type	_ZN7rocprim17ROCPRIM_400000_NS6detail17trampoline_kernelINS0_14default_configENS1_25partition_config_selectorILNS1_17partition_subalgoE9EllbEEZZNS1_14partition_implILS5_9ELb0ES3_jPlS8_PNS0_10empty_typeENS0_5tupleIJS8_S9_EEENSB_IJS8_SA_EEENS0_18inequality_wrapperIZN2at6native12_GLOBAL__N_124unique_dim_cuda_templateIjEESt5tupleIJNSF_6TensorESK_SK_EERKSK_lbbbEUlllE0_EEPmJS9_EEE10hipError_tPvRmT3_T4_T5_T6_T7_T9_mT8_P12ihipStream_tbDpT10_ENKUlT_T0_E_clISt17integral_constantIbLb0EES19_IbLb1EEEEDaS15_S16_EUlS15_E_NS1_11comp_targetILNS1_3genE3ELNS1_11target_archE908ELNS1_3gpuE7ELNS1_3repE0EEENS1_30default_config_static_selectorELNS0_4arch9wavefront6targetE1EEEvT1_,@function
_ZN7rocprim17ROCPRIM_400000_NS6detail17trampoline_kernelINS0_14default_configENS1_25partition_config_selectorILNS1_17partition_subalgoE9EllbEEZZNS1_14partition_implILS5_9ELb0ES3_jPlS8_PNS0_10empty_typeENS0_5tupleIJS8_S9_EEENSB_IJS8_SA_EEENS0_18inequality_wrapperIZN2at6native12_GLOBAL__N_124unique_dim_cuda_templateIjEESt5tupleIJNSF_6TensorESK_SK_EERKSK_lbbbEUlllE0_EEPmJS9_EEE10hipError_tPvRmT3_T4_T5_T6_T7_T9_mT8_P12ihipStream_tbDpT10_ENKUlT_T0_E_clISt17integral_constantIbLb0EES19_IbLb1EEEEDaS15_S16_EUlS15_E_NS1_11comp_targetILNS1_3genE3ELNS1_11target_archE908ELNS1_3gpuE7ELNS1_3repE0EEENS1_30default_config_static_selectorELNS0_4arch9wavefront6targetE1EEEvT1_: ; @_ZN7rocprim17ROCPRIM_400000_NS6detail17trampoline_kernelINS0_14default_configENS1_25partition_config_selectorILNS1_17partition_subalgoE9EllbEEZZNS1_14partition_implILS5_9ELb0ES3_jPlS8_PNS0_10empty_typeENS0_5tupleIJS8_S9_EEENSB_IJS8_SA_EEENS0_18inequality_wrapperIZN2at6native12_GLOBAL__N_124unique_dim_cuda_templateIjEESt5tupleIJNSF_6TensorESK_SK_EERKSK_lbbbEUlllE0_EEPmJS9_EEE10hipError_tPvRmT3_T4_T5_T6_T7_T9_mT8_P12ihipStream_tbDpT10_ENKUlT_T0_E_clISt17integral_constantIbLb0EES19_IbLb1EEEEDaS15_S16_EUlS15_E_NS1_11comp_targetILNS1_3genE3ELNS1_11target_archE908ELNS1_3gpuE7ELNS1_3repE0EEENS1_30default_config_static_selectorELNS0_4arch9wavefront6targetE1EEEvT1_
; %bb.0:
	.section	.rodata,"a",@progbits
	.p2align	6, 0x0
	.amdhsa_kernel _ZN7rocprim17ROCPRIM_400000_NS6detail17trampoline_kernelINS0_14default_configENS1_25partition_config_selectorILNS1_17partition_subalgoE9EllbEEZZNS1_14partition_implILS5_9ELb0ES3_jPlS8_PNS0_10empty_typeENS0_5tupleIJS8_S9_EEENSB_IJS8_SA_EEENS0_18inequality_wrapperIZN2at6native12_GLOBAL__N_124unique_dim_cuda_templateIjEESt5tupleIJNSF_6TensorESK_SK_EERKSK_lbbbEUlllE0_EEPmJS9_EEE10hipError_tPvRmT3_T4_T5_T6_T7_T9_mT8_P12ihipStream_tbDpT10_ENKUlT_T0_E_clISt17integral_constantIbLb0EES19_IbLb1EEEEDaS15_S16_EUlS15_E_NS1_11comp_targetILNS1_3genE3ELNS1_11target_archE908ELNS1_3gpuE7ELNS1_3repE0EEENS1_30default_config_static_selectorELNS0_4arch9wavefront6targetE1EEEvT1_
		.amdhsa_group_segment_fixed_size 0
		.amdhsa_private_segment_fixed_size 0
		.amdhsa_kernarg_size 136
		.amdhsa_user_sgpr_count 2
		.amdhsa_user_sgpr_dispatch_ptr 0
		.amdhsa_user_sgpr_queue_ptr 0
		.amdhsa_user_sgpr_kernarg_segment_ptr 1
		.amdhsa_user_sgpr_dispatch_id 0
		.amdhsa_user_sgpr_kernarg_preload_length 0
		.amdhsa_user_sgpr_kernarg_preload_offset 0
		.amdhsa_user_sgpr_private_segment_size 0
		.amdhsa_uses_dynamic_stack 0
		.amdhsa_enable_private_segment 0
		.amdhsa_system_sgpr_workgroup_id_x 1
		.amdhsa_system_sgpr_workgroup_id_y 0
		.amdhsa_system_sgpr_workgroup_id_z 0
		.amdhsa_system_sgpr_workgroup_info 0
		.amdhsa_system_vgpr_workitem_id 0
		.amdhsa_next_free_vgpr 1
		.amdhsa_next_free_sgpr 0
		.amdhsa_accum_offset 4
		.amdhsa_reserve_vcc 0
		.amdhsa_float_round_mode_32 0
		.amdhsa_float_round_mode_16_64 0
		.amdhsa_float_denorm_mode_32 3
		.amdhsa_float_denorm_mode_16_64 3
		.amdhsa_dx10_clamp 1
		.amdhsa_ieee_mode 1
		.amdhsa_fp16_overflow 0
		.amdhsa_tg_split 0
		.amdhsa_exception_fp_ieee_invalid_op 0
		.amdhsa_exception_fp_denorm_src 0
		.amdhsa_exception_fp_ieee_div_zero 0
		.amdhsa_exception_fp_ieee_overflow 0
		.amdhsa_exception_fp_ieee_underflow 0
		.amdhsa_exception_fp_ieee_inexact 0
		.amdhsa_exception_int_div_zero 0
	.end_amdhsa_kernel
	.section	.text._ZN7rocprim17ROCPRIM_400000_NS6detail17trampoline_kernelINS0_14default_configENS1_25partition_config_selectorILNS1_17partition_subalgoE9EllbEEZZNS1_14partition_implILS5_9ELb0ES3_jPlS8_PNS0_10empty_typeENS0_5tupleIJS8_S9_EEENSB_IJS8_SA_EEENS0_18inequality_wrapperIZN2at6native12_GLOBAL__N_124unique_dim_cuda_templateIjEESt5tupleIJNSF_6TensorESK_SK_EERKSK_lbbbEUlllE0_EEPmJS9_EEE10hipError_tPvRmT3_T4_T5_T6_T7_T9_mT8_P12ihipStream_tbDpT10_ENKUlT_T0_E_clISt17integral_constantIbLb0EES19_IbLb1EEEEDaS15_S16_EUlS15_E_NS1_11comp_targetILNS1_3genE3ELNS1_11target_archE908ELNS1_3gpuE7ELNS1_3repE0EEENS1_30default_config_static_selectorELNS0_4arch9wavefront6targetE1EEEvT1_,"axG",@progbits,_ZN7rocprim17ROCPRIM_400000_NS6detail17trampoline_kernelINS0_14default_configENS1_25partition_config_selectorILNS1_17partition_subalgoE9EllbEEZZNS1_14partition_implILS5_9ELb0ES3_jPlS8_PNS0_10empty_typeENS0_5tupleIJS8_S9_EEENSB_IJS8_SA_EEENS0_18inequality_wrapperIZN2at6native12_GLOBAL__N_124unique_dim_cuda_templateIjEESt5tupleIJNSF_6TensorESK_SK_EERKSK_lbbbEUlllE0_EEPmJS9_EEE10hipError_tPvRmT3_T4_T5_T6_T7_T9_mT8_P12ihipStream_tbDpT10_ENKUlT_T0_E_clISt17integral_constantIbLb0EES19_IbLb1EEEEDaS15_S16_EUlS15_E_NS1_11comp_targetILNS1_3genE3ELNS1_11target_archE908ELNS1_3gpuE7ELNS1_3repE0EEENS1_30default_config_static_selectorELNS0_4arch9wavefront6targetE1EEEvT1_,comdat
.Lfunc_end1600:
	.size	_ZN7rocprim17ROCPRIM_400000_NS6detail17trampoline_kernelINS0_14default_configENS1_25partition_config_selectorILNS1_17partition_subalgoE9EllbEEZZNS1_14partition_implILS5_9ELb0ES3_jPlS8_PNS0_10empty_typeENS0_5tupleIJS8_S9_EEENSB_IJS8_SA_EEENS0_18inequality_wrapperIZN2at6native12_GLOBAL__N_124unique_dim_cuda_templateIjEESt5tupleIJNSF_6TensorESK_SK_EERKSK_lbbbEUlllE0_EEPmJS9_EEE10hipError_tPvRmT3_T4_T5_T6_T7_T9_mT8_P12ihipStream_tbDpT10_ENKUlT_T0_E_clISt17integral_constantIbLb0EES19_IbLb1EEEEDaS15_S16_EUlS15_E_NS1_11comp_targetILNS1_3genE3ELNS1_11target_archE908ELNS1_3gpuE7ELNS1_3repE0EEENS1_30default_config_static_selectorELNS0_4arch9wavefront6targetE1EEEvT1_, .Lfunc_end1600-_ZN7rocprim17ROCPRIM_400000_NS6detail17trampoline_kernelINS0_14default_configENS1_25partition_config_selectorILNS1_17partition_subalgoE9EllbEEZZNS1_14partition_implILS5_9ELb0ES3_jPlS8_PNS0_10empty_typeENS0_5tupleIJS8_S9_EEENSB_IJS8_SA_EEENS0_18inequality_wrapperIZN2at6native12_GLOBAL__N_124unique_dim_cuda_templateIjEESt5tupleIJNSF_6TensorESK_SK_EERKSK_lbbbEUlllE0_EEPmJS9_EEE10hipError_tPvRmT3_T4_T5_T6_T7_T9_mT8_P12ihipStream_tbDpT10_ENKUlT_T0_E_clISt17integral_constantIbLb0EES19_IbLb1EEEEDaS15_S16_EUlS15_E_NS1_11comp_targetILNS1_3genE3ELNS1_11target_archE908ELNS1_3gpuE7ELNS1_3repE0EEENS1_30default_config_static_selectorELNS0_4arch9wavefront6targetE1EEEvT1_
                                        ; -- End function
	.set _ZN7rocprim17ROCPRIM_400000_NS6detail17trampoline_kernelINS0_14default_configENS1_25partition_config_selectorILNS1_17partition_subalgoE9EllbEEZZNS1_14partition_implILS5_9ELb0ES3_jPlS8_PNS0_10empty_typeENS0_5tupleIJS8_S9_EEENSB_IJS8_SA_EEENS0_18inequality_wrapperIZN2at6native12_GLOBAL__N_124unique_dim_cuda_templateIjEESt5tupleIJNSF_6TensorESK_SK_EERKSK_lbbbEUlllE0_EEPmJS9_EEE10hipError_tPvRmT3_T4_T5_T6_T7_T9_mT8_P12ihipStream_tbDpT10_ENKUlT_T0_E_clISt17integral_constantIbLb0EES19_IbLb1EEEEDaS15_S16_EUlS15_E_NS1_11comp_targetILNS1_3genE3ELNS1_11target_archE908ELNS1_3gpuE7ELNS1_3repE0EEENS1_30default_config_static_selectorELNS0_4arch9wavefront6targetE1EEEvT1_.num_vgpr, 0
	.set _ZN7rocprim17ROCPRIM_400000_NS6detail17trampoline_kernelINS0_14default_configENS1_25partition_config_selectorILNS1_17partition_subalgoE9EllbEEZZNS1_14partition_implILS5_9ELb0ES3_jPlS8_PNS0_10empty_typeENS0_5tupleIJS8_S9_EEENSB_IJS8_SA_EEENS0_18inequality_wrapperIZN2at6native12_GLOBAL__N_124unique_dim_cuda_templateIjEESt5tupleIJNSF_6TensorESK_SK_EERKSK_lbbbEUlllE0_EEPmJS9_EEE10hipError_tPvRmT3_T4_T5_T6_T7_T9_mT8_P12ihipStream_tbDpT10_ENKUlT_T0_E_clISt17integral_constantIbLb0EES19_IbLb1EEEEDaS15_S16_EUlS15_E_NS1_11comp_targetILNS1_3genE3ELNS1_11target_archE908ELNS1_3gpuE7ELNS1_3repE0EEENS1_30default_config_static_selectorELNS0_4arch9wavefront6targetE1EEEvT1_.num_agpr, 0
	.set _ZN7rocprim17ROCPRIM_400000_NS6detail17trampoline_kernelINS0_14default_configENS1_25partition_config_selectorILNS1_17partition_subalgoE9EllbEEZZNS1_14partition_implILS5_9ELb0ES3_jPlS8_PNS0_10empty_typeENS0_5tupleIJS8_S9_EEENSB_IJS8_SA_EEENS0_18inequality_wrapperIZN2at6native12_GLOBAL__N_124unique_dim_cuda_templateIjEESt5tupleIJNSF_6TensorESK_SK_EERKSK_lbbbEUlllE0_EEPmJS9_EEE10hipError_tPvRmT3_T4_T5_T6_T7_T9_mT8_P12ihipStream_tbDpT10_ENKUlT_T0_E_clISt17integral_constantIbLb0EES19_IbLb1EEEEDaS15_S16_EUlS15_E_NS1_11comp_targetILNS1_3genE3ELNS1_11target_archE908ELNS1_3gpuE7ELNS1_3repE0EEENS1_30default_config_static_selectorELNS0_4arch9wavefront6targetE1EEEvT1_.numbered_sgpr, 0
	.set _ZN7rocprim17ROCPRIM_400000_NS6detail17trampoline_kernelINS0_14default_configENS1_25partition_config_selectorILNS1_17partition_subalgoE9EllbEEZZNS1_14partition_implILS5_9ELb0ES3_jPlS8_PNS0_10empty_typeENS0_5tupleIJS8_S9_EEENSB_IJS8_SA_EEENS0_18inequality_wrapperIZN2at6native12_GLOBAL__N_124unique_dim_cuda_templateIjEESt5tupleIJNSF_6TensorESK_SK_EERKSK_lbbbEUlllE0_EEPmJS9_EEE10hipError_tPvRmT3_T4_T5_T6_T7_T9_mT8_P12ihipStream_tbDpT10_ENKUlT_T0_E_clISt17integral_constantIbLb0EES19_IbLb1EEEEDaS15_S16_EUlS15_E_NS1_11comp_targetILNS1_3genE3ELNS1_11target_archE908ELNS1_3gpuE7ELNS1_3repE0EEENS1_30default_config_static_selectorELNS0_4arch9wavefront6targetE1EEEvT1_.num_named_barrier, 0
	.set _ZN7rocprim17ROCPRIM_400000_NS6detail17trampoline_kernelINS0_14default_configENS1_25partition_config_selectorILNS1_17partition_subalgoE9EllbEEZZNS1_14partition_implILS5_9ELb0ES3_jPlS8_PNS0_10empty_typeENS0_5tupleIJS8_S9_EEENSB_IJS8_SA_EEENS0_18inequality_wrapperIZN2at6native12_GLOBAL__N_124unique_dim_cuda_templateIjEESt5tupleIJNSF_6TensorESK_SK_EERKSK_lbbbEUlllE0_EEPmJS9_EEE10hipError_tPvRmT3_T4_T5_T6_T7_T9_mT8_P12ihipStream_tbDpT10_ENKUlT_T0_E_clISt17integral_constantIbLb0EES19_IbLb1EEEEDaS15_S16_EUlS15_E_NS1_11comp_targetILNS1_3genE3ELNS1_11target_archE908ELNS1_3gpuE7ELNS1_3repE0EEENS1_30default_config_static_selectorELNS0_4arch9wavefront6targetE1EEEvT1_.private_seg_size, 0
	.set _ZN7rocprim17ROCPRIM_400000_NS6detail17trampoline_kernelINS0_14default_configENS1_25partition_config_selectorILNS1_17partition_subalgoE9EllbEEZZNS1_14partition_implILS5_9ELb0ES3_jPlS8_PNS0_10empty_typeENS0_5tupleIJS8_S9_EEENSB_IJS8_SA_EEENS0_18inequality_wrapperIZN2at6native12_GLOBAL__N_124unique_dim_cuda_templateIjEESt5tupleIJNSF_6TensorESK_SK_EERKSK_lbbbEUlllE0_EEPmJS9_EEE10hipError_tPvRmT3_T4_T5_T6_T7_T9_mT8_P12ihipStream_tbDpT10_ENKUlT_T0_E_clISt17integral_constantIbLb0EES19_IbLb1EEEEDaS15_S16_EUlS15_E_NS1_11comp_targetILNS1_3genE3ELNS1_11target_archE908ELNS1_3gpuE7ELNS1_3repE0EEENS1_30default_config_static_selectorELNS0_4arch9wavefront6targetE1EEEvT1_.uses_vcc, 0
	.set _ZN7rocprim17ROCPRIM_400000_NS6detail17trampoline_kernelINS0_14default_configENS1_25partition_config_selectorILNS1_17partition_subalgoE9EllbEEZZNS1_14partition_implILS5_9ELb0ES3_jPlS8_PNS0_10empty_typeENS0_5tupleIJS8_S9_EEENSB_IJS8_SA_EEENS0_18inequality_wrapperIZN2at6native12_GLOBAL__N_124unique_dim_cuda_templateIjEESt5tupleIJNSF_6TensorESK_SK_EERKSK_lbbbEUlllE0_EEPmJS9_EEE10hipError_tPvRmT3_T4_T5_T6_T7_T9_mT8_P12ihipStream_tbDpT10_ENKUlT_T0_E_clISt17integral_constantIbLb0EES19_IbLb1EEEEDaS15_S16_EUlS15_E_NS1_11comp_targetILNS1_3genE3ELNS1_11target_archE908ELNS1_3gpuE7ELNS1_3repE0EEENS1_30default_config_static_selectorELNS0_4arch9wavefront6targetE1EEEvT1_.uses_flat_scratch, 0
	.set _ZN7rocprim17ROCPRIM_400000_NS6detail17trampoline_kernelINS0_14default_configENS1_25partition_config_selectorILNS1_17partition_subalgoE9EllbEEZZNS1_14partition_implILS5_9ELb0ES3_jPlS8_PNS0_10empty_typeENS0_5tupleIJS8_S9_EEENSB_IJS8_SA_EEENS0_18inequality_wrapperIZN2at6native12_GLOBAL__N_124unique_dim_cuda_templateIjEESt5tupleIJNSF_6TensorESK_SK_EERKSK_lbbbEUlllE0_EEPmJS9_EEE10hipError_tPvRmT3_T4_T5_T6_T7_T9_mT8_P12ihipStream_tbDpT10_ENKUlT_T0_E_clISt17integral_constantIbLb0EES19_IbLb1EEEEDaS15_S16_EUlS15_E_NS1_11comp_targetILNS1_3genE3ELNS1_11target_archE908ELNS1_3gpuE7ELNS1_3repE0EEENS1_30default_config_static_selectorELNS0_4arch9wavefront6targetE1EEEvT1_.has_dyn_sized_stack, 0
	.set _ZN7rocprim17ROCPRIM_400000_NS6detail17trampoline_kernelINS0_14default_configENS1_25partition_config_selectorILNS1_17partition_subalgoE9EllbEEZZNS1_14partition_implILS5_9ELb0ES3_jPlS8_PNS0_10empty_typeENS0_5tupleIJS8_S9_EEENSB_IJS8_SA_EEENS0_18inequality_wrapperIZN2at6native12_GLOBAL__N_124unique_dim_cuda_templateIjEESt5tupleIJNSF_6TensorESK_SK_EERKSK_lbbbEUlllE0_EEPmJS9_EEE10hipError_tPvRmT3_T4_T5_T6_T7_T9_mT8_P12ihipStream_tbDpT10_ENKUlT_T0_E_clISt17integral_constantIbLb0EES19_IbLb1EEEEDaS15_S16_EUlS15_E_NS1_11comp_targetILNS1_3genE3ELNS1_11target_archE908ELNS1_3gpuE7ELNS1_3repE0EEENS1_30default_config_static_selectorELNS0_4arch9wavefront6targetE1EEEvT1_.has_recursion, 0
	.set _ZN7rocprim17ROCPRIM_400000_NS6detail17trampoline_kernelINS0_14default_configENS1_25partition_config_selectorILNS1_17partition_subalgoE9EllbEEZZNS1_14partition_implILS5_9ELb0ES3_jPlS8_PNS0_10empty_typeENS0_5tupleIJS8_S9_EEENSB_IJS8_SA_EEENS0_18inequality_wrapperIZN2at6native12_GLOBAL__N_124unique_dim_cuda_templateIjEESt5tupleIJNSF_6TensorESK_SK_EERKSK_lbbbEUlllE0_EEPmJS9_EEE10hipError_tPvRmT3_T4_T5_T6_T7_T9_mT8_P12ihipStream_tbDpT10_ENKUlT_T0_E_clISt17integral_constantIbLb0EES19_IbLb1EEEEDaS15_S16_EUlS15_E_NS1_11comp_targetILNS1_3genE3ELNS1_11target_archE908ELNS1_3gpuE7ELNS1_3repE0EEENS1_30default_config_static_selectorELNS0_4arch9wavefront6targetE1EEEvT1_.has_indirect_call, 0
	.section	.AMDGPU.csdata,"",@progbits
; Kernel info:
; codeLenInByte = 0
; TotalNumSgprs: 6
; NumVgprs: 0
; NumAgprs: 0
; TotalNumVgprs: 0
; ScratchSize: 0
; MemoryBound: 0
; FloatMode: 240
; IeeeMode: 1
; LDSByteSize: 0 bytes/workgroup (compile time only)
; SGPRBlocks: 0
; VGPRBlocks: 0
; NumSGPRsForWavesPerEU: 6
; NumVGPRsForWavesPerEU: 1
; AccumOffset: 4
; Occupancy: 8
; WaveLimiterHint : 0
; COMPUTE_PGM_RSRC2:SCRATCH_EN: 0
; COMPUTE_PGM_RSRC2:USER_SGPR: 2
; COMPUTE_PGM_RSRC2:TRAP_HANDLER: 0
; COMPUTE_PGM_RSRC2:TGID_X_EN: 1
; COMPUTE_PGM_RSRC2:TGID_Y_EN: 0
; COMPUTE_PGM_RSRC2:TGID_Z_EN: 0
; COMPUTE_PGM_RSRC2:TIDIG_COMP_CNT: 0
; COMPUTE_PGM_RSRC3_GFX90A:ACCUM_OFFSET: 0
; COMPUTE_PGM_RSRC3_GFX90A:TG_SPLIT: 0
	.section	.text._ZN7rocprim17ROCPRIM_400000_NS6detail17trampoline_kernelINS0_14default_configENS1_25partition_config_selectorILNS1_17partition_subalgoE9EllbEEZZNS1_14partition_implILS5_9ELb0ES3_jPlS8_PNS0_10empty_typeENS0_5tupleIJS8_S9_EEENSB_IJS8_SA_EEENS0_18inequality_wrapperIZN2at6native12_GLOBAL__N_124unique_dim_cuda_templateIjEESt5tupleIJNSF_6TensorESK_SK_EERKSK_lbbbEUlllE0_EEPmJS9_EEE10hipError_tPvRmT3_T4_T5_T6_T7_T9_mT8_P12ihipStream_tbDpT10_ENKUlT_T0_E_clISt17integral_constantIbLb0EES19_IbLb1EEEEDaS15_S16_EUlS15_E_NS1_11comp_targetILNS1_3genE2ELNS1_11target_archE906ELNS1_3gpuE6ELNS1_3repE0EEENS1_30default_config_static_selectorELNS0_4arch9wavefront6targetE1EEEvT1_,"axG",@progbits,_ZN7rocprim17ROCPRIM_400000_NS6detail17trampoline_kernelINS0_14default_configENS1_25partition_config_selectorILNS1_17partition_subalgoE9EllbEEZZNS1_14partition_implILS5_9ELb0ES3_jPlS8_PNS0_10empty_typeENS0_5tupleIJS8_S9_EEENSB_IJS8_SA_EEENS0_18inequality_wrapperIZN2at6native12_GLOBAL__N_124unique_dim_cuda_templateIjEESt5tupleIJNSF_6TensorESK_SK_EERKSK_lbbbEUlllE0_EEPmJS9_EEE10hipError_tPvRmT3_T4_T5_T6_T7_T9_mT8_P12ihipStream_tbDpT10_ENKUlT_T0_E_clISt17integral_constantIbLb0EES19_IbLb1EEEEDaS15_S16_EUlS15_E_NS1_11comp_targetILNS1_3genE2ELNS1_11target_archE906ELNS1_3gpuE6ELNS1_3repE0EEENS1_30default_config_static_selectorELNS0_4arch9wavefront6targetE1EEEvT1_,comdat
	.globl	_ZN7rocprim17ROCPRIM_400000_NS6detail17trampoline_kernelINS0_14default_configENS1_25partition_config_selectorILNS1_17partition_subalgoE9EllbEEZZNS1_14partition_implILS5_9ELb0ES3_jPlS8_PNS0_10empty_typeENS0_5tupleIJS8_S9_EEENSB_IJS8_SA_EEENS0_18inequality_wrapperIZN2at6native12_GLOBAL__N_124unique_dim_cuda_templateIjEESt5tupleIJNSF_6TensorESK_SK_EERKSK_lbbbEUlllE0_EEPmJS9_EEE10hipError_tPvRmT3_T4_T5_T6_T7_T9_mT8_P12ihipStream_tbDpT10_ENKUlT_T0_E_clISt17integral_constantIbLb0EES19_IbLb1EEEEDaS15_S16_EUlS15_E_NS1_11comp_targetILNS1_3genE2ELNS1_11target_archE906ELNS1_3gpuE6ELNS1_3repE0EEENS1_30default_config_static_selectorELNS0_4arch9wavefront6targetE1EEEvT1_ ; -- Begin function _ZN7rocprim17ROCPRIM_400000_NS6detail17trampoline_kernelINS0_14default_configENS1_25partition_config_selectorILNS1_17partition_subalgoE9EllbEEZZNS1_14partition_implILS5_9ELb0ES3_jPlS8_PNS0_10empty_typeENS0_5tupleIJS8_S9_EEENSB_IJS8_SA_EEENS0_18inequality_wrapperIZN2at6native12_GLOBAL__N_124unique_dim_cuda_templateIjEESt5tupleIJNSF_6TensorESK_SK_EERKSK_lbbbEUlllE0_EEPmJS9_EEE10hipError_tPvRmT3_T4_T5_T6_T7_T9_mT8_P12ihipStream_tbDpT10_ENKUlT_T0_E_clISt17integral_constantIbLb0EES19_IbLb1EEEEDaS15_S16_EUlS15_E_NS1_11comp_targetILNS1_3genE2ELNS1_11target_archE906ELNS1_3gpuE6ELNS1_3repE0EEENS1_30default_config_static_selectorELNS0_4arch9wavefront6targetE1EEEvT1_
	.p2align	8
	.type	_ZN7rocprim17ROCPRIM_400000_NS6detail17trampoline_kernelINS0_14default_configENS1_25partition_config_selectorILNS1_17partition_subalgoE9EllbEEZZNS1_14partition_implILS5_9ELb0ES3_jPlS8_PNS0_10empty_typeENS0_5tupleIJS8_S9_EEENSB_IJS8_SA_EEENS0_18inequality_wrapperIZN2at6native12_GLOBAL__N_124unique_dim_cuda_templateIjEESt5tupleIJNSF_6TensorESK_SK_EERKSK_lbbbEUlllE0_EEPmJS9_EEE10hipError_tPvRmT3_T4_T5_T6_T7_T9_mT8_P12ihipStream_tbDpT10_ENKUlT_T0_E_clISt17integral_constantIbLb0EES19_IbLb1EEEEDaS15_S16_EUlS15_E_NS1_11comp_targetILNS1_3genE2ELNS1_11target_archE906ELNS1_3gpuE6ELNS1_3repE0EEENS1_30default_config_static_selectorELNS0_4arch9wavefront6targetE1EEEvT1_,@function
_ZN7rocprim17ROCPRIM_400000_NS6detail17trampoline_kernelINS0_14default_configENS1_25partition_config_selectorILNS1_17partition_subalgoE9EllbEEZZNS1_14partition_implILS5_9ELb0ES3_jPlS8_PNS0_10empty_typeENS0_5tupleIJS8_S9_EEENSB_IJS8_SA_EEENS0_18inequality_wrapperIZN2at6native12_GLOBAL__N_124unique_dim_cuda_templateIjEESt5tupleIJNSF_6TensorESK_SK_EERKSK_lbbbEUlllE0_EEPmJS9_EEE10hipError_tPvRmT3_T4_T5_T6_T7_T9_mT8_P12ihipStream_tbDpT10_ENKUlT_T0_E_clISt17integral_constantIbLb0EES19_IbLb1EEEEDaS15_S16_EUlS15_E_NS1_11comp_targetILNS1_3genE2ELNS1_11target_archE906ELNS1_3gpuE6ELNS1_3repE0EEENS1_30default_config_static_selectorELNS0_4arch9wavefront6targetE1EEEvT1_: ; @_ZN7rocprim17ROCPRIM_400000_NS6detail17trampoline_kernelINS0_14default_configENS1_25partition_config_selectorILNS1_17partition_subalgoE9EllbEEZZNS1_14partition_implILS5_9ELb0ES3_jPlS8_PNS0_10empty_typeENS0_5tupleIJS8_S9_EEENSB_IJS8_SA_EEENS0_18inequality_wrapperIZN2at6native12_GLOBAL__N_124unique_dim_cuda_templateIjEESt5tupleIJNSF_6TensorESK_SK_EERKSK_lbbbEUlllE0_EEPmJS9_EEE10hipError_tPvRmT3_T4_T5_T6_T7_T9_mT8_P12ihipStream_tbDpT10_ENKUlT_T0_E_clISt17integral_constantIbLb0EES19_IbLb1EEEEDaS15_S16_EUlS15_E_NS1_11comp_targetILNS1_3genE2ELNS1_11target_archE906ELNS1_3gpuE6ELNS1_3repE0EEENS1_30default_config_static_selectorELNS0_4arch9wavefront6targetE1EEEvT1_
; %bb.0:
	.section	.rodata,"a",@progbits
	.p2align	6, 0x0
	.amdhsa_kernel _ZN7rocprim17ROCPRIM_400000_NS6detail17trampoline_kernelINS0_14default_configENS1_25partition_config_selectorILNS1_17partition_subalgoE9EllbEEZZNS1_14partition_implILS5_9ELb0ES3_jPlS8_PNS0_10empty_typeENS0_5tupleIJS8_S9_EEENSB_IJS8_SA_EEENS0_18inequality_wrapperIZN2at6native12_GLOBAL__N_124unique_dim_cuda_templateIjEESt5tupleIJNSF_6TensorESK_SK_EERKSK_lbbbEUlllE0_EEPmJS9_EEE10hipError_tPvRmT3_T4_T5_T6_T7_T9_mT8_P12ihipStream_tbDpT10_ENKUlT_T0_E_clISt17integral_constantIbLb0EES19_IbLb1EEEEDaS15_S16_EUlS15_E_NS1_11comp_targetILNS1_3genE2ELNS1_11target_archE906ELNS1_3gpuE6ELNS1_3repE0EEENS1_30default_config_static_selectorELNS0_4arch9wavefront6targetE1EEEvT1_
		.amdhsa_group_segment_fixed_size 0
		.amdhsa_private_segment_fixed_size 0
		.amdhsa_kernarg_size 136
		.amdhsa_user_sgpr_count 2
		.amdhsa_user_sgpr_dispatch_ptr 0
		.amdhsa_user_sgpr_queue_ptr 0
		.amdhsa_user_sgpr_kernarg_segment_ptr 1
		.amdhsa_user_sgpr_dispatch_id 0
		.amdhsa_user_sgpr_kernarg_preload_length 0
		.amdhsa_user_sgpr_kernarg_preload_offset 0
		.amdhsa_user_sgpr_private_segment_size 0
		.amdhsa_uses_dynamic_stack 0
		.amdhsa_enable_private_segment 0
		.amdhsa_system_sgpr_workgroup_id_x 1
		.amdhsa_system_sgpr_workgroup_id_y 0
		.amdhsa_system_sgpr_workgroup_id_z 0
		.amdhsa_system_sgpr_workgroup_info 0
		.amdhsa_system_vgpr_workitem_id 0
		.amdhsa_next_free_vgpr 1
		.amdhsa_next_free_sgpr 0
		.amdhsa_accum_offset 4
		.amdhsa_reserve_vcc 0
		.amdhsa_float_round_mode_32 0
		.amdhsa_float_round_mode_16_64 0
		.amdhsa_float_denorm_mode_32 3
		.amdhsa_float_denorm_mode_16_64 3
		.amdhsa_dx10_clamp 1
		.amdhsa_ieee_mode 1
		.amdhsa_fp16_overflow 0
		.amdhsa_tg_split 0
		.amdhsa_exception_fp_ieee_invalid_op 0
		.amdhsa_exception_fp_denorm_src 0
		.amdhsa_exception_fp_ieee_div_zero 0
		.amdhsa_exception_fp_ieee_overflow 0
		.amdhsa_exception_fp_ieee_underflow 0
		.amdhsa_exception_fp_ieee_inexact 0
		.amdhsa_exception_int_div_zero 0
	.end_amdhsa_kernel
	.section	.text._ZN7rocprim17ROCPRIM_400000_NS6detail17trampoline_kernelINS0_14default_configENS1_25partition_config_selectorILNS1_17partition_subalgoE9EllbEEZZNS1_14partition_implILS5_9ELb0ES3_jPlS8_PNS0_10empty_typeENS0_5tupleIJS8_S9_EEENSB_IJS8_SA_EEENS0_18inequality_wrapperIZN2at6native12_GLOBAL__N_124unique_dim_cuda_templateIjEESt5tupleIJNSF_6TensorESK_SK_EERKSK_lbbbEUlllE0_EEPmJS9_EEE10hipError_tPvRmT3_T4_T5_T6_T7_T9_mT8_P12ihipStream_tbDpT10_ENKUlT_T0_E_clISt17integral_constantIbLb0EES19_IbLb1EEEEDaS15_S16_EUlS15_E_NS1_11comp_targetILNS1_3genE2ELNS1_11target_archE906ELNS1_3gpuE6ELNS1_3repE0EEENS1_30default_config_static_selectorELNS0_4arch9wavefront6targetE1EEEvT1_,"axG",@progbits,_ZN7rocprim17ROCPRIM_400000_NS6detail17trampoline_kernelINS0_14default_configENS1_25partition_config_selectorILNS1_17partition_subalgoE9EllbEEZZNS1_14partition_implILS5_9ELb0ES3_jPlS8_PNS0_10empty_typeENS0_5tupleIJS8_S9_EEENSB_IJS8_SA_EEENS0_18inequality_wrapperIZN2at6native12_GLOBAL__N_124unique_dim_cuda_templateIjEESt5tupleIJNSF_6TensorESK_SK_EERKSK_lbbbEUlllE0_EEPmJS9_EEE10hipError_tPvRmT3_T4_T5_T6_T7_T9_mT8_P12ihipStream_tbDpT10_ENKUlT_T0_E_clISt17integral_constantIbLb0EES19_IbLb1EEEEDaS15_S16_EUlS15_E_NS1_11comp_targetILNS1_3genE2ELNS1_11target_archE906ELNS1_3gpuE6ELNS1_3repE0EEENS1_30default_config_static_selectorELNS0_4arch9wavefront6targetE1EEEvT1_,comdat
.Lfunc_end1601:
	.size	_ZN7rocprim17ROCPRIM_400000_NS6detail17trampoline_kernelINS0_14default_configENS1_25partition_config_selectorILNS1_17partition_subalgoE9EllbEEZZNS1_14partition_implILS5_9ELb0ES3_jPlS8_PNS0_10empty_typeENS0_5tupleIJS8_S9_EEENSB_IJS8_SA_EEENS0_18inequality_wrapperIZN2at6native12_GLOBAL__N_124unique_dim_cuda_templateIjEESt5tupleIJNSF_6TensorESK_SK_EERKSK_lbbbEUlllE0_EEPmJS9_EEE10hipError_tPvRmT3_T4_T5_T6_T7_T9_mT8_P12ihipStream_tbDpT10_ENKUlT_T0_E_clISt17integral_constantIbLb0EES19_IbLb1EEEEDaS15_S16_EUlS15_E_NS1_11comp_targetILNS1_3genE2ELNS1_11target_archE906ELNS1_3gpuE6ELNS1_3repE0EEENS1_30default_config_static_selectorELNS0_4arch9wavefront6targetE1EEEvT1_, .Lfunc_end1601-_ZN7rocprim17ROCPRIM_400000_NS6detail17trampoline_kernelINS0_14default_configENS1_25partition_config_selectorILNS1_17partition_subalgoE9EllbEEZZNS1_14partition_implILS5_9ELb0ES3_jPlS8_PNS0_10empty_typeENS0_5tupleIJS8_S9_EEENSB_IJS8_SA_EEENS0_18inequality_wrapperIZN2at6native12_GLOBAL__N_124unique_dim_cuda_templateIjEESt5tupleIJNSF_6TensorESK_SK_EERKSK_lbbbEUlllE0_EEPmJS9_EEE10hipError_tPvRmT3_T4_T5_T6_T7_T9_mT8_P12ihipStream_tbDpT10_ENKUlT_T0_E_clISt17integral_constantIbLb0EES19_IbLb1EEEEDaS15_S16_EUlS15_E_NS1_11comp_targetILNS1_3genE2ELNS1_11target_archE906ELNS1_3gpuE6ELNS1_3repE0EEENS1_30default_config_static_selectorELNS0_4arch9wavefront6targetE1EEEvT1_
                                        ; -- End function
	.set _ZN7rocprim17ROCPRIM_400000_NS6detail17trampoline_kernelINS0_14default_configENS1_25partition_config_selectorILNS1_17partition_subalgoE9EllbEEZZNS1_14partition_implILS5_9ELb0ES3_jPlS8_PNS0_10empty_typeENS0_5tupleIJS8_S9_EEENSB_IJS8_SA_EEENS0_18inequality_wrapperIZN2at6native12_GLOBAL__N_124unique_dim_cuda_templateIjEESt5tupleIJNSF_6TensorESK_SK_EERKSK_lbbbEUlllE0_EEPmJS9_EEE10hipError_tPvRmT3_T4_T5_T6_T7_T9_mT8_P12ihipStream_tbDpT10_ENKUlT_T0_E_clISt17integral_constantIbLb0EES19_IbLb1EEEEDaS15_S16_EUlS15_E_NS1_11comp_targetILNS1_3genE2ELNS1_11target_archE906ELNS1_3gpuE6ELNS1_3repE0EEENS1_30default_config_static_selectorELNS0_4arch9wavefront6targetE1EEEvT1_.num_vgpr, 0
	.set _ZN7rocprim17ROCPRIM_400000_NS6detail17trampoline_kernelINS0_14default_configENS1_25partition_config_selectorILNS1_17partition_subalgoE9EllbEEZZNS1_14partition_implILS5_9ELb0ES3_jPlS8_PNS0_10empty_typeENS0_5tupleIJS8_S9_EEENSB_IJS8_SA_EEENS0_18inequality_wrapperIZN2at6native12_GLOBAL__N_124unique_dim_cuda_templateIjEESt5tupleIJNSF_6TensorESK_SK_EERKSK_lbbbEUlllE0_EEPmJS9_EEE10hipError_tPvRmT3_T4_T5_T6_T7_T9_mT8_P12ihipStream_tbDpT10_ENKUlT_T0_E_clISt17integral_constantIbLb0EES19_IbLb1EEEEDaS15_S16_EUlS15_E_NS1_11comp_targetILNS1_3genE2ELNS1_11target_archE906ELNS1_3gpuE6ELNS1_3repE0EEENS1_30default_config_static_selectorELNS0_4arch9wavefront6targetE1EEEvT1_.num_agpr, 0
	.set _ZN7rocprim17ROCPRIM_400000_NS6detail17trampoline_kernelINS0_14default_configENS1_25partition_config_selectorILNS1_17partition_subalgoE9EllbEEZZNS1_14partition_implILS5_9ELb0ES3_jPlS8_PNS0_10empty_typeENS0_5tupleIJS8_S9_EEENSB_IJS8_SA_EEENS0_18inequality_wrapperIZN2at6native12_GLOBAL__N_124unique_dim_cuda_templateIjEESt5tupleIJNSF_6TensorESK_SK_EERKSK_lbbbEUlllE0_EEPmJS9_EEE10hipError_tPvRmT3_T4_T5_T6_T7_T9_mT8_P12ihipStream_tbDpT10_ENKUlT_T0_E_clISt17integral_constantIbLb0EES19_IbLb1EEEEDaS15_S16_EUlS15_E_NS1_11comp_targetILNS1_3genE2ELNS1_11target_archE906ELNS1_3gpuE6ELNS1_3repE0EEENS1_30default_config_static_selectorELNS0_4arch9wavefront6targetE1EEEvT1_.numbered_sgpr, 0
	.set _ZN7rocprim17ROCPRIM_400000_NS6detail17trampoline_kernelINS0_14default_configENS1_25partition_config_selectorILNS1_17partition_subalgoE9EllbEEZZNS1_14partition_implILS5_9ELb0ES3_jPlS8_PNS0_10empty_typeENS0_5tupleIJS8_S9_EEENSB_IJS8_SA_EEENS0_18inequality_wrapperIZN2at6native12_GLOBAL__N_124unique_dim_cuda_templateIjEESt5tupleIJNSF_6TensorESK_SK_EERKSK_lbbbEUlllE0_EEPmJS9_EEE10hipError_tPvRmT3_T4_T5_T6_T7_T9_mT8_P12ihipStream_tbDpT10_ENKUlT_T0_E_clISt17integral_constantIbLb0EES19_IbLb1EEEEDaS15_S16_EUlS15_E_NS1_11comp_targetILNS1_3genE2ELNS1_11target_archE906ELNS1_3gpuE6ELNS1_3repE0EEENS1_30default_config_static_selectorELNS0_4arch9wavefront6targetE1EEEvT1_.num_named_barrier, 0
	.set _ZN7rocprim17ROCPRIM_400000_NS6detail17trampoline_kernelINS0_14default_configENS1_25partition_config_selectorILNS1_17partition_subalgoE9EllbEEZZNS1_14partition_implILS5_9ELb0ES3_jPlS8_PNS0_10empty_typeENS0_5tupleIJS8_S9_EEENSB_IJS8_SA_EEENS0_18inequality_wrapperIZN2at6native12_GLOBAL__N_124unique_dim_cuda_templateIjEESt5tupleIJNSF_6TensorESK_SK_EERKSK_lbbbEUlllE0_EEPmJS9_EEE10hipError_tPvRmT3_T4_T5_T6_T7_T9_mT8_P12ihipStream_tbDpT10_ENKUlT_T0_E_clISt17integral_constantIbLb0EES19_IbLb1EEEEDaS15_S16_EUlS15_E_NS1_11comp_targetILNS1_3genE2ELNS1_11target_archE906ELNS1_3gpuE6ELNS1_3repE0EEENS1_30default_config_static_selectorELNS0_4arch9wavefront6targetE1EEEvT1_.private_seg_size, 0
	.set _ZN7rocprim17ROCPRIM_400000_NS6detail17trampoline_kernelINS0_14default_configENS1_25partition_config_selectorILNS1_17partition_subalgoE9EllbEEZZNS1_14partition_implILS5_9ELb0ES3_jPlS8_PNS0_10empty_typeENS0_5tupleIJS8_S9_EEENSB_IJS8_SA_EEENS0_18inequality_wrapperIZN2at6native12_GLOBAL__N_124unique_dim_cuda_templateIjEESt5tupleIJNSF_6TensorESK_SK_EERKSK_lbbbEUlllE0_EEPmJS9_EEE10hipError_tPvRmT3_T4_T5_T6_T7_T9_mT8_P12ihipStream_tbDpT10_ENKUlT_T0_E_clISt17integral_constantIbLb0EES19_IbLb1EEEEDaS15_S16_EUlS15_E_NS1_11comp_targetILNS1_3genE2ELNS1_11target_archE906ELNS1_3gpuE6ELNS1_3repE0EEENS1_30default_config_static_selectorELNS0_4arch9wavefront6targetE1EEEvT1_.uses_vcc, 0
	.set _ZN7rocprim17ROCPRIM_400000_NS6detail17trampoline_kernelINS0_14default_configENS1_25partition_config_selectorILNS1_17partition_subalgoE9EllbEEZZNS1_14partition_implILS5_9ELb0ES3_jPlS8_PNS0_10empty_typeENS0_5tupleIJS8_S9_EEENSB_IJS8_SA_EEENS0_18inequality_wrapperIZN2at6native12_GLOBAL__N_124unique_dim_cuda_templateIjEESt5tupleIJNSF_6TensorESK_SK_EERKSK_lbbbEUlllE0_EEPmJS9_EEE10hipError_tPvRmT3_T4_T5_T6_T7_T9_mT8_P12ihipStream_tbDpT10_ENKUlT_T0_E_clISt17integral_constantIbLb0EES19_IbLb1EEEEDaS15_S16_EUlS15_E_NS1_11comp_targetILNS1_3genE2ELNS1_11target_archE906ELNS1_3gpuE6ELNS1_3repE0EEENS1_30default_config_static_selectorELNS0_4arch9wavefront6targetE1EEEvT1_.uses_flat_scratch, 0
	.set _ZN7rocprim17ROCPRIM_400000_NS6detail17trampoline_kernelINS0_14default_configENS1_25partition_config_selectorILNS1_17partition_subalgoE9EllbEEZZNS1_14partition_implILS5_9ELb0ES3_jPlS8_PNS0_10empty_typeENS0_5tupleIJS8_S9_EEENSB_IJS8_SA_EEENS0_18inequality_wrapperIZN2at6native12_GLOBAL__N_124unique_dim_cuda_templateIjEESt5tupleIJNSF_6TensorESK_SK_EERKSK_lbbbEUlllE0_EEPmJS9_EEE10hipError_tPvRmT3_T4_T5_T6_T7_T9_mT8_P12ihipStream_tbDpT10_ENKUlT_T0_E_clISt17integral_constantIbLb0EES19_IbLb1EEEEDaS15_S16_EUlS15_E_NS1_11comp_targetILNS1_3genE2ELNS1_11target_archE906ELNS1_3gpuE6ELNS1_3repE0EEENS1_30default_config_static_selectorELNS0_4arch9wavefront6targetE1EEEvT1_.has_dyn_sized_stack, 0
	.set _ZN7rocprim17ROCPRIM_400000_NS6detail17trampoline_kernelINS0_14default_configENS1_25partition_config_selectorILNS1_17partition_subalgoE9EllbEEZZNS1_14partition_implILS5_9ELb0ES3_jPlS8_PNS0_10empty_typeENS0_5tupleIJS8_S9_EEENSB_IJS8_SA_EEENS0_18inequality_wrapperIZN2at6native12_GLOBAL__N_124unique_dim_cuda_templateIjEESt5tupleIJNSF_6TensorESK_SK_EERKSK_lbbbEUlllE0_EEPmJS9_EEE10hipError_tPvRmT3_T4_T5_T6_T7_T9_mT8_P12ihipStream_tbDpT10_ENKUlT_T0_E_clISt17integral_constantIbLb0EES19_IbLb1EEEEDaS15_S16_EUlS15_E_NS1_11comp_targetILNS1_3genE2ELNS1_11target_archE906ELNS1_3gpuE6ELNS1_3repE0EEENS1_30default_config_static_selectorELNS0_4arch9wavefront6targetE1EEEvT1_.has_recursion, 0
	.set _ZN7rocprim17ROCPRIM_400000_NS6detail17trampoline_kernelINS0_14default_configENS1_25partition_config_selectorILNS1_17partition_subalgoE9EllbEEZZNS1_14partition_implILS5_9ELb0ES3_jPlS8_PNS0_10empty_typeENS0_5tupleIJS8_S9_EEENSB_IJS8_SA_EEENS0_18inequality_wrapperIZN2at6native12_GLOBAL__N_124unique_dim_cuda_templateIjEESt5tupleIJNSF_6TensorESK_SK_EERKSK_lbbbEUlllE0_EEPmJS9_EEE10hipError_tPvRmT3_T4_T5_T6_T7_T9_mT8_P12ihipStream_tbDpT10_ENKUlT_T0_E_clISt17integral_constantIbLb0EES19_IbLb1EEEEDaS15_S16_EUlS15_E_NS1_11comp_targetILNS1_3genE2ELNS1_11target_archE906ELNS1_3gpuE6ELNS1_3repE0EEENS1_30default_config_static_selectorELNS0_4arch9wavefront6targetE1EEEvT1_.has_indirect_call, 0
	.section	.AMDGPU.csdata,"",@progbits
; Kernel info:
; codeLenInByte = 0
; TotalNumSgprs: 6
; NumVgprs: 0
; NumAgprs: 0
; TotalNumVgprs: 0
; ScratchSize: 0
; MemoryBound: 0
; FloatMode: 240
; IeeeMode: 1
; LDSByteSize: 0 bytes/workgroup (compile time only)
; SGPRBlocks: 0
; VGPRBlocks: 0
; NumSGPRsForWavesPerEU: 6
; NumVGPRsForWavesPerEU: 1
; AccumOffset: 4
; Occupancy: 8
; WaveLimiterHint : 0
; COMPUTE_PGM_RSRC2:SCRATCH_EN: 0
; COMPUTE_PGM_RSRC2:USER_SGPR: 2
; COMPUTE_PGM_RSRC2:TRAP_HANDLER: 0
; COMPUTE_PGM_RSRC2:TGID_X_EN: 1
; COMPUTE_PGM_RSRC2:TGID_Y_EN: 0
; COMPUTE_PGM_RSRC2:TGID_Z_EN: 0
; COMPUTE_PGM_RSRC2:TIDIG_COMP_CNT: 0
; COMPUTE_PGM_RSRC3_GFX90A:ACCUM_OFFSET: 0
; COMPUTE_PGM_RSRC3_GFX90A:TG_SPLIT: 0
	.section	.text._ZN7rocprim17ROCPRIM_400000_NS6detail17trampoline_kernelINS0_14default_configENS1_25partition_config_selectorILNS1_17partition_subalgoE9EllbEEZZNS1_14partition_implILS5_9ELb0ES3_jPlS8_PNS0_10empty_typeENS0_5tupleIJS8_S9_EEENSB_IJS8_SA_EEENS0_18inequality_wrapperIZN2at6native12_GLOBAL__N_124unique_dim_cuda_templateIjEESt5tupleIJNSF_6TensorESK_SK_EERKSK_lbbbEUlllE0_EEPmJS9_EEE10hipError_tPvRmT3_T4_T5_T6_T7_T9_mT8_P12ihipStream_tbDpT10_ENKUlT_T0_E_clISt17integral_constantIbLb0EES19_IbLb1EEEEDaS15_S16_EUlS15_E_NS1_11comp_targetILNS1_3genE10ELNS1_11target_archE1200ELNS1_3gpuE4ELNS1_3repE0EEENS1_30default_config_static_selectorELNS0_4arch9wavefront6targetE1EEEvT1_,"axG",@progbits,_ZN7rocprim17ROCPRIM_400000_NS6detail17trampoline_kernelINS0_14default_configENS1_25partition_config_selectorILNS1_17partition_subalgoE9EllbEEZZNS1_14partition_implILS5_9ELb0ES3_jPlS8_PNS0_10empty_typeENS0_5tupleIJS8_S9_EEENSB_IJS8_SA_EEENS0_18inequality_wrapperIZN2at6native12_GLOBAL__N_124unique_dim_cuda_templateIjEESt5tupleIJNSF_6TensorESK_SK_EERKSK_lbbbEUlllE0_EEPmJS9_EEE10hipError_tPvRmT3_T4_T5_T6_T7_T9_mT8_P12ihipStream_tbDpT10_ENKUlT_T0_E_clISt17integral_constantIbLb0EES19_IbLb1EEEEDaS15_S16_EUlS15_E_NS1_11comp_targetILNS1_3genE10ELNS1_11target_archE1200ELNS1_3gpuE4ELNS1_3repE0EEENS1_30default_config_static_selectorELNS0_4arch9wavefront6targetE1EEEvT1_,comdat
	.globl	_ZN7rocprim17ROCPRIM_400000_NS6detail17trampoline_kernelINS0_14default_configENS1_25partition_config_selectorILNS1_17partition_subalgoE9EllbEEZZNS1_14partition_implILS5_9ELb0ES3_jPlS8_PNS0_10empty_typeENS0_5tupleIJS8_S9_EEENSB_IJS8_SA_EEENS0_18inequality_wrapperIZN2at6native12_GLOBAL__N_124unique_dim_cuda_templateIjEESt5tupleIJNSF_6TensorESK_SK_EERKSK_lbbbEUlllE0_EEPmJS9_EEE10hipError_tPvRmT3_T4_T5_T6_T7_T9_mT8_P12ihipStream_tbDpT10_ENKUlT_T0_E_clISt17integral_constantIbLb0EES19_IbLb1EEEEDaS15_S16_EUlS15_E_NS1_11comp_targetILNS1_3genE10ELNS1_11target_archE1200ELNS1_3gpuE4ELNS1_3repE0EEENS1_30default_config_static_selectorELNS0_4arch9wavefront6targetE1EEEvT1_ ; -- Begin function _ZN7rocprim17ROCPRIM_400000_NS6detail17trampoline_kernelINS0_14default_configENS1_25partition_config_selectorILNS1_17partition_subalgoE9EllbEEZZNS1_14partition_implILS5_9ELb0ES3_jPlS8_PNS0_10empty_typeENS0_5tupleIJS8_S9_EEENSB_IJS8_SA_EEENS0_18inequality_wrapperIZN2at6native12_GLOBAL__N_124unique_dim_cuda_templateIjEESt5tupleIJNSF_6TensorESK_SK_EERKSK_lbbbEUlllE0_EEPmJS9_EEE10hipError_tPvRmT3_T4_T5_T6_T7_T9_mT8_P12ihipStream_tbDpT10_ENKUlT_T0_E_clISt17integral_constantIbLb0EES19_IbLb1EEEEDaS15_S16_EUlS15_E_NS1_11comp_targetILNS1_3genE10ELNS1_11target_archE1200ELNS1_3gpuE4ELNS1_3repE0EEENS1_30default_config_static_selectorELNS0_4arch9wavefront6targetE1EEEvT1_
	.p2align	8
	.type	_ZN7rocprim17ROCPRIM_400000_NS6detail17trampoline_kernelINS0_14default_configENS1_25partition_config_selectorILNS1_17partition_subalgoE9EllbEEZZNS1_14partition_implILS5_9ELb0ES3_jPlS8_PNS0_10empty_typeENS0_5tupleIJS8_S9_EEENSB_IJS8_SA_EEENS0_18inequality_wrapperIZN2at6native12_GLOBAL__N_124unique_dim_cuda_templateIjEESt5tupleIJNSF_6TensorESK_SK_EERKSK_lbbbEUlllE0_EEPmJS9_EEE10hipError_tPvRmT3_T4_T5_T6_T7_T9_mT8_P12ihipStream_tbDpT10_ENKUlT_T0_E_clISt17integral_constantIbLb0EES19_IbLb1EEEEDaS15_S16_EUlS15_E_NS1_11comp_targetILNS1_3genE10ELNS1_11target_archE1200ELNS1_3gpuE4ELNS1_3repE0EEENS1_30default_config_static_selectorELNS0_4arch9wavefront6targetE1EEEvT1_,@function
_ZN7rocprim17ROCPRIM_400000_NS6detail17trampoline_kernelINS0_14default_configENS1_25partition_config_selectorILNS1_17partition_subalgoE9EllbEEZZNS1_14partition_implILS5_9ELb0ES3_jPlS8_PNS0_10empty_typeENS0_5tupleIJS8_S9_EEENSB_IJS8_SA_EEENS0_18inequality_wrapperIZN2at6native12_GLOBAL__N_124unique_dim_cuda_templateIjEESt5tupleIJNSF_6TensorESK_SK_EERKSK_lbbbEUlllE0_EEPmJS9_EEE10hipError_tPvRmT3_T4_T5_T6_T7_T9_mT8_P12ihipStream_tbDpT10_ENKUlT_T0_E_clISt17integral_constantIbLb0EES19_IbLb1EEEEDaS15_S16_EUlS15_E_NS1_11comp_targetILNS1_3genE10ELNS1_11target_archE1200ELNS1_3gpuE4ELNS1_3repE0EEENS1_30default_config_static_selectorELNS0_4arch9wavefront6targetE1EEEvT1_: ; @_ZN7rocprim17ROCPRIM_400000_NS6detail17trampoline_kernelINS0_14default_configENS1_25partition_config_selectorILNS1_17partition_subalgoE9EllbEEZZNS1_14partition_implILS5_9ELb0ES3_jPlS8_PNS0_10empty_typeENS0_5tupleIJS8_S9_EEENSB_IJS8_SA_EEENS0_18inequality_wrapperIZN2at6native12_GLOBAL__N_124unique_dim_cuda_templateIjEESt5tupleIJNSF_6TensorESK_SK_EERKSK_lbbbEUlllE0_EEPmJS9_EEE10hipError_tPvRmT3_T4_T5_T6_T7_T9_mT8_P12ihipStream_tbDpT10_ENKUlT_T0_E_clISt17integral_constantIbLb0EES19_IbLb1EEEEDaS15_S16_EUlS15_E_NS1_11comp_targetILNS1_3genE10ELNS1_11target_archE1200ELNS1_3gpuE4ELNS1_3repE0EEENS1_30default_config_static_selectorELNS0_4arch9wavefront6targetE1EEEvT1_
; %bb.0:
	.section	.rodata,"a",@progbits
	.p2align	6, 0x0
	.amdhsa_kernel _ZN7rocprim17ROCPRIM_400000_NS6detail17trampoline_kernelINS0_14default_configENS1_25partition_config_selectorILNS1_17partition_subalgoE9EllbEEZZNS1_14partition_implILS5_9ELb0ES3_jPlS8_PNS0_10empty_typeENS0_5tupleIJS8_S9_EEENSB_IJS8_SA_EEENS0_18inequality_wrapperIZN2at6native12_GLOBAL__N_124unique_dim_cuda_templateIjEESt5tupleIJNSF_6TensorESK_SK_EERKSK_lbbbEUlllE0_EEPmJS9_EEE10hipError_tPvRmT3_T4_T5_T6_T7_T9_mT8_P12ihipStream_tbDpT10_ENKUlT_T0_E_clISt17integral_constantIbLb0EES19_IbLb1EEEEDaS15_S16_EUlS15_E_NS1_11comp_targetILNS1_3genE10ELNS1_11target_archE1200ELNS1_3gpuE4ELNS1_3repE0EEENS1_30default_config_static_selectorELNS0_4arch9wavefront6targetE1EEEvT1_
		.amdhsa_group_segment_fixed_size 0
		.amdhsa_private_segment_fixed_size 0
		.amdhsa_kernarg_size 136
		.amdhsa_user_sgpr_count 2
		.amdhsa_user_sgpr_dispatch_ptr 0
		.amdhsa_user_sgpr_queue_ptr 0
		.amdhsa_user_sgpr_kernarg_segment_ptr 1
		.amdhsa_user_sgpr_dispatch_id 0
		.amdhsa_user_sgpr_kernarg_preload_length 0
		.amdhsa_user_sgpr_kernarg_preload_offset 0
		.amdhsa_user_sgpr_private_segment_size 0
		.amdhsa_uses_dynamic_stack 0
		.amdhsa_enable_private_segment 0
		.amdhsa_system_sgpr_workgroup_id_x 1
		.amdhsa_system_sgpr_workgroup_id_y 0
		.amdhsa_system_sgpr_workgroup_id_z 0
		.amdhsa_system_sgpr_workgroup_info 0
		.amdhsa_system_vgpr_workitem_id 0
		.amdhsa_next_free_vgpr 1
		.amdhsa_next_free_sgpr 0
		.amdhsa_accum_offset 4
		.amdhsa_reserve_vcc 0
		.amdhsa_float_round_mode_32 0
		.amdhsa_float_round_mode_16_64 0
		.amdhsa_float_denorm_mode_32 3
		.amdhsa_float_denorm_mode_16_64 3
		.amdhsa_dx10_clamp 1
		.amdhsa_ieee_mode 1
		.amdhsa_fp16_overflow 0
		.amdhsa_tg_split 0
		.amdhsa_exception_fp_ieee_invalid_op 0
		.amdhsa_exception_fp_denorm_src 0
		.amdhsa_exception_fp_ieee_div_zero 0
		.amdhsa_exception_fp_ieee_overflow 0
		.amdhsa_exception_fp_ieee_underflow 0
		.amdhsa_exception_fp_ieee_inexact 0
		.amdhsa_exception_int_div_zero 0
	.end_amdhsa_kernel
	.section	.text._ZN7rocprim17ROCPRIM_400000_NS6detail17trampoline_kernelINS0_14default_configENS1_25partition_config_selectorILNS1_17partition_subalgoE9EllbEEZZNS1_14partition_implILS5_9ELb0ES3_jPlS8_PNS0_10empty_typeENS0_5tupleIJS8_S9_EEENSB_IJS8_SA_EEENS0_18inequality_wrapperIZN2at6native12_GLOBAL__N_124unique_dim_cuda_templateIjEESt5tupleIJNSF_6TensorESK_SK_EERKSK_lbbbEUlllE0_EEPmJS9_EEE10hipError_tPvRmT3_T4_T5_T6_T7_T9_mT8_P12ihipStream_tbDpT10_ENKUlT_T0_E_clISt17integral_constantIbLb0EES19_IbLb1EEEEDaS15_S16_EUlS15_E_NS1_11comp_targetILNS1_3genE10ELNS1_11target_archE1200ELNS1_3gpuE4ELNS1_3repE0EEENS1_30default_config_static_selectorELNS0_4arch9wavefront6targetE1EEEvT1_,"axG",@progbits,_ZN7rocprim17ROCPRIM_400000_NS6detail17trampoline_kernelINS0_14default_configENS1_25partition_config_selectorILNS1_17partition_subalgoE9EllbEEZZNS1_14partition_implILS5_9ELb0ES3_jPlS8_PNS0_10empty_typeENS0_5tupleIJS8_S9_EEENSB_IJS8_SA_EEENS0_18inequality_wrapperIZN2at6native12_GLOBAL__N_124unique_dim_cuda_templateIjEESt5tupleIJNSF_6TensorESK_SK_EERKSK_lbbbEUlllE0_EEPmJS9_EEE10hipError_tPvRmT3_T4_T5_T6_T7_T9_mT8_P12ihipStream_tbDpT10_ENKUlT_T0_E_clISt17integral_constantIbLb0EES19_IbLb1EEEEDaS15_S16_EUlS15_E_NS1_11comp_targetILNS1_3genE10ELNS1_11target_archE1200ELNS1_3gpuE4ELNS1_3repE0EEENS1_30default_config_static_selectorELNS0_4arch9wavefront6targetE1EEEvT1_,comdat
.Lfunc_end1602:
	.size	_ZN7rocprim17ROCPRIM_400000_NS6detail17trampoline_kernelINS0_14default_configENS1_25partition_config_selectorILNS1_17partition_subalgoE9EllbEEZZNS1_14partition_implILS5_9ELb0ES3_jPlS8_PNS0_10empty_typeENS0_5tupleIJS8_S9_EEENSB_IJS8_SA_EEENS0_18inequality_wrapperIZN2at6native12_GLOBAL__N_124unique_dim_cuda_templateIjEESt5tupleIJNSF_6TensorESK_SK_EERKSK_lbbbEUlllE0_EEPmJS9_EEE10hipError_tPvRmT3_T4_T5_T6_T7_T9_mT8_P12ihipStream_tbDpT10_ENKUlT_T0_E_clISt17integral_constantIbLb0EES19_IbLb1EEEEDaS15_S16_EUlS15_E_NS1_11comp_targetILNS1_3genE10ELNS1_11target_archE1200ELNS1_3gpuE4ELNS1_3repE0EEENS1_30default_config_static_selectorELNS0_4arch9wavefront6targetE1EEEvT1_, .Lfunc_end1602-_ZN7rocprim17ROCPRIM_400000_NS6detail17trampoline_kernelINS0_14default_configENS1_25partition_config_selectorILNS1_17partition_subalgoE9EllbEEZZNS1_14partition_implILS5_9ELb0ES3_jPlS8_PNS0_10empty_typeENS0_5tupleIJS8_S9_EEENSB_IJS8_SA_EEENS0_18inequality_wrapperIZN2at6native12_GLOBAL__N_124unique_dim_cuda_templateIjEESt5tupleIJNSF_6TensorESK_SK_EERKSK_lbbbEUlllE0_EEPmJS9_EEE10hipError_tPvRmT3_T4_T5_T6_T7_T9_mT8_P12ihipStream_tbDpT10_ENKUlT_T0_E_clISt17integral_constantIbLb0EES19_IbLb1EEEEDaS15_S16_EUlS15_E_NS1_11comp_targetILNS1_3genE10ELNS1_11target_archE1200ELNS1_3gpuE4ELNS1_3repE0EEENS1_30default_config_static_selectorELNS0_4arch9wavefront6targetE1EEEvT1_
                                        ; -- End function
	.set _ZN7rocprim17ROCPRIM_400000_NS6detail17trampoline_kernelINS0_14default_configENS1_25partition_config_selectorILNS1_17partition_subalgoE9EllbEEZZNS1_14partition_implILS5_9ELb0ES3_jPlS8_PNS0_10empty_typeENS0_5tupleIJS8_S9_EEENSB_IJS8_SA_EEENS0_18inequality_wrapperIZN2at6native12_GLOBAL__N_124unique_dim_cuda_templateIjEESt5tupleIJNSF_6TensorESK_SK_EERKSK_lbbbEUlllE0_EEPmJS9_EEE10hipError_tPvRmT3_T4_T5_T6_T7_T9_mT8_P12ihipStream_tbDpT10_ENKUlT_T0_E_clISt17integral_constantIbLb0EES19_IbLb1EEEEDaS15_S16_EUlS15_E_NS1_11comp_targetILNS1_3genE10ELNS1_11target_archE1200ELNS1_3gpuE4ELNS1_3repE0EEENS1_30default_config_static_selectorELNS0_4arch9wavefront6targetE1EEEvT1_.num_vgpr, 0
	.set _ZN7rocprim17ROCPRIM_400000_NS6detail17trampoline_kernelINS0_14default_configENS1_25partition_config_selectorILNS1_17partition_subalgoE9EllbEEZZNS1_14partition_implILS5_9ELb0ES3_jPlS8_PNS0_10empty_typeENS0_5tupleIJS8_S9_EEENSB_IJS8_SA_EEENS0_18inequality_wrapperIZN2at6native12_GLOBAL__N_124unique_dim_cuda_templateIjEESt5tupleIJNSF_6TensorESK_SK_EERKSK_lbbbEUlllE0_EEPmJS9_EEE10hipError_tPvRmT3_T4_T5_T6_T7_T9_mT8_P12ihipStream_tbDpT10_ENKUlT_T0_E_clISt17integral_constantIbLb0EES19_IbLb1EEEEDaS15_S16_EUlS15_E_NS1_11comp_targetILNS1_3genE10ELNS1_11target_archE1200ELNS1_3gpuE4ELNS1_3repE0EEENS1_30default_config_static_selectorELNS0_4arch9wavefront6targetE1EEEvT1_.num_agpr, 0
	.set _ZN7rocprim17ROCPRIM_400000_NS6detail17trampoline_kernelINS0_14default_configENS1_25partition_config_selectorILNS1_17partition_subalgoE9EllbEEZZNS1_14partition_implILS5_9ELb0ES3_jPlS8_PNS0_10empty_typeENS0_5tupleIJS8_S9_EEENSB_IJS8_SA_EEENS0_18inequality_wrapperIZN2at6native12_GLOBAL__N_124unique_dim_cuda_templateIjEESt5tupleIJNSF_6TensorESK_SK_EERKSK_lbbbEUlllE0_EEPmJS9_EEE10hipError_tPvRmT3_T4_T5_T6_T7_T9_mT8_P12ihipStream_tbDpT10_ENKUlT_T0_E_clISt17integral_constantIbLb0EES19_IbLb1EEEEDaS15_S16_EUlS15_E_NS1_11comp_targetILNS1_3genE10ELNS1_11target_archE1200ELNS1_3gpuE4ELNS1_3repE0EEENS1_30default_config_static_selectorELNS0_4arch9wavefront6targetE1EEEvT1_.numbered_sgpr, 0
	.set _ZN7rocprim17ROCPRIM_400000_NS6detail17trampoline_kernelINS0_14default_configENS1_25partition_config_selectorILNS1_17partition_subalgoE9EllbEEZZNS1_14partition_implILS5_9ELb0ES3_jPlS8_PNS0_10empty_typeENS0_5tupleIJS8_S9_EEENSB_IJS8_SA_EEENS0_18inequality_wrapperIZN2at6native12_GLOBAL__N_124unique_dim_cuda_templateIjEESt5tupleIJNSF_6TensorESK_SK_EERKSK_lbbbEUlllE0_EEPmJS9_EEE10hipError_tPvRmT3_T4_T5_T6_T7_T9_mT8_P12ihipStream_tbDpT10_ENKUlT_T0_E_clISt17integral_constantIbLb0EES19_IbLb1EEEEDaS15_S16_EUlS15_E_NS1_11comp_targetILNS1_3genE10ELNS1_11target_archE1200ELNS1_3gpuE4ELNS1_3repE0EEENS1_30default_config_static_selectorELNS0_4arch9wavefront6targetE1EEEvT1_.num_named_barrier, 0
	.set _ZN7rocprim17ROCPRIM_400000_NS6detail17trampoline_kernelINS0_14default_configENS1_25partition_config_selectorILNS1_17partition_subalgoE9EllbEEZZNS1_14partition_implILS5_9ELb0ES3_jPlS8_PNS0_10empty_typeENS0_5tupleIJS8_S9_EEENSB_IJS8_SA_EEENS0_18inequality_wrapperIZN2at6native12_GLOBAL__N_124unique_dim_cuda_templateIjEESt5tupleIJNSF_6TensorESK_SK_EERKSK_lbbbEUlllE0_EEPmJS9_EEE10hipError_tPvRmT3_T4_T5_T6_T7_T9_mT8_P12ihipStream_tbDpT10_ENKUlT_T0_E_clISt17integral_constantIbLb0EES19_IbLb1EEEEDaS15_S16_EUlS15_E_NS1_11comp_targetILNS1_3genE10ELNS1_11target_archE1200ELNS1_3gpuE4ELNS1_3repE0EEENS1_30default_config_static_selectorELNS0_4arch9wavefront6targetE1EEEvT1_.private_seg_size, 0
	.set _ZN7rocprim17ROCPRIM_400000_NS6detail17trampoline_kernelINS0_14default_configENS1_25partition_config_selectorILNS1_17partition_subalgoE9EllbEEZZNS1_14partition_implILS5_9ELb0ES3_jPlS8_PNS0_10empty_typeENS0_5tupleIJS8_S9_EEENSB_IJS8_SA_EEENS0_18inequality_wrapperIZN2at6native12_GLOBAL__N_124unique_dim_cuda_templateIjEESt5tupleIJNSF_6TensorESK_SK_EERKSK_lbbbEUlllE0_EEPmJS9_EEE10hipError_tPvRmT3_T4_T5_T6_T7_T9_mT8_P12ihipStream_tbDpT10_ENKUlT_T0_E_clISt17integral_constantIbLb0EES19_IbLb1EEEEDaS15_S16_EUlS15_E_NS1_11comp_targetILNS1_3genE10ELNS1_11target_archE1200ELNS1_3gpuE4ELNS1_3repE0EEENS1_30default_config_static_selectorELNS0_4arch9wavefront6targetE1EEEvT1_.uses_vcc, 0
	.set _ZN7rocprim17ROCPRIM_400000_NS6detail17trampoline_kernelINS0_14default_configENS1_25partition_config_selectorILNS1_17partition_subalgoE9EllbEEZZNS1_14partition_implILS5_9ELb0ES3_jPlS8_PNS0_10empty_typeENS0_5tupleIJS8_S9_EEENSB_IJS8_SA_EEENS0_18inequality_wrapperIZN2at6native12_GLOBAL__N_124unique_dim_cuda_templateIjEESt5tupleIJNSF_6TensorESK_SK_EERKSK_lbbbEUlllE0_EEPmJS9_EEE10hipError_tPvRmT3_T4_T5_T6_T7_T9_mT8_P12ihipStream_tbDpT10_ENKUlT_T0_E_clISt17integral_constantIbLb0EES19_IbLb1EEEEDaS15_S16_EUlS15_E_NS1_11comp_targetILNS1_3genE10ELNS1_11target_archE1200ELNS1_3gpuE4ELNS1_3repE0EEENS1_30default_config_static_selectorELNS0_4arch9wavefront6targetE1EEEvT1_.uses_flat_scratch, 0
	.set _ZN7rocprim17ROCPRIM_400000_NS6detail17trampoline_kernelINS0_14default_configENS1_25partition_config_selectorILNS1_17partition_subalgoE9EllbEEZZNS1_14partition_implILS5_9ELb0ES3_jPlS8_PNS0_10empty_typeENS0_5tupleIJS8_S9_EEENSB_IJS8_SA_EEENS0_18inequality_wrapperIZN2at6native12_GLOBAL__N_124unique_dim_cuda_templateIjEESt5tupleIJNSF_6TensorESK_SK_EERKSK_lbbbEUlllE0_EEPmJS9_EEE10hipError_tPvRmT3_T4_T5_T6_T7_T9_mT8_P12ihipStream_tbDpT10_ENKUlT_T0_E_clISt17integral_constantIbLb0EES19_IbLb1EEEEDaS15_S16_EUlS15_E_NS1_11comp_targetILNS1_3genE10ELNS1_11target_archE1200ELNS1_3gpuE4ELNS1_3repE0EEENS1_30default_config_static_selectorELNS0_4arch9wavefront6targetE1EEEvT1_.has_dyn_sized_stack, 0
	.set _ZN7rocprim17ROCPRIM_400000_NS6detail17trampoline_kernelINS0_14default_configENS1_25partition_config_selectorILNS1_17partition_subalgoE9EllbEEZZNS1_14partition_implILS5_9ELb0ES3_jPlS8_PNS0_10empty_typeENS0_5tupleIJS8_S9_EEENSB_IJS8_SA_EEENS0_18inequality_wrapperIZN2at6native12_GLOBAL__N_124unique_dim_cuda_templateIjEESt5tupleIJNSF_6TensorESK_SK_EERKSK_lbbbEUlllE0_EEPmJS9_EEE10hipError_tPvRmT3_T4_T5_T6_T7_T9_mT8_P12ihipStream_tbDpT10_ENKUlT_T0_E_clISt17integral_constantIbLb0EES19_IbLb1EEEEDaS15_S16_EUlS15_E_NS1_11comp_targetILNS1_3genE10ELNS1_11target_archE1200ELNS1_3gpuE4ELNS1_3repE0EEENS1_30default_config_static_selectorELNS0_4arch9wavefront6targetE1EEEvT1_.has_recursion, 0
	.set _ZN7rocprim17ROCPRIM_400000_NS6detail17trampoline_kernelINS0_14default_configENS1_25partition_config_selectorILNS1_17partition_subalgoE9EllbEEZZNS1_14partition_implILS5_9ELb0ES3_jPlS8_PNS0_10empty_typeENS0_5tupleIJS8_S9_EEENSB_IJS8_SA_EEENS0_18inequality_wrapperIZN2at6native12_GLOBAL__N_124unique_dim_cuda_templateIjEESt5tupleIJNSF_6TensorESK_SK_EERKSK_lbbbEUlllE0_EEPmJS9_EEE10hipError_tPvRmT3_T4_T5_T6_T7_T9_mT8_P12ihipStream_tbDpT10_ENKUlT_T0_E_clISt17integral_constantIbLb0EES19_IbLb1EEEEDaS15_S16_EUlS15_E_NS1_11comp_targetILNS1_3genE10ELNS1_11target_archE1200ELNS1_3gpuE4ELNS1_3repE0EEENS1_30default_config_static_selectorELNS0_4arch9wavefront6targetE1EEEvT1_.has_indirect_call, 0
	.section	.AMDGPU.csdata,"",@progbits
; Kernel info:
; codeLenInByte = 0
; TotalNumSgprs: 6
; NumVgprs: 0
; NumAgprs: 0
; TotalNumVgprs: 0
; ScratchSize: 0
; MemoryBound: 0
; FloatMode: 240
; IeeeMode: 1
; LDSByteSize: 0 bytes/workgroup (compile time only)
; SGPRBlocks: 0
; VGPRBlocks: 0
; NumSGPRsForWavesPerEU: 6
; NumVGPRsForWavesPerEU: 1
; AccumOffset: 4
; Occupancy: 8
; WaveLimiterHint : 0
; COMPUTE_PGM_RSRC2:SCRATCH_EN: 0
; COMPUTE_PGM_RSRC2:USER_SGPR: 2
; COMPUTE_PGM_RSRC2:TRAP_HANDLER: 0
; COMPUTE_PGM_RSRC2:TGID_X_EN: 1
; COMPUTE_PGM_RSRC2:TGID_Y_EN: 0
; COMPUTE_PGM_RSRC2:TGID_Z_EN: 0
; COMPUTE_PGM_RSRC2:TIDIG_COMP_CNT: 0
; COMPUTE_PGM_RSRC3_GFX90A:ACCUM_OFFSET: 0
; COMPUTE_PGM_RSRC3_GFX90A:TG_SPLIT: 0
	.section	.text._ZN7rocprim17ROCPRIM_400000_NS6detail17trampoline_kernelINS0_14default_configENS1_25partition_config_selectorILNS1_17partition_subalgoE9EllbEEZZNS1_14partition_implILS5_9ELb0ES3_jPlS8_PNS0_10empty_typeENS0_5tupleIJS8_S9_EEENSB_IJS8_SA_EEENS0_18inequality_wrapperIZN2at6native12_GLOBAL__N_124unique_dim_cuda_templateIjEESt5tupleIJNSF_6TensorESK_SK_EERKSK_lbbbEUlllE0_EEPmJS9_EEE10hipError_tPvRmT3_T4_T5_T6_T7_T9_mT8_P12ihipStream_tbDpT10_ENKUlT_T0_E_clISt17integral_constantIbLb0EES19_IbLb1EEEEDaS15_S16_EUlS15_E_NS1_11comp_targetILNS1_3genE9ELNS1_11target_archE1100ELNS1_3gpuE3ELNS1_3repE0EEENS1_30default_config_static_selectorELNS0_4arch9wavefront6targetE1EEEvT1_,"axG",@progbits,_ZN7rocprim17ROCPRIM_400000_NS6detail17trampoline_kernelINS0_14default_configENS1_25partition_config_selectorILNS1_17partition_subalgoE9EllbEEZZNS1_14partition_implILS5_9ELb0ES3_jPlS8_PNS0_10empty_typeENS0_5tupleIJS8_S9_EEENSB_IJS8_SA_EEENS0_18inequality_wrapperIZN2at6native12_GLOBAL__N_124unique_dim_cuda_templateIjEESt5tupleIJNSF_6TensorESK_SK_EERKSK_lbbbEUlllE0_EEPmJS9_EEE10hipError_tPvRmT3_T4_T5_T6_T7_T9_mT8_P12ihipStream_tbDpT10_ENKUlT_T0_E_clISt17integral_constantIbLb0EES19_IbLb1EEEEDaS15_S16_EUlS15_E_NS1_11comp_targetILNS1_3genE9ELNS1_11target_archE1100ELNS1_3gpuE3ELNS1_3repE0EEENS1_30default_config_static_selectorELNS0_4arch9wavefront6targetE1EEEvT1_,comdat
	.globl	_ZN7rocprim17ROCPRIM_400000_NS6detail17trampoline_kernelINS0_14default_configENS1_25partition_config_selectorILNS1_17partition_subalgoE9EllbEEZZNS1_14partition_implILS5_9ELb0ES3_jPlS8_PNS0_10empty_typeENS0_5tupleIJS8_S9_EEENSB_IJS8_SA_EEENS0_18inequality_wrapperIZN2at6native12_GLOBAL__N_124unique_dim_cuda_templateIjEESt5tupleIJNSF_6TensorESK_SK_EERKSK_lbbbEUlllE0_EEPmJS9_EEE10hipError_tPvRmT3_T4_T5_T6_T7_T9_mT8_P12ihipStream_tbDpT10_ENKUlT_T0_E_clISt17integral_constantIbLb0EES19_IbLb1EEEEDaS15_S16_EUlS15_E_NS1_11comp_targetILNS1_3genE9ELNS1_11target_archE1100ELNS1_3gpuE3ELNS1_3repE0EEENS1_30default_config_static_selectorELNS0_4arch9wavefront6targetE1EEEvT1_ ; -- Begin function _ZN7rocprim17ROCPRIM_400000_NS6detail17trampoline_kernelINS0_14default_configENS1_25partition_config_selectorILNS1_17partition_subalgoE9EllbEEZZNS1_14partition_implILS5_9ELb0ES3_jPlS8_PNS0_10empty_typeENS0_5tupleIJS8_S9_EEENSB_IJS8_SA_EEENS0_18inequality_wrapperIZN2at6native12_GLOBAL__N_124unique_dim_cuda_templateIjEESt5tupleIJNSF_6TensorESK_SK_EERKSK_lbbbEUlllE0_EEPmJS9_EEE10hipError_tPvRmT3_T4_T5_T6_T7_T9_mT8_P12ihipStream_tbDpT10_ENKUlT_T0_E_clISt17integral_constantIbLb0EES19_IbLb1EEEEDaS15_S16_EUlS15_E_NS1_11comp_targetILNS1_3genE9ELNS1_11target_archE1100ELNS1_3gpuE3ELNS1_3repE0EEENS1_30default_config_static_selectorELNS0_4arch9wavefront6targetE1EEEvT1_
	.p2align	8
	.type	_ZN7rocprim17ROCPRIM_400000_NS6detail17trampoline_kernelINS0_14default_configENS1_25partition_config_selectorILNS1_17partition_subalgoE9EllbEEZZNS1_14partition_implILS5_9ELb0ES3_jPlS8_PNS0_10empty_typeENS0_5tupleIJS8_S9_EEENSB_IJS8_SA_EEENS0_18inequality_wrapperIZN2at6native12_GLOBAL__N_124unique_dim_cuda_templateIjEESt5tupleIJNSF_6TensorESK_SK_EERKSK_lbbbEUlllE0_EEPmJS9_EEE10hipError_tPvRmT3_T4_T5_T6_T7_T9_mT8_P12ihipStream_tbDpT10_ENKUlT_T0_E_clISt17integral_constantIbLb0EES19_IbLb1EEEEDaS15_S16_EUlS15_E_NS1_11comp_targetILNS1_3genE9ELNS1_11target_archE1100ELNS1_3gpuE3ELNS1_3repE0EEENS1_30default_config_static_selectorELNS0_4arch9wavefront6targetE1EEEvT1_,@function
_ZN7rocprim17ROCPRIM_400000_NS6detail17trampoline_kernelINS0_14default_configENS1_25partition_config_selectorILNS1_17partition_subalgoE9EllbEEZZNS1_14partition_implILS5_9ELb0ES3_jPlS8_PNS0_10empty_typeENS0_5tupleIJS8_S9_EEENSB_IJS8_SA_EEENS0_18inequality_wrapperIZN2at6native12_GLOBAL__N_124unique_dim_cuda_templateIjEESt5tupleIJNSF_6TensorESK_SK_EERKSK_lbbbEUlllE0_EEPmJS9_EEE10hipError_tPvRmT3_T4_T5_T6_T7_T9_mT8_P12ihipStream_tbDpT10_ENKUlT_T0_E_clISt17integral_constantIbLb0EES19_IbLb1EEEEDaS15_S16_EUlS15_E_NS1_11comp_targetILNS1_3genE9ELNS1_11target_archE1100ELNS1_3gpuE3ELNS1_3repE0EEENS1_30default_config_static_selectorELNS0_4arch9wavefront6targetE1EEEvT1_: ; @_ZN7rocprim17ROCPRIM_400000_NS6detail17trampoline_kernelINS0_14default_configENS1_25partition_config_selectorILNS1_17partition_subalgoE9EllbEEZZNS1_14partition_implILS5_9ELb0ES3_jPlS8_PNS0_10empty_typeENS0_5tupleIJS8_S9_EEENSB_IJS8_SA_EEENS0_18inequality_wrapperIZN2at6native12_GLOBAL__N_124unique_dim_cuda_templateIjEESt5tupleIJNSF_6TensorESK_SK_EERKSK_lbbbEUlllE0_EEPmJS9_EEE10hipError_tPvRmT3_T4_T5_T6_T7_T9_mT8_P12ihipStream_tbDpT10_ENKUlT_T0_E_clISt17integral_constantIbLb0EES19_IbLb1EEEEDaS15_S16_EUlS15_E_NS1_11comp_targetILNS1_3genE9ELNS1_11target_archE1100ELNS1_3gpuE3ELNS1_3repE0EEENS1_30default_config_static_selectorELNS0_4arch9wavefront6targetE1EEEvT1_
; %bb.0:
	.section	.rodata,"a",@progbits
	.p2align	6, 0x0
	.amdhsa_kernel _ZN7rocprim17ROCPRIM_400000_NS6detail17trampoline_kernelINS0_14default_configENS1_25partition_config_selectorILNS1_17partition_subalgoE9EllbEEZZNS1_14partition_implILS5_9ELb0ES3_jPlS8_PNS0_10empty_typeENS0_5tupleIJS8_S9_EEENSB_IJS8_SA_EEENS0_18inequality_wrapperIZN2at6native12_GLOBAL__N_124unique_dim_cuda_templateIjEESt5tupleIJNSF_6TensorESK_SK_EERKSK_lbbbEUlllE0_EEPmJS9_EEE10hipError_tPvRmT3_T4_T5_T6_T7_T9_mT8_P12ihipStream_tbDpT10_ENKUlT_T0_E_clISt17integral_constantIbLb0EES19_IbLb1EEEEDaS15_S16_EUlS15_E_NS1_11comp_targetILNS1_3genE9ELNS1_11target_archE1100ELNS1_3gpuE3ELNS1_3repE0EEENS1_30default_config_static_selectorELNS0_4arch9wavefront6targetE1EEEvT1_
		.amdhsa_group_segment_fixed_size 0
		.amdhsa_private_segment_fixed_size 0
		.amdhsa_kernarg_size 136
		.amdhsa_user_sgpr_count 2
		.amdhsa_user_sgpr_dispatch_ptr 0
		.amdhsa_user_sgpr_queue_ptr 0
		.amdhsa_user_sgpr_kernarg_segment_ptr 1
		.amdhsa_user_sgpr_dispatch_id 0
		.amdhsa_user_sgpr_kernarg_preload_length 0
		.amdhsa_user_sgpr_kernarg_preload_offset 0
		.amdhsa_user_sgpr_private_segment_size 0
		.amdhsa_uses_dynamic_stack 0
		.amdhsa_enable_private_segment 0
		.amdhsa_system_sgpr_workgroup_id_x 1
		.amdhsa_system_sgpr_workgroup_id_y 0
		.amdhsa_system_sgpr_workgroup_id_z 0
		.amdhsa_system_sgpr_workgroup_info 0
		.amdhsa_system_vgpr_workitem_id 0
		.amdhsa_next_free_vgpr 1
		.amdhsa_next_free_sgpr 0
		.amdhsa_accum_offset 4
		.amdhsa_reserve_vcc 0
		.amdhsa_float_round_mode_32 0
		.amdhsa_float_round_mode_16_64 0
		.amdhsa_float_denorm_mode_32 3
		.amdhsa_float_denorm_mode_16_64 3
		.amdhsa_dx10_clamp 1
		.amdhsa_ieee_mode 1
		.amdhsa_fp16_overflow 0
		.amdhsa_tg_split 0
		.amdhsa_exception_fp_ieee_invalid_op 0
		.amdhsa_exception_fp_denorm_src 0
		.amdhsa_exception_fp_ieee_div_zero 0
		.amdhsa_exception_fp_ieee_overflow 0
		.amdhsa_exception_fp_ieee_underflow 0
		.amdhsa_exception_fp_ieee_inexact 0
		.amdhsa_exception_int_div_zero 0
	.end_amdhsa_kernel
	.section	.text._ZN7rocprim17ROCPRIM_400000_NS6detail17trampoline_kernelINS0_14default_configENS1_25partition_config_selectorILNS1_17partition_subalgoE9EllbEEZZNS1_14partition_implILS5_9ELb0ES3_jPlS8_PNS0_10empty_typeENS0_5tupleIJS8_S9_EEENSB_IJS8_SA_EEENS0_18inequality_wrapperIZN2at6native12_GLOBAL__N_124unique_dim_cuda_templateIjEESt5tupleIJNSF_6TensorESK_SK_EERKSK_lbbbEUlllE0_EEPmJS9_EEE10hipError_tPvRmT3_T4_T5_T6_T7_T9_mT8_P12ihipStream_tbDpT10_ENKUlT_T0_E_clISt17integral_constantIbLb0EES19_IbLb1EEEEDaS15_S16_EUlS15_E_NS1_11comp_targetILNS1_3genE9ELNS1_11target_archE1100ELNS1_3gpuE3ELNS1_3repE0EEENS1_30default_config_static_selectorELNS0_4arch9wavefront6targetE1EEEvT1_,"axG",@progbits,_ZN7rocprim17ROCPRIM_400000_NS6detail17trampoline_kernelINS0_14default_configENS1_25partition_config_selectorILNS1_17partition_subalgoE9EllbEEZZNS1_14partition_implILS5_9ELb0ES3_jPlS8_PNS0_10empty_typeENS0_5tupleIJS8_S9_EEENSB_IJS8_SA_EEENS0_18inequality_wrapperIZN2at6native12_GLOBAL__N_124unique_dim_cuda_templateIjEESt5tupleIJNSF_6TensorESK_SK_EERKSK_lbbbEUlllE0_EEPmJS9_EEE10hipError_tPvRmT3_T4_T5_T6_T7_T9_mT8_P12ihipStream_tbDpT10_ENKUlT_T0_E_clISt17integral_constantIbLb0EES19_IbLb1EEEEDaS15_S16_EUlS15_E_NS1_11comp_targetILNS1_3genE9ELNS1_11target_archE1100ELNS1_3gpuE3ELNS1_3repE0EEENS1_30default_config_static_selectorELNS0_4arch9wavefront6targetE1EEEvT1_,comdat
.Lfunc_end1603:
	.size	_ZN7rocprim17ROCPRIM_400000_NS6detail17trampoline_kernelINS0_14default_configENS1_25partition_config_selectorILNS1_17partition_subalgoE9EllbEEZZNS1_14partition_implILS5_9ELb0ES3_jPlS8_PNS0_10empty_typeENS0_5tupleIJS8_S9_EEENSB_IJS8_SA_EEENS0_18inequality_wrapperIZN2at6native12_GLOBAL__N_124unique_dim_cuda_templateIjEESt5tupleIJNSF_6TensorESK_SK_EERKSK_lbbbEUlllE0_EEPmJS9_EEE10hipError_tPvRmT3_T4_T5_T6_T7_T9_mT8_P12ihipStream_tbDpT10_ENKUlT_T0_E_clISt17integral_constantIbLb0EES19_IbLb1EEEEDaS15_S16_EUlS15_E_NS1_11comp_targetILNS1_3genE9ELNS1_11target_archE1100ELNS1_3gpuE3ELNS1_3repE0EEENS1_30default_config_static_selectorELNS0_4arch9wavefront6targetE1EEEvT1_, .Lfunc_end1603-_ZN7rocprim17ROCPRIM_400000_NS6detail17trampoline_kernelINS0_14default_configENS1_25partition_config_selectorILNS1_17partition_subalgoE9EllbEEZZNS1_14partition_implILS5_9ELb0ES3_jPlS8_PNS0_10empty_typeENS0_5tupleIJS8_S9_EEENSB_IJS8_SA_EEENS0_18inequality_wrapperIZN2at6native12_GLOBAL__N_124unique_dim_cuda_templateIjEESt5tupleIJNSF_6TensorESK_SK_EERKSK_lbbbEUlllE0_EEPmJS9_EEE10hipError_tPvRmT3_T4_T5_T6_T7_T9_mT8_P12ihipStream_tbDpT10_ENKUlT_T0_E_clISt17integral_constantIbLb0EES19_IbLb1EEEEDaS15_S16_EUlS15_E_NS1_11comp_targetILNS1_3genE9ELNS1_11target_archE1100ELNS1_3gpuE3ELNS1_3repE0EEENS1_30default_config_static_selectorELNS0_4arch9wavefront6targetE1EEEvT1_
                                        ; -- End function
	.set _ZN7rocprim17ROCPRIM_400000_NS6detail17trampoline_kernelINS0_14default_configENS1_25partition_config_selectorILNS1_17partition_subalgoE9EllbEEZZNS1_14partition_implILS5_9ELb0ES3_jPlS8_PNS0_10empty_typeENS0_5tupleIJS8_S9_EEENSB_IJS8_SA_EEENS0_18inequality_wrapperIZN2at6native12_GLOBAL__N_124unique_dim_cuda_templateIjEESt5tupleIJNSF_6TensorESK_SK_EERKSK_lbbbEUlllE0_EEPmJS9_EEE10hipError_tPvRmT3_T4_T5_T6_T7_T9_mT8_P12ihipStream_tbDpT10_ENKUlT_T0_E_clISt17integral_constantIbLb0EES19_IbLb1EEEEDaS15_S16_EUlS15_E_NS1_11comp_targetILNS1_3genE9ELNS1_11target_archE1100ELNS1_3gpuE3ELNS1_3repE0EEENS1_30default_config_static_selectorELNS0_4arch9wavefront6targetE1EEEvT1_.num_vgpr, 0
	.set _ZN7rocprim17ROCPRIM_400000_NS6detail17trampoline_kernelINS0_14default_configENS1_25partition_config_selectorILNS1_17partition_subalgoE9EllbEEZZNS1_14partition_implILS5_9ELb0ES3_jPlS8_PNS0_10empty_typeENS0_5tupleIJS8_S9_EEENSB_IJS8_SA_EEENS0_18inequality_wrapperIZN2at6native12_GLOBAL__N_124unique_dim_cuda_templateIjEESt5tupleIJNSF_6TensorESK_SK_EERKSK_lbbbEUlllE0_EEPmJS9_EEE10hipError_tPvRmT3_T4_T5_T6_T7_T9_mT8_P12ihipStream_tbDpT10_ENKUlT_T0_E_clISt17integral_constantIbLb0EES19_IbLb1EEEEDaS15_S16_EUlS15_E_NS1_11comp_targetILNS1_3genE9ELNS1_11target_archE1100ELNS1_3gpuE3ELNS1_3repE0EEENS1_30default_config_static_selectorELNS0_4arch9wavefront6targetE1EEEvT1_.num_agpr, 0
	.set _ZN7rocprim17ROCPRIM_400000_NS6detail17trampoline_kernelINS0_14default_configENS1_25partition_config_selectorILNS1_17partition_subalgoE9EllbEEZZNS1_14partition_implILS5_9ELb0ES3_jPlS8_PNS0_10empty_typeENS0_5tupleIJS8_S9_EEENSB_IJS8_SA_EEENS0_18inequality_wrapperIZN2at6native12_GLOBAL__N_124unique_dim_cuda_templateIjEESt5tupleIJNSF_6TensorESK_SK_EERKSK_lbbbEUlllE0_EEPmJS9_EEE10hipError_tPvRmT3_T4_T5_T6_T7_T9_mT8_P12ihipStream_tbDpT10_ENKUlT_T0_E_clISt17integral_constantIbLb0EES19_IbLb1EEEEDaS15_S16_EUlS15_E_NS1_11comp_targetILNS1_3genE9ELNS1_11target_archE1100ELNS1_3gpuE3ELNS1_3repE0EEENS1_30default_config_static_selectorELNS0_4arch9wavefront6targetE1EEEvT1_.numbered_sgpr, 0
	.set _ZN7rocprim17ROCPRIM_400000_NS6detail17trampoline_kernelINS0_14default_configENS1_25partition_config_selectorILNS1_17partition_subalgoE9EllbEEZZNS1_14partition_implILS5_9ELb0ES3_jPlS8_PNS0_10empty_typeENS0_5tupleIJS8_S9_EEENSB_IJS8_SA_EEENS0_18inequality_wrapperIZN2at6native12_GLOBAL__N_124unique_dim_cuda_templateIjEESt5tupleIJNSF_6TensorESK_SK_EERKSK_lbbbEUlllE0_EEPmJS9_EEE10hipError_tPvRmT3_T4_T5_T6_T7_T9_mT8_P12ihipStream_tbDpT10_ENKUlT_T0_E_clISt17integral_constantIbLb0EES19_IbLb1EEEEDaS15_S16_EUlS15_E_NS1_11comp_targetILNS1_3genE9ELNS1_11target_archE1100ELNS1_3gpuE3ELNS1_3repE0EEENS1_30default_config_static_selectorELNS0_4arch9wavefront6targetE1EEEvT1_.num_named_barrier, 0
	.set _ZN7rocprim17ROCPRIM_400000_NS6detail17trampoline_kernelINS0_14default_configENS1_25partition_config_selectorILNS1_17partition_subalgoE9EllbEEZZNS1_14partition_implILS5_9ELb0ES3_jPlS8_PNS0_10empty_typeENS0_5tupleIJS8_S9_EEENSB_IJS8_SA_EEENS0_18inequality_wrapperIZN2at6native12_GLOBAL__N_124unique_dim_cuda_templateIjEESt5tupleIJNSF_6TensorESK_SK_EERKSK_lbbbEUlllE0_EEPmJS9_EEE10hipError_tPvRmT3_T4_T5_T6_T7_T9_mT8_P12ihipStream_tbDpT10_ENKUlT_T0_E_clISt17integral_constantIbLb0EES19_IbLb1EEEEDaS15_S16_EUlS15_E_NS1_11comp_targetILNS1_3genE9ELNS1_11target_archE1100ELNS1_3gpuE3ELNS1_3repE0EEENS1_30default_config_static_selectorELNS0_4arch9wavefront6targetE1EEEvT1_.private_seg_size, 0
	.set _ZN7rocprim17ROCPRIM_400000_NS6detail17trampoline_kernelINS0_14default_configENS1_25partition_config_selectorILNS1_17partition_subalgoE9EllbEEZZNS1_14partition_implILS5_9ELb0ES3_jPlS8_PNS0_10empty_typeENS0_5tupleIJS8_S9_EEENSB_IJS8_SA_EEENS0_18inequality_wrapperIZN2at6native12_GLOBAL__N_124unique_dim_cuda_templateIjEESt5tupleIJNSF_6TensorESK_SK_EERKSK_lbbbEUlllE0_EEPmJS9_EEE10hipError_tPvRmT3_T4_T5_T6_T7_T9_mT8_P12ihipStream_tbDpT10_ENKUlT_T0_E_clISt17integral_constantIbLb0EES19_IbLb1EEEEDaS15_S16_EUlS15_E_NS1_11comp_targetILNS1_3genE9ELNS1_11target_archE1100ELNS1_3gpuE3ELNS1_3repE0EEENS1_30default_config_static_selectorELNS0_4arch9wavefront6targetE1EEEvT1_.uses_vcc, 0
	.set _ZN7rocprim17ROCPRIM_400000_NS6detail17trampoline_kernelINS0_14default_configENS1_25partition_config_selectorILNS1_17partition_subalgoE9EllbEEZZNS1_14partition_implILS5_9ELb0ES3_jPlS8_PNS0_10empty_typeENS0_5tupleIJS8_S9_EEENSB_IJS8_SA_EEENS0_18inequality_wrapperIZN2at6native12_GLOBAL__N_124unique_dim_cuda_templateIjEESt5tupleIJNSF_6TensorESK_SK_EERKSK_lbbbEUlllE0_EEPmJS9_EEE10hipError_tPvRmT3_T4_T5_T6_T7_T9_mT8_P12ihipStream_tbDpT10_ENKUlT_T0_E_clISt17integral_constantIbLb0EES19_IbLb1EEEEDaS15_S16_EUlS15_E_NS1_11comp_targetILNS1_3genE9ELNS1_11target_archE1100ELNS1_3gpuE3ELNS1_3repE0EEENS1_30default_config_static_selectorELNS0_4arch9wavefront6targetE1EEEvT1_.uses_flat_scratch, 0
	.set _ZN7rocprim17ROCPRIM_400000_NS6detail17trampoline_kernelINS0_14default_configENS1_25partition_config_selectorILNS1_17partition_subalgoE9EllbEEZZNS1_14partition_implILS5_9ELb0ES3_jPlS8_PNS0_10empty_typeENS0_5tupleIJS8_S9_EEENSB_IJS8_SA_EEENS0_18inequality_wrapperIZN2at6native12_GLOBAL__N_124unique_dim_cuda_templateIjEESt5tupleIJNSF_6TensorESK_SK_EERKSK_lbbbEUlllE0_EEPmJS9_EEE10hipError_tPvRmT3_T4_T5_T6_T7_T9_mT8_P12ihipStream_tbDpT10_ENKUlT_T0_E_clISt17integral_constantIbLb0EES19_IbLb1EEEEDaS15_S16_EUlS15_E_NS1_11comp_targetILNS1_3genE9ELNS1_11target_archE1100ELNS1_3gpuE3ELNS1_3repE0EEENS1_30default_config_static_selectorELNS0_4arch9wavefront6targetE1EEEvT1_.has_dyn_sized_stack, 0
	.set _ZN7rocprim17ROCPRIM_400000_NS6detail17trampoline_kernelINS0_14default_configENS1_25partition_config_selectorILNS1_17partition_subalgoE9EllbEEZZNS1_14partition_implILS5_9ELb0ES3_jPlS8_PNS0_10empty_typeENS0_5tupleIJS8_S9_EEENSB_IJS8_SA_EEENS0_18inequality_wrapperIZN2at6native12_GLOBAL__N_124unique_dim_cuda_templateIjEESt5tupleIJNSF_6TensorESK_SK_EERKSK_lbbbEUlllE0_EEPmJS9_EEE10hipError_tPvRmT3_T4_T5_T6_T7_T9_mT8_P12ihipStream_tbDpT10_ENKUlT_T0_E_clISt17integral_constantIbLb0EES19_IbLb1EEEEDaS15_S16_EUlS15_E_NS1_11comp_targetILNS1_3genE9ELNS1_11target_archE1100ELNS1_3gpuE3ELNS1_3repE0EEENS1_30default_config_static_selectorELNS0_4arch9wavefront6targetE1EEEvT1_.has_recursion, 0
	.set _ZN7rocprim17ROCPRIM_400000_NS6detail17trampoline_kernelINS0_14default_configENS1_25partition_config_selectorILNS1_17partition_subalgoE9EllbEEZZNS1_14partition_implILS5_9ELb0ES3_jPlS8_PNS0_10empty_typeENS0_5tupleIJS8_S9_EEENSB_IJS8_SA_EEENS0_18inequality_wrapperIZN2at6native12_GLOBAL__N_124unique_dim_cuda_templateIjEESt5tupleIJNSF_6TensorESK_SK_EERKSK_lbbbEUlllE0_EEPmJS9_EEE10hipError_tPvRmT3_T4_T5_T6_T7_T9_mT8_P12ihipStream_tbDpT10_ENKUlT_T0_E_clISt17integral_constantIbLb0EES19_IbLb1EEEEDaS15_S16_EUlS15_E_NS1_11comp_targetILNS1_3genE9ELNS1_11target_archE1100ELNS1_3gpuE3ELNS1_3repE0EEENS1_30default_config_static_selectorELNS0_4arch9wavefront6targetE1EEEvT1_.has_indirect_call, 0
	.section	.AMDGPU.csdata,"",@progbits
; Kernel info:
; codeLenInByte = 0
; TotalNumSgprs: 6
; NumVgprs: 0
; NumAgprs: 0
; TotalNumVgprs: 0
; ScratchSize: 0
; MemoryBound: 0
; FloatMode: 240
; IeeeMode: 1
; LDSByteSize: 0 bytes/workgroup (compile time only)
; SGPRBlocks: 0
; VGPRBlocks: 0
; NumSGPRsForWavesPerEU: 6
; NumVGPRsForWavesPerEU: 1
; AccumOffset: 4
; Occupancy: 8
; WaveLimiterHint : 0
; COMPUTE_PGM_RSRC2:SCRATCH_EN: 0
; COMPUTE_PGM_RSRC2:USER_SGPR: 2
; COMPUTE_PGM_RSRC2:TRAP_HANDLER: 0
; COMPUTE_PGM_RSRC2:TGID_X_EN: 1
; COMPUTE_PGM_RSRC2:TGID_Y_EN: 0
; COMPUTE_PGM_RSRC2:TGID_Z_EN: 0
; COMPUTE_PGM_RSRC2:TIDIG_COMP_CNT: 0
; COMPUTE_PGM_RSRC3_GFX90A:ACCUM_OFFSET: 0
; COMPUTE_PGM_RSRC3_GFX90A:TG_SPLIT: 0
	.section	.text._ZN7rocprim17ROCPRIM_400000_NS6detail17trampoline_kernelINS0_14default_configENS1_25partition_config_selectorILNS1_17partition_subalgoE9EllbEEZZNS1_14partition_implILS5_9ELb0ES3_jPlS8_PNS0_10empty_typeENS0_5tupleIJS8_S9_EEENSB_IJS8_SA_EEENS0_18inequality_wrapperIZN2at6native12_GLOBAL__N_124unique_dim_cuda_templateIjEESt5tupleIJNSF_6TensorESK_SK_EERKSK_lbbbEUlllE0_EEPmJS9_EEE10hipError_tPvRmT3_T4_T5_T6_T7_T9_mT8_P12ihipStream_tbDpT10_ENKUlT_T0_E_clISt17integral_constantIbLb0EES19_IbLb1EEEEDaS15_S16_EUlS15_E_NS1_11comp_targetILNS1_3genE8ELNS1_11target_archE1030ELNS1_3gpuE2ELNS1_3repE0EEENS1_30default_config_static_selectorELNS0_4arch9wavefront6targetE1EEEvT1_,"axG",@progbits,_ZN7rocprim17ROCPRIM_400000_NS6detail17trampoline_kernelINS0_14default_configENS1_25partition_config_selectorILNS1_17partition_subalgoE9EllbEEZZNS1_14partition_implILS5_9ELb0ES3_jPlS8_PNS0_10empty_typeENS0_5tupleIJS8_S9_EEENSB_IJS8_SA_EEENS0_18inequality_wrapperIZN2at6native12_GLOBAL__N_124unique_dim_cuda_templateIjEESt5tupleIJNSF_6TensorESK_SK_EERKSK_lbbbEUlllE0_EEPmJS9_EEE10hipError_tPvRmT3_T4_T5_T6_T7_T9_mT8_P12ihipStream_tbDpT10_ENKUlT_T0_E_clISt17integral_constantIbLb0EES19_IbLb1EEEEDaS15_S16_EUlS15_E_NS1_11comp_targetILNS1_3genE8ELNS1_11target_archE1030ELNS1_3gpuE2ELNS1_3repE0EEENS1_30default_config_static_selectorELNS0_4arch9wavefront6targetE1EEEvT1_,comdat
	.globl	_ZN7rocprim17ROCPRIM_400000_NS6detail17trampoline_kernelINS0_14default_configENS1_25partition_config_selectorILNS1_17partition_subalgoE9EllbEEZZNS1_14partition_implILS5_9ELb0ES3_jPlS8_PNS0_10empty_typeENS0_5tupleIJS8_S9_EEENSB_IJS8_SA_EEENS0_18inequality_wrapperIZN2at6native12_GLOBAL__N_124unique_dim_cuda_templateIjEESt5tupleIJNSF_6TensorESK_SK_EERKSK_lbbbEUlllE0_EEPmJS9_EEE10hipError_tPvRmT3_T4_T5_T6_T7_T9_mT8_P12ihipStream_tbDpT10_ENKUlT_T0_E_clISt17integral_constantIbLb0EES19_IbLb1EEEEDaS15_S16_EUlS15_E_NS1_11comp_targetILNS1_3genE8ELNS1_11target_archE1030ELNS1_3gpuE2ELNS1_3repE0EEENS1_30default_config_static_selectorELNS0_4arch9wavefront6targetE1EEEvT1_ ; -- Begin function _ZN7rocprim17ROCPRIM_400000_NS6detail17trampoline_kernelINS0_14default_configENS1_25partition_config_selectorILNS1_17partition_subalgoE9EllbEEZZNS1_14partition_implILS5_9ELb0ES3_jPlS8_PNS0_10empty_typeENS0_5tupleIJS8_S9_EEENSB_IJS8_SA_EEENS0_18inequality_wrapperIZN2at6native12_GLOBAL__N_124unique_dim_cuda_templateIjEESt5tupleIJNSF_6TensorESK_SK_EERKSK_lbbbEUlllE0_EEPmJS9_EEE10hipError_tPvRmT3_T4_T5_T6_T7_T9_mT8_P12ihipStream_tbDpT10_ENKUlT_T0_E_clISt17integral_constantIbLb0EES19_IbLb1EEEEDaS15_S16_EUlS15_E_NS1_11comp_targetILNS1_3genE8ELNS1_11target_archE1030ELNS1_3gpuE2ELNS1_3repE0EEENS1_30default_config_static_selectorELNS0_4arch9wavefront6targetE1EEEvT1_
	.p2align	8
	.type	_ZN7rocprim17ROCPRIM_400000_NS6detail17trampoline_kernelINS0_14default_configENS1_25partition_config_selectorILNS1_17partition_subalgoE9EllbEEZZNS1_14partition_implILS5_9ELb0ES3_jPlS8_PNS0_10empty_typeENS0_5tupleIJS8_S9_EEENSB_IJS8_SA_EEENS0_18inequality_wrapperIZN2at6native12_GLOBAL__N_124unique_dim_cuda_templateIjEESt5tupleIJNSF_6TensorESK_SK_EERKSK_lbbbEUlllE0_EEPmJS9_EEE10hipError_tPvRmT3_T4_T5_T6_T7_T9_mT8_P12ihipStream_tbDpT10_ENKUlT_T0_E_clISt17integral_constantIbLb0EES19_IbLb1EEEEDaS15_S16_EUlS15_E_NS1_11comp_targetILNS1_3genE8ELNS1_11target_archE1030ELNS1_3gpuE2ELNS1_3repE0EEENS1_30default_config_static_selectorELNS0_4arch9wavefront6targetE1EEEvT1_,@function
_ZN7rocprim17ROCPRIM_400000_NS6detail17trampoline_kernelINS0_14default_configENS1_25partition_config_selectorILNS1_17partition_subalgoE9EllbEEZZNS1_14partition_implILS5_9ELb0ES3_jPlS8_PNS0_10empty_typeENS0_5tupleIJS8_S9_EEENSB_IJS8_SA_EEENS0_18inequality_wrapperIZN2at6native12_GLOBAL__N_124unique_dim_cuda_templateIjEESt5tupleIJNSF_6TensorESK_SK_EERKSK_lbbbEUlllE0_EEPmJS9_EEE10hipError_tPvRmT3_T4_T5_T6_T7_T9_mT8_P12ihipStream_tbDpT10_ENKUlT_T0_E_clISt17integral_constantIbLb0EES19_IbLb1EEEEDaS15_S16_EUlS15_E_NS1_11comp_targetILNS1_3genE8ELNS1_11target_archE1030ELNS1_3gpuE2ELNS1_3repE0EEENS1_30default_config_static_selectorELNS0_4arch9wavefront6targetE1EEEvT1_: ; @_ZN7rocprim17ROCPRIM_400000_NS6detail17trampoline_kernelINS0_14default_configENS1_25partition_config_selectorILNS1_17partition_subalgoE9EllbEEZZNS1_14partition_implILS5_9ELb0ES3_jPlS8_PNS0_10empty_typeENS0_5tupleIJS8_S9_EEENSB_IJS8_SA_EEENS0_18inequality_wrapperIZN2at6native12_GLOBAL__N_124unique_dim_cuda_templateIjEESt5tupleIJNSF_6TensorESK_SK_EERKSK_lbbbEUlllE0_EEPmJS9_EEE10hipError_tPvRmT3_T4_T5_T6_T7_T9_mT8_P12ihipStream_tbDpT10_ENKUlT_T0_E_clISt17integral_constantIbLb0EES19_IbLb1EEEEDaS15_S16_EUlS15_E_NS1_11comp_targetILNS1_3genE8ELNS1_11target_archE1030ELNS1_3gpuE2ELNS1_3repE0EEENS1_30default_config_static_selectorELNS0_4arch9wavefront6targetE1EEEvT1_
; %bb.0:
	.section	.rodata,"a",@progbits
	.p2align	6, 0x0
	.amdhsa_kernel _ZN7rocprim17ROCPRIM_400000_NS6detail17trampoline_kernelINS0_14default_configENS1_25partition_config_selectorILNS1_17partition_subalgoE9EllbEEZZNS1_14partition_implILS5_9ELb0ES3_jPlS8_PNS0_10empty_typeENS0_5tupleIJS8_S9_EEENSB_IJS8_SA_EEENS0_18inequality_wrapperIZN2at6native12_GLOBAL__N_124unique_dim_cuda_templateIjEESt5tupleIJNSF_6TensorESK_SK_EERKSK_lbbbEUlllE0_EEPmJS9_EEE10hipError_tPvRmT3_T4_T5_T6_T7_T9_mT8_P12ihipStream_tbDpT10_ENKUlT_T0_E_clISt17integral_constantIbLb0EES19_IbLb1EEEEDaS15_S16_EUlS15_E_NS1_11comp_targetILNS1_3genE8ELNS1_11target_archE1030ELNS1_3gpuE2ELNS1_3repE0EEENS1_30default_config_static_selectorELNS0_4arch9wavefront6targetE1EEEvT1_
		.amdhsa_group_segment_fixed_size 0
		.amdhsa_private_segment_fixed_size 0
		.amdhsa_kernarg_size 136
		.amdhsa_user_sgpr_count 2
		.amdhsa_user_sgpr_dispatch_ptr 0
		.amdhsa_user_sgpr_queue_ptr 0
		.amdhsa_user_sgpr_kernarg_segment_ptr 1
		.amdhsa_user_sgpr_dispatch_id 0
		.amdhsa_user_sgpr_kernarg_preload_length 0
		.amdhsa_user_sgpr_kernarg_preload_offset 0
		.amdhsa_user_sgpr_private_segment_size 0
		.amdhsa_uses_dynamic_stack 0
		.amdhsa_enable_private_segment 0
		.amdhsa_system_sgpr_workgroup_id_x 1
		.amdhsa_system_sgpr_workgroup_id_y 0
		.amdhsa_system_sgpr_workgroup_id_z 0
		.amdhsa_system_sgpr_workgroup_info 0
		.amdhsa_system_vgpr_workitem_id 0
		.amdhsa_next_free_vgpr 1
		.amdhsa_next_free_sgpr 0
		.amdhsa_accum_offset 4
		.amdhsa_reserve_vcc 0
		.amdhsa_float_round_mode_32 0
		.amdhsa_float_round_mode_16_64 0
		.amdhsa_float_denorm_mode_32 3
		.amdhsa_float_denorm_mode_16_64 3
		.amdhsa_dx10_clamp 1
		.amdhsa_ieee_mode 1
		.amdhsa_fp16_overflow 0
		.amdhsa_tg_split 0
		.amdhsa_exception_fp_ieee_invalid_op 0
		.amdhsa_exception_fp_denorm_src 0
		.amdhsa_exception_fp_ieee_div_zero 0
		.amdhsa_exception_fp_ieee_overflow 0
		.amdhsa_exception_fp_ieee_underflow 0
		.amdhsa_exception_fp_ieee_inexact 0
		.amdhsa_exception_int_div_zero 0
	.end_amdhsa_kernel
	.section	.text._ZN7rocprim17ROCPRIM_400000_NS6detail17trampoline_kernelINS0_14default_configENS1_25partition_config_selectorILNS1_17partition_subalgoE9EllbEEZZNS1_14partition_implILS5_9ELb0ES3_jPlS8_PNS0_10empty_typeENS0_5tupleIJS8_S9_EEENSB_IJS8_SA_EEENS0_18inequality_wrapperIZN2at6native12_GLOBAL__N_124unique_dim_cuda_templateIjEESt5tupleIJNSF_6TensorESK_SK_EERKSK_lbbbEUlllE0_EEPmJS9_EEE10hipError_tPvRmT3_T4_T5_T6_T7_T9_mT8_P12ihipStream_tbDpT10_ENKUlT_T0_E_clISt17integral_constantIbLb0EES19_IbLb1EEEEDaS15_S16_EUlS15_E_NS1_11comp_targetILNS1_3genE8ELNS1_11target_archE1030ELNS1_3gpuE2ELNS1_3repE0EEENS1_30default_config_static_selectorELNS0_4arch9wavefront6targetE1EEEvT1_,"axG",@progbits,_ZN7rocprim17ROCPRIM_400000_NS6detail17trampoline_kernelINS0_14default_configENS1_25partition_config_selectorILNS1_17partition_subalgoE9EllbEEZZNS1_14partition_implILS5_9ELb0ES3_jPlS8_PNS0_10empty_typeENS0_5tupleIJS8_S9_EEENSB_IJS8_SA_EEENS0_18inequality_wrapperIZN2at6native12_GLOBAL__N_124unique_dim_cuda_templateIjEESt5tupleIJNSF_6TensorESK_SK_EERKSK_lbbbEUlllE0_EEPmJS9_EEE10hipError_tPvRmT3_T4_T5_T6_T7_T9_mT8_P12ihipStream_tbDpT10_ENKUlT_T0_E_clISt17integral_constantIbLb0EES19_IbLb1EEEEDaS15_S16_EUlS15_E_NS1_11comp_targetILNS1_3genE8ELNS1_11target_archE1030ELNS1_3gpuE2ELNS1_3repE0EEENS1_30default_config_static_selectorELNS0_4arch9wavefront6targetE1EEEvT1_,comdat
.Lfunc_end1604:
	.size	_ZN7rocprim17ROCPRIM_400000_NS6detail17trampoline_kernelINS0_14default_configENS1_25partition_config_selectorILNS1_17partition_subalgoE9EllbEEZZNS1_14partition_implILS5_9ELb0ES3_jPlS8_PNS0_10empty_typeENS0_5tupleIJS8_S9_EEENSB_IJS8_SA_EEENS0_18inequality_wrapperIZN2at6native12_GLOBAL__N_124unique_dim_cuda_templateIjEESt5tupleIJNSF_6TensorESK_SK_EERKSK_lbbbEUlllE0_EEPmJS9_EEE10hipError_tPvRmT3_T4_T5_T6_T7_T9_mT8_P12ihipStream_tbDpT10_ENKUlT_T0_E_clISt17integral_constantIbLb0EES19_IbLb1EEEEDaS15_S16_EUlS15_E_NS1_11comp_targetILNS1_3genE8ELNS1_11target_archE1030ELNS1_3gpuE2ELNS1_3repE0EEENS1_30default_config_static_selectorELNS0_4arch9wavefront6targetE1EEEvT1_, .Lfunc_end1604-_ZN7rocprim17ROCPRIM_400000_NS6detail17trampoline_kernelINS0_14default_configENS1_25partition_config_selectorILNS1_17partition_subalgoE9EllbEEZZNS1_14partition_implILS5_9ELb0ES3_jPlS8_PNS0_10empty_typeENS0_5tupleIJS8_S9_EEENSB_IJS8_SA_EEENS0_18inequality_wrapperIZN2at6native12_GLOBAL__N_124unique_dim_cuda_templateIjEESt5tupleIJNSF_6TensorESK_SK_EERKSK_lbbbEUlllE0_EEPmJS9_EEE10hipError_tPvRmT3_T4_T5_T6_T7_T9_mT8_P12ihipStream_tbDpT10_ENKUlT_T0_E_clISt17integral_constantIbLb0EES19_IbLb1EEEEDaS15_S16_EUlS15_E_NS1_11comp_targetILNS1_3genE8ELNS1_11target_archE1030ELNS1_3gpuE2ELNS1_3repE0EEENS1_30default_config_static_selectorELNS0_4arch9wavefront6targetE1EEEvT1_
                                        ; -- End function
	.set _ZN7rocprim17ROCPRIM_400000_NS6detail17trampoline_kernelINS0_14default_configENS1_25partition_config_selectorILNS1_17partition_subalgoE9EllbEEZZNS1_14partition_implILS5_9ELb0ES3_jPlS8_PNS0_10empty_typeENS0_5tupleIJS8_S9_EEENSB_IJS8_SA_EEENS0_18inequality_wrapperIZN2at6native12_GLOBAL__N_124unique_dim_cuda_templateIjEESt5tupleIJNSF_6TensorESK_SK_EERKSK_lbbbEUlllE0_EEPmJS9_EEE10hipError_tPvRmT3_T4_T5_T6_T7_T9_mT8_P12ihipStream_tbDpT10_ENKUlT_T0_E_clISt17integral_constantIbLb0EES19_IbLb1EEEEDaS15_S16_EUlS15_E_NS1_11comp_targetILNS1_3genE8ELNS1_11target_archE1030ELNS1_3gpuE2ELNS1_3repE0EEENS1_30default_config_static_selectorELNS0_4arch9wavefront6targetE1EEEvT1_.num_vgpr, 0
	.set _ZN7rocprim17ROCPRIM_400000_NS6detail17trampoline_kernelINS0_14default_configENS1_25partition_config_selectorILNS1_17partition_subalgoE9EllbEEZZNS1_14partition_implILS5_9ELb0ES3_jPlS8_PNS0_10empty_typeENS0_5tupleIJS8_S9_EEENSB_IJS8_SA_EEENS0_18inequality_wrapperIZN2at6native12_GLOBAL__N_124unique_dim_cuda_templateIjEESt5tupleIJNSF_6TensorESK_SK_EERKSK_lbbbEUlllE0_EEPmJS9_EEE10hipError_tPvRmT3_T4_T5_T6_T7_T9_mT8_P12ihipStream_tbDpT10_ENKUlT_T0_E_clISt17integral_constantIbLb0EES19_IbLb1EEEEDaS15_S16_EUlS15_E_NS1_11comp_targetILNS1_3genE8ELNS1_11target_archE1030ELNS1_3gpuE2ELNS1_3repE0EEENS1_30default_config_static_selectorELNS0_4arch9wavefront6targetE1EEEvT1_.num_agpr, 0
	.set _ZN7rocprim17ROCPRIM_400000_NS6detail17trampoline_kernelINS0_14default_configENS1_25partition_config_selectorILNS1_17partition_subalgoE9EllbEEZZNS1_14partition_implILS5_9ELb0ES3_jPlS8_PNS0_10empty_typeENS0_5tupleIJS8_S9_EEENSB_IJS8_SA_EEENS0_18inequality_wrapperIZN2at6native12_GLOBAL__N_124unique_dim_cuda_templateIjEESt5tupleIJNSF_6TensorESK_SK_EERKSK_lbbbEUlllE0_EEPmJS9_EEE10hipError_tPvRmT3_T4_T5_T6_T7_T9_mT8_P12ihipStream_tbDpT10_ENKUlT_T0_E_clISt17integral_constantIbLb0EES19_IbLb1EEEEDaS15_S16_EUlS15_E_NS1_11comp_targetILNS1_3genE8ELNS1_11target_archE1030ELNS1_3gpuE2ELNS1_3repE0EEENS1_30default_config_static_selectorELNS0_4arch9wavefront6targetE1EEEvT1_.numbered_sgpr, 0
	.set _ZN7rocprim17ROCPRIM_400000_NS6detail17trampoline_kernelINS0_14default_configENS1_25partition_config_selectorILNS1_17partition_subalgoE9EllbEEZZNS1_14partition_implILS5_9ELb0ES3_jPlS8_PNS0_10empty_typeENS0_5tupleIJS8_S9_EEENSB_IJS8_SA_EEENS0_18inequality_wrapperIZN2at6native12_GLOBAL__N_124unique_dim_cuda_templateIjEESt5tupleIJNSF_6TensorESK_SK_EERKSK_lbbbEUlllE0_EEPmJS9_EEE10hipError_tPvRmT3_T4_T5_T6_T7_T9_mT8_P12ihipStream_tbDpT10_ENKUlT_T0_E_clISt17integral_constantIbLb0EES19_IbLb1EEEEDaS15_S16_EUlS15_E_NS1_11comp_targetILNS1_3genE8ELNS1_11target_archE1030ELNS1_3gpuE2ELNS1_3repE0EEENS1_30default_config_static_selectorELNS0_4arch9wavefront6targetE1EEEvT1_.num_named_barrier, 0
	.set _ZN7rocprim17ROCPRIM_400000_NS6detail17trampoline_kernelINS0_14default_configENS1_25partition_config_selectorILNS1_17partition_subalgoE9EllbEEZZNS1_14partition_implILS5_9ELb0ES3_jPlS8_PNS0_10empty_typeENS0_5tupleIJS8_S9_EEENSB_IJS8_SA_EEENS0_18inequality_wrapperIZN2at6native12_GLOBAL__N_124unique_dim_cuda_templateIjEESt5tupleIJNSF_6TensorESK_SK_EERKSK_lbbbEUlllE0_EEPmJS9_EEE10hipError_tPvRmT3_T4_T5_T6_T7_T9_mT8_P12ihipStream_tbDpT10_ENKUlT_T0_E_clISt17integral_constantIbLb0EES19_IbLb1EEEEDaS15_S16_EUlS15_E_NS1_11comp_targetILNS1_3genE8ELNS1_11target_archE1030ELNS1_3gpuE2ELNS1_3repE0EEENS1_30default_config_static_selectorELNS0_4arch9wavefront6targetE1EEEvT1_.private_seg_size, 0
	.set _ZN7rocprim17ROCPRIM_400000_NS6detail17trampoline_kernelINS0_14default_configENS1_25partition_config_selectorILNS1_17partition_subalgoE9EllbEEZZNS1_14partition_implILS5_9ELb0ES3_jPlS8_PNS0_10empty_typeENS0_5tupleIJS8_S9_EEENSB_IJS8_SA_EEENS0_18inequality_wrapperIZN2at6native12_GLOBAL__N_124unique_dim_cuda_templateIjEESt5tupleIJNSF_6TensorESK_SK_EERKSK_lbbbEUlllE0_EEPmJS9_EEE10hipError_tPvRmT3_T4_T5_T6_T7_T9_mT8_P12ihipStream_tbDpT10_ENKUlT_T0_E_clISt17integral_constantIbLb0EES19_IbLb1EEEEDaS15_S16_EUlS15_E_NS1_11comp_targetILNS1_3genE8ELNS1_11target_archE1030ELNS1_3gpuE2ELNS1_3repE0EEENS1_30default_config_static_selectorELNS0_4arch9wavefront6targetE1EEEvT1_.uses_vcc, 0
	.set _ZN7rocprim17ROCPRIM_400000_NS6detail17trampoline_kernelINS0_14default_configENS1_25partition_config_selectorILNS1_17partition_subalgoE9EllbEEZZNS1_14partition_implILS5_9ELb0ES3_jPlS8_PNS0_10empty_typeENS0_5tupleIJS8_S9_EEENSB_IJS8_SA_EEENS0_18inequality_wrapperIZN2at6native12_GLOBAL__N_124unique_dim_cuda_templateIjEESt5tupleIJNSF_6TensorESK_SK_EERKSK_lbbbEUlllE0_EEPmJS9_EEE10hipError_tPvRmT3_T4_T5_T6_T7_T9_mT8_P12ihipStream_tbDpT10_ENKUlT_T0_E_clISt17integral_constantIbLb0EES19_IbLb1EEEEDaS15_S16_EUlS15_E_NS1_11comp_targetILNS1_3genE8ELNS1_11target_archE1030ELNS1_3gpuE2ELNS1_3repE0EEENS1_30default_config_static_selectorELNS0_4arch9wavefront6targetE1EEEvT1_.uses_flat_scratch, 0
	.set _ZN7rocprim17ROCPRIM_400000_NS6detail17trampoline_kernelINS0_14default_configENS1_25partition_config_selectorILNS1_17partition_subalgoE9EllbEEZZNS1_14partition_implILS5_9ELb0ES3_jPlS8_PNS0_10empty_typeENS0_5tupleIJS8_S9_EEENSB_IJS8_SA_EEENS0_18inequality_wrapperIZN2at6native12_GLOBAL__N_124unique_dim_cuda_templateIjEESt5tupleIJNSF_6TensorESK_SK_EERKSK_lbbbEUlllE0_EEPmJS9_EEE10hipError_tPvRmT3_T4_T5_T6_T7_T9_mT8_P12ihipStream_tbDpT10_ENKUlT_T0_E_clISt17integral_constantIbLb0EES19_IbLb1EEEEDaS15_S16_EUlS15_E_NS1_11comp_targetILNS1_3genE8ELNS1_11target_archE1030ELNS1_3gpuE2ELNS1_3repE0EEENS1_30default_config_static_selectorELNS0_4arch9wavefront6targetE1EEEvT1_.has_dyn_sized_stack, 0
	.set _ZN7rocprim17ROCPRIM_400000_NS6detail17trampoline_kernelINS0_14default_configENS1_25partition_config_selectorILNS1_17partition_subalgoE9EllbEEZZNS1_14partition_implILS5_9ELb0ES3_jPlS8_PNS0_10empty_typeENS0_5tupleIJS8_S9_EEENSB_IJS8_SA_EEENS0_18inequality_wrapperIZN2at6native12_GLOBAL__N_124unique_dim_cuda_templateIjEESt5tupleIJNSF_6TensorESK_SK_EERKSK_lbbbEUlllE0_EEPmJS9_EEE10hipError_tPvRmT3_T4_T5_T6_T7_T9_mT8_P12ihipStream_tbDpT10_ENKUlT_T0_E_clISt17integral_constantIbLb0EES19_IbLb1EEEEDaS15_S16_EUlS15_E_NS1_11comp_targetILNS1_3genE8ELNS1_11target_archE1030ELNS1_3gpuE2ELNS1_3repE0EEENS1_30default_config_static_selectorELNS0_4arch9wavefront6targetE1EEEvT1_.has_recursion, 0
	.set _ZN7rocprim17ROCPRIM_400000_NS6detail17trampoline_kernelINS0_14default_configENS1_25partition_config_selectorILNS1_17partition_subalgoE9EllbEEZZNS1_14partition_implILS5_9ELb0ES3_jPlS8_PNS0_10empty_typeENS0_5tupleIJS8_S9_EEENSB_IJS8_SA_EEENS0_18inequality_wrapperIZN2at6native12_GLOBAL__N_124unique_dim_cuda_templateIjEESt5tupleIJNSF_6TensorESK_SK_EERKSK_lbbbEUlllE0_EEPmJS9_EEE10hipError_tPvRmT3_T4_T5_T6_T7_T9_mT8_P12ihipStream_tbDpT10_ENKUlT_T0_E_clISt17integral_constantIbLb0EES19_IbLb1EEEEDaS15_S16_EUlS15_E_NS1_11comp_targetILNS1_3genE8ELNS1_11target_archE1030ELNS1_3gpuE2ELNS1_3repE0EEENS1_30default_config_static_selectorELNS0_4arch9wavefront6targetE1EEEvT1_.has_indirect_call, 0
	.section	.AMDGPU.csdata,"",@progbits
; Kernel info:
; codeLenInByte = 0
; TotalNumSgprs: 6
; NumVgprs: 0
; NumAgprs: 0
; TotalNumVgprs: 0
; ScratchSize: 0
; MemoryBound: 0
; FloatMode: 240
; IeeeMode: 1
; LDSByteSize: 0 bytes/workgroup (compile time only)
; SGPRBlocks: 0
; VGPRBlocks: 0
; NumSGPRsForWavesPerEU: 6
; NumVGPRsForWavesPerEU: 1
; AccumOffset: 4
; Occupancy: 8
; WaveLimiterHint : 0
; COMPUTE_PGM_RSRC2:SCRATCH_EN: 0
; COMPUTE_PGM_RSRC2:USER_SGPR: 2
; COMPUTE_PGM_RSRC2:TRAP_HANDLER: 0
; COMPUTE_PGM_RSRC2:TGID_X_EN: 1
; COMPUTE_PGM_RSRC2:TGID_Y_EN: 0
; COMPUTE_PGM_RSRC2:TGID_Z_EN: 0
; COMPUTE_PGM_RSRC2:TIDIG_COMP_CNT: 0
; COMPUTE_PGM_RSRC3_GFX90A:ACCUM_OFFSET: 0
; COMPUTE_PGM_RSRC3_GFX90A:TG_SPLIT: 0
	.section	.text._ZN7rocprim17ROCPRIM_400000_NS6detail17trampoline_kernelINS0_14default_configENS1_37merge_sort_block_sort_config_selectorIlNS0_10empty_typeEEEZNS1_21merge_sort_block_sortIS3_PlS8_PS5_S9_ZN2at6native12_GLOBAL__N_124unique_dim_cuda_templateImEESt5tupleIJNSA_6TensorESF_SF_EERKSF_lbbbEUlllE_EE10hipError_tT0_T1_T2_T3_mRjT4_P12ihipStream_tbNS1_7vsmem_tEEUlT_E_NS1_11comp_targetILNS1_3genE0ELNS1_11target_archE4294967295ELNS1_3gpuE0ELNS1_3repE0EEENS1_30default_config_static_selectorELNS0_4arch9wavefront6targetE1EEEvSM_,"axG",@progbits,_ZN7rocprim17ROCPRIM_400000_NS6detail17trampoline_kernelINS0_14default_configENS1_37merge_sort_block_sort_config_selectorIlNS0_10empty_typeEEEZNS1_21merge_sort_block_sortIS3_PlS8_PS5_S9_ZN2at6native12_GLOBAL__N_124unique_dim_cuda_templateImEESt5tupleIJNSA_6TensorESF_SF_EERKSF_lbbbEUlllE_EE10hipError_tT0_T1_T2_T3_mRjT4_P12ihipStream_tbNS1_7vsmem_tEEUlT_E_NS1_11comp_targetILNS1_3genE0ELNS1_11target_archE4294967295ELNS1_3gpuE0ELNS1_3repE0EEENS1_30default_config_static_selectorELNS0_4arch9wavefront6targetE1EEEvSM_,comdat
	.globl	_ZN7rocprim17ROCPRIM_400000_NS6detail17trampoline_kernelINS0_14default_configENS1_37merge_sort_block_sort_config_selectorIlNS0_10empty_typeEEEZNS1_21merge_sort_block_sortIS3_PlS8_PS5_S9_ZN2at6native12_GLOBAL__N_124unique_dim_cuda_templateImEESt5tupleIJNSA_6TensorESF_SF_EERKSF_lbbbEUlllE_EE10hipError_tT0_T1_T2_T3_mRjT4_P12ihipStream_tbNS1_7vsmem_tEEUlT_E_NS1_11comp_targetILNS1_3genE0ELNS1_11target_archE4294967295ELNS1_3gpuE0ELNS1_3repE0EEENS1_30default_config_static_selectorELNS0_4arch9wavefront6targetE1EEEvSM_ ; -- Begin function _ZN7rocprim17ROCPRIM_400000_NS6detail17trampoline_kernelINS0_14default_configENS1_37merge_sort_block_sort_config_selectorIlNS0_10empty_typeEEEZNS1_21merge_sort_block_sortIS3_PlS8_PS5_S9_ZN2at6native12_GLOBAL__N_124unique_dim_cuda_templateImEESt5tupleIJNSA_6TensorESF_SF_EERKSF_lbbbEUlllE_EE10hipError_tT0_T1_T2_T3_mRjT4_P12ihipStream_tbNS1_7vsmem_tEEUlT_E_NS1_11comp_targetILNS1_3genE0ELNS1_11target_archE4294967295ELNS1_3gpuE0ELNS1_3repE0EEENS1_30default_config_static_selectorELNS0_4arch9wavefront6targetE1EEEvSM_
	.p2align	8
	.type	_ZN7rocprim17ROCPRIM_400000_NS6detail17trampoline_kernelINS0_14default_configENS1_37merge_sort_block_sort_config_selectorIlNS0_10empty_typeEEEZNS1_21merge_sort_block_sortIS3_PlS8_PS5_S9_ZN2at6native12_GLOBAL__N_124unique_dim_cuda_templateImEESt5tupleIJNSA_6TensorESF_SF_EERKSF_lbbbEUlllE_EE10hipError_tT0_T1_T2_T3_mRjT4_P12ihipStream_tbNS1_7vsmem_tEEUlT_E_NS1_11comp_targetILNS1_3genE0ELNS1_11target_archE4294967295ELNS1_3gpuE0ELNS1_3repE0EEENS1_30default_config_static_selectorELNS0_4arch9wavefront6targetE1EEEvSM_,@function
_ZN7rocprim17ROCPRIM_400000_NS6detail17trampoline_kernelINS0_14default_configENS1_37merge_sort_block_sort_config_selectorIlNS0_10empty_typeEEEZNS1_21merge_sort_block_sortIS3_PlS8_PS5_S9_ZN2at6native12_GLOBAL__N_124unique_dim_cuda_templateImEESt5tupleIJNSA_6TensorESF_SF_EERKSF_lbbbEUlllE_EE10hipError_tT0_T1_T2_T3_mRjT4_P12ihipStream_tbNS1_7vsmem_tEEUlT_E_NS1_11comp_targetILNS1_3genE0ELNS1_11target_archE4294967295ELNS1_3gpuE0ELNS1_3repE0EEENS1_30default_config_static_selectorELNS0_4arch9wavefront6targetE1EEEvSM_: ; @_ZN7rocprim17ROCPRIM_400000_NS6detail17trampoline_kernelINS0_14default_configENS1_37merge_sort_block_sort_config_selectorIlNS0_10empty_typeEEEZNS1_21merge_sort_block_sortIS3_PlS8_PS5_S9_ZN2at6native12_GLOBAL__N_124unique_dim_cuda_templateImEESt5tupleIJNSA_6TensorESF_SF_EERKSF_lbbbEUlllE_EE10hipError_tT0_T1_T2_T3_mRjT4_P12ihipStream_tbNS1_7vsmem_tEEUlT_E_NS1_11comp_targetILNS1_3genE0ELNS1_11target_archE4294967295ELNS1_3gpuE0ELNS1_3repE0EEENS1_30default_config_static_selectorELNS0_4arch9wavefront6targetE1EEEvSM_
; %bb.0:
	s_mov_b32 s14, s2
	s_load_dwordx2 s[18:19], s[0:1], 0x48
	s_load_dword s2, s[0:1], 0x0
	s_add_u32 s16, s0, 0x48
	s_addc_u32 s17, s1, 0
	s_waitcnt lgkmcnt(0)
	s_mul_i32 s4, s19, s4
	s_add_i32 s3, s4, s3
	s_mul_i32 s3, s3, s18
	s_add_i32 s6, s3, s14
	s_cmp_ge_u32 s6, s2
	s_cbranch_scc1 .LBB1605_1484
; %bb.1:
	s_load_dwordx2 s[8:9], s[0:1], 0x8
	s_load_dwordx4 s[20:23], s[0:1], 0x18
	s_load_dwordx4 s[36:39], s[0:1], 0x38
	s_mov_b32 s7, 0
	s_lshl_b64 s[2:3], s[6:7], 14
	s_waitcnt lgkmcnt(0)
	s_lshr_b64 s[0:1], s[8:9], 11
	s_add_u32 s20, s20, s2
	s_addc_u32 s21, s21, s3
	s_add_u32 s34, s22, s2
	s_addc_u32 s35, s23, s3
	s_cmp_lg_u64 s[0:1], s[6:7]
	v_and_b32_e32 v18, 0x3ff, v0
	s_cbranch_scc0 .LBB1605_8
; %bb.2:
	v_mov_b32_e32 v19, 0
	v_lshlrev_b32_e32 v20, 3, v18
	v_mov_b32_e32 v21, v19
	v_lshl_add_u64 v[2:3], s[20:21], 0, v[20:21]
	v_add_co_u32_e32 v8, vcc, 0x1000, v2
	global_load_dwordx2 v[4:5], v20, s[20:21]
	global_load_dwordx2 v[6:7], v20, s[20:21] offset:2048
	v_addc_co_u32_e32 v9, vcc, 0, v3, vcc
	v_add_co_u32_e32 v10, vcc, 0x2000, v2
	v_lshrrev_b32_e32 v1, 2, v18
	s_nop 0
	v_addc_co_u32_e32 v11, vcc, 0, v3, vcc
	v_add_co_u32_e32 v2, vcc, 0x3000, v2
	global_load_dwordx2 v[12:13], v[8:9], off
	global_load_dwordx2 v[14:15], v[8:9], off offset:2048
	global_load_dwordx2 v[16:17], v[10:11], off
	global_load_dwordx2 v[22:23], v[10:11], off offset:2048
	v_addc_co_u32_e32 v3, vcc, 0, v3, vcc
	global_load_dwordx2 v[8:9], v[2:3], off
	global_load_dwordx2 v[10:11], v[2:3], off offset:2048
	v_add_u32_e32 v2, 0x100, v18
	v_add_u32_e32 v3, 0x200, v18
	v_add_u32_e32 v21, 0x300, v18
	v_or_b32_e32 v24, 0x400, v18
	v_add_u32_e32 v25, 0x500, v18
	v_add_u32_e32 v26, 0x600, v18
	v_add_u32_e32 v27, 0x700, v18
	v_lshlrev_b32_e32 v28, 1, v18
	v_and_b32_e32 v1, 0xf8, v1
	v_lshrrev_b32_e32 v2, 2, v2
	v_lshrrev_b32_e32 v3, 2, v3
	;; [unrolled: 1-line block ×7, first 2 shown]
	v_and_b32_e32 v28, 0x7f8, v28
	v_add_u32_e32 v1, v1, v20
	v_and_b32_e32 v2, 0x1f8, v2
	v_and_b32_e32 v3, 0x1f8, v3
	;; [unrolled: 1-line block ×7, first 2 shown]
	v_lshl_add_u32 v34, v18, 6, v28
	v_add_u32_e32 v21, v2, v20
	v_add_u32_e32 v28, v3, v20
	;; [unrolled: 1-line block ×7, first 2 shown]
	v_bfe_u32 v24, v0, 20, 10
	v_cmp_gt_i64_e64 s[12:13], s[36:37], 0
	s_waitcnt vmcnt(7)
	ds_write_b64 v1, v[4:5]
	s_waitcnt vmcnt(6)
	ds_write_b64 v21, v[6:7] offset:2048
	s_waitcnt vmcnt(5)
	ds_write_b64 v28, v[12:13] offset:4096
	s_waitcnt vmcnt(4)
	ds_write_b64 v29, v[14:15] offset:6144
	s_waitcnt vmcnt(3)
	ds_write_b64 v30, v[16:17] offset:8192
	s_waitcnt vmcnt(2)
	ds_write_b64 v31, v[22:23] offset:10240
	s_waitcnt vmcnt(1)
	ds_write_b64 v32, v[8:9] offset:12288
	s_waitcnt vmcnt(0)
	ds_write_b64 v33, v[10:11] offset:14336
	s_waitcnt lgkmcnt(0)
	s_barrier
	ds_read2_b64 v[14:17], v34 offset1:1
	ds_read2_b64 v[10:13], v34 offset0:2 offset1:3
	ds_read2_b64 v[6:9], v34 offset0:4 offset1:5
	;; [unrolled: 1-line block ×3, first 2 shown]
	s_waitcnt lgkmcnt(0)
	s_barrier
	s_load_dword s0, s[16:17], 0xc
	v_bfe_u32 v23, v0, 10, 10
	v_cndmask_b32_e64 v25, 0, 1, s[12:13]
	s_waitcnt lgkmcnt(0)
	s_lshr_b32 s2, s0, 16
	s_cmp_lt_u32 s14, s18
	s_cselect_b32 s0, 12, 18
	s_add_u32 s0, s16, s0
	s_addc_u32 s1, s17, 0
	global_load_ushort v22, v19, s[0:1]
	v_mad_u32_u24 v23, v24, s2, v23
	s_movk_i32 s0, 0x800
	s_waitcnt vmcnt(0)
	v_mul_lo_u32 v22, v23, v22
	v_add_lshl_u32 v26, v22, v18, 3
	v_cmp_gt_u32_e32 vcc, s0, v26
	v_cmp_ne_u32_e64 s[0:1], 1, v25
	s_and_saveexec_b64 s[10:11], vcc
	s_cbranch_execz .LBB1605_188
; %bb.3:
	s_and_b64 vcc, exec, s[0:1]
	s_cbranch_vccnz .LBB1605_18
; %bb.4:
	v_mul_lo_u32 v24, v17, s36
	v_mul_lo_u32 v25, v16, s37
	v_mad_u64_u32 v[22:23], s[2:3], v16, s36, 0
	v_add3_u32 v23, v23, v25, v24
	v_mul_lo_u32 v27, v15, s36
	v_mul_lo_u32 v35, v14, s37
	v_mad_u64_u32 v[24:25], s[2:3], v14, s36, 0
	v_add3_u32 v25, v25, v35, v27
	v_lshl_add_u64 v[22:23], v[22:23], 3, s[38:39]
	v_lshl_add_u64 v[24:25], v[24:25], 3, s[38:39]
	s_mov_b64 s[24:25], 0
	s_mov_b64 s[42:43], s[36:37]
                                        ; implicit-def: $sgpr22_sgpr23
                                        ; implicit-def: $sgpr26_sgpr27
                                        ; implicit-def: $sgpr30_sgpr31
                                        ; implicit-def: $sgpr28_sgpr29
                                        ; implicit-def: $sgpr40_sgpr41
	s_branch .LBB1605_6
.LBB1605_5:                             ;   in Loop: Header=BB1605_6 Depth=1
	s_or_b64 exec, exec, s[44:45]
	s_and_b64 s[2:3], s[2:3], s[40:41]
	s_or_b64 s[2:3], vcc, s[2:3]
	s_and_b64 s[4:5], exec, s[30:31]
	s_or_b64 s[24:25], s[4:5], s[24:25]
	s_andn2_b64 s[4:5], s[40:41], exec
	s_and_b64 s[2:3], s[2:3], exec
	s_or_b64 s[40:41], s[4:5], s[2:3]
	s_andn2_b64 s[4:5], s[26:27], exec
	s_and_b64 s[26:27], s[28:29], exec
	s_or_b64 s[26:27], s[4:5], s[26:27]
	s_andn2_b64 s[4:5], s[22:23], exec
	s_or_b64 s[22:23], s[4:5], s[2:3]
	s_andn2_b64 exec, exec, s[24:25]
	s_cbranch_execz .LBB1605_9
.LBB1605_6:                             ; =>This Inner Loop Header: Depth=1
	global_load_dwordx2 v[36:37], v[22:23], off
	global_load_dwordx2 v[38:39], v[24:25], off
	s_or_b64 s[28:29], s[28:29], exec
	s_or_b64 s[30:31], s[30:31], exec
	s_waitcnt vmcnt(0)
	v_cmp_lt_u64_e32 vcc, v[36:37], v[38:39]
	v_cmp_le_u64_e64 s[2:3], v[36:37], v[38:39]
	v_cmp_eq_u64_e64 s[4:5], v[36:37], v[38:39]
	s_and_saveexec_b64 s[44:45], s[4:5]
	s_cbranch_execz .LBB1605_5
; %bb.7:                                ;   in Loop: Header=BB1605_6 Depth=1
	s_add_u32 s42, s42, -1
	s_addc_u32 s43, s43, -1
	s_cmp_eq_u64 s[42:43], 0
	s_cselect_b64 s[4:5], -1, 0
	s_andn2_b64 s[30:31], s[30:31], exec
	s_and_b64 s[4:5], s[4:5], exec
	v_lshl_add_u64 v[22:23], v[22:23], 0, 8
	v_lshl_add_u64 v[24:25], v[24:25], 0, 8
	s_andn2_b64 s[28:29], s[28:29], exec
	s_or_b64 s[30:31], s[30:31], s[4:5]
	s_branch .LBB1605_5
.LBB1605_8:
	s_mov_b64 s[40:41], 0
                                        ; implicit-def: $vgpr14_vgpr15
	s_cbranch_execnz .LBB1605_697
	s_branch .LBB1605_1482
.LBB1605_9:
	s_or_b64 exec, exec, s[24:25]
	s_and_saveexec_b64 s[2:3], s[26:27]
	s_xor_b64 s[2:3], exec, s[2:3]
; %bb.10:
	v_cndmask_b32_e64 v23, v17, v15, s[22:23]
	v_cndmask_b32_e64 v22, v16, v14, s[22:23]
	;; [unrolled: 1-line block ×4, first 2 shown]
	v_mov_b64_e32 v[16:17], v[22:23]
; %bb.11:
	s_or_b64 exec, exec, s[2:3]
	v_mul_lo_u32 v24, v13, s36
	v_mul_lo_u32 v25, v12, s37
	v_mad_u64_u32 v[22:23], s[2:3], v12, s36, 0
	v_add3_u32 v23, v23, v25, v24
	v_mul_lo_u32 v27, v11, s36
	v_mul_lo_u32 v35, v10, s37
	v_mad_u64_u32 v[24:25], s[2:3], v10, s36, 0
	v_add3_u32 v25, v25, v35, v27
	v_lshl_add_u64 v[22:23], v[22:23], 3, s[38:39]
	v_lshl_add_u64 v[24:25], v[24:25], 3, s[38:39]
	s_mov_b64 s[26:27], 0
	s_mov_b64 s[42:43], s[36:37]
                                        ; implicit-def: $sgpr22_sgpr23
                                        ; implicit-def: $sgpr24_sgpr25
                                        ; implicit-def: $sgpr30_sgpr31
                                        ; implicit-def: $sgpr28_sgpr29
                                        ; implicit-def: $sgpr40_sgpr41
	s_branch .LBB1605_13
.LBB1605_12:                            ;   in Loop: Header=BB1605_13 Depth=1
	s_or_b64 exec, exec, s[44:45]
	s_and_b64 s[2:3], s[2:3], s[40:41]
	s_or_b64 s[2:3], vcc, s[2:3]
	s_and_b64 s[4:5], exec, s[30:31]
	s_or_b64 s[26:27], s[4:5], s[26:27]
	s_andn2_b64 s[4:5], s[40:41], exec
	s_and_b64 s[2:3], s[2:3], exec
	s_or_b64 s[40:41], s[4:5], s[2:3]
	s_andn2_b64 s[4:5], s[24:25], exec
	s_and_b64 s[24:25], s[28:29], exec
	s_or_b64 s[24:25], s[4:5], s[24:25]
	s_andn2_b64 s[4:5], s[22:23], exec
	s_or_b64 s[22:23], s[4:5], s[2:3]
	s_andn2_b64 exec, exec, s[26:27]
	s_cbranch_execz .LBB1605_15
.LBB1605_13:                            ; =>This Inner Loop Header: Depth=1
	global_load_dwordx2 v[36:37], v[22:23], off
	global_load_dwordx2 v[38:39], v[24:25], off
	s_or_b64 s[28:29], s[28:29], exec
	s_or_b64 s[30:31], s[30:31], exec
	s_waitcnt vmcnt(0)
	v_cmp_lt_u64_e32 vcc, v[36:37], v[38:39]
	v_cmp_le_u64_e64 s[2:3], v[36:37], v[38:39]
	v_cmp_eq_u64_e64 s[4:5], v[36:37], v[38:39]
	s_and_saveexec_b64 s[44:45], s[4:5]
	s_cbranch_execz .LBB1605_12
; %bb.14:                               ;   in Loop: Header=BB1605_13 Depth=1
	s_add_u32 s42, s42, -1
	s_addc_u32 s43, s43, -1
	s_cmp_eq_u64 s[42:43], 0
	s_cselect_b64 s[4:5], -1, 0
	s_andn2_b64 s[30:31], s[30:31], exec
	s_and_b64 s[4:5], s[4:5], exec
	v_lshl_add_u64 v[22:23], v[22:23], 0, 8
	v_lshl_add_u64 v[24:25], v[24:25], 0, 8
	s_andn2_b64 s[28:29], s[28:29], exec
	s_or_b64 s[30:31], s[30:31], s[4:5]
	s_branch .LBB1605_12
.LBB1605_15:
	s_or_b64 exec, exec, s[26:27]
	s_and_saveexec_b64 s[2:3], s[24:25]
	s_xor_b64 s[2:3], exec, s[2:3]
; %bb.16:
	v_cndmask_b32_e64 v23, v11, v13, s[22:23]
	v_cndmask_b32_e64 v22, v10, v12, s[22:23]
	;; [unrolled: 1-line block ×4, first 2 shown]
	v_mov_b64_e32 v[10:11], v[22:23]
; %bb.17:
	s_or_b64 exec, exec, s[2:3]
.LBB1605_18:
	s_and_b64 vcc, exec, s[0:1]
	s_cbranch_vccnz .LBB1605_32
; %bb.19:
	v_mul_lo_u32 v24, v9, s36
	v_mul_lo_u32 v25, v8, s37
	v_mad_u64_u32 v[22:23], s[2:3], v8, s36, 0
	v_add3_u32 v23, v23, v25, v24
	v_mul_lo_u32 v27, v7, s36
	v_mul_lo_u32 v35, v6, s37
	v_mad_u64_u32 v[24:25], s[2:3], v6, s36, 0
	v_add3_u32 v25, v25, v35, v27
	v_lshl_add_u64 v[22:23], v[22:23], 3, s[38:39]
	v_lshl_add_u64 v[24:25], v[24:25], 3, s[38:39]
	s_mov_b64 s[24:25], 0
	s_mov_b64 s[42:43], s[36:37]
                                        ; implicit-def: $sgpr22_sgpr23
                                        ; implicit-def: $sgpr26_sgpr27
                                        ; implicit-def: $sgpr30_sgpr31
                                        ; implicit-def: $sgpr28_sgpr29
                                        ; implicit-def: $sgpr40_sgpr41
	s_branch .LBB1605_21
.LBB1605_20:                            ;   in Loop: Header=BB1605_21 Depth=1
	s_or_b64 exec, exec, s[44:45]
	s_and_b64 s[2:3], s[2:3], s[40:41]
	s_or_b64 s[2:3], vcc, s[2:3]
	s_and_b64 s[4:5], exec, s[30:31]
	s_or_b64 s[24:25], s[4:5], s[24:25]
	s_andn2_b64 s[4:5], s[40:41], exec
	s_and_b64 s[2:3], s[2:3], exec
	s_or_b64 s[40:41], s[4:5], s[2:3]
	s_andn2_b64 s[4:5], s[26:27], exec
	s_and_b64 s[26:27], s[28:29], exec
	s_or_b64 s[26:27], s[4:5], s[26:27]
	s_andn2_b64 s[4:5], s[22:23], exec
	s_or_b64 s[22:23], s[4:5], s[2:3]
	s_andn2_b64 exec, exec, s[24:25]
	s_cbranch_execz .LBB1605_23
.LBB1605_21:                            ; =>This Inner Loop Header: Depth=1
	global_load_dwordx2 v[36:37], v[22:23], off
	global_load_dwordx2 v[38:39], v[24:25], off
	s_or_b64 s[28:29], s[28:29], exec
	s_or_b64 s[30:31], s[30:31], exec
	s_waitcnt vmcnt(0)
	v_cmp_lt_u64_e32 vcc, v[36:37], v[38:39]
	v_cmp_le_u64_e64 s[2:3], v[36:37], v[38:39]
	v_cmp_eq_u64_e64 s[4:5], v[36:37], v[38:39]
	s_and_saveexec_b64 s[44:45], s[4:5]
	s_cbranch_execz .LBB1605_20
; %bb.22:                               ;   in Loop: Header=BB1605_21 Depth=1
	s_add_u32 s42, s42, -1
	s_addc_u32 s43, s43, -1
	s_cmp_eq_u64 s[42:43], 0
	s_cselect_b64 s[4:5], -1, 0
	s_andn2_b64 s[30:31], s[30:31], exec
	s_and_b64 s[4:5], s[4:5], exec
	v_lshl_add_u64 v[22:23], v[22:23], 0, 8
	v_lshl_add_u64 v[24:25], v[24:25], 0, 8
	s_andn2_b64 s[28:29], s[28:29], exec
	s_or_b64 s[30:31], s[30:31], s[4:5]
	s_branch .LBB1605_20
.LBB1605_23:
	s_or_b64 exec, exec, s[24:25]
	s_and_saveexec_b64 s[2:3], s[26:27]
	s_xor_b64 s[2:3], exec, s[2:3]
; %bb.24:
	v_cndmask_b32_e64 v23, v7, v9, s[22:23]
	v_cndmask_b32_e64 v22, v6, v8, s[22:23]
	;; [unrolled: 1-line block ×4, first 2 shown]
	v_mov_b64_e32 v[6:7], v[22:23]
; %bb.25:
	s_or_b64 exec, exec, s[2:3]
	v_mul_lo_u32 v24, v5, s36
	v_mul_lo_u32 v25, v4, s37
	v_mad_u64_u32 v[22:23], s[2:3], v4, s36, 0
	v_add3_u32 v23, v23, v25, v24
	v_mul_lo_u32 v27, v3, s36
	v_mul_lo_u32 v35, v2, s37
	v_mad_u64_u32 v[24:25], s[2:3], v2, s36, 0
	v_add3_u32 v25, v25, v35, v27
	v_lshl_add_u64 v[22:23], v[22:23], 3, s[38:39]
	v_lshl_add_u64 v[24:25], v[24:25], 3, s[38:39]
	s_mov_b64 s[26:27], 0
	s_mov_b64 s[42:43], s[36:37]
                                        ; implicit-def: $sgpr22_sgpr23
                                        ; implicit-def: $sgpr24_sgpr25
                                        ; implicit-def: $sgpr30_sgpr31
                                        ; implicit-def: $sgpr28_sgpr29
                                        ; implicit-def: $sgpr40_sgpr41
	s_branch .LBB1605_27
.LBB1605_26:                            ;   in Loop: Header=BB1605_27 Depth=1
	s_or_b64 exec, exec, s[44:45]
	s_and_b64 s[2:3], s[2:3], s[40:41]
	s_or_b64 s[2:3], vcc, s[2:3]
	s_and_b64 s[4:5], exec, s[30:31]
	s_or_b64 s[26:27], s[4:5], s[26:27]
	s_andn2_b64 s[4:5], s[40:41], exec
	s_and_b64 s[2:3], s[2:3], exec
	s_or_b64 s[40:41], s[4:5], s[2:3]
	s_andn2_b64 s[4:5], s[24:25], exec
	s_and_b64 s[24:25], s[28:29], exec
	s_or_b64 s[24:25], s[4:5], s[24:25]
	s_andn2_b64 s[4:5], s[22:23], exec
	s_or_b64 s[22:23], s[4:5], s[2:3]
	s_andn2_b64 exec, exec, s[26:27]
	s_cbranch_execz .LBB1605_29
.LBB1605_27:                            ; =>This Inner Loop Header: Depth=1
	global_load_dwordx2 v[36:37], v[22:23], off
	global_load_dwordx2 v[38:39], v[24:25], off
	s_or_b64 s[28:29], s[28:29], exec
	s_or_b64 s[30:31], s[30:31], exec
	s_waitcnt vmcnt(0)
	v_cmp_lt_u64_e32 vcc, v[36:37], v[38:39]
	v_cmp_le_u64_e64 s[2:3], v[36:37], v[38:39]
	v_cmp_eq_u64_e64 s[4:5], v[36:37], v[38:39]
	s_and_saveexec_b64 s[44:45], s[4:5]
	s_cbranch_execz .LBB1605_26
; %bb.28:                               ;   in Loop: Header=BB1605_27 Depth=1
	s_add_u32 s42, s42, -1
	s_addc_u32 s43, s43, -1
	s_cmp_eq_u64 s[42:43], 0
	s_cselect_b64 s[4:5], -1, 0
	s_andn2_b64 s[30:31], s[30:31], exec
	s_and_b64 s[4:5], s[4:5], exec
	v_lshl_add_u64 v[22:23], v[22:23], 0, 8
	v_lshl_add_u64 v[24:25], v[24:25], 0, 8
	s_andn2_b64 s[28:29], s[28:29], exec
	s_or_b64 s[30:31], s[30:31], s[4:5]
	s_branch .LBB1605_26
.LBB1605_29:
	s_or_b64 exec, exec, s[26:27]
	s_and_saveexec_b64 s[2:3], s[24:25]
	s_xor_b64 s[2:3], exec, s[2:3]
; %bb.30:
	v_cndmask_b32_e64 v23, v3, v5, s[22:23]
	v_cndmask_b32_e64 v22, v2, v4, s[22:23]
	;; [unrolled: 1-line block ×4, first 2 shown]
	v_mov_b64_e32 v[2:3], v[22:23]
; %bb.31:
	s_or_b64 exec, exec, s[2:3]
.LBB1605_32:
	s_and_b64 vcc, exec, s[12:13]
	s_cbranch_vccz .LBB1605_46
; %bb.33:
	v_mul_lo_u32 v24, v11, s36
	v_mul_lo_u32 v25, v10, s37
	v_mad_u64_u32 v[22:23], s[2:3], v10, s36, 0
	v_add3_u32 v23, v23, v25, v24
	v_mul_lo_u32 v27, v17, s36
	v_mul_lo_u32 v35, v16, s37
	v_mad_u64_u32 v[24:25], s[2:3], v16, s36, 0
	v_add3_u32 v25, v25, v35, v27
	v_lshl_add_u64 v[22:23], v[22:23], 3, s[38:39]
	v_lshl_add_u64 v[24:25], v[24:25], 3, s[38:39]
	s_mov_b64 s[22:23], 0
	s_mov_b64 s[40:41], s[36:37]
                                        ; implicit-def: $sgpr12_sgpr13
                                        ; implicit-def: $sgpr24_sgpr25
                                        ; implicit-def: $sgpr28_sgpr29
                                        ; implicit-def: $sgpr26_sgpr27
                                        ; implicit-def: $sgpr30_sgpr31
	s_branch .LBB1605_35
.LBB1605_34:                            ;   in Loop: Header=BB1605_35 Depth=1
	s_or_b64 exec, exec, s[42:43]
	s_and_b64 s[2:3], s[2:3], s[30:31]
	s_or_b64 s[2:3], vcc, s[2:3]
	s_and_b64 s[4:5], exec, s[28:29]
	s_or_b64 s[22:23], s[4:5], s[22:23]
	s_andn2_b64 s[4:5], s[30:31], exec
	s_and_b64 s[2:3], s[2:3], exec
	s_or_b64 s[30:31], s[4:5], s[2:3]
	s_andn2_b64 s[4:5], s[24:25], exec
	s_and_b64 s[24:25], s[26:27], exec
	s_or_b64 s[24:25], s[4:5], s[24:25]
	s_andn2_b64 s[4:5], s[12:13], exec
	s_or_b64 s[12:13], s[4:5], s[2:3]
	s_andn2_b64 exec, exec, s[22:23]
	s_cbranch_execz .LBB1605_37
.LBB1605_35:                            ; =>This Inner Loop Header: Depth=1
	global_load_dwordx2 v[36:37], v[22:23], off
	global_load_dwordx2 v[38:39], v[24:25], off
	s_or_b64 s[26:27], s[26:27], exec
	s_or_b64 s[28:29], s[28:29], exec
	s_waitcnt vmcnt(0)
	v_cmp_lt_u64_e32 vcc, v[36:37], v[38:39]
	v_cmp_le_u64_e64 s[2:3], v[36:37], v[38:39]
	v_cmp_eq_u64_e64 s[4:5], v[36:37], v[38:39]
	s_and_saveexec_b64 s[42:43], s[4:5]
	s_cbranch_execz .LBB1605_34
; %bb.36:                               ;   in Loop: Header=BB1605_35 Depth=1
	s_add_u32 s40, s40, -1
	s_addc_u32 s41, s41, -1
	s_cmp_eq_u64 s[40:41], 0
	s_cselect_b64 s[4:5], -1, 0
	s_andn2_b64 s[28:29], s[28:29], exec
	s_and_b64 s[4:5], s[4:5], exec
	v_lshl_add_u64 v[22:23], v[22:23], 0, 8
	v_lshl_add_u64 v[24:25], v[24:25], 0, 8
	s_andn2_b64 s[26:27], s[26:27], exec
	s_or_b64 s[28:29], s[28:29], s[4:5]
	s_branch .LBB1605_34
.LBB1605_37:
	s_or_b64 exec, exec, s[22:23]
	s_and_saveexec_b64 s[2:3], s[24:25]
	s_xor_b64 s[2:3], exec, s[2:3]
; %bb.38:
	v_cndmask_b32_e64 v23, v17, v11, s[12:13]
	v_cndmask_b32_e64 v22, v16, v10, s[12:13]
	;; [unrolled: 1-line block ×4, first 2 shown]
	v_mov_b64_e32 v[16:17], v[22:23]
; %bb.39:
	s_or_b64 exec, exec, s[2:3]
	v_mul_lo_u32 v24, v7, s36
	v_mul_lo_u32 v25, v6, s37
	v_mad_u64_u32 v[22:23], s[2:3], v6, s36, 0
	v_add3_u32 v23, v23, v25, v24
	v_mul_lo_u32 v27, v13, s36
	v_mul_lo_u32 v35, v12, s37
	v_mad_u64_u32 v[24:25], s[2:3], v12, s36, 0
	v_add3_u32 v25, v25, v35, v27
	v_lshl_add_u64 v[22:23], v[22:23], 3, s[38:39]
	v_lshl_add_u64 v[24:25], v[24:25], 3, s[38:39]
	s_mov_b64 s[24:25], 0
	s_mov_b64 s[40:41], s[36:37]
                                        ; implicit-def: $sgpr12_sgpr13
                                        ; implicit-def: $sgpr22_sgpr23
                                        ; implicit-def: $sgpr28_sgpr29
                                        ; implicit-def: $sgpr26_sgpr27
                                        ; implicit-def: $sgpr30_sgpr31
	s_branch .LBB1605_41
.LBB1605_40:                            ;   in Loop: Header=BB1605_41 Depth=1
	s_or_b64 exec, exec, s[42:43]
	s_and_b64 s[2:3], s[2:3], s[30:31]
	s_or_b64 s[2:3], vcc, s[2:3]
	s_and_b64 s[4:5], exec, s[28:29]
	s_or_b64 s[24:25], s[4:5], s[24:25]
	s_andn2_b64 s[4:5], s[30:31], exec
	s_and_b64 s[2:3], s[2:3], exec
	s_or_b64 s[30:31], s[4:5], s[2:3]
	s_andn2_b64 s[4:5], s[22:23], exec
	s_and_b64 s[22:23], s[26:27], exec
	s_or_b64 s[22:23], s[4:5], s[22:23]
	s_andn2_b64 s[4:5], s[12:13], exec
	s_or_b64 s[12:13], s[4:5], s[2:3]
	s_andn2_b64 exec, exec, s[24:25]
	s_cbranch_execz .LBB1605_43
.LBB1605_41:                            ; =>This Inner Loop Header: Depth=1
	global_load_dwordx2 v[36:37], v[22:23], off
	global_load_dwordx2 v[38:39], v[24:25], off
	s_or_b64 s[26:27], s[26:27], exec
	s_or_b64 s[28:29], s[28:29], exec
	s_waitcnt vmcnt(0)
	v_cmp_lt_u64_e32 vcc, v[36:37], v[38:39]
	v_cmp_le_u64_e64 s[2:3], v[36:37], v[38:39]
	v_cmp_eq_u64_e64 s[4:5], v[36:37], v[38:39]
	s_and_saveexec_b64 s[42:43], s[4:5]
	s_cbranch_execz .LBB1605_40
; %bb.42:                               ;   in Loop: Header=BB1605_41 Depth=1
	s_add_u32 s40, s40, -1
	s_addc_u32 s41, s41, -1
	s_cmp_eq_u64 s[40:41], 0
	s_cselect_b64 s[4:5], -1, 0
	s_andn2_b64 s[28:29], s[28:29], exec
	s_and_b64 s[4:5], s[4:5], exec
	v_lshl_add_u64 v[22:23], v[22:23], 0, 8
	v_lshl_add_u64 v[24:25], v[24:25], 0, 8
	s_andn2_b64 s[26:27], s[26:27], exec
	s_or_b64 s[28:29], s[28:29], s[4:5]
	s_branch .LBB1605_40
.LBB1605_43:
	s_or_b64 exec, exec, s[24:25]
	s_and_saveexec_b64 s[2:3], s[22:23]
	s_xor_b64 s[2:3], exec, s[2:3]
; %bb.44:
	v_cndmask_b32_e64 v23, v13, v7, s[12:13]
	v_cndmask_b32_e64 v22, v12, v6, s[12:13]
	;; [unrolled: 1-line block ×4, first 2 shown]
	v_mov_b64_e32 v[12:13], v[22:23]
; %bb.45:
	s_or_b64 exec, exec, s[2:3]
.LBB1605_46:
	s_and_b64 vcc, exec, s[0:1]
	s_cbranch_vccnz .LBB1605_72
; %bb.47:
	v_mul_lo_u32 v24, v3, s36
	v_mul_lo_u32 v25, v2, s37
	v_mad_u64_u32 v[22:23], s[2:3], v2, s36, 0
	v_add3_u32 v23, v23, v25, v24
	v_mul_lo_u32 v27, v9, s36
	v_mul_lo_u32 v35, v8, s37
	v_mad_u64_u32 v[24:25], s[2:3], v8, s36, 0
	v_add3_u32 v25, v25, v35, v27
	v_lshl_add_u64 v[22:23], v[22:23], 3, s[38:39]
	v_lshl_add_u64 v[24:25], v[24:25], 3, s[38:39]
	s_mov_b64 s[22:23], 0
	s_mov_b64 s[40:41], s[36:37]
                                        ; implicit-def: $sgpr12_sgpr13
                                        ; implicit-def: $sgpr24_sgpr25
                                        ; implicit-def: $sgpr28_sgpr29
                                        ; implicit-def: $sgpr26_sgpr27
                                        ; implicit-def: $sgpr30_sgpr31
	s_branch .LBB1605_49
.LBB1605_48:                            ;   in Loop: Header=BB1605_49 Depth=1
	s_or_b64 exec, exec, s[42:43]
	s_and_b64 s[2:3], s[2:3], s[30:31]
	s_or_b64 s[2:3], vcc, s[2:3]
	s_and_b64 s[4:5], exec, s[28:29]
	s_or_b64 s[22:23], s[4:5], s[22:23]
	s_andn2_b64 s[4:5], s[30:31], exec
	s_and_b64 s[2:3], s[2:3], exec
	s_or_b64 s[30:31], s[4:5], s[2:3]
	s_andn2_b64 s[4:5], s[24:25], exec
	s_and_b64 s[24:25], s[26:27], exec
	s_or_b64 s[24:25], s[4:5], s[24:25]
	s_andn2_b64 s[4:5], s[12:13], exec
	s_or_b64 s[12:13], s[4:5], s[2:3]
	s_andn2_b64 exec, exec, s[22:23]
	s_cbranch_execz .LBB1605_51
.LBB1605_49:                            ; =>This Inner Loop Header: Depth=1
	global_load_dwordx2 v[36:37], v[22:23], off
	global_load_dwordx2 v[38:39], v[24:25], off
	s_or_b64 s[26:27], s[26:27], exec
	s_or_b64 s[28:29], s[28:29], exec
	s_waitcnt vmcnt(0)
	v_cmp_lt_u64_e32 vcc, v[36:37], v[38:39]
	v_cmp_le_u64_e64 s[2:3], v[36:37], v[38:39]
	v_cmp_eq_u64_e64 s[4:5], v[36:37], v[38:39]
	s_and_saveexec_b64 s[42:43], s[4:5]
	s_cbranch_execz .LBB1605_48
; %bb.50:                               ;   in Loop: Header=BB1605_49 Depth=1
	s_add_u32 s40, s40, -1
	s_addc_u32 s41, s41, -1
	s_cmp_eq_u64 s[40:41], 0
	s_cselect_b64 s[4:5], -1, 0
	s_andn2_b64 s[28:29], s[28:29], exec
	s_and_b64 s[4:5], s[4:5], exec
	v_lshl_add_u64 v[22:23], v[22:23], 0, 8
	v_lshl_add_u64 v[24:25], v[24:25], 0, 8
	s_andn2_b64 s[26:27], s[26:27], exec
	s_or_b64 s[28:29], s[28:29], s[4:5]
	s_branch .LBB1605_48
.LBB1605_51:
	s_or_b64 exec, exec, s[22:23]
	s_and_saveexec_b64 s[2:3], s[24:25]
	s_xor_b64 s[2:3], exec, s[2:3]
; %bb.52:
	v_cndmask_b32_e64 v23, v9, v3, s[12:13]
	v_cndmask_b32_e64 v22, v8, v2, s[12:13]
	;; [unrolled: 1-line block ×4, first 2 shown]
	v_mov_b64_e32 v[8:9], v[22:23]
; %bb.53:
	s_or_b64 exec, exec, s[2:3]
	v_mul_lo_u32 v24, v17, s36
	v_mul_lo_u32 v25, v16, s37
	v_mad_u64_u32 v[22:23], s[2:3], v16, s36, 0
	v_add3_u32 v23, v23, v25, v24
	v_mul_lo_u32 v27, v15, s36
	v_mul_lo_u32 v35, v14, s37
	v_mad_u64_u32 v[24:25], s[2:3], v14, s36, 0
	v_add3_u32 v25, v25, v35, v27
	v_lshl_add_u64 v[22:23], v[22:23], 3, s[38:39]
	v_lshl_add_u64 v[24:25], v[24:25], 3, s[38:39]
	s_mov_b64 s[22:23], 0
	s_mov_b64 s[40:41], s[36:37]
                                        ; implicit-def: $sgpr12_sgpr13
                                        ; implicit-def: $sgpr24_sgpr25
                                        ; implicit-def: $sgpr28_sgpr29
                                        ; implicit-def: $sgpr26_sgpr27
                                        ; implicit-def: $sgpr30_sgpr31
	s_branch .LBB1605_55
.LBB1605_54:                            ;   in Loop: Header=BB1605_55 Depth=1
	s_or_b64 exec, exec, s[42:43]
	s_and_b64 s[2:3], s[2:3], s[30:31]
	s_or_b64 s[2:3], vcc, s[2:3]
	s_and_b64 s[4:5], exec, s[28:29]
	s_or_b64 s[22:23], s[4:5], s[22:23]
	s_andn2_b64 s[4:5], s[30:31], exec
	s_and_b64 s[2:3], s[2:3], exec
	s_or_b64 s[30:31], s[4:5], s[2:3]
	s_andn2_b64 s[4:5], s[24:25], exec
	s_and_b64 s[24:25], s[26:27], exec
	s_or_b64 s[24:25], s[4:5], s[24:25]
	s_andn2_b64 s[4:5], s[12:13], exec
	s_or_b64 s[12:13], s[4:5], s[2:3]
	s_andn2_b64 exec, exec, s[22:23]
	s_cbranch_execz .LBB1605_57
.LBB1605_55:                            ; =>This Inner Loop Header: Depth=1
	global_load_dwordx2 v[36:37], v[22:23], off
	global_load_dwordx2 v[38:39], v[24:25], off
	s_or_b64 s[26:27], s[26:27], exec
	s_or_b64 s[28:29], s[28:29], exec
	s_waitcnt vmcnt(0)
	v_cmp_lt_u64_e32 vcc, v[36:37], v[38:39]
	v_cmp_le_u64_e64 s[2:3], v[36:37], v[38:39]
	v_cmp_eq_u64_e64 s[4:5], v[36:37], v[38:39]
	s_and_saveexec_b64 s[42:43], s[4:5]
	s_cbranch_execz .LBB1605_54
; %bb.56:                               ;   in Loop: Header=BB1605_55 Depth=1
	s_add_u32 s40, s40, -1
	s_addc_u32 s41, s41, -1
	s_cmp_eq_u64 s[40:41], 0
	s_cselect_b64 s[4:5], -1, 0
	s_andn2_b64 s[28:29], s[28:29], exec
	s_and_b64 s[4:5], s[4:5], exec
	v_lshl_add_u64 v[22:23], v[22:23], 0, 8
	v_lshl_add_u64 v[24:25], v[24:25], 0, 8
	s_andn2_b64 s[26:27], s[26:27], exec
	s_or_b64 s[28:29], s[28:29], s[4:5]
	s_branch .LBB1605_54
.LBB1605_57:
	s_or_b64 exec, exec, s[22:23]
	s_and_saveexec_b64 s[2:3], s[24:25]
	s_xor_b64 s[2:3], exec, s[2:3]
; %bb.58:
	v_cndmask_b32_e64 v23, v17, v15, s[12:13]
	v_cndmask_b32_e64 v22, v16, v14, s[12:13]
	;; [unrolled: 1-line block ×4, first 2 shown]
	v_mov_b64_e32 v[16:17], v[22:23]
; %bb.59:
	s_or_b64 exec, exec, s[2:3]
	v_mul_lo_u32 v24, v13, s36
	v_mul_lo_u32 v25, v12, s37
	v_mad_u64_u32 v[22:23], s[2:3], v12, s36, 0
	v_add3_u32 v23, v23, v25, v24
	v_mul_lo_u32 v27, v11, s36
	v_mul_lo_u32 v35, v10, s37
	v_mad_u64_u32 v[24:25], s[2:3], v10, s36, 0
	v_add3_u32 v25, v25, v35, v27
	v_lshl_add_u64 v[22:23], v[22:23], 3, s[38:39]
	v_lshl_add_u64 v[24:25], v[24:25], 3, s[38:39]
	s_mov_b64 s[22:23], 0
	s_mov_b64 s[40:41], s[36:37]
                                        ; implicit-def: $sgpr12_sgpr13
                                        ; implicit-def: $sgpr24_sgpr25
                                        ; implicit-def: $sgpr28_sgpr29
                                        ; implicit-def: $sgpr26_sgpr27
                                        ; implicit-def: $sgpr30_sgpr31
	s_branch .LBB1605_61
.LBB1605_60:                            ;   in Loop: Header=BB1605_61 Depth=1
	s_or_b64 exec, exec, s[42:43]
	s_and_b64 s[2:3], s[2:3], s[30:31]
	s_or_b64 s[2:3], vcc, s[2:3]
	s_and_b64 s[4:5], exec, s[28:29]
	s_or_b64 s[22:23], s[4:5], s[22:23]
	s_andn2_b64 s[4:5], s[30:31], exec
	s_and_b64 s[2:3], s[2:3], exec
	s_or_b64 s[30:31], s[4:5], s[2:3]
	s_andn2_b64 s[4:5], s[24:25], exec
	s_and_b64 s[24:25], s[26:27], exec
	s_or_b64 s[24:25], s[4:5], s[24:25]
	s_andn2_b64 s[4:5], s[12:13], exec
	s_or_b64 s[12:13], s[4:5], s[2:3]
	s_andn2_b64 exec, exec, s[22:23]
	s_cbranch_execz .LBB1605_63
.LBB1605_61:                            ; =>This Inner Loop Header: Depth=1
	global_load_dwordx2 v[36:37], v[22:23], off
	global_load_dwordx2 v[38:39], v[24:25], off
	s_or_b64 s[26:27], s[26:27], exec
	s_or_b64 s[28:29], s[28:29], exec
	s_waitcnt vmcnt(0)
	v_cmp_lt_u64_e32 vcc, v[36:37], v[38:39]
	v_cmp_le_u64_e64 s[2:3], v[36:37], v[38:39]
	v_cmp_eq_u64_e64 s[4:5], v[36:37], v[38:39]
	s_and_saveexec_b64 s[42:43], s[4:5]
	s_cbranch_execz .LBB1605_60
; %bb.62:                               ;   in Loop: Header=BB1605_61 Depth=1
	s_add_u32 s40, s40, -1
	s_addc_u32 s41, s41, -1
	s_cmp_eq_u64 s[40:41], 0
	s_cselect_b64 s[4:5], -1, 0
	s_andn2_b64 s[28:29], s[28:29], exec
	s_and_b64 s[4:5], s[4:5], exec
	v_lshl_add_u64 v[22:23], v[22:23], 0, 8
	v_lshl_add_u64 v[24:25], v[24:25], 0, 8
	s_andn2_b64 s[26:27], s[26:27], exec
	s_or_b64 s[28:29], s[28:29], s[4:5]
	s_branch .LBB1605_60
.LBB1605_63:
	s_or_b64 exec, exec, s[22:23]
	s_and_saveexec_b64 s[2:3], s[24:25]
	s_xor_b64 s[2:3], exec, s[2:3]
; %bb.64:
	v_cndmask_b32_e64 v23, v11, v13, s[12:13]
	v_cndmask_b32_e64 v22, v10, v12, s[12:13]
	;; [unrolled: 1-line block ×4, first 2 shown]
	v_mov_b64_e32 v[10:11], v[22:23]
; %bb.65:
	s_or_b64 exec, exec, s[2:3]
	v_mul_lo_u32 v24, v9, s36
	v_mul_lo_u32 v25, v8, s37
	v_mad_u64_u32 v[22:23], s[2:3], v8, s36, 0
	v_add3_u32 v23, v23, v25, v24
	v_mul_lo_u32 v27, v7, s36
	v_mul_lo_u32 v35, v6, s37
	v_mad_u64_u32 v[24:25], s[2:3], v6, s36, 0
	v_add3_u32 v25, v25, v35, v27
	v_lshl_add_u64 v[22:23], v[22:23], 3, s[38:39]
	v_lshl_add_u64 v[24:25], v[24:25], 3, s[38:39]
	s_mov_b64 s[24:25], 0
	s_mov_b64 s[40:41], s[36:37]
                                        ; implicit-def: $sgpr12_sgpr13
                                        ; implicit-def: $sgpr22_sgpr23
                                        ; implicit-def: $sgpr28_sgpr29
                                        ; implicit-def: $sgpr26_sgpr27
                                        ; implicit-def: $sgpr30_sgpr31
	s_branch .LBB1605_67
.LBB1605_66:                            ;   in Loop: Header=BB1605_67 Depth=1
	s_or_b64 exec, exec, s[42:43]
	s_and_b64 s[2:3], s[2:3], s[30:31]
	s_or_b64 s[2:3], vcc, s[2:3]
	s_and_b64 s[4:5], exec, s[28:29]
	s_or_b64 s[24:25], s[4:5], s[24:25]
	s_andn2_b64 s[4:5], s[30:31], exec
	s_and_b64 s[2:3], s[2:3], exec
	s_or_b64 s[30:31], s[4:5], s[2:3]
	s_andn2_b64 s[4:5], s[22:23], exec
	s_and_b64 s[22:23], s[26:27], exec
	s_or_b64 s[22:23], s[4:5], s[22:23]
	s_andn2_b64 s[4:5], s[12:13], exec
	s_or_b64 s[12:13], s[4:5], s[2:3]
	s_andn2_b64 exec, exec, s[24:25]
	s_cbranch_execz .LBB1605_69
.LBB1605_67:                            ; =>This Inner Loop Header: Depth=1
	global_load_dwordx2 v[36:37], v[22:23], off
	global_load_dwordx2 v[38:39], v[24:25], off
	s_or_b64 s[26:27], s[26:27], exec
	s_or_b64 s[28:29], s[28:29], exec
	s_waitcnt vmcnt(0)
	v_cmp_lt_u64_e32 vcc, v[36:37], v[38:39]
	v_cmp_le_u64_e64 s[2:3], v[36:37], v[38:39]
	v_cmp_eq_u64_e64 s[4:5], v[36:37], v[38:39]
	s_and_saveexec_b64 s[42:43], s[4:5]
	s_cbranch_execz .LBB1605_66
; %bb.68:                               ;   in Loop: Header=BB1605_67 Depth=1
	s_add_u32 s40, s40, -1
	s_addc_u32 s41, s41, -1
	s_cmp_eq_u64 s[40:41], 0
	s_cselect_b64 s[4:5], -1, 0
	s_andn2_b64 s[28:29], s[28:29], exec
	s_and_b64 s[4:5], s[4:5], exec
	v_lshl_add_u64 v[22:23], v[22:23], 0, 8
	v_lshl_add_u64 v[24:25], v[24:25], 0, 8
	s_andn2_b64 s[26:27], s[26:27], exec
	s_or_b64 s[28:29], s[28:29], s[4:5]
	s_branch .LBB1605_66
.LBB1605_69:
	s_or_b64 exec, exec, s[24:25]
	s_and_saveexec_b64 s[2:3], s[22:23]
	s_xor_b64 s[2:3], exec, s[2:3]
; %bb.70:
	v_cndmask_b32_e64 v23, v7, v9, s[12:13]
	v_cndmask_b32_e64 v22, v6, v8, s[12:13]
	;; [unrolled: 1-line block ×4, first 2 shown]
	v_mov_b64_e32 v[6:7], v[22:23]
; %bb.71:
	s_or_b64 exec, exec, s[2:3]
.LBB1605_72:
	s_and_b64 vcc, exec, s[0:1]
	s_cbranch_vccnz .LBB1605_86
; %bb.73:
	v_mul_lo_u32 v24, v5, s36
	v_mul_lo_u32 v25, v4, s37
	v_mad_u64_u32 v[22:23], s[2:3], v4, s36, 0
	v_add3_u32 v23, v23, v25, v24
	v_mul_lo_u32 v27, v3, s36
	v_mul_lo_u32 v35, v2, s37
	v_mad_u64_u32 v[24:25], s[2:3], v2, s36, 0
	v_add3_u32 v25, v25, v35, v27
	v_lshl_add_u64 v[22:23], v[22:23], 3, s[38:39]
	v_lshl_add_u64 v[24:25], v[24:25], 3, s[38:39]
	s_mov_b64 s[22:23], 0
	s_mov_b64 s[40:41], s[36:37]
                                        ; implicit-def: $sgpr12_sgpr13
                                        ; implicit-def: $sgpr24_sgpr25
                                        ; implicit-def: $sgpr28_sgpr29
                                        ; implicit-def: $sgpr26_sgpr27
                                        ; implicit-def: $sgpr30_sgpr31
	s_branch .LBB1605_75
.LBB1605_74:                            ;   in Loop: Header=BB1605_75 Depth=1
	s_or_b64 exec, exec, s[42:43]
	s_and_b64 s[2:3], s[2:3], s[30:31]
	s_or_b64 s[2:3], vcc, s[2:3]
	s_and_b64 s[4:5], exec, s[28:29]
	s_or_b64 s[22:23], s[4:5], s[22:23]
	s_andn2_b64 s[4:5], s[30:31], exec
	s_and_b64 s[2:3], s[2:3], exec
	s_or_b64 s[30:31], s[4:5], s[2:3]
	s_andn2_b64 s[4:5], s[24:25], exec
	s_and_b64 s[24:25], s[26:27], exec
	s_or_b64 s[24:25], s[4:5], s[24:25]
	s_andn2_b64 s[4:5], s[12:13], exec
	s_or_b64 s[12:13], s[4:5], s[2:3]
	s_andn2_b64 exec, exec, s[22:23]
	s_cbranch_execz .LBB1605_77
.LBB1605_75:                            ; =>This Inner Loop Header: Depth=1
	global_load_dwordx2 v[36:37], v[22:23], off
	global_load_dwordx2 v[38:39], v[24:25], off
	s_or_b64 s[26:27], s[26:27], exec
	s_or_b64 s[28:29], s[28:29], exec
	s_waitcnt vmcnt(0)
	v_cmp_lt_u64_e32 vcc, v[36:37], v[38:39]
	v_cmp_le_u64_e64 s[2:3], v[36:37], v[38:39]
	v_cmp_eq_u64_e64 s[4:5], v[36:37], v[38:39]
	s_and_saveexec_b64 s[42:43], s[4:5]
	s_cbranch_execz .LBB1605_74
; %bb.76:                               ;   in Loop: Header=BB1605_75 Depth=1
	s_add_u32 s40, s40, -1
	s_addc_u32 s41, s41, -1
	s_cmp_eq_u64 s[40:41], 0
	s_cselect_b64 s[4:5], -1, 0
	s_andn2_b64 s[28:29], s[28:29], exec
	s_and_b64 s[4:5], s[4:5], exec
	v_lshl_add_u64 v[22:23], v[22:23], 0, 8
	v_lshl_add_u64 v[24:25], v[24:25], 0, 8
	s_andn2_b64 s[26:27], s[26:27], exec
	s_or_b64 s[28:29], s[28:29], s[4:5]
	s_branch .LBB1605_74
.LBB1605_77:
	s_or_b64 exec, exec, s[22:23]
	s_and_saveexec_b64 s[2:3], s[24:25]
	s_xor_b64 s[2:3], exec, s[2:3]
; %bb.78:
	v_cndmask_b32_e64 v23, v3, v5, s[12:13]
	v_cndmask_b32_e64 v22, v2, v4, s[12:13]
	v_cndmask_b32_e64 v5, v5, v3, s[12:13]
	v_cndmask_b32_e64 v4, v4, v2, s[12:13]
	v_mov_b64_e32 v[2:3], v[22:23]
; %bb.79:
	s_or_b64 exec, exec, s[2:3]
	v_mul_lo_u32 v24, v11, s36
	v_mul_lo_u32 v25, v10, s37
	v_mad_u64_u32 v[22:23], s[2:3], v10, s36, 0
	v_add3_u32 v23, v23, v25, v24
	v_mul_lo_u32 v27, v17, s36
	v_mul_lo_u32 v35, v16, s37
	v_mad_u64_u32 v[24:25], s[2:3], v16, s36, 0
	v_add3_u32 v25, v25, v35, v27
	v_lshl_add_u64 v[22:23], v[22:23], 3, s[38:39]
	v_lshl_add_u64 v[24:25], v[24:25], 3, s[38:39]
	s_mov_b64 s[24:25], 0
	s_mov_b64 s[40:41], s[36:37]
                                        ; implicit-def: $sgpr12_sgpr13
                                        ; implicit-def: $sgpr22_sgpr23
                                        ; implicit-def: $sgpr28_sgpr29
                                        ; implicit-def: $sgpr26_sgpr27
                                        ; implicit-def: $sgpr30_sgpr31
	s_branch .LBB1605_81
.LBB1605_80:                            ;   in Loop: Header=BB1605_81 Depth=1
	s_or_b64 exec, exec, s[42:43]
	s_and_b64 s[2:3], s[2:3], s[30:31]
	s_or_b64 s[2:3], vcc, s[2:3]
	s_and_b64 s[4:5], exec, s[28:29]
	s_or_b64 s[24:25], s[4:5], s[24:25]
	s_andn2_b64 s[4:5], s[30:31], exec
	s_and_b64 s[2:3], s[2:3], exec
	s_or_b64 s[30:31], s[4:5], s[2:3]
	s_andn2_b64 s[4:5], s[22:23], exec
	s_and_b64 s[22:23], s[26:27], exec
	s_or_b64 s[22:23], s[4:5], s[22:23]
	s_andn2_b64 s[4:5], s[12:13], exec
	s_or_b64 s[12:13], s[4:5], s[2:3]
	s_andn2_b64 exec, exec, s[24:25]
	s_cbranch_execz .LBB1605_83
.LBB1605_81:                            ; =>This Inner Loop Header: Depth=1
	global_load_dwordx2 v[36:37], v[22:23], off
	global_load_dwordx2 v[38:39], v[24:25], off
	s_or_b64 s[26:27], s[26:27], exec
	s_or_b64 s[28:29], s[28:29], exec
	s_waitcnt vmcnt(0)
	v_cmp_lt_u64_e32 vcc, v[36:37], v[38:39]
	v_cmp_le_u64_e64 s[2:3], v[36:37], v[38:39]
	v_cmp_eq_u64_e64 s[4:5], v[36:37], v[38:39]
	s_and_saveexec_b64 s[42:43], s[4:5]
	s_cbranch_execz .LBB1605_80
; %bb.82:                               ;   in Loop: Header=BB1605_81 Depth=1
	s_add_u32 s40, s40, -1
	s_addc_u32 s41, s41, -1
	s_cmp_eq_u64 s[40:41], 0
	s_cselect_b64 s[4:5], -1, 0
	s_andn2_b64 s[28:29], s[28:29], exec
	s_and_b64 s[4:5], s[4:5], exec
	v_lshl_add_u64 v[22:23], v[22:23], 0, 8
	v_lshl_add_u64 v[24:25], v[24:25], 0, 8
	s_andn2_b64 s[26:27], s[26:27], exec
	s_or_b64 s[28:29], s[28:29], s[4:5]
	s_branch .LBB1605_80
.LBB1605_83:
	s_or_b64 exec, exec, s[24:25]
	s_and_saveexec_b64 s[2:3], s[22:23]
	s_xor_b64 s[2:3], exec, s[2:3]
; %bb.84:
	v_cndmask_b32_e64 v23, v17, v11, s[12:13]
	v_cndmask_b32_e64 v22, v16, v10, s[12:13]
	;; [unrolled: 1-line block ×4, first 2 shown]
	v_mov_b64_e32 v[16:17], v[22:23]
; %bb.85:
	s_or_b64 exec, exec, s[2:3]
.LBB1605_86:
	s_and_b64 vcc, exec, s[0:1]
	s_cbranch_vccnz .LBB1605_100
; %bb.87:
	v_mul_lo_u32 v24, v7, s36
	v_mul_lo_u32 v25, v6, s37
	v_mad_u64_u32 v[22:23], s[2:3], v6, s36, 0
	v_add3_u32 v23, v23, v25, v24
	v_mul_lo_u32 v27, v13, s36
	v_mul_lo_u32 v35, v12, s37
	v_mad_u64_u32 v[24:25], s[2:3], v12, s36, 0
	v_add3_u32 v25, v25, v35, v27
	v_lshl_add_u64 v[22:23], v[22:23], 3, s[38:39]
	v_lshl_add_u64 v[24:25], v[24:25], 3, s[38:39]
	s_mov_b64 s[22:23], 0
	s_mov_b64 s[40:41], s[36:37]
                                        ; implicit-def: $sgpr12_sgpr13
                                        ; implicit-def: $sgpr24_sgpr25
                                        ; implicit-def: $sgpr28_sgpr29
                                        ; implicit-def: $sgpr26_sgpr27
                                        ; implicit-def: $sgpr30_sgpr31
	s_branch .LBB1605_89
.LBB1605_88:                            ;   in Loop: Header=BB1605_89 Depth=1
	s_or_b64 exec, exec, s[42:43]
	s_and_b64 s[2:3], s[2:3], s[30:31]
	s_or_b64 s[2:3], vcc, s[2:3]
	s_and_b64 s[4:5], exec, s[28:29]
	s_or_b64 s[22:23], s[4:5], s[22:23]
	s_andn2_b64 s[4:5], s[30:31], exec
	s_and_b64 s[2:3], s[2:3], exec
	s_or_b64 s[30:31], s[4:5], s[2:3]
	s_andn2_b64 s[4:5], s[24:25], exec
	s_and_b64 s[24:25], s[26:27], exec
	s_or_b64 s[24:25], s[4:5], s[24:25]
	s_andn2_b64 s[4:5], s[12:13], exec
	s_or_b64 s[12:13], s[4:5], s[2:3]
	s_andn2_b64 exec, exec, s[22:23]
	s_cbranch_execz .LBB1605_91
.LBB1605_89:                            ; =>This Inner Loop Header: Depth=1
	global_load_dwordx2 v[36:37], v[22:23], off
	global_load_dwordx2 v[38:39], v[24:25], off
	s_or_b64 s[26:27], s[26:27], exec
	s_or_b64 s[28:29], s[28:29], exec
	s_waitcnt vmcnt(0)
	v_cmp_lt_u64_e32 vcc, v[36:37], v[38:39]
	v_cmp_le_u64_e64 s[2:3], v[36:37], v[38:39]
	v_cmp_eq_u64_e64 s[4:5], v[36:37], v[38:39]
	s_and_saveexec_b64 s[42:43], s[4:5]
	s_cbranch_execz .LBB1605_88
; %bb.90:                               ;   in Loop: Header=BB1605_89 Depth=1
	s_add_u32 s40, s40, -1
	s_addc_u32 s41, s41, -1
	s_cmp_eq_u64 s[40:41], 0
	s_cselect_b64 s[4:5], -1, 0
	s_andn2_b64 s[28:29], s[28:29], exec
	s_and_b64 s[4:5], s[4:5], exec
	v_lshl_add_u64 v[22:23], v[22:23], 0, 8
	v_lshl_add_u64 v[24:25], v[24:25], 0, 8
	s_andn2_b64 s[26:27], s[26:27], exec
	s_or_b64 s[28:29], s[28:29], s[4:5]
	s_branch .LBB1605_88
.LBB1605_91:
	s_or_b64 exec, exec, s[22:23]
	s_and_saveexec_b64 s[2:3], s[24:25]
	s_xor_b64 s[2:3], exec, s[2:3]
; %bb.92:
	v_cndmask_b32_e64 v23, v13, v7, s[12:13]
	v_cndmask_b32_e64 v22, v12, v6, s[12:13]
	;; [unrolled: 1-line block ×4, first 2 shown]
	v_mov_b64_e32 v[12:13], v[22:23]
; %bb.93:
	s_or_b64 exec, exec, s[2:3]
	v_mul_lo_u32 v24, v3, s36
	v_mul_lo_u32 v25, v2, s37
	v_mad_u64_u32 v[22:23], s[2:3], v2, s36, 0
	v_add3_u32 v23, v23, v25, v24
	v_mul_lo_u32 v27, v9, s36
	v_mul_lo_u32 v35, v8, s37
	v_mad_u64_u32 v[24:25], s[2:3], v8, s36, 0
	v_add3_u32 v25, v25, v35, v27
	v_lshl_add_u64 v[22:23], v[22:23], 3, s[38:39]
	v_lshl_add_u64 v[24:25], v[24:25], 3, s[38:39]
	s_mov_b64 s[24:25], 0
	s_mov_b64 s[40:41], s[36:37]
                                        ; implicit-def: $sgpr12_sgpr13
                                        ; implicit-def: $sgpr22_sgpr23
                                        ; implicit-def: $sgpr28_sgpr29
                                        ; implicit-def: $sgpr26_sgpr27
                                        ; implicit-def: $sgpr30_sgpr31
	s_branch .LBB1605_95
.LBB1605_94:                            ;   in Loop: Header=BB1605_95 Depth=1
	s_or_b64 exec, exec, s[42:43]
	s_and_b64 s[2:3], s[2:3], s[30:31]
	s_or_b64 s[2:3], vcc, s[2:3]
	s_and_b64 s[4:5], exec, s[28:29]
	s_or_b64 s[24:25], s[4:5], s[24:25]
	s_andn2_b64 s[4:5], s[30:31], exec
	s_and_b64 s[2:3], s[2:3], exec
	s_or_b64 s[30:31], s[4:5], s[2:3]
	s_andn2_b64 s[4:5], s[22:23], exec
	s_and_b64 s[22:23], s[26:27], exec
	s_or_b64 s[22:23], s[4:5], s[22:23]
	s_andn2_b64 s[4:5], s[12:13], exec
	s_or_b64 s[12:13], s[4:5], s[2:3]
	s_andn2_b64 exec, exec, s[24:25]
	s_cbranch_execz .LBB1605_97
.LBB1605_95:                            ; =>This Inner Loop Header: Depth=1
	global_load_dwordx2 v[36:37], v[22:23], off
	global_load_dwordx2 v[38:39], v[24:25], off
	s_or_b64 s[26:27], s[26:27], exec
	s_or_b64 s[28:29], s[28:29], exec
	s_waitcnt vmcnt(0)
	v_cmp_lt_u64_e32 vcc, v[36:37], v[38:39]
	v_cmp_le_u64_e64 s[2:3], v[36:37], v[38:39]
	v_cmp_eq_u64_e64 s[4:5], v[36:37], v[38:39]
	s_and_saveexec_b64 s[42:43], s[4:5]
	s_cbranch_execz .LBB1605_94
; %bb.96:                               ;   in Loop: Header=BB1605_95 Depth=1
	s_add_u32 s40, s40, -1
	s_addc_u32 s41, s41, -1
	s_cmp_eq_u64 s[40:41], 0
	s_cselect_b64 s[4:5], -1, 0
	s_andn2_b64 s[28:29], s[28:29], exec
	s_and_b64 s[4:5], s[4:5], exec
	v_lshl_add_u64 v[22:23], v[22:23], 0, 8
	v_lshl_add_u64 v[24:25], v[24:25], 0, 8
	s_andn2_b64 s[26:27], s[26:27], exec
	s_or_b64 s[28:29], s[28:29], s[4:5]
	s_branch .LBB1605_94
.LBB1605_97:
	s_or_b64 exec, exec, s[24:25]
	s_and_saveexec_b64 s[2:3], s[22:23]
	s_xor_b64 s[2:3], exec, s[2:3]
; %bb.98:
	v_cndmask_b32_e64 v23, v9, v3, s[12:13]
	v_cndmask_b32_e64 v22, v8, v2, s[12:13]
	;; [unrolled: 1-line block ×4, first 2 shown]
	v_mov_b64_e32 v[8:9], v[22:23]
; %bb.99:
	s_or_b64 exec, exec, s[2:3]
.LBB1605_100:
	s_and_b64 vcc, exec, s[0:1]
	s_cbranch_vccnz .LBB1605_114
; %bb.101:
	v_mul_lo_u32 v24, v17, s36
	v_mul_lo_u32 v25, v16, s37
	v_mad_u64_u32 v[22:23], s[2:3], v16, s36, 0
	v_add3_u32 v23, v23, v25, v24
	v_mul_lo_u32 v27, v15, s36
	v_mul_lo_u32 v35, v14, s37
	v_mad_u64_u32 v[24:25], s[2:3], v14, s36, 0
	v_add3_u32 v25, v25, v35, v27
	v_lshl_add_u64 v[22:23], v[22:23], 3, s[38:39]
	v_lshl_add_u64 v[24:25], v[24:25], 3, s[38:39]
	s_mov_b64 s[22:23], 0
	s_mov_b64 s[40:41], s[36:37]
                                        ; implicit-def: $sgpr12_sgpr13
                                        ; implicit-def: $sgpr24_sgpr25
                                        ; implicit-def: $sgpr28_sgpr29
                                        ; implicit-def: $sgpr26_sgpr27
                                        ; implicit-def: $sgpr30_sgpr31
	s_branch .LBB1605_103
.LBB1605_102:                           ;   in Loop: Header=BB1605_103 Depth=1
	s_or_b64 exec, exec, s[42:43]
	s_and_b64 s[2:3], s[2:3], s[30:31]
	s_or_b64 s[2:3], vcc, s[2:3]
	s_and_b64 s[4:5], exec, s[28:29]
	s_or_b64 s[22:23], s[4:5], s[22:23]
	s_andn2_b64 s[4:5], s[30:31], exec
	s_and_b64 s[2:3], s[2:3], exec
	s_or_b64 s[30:31], s[4:5], s[2:3]
	s_andn2_b64 s[4:5], s[24:25], exec
	s_and_b64 s[24:25], s[26:27], exec
	s_or_b64 s[24:25], s[4:5], s[24:25]
	s_andn2_b64 s[4:5], s[12:13], exec
	s_or_b64 s[12:13], s[4:5], s[2:3]
	s_andn2_b64 exec, exec, s[22:23]
	s_cbranch_execz .LBB1605_105
.LBB1605_103:                           ; =>This Inner Loop Header: Depth=1
	global_load_dwordx2 v[36:37], v[22:23], off
	global_load_dwordx2 v[38:39], v[24:25], off
	s_or_b64 s[26:27], s[26:27], exec
	s_or_b64 s[28:29], s[28:29], exec
	s_waitcnt vmcnt(0)
	v_cmp_lt_u64_e32 vcc, v[36:37], v[38:39]
	v_cmp_le_u64_e64 s[2:3], v[36:37], v[38:39]
	v_cmp_eq_u64_e64 s[4:5], v[36:37], v[38:39]
	s_and_saveexec_b64 s[42:43], s[4:5]
	s_cbranch_execz .LBB1605_102
; %bb.104:                              ;   in Loop: Header=BB1605_103 Depth=1
	s_add_u32 s40, s40, -1
	s_addc_u32 s41, s41, -1
	s_cmp_eq_u64 s[40:41], 0
	s_cselect_b64 s[4:5], -1, 0
	s_andn2_b64 s[28:29], s[28:29], exec
	s_and_b64 s[4:5], s[4:5], exec
	v_lshl_add_u64 v[22:23], v[22:23], 0, 8
	v_lshl_add_u64 v[24:25], v[24:25], 0, 8
	s_andn2_b64 s[26:27], s[26:27], exec
	s_or_b64 s[28:29], s[28:29], s[4:5]
	s_branch .LBB1605_102
.LBB1605_105:
	s_or_b64 exec, exec, s[22:23]
	s_and_saveexec_b64 s[2:3], s[24:25]
	s_xor_b64 s[2:3], exec, s[2:3]
; %bb.106:
	v_cndmask_b32_e64 v23, v17, v15, s[12:13]
	v_cndmask_b32_e64 v22, v16, v14, s[12:13]
	;; [unrolled: 1-line block ×4, first 2 shown]
	v_mov_b64_e32 v[16:17], v[22:23]
; %bb.107:
	s_or_b64 exec, exec, s[2:3]
	v_mul_lo_u32 v24, v13, s36
	v_mul_lo_u32 v25, v12, s37
	v_mad_u64_u32 v[22:23], s[2:3], v12, s36, 0
	v_add3_u32 v23, v23, v25, v24
	v_mul_lo_u32 v27, v11, s36
	v_mul_lo_u32 v35, v10, s37
	v_mad_u64_u32 v[24:25], s[2:3], v10, s36, 0
	v_add3_u32 v25, v25, v35, v27
	v_lshl_add_u64 v[22:23], v[22:23], 3, s[38:39]
	v_lshl_add_u64 v[24:25], v[24:25], 3, s[38:39]
	s_mov_b64 s[24:25], 0
	s_mov_b64 s[40:41], s[36:37]
                                        ; implicit-def: $sgpr12_sgpr13
                                        ; implicit-def: $sgpr22_sgpr23
                                        ; implicit-def: $sgpr28_sgpr29
                                        ; implicit-def: $sgpr26_sgpr27
                                        ; implicit-def: $sgpr30_sgpr31
	s_branch .LBB1605_109
.LBB1605_108:                           ;   in Loop: Header=BB1605_109 Depth=1
	s_or_b64 exec, exec, s[42:43]
	s_and_b64 s[2:3], s[2:3], s[30:31]
	s_or_b64 s[2:3], vcc, s[2:3]
	s_and_b64 s[4:5], exec, s[28:29]
	s_or_b64 s[24:25], s[4:5], s[24:25]
	s_andn2_b64 s[4:5], s[30:31], exec
	s_and_b64 s[2:3], s[2:3], exec
	s_or_b64 s[30:31], s[4:5], s[2:3]
	s_andn2_b64 s[4:5], s[22:23], exec
	s_and_b64 s[22:23], s[26:27], exec
	s_or_b64 s[22:23], s[4:5], s[22:23]
	s_andn2_b64 s[4:5], s[12:13], exec
	s_or_b64 s[12:13], s[4:5], s[2:3]
	s_andn2_b64 exec, exec, s[24:25]
	s_cbranch_execz .LBB1605_111
.LBB1605_109:                           ; =>This Inner Loop Header: Depth=1
	global_load_dwordx2 v[36:37], v[22:23], off
	global_load_dwordx2 v[38:39], v[24:25], off
	s_or_b64 s[26:27], s[26:27], exec
	s_or_b64 s[28:29], s[28:29], exec
	s_waitcnt vmcnt(0)
	v_cmp_lt_u64_e32 vcc, v[36:37], v[38:39]
	v_cmp_le_u64_e64 s[2:3], v[36:37], v[38:39]
	v_cmp_eq_u64_e64 s[4:5], v[36:37], v[38:39]
	s_and_saveexec_b64 s[42:43], s[4:5]
	s_cbranch_execz .LBB1605_108
; %bb.110:                              ;   in Loop: Header=BB1605_109 Depth=1
	s_add_u32 s40, s40, -1
	s_addc_u32 s41, s41, -1
	s_cmp_eq_u64 s[40:41], 0
	s_cselect_b64 s[4:5], -1, 0
	s_andn2_b64 s[28:29], s[28:29], exec
	s_and_b64 s[4:5], s[4:5], exec
	v_lshl_add_u64 v[22:23], v[22:23], 0, 8
	v_lshl_add_u64 v[24:25], v[24:25], 0, 8
	s_andn2_b64 s[26:27], s[26:27], exec
	s_or_b64 s[28:29], s[28:29], s[4:5]
	s_branch .LBB1605_108
.LBB1605_111:
	s_or_b64 exec, exec, s[24:25]
	s_and_saveexec_b64 s[2:3], s[22:23]
	s_xor_b64 s[2:3], exec, s[2:3]
; %bb.112:
	v_cndmask_b32_e64 v23, v11, v13, s[12:13]
	v_cndmask_b32_e64 v22, v10, v12, s[12:13]
	;; [unrolled: 1-line block ×4, first 2 shown]
	v_mov_b64_e32 v[10:11], v[22:23]
; %bb.113:
	s_or_b64 exec, exec, s[2:3]
.LBB1605_114:
	s_and_b64 vcc, exec, s[0:1]
	s_cbranch_vccnz .LBB1605_188
; %bb.115:
	v_mul_lo_u32 v24, v9, s36
	v_mul_lo_u32 v25, v8, s37
	v_mad_u64_u32 v[22:23], s[2:3], v8, s36, 0
	v_add3_u32 v23, v23, v25, v24
	v_mul_lo_u32 v27, v7, s36
	v_mul_lo_u32 v35, v6, s37
	v_mad_u64_u32 v[24:25], s[2:3], v6, s36, 0
	v_add3_u32 v25, v25, v35, v27
	v_lshl_add_u64 v[22:23], v[22:23], 3, s[38:39]
	v_lshl_add_u64 v[24:25], v[24:25], 3, s[38:39]
	s_mov_b64 s[22:23], 0
	s_mov_b64 s[40:41], s[36:37]
                                        ; implicit-def: $sgpr12_sgpr13
                                        ; implicit-def: $sgpr24_sgpr25
                                        ; implicit-def: $sgpr28_sgpr29
                                        ; implicit-def: $sgpr26_sgpr27
                                        ; implicit-def: $sgpr30_sgpr31
	s_branch .LBB1605_117
.LBB1605_116:                           ;   in Loop: Header=BB1605_117 Depth=1
	s_or_b64 exec, exec, s[42:43]
	s_and_b64 s[2:3], s[2:3], s[30:31]
	s_or_b64 s[2:3], vcc, s[2:3]
	s_and_b64 s[4:5], exec, s[28:29]
	s_or_b64 s[22:23], s[4:5], s[22:23]
	s_andn2_b64 s[4:5], s[30:31], exec
	s_and_b64 s[2:3], s[2:3], exec
	s_or_b64 s[30:31], s[4:5], s[2:3]
	s_andn2_b64 s[4:5], s[24:25], exec
	s_and_b64 s[24:25], s[26:27], exec
	s_or_b64 s[24:25], s[4:5], s[24:25]
	s_andn2_b64 s[4:5], s[12:13], exec
	s_or_b64 s[12:13], s[4:5], s[2:3]
	s_andn2_b64 exec, exec, s[22:23]
	s_cbranch_execz .LBB1605_119
.LBB1605_117:                           ; =>This Inner Loop Header: Depth=1
	global_load_dwordx2 v[36:37], v[22:23], off
	global_load_dwordx2 v[38:39], v[24:25], off
	s_or_b64 s[26:27], s[26:27], exec
	s_or_b64 s[28:29], s[28:29], exec
	s_waitcnt vmcnt(0)
	v_cmp_lt_u64_e32 vcc, v[36:37], v[38:39]
	v_cmp_le_u64_e64 s[2:3], v[36:37], v[38:39]
	v_cmp_eq_u64_e64 s[4:5], v[36:37], v[38:39]
	s_and_saveexec_b64 s[42:43], s[4:5]
	s_cbranch_execz .LBB1605_116
; %bb.118:                              ;   in Loop: Header=BB1605_117 Depth=1
	s_add_u32 s40, s40, -1
	s_addc_u32 s41, s41, -1
	s_cmp_eq_u64 s[40:41], 0
	s_cselect_b64 s[4:5], -1, 0
	s_andn2_b64 s[28:29], s[28:29], exec
	s_and_b64 s[4:5], s[4:5], exec
	v_lshl_add_u64 v[22:23], v[22:23], 0, 8
	v_lshl_add_u64 v[24:25], v[24:25], 0, 8
	s_andn2_b64 s[26:27], s[26:27], exec
	s_or_b64 s[28:29], s[28:29], s[4:5]
	s_branch .LBB1605_116
.LBB1605_119:
	s_or_b64 exec, exec, s[22:23]
	s_and_saveexec_b64 s[2:3], s[24:25]
	s_xor_b64 s[2:3], exec, s[2:3]
; %bb.120:
	v_cndmask_b32_e64 v23, v7, v9, s[12:13]
	v_cndmask_b32_e64 v22, v6, v8, s[12:13]
	;; [unrolled: 1-line block ×4, first 2 shown]
	v_mov_b64_e32 v[6:7], v[22:23]
; %bb.121:
	s_or_b64 exec, exec, s[2:3]
	v_mul_lo_u32 v24, v5, s36
	v_mul_lo_u32 v25, v4, s37
	v_mad_u64_u32 v[22:23], s[2:3], v4, s36, 0
	v_add3_u32 v23, v23, v25, v24
	v_mul_lo_u32 v27, v3, s36
	v_mul_lo_u32 v35, v2, s37
	v_mad_u64_u32 v[24:25], s[2:3], v2, s36, 0
	v_add3_u32 v25, v25, v35, v27
	v_lshl_add_u64 v[22:23], v[22:23], 3, s[38:39]
	v_lshl_add_u64 v[24:25], v[24:25], 3, s[38:39]
	s_mov_b64 s[22:23], 0
	s_mov_b64 s[40:41], s[36:37]
                                        ; implicit-def: $sgpr12_sgpr13
                                        ; implicit-def: $sgpr24_sgpr25
                                        ; implicit-def: $sgpr28_sgpr29
                                        ; implicit-def: $sgpr26_sgpr27
                                        ; implicit-def: $sgpr30_sgpr31
	s_branch .LBB1605_123
.LBB1605_122:                           ;   in Loop: Header=BB1605_123 Depth=1
	s_or_b64 exec, exec, s[42:43]
	s_and_b64 s[2:3], s[2:3], s[30:31]
	s_or_b64 s[2:3], vcc, s[2:3]
	s_and_b64 s[4:5], exec, s[28:29]
	s_or_b64 s[22:23], s[4:5], s[22:23]
	s_andn2_b64 s[4:5], s[30:31], exec
	s_and_b64 s[2:3], s[2:3], exec
	s_or_b64 s[30:31], s[4:5], s[2:3]
	s_andn2_b64 s[4:5], s[24:25], exec
	s_and_b64 s[24:25], s[26:27], exec
	s_or_b64 s[24:25], s[4:5], s[24:25]
	s_andn2_b64 s[4:5], s[12:13], exec
	s_or_b64 s[12:13], s[4:5], s[2:3]
	s_andn2_b64 exec, exec, s[22:23]
	s_cbranch_execz .LBB1605_125
.LBB1605_123:                           ; =>This Inner Loop Header: Depth=1
	global_load_dwordx2 v[36:37], v[22:23], off
	global_load_dwordx2 v[38:39], v[24:25], off
	s_or_b64 s[26:27], s[26:27], exec
	s_or_b64 s[28:29], s[28:29], exec
	s_waitcnt vmcnt(0)
	v_cmp_lt_u64_e32 vcc, v[36:37], v[38:39]
	v_cmp_le_u64_e64 s[2:3], v[36:37], v[38:39]
	v_cmp_eq_u64_e64 s[4:5], v[36:37], v[38:39]
	s_and_saveexec_b64 s[42:43], s[4:5]
	s_cbranch_execz .LBB1605_122
; %bb.124:                              ;   in Loop: Header=BB1605_123 Depth=1
	s_add_u32 s40, s40, -1
	s_addc_u32 s41, s41, -1
	s_cmp_eq_u64 s[40:41], 0
	s_cselect_b64 s[4:5], -1, 0
	s_andn2_b64 s[28:29], s[28:29], exec
	s_and_b64 s[4:5], s[4:5], exec
	v_lshl_add_u64 v[22:23], v[22:23], 0, 8
	v_lshl_add_u64 v[24:25], v[24:25], 0, 8
	s_andn2_b64 s[26:27], s[26:27], exec
	s_or_b64 s[28:29], s[28:29], s[4:5]
	s_branch .LBB1605_122
.LBB1605_125:
	s_or_b64 exec, exec, s[22:23]
	s_and_saveexec_b64 s[2:3], s[24:25]
	s_xor_b64 s[2:3], exec, s[2:3]
; %bb.126:
	v_cndmask_b32_e64 v23, v3, v5, s[12:13]
	v_cndmask_b32_e64 v22, v2, v4, s[12:13]
	;; [unrolled: 1-line block ×4, first 2 shown]
	v_mov_b64_e32 v[2:3], v[22:23]
; %bb.127:
	s_or_b64 exec, exec, s[2:3]
	v_mul_lo_u32 v24, v11, s36
	v_mul_lo_u32 v25, v10, s37
	v_mad_u64_u32 v[22:23], s[2:3], v10, s36, 0
	v_add3_u32 v23, v23, v25, v24
	v_mul_lo_u32 v27, v17, s36
	v_mul_lo_u32 v35, v16, s37
	v_mad_u64_u32 v[24:25], s[2:3], v16, s36, 0
	v_add3_u32 v25, v25, v35, v27
	v_lshl_add_u64 v[22:23], v[22:23], 3, s[38:39]
	v_lshl_add_u64 v[24:25], v[24:25], 3, s[38:39]
	s_mov_b64 s[22:23], 0
	s_mov_b64 s[40:41], s[36:37]
                                        ; implicit-def: $sgpr12_sgpr13
                                        ; implicit-def: $sgpr24_sgpr25
                                        ; implicit-def: $sgpr28_sgpr29
                                        ; implicit-def: $sgpr26_sgpr27
                                        ; implicit-def: $sgpr30_sgpr31
	s_branch .LBB1605_129
.LBB1605_128:                           ;   in Loop: Header=BB1605_129 Depth=1
	s_or_b64 exec, exec, s[42:43]
	s_and_b64 s[2:3], s[2:3], s[30:31]
	s_or_b64 s[2:3], vcc, s[2:3]
	s_and_b64 s[4:5], exec, s[28:29]
	s_or_b64 s[22:23], s[4:5], s[22:23]
	s_andn2_b64 s[4:5], s[30:31], exec
	s_and_b64 s[2:3], s[2:3], exec
	s_or_b64 s[30:31], s[4:5], s[2:3]
	s_andn2_b64 s[4:5], s[24:25], exec
	s_and_b64 s[24:25], s[26:27], exec
	s_or_b64 s[24:25], s[4:5], s[24:25]
	s_andn2_b64 s[4:5], s[12:13], exec
	s_or_b64 s[12:13], s[4:5], s[2:3]
	s_andn2_b64 exec, exec, s[22:23]
	s_cbranch_execz .LBB1605_131
.LBB1605_129:                           ; =>This Inner Loop Header: Depth=1
	global_load_dwordx2 v[36:37], v[22:23], off
	global_load_dwordx2 v[38:39], v[24:25], off
	s_or_b64 s[26:27], s[26:27], exec
	s_or_b64 s[28:29], s[28:29], exec
	s_waitcnt vmcnt(0)
	v_cmp_lt_u64_e32 vcc, v[36:37], v[38:39]
	v_cmp_le_u64_e64 s[2:3], v[36:37], v[38:39]
	v_cmp_eq_u64_e64 s[4:5], v[36:37], v[38:39]
	s_and_saveexec_b64 s[42:43], s[4:5]
	s_cbranch_execz .LBB1605_128
; %bb.130:                              ;   in Loop: Header=BB1605_129 Depth=1
	s_add_u32 s40, s40, -1
	s_addc_u32 s41, s41, -1
	s_cmp_eq_u64 s[40:41], 0
	s_cselect_b64 s[4:5], -1, 0
	s_andn2_b64 s[28:29], s[28:29], exec
	s_and_b64 s[4:5], s[4:5], exec
	v_lshl_add_u64 v[22:23], v[22:23], 0, 8
	v_lshl_add_u64 v[24:25], v[24:25], 0, 8
	s_andn2_b64 s[26:27], s[26:27], exec
	s_or_b64 s[28:29], s[28:29], s[4:5]
	s_branch .LBB1605_128
.LBB1605_131:
	s_or_b64 exec, exec, s[22:23]
	s_and_saveexec_b64 s[2:3], s[24:25]
	s_xor_b64 s[2:3], exec, s[2:3]
; %bb.132:
	v_cndmask_b32_e64 v23, v17, v11, s[12:13]
	v_cndmask_b32_e64 v22, v16, v10, s[12:13]
	;; [unrolled: 1-line block ×4, first 2 shown]
	v_mov_b64_e32 v[16:17], v[22:23]
; %bb.133:
	s_or_b64 exec, exec, s[2:3]
	v_mul_lo_u32 v24, v7, s36
	v_mul_lo_u32 v25, v6, s37
	v_mad_u64_u32 v[22:23], s[2:3], v6, s36, 0
	v_add3_u32 v23, v23, v25, v24
	v_mul_lo_u32 v27, v13, s36
	v_mul_lo_u32 v35, v12, s37
	v_mad_u64_u32 v[24:25], s[2:3], v12, s36, 0
	v_add3_u32 v25, v25, v35, v27
	v_lshl_add_u64 v[22:23], v[22:23], 3, s[38:39]
	v_lshl_add_u64 v[24:25], v[24:25], 3, s[38:39]
	s_mov_b64 s[22:23], 0
	s_mov_b64 s[40:41], s[36:37]
                                        ; implicit-def: $sgpr12_sgpr13
                                        ; implicit-def: $sgpr24_sgpr25
                                        ; implicit-def: $sgpr28_sgpr29
                                        ; implicit-def: $sgpr26_sgpr27
                                        ; implicit-def: $sgpr30_sgpr31
	s_branch .LBB1605_135
.LBB1605_134:                           ;   in Loop: Header=BB1605_135 Depth=1
	s_or_b64 exec, exec, s[42:43]
	s_and_b64 s[2:3], s[2:3], s[30:31]
	s_or_b64 s[2:3], vcc, s[2:3]
	s_and_b64 s[4:5], exec, s[28:29]
	s_or_b64 s[22:23], s[4:5], s[22:23]
	s_andn2_b64 s[4:5], s[30:31], exec
	s_and_b64 s[2:3], s[2:3], exec
	s_or_b64 s[30:31], s[4:5], s[2:3]
	s_andn2_b64 s[4:5], s[24:25], exec
	s_and_b64 s[24:25], s[26:27], exec
	s_or_b64 s[24:25], s[4:5], s[24:25]
	s_andn2_b64 s[4:5], s[12:13], exec
	s_or_b64 s[12:13], s[4:5], s[2:3]
	s_andn2_b64 exec, exec, s[22:23]
	s_cbranch_execz .LBB1605_137
.LBB1605_135:                           ; =>This Inner Loop Header: Depth=1
	global_load_dwordx2 v[36:37], v[22:23], off
	global_load_dwordx2 v[38:39], v[24:25], off
	s_or_b64 s[26:27], s[26:27], exec
	s_or_b64 s[28:29], s[28:29], exec
	s_waitcnt vmcnt(0)
	v_cmp_lt_u64_e32 vcc, v[36:37], v[38:39]
	v_cmp_le_u64_e64 s[2:3], v[36:37], v[38:39]
	v_cmp_eq_u64_e64 s[4:5], v[36:37], v[38:39]
	s_and_saveexec_b64 s[42:43], s[4:5]
	s_cbranch_execz .LBB1605_134
; %bb.136:                              ;   in Loop: Header=BB1605_135 Depth=1
	s_add_u32 s40, s40, -1
	s_addc_u32 s41, s41, -1
	s_cmp_eq_u64 s[40:41], 0
	s_cselect_b64 s[4:5], -1, 0
	s_andn2_b64 s[28:29], s[28:29], exec
	s_and_b64 s[4:5], s[4:5], exec
	v_lshl_add_u64 v[22:23], v[22:23], 0, 8
	v_lshl_add_u64 v[24:25], v[24:25], 0, 8
	s_andn2_b64 s[26:27], s[26:27], exec
	s_or_b64 s[28:29], s[28:29], s[4:5]
	s_branch .LBB1605_134
.LBB1605_137:
	s_or_b64 exec, exec, s[22:23]
	s_and_saveexec_b64 s[2:3], s[24:25]
	s_xor_b64 s[2:3], exec, s[2:3]
; %bb.138:
	v_cndmask_b32_e64 v23, v13, v7, s[12:13]
	v_cndmask_b32_e64 v22, v12, v6, s[12:13]
	;; [unrolled: 1-line block ×4, first 2 shown]
	v_mov_b64_e32 v[12:13], v[22:23]
; %bb.139:
	s_or_b64 exec, exec, s[2:3]
	v_mul_lo_u32 v24, v3, s36
	v_mul_lo_u32 v25, v2, s37
	v_mad_u64_u32 v[22:23], s[2:3], v2, s36, 0
	v_add3_u32 v23, v23, v25, v24
	v_mul_lo_u32 v27, v9, s36
	v_mul_lo_u32 v35, v8, s37
	v_mad_u64_u32 v[24:25], s[2:3], v8, s36, 0
	v_add3_u32 v25, v25, v35, v27
	v_lshl_add_u64 v[22:23], v[22:23], 3, s[38:39]
	v_lshl_add_u64 v[24:25], v[24:25], 3, s[38:39]
	s_mov_b64 s[22:23], 0
	s_mov_b64 s[40:41], s[36:37]
                                        ; implicit-def: $sgpr12_sgpr13
                                        ; implicit-def: $sgpr24_sgpr25
                                        ; implicit-def: $sgpr28_sgpr29
                                        ; implicit-def: $sgpr26_sgpr27
                                        ; implicit-def: $sgpr30_sgpr31
	s_branch .LBB1605_141
.LBB1605_140:                           ;   in Loop: Header=BB1605_141 Depth=1
	s_or_b64 exec, exec, s[42:43]
	s_and_b64 s[2:3], s[2:3], s[30:31]
	s_or_b64 s[2:3], vcc, s[2:3]
	s_and_b64 s[4:5], exec, s[28:29]
	s_or_b64 s[22:23], s[4:5], s[22:23]
	s_andn2_b64 s[4:5], s[30:31], exec
	s_and_b64 s[2:3], s[2:3], exec
	s_or_b64 s[30:31], s[4:5], s[2:3]
	s_andn2_b64 s[4:5], s[24:25], exec
	s_and_b64 s[24:25], s[26:27], exec
	s_or_b64 s[24:25], s[4:5], s[24:25]
	s_andn2_b64 s[4:5], s[12:13], exec
	s_or_b64 s[12:13], s[4:5], s[2:3]
	s_andn2_b64 exec, exec, s[22:23]
	s_cbranch_execz .LBB1605_143
.LBB1605_141:                           ; =>This Inner Loop Header: Depth=1
	global_load_dwordx2 v[36:37], v[22:23], off
	global_load_dwordx2 v[38:39], v[24:25], off
	s_or_b64 s[26:27], s[26:27], exec
	s_or_b64 s[28:29], s[28:29], exec
	s_waitcnt vmcnt(0)
	v_cmp_lt_u64_e32 vcc, v[36:37], v[38:39]
	v_cmp_le_u64_e64 s[2:3], v[36:37], v[38:39]
	v_cmp_eq_u64_e64 s[4:5], v[36:37], v[38:39]
	s_and_saveexec_b64 s[42:43], s[4:5]
	s_cbranch_execz .LBB1605_140
; %bb.142:                              ;   in Loop: Header=BB1605_141 Depth=1
	s_add_u32 s40, s40, -1
	s_addc_u32 s41, s41, -1
	s_cmp_eq_u64 s[40:41], 0
	s_cselect_b64 s[4:5], -1, 0
	s_andn2_b64 s[28:29], s[28:29], exec
	s_and_b64 s[4:5], s[4:5], exec
	v_lshl_add_u64 v[22:23], v[22:23], 0, 8
	v_lshl_add_u64 v[24:25], v[24:25], 0, 8
	s_andn2_b64 s[26:27], s[26:27], exec
	s_or_b64 s[28:29], s[28:29], s[4:5]
	s_branch .LBB1605_140
.LBB1605_143:
	s_or_b64 exec, exec, s[22:23]
	s_and_saveexec_b64 s[2:3], s[24:25]
	s_xor_b64 s[2:3], exec, s[2:3]
; %bb.144:
	v_cndmask_b32_e64 v23, v9, v3, s[12:13]
	v_cndmask_b32_e64 v22, v8, v2, s[12:13]
	;; [unrolled: 1-line block ×4, first 2 shown]
	v_mov_b64_e32 v[8:9], v[22:23]
; %bb.145:
	s_or_b64 exec, exec, s[2:3]
	v_mul_lo_u32 v24, v17, s36
	v_mul_lo_u32 v25, v16, s37
	v_mad_u64_u32 v[22:23], s[2:3], v16, s36, 0
	v_add3_u32 v23, v23, v25, v24
	v_mul_lo_u32 v27, v15, s36
	v_mul_lo_u32 v35, v14, s37
	v_mad_u64_u32 v[24:25], s[2:3], v14, s36, 0
	v_add3_u32 v25, v25, v35, v27
	v_lshl_add_u64 v[22:23], v[22:23], 3, s[38:39]
	v_lshl_add_u64 v[24:25], v[24:25], 3, s[38:39]
	s_mov_b64 s[22:23], 0
	s_mov_b64 s[40:41], s[36:37]
                                        ; implicit-def: $sgpr12_sgpr13
                                        ; implicit-def: $sgpr24_sgpr25
                                        ; implicit-def: $sgpr28_sgpr29
                                        ; implicit-def: $sgpr26_sgpr27
                                        ; implicit-def: $sgpr30_sgpr31
	s_branch .LBB1605_147
.LBB1605_146:                           ;   in Loop: Header=BB1605_147 Depth=1
	s_or_b64 exec, exec, s[42:43]
	s_and_b64 s[2:3], s[2:3], s[30:31]
	s_or_b64 s[2:3], vcc, s[2:3]
	s_and_b64 s[4:5], exec, s[28:29]
	s_or_b64 s[22:23], s[4:5], s[22:23]
	s_andn2_b64 s[4:5], s[30:31], exec
	s_and_b64 s[2:3], s[2:3], exec
	s_or_b64 s[30:31], s[4:5], s[2:3]
	s_andn2_b64 s[4:5], s[24:25], exec
	s_and_b64 s[24:25], s[26:27], exec
	s_or_b64 s[24:25], s[4:5], s[24:25]
	s_andn2_b64 s[4:5], s[12:13], exec
	s_or_b64 s[12:13], s[4:5], s[2:3]
	s_andn2_b64 exec, exec, s[22:23]
	s_cbranch_execz .LBB1605_149
.LBB1605_147:                           ; =>This Inner Loop Header: Depth=1
	global_load_dwordx2 v[36:37], v[22:23], off
	global_load_dwordx2 v[38:39], v[24:25], off
	s_or_b64 s[26:27], s[26:27], exec
	s_or_b64 s[28:29], s[28:29], exec
	s_waitcnt vmcnt(0)
	v_cmp_lt_u64_e32 vcc, v[36:37], v[38:39]
	v_cmp_le_u64_e64 s[2:3], v[36:37], v[38:39]
	v_cmp_eq_u64_e64 s[4:5], v[36:37], v[38:39]
	s_and_saveexec_b64 s[42:43], s[4:5]
	s_cbranch_execz .LBB1605_146
; %bb.148:                              ;   in Loop: Header=BB1605_147 Depth=1
	s_add_u32 s40, s40, -1
	s_addc_u32 s41, s41, -1
	s_cmp_eq_u64 s[40:41], 0
	s_cselect_b64 s[4:5], -1, 0
	s_andn2_b64 s[28:29], s[28:29], exec
	s_and_b64 s[4:5], s[4:5], exec
	v_lshl_add_u64 v[22:23], v[22:23], 0, 8
	v_lshl_add_u64 v[24:25], v[24:25], 0, 8
	s_andn2_b64 s[26:27], s[26:27], exec
	s_or_b64 s[28:29], s[28:29], s[4:5]
	s_branch .LBB1605_146
.LBB1605_149:
	s_or_b64 exec, exec, s[22:23]
	s_and_saveexec_b64 s[2:3], s[24:25]
	s_xor_b64 s[2:3], exec, s[2:3]
; %bb.150:
	v_cndmask_b32_e64 v23, v17, v15, s[12:13]
	v_cndmask_b32_e64 v22, v16, v14, s[12:13]
	;; [unrolled: 1-line block ×4, first 2 shown]
	v_mov_b64_e32 v[16:17], v[22:23]
; %bb.151:
	s_or_b64 exec, exec, s[2:3]
	v_mul_lo_u32 v24, v13, s36
	v_mul_lo_u32 v25, v12, s37
	v_mad_u64_u32 v[22:23], s[2:3], v12, s36, 0
	v_add3_u32 v23, v23, v25, v24
	v_mul_lo_u32 v27, v11, s36
	v_mul_lo_u32 v35, v10, s37
	v_mad_u64_u32 v[24:25], s[2:3], v10, s36, 0
	v_add3_u32 v25, v25, v35, v27
	v_lshl_add_u64 v[22:23], v[22:23], 3, s[38:39]
	v_lshl_add_u64 v[24:25], v[24:25], 3, s[38:39]
	s_mov_b64 s[22:23], 0
	s_mov_b64 s[40:41], s[36:37]
                                        ; implicit-def: $sgpr12_sgpr13
                                        ; implicit-def: $sgpr24_sgpr25
                                        ; implicit-def: $sgpr28_sgpr29
                                        ; implicit-def: $sgpr26_sgpr27
                                        ; implicit-def: $sgpr30_sgpr31
	s_branch .LBB1605_153
.LBB1605_152:                           ;   in Loop: Header=BB1605_153 Depth=1
	s_or_b64 exec, exec, s[42:43]
	s_and_b64 s[2:3], s[2:3], s[30:31]
	s_or_b64 s[2:3], vcc, s[2:3]
	s_and_b64 s[4:5], exec, s[28:29]
	s_or_b64 s[22:23], s[4:5], s[22:23]
	s_andn2_b64 s[4:5], s[30:31], exec
	s_and_b64 s[2:3], s[2:3], exec
	s_or_b64 s[30:31], s[4:5], s[2:3]
	s_andn2_b64 s[4:5], s[24:25], exec
	s_and_b64 s[24:25], s[26:27], exec
	s_or_b64 s[24:25], s[4:5], s[24:25]
	s_andn2_b64 s[4:5], s[12:13], exec
	s_or_b64 s[12:13], s[4:5], s[2:3]
	s_andn2_b64 exec, exec, s[22:23]
	s_cbranch_execz .LBB1605_155
.LBB1605_153:                           ; =>This Inner Loop Header: Depth=1
	global_load_dwordx2 v[36:37], v[22:23], off
	global_load_dwordx2 v[38:39], v[24:25], off
	s_or_b64 s[26:27], s[26:27], exec
	s_or_b64 s[28:29], s[28:29], exec
	s_waitcnt vmcnt(0)
	v_cmp_lt_u64_e32 vcc, v[36:37], v[38:39]
	v_cmp_le_u64_e64 s[2:3], v[36:37], v[38:39]
	v_cmp_eq_u64_e64 s[4:5], v[36:37], v[38:39]
	s_and_saveexec_b64 s[42:43], s[4:5]
	s_cbranch_execz .LBB1605_152
; %bb.154:                              ;   in Loop: Header=BB1605_153 Depth=1
	s_add_u32 s40, s40, -1
	s_addc_u32 s41, s41, -1
	s_cmp_eq_u64 s[40:41], 0
	s_cselect_b64 s[4:5], -1, 0
	s_andn2_b64 s[28:29], s[28:29], exec
	s_and_b64 s[4:5], s[4:5], exec
	v_lshl_add_u64 v[22:23], v[22:23], 0, 8
	v_lshl_add_u64 v[24:25], v[24:25], 0, 8
	s_andn2_b64 s[26:27], s[26:27], exec
	s_or_b64 s[28:29], s[28:29], s[4:5]
	s_branch .LBB1605_152
.LBB1605_155:
	s_or_b64 exec, exec, s[22:23]
	s_and_saveexec_b64 s[2:3], s[24:25]
	s_xor_b64 s[2:3], exec, s[2:3]
; %bb.156:
	v_cndmask_b32_e64 v23, v11, v13, s[12:13]
	v_cndmask_b32_e64 v22, v10, v12, s[12:13]
	;; [unrolled: 1-line block ×4, first 2 shown]
	v_mov_b64_e32 v[10:11], v[22:23]
; %bb.157:
	s_or_b64 exec, exec, s[2:3]
	v_mul_lo_u32 v24, v9, s36
	v_mul_lo_u32 v25, v8, s37
	v_mad_u64_u32 v[22:23], s[2:3], v8, s36, 0
	v_add3_u32 v23, v23, v25, v24
	v_mul_lo_u32 v27, v7, s36
	v_mul_lo_u32 v35, v6, s37
	v_mad_u64_u32 v[24:25], s[2:3], v6, s36, 0
	v_add3_u32 v25, v25, v35, v27
	v_lshl_add_u64 v[22:23], v[22:23], 3, s[38:39]
	v_lshl_add_u64 v[24:25], v[24:25], 3, s[38:39]
	s_mov_b64 s[22:23], 0
	s_mov_b64 s[40:41], s[36:37]
                                        ; implicit-def: $sgpr12_sgpr13
                                        ; implicit-def: $sgpr24_sgpr25
                                        ; implicit-def: $sgpr28_sgpr29
                                        ; implicit-def: $sgpr26_sgpr27
                                        ; implicit-def: $sgpr30_sgpr31
	s_branch .LBB1605_159
.LBB1605_158:                           ;   in Loop: Header=BB1605_159 Depth=1
	s_or_b64 exec, exec, s[42:43]
	s_and_b64 s[2:3], s[2:3], s[30:31]
	s_or_b64 s[2:3], vcc, s[2:3]
	s_and_b64 s[4:5], exec, s[28:29]
	s_or_b64 s[22:23], s[4:5], s[22:23]
	s_andn2_b64 s[4:5], s[30:31], exec
	s_and_b64 s[2:3], s[2:3], exec
	s_or_b64 s[30:31], s[4:5], s[2:3]
	s_andn2_b64 s[4:5], s[24:25], exec
	s_and_b64 s[24:25], s[26:27], exec
	s_or_b64 s[24:25], s[4:5], s[24:25]
	s_andn2_b64 s[4:5], s[12:13], exec
	s_or_b64 s[12:13], s[4:5], s[2:3]
	s_andn2_b64 exec, exec, s[22:23]
	s_cbranch_execz .LBB1605_161
.LBB1605_159:                           ; =>This Inner Loop Header: Depth=1
	global_load_dwordx2 v[36:37], v[22:23], off
	global_load_dwordx2 v[38:39], v[24:25], off
	s_or_b64 s[26:27], s[26:27], exec
	s_or_b64 s[28:29], s[28:29], exec
	s_waitcnt vmcnt(0)
	v_cmp_lt_u64_e32 vcc, v[36:37], v[38:39]
	v_cmp_le_u64_e64 s[2:3], v[36:37], v[38:39]
	v_cmp_eq_u64_e64 s[4:5], v[36:37], v[38:39]
	s_and_saveexec_b64 s[42:43], s[4:5]
	s_cbranch_execz .LBB1605_158
; %bb.160:                              ;   in Loop: Header=BB1605_159 Depth=1
	s_add_u32 s40, s40, -1
	s_addc_u32 s41, s41, -1
	s_cmp_eq_u64 s[40:41], 0
	s_cselect_b64 s[4:5], -1, 0
	s_andn2_b64 s[28:29], s[28:29], exec
	s_and_b64 s[4:5], s[4:5], exec
	v_lshl_add_u64 v[22:23], v[22:23], 0, 8
	v_lshl_add_u64 v[24:25], v[24:25], 0, 8
	s_andn2_b64 s[26:27], s[26:27], exec
	s_or_b64 s[28:29], s[28:29], s[4:5]
	s_branch .LBB1605_158
.LBB1605_161:
	s_or_b64 exec, exec, s[22:23]
	s_and_saveexec_b64 s[2:3], s[24:25]
	s_xor_b64 s[2:3], exec, s[2:3]
; %bb.162:
	v_cndmask_b32_e64 v23, v7, v9, s[12:13]
	v_cndmask_b32_e64 v22, v6, v8, s[12:13]
	;; [unrolled: 1-line block ×4, first 2 shown]
	v_mov_b64_e32 v[6:7], v[22:23]
; %bb.163:
	s_or_b64 exec, exec, s[2:3]
	v_mul_lo_u32 v24, v5, s36
	v_mul_lo_u32 v25, v4, s37
	v_mad_u64_u32 v[22:23], s[2:3], v4, s36, 0
	v_add3_u32 v23, v23, v25, v24
	v_mul_lo_u32 v27, v3, s36
	v_mul_lo_u32 v35, v2, s37
	v_mad_u64_u32 v[24:25], s[2:3], v2, s36, 0
	v_add3_u32 v25, v25, v35, v27
	v_lshl_add_u64 v[22:23], v[22:23], 3, s[38:39]
	v_lshl_add_u64 v[24:25], v[24:25], 3, s[38:39]
	s_mov_b64 s[22:23], 0
	s_mov_b64 s[40:41], s[36:37]
                                        ; implicit-def: $sgpr12_sgpr13
                                        ; implicit-def: $sgpr24_sgpr25
                                        ; implicit-def: $sgpr28_sgpr29
                                        ; implicit-def: $sgpr26_sgpr27
                                        ; implicit-def: $sgpr30_sgpr31
	s_branch .LBB1605_165
.LBB1605_164:                           ;   in Loop: Header=BB1605_165 Depth=1
	s_or_b64 exec, exec, s[42:43]
	s_and_b64 s[2:3], s[2:3], s[30:31]
	s_or_b64 s[2:3], vcc, s[2:3]
	s_and_b64 s[4:5], exec, s[28:29]
	s_or_b64 s[22:23], s[4:5], s[22:23]
	s_andn2_b64 s[4:5], s[30:31], exec
	s_and_b64 s[2:3], s[2:3], exec
	s_or_b64 s[30:31], s[4:5], s[2:3]
	s_andn2_b64 s[4:5], s[24:25], exec
	s_and_b64 s[24:25], s[26:27], exec
	s_or_b64 s[24:25], s[4:5], s[24:25]
	s_andn2_b64 s[4:5], s[12:13], exec
	s_or_b64 s[12:13], s[4:5], s[2:3]
	s_andn2_b64 exec, exec, s[22:23]
	s_cbranch_execz .LBB1605_167
.LBB1605_165:                           ; =>This Inner Loop Header: Depth=1
	global_load_dwordx2 v[36:37], v[22:23], off
	global_load_dwordx2 v[38:39], v[24:25], off
	s_or_b64 s[26:27], s[26:27], exec
	s_or_b64 s[28:29], s[28:29], exec
	s_waitcnt vmcnt(0)
	v_cmp_lt_u64_e32 vcc, v[36:37], v[38:39]
	v_cmp_le_u64_e64 s[2:3], v[36:37], v[38:39]
	v_cmp_eq_u64_e64 s[4:5], v[36:37], v[38:39]
	s_and_saveexec_b64 s[42:43], s[4:5]
	s_cbranch_execz .LBB1605_164
; %bb.166:                              ;   in Loop: Header=BB1605_165 Depth=1
	s_add_u32 s40, s40, -1
	s_addc_u32 s41, s41, -1
	s_cmp_eq_u64 s[40:41], 0
	s_cselect_b64 s[4:5], -1, 0
	s_andn2_b64 s[28:29], s[28:29], exec
	s_and_b64 s[4:5], s[4:5], exec
	v_lshl_add_u64 v[22:23], v[22:23], 0, 8
	v_lshl_add_u64 v[24:25], v[24:25], 0, 8
	s_andn2_b64 s[26:27], s[26:27], exec
	s_or_b64 s[28:29], s[28:29], s[4:5]
	s_branch .LBB1605_164
.LBB1605_167:
	s_or_b64 exec, exec, s[22:23]
	s_and_saveexec_b64 s[2:3], s[24:25]
	s_xor_b64 s[2:3], exec, s[2:3]
; %bb.168:
	v_cndmask_b32_e64 v23, v3, v5, s[12:13]
	v_cndmask_b32_e64 v22, v2, v4, s[12:13]
	;; [unrolled: 1-line block ×4, first 2 shown]
	v_mov_b64_e32 v[2:3], v[22:23]
; %bb.169:
	s_or_b64 exec, exec, s[2:3]
	v_mul_lo_u32 v24, v11, s36
	v_mul_lo_u32 v25, v10, s37
	v_mad_u64_u32 v[22:23], s[2:3], v10, s36, 0
	v_add3_u32 v23, v23, v25, v24
	v_mul_lo_u32 v27, v17, s36
	v_mul_lo_u32 v35, v16, s37
	v_mad_u64_u32 v[24:25], s[2:3], v16, s36, 0
	v_add3_u32 v25, v25, v35, v27
	v_lshl_add_u64 v[22:23], v[22:23], 3, s[38:39]
	v_lshl_add_u64 v[24:25], v[24:25], 3, s[38:39]
	s_mov_b64 s[22:23], 0
	s_mov_b64 s[40:41], s[36:37]
                                        ; implicit-def: $sgpr12_sgpr13
                                        ; implicit-def: $sgpr24_sgpr25
                                        ; implicit-def: $sgpr28_sgpr29
                                        ; implicit-def: $sgpr26_sgpr27
                                        ; implicit-def: $sgpr30_sgpr31
	s_branch .LBB1605_171
.LBB1605_170:                           ;   in Loop: Header=BB1605_171 Depth=1
	s_or_b64 exec, exec, s[42:43]
	s_and_b64 s[2:3], s[2:3], s[30:31]
	s_or_b64 s[2:3], vcc, s[2:3]
	s_and_b64 s[4:5], exec, s[28:29]
	s_or_b64 s[22:23], s[4:5], s[22:23]
	s_andn2_b64 s[4:5], s[30:31], exec
	s_and_b64 s[2:3], s[2:3], exec
	s_or_b64 s[30:31], s[4:5], s[2:3]
	s_andn2_b64 s[4:5], s[24:25], exec
	s_and_b64 s[24:25], s[26:27], exec
	s_or_b64 s[24:25], s[4:5], s[24:25]
	s_andn2_b64 s[4:5], s[12:13], exec
	s_or_b64 s[12:13], s[4:5], s[2:3]
	s_andn2_b64 exec, exec, s[22:23]
	s_cbranch_execz .LBB1605_173
.LBB1605_171:                           ; =>This Inner Loop Header: Depth=1
	global_load_dwordx2 v[36:37], v[22:23], off
	global_load_dwordx2 v[38:39], v[24:25], off
	s_or_b64 s[26:27], s[26:27], exec
	s_or_b64 s[28:29], s[28:29], exec
	s_waitcnt vmcnt(0)
	v_cmp_lt_u64_e32 vcc, v[36:37], v[38:39]
	v_cmp_le_u64_e64 s[2:3], v[36:37], v[38:39]
	v_cmp_eq_u64_e64 s[4:5], v[36:37], v[38:39]
	s_and_saveexec_b64 s[42:43], s[4:5]
	s_cbranch_execz .LBB1605_170
; %bb.172:                              ;   in Loop: Header=BB1605_171 Depth=1
	s_add_u32 s40, s40, -1
	s_addc_u32 s41, s41, -1
	s_cmp_eq_u64 s[40:41], 0
	s_cselect_b64 s[4:5], -1, 0
	s_andn2_b64 s[28:29], s[28:29], exec
	s_and_b64 s[4:5], s[4:5], exec
	v_lshl_add_u64 v[22:23], v[22:23], 0, 8
	v_lshl_add_u64 v[24:25], v[24:25], 0, 8
	s_andn2_b64 s[26:27], s[26:27], exec
	s_or_b64 s[28:29], s[28:29], s[4:5]
	s_branch .LBB1605_170
.LBB1605_173:
	s_or_b64 exec, exec, s[22:23]
	s_and_saveexec_b64 s[2:3], s[24:25]
	s_xor_b64 s[2:3], exec, s[2:3]
; %bb.174:
	v_cndmask_b32_e64 v23, v17, v11, s[12:13]
	v_cndmask_b32_e64 v22, v16, v10, s[12:13]
	;; [unrolled: 1-line block ×4, first 2 shown]
	v_mov_b64_e32 v[16:17], v[22:23]
; %bb.175:
	s_or_b64 exec, exec, s[2:3]
	v_mul_lo_u32 v24, v7, s36
	v_mul_lo_u32 v25, v6, s37
	v_mad_u64_u32 v[22:23], s[2:3], v6, s36, 0
	v_add3_u32 v23, v23, v25, v24
	v_mul_lo_u32 v27, v13, s36
	v_mul_lo_u32 v35, v12, s37
	v_mad_u64_u32 v[24:25], s[2:3], v12, s36, 0
	v_add3_u32 v25, v25, v35, v27
	v_lshl_add_u64 v[22:23], v[22:23], 3, s[38:39]
	v_lshl_add_u64 v[24:25], v[24:25], 3, s[38:39]
	s_mov_b64 s[22:23], 0
	s_mov_b64 s[40:41], s[36:37]
                                        ; implicit-def: $sgpr12_sgpr13
                                        ; implicit-def: $sgpr24_sgpr25
                                        ; implicit-def: $sgpr28_sgpr29
                                        ; implicit-def: $sgpr26_sgpr27
                                        ; implicit-def: $sgpr30_sgpr31
	s_branch .LBB1605_177
.LBB1605_176:                           ;   in Loop: Header=BB1605_177 Depth=1
	s_or_b64 exec, exec, s[42:43]
	s_and_b64 s[2:3], s[2:3], s[30:31]
	s_or_b64 s[2:3], vcc, s[2:3]
	s_and_b64 s[4:5], exec, s[28:29]
	s_or_b64 s[22:23], s[4:5], s[22:23]
	s_andn2_b64 s[4:5], s[30:31], exec
	s_and_b64 s[2:3], s[2:3], exec
	s_or_b64 s[30:31], s[4:5], s[2:3]
	s_andn2_b64 s[4:5], s[24:25], exec
	s_and_b64 s[24:25], s[26:27], exec
	s_or_b64 s[24:25], s[4:5], s[24:25]
	s_andn2_b64 s[4:5], s[12:13], exec
	s_or_b64 s[12:13], s[4:5], s[2:3]
	s_andn2_b64 exec, exec, s[22:23]
	s_cbranch_execz .LBB1605_179
.LBB1605_177:                           ; =>This Inner Loop Header: Depth=1
	global_load_dwordx2 v[36:37], v[22:23], off
	global_load_dwordx2 v[38:39], v[24:25], off
	s_or_b64 s[26:27], s[26:27], exec
	s_or_b64 s[28:29], s[28:29], exec
	s_waitcnt vmcnt(0)
	v_cmp_lt_u64_e32 vcc, v[36:37], v[38:39]
	v_cmp_le_u64_e64 s[2:3], v[36:37], v[38:39]
	v_cmp_eq_u64_e64 s[4:5], v[36:37], v[38:39]
	s_and_saveexec_b64 s[42:43], s[4:5]
	s_cbranch_execz .LBB1605_176
; %bb.178:                              ;   in Loop: Header=BB1605_177 Depth=1
	s_add_u32 s40, s40, -1
	s_addc_u32 s41, s41, -1
	s_cmp_eq_u64 s[40:41], 0
	s_cselect_b64 s[4:5], -1, 0
	s_andn2_b64 s[28:29], s[28:29], exec
	s_and_b64 s[4:5], s[4:5], exec
	v_lshl_add_u64 v[22:23], v[22:23], 0, 8
	v_lshl_add_u64 v[24:25], v[24:25], 0, 8
	s_andn2_b64 s[26:27], s[26:27], exec
	s_or_b64 s[28:29], s[28:29], s[4:5]
	s_branch .LBB1605_176
.LBB1605_179:
	s_or_b64 exec, exec, s[22:23]
	s_and_saveexec_b64 s[2:3], s[24:25]
	s_xor_b64 s[2:3], exec, s[2:3]
; %bb.180:
	v_cndmask_b32_e64 v23, v13, v7, s[12:13]
	v_cndmask_b32_e64 v22, v12, v6, s[12:13]
	;; [unrolled: 1-line block ×4, first 2 shown]
	v_mov_b64_e32 v[12:13], v[22:23]
; %bb.181:
	s_or_b64 exec, exec, s[2:3]
	v_mul_lo_u32 v24, v3, s36
	v_mul_lo_u32 v25, v2, s37
	v_mad_u64_u32 v[22:23], s[2:3], v2, s36, 0
	v_add3_u32 v23, v23, v25, v24
	v_mul_lo_u32 v27, v9, s36
	v_mul_lo_u32 v35, v8, s37
	v_mad_u64_u32 v[24:25], s[2:3], v8, s36, 0
	v_add3_u32 v25, v25, v35, v27
	v_lshl_add_u64 v[22:23], v[22:23], 3, s[38:39]
	v_lshl_add_u64 v[24:25], v[24:25], 3, s[38:39]
	s_mov_b64 s[24:25], 0
	s_mov_b64 s[40:41], s[36:37]
                                        ; implicit-def: $sgpr12_sgpr13
                                        ; implicit-def: $sgpr22_sgpr23
                                        ; implicit-def: $sgpr28_sgpr29
                                        ; implicit-def: $sgpr26_sgpr27
                                        ; implicit-def: $sgpr30_sgpr31
	s_branch .LBB1605_183
.LBB1605_182:                           ;   in Loop: Header=BB1605_183 Depth=1
	s_or_b64 exec, exec, s[42:43]
	s_and_b64 s[2:3], s[2:3], s[30:31]
	s_or_b64 s[2:3], vcc, s[2:3]
	s_and_b64 s[4:5], exec, s[28:29]
	s_or_b64 s[24:25], s[4:5], s[24:25]
	s_andn2_b64 s[4:5], s[30:31], exec
	s_and_b64 s[2:3], s[2:3], exec
	s_or_b64 s[30:31], s[4:5], s[2:3]
	s_andn2_b64 s[4:5], s[22:23], exec
	s_and_b64 s[22:23], s[26:27], exec
	s_or_b64 s[22:23], s[4:5], s[22:23]
	s_andn2_b64 s[4:5], s[12:13], exec
	s_or_b64 s[12:13], s[4:5], s[2:3]
	s_andn2_b64 exec, exec, s[24:25]
	s_cbranch_execz .LBB1605_185
.LBB1605_183:                           ; =>This Inner Loop Header: Depth=1
	global_load_dwordx2 v[36:37], v[22:23], off
	global_load_dwordx2 v[38:39], v[24:25], off
	s_or_b64 s[26:27], s[26:27], exec
	s_or_b64 s[28:29], s[28:29], exec
	s_waitcnt vmcnt(0)
	v_cmp_lt_u64_e32 vcc, v[36:37], v[38:39]
	v_cmp_le_u64_e64 s[2:3], v[36:37], v[38:39]
	v_cmp_eq_u64_e64 s[4:5], v[36:37], v[38:39]
	s_and_saveexec_b64 s[42:43], s[4:5]
	s_cbranch_execz .LBB1605_182
; %bb.184:                              ;   in Loop: Header=BB1605_183 Depth=1
	s_add_u32 s40, s40, -1
	s_addc_u32 s41, s41, -1
	s_cmp_eq_u64 s[40:41], 0
	s_cselect_b64 s[4:5], -1, 0
	s_andn2_b64 s[28:29], s[28:29], exec
	s_and_b64 s[4:5], s[4:5], exec
	v_lshl_add_u64 v[22:23], v[22:23], 0, 8
	v_lshl_add_u64 v[24:25], v[24:25], 0, 8
	s_andn2_b64 s[26:27], s[26:27], exec
	s_or_b64 s[28:29], s[28:29], s[4:5]
	s_branch .LBB1605_182
.LBB1605_185:
	s_or_b64 exec, exec, s[24:25]
	s_and_saveexec_b64 s[2:3], s[22:23]
	s_xor_b64 s[2:3], exec, s[2:3]
; %bb.186:
	v_cndmask_b32_e64 v23, v9, v3, s[12:13]
	v_cndmask_b32_e64 v22, v8, v2, s[12:13]
	v_cndmask_b32_e64 v3, v3, v9, s[12:13]
	v_cndmask_b32_e64 v2, v2, v8, s[12:13]
	v_mov_b64_e32 v[8:9], v[22:23]
; %bb.187:
	s_or_b64 exec, exec, s[2:3]
.LBB1605_188:
	s_or_b64 exec, exec, s[10:11]
	v_mbcnt_lo_u32_b32 v22, -1, 0
	v_mbcnt_hi_u32_b32 v22, -1, v22
	v_and_b32_e32 v23, 0xfffffe00, v26
	s_movk_i32 s2, 0x800
	v_lshlrev_b32_e32 v35, 3, v23
	v_lshlrev_b32_e32 v37, 3, v22
	v_sub_u32_e64 v36, s2, v23 clamp
	v_lshl_add_u32 v38, v22, 6, v35
	v_or_b32_e32 v22, 8, v37
	v_min_u32_e32 v26, v36, v22
	v_add_u32_e32 v22, 8, v26
	v_and_b32_e32 v41, 0x3f0, v37
	v_min_u32_e32 v27, v36, v22
	v_and_b32_e32 v22, 8, v37
	v_min_u32_e32 v42, v36, v22
	v_sub_u32_e32 v22, v26, v41
	v_sub_u32_e32 v23, v27, v26
	v_sub_u32_e64 v40, v42, v23 clamp
	v_min_u32_e32 v43, v42, v22
	v_lshl_add_u32 v39, v41, 3, v35
	v_cmp_lt_u32_e32 vcc, v40, v43
	ds_write_b128 v38, v[14:17]
	ds_write_b128 v38, v[10:13] offset:16
	ds_write_b128 v38, v[6:9] offset:32
	ds_write_b128 v38, v[2:5] offset:48
	; wave barrier
	s_and_saveexec_b64 s[10:11], vcc
	s_cbranch_execz .LBB1605_198
; %bb.189:
	v_lshlrev_b32_e32 v22, 3, v26
	v_lshlrev_b32_e32 v23, 3, v42
	v_add3_u32 v44, v35, v22, v23
	s_lshl_b64 s[22:23], s[36:37], 3
	s_mov_b64 s[12:13], 0
	s_branch .LBB1605_192
.LBB1605_190:                           ;   in Loop: Header=BB1605_192 Depth=1
	s_or_b64 exec, exec, s[26:27]
.LBB1605_191:                           ;   in Loop: Header=BB1605_192 Depth=1
	v_add_u32_e32 v22, 1, v45
	v_cndmask_b32_e64 v43, v43, v45, s[24:25]
	v_cndmask_b32_e64 v40, v22, v40, s[24:25]
	v_cmp_ge_u32_e32 vcc, v40, v43
	s_or_b64 s[12:13], vcc, s[12:13]
	s_andn2_b64 exec, exec, s[12:13]
	s_cbranch_execz .LBB1605_197
.LBB1605_192:                           ; =>This Loop Header: Depth=1
                                        ;     Child Loop BB1605_195 Depth 2
	v_add_u32_e32 v22, v43, v40
	v_lshrrev_b32_e32 v45, 1, v22
	s_and_b64 vcc, exec, s[0:1]
	s_mov_b64 s[24:25], 0
	s_cbranch_vccnz .LBB1605_191
; %bb.193:                              ;   in Loop: Header=BB1605_192 Depth=1
	v_not_b32_e32 v22, v45
	v_lshl_add_u32 v22, v22, 3, v44
	ds_read_b64 v[22:23], v22
	v_lshl_add_u32 v46, v45, 3, v39
	ds_read_b64 v[46:47], v46
	v_mov_b64_e32 v[24:25], s[38:39]
	s_mov_b64 s[26:27], 0
	s_waitcnt lgkmcnt(1)
	v_mul_lo_u32 v48, s22, v23
	v_mul_lo_u32 v49, s23, v22
	v_mad_u64_u32 v[22:23], s[2:3], s22, v22, v[24:25]
	v_add3_u32 v23, v49, v23, v48
	s_waitcnt lgkmcnt(0)
	v_mul_lo_u32 v47, s22, v47
	v_mul_lo_u32 v48, s23, v46
	v_mad_u64_u32 v[24:25], s[2:3], s22, v46, v[24:25]
	v_add3_u32 v25, v48, v25, v47
	s_mov_b64 s[30:31], s[36:37]
                                        ; implicit-def: $sgpr24_sgpr25
                                        ; implicit-def: $sgpr28_sgpr29
                                        ; implicit-def: $sgpr2_sgpr3
                                        ; implicit-def: $sgpr40_sgpr41
	s_branch .LBB1605_195
.LBB1605_194:                           ;   in Loop: Header=BB1605_195 Depth=2
	s_or_b64 exec, exec, s[44:45]
	s_and_b64 s[4:5], exec, s[28:29]
	s_or_b64 s[26:27], s[4:5], s[26:27]
	s_andn2_b64 s[4:5], s[40:41], exec
	s_and_b64 s[40:41], s[42:43], exec
	s_or_b64 s[40:41], s[4:5], s[40:41]
	s_andn2_b64 s[4:5], s[24:25], exec
	s_and_b64 s[24:25], s[2:3], exec
	s_or_b64 s[24:25], s[4:5], s[24:25]
	s_andn2_b64 exec, exec, s[26:27]
	s_cbranch_execz .LBB1605_190
.LBB1605_195:                           ;   Parent Loop BB1605_192 Depth=1
                                        ; =>  This Inner Loop Header: Depth=2
	global_load_dwordx2 v[46:47], v[22:23], off
	global_load_dwordx2 v[48:49], v[24:25], off
	s_andn2_b64 s[44:45], s[2:3], exec
	s_or_b64 s[28:29], s[28:29], exec
	s_waitcnt vmcnt(0)
	v_cmp_le_u64_e64 s[2:3], v[46:47], v[48:49]
	v_cmp_lt_u64_e32 vcc, v[46:47], v[48:49]
	s_and_b64 s[2:3], s[2:3], s[40:41]
	s_or_b64 s[42:43], vcc, s[2:3]
	s_and_b64 s[2:3], s[42:43], exec
	v_cmp_eq_u64_e64 s[4:5], v[46:47], v[48:49]
	s_or_b64 s[2:3], s[44:45], s[2:3]
	s_and_saveexec_b64 s[44:45], s[4:5]
	s_cbranch_execz .LBB1605_194
; %bb.196:                              ;   in Loop: Header=BB1605_195 Depth=2
	s_add_u32 s30, s30, -1
	s_addc_u32 s31, s31, -1
	s_cmp_eq_u64 s[30:31], 0
	s_cselect_b64 s[4:5], -1, 0
	s_andn2_b64 s[28:29], s[28:29], exec
	s_and_b64 s[4:5], s[4:5], exec
	v_lshl_add_u64 v[22:23], v[22:23], 0, 8
	v_lshl_add_u64 v[24:25], v[24:25], 0, 8
	s_andn2_b64 s[2:3], s[2:3], exec
	s_or_b64 s[28:29], s[28:29], s[4:5]
                                        ; implicit-def: $sgpr40_sgpr41
	s_branch .LBB1605_194
.LBB1605_197:
	s_or_b64 exec, exec, s[12:13]
.LBB1605_198:
	s_or_b64 exec, exec, s[10:11]
	v_add_u32_e32 v22, v26, v42
	v_add_u32_e32 v23, v40, v41
	v_sub_u32_e32 v24, v22, v40
	v_cmp_le_u32_e32 vcc, v23, v26
	v_cmp_le_u32_e64 s[2:3], v24, v27
	s_or_b64 s[2:3], vcc, s[2:3]
	s_and_saveexec_b64 s[10:11], s[2:3]
	s_cbranch_execz .LBB1605_289
; %bb.199:
	v_cmp_ge_u32_e32 vcc, v23, v26
	v_cmp_lt_u32_e64 s[2:3], v23, v26
                                        ; implicit-def: $vgpr2_vgpr3
	s_and_saveexec_b64 s[4:5], s[2:3]
; %bb.200:
	v_lshl_add_u32 v2, v40, 3, v39
	ds_read_b64 v[2:3], v2
; %bb.201:
	s_or_b64 exec, exec, s[4:5]
	v_cmp_ge_u32_e64 s[12:13], v24, v27
	v_cmp_lt_u32_e64 s[2:3], v24, v27
                                        ; implicit-def: $vgpr4_vgpr5
	s_and_saveexec_b64 s[4:5], s[2:3]
; %bb.202:
	v_lshl_add_u32 v4, v24, 3, v35
	ds_read_b64 v[4:5], v4
; %bb.203:
	s_or_b64 exec, exec, s[4:5]
	s_nor_b64 s[2:3], vcc, s[12:13]
	s_and_saveexec_b64 s[22:23], s[2:3]
	s_cbranch_execz .LBB1605_212
; %bb.204:
	s_and_b64 vcc, exec, s[0:1]
	s_cbranch_vccnz .LBB1605_210
; %bb.205:
	s_waitcnt lgkmcnt(0)
	v_mul_lo_u32 v8, v5, s36
	v_mul_lo_u32 v9, v4, s37
	v_mad_u64_u32 v[6:7], s[2:3], v4, s36, 0
	v_add3_u32 v7, v7, v9, v8
	v_mul_lo_u32 v10, v3, s36
	v_mul_lo_u32 v11, v2, s37
	v_mad_u64_u32 v[8:9], s[2:3], v2, s36, 0
	v_add3_u32 v9, v9, v11, v10
	v_lshl_add_u64 v[6:7], v[6:7], 3, s[38:39]
	v_lshl_add_u64 v[8:9], v[8:9], 3, s[38:39]
	s_mov_b64 s[24:25], 0
	s_mov_b64 s[30:31], s[36:37]
                                        ; implicit-def: $sgpr26_sgpr27
                                        ; implicit-def: $sgpr28_sgpr29
                                        ; implicit-def: $sgpr2_sgpr3
                                        ; implicit-def: $sgpr40_sgpr41
	s_branch .LBB1605_207
.LBB1605_206:                           ;   in Loop: Header=BB1605_207 Depth=1
	s_or_b64 exec, exec, s[44:45]
	s_and_b64 s[4:5], exec, s[28:29]
	s_or_b64 s[24:25], s[4:5], s[24:25]
	s_andn2_b64 s[4:5], s[40:41], exec
	s_and_b64 s[40:41], s[42:43], exec
	s_or_b64 s[40:41], s[4:5], s[40:41]
	s_andn2_b64 s[4:5], s[26:27], exec
	s_and_b64 s[26:27], s[2:3], exec
	s_or_b64 s[26:27], s[4:5], s[26:27]
	s_andn2_b64 exec, exec, s[24:25]
	s_cbranch_execz .LBB1605_209
.LBB1605_207:                           ; =>This Inner Loop Header: Depth=1
	global_load_dwordx2 v[10:11], v[6:7], off
	global_load_dwordx2 v[12:13], v[8:9], off
	s_andn2_b64 s[44:45], s[2:3], exec
	s_or_b64 s[28:29], s[28:29], exec
	s_waitcnt vmcnt(0)
	v_cmp_le_u64_e64 s[2:3], v[10:11], v[12:13]
	v_cmp_lt_u64_e32 vcc, v[10:11], v[12:13]
	s_and_b64 s[2:3], s[2:3], s[40:41]
	s_or_b64 s[42:43], vcc, s[2:3]
	s_and_b64 s[2:3], s[42:43], exec
	v_cmp_eq_u64_e64 s[4:5], v[10:11], v[12:13]
	s_or_b64 s[2:3], s[44:45], s[2:3]
	s_and_saveexec_b64 s[44:45], s[4:5]
	s_cbranch_execz .LBB1605_206
; %bb.208:                              ;   in Loop: Header=BB1605_207 Depth=1
	s_add_u32 s30, s30, -1
	s_addc_u32 s31, s31, -1
	s_cmp_eq_u64 s[30:31], 0
	s_cselect_b64 s[4:5], -1, 0
	s_andn2_b64 s[28:29], s[28:29], exec
	s_and_b64 s[4:5], s[4:5], exec
	v_lshl_add_u64 v[6:7], v[6:7], 0, 8
	v_lshl_add_u64 v[8:9], v[8:9], 0, 8
	s_andn2_b64 s[2:3], s[2:3], exec
	s_or_b64 s[28:29], s[28:29], s[4:5]
                                        ; implicit-def: $sgpr40_sgpr41
	s_branch .LBB1605_206
.LBB1605_209:
	s_or_b64 exec, exec, s[24:25]
	s_xor_b64 s[2:3], s[26:27], -1
	s_branch .LBB1605_211
.LBB1605_210:
	s_mov_b64 s[2:3], -1
.LBB1605_211:
	s_andn2_b64 s[4:5], s[12:13], exec
	s_and_b64 s[2:3], s[2:3], exec
	s_or_b64 s[12:13], s[4:5], s[2:3]
.LBB1605_212:
	s_or_b64 exec, exec, s[22:23]
	v_cndmask_b32_e64 v6, v24, v23, s[12:13]
	v_cndmask_b32_e64 v7, v27, v26, s[12:13]
	v_add_u32_e32 v8, 1, v6
	v_add_u32_e32 v6, -1, v7
	v_min_u32_e32 v6, v8, v6
	v_lshl_add_u32 v6, v6, 3, v35
	ds_read_b64 v[6:7], v6
	v_cndmask_b32_e64 v12, v8, v24, s[12:13]
	v_cndmask_b32_e64 v13, v23, v8, s[12:13]
	v_cmp_lt_u32_e32 vcc, v12, v27
	s_mov_b64 s[24:25], -1
	s_waitcnt lgkmcnt(0)
	v_cndmask_b32_e64 v14, v7, v5, s[12:13]
	v_cndmask_b32_e64 v15, v6, v4, s[12:13]
	;; [unrolled: 1-line block ×4, first 2 shown]
	s_mov_b64 s[22:23], -1
	s_and_saveexec_b64 s[26:27], vcc
	s_cbranch_execz .LBB1605_223
; %bb.213:
	v_cmp_lt_u32_e32 vcc, v13, v26
	s_mov_b64 s[2:3], 0
	s_and_saveexec_b64 s[22:23], vcc
	s_cbranch_execz .LBB1605_222
; %bb.214:
	s_and_b64 vcc, exec, s[0:1]
	s_cbranch_vccnz .LBB1605_220
; %bb.215:
	v_mul_lo_u32 v8, v14, s36
	v_mul_lo_u32 v9, v15, s37
	v_mad_u64_u32 v[6:7], s[2:3], v15, s36, 0
	v_add3_u32 v7, v7, v9, v8
	v_mul_lo_u32 v10, v16, s36
	v_mul_lo_u32 v11, v22, s37
	v_mad_u64_u32 v[8:9], s[2:3], v22, s36, 0
	v_add3_u32 v9, v9, v11, v10
	v_lshl_add_u64 v[6:7], v[6:7], 3, s[38:39]
	v_lshl_add_u64 v[8:9], v[8:9], 3, s[38:39]
	s_mov_b64 s[28:29], 0
	s_mov_b64 s[42:43], s[36:37]
                                        ; implicit-def: $sgpr30_sgpr31
                                        ; implicit-def: $sgpr40_sgpr41
                                        ; implicit-def: $sgpr2_sgpr3
                                        ; implicit-def: $sgpr44_sgpr45
	s_branch .LBB1605_217
.LBB1605_216:                           ;   in Loop: Header=BB1605_217 Depth=1
	s_or_b64 exec, exec, s[48:49]
	s_and_b64 s[4:5], exec, s[40:41]
	s_or_b64 s[28:29], s[4:5], s[28:29]
	s_andn2_b64 s[4:5], s[44:45], exec
	s_and_b64 s[44:45], s[46:47], exec
	s_or_b64 s[44:45], s[4:5], s[44:45]
	s_andn2_b64 s[4:5], s[30:31], exec
	s_and_b64 s[30:31], s[2:3], exec
	s_or_b64 s[30:31], s[4:5], s[30:31]
	s_andn2_b64 exec, exec, s[28:29]
	s_cbranch_execz .LBB1605_219
.LBB1605_217:                           ; =>This Inner Loop Header: Depth=1
	global_load_dwordx2 v[10:11], v[6:7], off
	global_load_dwordx2 v[24:25], v[8:9], off
	s_andn2_b64 s[48:49], s[2:3], exec
	s_or_b64 s[40:41], s[40:41], exec
	s_waitcnt vmcnt(0)
	v_cmp_le_u64_e64 s[2:3], v[10:11], v[24:25]
	v_cmp_lt_u64_e32 vcc, v[10:11], v[24:25]
	s_and_b64 s[2:3], s[2:3], s[44:45]
	s_or_b64 s[46:47], vcc, s[2:3]
	s_and_b64 s[2:3], s[46:47], exec
	v_cmp_eq_u64_e64 s[4:5], v[10:11], v[24:25]
	s_or_b64 s[2:3], s[48:49], s[2:3]
	s_and_saveexec_b64 s[48:49], s[4:5]
	s_cbranch_execz .LBB1605_216
; %bb.218:                              ;   in Loop: Header=BB1605_217 Depth=1
	s_add_u32 s42, s42, -1
	s_addc_u32 s43, s43, -1
	s_cmp_eq_u64 s[42:43], 0
	s_cselect_b64 s[4:5], -1, 0
	s_andn2_b64 s[40:41], s[40:41], exec
	s_and_b64 s[4:5], s[4:5], exec
	v_lshl_add_u64 v[6:7], v[6:7], 0, 8
	v_lshl_add_u64 v[8:9], v[8:9], 0, 8
	s_andn2_b64 s[2:3], s[2:3], exec
	s_or_b64 s[40:41], s[40:41], s[4:5]
                                        ; implicit-def: $sgpr44_sgpr45
	s_branch .LBB1605_216
.LBB1605_219:
	s_or_b64 exec, exec, s[28:29]
	s_xor_b64 s[2:3], s[30:31], -1
	s_branch .LBB1605_221
.LBB1605_220:
	s_mov_b64 s[2:3], -1
.LBB1605_221:
	s_and_b64 s[2:3], s[2:3], exec
.LBB1605_222:
	s_or_b64 exec, exec, s[22:23]
	s_orn2_b64 s[22:23], s[2:3], exec
.LBB1605_223:
	s_or_b64 exec, exec, s[26:27]
	v_cndmask_b32_e64 v6, v12, v13, s[22:23]
	v_cndmask_b32_e64 v7, v27, v26, s[22:23]
	v_add_u32_e32 v8, 1, v6
	v_add_u32_e32 v6, -1, v7
	v_min_u32_e32 v6, v8, v6
	v_lshl_add_u32 v6, v6, 3, v35
	ds_read_b64 v[6:7], v6
	v_cndmask_b32_e64 v39, v8, v12, s[22:23]
	v_cndmask_b32_e64 v40, v13, v8, s[22:23]
	v_cmp_lt_u32_e32 vcc, v39, v27
	s_waitcnt lgkmcnt(0)
	v_cndmask_b32_e64 v10, v7, v14, s[22:23]
	v_cndmask_b32_e64 v17, v6, v15, s[22:23]
	;; [unrolled: 1-line block ×4, first 2 shown]
	s_and_saveexec_b64 s[26:27], vcc
	s_cbranch_execz .LBB1605_234
; %bb.224:
	v_cmp_lt_u32_e32 vcc, v40, v26
	s_mov_b64 s[2:3], 0
	s_and_saveexec_b64 s[24:25], vcc
	s_cbranch_execz .LBB1605_233
; %bb.225:
	s_and_b64 vcc, exec, s[0:1]
	s_cbranch_vccnz .LBB1605_231
; %bb.226:
	v_mul_lo_u32 v8, v10, s36
	v_mul_lo_u32 v9, v17, s37
	v_mad_u64_u32 v[6:7], s[2:3], v17, s36, 0
	v_add3_u32 v7, v7, v9, v8
	v_mul_lo_u32 v12, v11, s36
	v_mul_lo_u32 v13, v23, s37
	v_mad_u64_u32 v[8:9], s[2:3], v23, s36, 0
	v_add3_u32 v9, v9, v13, v12
	v_lshl_add_u64 v[6:7], v[6:7], 3, s[38:39]
	v_lshl_add_u64 v[8:9], v[8:9], 3, s[38:39]
	s_mov_b64 s[28:29], 0
	s_mov_b64 s[42:43], s[36:37]
                                        ; implicit-def: $sgpr30_sgpr31
                                        ; implicit-def: $sgpr40_sgpr41
                                        ; implicit-def: $sgpr2_sgpr3
                                        ; implicit-def: $sgpr44_sgpr45
	s_branch .LBB1605_228
.LBB1605_227:                           ;   in Loop: Header=BB1605_228 Depth=1
	s_or_b64 exec, exec, s[48:49]
	s_and_b64 s[4:5], exec, s[40:41]
	s_or_b64 s[28:29], s[4:5], s[28:29]
	s_andn2_b64 s[4:5], s[44:45], exec
	s_and_b64 s[44:45], s[46:47], exec
	s_or_b64 s[44:45], s[4:5], s[44:45]
	s_andn2_b64 s[4:5], s[30:31], exec
	s_and_b64 s[30:31], s[2:3], exec
	s_or_b64 s[30:31], s[4:5], s[30:31]
	s_andn2_b64 exec, exec, s[28:29]
	s_cbranch_execz .LBB1605_230
.LBB1605_228:                           ; =>This Inner Loop Header: Depth=1
	global_load_dwordx2 v[12:13], v[6:7], off
	global_load_dwordx2 v[24:25], v[8:9], off
	s_andn2_b64 s[48:49], s[2:3], exec
	s_or_b64 s[40:41], s[40:41], exec
	s_waitcnt vmcnt(0)
	v_cmp_le_u64_e64 s[2:3], v[12:13], v[24:25]
	v_cmp_lt_u64_e32 vcc, v[12:13], v[24:25]
	s_and_b64 s[2:3], s[2:3], s[44:45]
	s_or_b64 s[46:47], vcc, s[2:3]
	s_and_b64 s[2:3], s[46:47], exec
	v_cmp_eq_u64_e64 s[4:5], v[12:13], v[24:25]
	s_or_b64 s[2:3], s[48:49], s[2:3]
	s_and_saveexec_b64 s[48:49], s[4:5]
	s_cbranch_execz .LBB1605_227
; %bb.229:                              ;   in Loop: Header=BB1605_228 Depth=1
	s_add_u32 s42, s42, -1
	s_addc_u32 s43, s43, -1
	s_cmp_eq_u64 s[42:43], 0
	s_cselect_b64 s[4:5], -1, 0
	s_andn2_b64 s[40:41], s[40:41], exec
	s_and_b64 s[4:5], s[4:5], exec
	v_lshl_add_u64 v[6:7], v[6:7], 0, 8
	v_lshl_add_u64 v[8:9], v[8:9], 0, 8
	s_andn2_b64 s[2:3], s[2:3], exec
	s_or_b64 s[40:41], s[40:41], s[4:5]
                                        ; implicit-def: $sgpr44_sgpr45
	s_branch .LBB1605_227
.LBB1605_230:
	s_or_b64 exec, exec, s[28:29]
	s_xor_b64 s[2:3], s[30:31], -1
	s_branch .LBB1605_232
.LBB1605_231:
	s_mov_b64 s[2:3], -1
.LBB1605_232:
	s_and_b64 s[2:3], s[2:3], exec
.LBB1605_233:
	s_or_b64 exec, exec, s[24:25]
	s_orn2_b64 s[24:25], s[2:3], exec
.LBB1605_234:
	s_or_b64 exec, exec, s[26:27]
	v_cndmask_b32_e64 v6, v39, v40, s[24:25]
	v_cndmask_b32_e64 v7, v27, v26, s[24:25]
	v_add_u32_e32 v8, 1, v6
	v_add_u32_e32 v6, -1, v7
	v_min_u32_e32 v6, v8, v6
	v_lshl_add_u32 v6, v6, 3, v35
	ds_read_b64 v[6:7], v6
	v_cndmask_b32_e64 v43, v8, v39, s[24:25]
	v_cndmask_b32_e64 v44, v40, v8, s[24:25]
	v_cmp_lt_u32_e32 vcc, v43, v27
	s_mov_b64 s[28:29], -1
	s_waitcnt lgkmcnt(0)
	v_cndmask_b32_e64 v12, v7, v10, s[24:25]
	v_cndmask_b32_e64 v24, v6, v17, s[24:25]
	;; [unrolled: 1-line block ×4, first 2 shown]
	s_mov_b64 s[26:27], -1
	s_and_saveexec_b64 s[30:31], vcc
	s_cbranch_execz .LBB1605_245
; %bb.235:
	v_cmp_lt_u32_e32 vcc, v44, v26
	s_mov_b64 s[2:3], 0
	s_and_saveexec_b64 s[26:27], vcc
	s_cbranch_execz .LBB1605_244
; %bb.236:
	s_and_b64 vcc, exec, s[0:1]
	s_cbranch_vccnz .LBB1605_242
; %bb.237:
	v_mul_lo_u32 v8, v12, s36
	v_mul_lo_u32 v9, v24, s37
	v_mad_u64_u32 v[6:7], s[2:3], v24, s36, 0
	v_add3_u32 v7, v7, v9, v8
	v_mul_lo_u32 v39, v13, s36
	v_mul_lo_u32 v40, v25, s37
	v_mad_u64_u32 v[8:9], s[2:3], v25, s36, 0
	v_add3_u32 v9, v9, v40, v39
	v_lshl_add_u64 v[6:7], v[6:7], 3, s[38:39]
	v_lshl_add_u64 v[8:9], v[8:9], 3, s[38:39]
	s_mov_b64 s[40:41], 0
	s_mov_b64 s[46:47], s[36:37]
                                        ; implicit-def: $sgpr42_sgpr43
                                        ; implicit-def: $sgpr44_sgpr45
                                        ; implicit-def: $sgpr2_sgpr3
                                        ; implicit-def: $sgpr48_sgpr49
	s_branch .LBB1605_239
.LBB1605_238:                           ;   in Loop: Header=BB1605_239 Depth=1
	s_or_b64 exec, exec, s[52:53]
	s_and_b64 s[4:5], exec, s[44:45]
	s_or_b64 s[40:41], s[4:5], s[40:41]
	s_andn2_b64 s[4:5], s[48:49], exec
	s_and_b64 s[48:49], s[50:51], exec
	s_or_b64 s[48:49], s[4:5], s[48:49]
	s_andn2_b64 s[4:5], s[42:43], exec
	s_and_b64 s[42:43], s[2:3], exec
	s_or_b64 s[42:43], s[4:5], s[42:43]
	s_andn2_b64 exec, exec, s[40:41]
	s_cbranch_execz .LBB1605_241
.LBB1605_239:                           ; =>This Inner Loop Header: Depth=1
	global_load_dwordx2 v[40:41], v[6:7], off
	global_load_dwordx2 v[46:47], v[8:9], off
	s_andn2_b64 s[52:53], s[2:3], exec
	s_or_b64 s[44:45], s[44:45], exec
	s_waitcnt vmcnt(0)
	v_cmp_le_u64_e64 s[2:3], v[40:41], v[46:47]
	v_cmp_lt_u64_e32 vcc, v[40:41], v[46:47]
	s_and_b64 s[2:3], s[2:3], s[48:49]
	s_or_b64 s[50:51], vcc, s[2:3]
	s_and_b64 s[2:3], s[50:51], exec
	v_cmp_eq_u64_e64 s[4:5], v[40:41], v[46:47]
	s_or_b64 s[2:3], s[52:53], s[2:3]
	s_and_saveexec_b64 s[52:53], s[4:5]
	s_cbranch_execz .LBB1605_238
; %bb.240:                              ;   in Loop: Header=BB1605_239 Depth=1
	s_add_u32 s46, s46, -1
	s_addc_u32 s47, s47, -1
	s_cmp_eq_u64 s[46:47], 0
	s_cselect_b64 s[4:5], -1, 0
	s_andn2_b64 s[44:45], s[44:45], exec
	s_and_b64 s[4:5], s[4:5], exec
	v_lshl_add_u64 v[6:7], v[6:7], 0, 8
	v_lshl_add_u64 v[8:9], v[8:9], 0, 8
	s_andn2_b64 s[2:3], s[2:3], exec
	s_or_b64 s[44:45], s[44:45], s[4:5]
                                        ; implicit-def: $sgpr48_sgpr49
	s_branch .LBB1605_238
.LBB1605_241:
	s_or_b64 exec, exec, s[40:41]
	s_xor_b64 s[2:3], s[42:43], -1
	s_branch .LBB1605_243
.LBB1605_242:
	s_mov_b64 s[2:3], -1
.LBB1605_243:
	s_and_b64 s[2:3], s[2:3], exec
.LBB1605_244:
	s_or_b64 exec, exec, s[26:27]
	s_orn2_b64 s[26:27], s[2:3], exec
.LBB1605_245:
	s_or_b64 exec, exec, s[30:31]
	v_cndmask_b32_e64 v6, v43, v44, s[26:27]
	v_cndmask_b32_e64 v7, v27, v26, s[26:27]
	v_add_u32_e32 v8, 1, v6
	v_add_u32_e32 v6, -1, v7
	v_min_u32_e32 v6, v8, v6
	v_lshl_add_u32 v6, v6, 3, v35
	ds_read_b64 v[6:7], v6
	v_cndmask_b32_e64 v47, v8, v43, s[26:27]
	v_cndmask_b32_e64 v48, v44, v8, s[26:27]
	v_cmp_lt_u32_e32 vcc, v47, v27
	s_waitcnt lgkmcnt(0)
	v_cndmask_b32_e64 v39, v7, v12, s[26:27]
	v_cndmask_b32_e64 v40, v6, v24, s[26:27]
	;; [unrolled: 1-line block ×4, first 2 shown]
	s_and_saveexec_b64 s[30:31], vcc
	s_cbranch_execz .LBB1605_256
; %bb.246:
	v_cmp_lt_u32_e32 vcc, v48, v26
	s_mov_b64 s[2:3], 0
	s_and_saveexec_b64 s[28:29], vcc
	s_cbranch_execz .LBB1605_255
; %bb.247:
	s_and_b64 vcc, exec, s[0:1]
	s_cbranch_vccnz .LBB1605_253
; %bb.248:
	v_mul_lo_u32 v8, v39, s36
	v_mul_lo_u32 v9, v40, s37
	v_mad_u64_u32 v[6:7], s[2:3], v40, s36, 0
	v_add3_u32 v7, v7, v9, v8
	v_mul_lo_u32 v43, v41, s36
	v_mul_lo_u32 v44, v42, s37
	v_mad_u64_u32 v[8:9], s[2:3], v42, s36, 0
	v_add3_u32 v9, v9, v44, v43
	v_lshl_add_u64 v[6:7], v[6:7], 3, s[38:39]
	v_lshl_add_u64 v[8:9], v[8:9], 3, s[38:39]
	s_mov_b64 s[40:41], 0
	s_mov_b64 s[46:47], s[36:37]
                                        ; implicit-def: $sgpr42_sgpr43
                                        ; implicit-def: $sgpr44_sgpr45
                                        ; implicit-def: $sgpr2_sgpr3
                                        ; implicit-def: $sgpr48_sgpr49
	s_branch .LBB1605_250
.LBB1605_249:                           ;   in Loop: Header=BB1605_250 Depth=1
	s_or_b64 exec, exec, s[52:53]
	s_and_b64 s[4:5], exec, s[44:45]
	s_or_b64 s[40:41], s[4:5], s[40:41]
	s_andn2_b64 s[4:5], s[48:49], exec
	s_and_b64 s[48:49], s[50:51], exec
	s_or_b64 s[48:49], s[4:5], s[48:49]
	s_andn2_b64 s[4:5], s[42:43], exec
	s_and_b64 s[42:43], s[2:3], exec
	s_or_b64 s[42:43], s[4:5], s[42:43]
	s_andn2_b64 exec, exec, s[40:41]
	s_cbranch_execz .LBB1605_252
.LBB1605_250:                           ; =>This Inner Loop Header: Depth=1
	global_load_dwordx2 v[44:45], v[6:7], off
	global_load_dwordx2 v[50:51], v[8:9], off
	s_andn2_b64 s[52:53], s[2:3], exec
	s_or_b64 s[44:45], s[44:45], exec
	s_waitcnt vmcnt(0)
	v_cmp_le_u64_e64 s[2:3], v[44:45], v[50:51]
	v_cmp_lt_u64_e32 vcc, v[44:45], v[50:51]
	s_and_b64 s[2:3], s[2:3], s[48:49]
	s_or_b64 s[50:51], vcc, s[2:3]
	s_and_b64 s[2:3], s[50:51], exec
	v_cmp_eq_u64_e64 s[4:5], v[44:45], v[50:51]
	s_or_b64 s[2:3], s[52:53], s[2:3]
	s_and_saveexec_b64 s[52:53], s[4:5]
	s_cbranch_execz .LBB1605_249
; %bb.251:                              ;   in Loop: Header=BB1605_250 Depth=1
	s_add_u32 s46, s46, -1
	s_addc_u32 s47, s47, -1
	s_cmp_eq_u64 s[46:47], 0
	s_cselect_b64 s[4:5], -1, 0
	s_andn2_b64 s[44:45], s[44:45], exec
	s_and_b64 s[4:5], s[4:5], exec
	v_lshl_add_u64 v[6:7], v[6:7], 0, 8
	v_lshl_add_u64 v[8:9], v[8:9], 0, 8
	s_andn2_b64 s[2:3], s[2:3], exec
	s_or_b64 s[44:45], s[44:45], s[4:5]
                                        ; implicit-def: $sgpr48_sgpr49
	s_branch .LBB1605_249
.LBB1605_252:
	s_or_b64 exec, exec, s[40:41]
	s_xor_b64 s[2:3], s[42:43], -1
	s_branch .LBB1605_254
.LBB1605_253:
	s_mov_b64 s[2:3], -1
.LBB1605_254:
	s_and_b64 s[2:3], s[2:3], exec
.LBB1605_255:
	s_or_b64 exec, exec, s[28:29]
	s_orn2_b64 s[28:29], s[2:3], exec
.LBB1605_256:
	s_or_b64 exec, exec, s[30:31]
	v_cndmask_b32_e64 v6, v47, v48, s[28:29]
	v_cndmask_b32_e64 v7, v27, v26, s[28:29]
	v_add_u32_e32 v8, 1, v6
	v_add_u32_e32 v6, -1, v7
	v_min_u32_e32 v6, v8, v6
	v_lshl_add_u32 v6, v6, 3, v35
	ds_read_b64 v[6:7], v6
	v_cndmask_b32_e64 v49, v8, v47, s[28:29]
	v_cndmask_b32_e64 v53, v48, v8, s[28:29]
	v_cmp_lt_u32_e32 vcc, v49, v27
	s_mov_b64 s[30:31], -1
	s_waitcnt lgkmcnt(0)
	v_cndmask_b32_e64 v43, v7, v39, s[28:29]
	v_cndmask_b32_e64 v44, v6, v40, s[28:29]
	v_cndmask_b32_e64 v45, v41, v7, s[28:29]
	v_cndmask_b32_e64 v46, v42, v6, s[28:29]
	s_mov_b64 s[40:41], -1
	s_and_saveexec_b64 s[42:43], vcc
	s_cbranch_execz .LBB1605_267
; %bb.257:
	v_cmp_lt_u32_e32 vcc, v53, v26
	s_mov_b64 s[2:3], 0
	s_and_saveexec_b64 s[40:41], vcc
	s_cbranch_execz .LBB1605_266
; %bb.258:
	s_and_b64 vcc, exec, s[0:1]
	s_cbranch_vccnz .LBB1605_264
; %bb.259:
	v_mul_lo_u32 v8, v43, s36
	v_mul_lo_u32 v9, v44, s37
	v_mad_u64_u32 v[6:7], s[2:3], v44, s36, 0
	v_add3_u32 v7, v7, v9, v8
	v_mul_lo_u32 v47, v45, s36
	v_mul_lo_u32 v48, v46, s37
	v_mad_u64_u32 v[8:9], s[2:3], v46, s36, 0
	v_add3_u32 v9, v9, v48, v47
	v_lshl_add_u64 v[6:7], v[6:7], 3, s[38:39]
	v_lshl_add_u64 v[8:9], v[8:9], 3, s[38:39]
	s_mov_b64 s[44:45], 0
	s_mov_b64 s[50:51], s[36:37]
                                        ; implicit-def: $sgpr46_sgpr47
                                        ; implicit-def: $sgpr48_sgpr49
                                        ; implicit-def: $sgpr2_sgpr3
                                        ; implicit-def: $sgpr52_sgpr53
	s_branch .LBB1605_261
.LBB1605_260:                           ;   in Loop: Header=BB1605_261 Depth=1
	s_or_b64 exec, exec, s[56:57]
	s_and_b64 s[4:5], exec, s[48:49]
	s_or_b64 s[44:45], s[4:5], s[44:45]
	s_andn2_b64 s[4:5], s[52:53], exec
	s_and_b64 s[52:53], s[54:55], exec
	s_or_b64 s[52:53], s[4:5], s[52:53]
	s_andn2_b64 s[4:5], s[46:47], exec
	s_and_b64 s[46:47], s[2:3], exec
	s_or_b64 s[46:47], s[4:5], s[46:47]
	s_andn2_b64 exec, exec, s[44:45]
	s_cbranch_execz .LBB1605_263
.LBB1605_261:                           ; =>This Inner Loop Header: Depth=1
	global_load_dwordx2 v[50:51], v[6:7], off
	global_load_dwordx2 v[54:55], v[8:9], off
	s_andn2_b64 s[56:57], s[2:3], exec
	s_or_b64 s[48:49], s[48:49], exec
	s_waitcnt vmcnt(0)
	v_cmp_le_u64_e64 s[2:3], v[50:51], v[54:55]
	v_cmp_lt_u64_e32 vcc, v[50:51], v[54:55]
	s_and_b64 s[2:3], s[2:3], s[52:53]
	s_or_b64 s[54:55], vcc, s[2:3]
	s_and_b64 s[2:3], s[54:55], exec
	v_cmp_eq_u64_e64 s[4:5], v[50:51], v[54:55]
	s_or_b64 s[2:3], s[56:57], s[2:3]
	s_and_saveexec_b64 s[56:57], s[4:5]
	s_cbranch_execz .LBB1605_260
; %bb.262:                              ;   in Loop: Header=BB1605_261 Depth=1
	s_add_u32 s50, s50, -1
	s_addc_u32 s51, s51, -1
	s_cmp_eq_u64 s[50:51], 0
	s_cselect_b64 s[4:5], -1, 0
	s_andn2_b64 s[48:49], s[48:49], exec
	s_and_b64 s[4:5], s[4:5], exec
	v_lshl_add_u64 v[6:7], v[6:7], 0, 8
	v_lshl_add_u64 v[8:9], v[8:9], 0, 8
	s_andn2_b64 s[2:3], s[2:3], exec
	s_or_b64 s[48:49], s[48:49], s[4:5]
                                        ; implicit-def: $sgpr52_sgpr53
	s_branch .LBB1605_260
.LBB1605_263:
	s_or_b64 exec, exec, s[44:45]
	s_xor_b64 s[2:3], s[46:47], -1
	s_branch .LBB1605_265
.LBB1605_264:
	s_mov_b64 s[2:3], -1
.LBB1605_265:
	s_and_b64 s[2:3], s[2:3], exec
.LBB1605_266:
	s_or_b64 exec, exec, s[40:41]
	s_orn2_b64 s[40:41], s[2:3], exec
.LBB1605_267:
	s_or_b64 exec, exec, s[42:43]
	v_cndmask_b32_e64 v6, v49, v53, s[40:41]
	v_cndmask_b32_e64 v7, v27, v26, s[40:41]
	v_add_u32_e32 v8, 1, v6
	v_add_u32_e32 v6, -1, v7
	v_min_u32_e32 v6, v8, v6
	v_lshl_add_u32 v6, v6, 3, v35
	ds_read_b64 v[6:7], v6
	v_cndmask_b32_e64 v50, v8, v49, s[40:41]
	v_cndmask_b32_e64 v49, v53, v8, s[40:41]
	v_cmp_lt_u32_e32 vcc, v50, v27
	s_waitcnt lgkmcnt(0)
	v_cndmask_b32_e64 v47, v7, v43, s[40:41]
	v_cndmask_b32_e64 v48, v6, v44, s[40:41]
	;; [unrolled: 1-line block ×4, first 2 shown]
	s_and_saveexec_b64 s[42:43], vcc
	s_cbranch_execz .LBB1605_278
; %bb.268:
	v_cmp_lt_u32_e32 vcc, v49, v26
	s_mov_b64 s[2:3], 0
	s_and_saveexec_b64 s[30:31], vcc
	s_cbranch_execz .LBB1605_277
; %bb.269:
	s_and_b64 vcc, exec, s[0:1]
	s_cbranch_vccnz .LBB1605_275
; %bb.270:
	v_mul_lo_u32 v8, v47, s36
	v_mul_lo_u32 v9, v48, s37
	v_mad_u64_u32 v[6:7], s[2:3], v48, s36, 0
	v_add3_u32 v7, v7, v9, v8
	v_mul_lo_u32 v53, v51, s36
	v_mul_lo_u32 v54, v52, s37
	v_mad_u64_u32 v[8:9], s[2:3], v52, s36, 0
	v_add3_u32 v9, v9, v54, v53
	v_lshl_add_u64 v[6:7], v[6:7], 3, s[38:39]
	v_lshl_add_u64 v[8:9], v[8:9], 3, s[38:39]
	s_mov_b64 s[44:45], 0
	s_mov_b64 s[50:51], s[36:37]
                                        ; implicit-def: $sgpr46_sgpr47
                                        ; implicit-def: $sgpr48_sgpr49
                                        ; implicit-def: $sgpr2_sgpr3
                                        ; implicit-def: $sgpr52_sgpr53
	s_branch .LBB1605_272
.LBB1605_271:                           ;   in Loop: Header=BB1605_272 Depth=1
	s_or_b64 exec, exec, s[56:57]
	s_and_b64 s[4:5], exec, s[48:49]
	s_or_b64 s[44:45], s[4:5], s[44:45]
	s_andn2_b64 s[4:5], s[52:53], exec
	s_and_b64 s[52:53], s[54:55], exec
	s_or_b64 s[52:53], s[4:5], s[52:53]
	s_andn2_b64 s[4:5], s[46:47], exec
	s_and_b64 s[46:47], s[2:3], exec
	s_or_b64 s[46:47], s[4:5], s[46:47]
	s_andn2_b64 exec, exec, s[44:45]
	s_cbranch_execz .LBB1605_274
.LBB1605_272:                           ; =>This Inner Loop Header: Depth=1
	global_load_dwordx2 v[54:55], v[6:7], off
	global_load_dwordx2 v[56:57], v[8:9], off
	s_andn2_b64 s[56:57], s[2:3], exec
	s_or_b64 s[48:49], s[48:49], exec
	s_waitcnt vmcnt(0)
	v_cmp_le_u64_e64 s[2:3], v[54:55], v[56:57]
	v_cmp_lt_u64_e32 vcc, v[54:55], v[56:57]
	s_and_b64 s[2:3], s[2:3], s[52:53]
	s_or_b64 s[54:55], vcc, s[2:3]
	s_and_b64 s[2:3], s[54:55], exec
	v_cmp_eq_u64_e64 s[4:5], v[54:55], v[56:57]
	s_or_b64 s[2:3], s[56:57], s[2:3]
	s_and_saveexec_b64 s[56:57], s[4:5]
	s_cbranch_execz .LBB1605_271
; %bb.273:                              ;   in Loop: Header=BB1605_272 Depth=1
	s_add_u32 s50, s50, -1
	s_addc_u32 s51, s51, -1
	s_cmp_eq_u64 s[50:51], 0
	s_cselect_b64 s[4:5], -1, 0
	s_andn2_b64 s[48:49], s[48:49], exec
	s_and_b64 s[4:5], s[4:5], exec
	v_lshl_add_u64 v[6:7], v[6:7], 0, 8
	v_lshl_add_u64 v[8:9], v[8:9], 0, 8
	s_andn2_b64 s[2:3], s[2:3], exec
	s_or_b64 s[48:49], s[48:49], s[4:5]
                                        ; implicit-def: $sgpr52_sgpr53
	s_branch .LBB1605_271
.LBB1605_274:
	s_or_b64 exec, exec, s[44:45]
	s_xor_b64 s[2:3], s[46:47], -1
	s_branch .LBB1605_276
.LBB1605_275:
	s_mov_b64 s[2:3], -1
.LBB1605_276:
	s_and_b64 s[2:3], s[2:3], exec
.LBB1605_277:
	s_or_b64 exec, exec, s[30:31]
	s_orn2_b64 s[30:31], s[2:3], exec
.LBB1605_278:
	s_or_b64 exec, exec, s[42:43]
	v_cndmask_b32_e64 v11, v10, v11, s[24:25]
	v_cndmask_b32_e64 v10, v17, v23, s[24:25]
	v_cndmask_b32_e64 v17, v14, v16, s[22:23]
	v_cndmask_b32_e64 v16, v15, v22, s[22:23]
	v_cndmask_b32_e64 v14, v50, v49, s[30:31]
	v_cndmask_b32_e64 v15, v27, v26, s[30:31]
	v_cndmask_b32_e64 v13, v12, v13, s[26:27]
	v_cndmask_b32_e64 v12, v24, v25, s[26:27]
	v_add_u32_e32 v24, 1, v14
	v_add_u32_e32 v14, -1, v15
	v_min_u32_e32 v14, v24, v14
	v_lshl_add_u32 v14, v14, 3, v35
	ds_read_b64 v[22:23], v14
	v_cndmask_b32_e64 v25, v24, v50, s[30:31]
	v_cndmask_b32_e64 v9, v43, v45, s[40:41]
	;; [unrolled: 1-line block ×9, first 2 shown]
	s_waitcnt lgkmcnt(0)
	v_cndmask_b32_e64 v5, v51, v23, s[30:31]
	v_cndmask_b32_e64 v4, v52, v22, s[30:31]
	v_cmp_lt_u32_e32 vcc, v25, v27
	s_and_saveexec_b64 s[12:13], vcc
	s_cbranch_execz .LBB1605_288
; %bb.279:
	v_cndmask_b32_e64 v24, v49, v24, s[30:31]
	v_cndmask_b32_e64 v23, v23, v47, s[30:31]
	;; [unrolled: 1-line block ×3, first 2 shown]
	v_cmp_lt_u32_e32 vcc, v24, v26
	s_and_saveexec_b64 s[22:23], vcc
	s_cbranch_execz .LBB1605_287
; %bb.280:
	s_and_b64 vcc, exec, s[0:1]
	s_cbranch_vccnz .LBB1605_286
; %bb.281:
	v_mul_lo_u32 v26, v23, s36
	v_mul_lo_u32 v27, v22, s37
	v_mad_u64_u32 v[24:25], s[2:3], v22, s36, 0
	v_add3_u32 v25, v25, v27, v26
	v_mul_lo_u32 v39, v5, s36
	v_mul_lo_u32 v40, v4, s37
	v_mad_u64_u32 v[26:27], s[2:3], v4, s36, 0
	v_add3_u32 v27, v27, v40, v39
	v_lshl_add_u64 v[24:25], v[24:25], 3, s[38:39]
	v_lshl_add_u64 v[26:27], v[26:27], 3, s[38:39]
	s_mov_b64 s[24:25], 0
	s_mov_b64 s[30:31], s[36:37]
                                        ; implicit-def: $sgpr26_sgpr27
                                        ; implicit-def: $sgpr28_sgpr29
                                        ; implicit-def: $sgpr2_sgpr3
                                        ; implicit-def: $sgpr40_sgpr41
	s_branch .LBB1605_283
.LBB1605_282:                           ;   in Loop: Header=BB1605_283 Depth=1
	s_or_b64 exec, exec, s[44:45]
	s_and_b64 s[4:5], exec, s[28:29]
	s_or_b64 s[24:25], s[4:5], s[24:25]
	s_andn2_b64 s[4:5], s[40:41], exec
	s_and_b64 s[40:41], s[42:43], exec
	s_or_b64 s[40:41], s[4:5], s[40:41]
	s_andn2_b64 s[4:5], s[26:27], exec
	s_and_b64 s[26:27], s[2:3], exec
	s_or_b64 s[26:27], s[4:5], s[26:27]
	s_andn2_b64 exec, exec, s[24:25]
	s_cbranch_execz .LBB1605_285
.LBB1605_283:                           ; =>This Inner Loop Header: Depth=1
	global_load_dwordx2 v[40:41], v[24:25], off
	global_load_dwordx2 v[42:43], v[26:27], off
	s_andn2_b64 s[44:45], s[2:3], exec
	s_or_b64 s[28:29], s[28:29], exec
	s_waitcnt vmcnt(0)
	v_cmp_le_u64_e64 s[2:3], v[40:41], v[42:43]
	v_cmp_lt_u64_e32 vcc, v[40:41], v[42:43]
	s_and_b64 s[2:3], s[2:3], s[40:41]
	s_or_b64 s[42:43], vcc, s[2:3]
	s_and_b64 s[2:3], s[42:43], exec
	v_cmp_eq_u64_e64 s[4:5], v[40:41], v[42:43]
	s_or_b64 s[2:3], s[44:45], s[2:3]
	s_and_saveexec_b64 s[44:45], s[4:5]
	s_cbranch_execz .LBB1605_282
; %bb.284:                              ;   in Loop: Header=BB1605_283 Depth=1
	s_add_u32 s30, s30, -1
	s_addc_u32 s31, s31, -1
	s_cmp_eq_u64 s[30:31], 0
	s_cselect_b64 s[4:5], -1, 0
	s_andn2_b64 s[28:29], s[28:29], exec
	s_and_b64 s[4:5], s[4:5], exec
	v_lshl_add_u64 v[24:25], v[24:25], 0, 8
	v_lshl_add_u64 v[26:27], v[26:27], 0, 8
	s_andn2_b64 s[2:3], s[2:3], exec
	s_or_b64 s[28:29], s[28:29], s[4:5]
                                        ; implicit-def: $sgpr40_sgpr41
	s_branch .LBB1605_282
.LBB1605_285:
	s_or_b64 exec, exec, s[24:25]
	v_cndmask_b32_e64 v5, v5, v23, s[26:27]
	v_cndmask_b32_e64 v4, v4, v22, s[26:27]
.LBB1605_286:
	v_mov_b64_e32 v[22:23], v[4:5]
.LBB1605_287:
	s_or_b64 exec, exec, s[22:23]
	v_mov_b64_e32 v[4:5], v[22:23]
.LBB1605_288:
	s_or_b64 exec, exec, s[12:13]
.LBB1605_289:
	s_or_b64 exec, exec, s[10:11]
	v_and_b32_e32 v41, 0x3e0, v37
	v_or_b32_e32 v22, 16, v41
	v_min_u32_e32 v26, v36, v22
	v_add_u32_e32 v22, 16, v26
	v_min_u32_e32 v27, v36, v22
	v_and_b32_e32 v22, 24, v37
	v_min_u32_e32 v42, v36, v22
	v_sub_u32_e32 v22, v26, v41
	v_sub_u32_e32 v23, v27, v26
	v_sub_u32_e64 v40, v42, v23 clamp
	v_min_u32_e32 v43, v42, v22
	v_lshl_add_u32 v39, v41, 3, v35
	v_cmp_lt_u32_e32 vcc, v40, v43
	; wave barrier
	ds_write_b128 v38, v[14:17]
	ds_write_b128 v38, v[10:13] offset:16
	ds_write_b128 v38, v[6:9] offset:32
	;; [unrolled: 1-line block ×3, first 2 shown]
	; wave barrier
	s_and_saveexec_b64 s[10:11], vcc
	s_cbranch_execz .LBB1605_299
; %bb.290:
	v_lshlrev_b32_e32 v22, 3, v26
	v_lshlrev_b32_e32 v23, 3, v42
	v_add3_u32 v44, v35, v22, v23
	s_lshl_b64 s[22:23], s[36:37], 3
	s_mov_b64 s[12:13], 0
	s_branch .LBB1605_293
.LBB1605_291:                           ;   in Loop: Header=BB1605_293 Depth=1
	s_or_b64 exec, exec, s[26:27]
.LBB1605_292:                           ;   in Loop: Header=BB1605_293 Depth=1
	v_add_u32_e32 v22, 1, v45
	v_cndmask_b32_e64 v43, v43, v45, s[24:25]
	v_cndmask_b32_e64 v40, v22, v40, s[24:25]
	v_cmp_ge_u32_e32 vcc, v40, v43
	s_or_b64 s[12:13], vcc, s[12:13]
	s_andn2_b64 exec, exec, s[12:13]
	s_cbranch_execz .LBB1605_298
.LBB1605_293:                           ; =>This Loop Header: Depth=1
                                        ;     Child Loop BB1605_296 Depth 2
	v_add_u32_e32 v22, v43, v40
	v_lshrrev_b32_e32 v45, 1, v22
	s_and_b64 vcc, exec, s[0:1]
	s_mov_b64 s[24:25], 0
	s_cbranch_vccnz .LBB1605_292
; %bb.294:                              ;   in Loop: Header=BB1605_293 Depth=1
	v_not_b32_e32 v22, v45
	v_lshl_add_u32 v22, v22, 3, v44
	ds_read_b64 v[22:23], v22
	v_lshl_add_u32 v46, v45, 3, v39
	ds_read_b64 v[46:47], v46
	v_mov_b64_e32 v[24:25], s[38:39]
	s_mov_b64 s[26:27], 0
	s_waitcnt lgkmcnt(1)
	v_mul_lo_u32 v48, s22, v23
	v_mul_lo_u32 v49, s23, v22
	v_mad_u64_u32 v[22:23], s[2:3], s22, v22, v[24:25]
	v_add3_u32 v23, v49, v23, v48
	s_waitcnt lgkmcnt(0)
	v_mul_lo_u32 v47, s22, v47
	v_mul_lo_u32 v48, s23, v46
	v_mad_u64_u32 v[24:25], s[2:3], s22, v46, v[24:25]
	v_add3_u32 v25, v48, v25, v47
	s_mov_b64 s[30:31], s[36:37]
                                        ; implicit-def: $sgpr24_sgpr25
                                        ; implicit-def: $sgpr28_sgpr29
                                        ; implicit-def: $sgpr2_sgpr3
                                        ; implicit-def: $sgpr40_sgpr41
	s_branch .LBB1605_296
.LBB1605_295:                           ;   in Loop: Header=BB1605_296 Depth=2
	s_or_b64 exec, exec, s[44:45]
	s_and_b64 s[4:5], exec, s[28:29]
	s_or_b64 s[26:27], s[4:5], s[26:27]
	s_andn2_b64 s[4:5], s[40:41], exec
	s_and_b64 s[40:41], s[42:43], exec
	s_or_b64 s[40:41], s[4:5], s[40:41]
	s_andn2_b64 s[4:5], s[24:25], exec
	s_and_b64 s[24:25], s[2:3], exec
	s_or_b64 s[24:25], s[4:5], s[24:25]
	s_andn2_b64 exec, exec, s[26:27]
	s_cbranch_execz .LBB1605_291
.LBB1605_296:                           ;   Parent Loop BB1605_293 Depth=1
                                        ; =>  This Inner Loop Header: Depth=2
	global_load_dwordx2 v[46:47], v[22:23], off
	global_load_dwordx2 v[48:49], v[24:25], off
	s_andn2_b64 s[44:45], s[2:3], exec
	s_or_b64 s[28:29], s[28:29], exec
	s_waitcnt vmcnt(0)
	v_cmp_le_u64_e64 s[2:3], v[46:47], v[48:49]
	v_cmp_lt_u64_e32 vcc, v[46:47], v[48:49]
	s_and_b64 s[2:3], s[2:3], s[40:41]
	s_or_b64 s[42:43], vcc, s[2:3]
	s_and_b64 s[2:3], s[42:43], exec
	v_cmp_eq_u64_e64 s[4:5], v[46:47], v[48:49]
	s_or_b64 s[2:3], s[44:45], s[2:3]
	s_and_saveexec_b64 s[44:45], s[4:5]
	s_cbranch_execz .LBB1605_295
; %bb.297:                              ;   in Loop: Header=BB1605_296 Depth=2
	s_add_u32 s30, s30, -1
	s_addc_u32 s31, s31, -1
	s_cmp_eq_u64 s[30:31], 0
	s_cselect_b64 s[4:5], -1, 0
	s_andn2_b64 s[28:29], s[28:29], exec
	s_and_b64 s[4:5], s[4:5], exec
	v_lshl_add_u64 v[22:23], v[22:23], 0, 8
	v_lshl_add_u64 v[24:25], v[24:25], 0, 8
	s_andn2_b64 s[2:3], s[2:3], exec
	s_or_b64 s[28:29], s[28:29], s[4:5]
                                        ; implicit-def: $sgpr40_sgpr41
	s_branch .LBB1605_295
.LBB1605_298:
	s_or_b64 exec, exec, s[12:13]
.LBB1605_299:
	s_or_b64 exec, exec, s[10:11]
	v_add_u32_e32 v22, v26, v42
	v_add_u32_e32 v23, v40, v41
	v_sub_u32_e32 v24, v22, v40
	v_cmp_le_u32_e32 vcc, v23, v26
	v_cmp_le_u32_e64 s[2:3], v24, v27
	s_or_b64 s[2:3], vcc, s[2:3]
	s_and_saveexec_b64 s[10:11], s[2:3]
	s_cbranch_execz .LBB1605_390
; %bb.300:
	v_cmp_ge_u32_e32 vcc, v23, v26
	v_cmp_lt_u32_e64 s[2:3], v23, v26
                                        ; implicit-def: $vgpr2_vgpr3
	s_and_saveexec_b64 s[4:5], s[2:3]
; %bb.301:
	v_lshl_add_u32 v2, v40, 3, v39
	ds_read_b64 v[2:3], v2
; %bb.302:
	s_or_b64 exec, exec, s[4:5]
	v_cmp_ge_u32_e64 s[12:13], v24, v27
	v_cmp_lt_u32_e64 s[2:3], v24, v27
                                        ; implicit-def: $vgpr4_vgpr5
	s_and_saveexec_b64 s[4:5], s[2:3]
; %bb.303:
	v_lshl_add_u32 v4, v24, 3, v35
	ds_read_b64 v[4:5], v4
; %bb.304:
	s_or_b64 exec, exec, s[4:5]
	s_nor_b64 s[2:3], vcc, s[12:13]
	s_and_saveexec_b64 s[22:23], s[2:3]
	s_cbranch_execz .LBB1605_313
; %bb.305:
	s_and_b64 vcc, exec, s[0:1]
	s_cbranch_vccnz .LBB1605_311
; %bb.306:
	s_waitcnt lgkmcnt(0)
	v_mul_lo_u32 v8, v5, s36
	v_mul_lo_u32 v9, v4, s37
	v_mad_u64_u32 v[6:7], s[2:3], v4, s36, 0
	v_add3_u32 v7, v7, v9, v8
	v_mul_lo_u32 v10, v3, s36
	v_mul_lo_u32 v11, v2, s37
	v_mad_u64_u32 v[8:9], s[2:3], v2, s36, 0
	v_add3_u32 v9, v9, v11, v10
	v_lshl_add_u64 v[6:7], v[6:7], 3, s[38:39]
	v_lshl_add_u64 v[8:9], v[8:9], 3, s[38:39]
	s_mov_b64 s[24:25], 0
	s_mov_b64 s[30:31], s[36:37]
                                        ; implicit-def: $sgpr26_sgpr27
                                        ; implicit-def: $sgpr28_sgpr29
                                        ; implicit-def: $sgpr2_sgpr3
                                        ; implicit-def: $sgpr40_sgpr41
	s_branch .LBB1605_308
.LBB1605_307:                           ;   in Loop: Header=BB1605_308 Depth=1
	s_or_b64 exec, exec, s[44:45]
	s_and_b64 s[4:5], exec, s[28:29]
	s_or_b64 s[24:25], s[4:5], s[24:25]
	s_andn2_b64 s[4:5], s[40:41], exec
	s_and_b64 s[40:41], s[42:43], exec
	s_or_b64 s[40:41], s[4:5], s[40:41]
	s_andn2_b64 s[4:5], s[26:27], exec
	s_and_b64 s[26:27], s[2:3], exec
	s_or_b64 s[26:27], s[4:5], s[26:27]
	s_andn2_b64 exec, exec, s[24:25]
	s_cbranch_execz .LBB1605_310
.LBB1605_308:                           ; =>This Inner Loop Header: Depth=1
	global_load_dwordx2 v[10:11], v[6:7], off
	global_load_dwordx2 v[12:13], v[8:9], off
	s_andn2_b64 s[44:45], s[2:3], exec
	s_or_b64 s[28:29], s[28:29], exec
	s_waitcnt vmcnt(0)
	v_cmp_le_u64_e64 s[2:3], v[10:11], v[12:13]
	v_cmp_lt_u64_e32 vcc, v[10:11], v[12:13]
	s_and_b64 s[2:3], s[2:3], s[40:41]
	s_or_b64 s[42:43], vcc, s[2:3]
	s_and_b64 s[2:3], s[42:43], exec
	v_cmp_eq_u64_e64 s[4:5], v[10:11], v[12:13]
	s_or_b64 s[2:3], s[44:45], s[2:3]
	s_and_saveexec_b64 s[44:45], s[4:5]
	s_cbranch_execz .LBB1605_307
; %bb.309:                              ;   in Loop: Header=BB1605_308 Depth=1
	s_add_u32 s30, s30, -1
	s_addc_u32 s31, s31, -1
	s_cmp_eq_u64 s[30:31], 0
	s_cselect_b64 s[4:5], -1, 0
	s_andn2_b64 s[28:29], s[28:29], exec
	s_and_b64 s[4:5], s[4:5], exec
	v_lshl_add_u64 v[6:7], v[6:7], 0, 8
	v_lshl_add_u64 v[8:9], v[8:9], 0, 8
	s_andn2_b64 s[2:3], s[2:3], exec
	s_or_b64 s[28:29], s[28:29], s[4:5]
                                        ; implicit-def: $sgpr40_sgpr41
	s_branch .LBB1605_307
.LBB1605_310:
	s_or_b64 exec, exec, s[24:25]
	s_xor_b64 s[2:3], s[26:27], -1
	s_branch .LBB1605_312
.LBB1605_311:
	s_mov_b64 s[2:3], -1
.LBB1605_312:
	s_andn2_b64 s[4:5], s[12:13], exec
	s_and_b64 s[2:3], s[2:3], exec
	s_or_b64 s[12:13], s[4:5], s[2:3]
.LBB1605_313:
	s_or_b64 exec, exec, s[22:23]
	v_cndmask_b32_e64 v6, v24, v23, s[12:13]
	v_cndmask_b32_e64 v7, v27, v26, s[12:13]
	v_add_u32_e32 v8, 1, v6
	v_add_u32_e32 v6, -1, v7
	v_min_u32_e32 v6, v8, v6
	v_lshl_add_u32 v6, v6, 3, v35
	ds_read_b64 v[6:7], v6
	v_cndmask_b32_e64 v12, v8, v24, s[12:13]
	v_cndmask_b32_e64 v13, v23, v8, s[12:13]
	v_cmp_lt_u32_e32 vcc, v12, v27
	s_mov_b64 s[24:25], -1
	s_waitcnt lgkmcnt(0)
	v_cndmask_b32_e64 v14, v7, v5, s[12:13]
	v_cndmask_b32_e64 v15, v6, v4, s[12:13]
	;; [unrolled: 1-line block ×4, first 2 shown]
	s_mov_b64 s[22:23], -1
	s_and_saveexec_b64 s[26:27], vcc
	s_cbranch_execz .LBB1605_324
; %bb.314:
	v_cmp_lt_u32_e32 vcc, v13, v26
	s_mov_b64 s[2:3], 0
	s_and_saveexec_b64 s[22:23], vcc
	s_cbranch_execz .LBB1605_323
; %bb.315:
	s_and_b64 vcc, exec, s[0:1]
	s_cbranch_vccnz .LBB1605_321
; %bb.316:
	v_mul_lo_u32 v8, v14, s36
	v_mul_lo_u32 v9, v15, s37
	v_mad_u64_u32 v[6:7], s[2:3], v15, s36, 0
	v_add3_u32 v7, v7, v9, v8
	v_mul_lo_u32 v10, v16, s36
	v_mul_lo_u32 v11, v22, s37
	v_mad_u64_u32 v[8:9], s[2:3], v22, s36, 0
	v_add3_u32 v9, v9, v11, v10
	v_lshl_add_u64 v[6:7], v[6:7], 3, s[38:39]
	v_lshl_add_u64 v[8:9], v[8:9], 3, s[38:39]
	s_mov_b64 s[28:29], 0
	s_mov_b64 s[42:43], s[36:37]
                                        ; implicit-def: $sgpr30_sgpr31
                                        ; implicit-def: $sgpr40_sgpr41
                                        ; implicit-def: $sgpr2_sgpr3
                                        ; implicit-def: $sgpr44_sgpr45
	s_branch .LBB1605_318
.LBB1605_317:                           ;   in Loop: Header=BB1605_318 Depth=1
	s_or_b64 exec, exec, s[48:49]
	s_and_b64 s[4:5], exec, s[40:41]
	s_or_b64 s[28:29], s[4:5], s[28:29]
	s_andn2_b64 s[4:5], s[44:45], exec
	s_and_b64 s[44:45], s[46:47], exec
	s_or_b64 s[44:45], s[4:5], s[44:45]
	s_andn2_b64 s[4:5], s[30:31], exec
	s_and_b64 s[30:31], s[2:3], exec
	s_or_b64 s[30:31], s[4:5], s[30:31]
	s_andn2_b64 exec, exec, s[28:29]
	s_cbranch_execz .LBB1605_320
.LBB1605_318:                           ; =>This Inner Loop Header: Depth=1
	global_load_dwordx2 v[10:11], v[6:7], off
	global_load_dwordx2 v[24:25], v[8:9], off
	s_andn2_b64 s[48:49], s[2:3], exec
	s_or_b64 s[40:41], s[40:41], exec
	s_waitcnt vmcnt(0)
	v_cmp_le_u64_e64 s[2:3], v[10:11], v[24:25]
	v_cmp_lt_u64_e32 vcc, v[10:11], v[24:25]
	s_and_b64 s[2:3], s[2:3], s[44:45]
	s_or_b64 s[46:47], vcc, s[2:3]
	s_and_b64 s[2:3], s[46:47], exec
	v_cmp_eq_u64_e64 s[4:5], v[10:11], v[24:25]
	s_or_b64 s[2:3], s[48:49], s[2:3]
	s_and_saveexec_b64 s[48:49], s[4:5]
	s_cbranch_execz .LBB1605_317
; %bb.319:                              ;   in Loop: Header=BB1605_318 Depth=1
	s_add_u32 s42, s42, -1
	s_addc_u32 s43, s43, -1
	s_cmp_eq_u64 s[42:43], 0
	s_cselect_b64 s[4:5], -1, 0
	s_andn2_b64 s[40:41], s[40:41], exec
	s_and_b64 s[4:5], s[4:5], exec
	v_lshl_add_u64 v[6:7], v[6:7], 0, 8
	v_lshl_add_u64 v[8:9], v[8:9], 0, 8
	s_andn2_b64 s[2:3], s[2:3], exec
	s_or_b64 s[40:41], s[40:41], s[4:5]
                                        ; implicit-def: $sgpr44_sgpr45
	s_branch .LBB1605_317
.LBB1605_320:
	s_or_b64 exec, exec, s[28:29]
	s_xor_b64 s[2:3], s[30:31], -1
	s_branch .LBB1605_322
.LBB1605_321:
	s_mov_b64 s[2:3], -1
.LBB1605_322:
	s_and_b64 s[2:3], s[2:3], exec
.LBB1605_323:
	s_or_b64 exec, exec, s[22:23]
	s_orn2_b64 s[22:23], s[2:3], exec
.LBB1605_324:
	s_or_b64 exec, exec, s[26:27]
	v_cndmask_b32_e64 v6, v12, v13, s[22:23]
	v_cndmask_b32_e64 v7, v27, v26, s[22:23]
	v_add_u32_e32 v8, 1, v6
	v_add_u32_e32 v6, -1, v7
	v_min_u32_e32 v6, v8, v6
	v_lshl_add_u32 v6, v6, 3, v35
	ds_read_b64 v[6:7], v6
	v_cndmask_b32_e64 v39, v8, v12, s[22:23]
	v_cndmask_b32_e64 v40, v13, v8, s[22:23]
	v_cmp_lt_u32_e32 vcc, v39, v27
	s_waitcnt lgkmcnt(0)
	v_cndmask_b32_e64 v10, v7, v14, s[22:23]
	v_cndmask_b32_e64 v17, v6, v15, s[22:23]
	;; [unrolled: 1-line block ×4, first 2 shown]
	s_and_saveexec_b64 s[26:27], vcc
	s_cbranch_execz .LBB1605_335
; %bb.325:
	v_cmp_lt_u32_e32 vcc, v40, v26
	s_mov_b64 s[2:3], 0
	s_and_saveexec_b64 s[24:25], vcc
	s_cbranch_execz .LBB1605_334
; %bb.326:
	s_and_b64 vcc, exec, s[0:1]
	s_cbranch_vccnz .LBB1605_332
; %bb.327:
	v_mul_lo_u32 v8, v10, s36
	v_mul_lo_u32 v9, v17, s37
	v_mad_u64_u32 v[6:7], s[2:3], v17, s36, 0
	v_add3_u32 v7, v7, v9, v8
	v_mul_lo_u32 v12, v11, s36
	v_mul_lo_u32 v13, v23, s37
	v_mad_u64_u32 v[8:9], s[2:3], v23, s36, 0
	v_add3_u32 v9, v9, v13, v12
	v_lshl_add_u64 v[6:7], v[6:7], 3, s[38:39]
	v_lshl_add_u64 v[8:9], v[8:9], 3, s[38:39]
	s_mov_b64 s[28:29], 0
	s_mov_b64 s[42:43], s[36:37]
                                        ; implicit-def: $sgpr30_sgpr31
                                        ; implicit-def: $sgpr40_sgpr41
                                        ; implicit-def: $sgpr2_sgpr3
                                        ; implicit-def: $sgpr44_sgpr45
	s_branch .LBB1605_329
.LBB1605_328:                           ;   in Loop: Header=BB1605_329 Depth=1
	s_or_b64 exec, exec, s[48:49]
	s_and_b64 s[4:5], exec, s[40:41]
	s_or_b64 s[28:29], s[4:5], s[28:29]
	s_andn2_b64 s[4:5], s[44:45], exec
	s_and_b64 s[44:45], s[46:47], exec
	s_or_b64 s[44:45], s[4:5], s[44:45]
	s_andn2_b64 s[4:5], s[30:31], exec
	s_and_b64 s[30:31], s[2:3], exec
	s_or_b64 s[30:31], s[4:5], s[30:31]
	s_andn2_b64 exec, exec, s[28:29]
	s_cbranch_execz .LBB1605_331
.LBB1605_329:                           ; =>This Inner Loop Header: Depth=1
	global_load_dwordx2 v[12:13], v[6:7], off
	global_load_dwordx2 v[24:25], v[8:9], off
	s_andn2_b64 s[48:49], s[2:3], exec
	s_or_b64 s[40:41], s[40:41], exec
	s_waitcnt vmcnt(0)
	v_cmp_le_u64_e64 s[2:3], v[12:13], v[24:25]
	v_cmp_lt_u64_e32 vcc, v[12:13], v[24:25]
	s_and_b64 s[2:3], s[2:3], s[44:45]
	s_or_b64 s[46:47], vcc, s[2:3]
	s_and_b64 s[2:3], s[46:47], exec
	v_cmp_eq_u64_e64 s[4:5], v[12:13], v[24:25]
	s_or_b64 s[2:3], s[48:49], s[2:3]
	s_and_saveexec_b64 s[48:49], s[4:5]
	s_cbranch_execz .LBB1605_328
; %bb.330:                              ;   in Loop: Header=BB1605_329 Depth=1
	s_add_u32 s42, s42, -1
	s_addc_u32 s43, s43, -1
	s_cmp_eq_u64 s[42:43], 0
	s_cselect_b64 s[4:5], -1, 0
	s_andn2_b64 s[40:41], s[40:41], exec
	s_and_b64 s[4:5], s[4:5], exec
	v_lshl_add_u64 v[6:7], v[6:7], 0, 8
	v_lshl_add_u64 v[8:9], v[8:9], 0, 8
	s_andn2_b64 s[2:3], s[2:3], exec
	s_or_b64 s[40:41], s[40:41], s[4:5]
                                        ; implicit-def: $sgpr44_sgpr45
	s_branch .LBB1605_328
.LBB1605_331:
	s_or_b64 exec, exec, s[28:29]
	s_xor_b64 s[2:3], s[30:31], -1
	s_branch .LBB1605_333
.LBB1605_332:
	s_mov_b64 s[2:3], -1
.LBB1605_333:
	s_and_b64 s[2:3], s[2:3], exec
.LBB1605_334:
	s_or_b64 exec, exec, s[24:25]
	s_orn2_b64 s[24:25], s[2:3], exec
.LBB1605_335:
	s_or_b64 exec, exec, s[26:27]
	v_cndmask_b32_e64 v6, v39, v40, s[24:25]
	v_cndmask_b32_e64 v7, v27, v26, s[24:25]
	v_add_u32_e32 v8, 1, v6
	v_add_u32_e32 v6, -1, v7
	v_min_u32_e32 v6, v8, v6
	v_lshl_add_u32 v6, v6, 3, v35
	ds_read_b64 v[6:7], v6
	v_cndmask_b32_e64 v43, v8, v39, s[24:25]
	v_cndmask_b32_e64 v44, v40, v8, s[24:25]
	v_cmp_lt_u32_e32 vcc, v43, v27
	s_mov_b64 s[28:29], -1
	s_waitcnt lgkmcnt(0)
	v_cndmask_b32_e64 v12, v7, v10, s[24:25]
	v_cndmask_b32_e64 v24, v6, v17, s[24:25]
	;; [unrolled: 1-line block ×4, first 2 shown]
	s_mov_b64 s[26:27], -1
	s_and_saveexec_b64 s[30:31], vcc
	s_cbranch_execz .LBB1605_346
; %bb.336:
	v_cmp_lt_u32_e32 vcc, v44, v26
	s_mov_b64 s[2:3], 0
	s_and_saveexec_b64 s[26:27], vcc
	s_cbranch_execz .LBB1605_345
; %bb.337:
	s_and_b64 vcc, exec, s[0:1]
	s_cbranch_vccnz .LBB1605_343
; %bb.338:
	v_mul_lo_u32 v8, v12, s36
	v_mul_lo_u32 v9, v24, s37
	v_mad_u64_u32 v[6:7], s[2:3], v24, s36, 0
	v_add3_u32 v7, v7, v9, v8
	v_mul_lo_u32 v39, v13, s36
	v_mul_lo_u32 v40, v25, s37
	v_mad_u64_u32 v[8:9], s[2:3], v25, s36, 0
	v_add3_u32 v9, v9, v40, v39
	v_lshl_add_u64 v[6:7], v[6:7], 3, s[38:39]
	v_lshl_add_u64 v[8:9], v[8:9], 3, s[38:39]
	s_mov_b64 s[40:41], 0
	s_mov_b64 s[46:47], s[36:37]
                                        ; implicit-def: $sgpr42_sgpr43
                                        ; implicit-def: $sgpr44_sgpr45
                                        ; implicit-def: $sgpr2_sgpr3
                                        ; implicit-def: $sgpr48_sgpr49
	s_branch .LBB1605_340
.LBB1605_339:                           ;   in Loop: Header=BB1605_340 Depth=1
	s_or_b64 exec, exec, s[52:53]
	s_and_b64 s[4:5], exec, s[44:45]
	s_or_b64 s[40:41], s[4:5], s[40:41]
	s_andn2_b64 s[4:5], s[48:49], exec
	s_and_b64 s[48:49], s[50:51], exec
	s_or_b64 s[48:49], s[4:5], s[48:49]
	s_andn2_b64 s[4:5], s[42:43], exec
	s_and_b64 s[42:43], s[2:3], exec
	s_or_b64 s[42:43], s[4:5], s[42:43]
	s_andn2_b64 exec, exec, s[40:41]
	s_cbranch_execz .LBB1605_342
.LBB1605_340:                           ; =>This Inner Loop Header: Depth=1
	global_load_dwordx2 v[40:41], v[6:7], off
	global_load_dwordx2 v[46:47], v[8:9], off
	s_andn2_b64 s[52:53], s[2:3], exec
	s_or_b64 s[44:45], s[44:45], exec
	s_waitcnt vmcnt(0)
	v_cmp_le_u64_e64 s[2:3], v[40:41], v[46:47]
	v_cmp_lt_u64_e32 vcc, v[40:41], v[46:47]
	s_and_b64 s[2:3], s[2:3], s[48:49]
	s_or_b64 s[50:51], vcc, s[2:3]
	s_and_b64 s[2:3], s[50:51], exec
	v_cmp_eq_u64_e64 s[4:5], v[40:41], v[46:47]
	s_or_b64 s[2:3], s[52:53], s[2:3]
	s_and_saveexec_b64 s[52:53], s[4:5]
	s_cbranch_execz .LBB1605_339
; %bb.341:                              ;   in Loop: Header=BB1605_340 Depth=1
	s_add_u32 s46, s46, -1
	s_addc_u32 s47, s47, -1
	s_cmp_eq_u64 s[46:47], 0
	s_cselect_b64 s[4:5], -1, 0
	s_andn2_b64 s[44:45], s[44:45], exec
	s_and_b64 s[4:5], s[4:5], exec
	v_lshl_add_u64 v[6:7], v[6:7], 0, 8
	v_lshl_add_u64 v[8:9], v[8:9], 0, 8
	s_andn2_b64 s[2:3], s[2:3], exec
	s_or_b64 s[44:45], s[44:45], s[4:5]
                                        ; implicit-def: $sgpr48_sgpr49
	s_branch .LBB1605_339
.LBB1605_342:
	s_or_b64 exec, exec, s[40:41]
	s_xor_b64 s[2:3], s[42:43], -1
	s_branch .LBB1605_344
.LBB1605_343:
	s_mov_b64 s[2:3], -1
.LBB1605_344:
	s_and_b64 s[2:3], s[2:3], exec
.LBB1605_345:
	s_or_b64 exec, exec, s[26:27]
	s_orn2_b64 s[26:27], s[2:3], exec
.LBB1605_346:
	s_or_b64 exec, exec, s[30:31]
	v_cndmask_b32_e64 v6, v43, v44, s[26:27]
	v_cndmask_b32_e64 v7, v27, v26, s[26:27]
	v_add_u32_e32 v8, 1, v6
	v_add_u32_e32 v6, -1, v7
	v_min_u32_e32 v6, v8, v6
	v_lshl_add_u32 v6, v6, 3, v35
	ds_read_b64 v[6:7], v6
	v_cndmask_b32_e64 v47, v8, v43, s[26:27]
	v_cndmask_b32_e64 v48, v44, v8, s[26:27]
	v_cmp_lt_u32_e32 vcc, v47, v27
	s_waitcnt lgkmcnt(0)
	v_cndmask_b32_e64 v39, v7, v12, s[26:27]
	v_cndmask_b32_e64 v40, v6, v24, s[26:27]
	;; [unrolled: 1-line block ×4, first 2 shown]
	s_and_saveexec_b64 s[30:31], vcc
	s_cbranch_execz .LBB1605_357
; %bb.347:
	v_cmp_lt_u32_e32 vcc, v48, v26
	s_mov_b64 s[2:3], 0
	s_and_saveexec_b64 s[28:29], vcc
	s_cbranch_execz .LBB1605_356
; %bb.348:
	s_and_b64 vcc, exec, s[0:1]
	s_cbranch_vccnz .LBB1605_354
; %bb.349:
	v_mul_lo_u32 v8, v39, s36
	v_mul_lo_u32 v9, v40, s37
	v_mad_u64_u32 v[6:7], s[2:3], v40, s36, 0
	v_add3_u32 v7, v7, v9, v8
	v_mul_lo_u32 v43, v41, s36
	v_mul_lo_u32 v44, v42, s37
	v_mad_u64_u32 v[8:9], s[2:3], v42, s36, 0
	v_add3_u32 v9, v9, v44, v43
	v_lshl_add_u64 v[6:7], v[6:7], 3, s[38:39]
	v_lshl_add_u64 v[8:9], v[8:9], 3, s[38:39]
	s_mov_b64 s[40:41], 0
	s_mov_b64 s[46:47], s[36:37]
                                        ; implicit-def: $sgpr42_sgpr43
                                        ; implicit-def: $sgpr44_sgpr45
                                        ; implicit-def: $sgpr2_sgpr3
                                        ; implicit-def: $sgpr48_sgpr49
	s_branch .LBB1605_351
.LBB1605_350:                           ;   in Loop: Header=BB1605_351 Depth=1
	s_or_b64 exec, exec, s[52:53]
	s_and_b64 s[4:5], exec, s[44:45]
	s_or_b64 s[40:41], s[4:5], s[40:41]
	s_andn2_b64 s[4:5], s[48:49], exec
	s_and_b64 s[48:49], s[50:51], exec
	s_or_b64 s[48:49], s[4:5], s[48:49]
	s_andn2_b64 s[4:5], s[42:43], exec
	s_and_b64 s[42:43], s[2:3], exec
	s_or_b64 s[42:43], s[4:5], s[42:43]
	s_andn2_b64 exec, exec, s[40:41]
	s_cbranch_execz .LBB1605_353
.LBB1605_351:                           ; =>This Inner Loop Header: Depth=1
	global_load_dwordx2 v[44:45], v[6:7], off
	global_load_dwordx2 v[50:51], v[8:9], off
	s_andn2_b64 s[52:53], s[2:3], exec
	s_or_b64 s[44:45], s[44:45], exec
	s_waitcnt vmcnt(0)
	v_cmp_le_u64_e64 s[2:3], v[44:45], v[50:51]
	v_cmp_lt_u64_e32 vcc, v[44:45], v[50:51]
	s_and_b64 s[2:3], s[2:3], s[48:49]
	s_or_b64 s[50:51], vcc, s[2:3]
	s_and_b64 s[2:3], s[50:51], exec
	v_cmp_eq_u64_e64 s[4:5], v[44:45], v[50:51]
	s_or_b64 s[2:3], s[52:53], s[2:3]
	s_and_saveexec_b64 s[52:53], s[4:5]
	s_cbranch_execz .LBB1605_350
; %bb.352:                              ;   in Loop: Header=BB1605_351 Depth=1
	s_add_u32 s46, s46, -1
	s_addc_u32 s47, s47, -1
	s_cmp_eq_u64 s[46:47], 0
	s_cselect_b64 s[4:5], -1, 0
	s_andn2_b64 s[44:45], s[44:45], exec
	s_and_b64 s[4:5], s[4:5], exec
	v_lshl_add_u64 v[6:7], v[6:7], 0, 8
	v_lshl_add_u64 v[8:9], v[8:9], 0, 8
	s_andn2_b64 s[2:3], s[2:3], exec
	s_or_b64 s[44:45], s[44:45], s[4:5]
                                        ; implicit-def: $sgpr48_sgpr49
	s_branch .LBB1605_350
.LBB1605_353:
	s_or_b64 exec, exec, s[40:41]
	s_xor_b64 s[2:3], s[42:43], -1
	s_branch .LBB1605_355
.LBB1605_354:
	s_mov_b64 s[2:3], -1
.LBB1605_355:
	s_and_b64 s[2:3], s[2:3], exec
.LBB1605_356:
	s_or_b64 exec, exec, s[28:29]
	s_orn2_b64 s[28:29], s[2:3], exec
.LBB1605_357:
	s_or_b64 exec, exec, s[30:31]
	v_cndmask_b32_e64 v6, v47, v48, s[28:29]
	v_cndmask_b32_e64 v7, v27, v26, s[28:29]
	v_add_u32_e32 v8, 1, v6
	v_add_u32_e32 v6, -1, v7
	v_min_u32_e32 v6, v8, v6
	v_lshl_add_u32 v6, v6, 3, v35
	ds_read_b64 v[6:7], v6
	v_cndmask_b32_e64 v49, v8, v47, s[28:29]
	v_cndmask_b32_e64 v53, v48, v8, s[28:29]
	v_cmp_lt_u32_e32 vcc, v49, v27
	s_mov_b64 s[30:31], -1
	s_waitcnt lgkmcnt(0)
	v_cndmask_b32_e64 v43, v7, v39, s[28:29]
	v_cndmask_b32_e64 v44, v6, v40, s[28:29]
	v_cndmask_b32_e64 v45, v41, v7, s[28:29]
	v_cndmask_b32_e64 v46, v42, v6, s[28:29]
	s_mov_b64 s[40:41], -1
	s_and_saveexec_b64 s[42:43], vcc
	s_cbranch_execz .LBB1605_368
; %bb.358:
	v_cmp_lt_u32_e32 vcc, v53, v26
	s_mov_b64 s[2:3], 0
	s_and_saveexec_b64 s[40:41], vcc
	s_cbranch_execz .LBB1605_367
; %bb.359:
	s_and_b64 vcc, exec, s[0:1]
	s_cbranch_vccnz .LBB1605_365
; %bb.360:
	v_mul_lo_u32 v8, v43, s36
	v_mul_lo_u32 v9, v44, s37
	v_mad_u64_u32 v[6:7], s[2:3], v44, s36, 0
	v_add3_u32 v7, v7, v9, v8
	v_mul_lo_u32 v47, v45, s36
	v_mul_lo_u32 v48, v46, s37
	v_mad_u64_u32 v[8:9], s[2:3], v46, s36, 0
	v_add3_u32 v9, v9, v48, v47
	v_lshl_add_u64 v[6:7], v[6:7], 3, s[38:39]
	v_lshl_add_u64 v[8:9], v[8:9], 3, s[38:39]
	s_mov_b64 s[44:45], 0
	s_mov_b64 s[50:51], s[36:37]
                                        ; implicit-def: $sgpr46_sgpr47
                                        ; implicit-def: $sgpr48_sgpr49
                                        ; implicit-def: $sgpr2_sgpr3
                                        ; implicit-def: $sgpr52_sgpr53
	s_branch .LBB1605_362
.LBB1605_361:                           ;   in Loop: Header=BB1605_362 Depth=1
	s_or_b64 exec, exec, s[56:57]
	s_and_b64 s[4:5], exec, s[48:49]
	s_or_b64 s[44:45], s[4:5], s[44:45]
	s_andn2_b64 s[4:5], s[52:53], exec
	s_and_b64 s[52:53], s[54:55], exec
	s_or_b64 s[52:53], s[4:5], s[52:53]
	s_andn2_b64 s[4:5], s[46:47], exec
	s_and_b64 s[46:47], s[2:3], exec
	s_or_b64 s[46:47], s[4:5], s[46:47]
	s_andn2_b64 exec, exec, s[44:45]
	s_cbranch_execz .LBB1605_364
.LBB1605_362:                           ; =>This Inner Loop Header: Depth=1
	global_load_dwordx2 v[50:51], v[6:7], off
	global_load_dwordx2 v[54:55], v[8:9], off
	s_andn2_b64 s[56:57], s[2:3], exec
	s_or_b64 s[48:49], s[48:49], exec
	s_waitcnt vmcnt(0)
	v_cmp_le_u64_e64 s[2:3], v[50:51], v[54:55]
	v_cmp_lt_u64_e32 vcc, v[50:51], v[54:55]
	s_and_b64 s[2:3], s[2:3], s[52:53]
	s_or_b64 s[54:55], vcc, s[2:3]
	s_and_b64 s[2:3], s[54:55], exec
	v_cmp_eq_u64_e64 s[4:5], v[50:51], v[54:55]
	s_or_b64 s[2:3], s[56:57], s[2:3]
	s_and_saveexec_b64 s[56:57], s[4:5]
	s_cbranch_execz .LBB1605_361
; %bb.363:                              ;   in Loop: Header=BB1605_362 Depth=1
	s_add_u32 s50, s50, -1
	s_addc_u32 s51, s51, -1
	s_cmp_eq_u64 s[50:51], 0
	s_cselect_b64 s[4:5], -1, 0
	s_andn2_b64 s[48:49], s[48:49], exec
	s_and_b64 s[4:5], s[4:5], exec
	v_lshl_add_u64 v[6:7], v[6:7], 0, 8
	v_lshl_add_u64 v[8:9], v[8:9], 0, 8
	s_andn2_b64 s[2:3], s[2:3], exec
	s_or_b64 s[48:49], s[48:49], s[4:5]
                                        ; implicit-def: $sgpr52_sgpr53
	s_branch .LBB1605_361
.LBB1605_364:
	s_or_b64 exec, exec, s[44:45]
	s_xor_b64 s[2:3], s[46:47], -1
	s_branch .LBB1605_366
.LBB1605_365:
	s_mov_b64 s[2:3], -1
.LBB1605_366:
	s_and_b64 s[2:3], s[2:3], exec
.LBB1605_367:
	s_or_b64 exec, exec, s[40:41]
	s_orn2_b64 s[40:41], s[2:3], exec
.LBB1605_368:
	s_or_b64 exec, exec, s[42:43]
	v_cndmask_b32_e64 v6, v49, v53, s[40:41]
	v_cndmask_b32_e64 v7, v27, v26, s[40:41]
	v_add_u32_e32 v8, 1, v6
	v_add_u32_e32 v6, -1, v7
	v_min_u32_e32 v6, v8, v6
	v_lshl_add_u32 v6, v6, 3, v35
	ds_read_b64 v[6:7], v6
	v_cndmask_b32_e64 v50, v8, v49, s[40:41]
	v_cndmask_b32_e64 v49, v53, v8, s[40:41]
	v_cmp_lt_u32_e32 vcc, v50, v27
	s_waitcnt lgkmcnt(0)
	v_cndmask_b32_e64 v47, v7, v43, s[40:41]
	v_cndmask_b32_e64 v48, v6, v44, s[40:41]
	;; [unrolled: 1-line block ×4, first 2 shown]
	s_and_saveexec_b64 s[42:43], vcc
	s_cbranch_execz .LBB1605_379
; %bb.369:
	v_cmp_lt_u32_e32 vcc, v49, v26
	s_mov_b64 s[2:3], 0
	s_and_saveexec_b64 s[30:31], vcc
	s_cbranch_execz .LBB1605_378
; %bb.370:
	s_and_b64 vcc, exec, s[0:1]
	s_cbranch_vccnz .LBB1605_376
; %bb.371:
	v_mul_lo_u32 v8, v47, s36
	v_mul_lo_u32 v9, v48, s37
	v_mad_u64_u32 v[6:7], s[2:3], v48, s36, 0
	v_add3_u32 v7, v7, v9, v8
	v_mul_lo_u32 v53, v51, s36
	v_mul_lo_u32 v54, v52, s37
	v_mad_u64_u32 v[8:9], s[2:3], v52, s36, 0
	v_add3_u32 v9, v9, v54, v53
	v_lshl_add_u64 v[6:7], v[6:7], 3, s[38:39]
	v_lshl_add_u64 v[8:9], v[8:9], 3, s[38:39]
	s_mov_b64 s[44:45], 0
	s_mov_b64 s[50:51], s[36:37]
                                        ; implicit-def: $sgpr46_sgpr47
                                        ; implicit-def: $sgpr48_sgpr49
                                        ; implicit-def: $sgpr2_sgpr3
                                        ; implicit-def: $sgpr52_sgpr53
	s_branch .LBB1605_373
.LBB1605_372:                           ;   in Loop: Header=BB1605_373 Depth=1
	s_or_b64 exec, exec, s[56:57]
	s_and_b64 s[4:5], exec, s[48:49]
	s_or_b64 s[44:45], s[4:5], s[44:45]
	s_andn2_b64 s[4:5], s[52:53], exec
	s_and_b64 s[52:53], s[54:55], exec
	s_or_b64 s[52:53], s[4:5], s[52:53]
	s_andn2_b64 s[4:5], s[46:47], exec
	s_and_b64 s[46:47], s[2:3], exec
	s_or_b64 s[46:47], s[4:5], s[46:47]
	s_andn2_b64 exec, exec, s[44:45]
	s_cbranch_execz .LBB1605_375
.LBB1605_373:                           ; =>This Inner Loop Header: Depth=1
	global_load_dwordx2 v[54:55], v[6:7], off
	global_load_dwordx2 v[56:57], v[8:9], off
	s_andn2_b64 s[56:57], s[2:3], exec
	s_or_b64 s[48:49], s[48:49], exec
	s_waitcnt vmcnt(0)
	v_cmp_le_u64_e64 s[2:3], v[54:55], v[56:57]
	v_cmp_lt_u64_e32 vcc, v[54:55], v[56:57]
	s_and_b64 s[2:3], s[2:3], s[52:53]
	s_or_b64 s[54:55], vcc, s[2:3]
	s_and_b64 s[2:3], s[54:55], exec
	v_cmp_eq_u64_e64 s[4:5], v[54:55], v[56:57]
	s_or_b64 s[2:3], s[56:57], s[2:3]
	s_and_saveexec_b64 s[56:57], s[4:5]
	s_cbranch_execz .LBB1605_372
; %bb.374:                              ;   in Loop: Header=BB1605_373 Depth=1
	s_add_u32 s50, s50, -1
	s_addc_u32 s51, s51, -1
	s_cmp_eq_u64 s[50:51], 0
	s_cselect_b64 s[4:5], -1, 0
	s_andn2_b64 s[48:49], s[48:49], exec
	s_and_b64 s[4:5], s[4:5], exec
	v_lshl_add_u64 v[6:7], v[6:7], 0, 8
	v_lshl_add_u64 v[8:9], v[8:9], 0, 8
	s_andn2_b64 s[2:3], s[2:3], exec
	s_or_b64 s[48:49], s[48:49], s[4:5]
                                        ; implicit-def: $sgpr52_sgpr53
	s_branch .LBB1605_372
.LBB1605_375:
	s_or_b64 exec, exec, s[44:45]
	s_xor_b64 s[2:3], s[46:47], -1
	s_branch .LBB1605_377
.LBB1605_376:
	s_mov_b64 s[2:3], -1
.LBB1605_377:
	s_and_b64 s[2:3], s[2:3], exec
.LBB1605_378:
	s_or_b64 exec, exec, s[30:31]
	s_orn2_b64 s[30:31], s[2:3], exec
.LBB1605_379:
	s_or_b64 exec, exec, s[42:43]
	v_cndmask_b32_e64 v11, v10, v11, s[24:25]
	v_cndmask_b32_e64 v10, v17, v23, s[24:25]
	;; [unrolled: 1-line block ×8, first 2 shown]
	v_add_u32_e32 v24, 1, v14
	v_add_u32_e32 v14, -1, v15
	v_min_u32_e32 v14, v24, v14
	v_lshl_add_u32 v14, v14, 3, v35
	ds_read_b64 v[22:23], v14
	v_cndmask_b32_e64 v25, v24, v50, s[30:31]
	v_cndmask_b32_e64 v9, v43, v45, s[40:41]
	;; [unrolled: 1-line block ×9, first 2 shown]
	s_waitcnt lgkmcnt(0)
	v_cndmask_b32_e64 v5, v51, v23, s[30:31]
	v_cndmask_b32_e64 v4, v52, v22, s[30:31]
	v_cmp_lt_u32_e32 vcc, v25, v27
	s_and_saveexec_b64 s[12:13], vcc
	s_cbranch_execz .LBB1605_389
; %bb.380:
	v_cndmask_b32_e64 v24, v49, v24, s[30:31]
	v_cndmask_b32_e64 v23, v23, v47, s[30:31]
	;; [unrolled: 1-line block ×3, first 2 shown]
	v_cmp_lt_u32_e32 vcc, v24, v26
	s_and_saveexec_b64 s[22:23], vcc
	s_cbranch_execz .LBB1605_388
; %bb.381:
	s_and_b64 vcc, exec, s[0:1]
	s_cbranch_vccnz .LBB1605_387
; %bb.382:
	v_mul_lo_u32 v26, v23, s36
	v_mul_lo_u32 v27, v22, s37
	v_mad_u64_u32 v[24:25], s[2:3], v22, s36, 0
	v_add3_u32 v25, v25, v27, v26
	v_mul_lo_u32 v39, v5, s36
	v_mul_lo_u32 v40, v4, s37
	v_mad_u64_u32 v[26:27], s[2:3], v4, s36, 0
	v_add3_u32 v27, v27, v40, v39
	v_lshl_add_u64 v[24:25], v[24:25], 3, s[38:39]
	v_lshl_add_u64 v[26:27], v[26:27], 3, s[38:39]
	s_mov_b64 s[24:25], 0
	s_mov_b64 s[30:31], s[36:37]
                                        ; implicit-def: $sgpr26_sgpr27
                                        ; implicit-def: $sgpr28_sgpr29
                                        ; implicit-def: $sgpr2_sgpr3
                                        ; implicit-def: $sgpr40_sgpr41
	s_branch .LBB1605_384
.LBB1605_383:                           ;   in Loop: Header=BB1605_384 Depth=1
	s_or_b64 exec, exec, s[44:45]
	s_and_b64 s[4:5], exec, s[28:29]
	s_or_b64 s[24:25], s[4:5], s[24:25]
	s_andn2_b64 s[4:5], s[40:41], exec
	s_and_b64 s[40:41], s[42:43], exec
	s_or_b64 s[40:41], s[4:5], s[40:41]
	s_andn2_b64 s[4:5], s[26:27], exec
	s_and_b64 s[26:27], s[2:3], exec
	s_or_b64 s[26:27], s[4:5], s[26:27]
	s_andn2_b64 exec, exec, s[24:25]
	s_cbranch_execz .LBB1605_386
.LBB1605_384:                           ; =>This Inner Loop Header: Depth=1
	global_load_dwordx2 v[40:41], v[24:25], off
	global_load_dwordx2 v[42:43], v[26:27], off
	s_andn2_b64 s[44:45], s[2:3], exec
	s_or_b64 s[28:29], s[28:29], exec
	s_waitcnt vmcnt(0)
	v_cmp_le_u64_e64 s[2:3], v[40:41], v[42:43]
	v_cmp_lt_u64_e32 vcc, v[40:41], v[42:43]
	s_and_b64 s[2:3], s[2:3], s[40:41]
	s_or_b64 s[42:43], vcc, s[2:3]
	s_and_b64 s[2:3], s[42:43], exec
	v_cmp_eq_u64_e64 s[4:5], v[40:41], v[42:43]
	s_or_b64 s[2:3], s[44:45], s[2:3]
	s_and_saveexec_b64 s[44:45], s[4:5]
	s_cbranch_execz .LBB1605_383
; %bb.385:                              ;   in Loop: Header=BB1605_384 Depth=1
	s_add_u32 s30, s30, -1
	s_addc_u32 s31, s31, -1
	s_cmp_eq_u64 s[30:31], 0
	s_cselect_b64 s[4:5], -1, 0
	s_andn2_b64 s[28:29], s[28:29], exec
	s_and_b64 s[4:5], s[4:5], exec
	v_lshl_add_u64 v[24:25], v[24:25], 0, 8
	v_lshl_add_u64 v[26:27], v[26:27], 0, 8
	s_andn2_b64 s[2:3], s[2:3], exec
	s_or_b64 s[28:29], s[28:29], s[4:5]
                                        ; implicit-def: $sgpr40_sgpr41
	s_branch .LBB1605_383
.LBB1605_386:
	s_or_b64 exec, exec, s[24:25]
	v_cndmask_b32_e64 v5, v5, v23, s[26:27]
	v_cndmask_b32_e64 v4, v4, v22, s[26:27]
.LBB1605_387:
	v_mov_b64_e32 v[22:23], v[4:5]
.LBB1605_388:
	s_or_b64 exec, exec, s[22:23]
	v_mov_b64_e32 v[4:5], v[22:23]
.LBB1605_389:
	s_or_b64 exec, exec, s[12:13]
.LBB1605_390:
	s_or_b64 exec, exec, s[10:11]
	v_and_b32_e32 v41, 0x3c0, v37
	v_or_b32_e32 v22, 32, v41
	v_min_u32_e32 v26, v36, v22
	v_add_u32_e32 v22, 32, v26
	v_min_u32_e32 v27, v36, v22
	v_and_b32_e32 v22, 56, v37
	v_min_u32_e32 v42, v36, v22
	v_sub_u32_e32 v22, v26, v41
	v_sub_u32_e32 v23, v27, v26
	v_sub_u32_e64 v40, v42, v23 clamp
	v_min_u32_e32 v43, v42, v22
	v_lshl_add_u32 v39, v41, 3, v35
	v_cmp_lt_u32_e32 vcc, v40, v43
	; wave barrier
	ds_write_b128 v38, v[14:17]
	ds_write_b128 v38, v[10:13] offset:16
	ds_write_b128 v38, v[6:9] offset:32
	;; [unrolled: 1-line block ×3, first 2 shown]
	; wave barrier
	s_and_saveexec_b64 s[10:11], vcc
	s_cbranch_execz .LBB1605_400
; %bb.391:
	v_lshlrev_b32_e32 v22, 3, v26
	v_lshlrev_b32_e32 v23, 3, v42
	v_add3_u32 v44, v35, v22, v23
	s_lshl_b64 s[22:23], s[36:37], 3
	s_mov_b64 s[12:13], 0
	s_branch .LBB1605_394
.LBB1605_392:                           ;   in Loop: Header=BB1605_394 Depth=1
	s_or_b64 exec, exec, s[26:27]
.LBB1605_393:                           ;   in Loop: Header=BB1605_394 Depth=1
	v_add_u32_e32 v22, 1, v45
	v_cndmask_b32_e64 v43, v43, v45, s[24:25]
	v_cndmask_b32_e64 v40, v22, v40, s[24:25]
	v_cmp_ge_u32_e32 vcc, v40, v43
	s_or_b64 s[12:13], vcc, s[12:13]
	s_andn2_b64 exec, exec, s[12:13]
	s_cbranch_execz .LBB1605_399
.LBB1605_394:                           ; =>This Loop Header: Depth=1
                                        ;     Child Loop BB1605_397 Depth 2
	v_add_u32_e32 v22, v43, v40
	v_lshrrev_b32_e32 v45, 1, v22
	s_and_b64 vcc, exec, s[0:1]
	s_mov_b64 s[24:25], 0
	s_cbranch_vccnz .LBB1605_393
; %bb.395:                              ;   in Loop: Header=BB1605_394 Depth=1
	v_not_b32_e32 v22, v45
	v_lshl_add_u32 v22, v22, 3, v44
	ds_read_b64 v[22:23], v22
	v_lshl_add_u32 v46, v45, 3, v39
	ds_read_b64 v[46:47], v46
	v_mov_b64_e32 v[24:25], s[38:39]
	s_mov_b64 s[26:27], 0
	s_waitcnt lgkmcnt(1)
	v_mul_lo_u32 v48, s22, v23
	v_mul_lo_u32 v49, s23, v22
	v_mad_u64_u32 v[22:23], s[2:3], s22, v22, v[24:25]
	v_add3_u32 v23, v49, v23, v48
	s_waitcnt lgkmcnt(0)
	v_mul_lo_u32 v47, s22, v47
	v_mul_lo_u32 v48, s23, v46
	v_mad_u64_u32 v[24:25], s[2:3], s22, v46, v[24:25]
	v_add3_u32 v25, v48, v25, v47
	s_mov_b64 s[30:31], s[36:37]
                                        ; implicit-def: $sgpr24_sgpr25
                                        ; implicit-def: $sgpr28_sgpr29
                                        ; implicit-def: $sgpr2_sgpr3
                                        ; implicit-def: $sgpr40_sgpr41
	s_branch .LBB1605_397
.LBB1605_396:                           ;   in Loop: Header=BB1605_397 Depth=2
	s_or_b64 exec, exec, s[44:45]
	s_and_b64 s[4:5], exec, s[28:29]
	s_or_b64 s[26:27], s[4:5], s[26:27]
	s_andn2_b64 s[4:5], s[40:41], exec
	s_and_b64 s[40:41], s[42:43], exec
	s_or_b64 s[40:41], s[4:5], s[40:41]
	s_andn2_b64 s[4:5], s[24:25], exec
	s_and_b64 s[24:25], s[2:3], exec
	s_or_b64 s[24:25], s[4:5], s[24:25]
	s_andn2_b64 exec, exec, s[26:27]
	s_cbranch_execz .LBB1605_392
.LBB1605_397:                           ;   Parent Loop BB1605_394 Depth=1
                                        ; =>  This Inner Loop Header: Depth=2
	global_load_dwordx2 v[46:47], v[22:23], off
	global_load_dwordx2 v[48:49], v[24:25], off
	s_andn2_b64 s[44:45], s[2:3], exec
	s_or_b64 s[28:29], s[28:29], exec
	s_waitcnt vmcnt(0)
	v_cmp_le_u64_e64 s[2:3], v[46:47], v[48:49]
	v_cmp_lt_u64_e32 vcc, v[46:47], v[48:49]
	s_and_b64 s[2:3], s[2:3], s[40:41]
	s_or_b64 s[42:43], vcc, s[2:3]
	s_and_b64 s[2:3], s[42:43], exec
	v_cmp_eq_u64_e64 s[4:5], v[46:47], v[48:49]
	s_or_b64 s[2:3], s[44:45], s[2:3]
	s_and_saveexec_b64 s[44:45], s[4:5]
	s_cbranch_execz .LBB1605_396
; %bb.398:                              ;   in Loop: Header=BB1605_397 Depth=2
	s_add_u32 s30, s30, -1
	s_addc_u32 s31, s31, -1
	s_cmp_eq_u64 s[30:31], 0
	s_cselect_b64 s[4:5], -1, 0
	s_andn2_b64 s[28:29], s[28:29], exec
	s_and_b64 s[4:5], s[4:5], exec
	v_lshl_add_u64 v[22:23], v[22:23], 0, 8
	v_lshl_add_u64 v[24:25], v[24:25], 0, 8
	s_andn2_b64 s[2:3], s[2:3], exec
	s_or_b64 s[28:29], s[28:29], s[4:5]
                                        ; implicit-def: $sgpr40_sgpr41
	s_branch .LBB1605_396
.LBB1605_399:
	s_or_b64 exec, exec, s[12:13]
.LBB1605_400:
	s_or_b64 exec, exec, s[10:11]
	v_add_u32_e32 v22, v26, v42
	v_add_u32_e32 v23, v40, v41
	v_sub_u32_e32 v24, v22, v40
	v_cmp_le_u32_e32 vcc, v23, v26
	v_cmp_le_u32_e64 s[2:3], v24, v27
	s_or_b64 s[2:3], vcc, s[2:3]
	s_and_saveexec_b64 s[10:11], s[2:3]
	s_cbranch_execz .LBB1605_491
; %bb.401:
	v_cmp_ge_u32_e32 vcc, v23, v26
	v_cmp_lt_u32_e64 s[2:3], v23, v26
                                        ; implicit-def: $vgpr2_vgpr3
	s_and_saveexec_b64 s[4:5], s[2:3]
; %bb.402:
	v_lshl_add_u32 v2, v40, 3, v39
	ds_read_b64 v[2:3], v2
; %bb.403:
	s_or_b64 exec, exec, s[4:5]
	v_cmp_ge_u32_e64 s[12:13], v24, v27
	v_cmp_lt_u32_e64 s[2:3], v24, v27
                                        ; implicit-def: $vgpr4_vgpr5
	s_and_saveexec_b64 s[4:5], s[2:3]
; %bb.404:
	v_lshl_add_u32 v4, v24, 3, v35
	ds_read_b64 v[4:5], v4
; %bb.405:
	s_or_b64 exec, exec, s[4:5]
	s_nor_b64 s[2:3], vcc, s[12:13]
	s_and_saveexec_b64 s[22:23], s[2:3]
	s_cbranch_execz .LBB1605_414
; %bb.406:
	s_and_b64 vcc, exec, s[0:1]
	s_cbranch_vccnz .LBB1605_412
; %bb.407:
	s_waitcnt lgkmcnt(0)
	v_mul_lo_u32 v8, v5, s36
	v_mul_lo_u32 v9, v4, s37
	v_mad_u64_u32 v[6:7], s[2:3], v4, s36, 0
	v_add3_u32 v7, v7, v9, v8
	v_mul_lo_u32 v10, v3, s36
	v_mul_lo_u32 v11, v2, s37
	v_mad_u64_u32 v[8:9], s[2:3], v2, s36, 0
	v_add3_u32 v9, v9, v11, v10
	v_lshl_add_u64 v[6:7], v[6:7], 3, s[38:39]
	v_lshl_add_u64 v[8:9], v[8:9], 3, s[38:39]
	s_mov_b64 s[24:25], 0
	s_mov_b64 s[30:31], s[36:37]
                                        ; implicit-def: $sgpr26_sgpr27
                                        ; implicit-def: $sgpr28_sgpr29
                                        ; implicit-def: $sgpr2_sgpr3
                                        ; implicit-def: $sgpr40_sgpr41
	s_branch .LBB1605_409
.LBB1605_408:                           ;   in Loop: Header=BB1605_409 Depth=1
	s_or_b64 exec, exec, s[44:45]
	s_and_b64 s[4:5], exec, s[28:29]
	s_or_b64 s[24:25], s[4:5], s[24:25]
	s_andn2_b64 s[4:5], s[40:41], exec
	s_and_b64 s[40:41], s[42:43], exec
	s_or_b64 s[40:41], s[4:5], s[40:41]
	s_andn2_b64 s[4:5], s[26:27], exec
	s_and_b64 s[26:27], s[2:3], exec
	s_or_b64 s[26:27], s[4:5], s[26:27]
	s_andn2_b64 exec, exec, s[24:25]
	s_cbranch_execz .LBB1605_411
.LBB1605_409:                           ; =>This Inner Loop Header: Depth=1
	global_load_dwordx2 v[10:11], v[6:7], off
	global_load_dwordx2 v[12:13], v[8:9], off
	s_andn2_b64 s[44:45], s[2:3], exec
	s_or_b64 s[28:29], s[28:29], exec
	s_waitcnt vmcnt(0)
	v_cmp_le_u64_e64 s[2:3], v[10:11], v[12:13]
	v_cmp_lt_u64_e32 vcc, v[10:11], v[12:13]
	s_and_b64 s[2:3], s[2:3], s[40:41]
	s_or_b64 s[42:43], vcc, s[2:3]
	s_and_b64 s[2:3], s[42:43], exec
	v_cmp_eq_u64_e64 s[4:5], v[10:11], v[12:13]
	s_or_b64 s[2:3], s[44:45], s[2:3]
	s_and_saveexec_b64 s[44:45], s[4:5]
	s_cbranch_execz .LBB1605_408
; %bb.410:                              ;   in Loop: Header=BB1605_409 Depth=1
	s_add_u32 s30, s30, -1
	s_addc_u32 s31, s31, -1
	s_cmp_eq_u64 s[30:31], 0
	s_cselect_b64 s[4:5], -1, 0
	s_andn2_b64 s[28:29], s[28:29], exec
	s_and_b64 s[4:5], s[4:5], exec
	v_lshl_add_u64 v[6:7], v[6:7], 0, 8
	v_lshl_add_u64 v[8:9], v[8:9], 0, 8
	s_andn2_b64 s[2:3], s[2:3], exec
	s_or_b64 s[28:29], s[28:29], s[4:5]
                                        ; implicit-def: $sgpr40_sgpr41
	s_branch .LBB1605_408
.LBB1605_411:
	s_or_b64 exec, exec, s[24:25]
	s_xor_b64 s[2:3], s[26:27], -1
	s_branch .LBB1605_413
.LBB1605_412:
	s_mov_b64 s[2:3], -1
.LBB1605_413:
	s_andn2_b64 s[4:5], s[12:13], exec
	s_and_b64 s[2:3], s[2:3], exec
	s_or_b64 s[12:13], s[4:5], s[2:3]
.LBB1605_414:
	s_or_b64 exec, exec, s[22:23]
	v_cndmask_b32_e64 v6, v24, v23, s[12:13]
	v_cndmask_b32_e64 v7, v27, v26, s[12:13]
	v_add_u32_e32 v8, 1, v6
	v_add_u32_e32 v6, -1, v7
	v_min_u32_e32 v6, v8, v6
	v_lshl_add_u32 v6, v6, 3, v35
	ds_read_b64 v[6:7], v6
	v_cndmask_b32_e64 v12, v8, v24, s[12:13]
	v_cndmask_b32_e64 v13, v23, v8, s[12:13]
	v_cmp_lt_u32_e32 vcc, v12, v27
	s_mov_b64 s[24:25], -1
	s_waitcnt lgkmcnt(0)
	v_cndmask_b32_e64 v14, v7, v5, s[12:13]
	v_cndmask_b32_e64 v15, v6, v4, s[12:13]
	;; [unrolled: 1-line block ×4, first 2 shown]
	s_mov_b64 s[22:23], -1
	s_and_saveexec_b64 s[26:27], vcc
	s_cbranch_execz .LBB1605_425
; %bb.415:
	v_cmp_lt_u32_e32 vcc, v13, v26
	s_mov_b64 s[2:3], 0
	s_and_saveexec_b64 s[22:23], vcc
	s_cbranch_execz .LBB1605_424
; %bb.416:
	s_and_b64 vcc, exec, s[0:1]
	s_cbranch_vccnz .LBB1605_422
; %bb.417:
	v_mul_lo_u32 v8, v14, s36
	v_mul_lo_u32 v9, v15, s37
	v_mad_u64_u32 v[6:7], s[2:3], v15, s36, 0
	v_add3_u32 v7, v7, v9, v8
	v_mul_lo_u32 v10, v16, s36
	v_mul_lo_u32 v11, v22, s37
	v_mad_u64_u32 v[8:9], s[2:3], v22, s36, 0
	v_add3_u32 v9, v9, v11, v10
	v_lshl_add_u64 v[6:7], v[6:7], 3, s[38:39]
	v_lshl_add_u64 v[8:9], v[8:9], 3, s[38:39]
	s_mov_b64 s[28:29], 0
	s_mov_b64 s[42:43], s[36:37]
                                        ; implicit-def: $sgpr30_sgpr31
                                        ; implicit-def: $sgpr40_sgpr41
                                        ; implicit-def: $sgpr2_sgpr3
                                        ; implicit-def: $sgpr44_sgpr45
	s_branch .LBB1605_419
.LBB1605_418:                           ;   in Loop: Header=BB1605_419 Depth=1
	s_or_b64 exec, exec, s[48:49]
	s_and_b64 s[4:5], exec, s[40:41]
	s_or_b64 s[28:29], s[4:5], s[28:29]
	s_andn2_b64 s[4:5], s[44:45], exec
	s_and_b64 s[44:45], s[46:47], exec
	s_or_b64 s[44:45], s[4:5], s[44:45]
	s_andn2_b64 s[4:5], s[30:31], exec
	s_and_b64 s[30:31], s[2:3], exec
	s_or_b64 s[30:31], s[4:5], s[30:31]
	s_andn2_b64 exec, exec, s[28:29]
	s_cbranch_execz .LBB1605_421
.LBB1605_419:                           ; =>This Inner Loop Header: Depth=1
	global_load_dwordx2 v[10:11], v[6:7], off
	global_load_dwordx2 v[24:25], v[8:9], off
	s_andn2_b64 s[48:49], s[2:3], exec
	s_or_b64 s[40:41], s[40:41], exec
	s_waitcnt vmcnt(0)
	v_cmp_le_u64_e64 s[2:3], v[10:11], v[24:25]
	v_cmp_lt_u64_e32 vcc, v[10:11], v[24:25]
	s_and_b64 s[2:3], s[2:3], s[44:45]
	s_or_b64 s[46:47], vcc, s[2:3]
	s_and_b64 s[2:3], s[46:47], exec
	v_cmp_eq_u64_e64 s[4:5], v[10:11], v[24:25]
	s_or_b64 s[2:3], s[48:49], s[2:3]
	s_and_saveexec_b64 s[48:49], s[4:5]
	s_cbranch_execz .LBB1605_418
; %bb.420:                              ;   in Loop: Header=BB1605_419 Depth=1
	s_add_u32 s42, s42, -1
	s_addc_u32 s43, s43, -1
	s_cmp_eq_u64 s[42:43], 0
	s_cselect_b64 s[4:5], -1, 0
	s_andn2_b64 s[40:41], s[40:41], exec
	s_and_b64 s[4:5], s[4:5], exec
	v_lshl_add_u64 v[6:7], v[6:7], 0, 8
	v_lshl_add_u64 v[8:9], v[8:9], 0, 8
	s_andn2_b64 s[2:3], s[2:3], exec
	s_or_b64 s[40:41], s[40:41], s[4:5]
                                        ; implicit-def: $sgpr44_sgpr45
	s_branch .LBB1605_418
.LBB1605_421:
	s_or_b64 exec, exec, s[28:29]
	s_xor_b64 s[2:3], s[30:31], -1
	s_branch .LBB1605_423
.LBB1605_422:
	s_mov_b64 s[2:3], -1
.LBB1605_423:
	s_and_b64 s[2:3], s[2:3], exec
.LBB1605_424:
	s_or_b64 exec, exec, s[22:23]
	s_orn2_b64 s[22:23], s[2:3], exec
.LBB1605_425:
	s_or_b64 exec, exec, s[26:27]
	v_cndmask_b32_e64 v6, v12, v13, s[22:23]
	v_cndmask_b32_e64 v7, v27, v26, s[22:23]
	v_add_u32_e32 v8, 1, v6
	v_add_u32_e32 v6, -1, v7
	v_min_u32_e32 v6, v8, v6
	v_lshl_add_u32 v6, v6, 3, v35
	ds_read_b64 v[6:7], v6
	v_cndmask_b32_e64 v39, v8, v12, s[22:23]
	v_cndmask_b32_e64 v40, v13, v8, s[22:23]
	v_cmp_lt_u32_e32 vcc, v39, v27
	s_waitcnt lgkmcnt(0)
	v_cndmask_b32_e64 v10, v7, v14, s[22:23]
	v_cndmask_b32_e64 v17, v6, v15, s[22:23]
	;; [unrolled: 1-line block ×4, first 2 shown]
	s_and_saveexec_b64 s[26:27], vcc
	s_cbranch_execz .LBB1605_436
; %bb.426:
	v_cmp_lt_u32_e32 vcc, v40, v26
	s_mov_b64 s[2:3], 0
	s_and_saveexec_b64 s[24:25], vcc
	s_cbranch_execz .LBB1605_435
; %bb.427:
	s_and_b64 vcc, exec, s[0:1]
	s_cbranch_vccnz .LBB1605_433
; %bb.428:
	v_mul_lo_u32 v8, v10, s36
	v_mul_lo_u32 v9, v17, s37
	v_mad_u64_u32 v[6:7], s[2:3], v17, s36, 0
	v_add3_u32 v7, v7, v9, v8
	v_mul_lo_u32 v12, v11, s36
	v_mul_lo_u32 v13, v23, s37
	v_mad_u64_u32 v[8:9], s[2:3], v23, s36, 0
	v_add3_u32 v9, v9, v13, v12
	v_lshl_add_u64 v[6:7], v[6:7], 3, s[38:39]
	v_lshl_add_u64 v[8:9], v[8:9], 3, s[38:39]
	s_mov_b64 s[28:29], 0
	s_mov_b64 s[42:43], s[36:37]
                                        ; implicit-def: $sgpr30_sgpr31
                                        ; implicit-def: $sgpr40_sgpr41
                                        ; implicit-def: $sgpr2_sgpr3
                                        ; implicit-def: $sgpr44_sgpr45
	s_branch .LBB1605_430
.LBB1605_429:                           ;   in Loop: Header=BB1605_430 Depth=1
	s_or_b64 exec, exec, s[48:49]
	s_and_b64 s[4:5], exec, s[40:41]
	s_or_b64 s[28:29], s[4:5], s[28:29]
	s_andn2_b64 s[4:5], s[44:45], exec
	s_and_b64 s[44:45], s[46:47], exec
	s_or_b64 s[44:45], s[4:5], s[44:45]
	s_andn2_b64 s[4:5], s[30:31], exec
	s_and_b64 s[30:31], s[2:3], exec
	s_or_b64 s[30:31], s[4:5], s[30:31]
	s_andn2_b64 exec, exec, s[28:29]
	s_cbranch_execz .LBB1605_432
.LBB1605_430:                           ; =>This Inner Loop Header: Depth=1
	global_load_dwordx2 v[12:13], v[6:7], off
	global_load_dwordx2 v[24:25], v[8:9], off
	s_andn2_b64 s[48:49], s[2:3], exec
	s_or_b64 s[40:41], s[40:41], exec
	s_waitcnt vmcnt(0)
	v_cmp_le_u64_e64 s[2:3], v[12:13], v[24:25]
	v_cmp_lt_u64_e32 vcc, v[12:13], v[24:25]
	s_and_b64 s[2:3], s[2:3], s[44:45]
	s_or_b64 s[46:47], vcc, s[2:3]
	s_and_b64 s[2:3], s[46:47], exec
	v_cmp_eq_u64_e64 s[4:5], v[12:13], v[24:25]
	s_or_b64 s[2:3], s[48:49], s[2:3]
	s_and_saveexec_b64 s[48:49], s[4:5]
	s_cbranch_execz .LBB1605_429
; %bb.431:                              ;   in Loop: Header=BB1605_430 Depth=1
	s_add_u32 s42, s42, -1
	s_addc_u32 s43, s43, -1
	s_cmp_eq_u64 s[42:43], 0
	s_cselect_b64 s[4:5], -1, 0
	s_andn2_b64 s[40:41], s[40:41], exec
	s_and_b64 s[4:5], s[4:5], exec
	v_lshl_add_u64 v[6:7], v[6:7], 0, 8
	v_lshl_add_u64 v[8:9], v[8:9], 0, 8
	s_andn2_b64 s[2:3], s[2:3], exec
	s_or_b64 s[40:41], s[40:41], s[4:5]
                                        ; implicit-def: $sgpr44_sgpr45
	s_branch .LBB1605_429
.LBB1605_432:
	s_or_b64 exec, exec, s[28:29]
	s_xor_b64 s[2:3], s[30:31], -1
	s_branch .LBB1605_434
.LBB1605_433:
	s_mov_b64 s[2:3], -1
.LBB1605_434:
	s_and_b64 s[2:3], s[2:3], exec
.LBB1605_435:
	s_or_b64 exec, exec, s[24:25]
	s_orn2_b64 s[24:25], s[2:3], exec
.LBB1605_436:
	s_or_b64 exec, exec, s[26:27]
	v_cndmask_b32_e64 v6, v39, v40, s[24:25]
	v_cndmask_b32_e64 v7, v27, v26, s[24:25]
	v_add_u32_e32 v8, 1, v6
	v_add_u32_e32 v6, -1, v7
	v_min_u32_e32 v6, v8, v6
	v_lshl_add_u32 v6, v6, 3, v35
	ds_read_b64 v[6:7], v6
	v_cndmask_b32_e64 v43, v8, v39, s[24:25]
	v_cndmask_b32_e64 v44, v40, v8, s[24:25]
	v_cmp_lt_u32_e32 vcc, v43, v27
	s_mov_b64 s[28:29], -1
	s_waitcnt lgkmcnt(0)
	v_cndmask_b32_e64 v12, v7, v10, s[24:25]
	v_cndmask_b32_e64 v24, v6, v17, s[24:25]
	;; [unrolled: 1-line block ×4, first 2 shown]
	s_mov_b64 s[26:27], -1
	s_and_saveexec_b64 s[30:31], vcc
	s_cbranch_execz .LBB1605_447
; %bb.437:
	v_cmp_lt_u32_e32 vcc, v44, v26
	s_mov_b64 s[2:3], 0
	s_and_saveexec_b64 s[26:27], vcc
	s_cbranch_execz .LBB1605_446
; %bb.438:
	s_and_b64 vcc, exec, s[0:1]
	s_cbranch_vccnz .LBB1605_444
; %bb.439:
	v_mul_lo_u32 v8, v12, s36
	v_mul_lo_u32 v9, v24, s37
	v_mad_u64_u32 v[6:7], s[2:3], v24, s36, 0
	v_add3_u32 v7, v7, v9, v8
	v_mul_lo_u32 v39, v13, s36
	v_mul_lo_u32 v40, v25, s37
	v_mad_u64_u32 v[8:9], s[2:3], v25, s36, 0
	v_add3_u32 v9, v9, v40, v39
	v_lshl_add_u64 v[6:7], v[6:7], 3, s[38:39]
	v_lshl_add_u64 v[8:9], v[8:9], 3, s[38:39]
	s_mov_b64 s[40:41], 0
	s_mov_b64 s[46:47], s[36:37]
                                        ; implicit-def: $sgpr42_sgpr43
                                        ; implicit-def: $sgpr44_sgpr45
                                        ; implicit-def: $sgpr2_sgpr3
                                        ; implicit-def: $sgpr48_sgpr49
	s_branch .LBB1605_441
.LBB1605_440:                           ;   in Loop: Header=BB1605_441 Depth=1
	s_or_b64 exec, exec, s[52:53]
	s_and_b64 s[4:5], exec, s[44:45]
	s_or_b64 s[40:41], s[4:5], s[40:41]
	s_andn2_b64 s[4:5], s[48:49], exec
	s_and_b64 s[48:49], s[50:51], exec
	s_or_b64 s[48:49], s[4:5], s[48:49]
	s_andn2_b64 s[4:5], s[42:43], exec
	s_and_b64 s[42:43], s[2:3], exec
	s_or_b64 s[42:43], s[4:5], s[42:43]
	s_andn2_b64 exec, exec, s[40:41]
	s_cbranch_execz .LBB1605_443
.LBB1605_441:                           ; =>This Inner Loop Header: Depth=1
	global_load_dwordx2 v[40:41], v[6:7], off
	global_load_dwordx2 v[46:47], v[8:9], off
	s_andn2_b64 s[52:53], s[2:3], exec
	s_or_b64 s[44:45], s[44:45], exec
	s_waitcnt vmcnt(0)
	v_cmp_le_u64_e64 s[2:3], v[40:41], v[46:47]
	v_cmp_lt_u64_e32 vcc, v[40:41], v[46:47]
	s_and_b64 s[2:3], s[2:3], s[48:49]
	s_or_b64 s[50:51], vcc, s[2:3]
	s_and_b64 s[2:3], s[50:51], exec
	v_cmp_eq_u64_e64 s[4:5], v[40:41], v[46:47]
	s_or_b64 s[2:3], s[52:53], s[2:3]
	s_and_saveexec_b64 s[52:53], s[4:5]
	s_cbranch_execz .LBB1605_440
; %bb.442:                              ;   in Loop: Header=BB1605_441 Depth=1
	s_add_u32 s46, s46, -1
	s_addc_u32 s47, s47, -1
	s_cmp_eq_u64 s[46:47], 0
	s_cselect_b64 s[4:5], -1, 0
	s_andn2_b64 s[44:45], s[44:45], exec
	s_and_b64 s[4:5], s[4:5], exec
	v_lshl_add_u64 v[6:7], v[6:7], 0, 8
	v_lshl_add_u64 v[8:9], v[8:9], 0, 8
	s_andn2_b64 s[2:3], s[2:3], exec
	s_or_b64 s[44:45], s[44:45], s[4:5]
                                        ; implicit-def: $sgpr48_sgpr49
	s_branch .LBB1605_440
.LBB1605_443:
	s_or_b64 exec, exec, s[40:41]
	s_xor_b64 s[2:3], s[42:43], -1
	s_branch .LBB1605_445
.LBB1605_444:
	s_mov_b64 s[2:3], -1
.LBB1605_445:
	s_and_b64 s[2:3], s[2:3], exec
.LBB1605_446:
	s_or_b64 exec, exec, s[26:27]
	s_orn2_b64 s[26:27], s[2:3], exec
.LBB1605_447:
	s_or_b64 exec, exec, s[30:31]
	v_cndmask_b32_e64 v6, v43, v44, s[26:27]
	v_cndmask_b32_e64 v7, v27, v26, s[26:27]
	v_add_u32_e32 v8, 1, v6
	v_add_u32_e32 v6, -1, v7
	v_min_u32_e32 v6, v8, v6
	v_lshl_add_u32 v6, v6, 3, v35
	ds_read_b64 v[6:7], v6
	v_cndmask_b32_e64 v47, v8, v43, s[26:27]
	v_cndmask_b32_e64 v48, v44, v8, s[26:27]
	v_cmp_lt_u32_e32 vcc, v47, v27
	s_waitcnt lgkmcnt(0)
	v_cndmask_b32_e64 v39, v7, v12, s[26:27]
	v_cndmask_b32_e64 v40, v6, v24, s[26:27]
	;; [unrolled: 1-line block ×4, first 2 shown]
	s_and_saveexec_b64 s[30:31], vcc
	s_cbranch_execz .LBB1605_458
; %bb.448:
	v_cmp_lt_u32_e32 vcc, v48, v26
	s_mov_b64 s[2:3], 0
	s_and_saveexec_b64 s[28:29], vcc
	s_cbranch_execz .LBB1605_457
; %bb.449:
	s_and_b64 vcc, exec, s[0:1]
	s_cbranch_vccnz .LBB1605_455
; %bb.450:
	v_mul_lo_u32 v8, v39, s36
	v_mul_lo_u32 v9, v40, s37
	v_mad_u64_u32 v[6:7], s[2:3], v40, s36, 0
	v_add3_u32 v7, v7, v9, v8
	v_mul_lo_u32 v43, v41, s36
	v_mul_lo_u32 v44, v42, s37
	v_mad_u64_u32 v[8:9], s[2:3], v42, s36, 0
	v_add3_u32 v9, v9, v44, v43
	v_lshl_add_u64 v[6:7], v[6:7], 3, s[38:39]
	v_lshl_add_u64 v[8:9], v[8:9], 3, s[38:39]
	s_mov_b64 s[40:41], 0
	s_mov_b64 s[46:47], s[36:37]
                                        ; implicit-def: $sgpr42_sgpr43
                                        ; implicit-def: $sgpr44_sgpr45
                                        ; implicit-def: $sgpr2_sgpr3
                                        ; implicit-def: $sgpr48_sgpr49
	s_branch .LBB1605_452
.LBB1605_451:                           ;   in Loop: Header=BB1605_452 Depth=1
	s_or_b64 exec, exec, s[52:53]
	s_and_b64 s[4:5], exec, s[44:45]
	s_or_b64 s[40:41], s[4:5], s[40:41]
	s_andn2_b64 s[4:5], s[48:49], exec
	s_and_b64 s[48:49], s[50:51], exec
	s_or_b64 s[48:49], s[4:5], s[48:49]
	s_andn2_b64 s[4:5], s[42:43], exec
	s_and_b64 s[42:43], s[2:3], exec
	s_or_b64 s[42:43], s[4:5], s[42:43]
	s_andn2_b64 exec, exec, s[40:41]
	s_cbranch_execz .LBB1605_454
.LBB1605_452:                           ; =>This Inner Loop Header: Depth=1
	global_load_dwordx2 v[44:45], v[6:7], off
	global_load_dwordx2 v[50:51], v[8:9], off
	s_andn2_b64 s[52:53], s[2:3], exec
	s_or_b64 s[44:45], s[44:45], exec
	s_waitcnt vmcnt(0)
	v_cmp_le_u64_e64 s[2:3], v[44:45], v[50:51]
	v_cmp_lt_u64_e32 vcc, v[44:45], v[50:51]
	s_and_b64 s[2:3], s[2:3], s[48:49]
	s_or_b64 s[50:51], vcc, s[2:3]
	s_and_b64 s[2:3], s[50:51], exec
	v_cmp_eq_u64_e64 s[4:5], v[44:45], v[50:51]
	s_or_b64 s[2:3], s[52:53], s[2:3]
	s_and_saveexec_b64 s[52:53], s[4:5]
	s_cbranch_execz .LBB1605_451
; %bb.453:                              ;   in Loop: Header=BB1605_452 Depth=1
	s_add_u32 s46, s46, -1
	s_addc_u32 s47, s47, -1
	s_cmp_eq_u64 s[46:47], 0
	s_cselect_b64 s[4:5], -1, 0
	s_andn2_b64 s[44:45], s[44:45], exec
	s_and_b64 s[4:5], s[4:5], exec
	v_lshl_add_u64 v[6:7], v[6:7], 0, 8
	v_lshl_add_u64 v[8:9], v[8:9], 0, 8
	s_andn2_b64 s[2:3], s[2:3], exec
	s_or_b64 s[44:45], s[44:45], s[4:5]
                                        ; implicit-def: $sgpr48_sgpr49
	s_branch .LBB1605_451
.LBB1605_454:
	s_or_b64 exec, exec, s[40:41]
	s_xor_b64 s[2:3], s[42:43], -1
	s_branch .LBB1605_456
.LBB1605_455:
	s_mov_b64 s[2:3], -1
.LBB1605_456:
	s_and_b64 s[2:3], s[2:3], exec
.LBB1605_457:
	s_or_b64 exec, exec, s[28:29]
	s_orn2_b64 s[28:29], s[2:3], exec
.LBB1605_458:
	s_or_b64 exec, exec, s[30:31]
	v_cndmask_b32_e64 v6, v47, v48, s[28:29]
	v_cndmask_b32_e64 v7, v27, v26, s[28:29]
	v_add_u32_e32 v8, 1, v6
	v_add_u32_e32 v6, -1, v7
	v_min_u32_e32 v6, v8, v6
	v_lshl_add_u32 v6, v6, 3, v35
	ds_read_b64 v[6:7], v6
	v_cndmask_b32_e64 v49, v8, v47, s[28:29]
	v_cndmask_b32_e64 v53, v48, v8, s[28:29]
	v_cmp_lt_u32_e32 vcc, v49, v27
	s_mov_b64 s[30:31], -1
	s_waitcnt lgkmcnt(0)
	v_cndmask_b32_e64 v43, v7, v39, s[28:29]
	v_cndmask_b32_e64 v44, v6, v40, s[28:29]
	;; [unrolled: 1-line block ×4, first 2 shown]
	s_mov_b64 s[40:41], -1
	s_and_saveexec_b64 s[42:43], vcc
	s_cbranch_execz .LBB1605_469
; %bb.459:
	v_cmp_lt_u32_e32 vcc, v53, v26
	s_mov_b64 s[2:3], 0
	s_and_saveexec_b64 s[40:41], vcc
	s_cbranch_execz .LBB1605_468
; %bb.460:
	s_and_b64 vcc, exec, s[0:1]
	s_cbranch_vccnz .LBB1605_466
; %bb.461:
	v_mul_lo_u32 v8, v43, s36
	v_mul_lo_u32 v9, v44, s37
	v_mad_u64_u32 v[6:7], s[2:3], v44, s36, 0
	v_add3_u32 v7, v7, v9, v8
	v_mul_lo_u32 v47, v45, s36
	v_mul_lo_u32 v48, v46, s37
	v_mad_u64_u32 v[8:9], s[2:3], v46, s36, 0
	v_add3_u32 v9, v9, v48, v47
	v_lshl_add_u64 v[6:7], v[6:7], 3, s[38:39]
	v_lshl_add_u64 v[8:9], v[8:9], 3, s[38:39]
	s_mov_b64 s[44:45], 0
	s_mov_b64 s[50:51], s[36:37]
                                        ; implicit-def: $sgpr46_sgpr47
                                        ; implicit-def: $sgpr48_sgpr49
                                        ; implicit-def: $sgpr2_sgpr3
                                        ; implicit-def: $sgpr52_sgpr53
	s_branch .LBB1605_463
.LBB1605_462:                           ;   in Loop: Header=BB1605_463 Depth=1
	s_or_b64 exec, exec, s[56:57]
	s_and_b64 s[4:5], exec, s[48:49]
	s_or_b64 s[44:45], s[4:5], s[44:45]
	s_andn2_b64 s[4:5], s[52:53], exec
	s_and_b64 s[52:53], s[54:55], exec
	s_or_b64 s[52:53], s[4:5], s[52:53]
	s_andn2_b64 s[4:5], s[46:47], exec
	s_and_b64 s[46:47], s[2:3], exec
	s_or_b64 s[46:47], s[4:5], s[46:47]
	s_andn2_b64 exec, exec, s[44:45]
	s_cbranch_execz .LBB1605_465
.LBB1605_463:                           ; =>This Inner Loop Header: Depth=1
	global_load_dwordx2 v[50:51], v[6:7], off
	global_load_dwordx2 v[54:55], v[8:9], off
	s_andn2_b64 s[56:57], s[2:3], exec
	s_or_b64 s[48:49], s[48:49], exec
	s_waitcnt vmcnt(0)
	v_cmp_le_u64_e64 s[2:3], v[50:51], v[54:55]
	v_cmp_lt_u64_e32 vcc, v[50:51], v[54:55]
	s_and_b64 s[2:3], s[2:3], s[52:53]
	s_or_b64 s[54:55], vcc, s[2:3]
	s_and_b64 s[2:3], s[54:55], exec
	v_cmp_eq_u64_e64 s[4:5], v[50:51], v[54:55]
	s_or_b64 s[2:3], s[56:57], s[2:3]
	s_and_saveexec_b64 s[56:57], s[4:5]
	s_cbranch_execz .LBB1605_462
; %bb.464:                              ;   in Loop: Header=BB1605_463 Depth=1
	s_add_u32 s50, s50, -1
	s_addc_u32 s51, s51, -1
	s_cmp_eq_u64 s[50:51], 0
	s_cselect_b64 s[4:5], -1, 0
	s_andn2_b64 s[48:49], s[48:49], exec
	s_and_b64 s[4:5], s[4:5], exec
	v_lshl_add_u64 v[6:7], v[6:7], 0, 8
	v_lshl_add_u64 v[8:9], v[8:9], 0, 8
	s_andn2_b64 s[2:3], s[2:3], exec
	s_or_b64 s[48:49], s[48:49], s[4:5]
                                        ; implicit-def: $sgpr52_sgpr53
	s_branch .LBB1605_462
.LBB1605_465:
	s_or_b64 exec, exec, s[44:45]
	s_xor_b64 s[2:3], s[46:47], -1
	s_branch .LBB1605_467
.LBB1605_466:
	s_mov_b64 s[2:3], -1
.LBB1605_467:
	s_and_b64 s[2:3], s[2:3], exec
.LBB1605_468:
	s_or_b64 exec, exec, s[40:41]
	s_orn2_b64 s[40:41], s[2:3], exec
.LBB1605_469:
	s_or_b64 exec, exec, s[42:43]
	v_cndmask_b32_e64 v6, v49, v53, s[40:41]
	v_cndmask_b32_e64 v7, v27, v26, s[40:41]
	v_add_u32_e32 v8, 1, v6
	v_add_u32_e32 v6, -1, v7
	v_min_u32_e32 v6, v8, v6
	v_lshl_add_u32 v6, v6, 3, v35
	ds_read_b64 v[6:7], v6
	v_cndmask_b32_e64 v50, v8, v49, s[40:41]
	v_cndmask_b32_e64 v49, v53, v8, s[40:41]
	v_cmp_lt_u32_e32 vcc, v50, v27
	s_waitcnt lgkmcnt(0)
	v_cndmask_b32_e64 v47, v7, v43, s[40:41]
	v_cndmask_b32_e64 v48, v6, v44, s[40:41]
	;; [unrolled: 1-line block ×4, first 2 shown]
	s_and_saveexec_b64 s[42:43], vcc
	s_cbranch_execz .LBB1605_480
; %bb.470:
	v_cmp_lt_u32_e32 vcc, v49, v26
	s_mov_b64 s[2:3], 0
	s_and_saveexec_b64 s[30:31], vcc
	s_cbranch_execz .LBB1605_479
; %bb.471:
	s_and_b64 vcc, exec, s[0:1]
	s_cbranch_vccnz .LBB1605_477
; %bb.472:
	v_mul_lo_u32 v8, v47, s36
	v_mul_lo_u32 v9, v48, s37
	v_mad_u64_u32 v[6:7], s[2:3], v48, s36, 0
	v_add3_u32 v7, v7, v9, v8
	v_mul_lo_u32 v53, v51, s36
	v_mul_lo_u32 v54, v52, s37
	v_mad_u64_u32 v[8:9], s[2:3], v52, s36, 0
	v_add3_u32 v9, v9, v54, v53
	v_lshl_add_u64 v[6:7], v[6:7], 3, s[38:39]
	v_lshl_add_u64 v[8:9], v[8:9], 3, s[38:39]
	s_mov_b64 s[44:45], 0
	s_mov_b64 s[50:51], s[36:37]
                                        ; implicit-def: $sgpr46_sgpr47
                                        ; implicit-def: $sgpr48_sgpr49
                                        ; implicit-def: $sgpr2_sgpr3
                                        ; implicit-def: $sgpr52_sgpr53
	s_branch .LBB1605_474
.LBB1605_473:                           ;   in Loop: Header=BB1605_474 Depth=1
	s_or_b64 exec, exec, s[56:57]
	s_and_b64 s[4:5], exec, s[48:49]
	s_or_b64 s[44:45], s[4:5], s[44:45]
	s_andn2_b64 s[4:5], s[52:53], exec
	s_and_b64 s[52:53], s[54:55], exec
	s_or_b64 s[52:53], s[4:5], s[52:53]
	s_andn2_b64 s[4:5], s[46:47], exec
	s_and_b64 s[46:47], s[2:3], exec
	s_or_b64 s[46:47], s[4:5], s[46:47]
	s_andn2_b64 exec, exec, s[44:45]
	s_cbranch_execz .LBB1605_476
.LBB1605_474:                           ; =>This Inner Loop Header: Depth=1
	global_load_dwordx2 v[54:55], v[6:7], off
	global_load_dwordx2 v[56:57], v[8:9], off
	s_andn2_b64 s[56:57], s[2:3], exec
	s_or_b64 s[48:49], s[48:49], exec
	s_waitcnt vmcnt(0)
	v_cmp_le_u64_e64 s[2:3], v[54:55], v[56:57]
	v_cmp_lt_u64_e32 vcc, v[54:55], v[56:57]
	s_and_b64 s[2:3], s[2:3], s[52:53]
	s_or_b64 s[54:55], vcc, s[2:3]
	s_and_b64 s[2:3], s[54:55], exec
	v_cmp_eq_u64_e64 s[4:5], v[54:55], v[56:57]
	s_or_b64 s[2:3], s[56:57], s[2:3]
	s_and_saveexec_b64 s[56:57], s[4:5]
	s_cbranch_execz .LBB1605_473
; %bb.475:                              ;   in Loop: Header=BB1605_474 Depth=1
	s_add_u32 s50, s50, -1
	s_addc_u32 s51, s51, -1
	s_cmp_eq_u64 s[50:51], 0
	s_cselect_b64 s[4:5], -1, 0
	s_andn2_b64 s[48:49], s[48:49], exec
	s_and_b64 s[4:5], s[4:5], exec
	v_lshl_add_u64 v[6:7], v[6:7], 0, 8
	v_lshl_add_u64 v[8:9], v[8:9], 0, 8
	s_andn2_b64 s[2:3], s[2:3], exec
	s_or_b64 s[48:49], s[48:49], s[4:5]
                                        ; implicit-def: $sgpr52_sgpr53
	s_branch .LBB1605_473
.LBB1605_476:
	s_or_b64 exec, exec, s[44:45]
	s_xor_b64 s[2:3], s[46:47], -1
	s_branch .LBB1605_478
.LBB1605_477:
	s_mov_b64 s[2:3], -1
.LBB1605_478:
	s_and_b64 s[2:3], s[2:3], exec
.LBB1605_479:
	s_or_b64 exec, exec, s[30:31]
	s_orn2_b64 s[30:31], s[2:3], exec
.LBB1605_480:
	s_or_b64 exec, exec, s[42:43]
	v_cndmask_b32_e64 v11, v10, v11, s[24:25]
	v_cndmask_b32_e64 v10, v17, v23, s[24:25]
	;; [unrolled: 1-line block ×8, first 2 shown]
	v_add_u32_e32 v24, 1, v14
	v_add_u32_e32 v14, -1, v15
	v_min_u32_e32 v14, v24, v14
	v_lshl_add_u32 v14, v14, 3, v35
	ds_read_b64 v[22:23], v14
	v_cndmask_b32_e64 v25, v24, v50, s[30:31]
	v_cndmask_b32_e64 v9, v43, v45, s[40:41]
	;; [unrolled: 1-line block ×9, first 2 shown]
	s_waitcnt lgkmcnt(0)
	v_cndmask_b32_e64 v5, v51, v23, s[30:31]
	v_cndmask_b32_e64 v4, v52, v22, s[30:31]
	v_cmp_lt_u32_e32 vcc, v25, v27
	s_and_saveexec_b64 s[12:13], vcc
	s_cbranch_execz .LBB1605_490
; %bb.481:
	v_cndmask_b32_e64 v24, v49, v24, s[30:31]
	v_cndmask_b32_e64 v23, v23, v47, s[30:31]
	;; [unrolled: 1-line block ×3, first 2 shown]
	v_cmp_lt_u32_e32 vcc, v24, v26
	s_and_saveexec_b64 s[22:23], vcc
	s_cbranch_execz .LBB1605_489
; %bb.482:
	s_and_b64 vcc, exec, s[0:1]
	s_cbranch_vccnz .LBB1605_488
; %bb.483:
	v_mul_lo_u32 v26, v23, s36
	v_mul_lo_u32 v27, v22, s37
	v_mad_u64_u32 v[24:25], s[2:3], v22, s36, 0
	v_add3_u32 v25, v25, v27, v26
	v_mul_lo_u32 v39, v5, s36
	v_mul_lo_u32 v40, v4, s37
	v_mad_u64_u32 v[26:27], s[2:3], v4, s36, 0
	v_add3_u32 v27, v27, v40, v39
	v_lshl_add_u64 v[24:25], v[24:25], 3, s[38:39]
	v_lshl_add_u64 v[26:27], v[26:27], 3, s[38:39]
	s_mov_b64 s[24:25], 0
	s_mov_b64 s[30:31], s[36:37]
                                        ; implicit-def: $sgpr26_sgpr27
                                        ; implicit-def: $sgpr28_sgpr29
                                        ; implicit-def: $sgpr2_sgpr3
                                        ; implicit-def: $sgpr40_sgpr41
	s_branch .LBB1605_485
.LBB1605_484:                           ;   in Loop: Header=BB1605_485 Depth=1
	s_or_b64 exec, exec, s[44:45]
	s_and_b64 s[4:5], exec, s[28:29]
	s_or_b64 s[24:25], s[4:5], s[24:25]
	s_andn2_b64 s[4:5], s[40:41], exec
	s_and_b64 s[40:41], s[42:43], exec
	s_or_b64 s[40:41], s[4:5], s[40:41]
	s_andn2_b64 s[4:5], s[26:27], exec
	s_and_b64 s[26:27], s[2:3], exec
	s_or_b64 s[26:27], s[4:5], s[26:27]
	s_andn2_b64 exec, exec, s[24:25]
	s_cbranch_execz .LBB1605_487
.LBB1605_485:                           ; =>This Inner Loop Header: Depth=1
	global_load_dwordx2 v[40:41], v[24:25], off
	global_load_dwordx2 v[42:43], v[26:27], off
	s_andn2_b64 s[44:45], s[2:3], exec
	s_or_b64 s[28:29], s[28:29], exec
	s_waitcnt vmcnt(0)
	v_cmp_le_u64_e64 s[2:3], v[40:41], v[42:43]
	v_cmp_lt_u64_e32 vcc, v[40:41], v[42:43]
	s_and_b64 s[2:3], s[2:3], s[40:41]
	s_or_b64 s[42:43], vcc, s[2:3]
	s_and_b64 s[2:3], s[42:43], exec
	v_cmp_eq_u64_e64 s[4:5], v[40:41], v[42:43]
	s_or_b64 s[2:3], s[44:45], s[2:3]
	s_and_saveexec_b64 s[44:45], s[4:5]
	s_cbranch_execz .LBB1605_484
; %bb.486:                              ;   in Loop: Header=BB1605_485 Depth=1
	s_add_u32 s30, s30, -1
	s_addc_u32 s31, s31, -1
	s_cmp_eq_u64 s[30:31], 0
	s_cselect_b64 s[4:5], -1, 0
	s_andn2_b64 s[28:29], s[28:29], exec
	s_and_b64 s[4:5], s[4:5], exec
	v_lshl_add_u64 v[24:25], v[24:25], 0, 8
	v_lshl_add_u64 v[26:27], v[26:27], 0, 8
	s_andn2_b64 s[2:3], s[2:3], exec
	s_or_b64 s[28:29], s[28:29], s[4:5]
                                        ; implicit-def: $sgpr40_sgpr41
	s_branch .LBB1605_484
.LBB1605_487:
	s_or_b64 exec, exec, s[24:25]
	v_cndmask_b32_e64 v5, v5, v23, s[26:27]
	v_cndmask_b32_e64 v4, v4, v22, s[26:27]
.LBB1605_488:
	v_mov_b64_e32 v[22:23], v[4:5]
.LBB1605_489:
	s_or_b64 exec, exec, s[22:23]
	v_mov_b64_e32 v[4:5], v[22:23]
.LBB1605_490:
	s_or_b64 exec, exec, s[12:13]
.LBB1605_491:
	s_or_b64 exec, exec, s[10:11]
	; wave barrier
	ds_write_b128 v38, v[14:17]
	ds_write_b128 v38, v[10:13] offset:16
	ds_write_b128 v38, v[6:9] offset:32
	;; [unrolled: 1-line block ×3, first 2 shown]
	v_and_b32_e32 v38, 0x380, v37
	v_or_b32_e32 v22, 64, v38
	v_min_u32_e32 v26, v36, v22
	v_add_u32_e32 v22, 64, v26
	v_min_u32_e32 v27, v36, v22
	v_and_b32_e32 v22, 0x78, v37
	v_min_u32_e32 v39, v36, v22
	v_sub_u32_e32 v22, v26, v38
	v_sub_u32_e32 v23, v27, v26
	v_sub_u32_e64 v37, v39, v23 clamp
	v_min_u32_e32 v40, v39, v22
	v_lshl_add_u32 v36, v38, 3, v35
	v_cmp_lt_u32_e32 vcc, v37, v40
	; wave barrier
	s_and_saveexec_b64 s[10:11], vcc
	s_cbranch_execz .LBB1605_501
; %bb.492:
	v_lshlrev_b32_e32 v22, 3, v26
	v_lshlrev_b32_e32 v23, 3, v39
	v_add3_u32 v41, v35, v22, v23
	s_lshl_b64 s[22:23], s[36:37], 3
	s_mov_b64 s[12:13], 0
	s_branch .LBB1605_495
.LBB1605_493:                           ;   in Loop: Header=BB1605_495 Depth=1
	s_or_b64 exec, exec, s[26:27]
.LBB1605_494:                           ;   in Loop: Header=BB1605_495 Depth=1
	v_add_u32_e32 v22, 1, v42
	v_cndmask_b32_e64 v40, v40, v42, s[24:25]
	v_cndmask_b32_e64 v37, v22, v37, s[24:25]
	v_cmp_ge_u32_e32 vcc, v37, v40
	s_or_b64 s[12:13], vcc, s[12:13]
	s_andn2_b64 exec, exec, s[12:13]
	s_cbranch_execz .LBB1605_500
.LBB1605_495:                           ; =>This Loop Header: Depth=1
                                        ;     Child Loop BB1605_498 Depth 2
	v_add_u32_e32 v22, v40, v37
	v_lshrrev_b32_e32 v42, 1, v22
	s_and_b64 vcc, exec, s[0:1]
	s_mov_b64 s[24:25], 0
	s_cbranch_vccnz .LBB1605_494
; %bb.496:                              ;   in Loop: Header=BB1605_495 Depth=1
	v_not_b32_e32 v22, v42
	v_lshl_add_u32 v22, v22, 3, v41
	ds_read_b64 v[22:23], v22
	v_lshl_add_u32 v43, v42, 3, v36
	ds_read_b64 v[44:45], v43
	v_mov_b64_e32 v[24:25], s[38:39]
	s_mov_b64 s[26:27], 0
	s_waitcnt lgkmcnt(1)
	v_mul_lo_u32 v43, s22, v23
	v_mul_lo_u32 v46, s23, v22
	v_mad_u64_u32 v[22:23], s[2:3], s22, v22, v[24:25]
	v_add3_u32 v23, v46, v23, v43
	s_waitcnt lgkmcnt(0)
	v_mul_lo_u32 v43, s22, v45
	v_mul_lo_u32 v45, s23, v44
	v_mad_u64_u32 v[24:25], s[2:3], s22, v44, v[24:25]
	v_add3_u32 v25, v45, v25, v43
	s_mov_b64 s[30:31], s[36:37]
                                        ; implicit-def: $sgpr24_sgpr25
                                        ; implicit-def: $sgpr28_sgpr29
                                        ; implicit-def: $sgpr2_sgpr3
                                        ; implicit-def: $sgpr40_sgpr41
	s_branch .LBB1605_498
.LBB1605_497:                           ;   in Loop: Header=BB1605_498 Depth=2
	s_or_b64 exec, exec, s[44:45]
	s_and_b64 s[4:5], exec, s[28:29]
	s_or_b64 s[26:27], s[4:5], s[26:27]
	s_andn2_b64 s[4:5], s[40:41], exec
	s_and_b64 s[40:41], s[42:43], exec
	s_or_b64 s[40:41], s[4:5], s[40:41]
	s_andn2_b64 s[4:5], s[24:25], exec
	s_and_b64 s[24:25], s[2:3], exec
	s_or_b64 s[24:25], s[4:5], s[24:25]
	s_andn2_b64 exec, exec, s[26:27]
	s_cbranch_execz .LBB1605_493
.LBB1605_498:                           ;   Parent Loop BB1605_495 Depth=1
                                        ; =>  This Inner Loop Header: Depth=2
	global_load_dwordx2 v[44:45], v[22:23], off
	global_load_dwordx2 v[46:47], v[24:25], off
	s_andn2_b64 s[44:45], s[2:3], exec
	s_or_b64 s[28:29], s[28:29], exec
	s_waitcnt vmcnt(0)
	v_cmp_le_u64_e64 s[2:3], v[44:45], v[46:47]
	v_cmp_lt_u64_e32 vcc, v[44:45], v[46:47]
	s_and_b64 s[2:3], s[2:3], s[40:41]
	s_or_b64 s[42:43], vcc, s[2:3]
	s_and_b64 s[2:3], s[42:43], exec
	v_cmp_eq_u64_e64 s[4:5], v[44:45], v[46:47]
	s_or_b64 s[2:3], s[44:45], s[2:3]
	s_and_saveexec_b64 s[44:45], s[4:5]
	s_cbranch_execz .LBB1605_497
; %bb.499:                              ;   in Loop: Header=BB1605_498 Depth=2
	s_add_u32 s30, s30, -1
	s_addc_u32 s31, s31, -1
	s_cmp_eq_u64 s[30:31], 0
	s_cselect_b64 s[4:5], -1, 0
	s_andn2_b64 s[28:29], s[28:29], exec
	s_and_b64 s[4:5], s[4:5], exec
	v_lshl_add_u64 v[22:23], v[22:23], 0, 8
	v_lshl_add_u64 v[24:25], v[24:25], 0, 8
	s_andn2_b64 s[2:3], s[2:3], exec
	s_or_b64 s[28:29], s[28:29], s[4:5]
                                        ; implicit-def: $sgpr40_sgpr41
	s_branch .LBB1605_497
.LBB1605_500:
	s_or_b64 exec, exec, s[12:13]
.LBB1605_501:
	s_or_b64 exec, exec, s[10:11]
	v_add_u32_e32 v22, v26, v39
	v_add_u32_e32 v23, v37, v38
	v_sub_u32_e32 v24, v22, v37
	v_cmp_le_u32_e32 vcc, v23, v26
	v_cmp_le_u32_e64 s[2:3], v24, v27
	s_or_b64 s[2:3], vcc, s[2:3]
	s_and_saveexec_b64 s[10:11], s[2:3]
	s_cbranch_execz .LBB1605_592
; %bb.502:
	v_cmp_ge_u32_e32 vcc, v23, v26
	v_cmp_lt_u32_e64 s[2:3], v23, v26
                                        ; implicit-def: $vgpr2_vgpr3
	s_and_saveexec_b64 s[4:5], s[2:3]
; %bb.503:
	v_lshl_add_u32 v2, v37, 3, v36
	ds_read_b64 v[2:3], v2
; %bb.504:
	s_or_b64 exec, exec, s[4:5]
	v_cmp_ge_u32_e64 s[12:13], v24, v27
	v_cmp_lt_u32_e64 s[2:3], v24, v27
                                        ; implicit-def: $vgpr4_vgpr5
	s_and_saveexec_b64 s[4:5], s[2:3]
; %bb.505:
	v_lshl_add_u32 v4, v24, 3, v35
	ds_read_b64 v[4:5], v4
; %bb.506:
	s_or_b64 exec, exec, s[4:5]
	s_nor_b64 s[2:3], vcc, s[12:13]
	s_and_saveexec_b64 s[22:23], s[2:3]
	s_cbranch_execz .LBB1605_515
; %bb.507:
	s_and_b64 vcc, exec, s[0:1]
	s_cbranch_vccnz .LBB1605_513
; %bb.508:
	s_waitcnt lgkmcnt(0)
	v_mul_lo_u32 v8, v5, s36
	v_mul_lo_u32 v9, v4, s37
	v_mad_u64_u32 v[6:7], s[2:3], v4, s36, 0
	v_add3_u32 v7, v7, v9, v8
	v_mul_lo_u32 v10, v3, s36
	v_mul_lo_u32 v11, v2, s37
	v_mad_u64_u32 v[8:9], s[2:3], v2, s36, 0
	v_add3_u32 v9, v9, v11, v10
	v_lshl_add_u64 v[6:7], v[6:7], 3, s[38:39]
	v_lshl_add_u64 v[8:9], v[8:9], 3, s[38:39]
	s_mov_b64 s[24:25], 0
	s_mov_b64 s[30:31], s[36:37]
                                        ; implicit-def: $sgpr26_sgpr27
                                        ; implicit-def: $sgpr28_sgpr29
                                        ; implicit-def: $sgpr2_sgpr3
                                        ; implicit-def: $sgpr40_sgpr41
	s_branch .LBB1605_510
.LBB1605_509:                           ;   in Loop: Header=BB1605_510 Depth=1
	s_or_b64 exec, exec, s[44:45]
	s_and_b64 s[4:5], exec, s[28:29]
	s_or_b64 s[24:25], s[4:5], s[24:25]
	s_andn2_b64 s[4:5], s[40:41], exec
	s_and_b64 s[40:41], s[42:43], exec
	s_or_b64 s[40:41], s[4:5], s[40:41]
	s_andn2_b64 s[4:5], s[26:27], exec
	s_and_b64 s[26:27], s[2:3], exec
	s_or_b64 s[26:27], s[4:5], s[26:27]
	s_andn2_b64 exec, exec, s[24:25]
	s_cbranch_execz .LBB1605_512
.LBB1605_510:                           ; =>This Inner Loop Header: Depth=1
	global_load_dwordx2 v[10:11], v[6:7], off
	global_load_dwordx2 v[12:13], v[8:9], off
	s_andn2_b64 s[44:45], s[2:3], exec
	s_or_b64 s[28:29], s[28:29], exec
	s_waitcnt vmcnt(0)
	v_cmp_le_u64_e64 s[2:3], v[10:11], v[12:13]
	v_cmp_lt_u64_e32 vcc, v[10:11], v[12:13]
	s_and_b64 s[2:3], s[2:3], s[40:41]
	s_or_b64 s[42:43], vcc, s[2:3]
	s_and_b64 s[2:3], s[42:43], exec
	v_cmp_eq_u64_e64 s[4:5], v[10:11], v[12:13]
	s_or_b64 s[2:3], s[44:45], s[2:3]
	s_and_saveexec_b64 s[44:45], s[4:5]
	s_cbranch_execz .LBB1605_509
; %bb.511:                              ;   in Loop: Header=BB1605_510 Depth=1
	s_add_u32 s30, s30, -1
	s_addc_u32 s31, s31, -1
	s_cmp_eq_u64 s[30:31], 0
	s_cselect_b64 s[4:5], -1, 0
	s_andn2_b64 s[28:29], s[28:29], exec
	s_and_b64 s[4:5], s[4:5], exec
	v_lshl_add_u64 v[6:7], v[6:7], 0, 8
	v_lshl_add_u64 v[8:9], v[8:9], 0, 8
	s_andn2_b64 s[2:3], s[2:3], exec
	s_or_b64 s[28:29], s[28:29], s[4:5]
                                        ; implicit-def: $sgpr40_sgpr41
	s_branch .LBB1605_509
.LBB1605_512:
	s_or_b64 exec, exec, s[24:25]
	s_xor_b64 s[2:3], s[26:27], -1
	s_branch .LBB1605_514
.LBB1605_513:
	s_mov_b64 s[2:3], -1
.LBB1605_514:
	s_andn2_b64 s[4:5], s[12:13], exec
	s_and_b64 s[2:3], s[2:3], exec
	s_or_b64 s[12:13], s[4:5], s[2:3]
.LBB1605_515:
	s_or_b64 exec, exec, s[22:23]
	v_cndmask_b32_e64 v6, v24, v23, s[12:13]
	v_cndmask_b32_e64 v7, v27, v26, s[12:13]
	v_add_u32_e32 v8, 1, v6
	v_add_u32_e32 v6, -1, v7
	v_min_u32_e32 v6, v8, v6
	v_lshl_add_u32 v6, v6, 3, v35
	ds_read_b64 v[6:7], v6
	v_cndmask_b32_e64 v12, v8, v24, s[12:13]
	v_cndmask_b32_e64 v13, v23, v8, s[12:13]
	v_cmp_lt_u32_e32 vcc, v12, v27
	s_mov_b64 s[24:25], -1
	s_waitcnt lgkmcnt(0)
	v_cndmask_b32_e64 v14, v7, v5, s[12:13]
	v_cndmask_b32_e64 v15, v6, v4, s[12:13]
	;; [unrolled: 1-line block ×4, first 2 shown]
	s_mov_b64 s[22:23], -1
	s_and_saveexec_b64 s[26:27], vcc
	s_cbranch_execz .LBB1605_526
; %bb.516:
	v_cmp_lt_u32_e32 vcc, v13, v26
	s_mov_b64 s[2:3], 0
	s_and_saveexec_b64 s[22:23], vcc
	s_cbranch_execz .LBB1605_525
; %bb.517:
	s_and_b64 vcc, exec, s[0:1]
	s_cbranch_vccnz .LBB1605_523
; %bb.518:
	v_mul_lo_u32 v8, v14, s36
	v_mul_lo_u32 v9, v15, s37
	v_mad_u64_u32 v[6:7], s[2:3], v15, s36, 0
	v_add3_u32 v7, v7, v9, v8
	v_mul_lo_u32 v10, v16, s36
	v_mul_lo_u32 v11, v22, s37
	v_mad_u64_u32 v[8:9], s[2:3], v22, s36, 0
	v_add3_u32 v9, v9, v11, v10
	v_lshl_add_u64 v[6:7], v[6:7], 3, s[38:39]
	v_lshl_add_u64 v[8:9], v[8:9], 3, s[38:39]
	s_mov_b64 s[28:29], 0
	s_mov_b64 s[42:43], s[36:37]
                                        ; implicit-def: $sgpr30_sgpr31
                                        ; implicit-def: $sgpr40_sgpr41
                                        ; implicit-def: $sgpr2_sgpr3
                                        ; implicit-def: $sgpr44_sgpr45
	s_branch .LBB1605_520
.LBB1605_519:                           ;   in Loop: Header=BB1605_520 Depth=1
	s_or_b64 exec, exec, s[48:49]
	s_and_b64 s[4:5], exec, s[40:41]
	s_or_b64 s[28:29], s[4:5], s[28:29]
	s_andn2_b64 s[4:5], s[44:45], exec
	s_and_b64 s[44:45], s[46:47], exec
	s_or_b64 s[44:45], s[4:5], s[44:45]
	s_andn2_b64 s[4:5], s[30:31], exec
	s_and_b64 s[30:31], s[2:3], exec
	s_or_b64 s[30:31], s[4:5], s[30:31]
	s_andn2_b64 exec, exec, s[28:29]
	s_cbranch_execz .LBB1605_522
.LBB1605_520:                           ; =>This Inner Loop Header: Depth=1
	global_load_dwordx2 v[10:11], v[6:7], off
	global_load_dwordx2 v[24:25], v[8:9], off
	s_andn2_b64 s[48:49], s[2:3], exec
	s_or_b64 s[40:41], s[40:41], exec
	s_waitcnt vmcnt(0)
	v_cmp_le_u64_e64 s[2:3], v[10:11], v[24:25]
	v_cmp_lt_u64_e32 vcc, v[10:11], v[24:25]
	s_and_b64 s[2:3], s[2:3], s[44:45]
	s_or_b64 s[46:47], vcc, s[2:3]
	s_and_b64 s[2:3], s[46:47], exec
	v_cmp_eq_u64_e64 s[4:5], v[10:11], v[24:25]
	s_or_b64 s[2:3], s[48:49], s[2:3]
	s_and_saveexec_b64 s[48:49], s[4:5]
	s_cbranch_execz .LBB1605_519
; %bb.521:                              ;   in Loop: Header=BB1605_520 Depth=1
	s_add_u32 s42, s42, -1
	s_addc_u32 s43, s43, -1
	s_cmp_eq_u64 s[42:43], 0
	s_cselect_b64 s[4:5], -1, 0
	s_andn2_b64 s[40:41], s[40:41], exec
	s_and_b64 s[4:5], s[4:5], exec
	v_lshl_add_u64 v[6:7], v[6:7], 0, 8
	v_lshl_add_u64 v[8:9], v[8:9], 0, 8
	s_andn2_b64 s[2:3], s[2:3], exec
	s_or_b64 s[40:41], s[40:41], s[4:5]
                                        ; implicit-def: $sgpr44_sgpr45
	s_branch .LBB1605_519
.LBB1605_522:
	s_or_b64 exec, exec, s[28:29]
	s_xor_b64 s[2:3], s[30:31], -1
	s_branch .LBB1605_524
.LBB1605_523:
	s_mov_b64 s[2:3], -1
.LBB1605_524:
	s_and_b64 s[2:3], s[2:3], exec
.LBB1605_525:
	s_or_b64 exec, exec, s[22:23]
	s_orn2_b64 s[22:23], s[2:3], exec
.LBB1605_526:
	s_or_b64 exec, exec, s[26:27]
	v_cndmask_b32_e64 v6, v12, v13, s[22:23]
	v_cndmask_b32_e64 v7, v27, v26, s[22:23]
	v_add_u32_e32 v8, 1, v6
	v_add_u32_e32 v6, -1, v7
	v_min_u32_e32 v6, v8, v6
	v_lshl_add_u32 v6, v6, 3, v35
	ds_read_b64 v[6:7], v6
	v_cndmask_b32_e64 v36, v8, v12, s[22:23]
	v_cndmask_b32_e64 v37, v13, v8, s[22:23]
	v_cmp_lt_u32_e32 vcc, v36, v27
	s_waitcnt lgkmcnt(0)
	v_cndmask_b32_e64 v10, v7, v14, s[22:23]
	v_cndmask_b32_e64 v17, v6, v15, s[22:23]
	;; [unrolled: 1-line block ×4, first 2 shown]
	s_and_saveexec_b64 s[26:27], vcc
	s_cbranch_execz .LBB1605_537
; %bb.527:
	v_cmp_lt_u32_e32 vcc, v37, v26
	s_mov_b64 s[2:3], 0
	s_and_saveexec_b64 s[24:25], vcc
	s_cbranch_execz .LBB1605_536
; %bb.528:
	s_and_b64 vcc, exec, s[0:1]
	s_cbranch_vccnz .LBB1605_534
; %bb.529:
	v_mul_lo_u32 v8, v10, s36
	v_mul_lo_u32 v9, v17, s37
	v_mad_u64_u32 v[6:7], s[2:3], v17, s36, 0
	v_add3_u32 v7, v7, v9, v8
	v_mul_lo_u32 v12, v11, s36
	v_mul_lo_u32 v13, v23, s37
	v_mad_u64_u32 v[8:9], s[2:3], v23, s36, 0
	v_add3_u32 v9, v9, v13, v12
	v_lshl_add_u64 v[6:7], v[6:7], 3, s[38:39]
	v_lshl_add_u64 v[8:9], v[8:9], 3, s[38:39]
	s_mov_b64 s[28:29], 0
	s_mov_b64 s[42:43], s[36:37]
                                        ; implicit-def: $sgpr30_sgpr31
                                        ; implicit-def: $sgpr40_sgpr41
                                        ; implicit-def: $sgpr2_sgpr3
                                        ; implicit-def: $sgpr44_sgpr45
	s_branch .LBB1605_531
.LBB1605_530:                           ;   in Loop: Header=BB1605_531 Depth=1
	s_or_b64 exec, exec, s[48:49]
	s_and_b64 s[4:5], exec, s[40:41]
	s_or_b64 s[28:29], s[4:5], s[28:29]
	s_andn2_b64 s[4:5], s[44:45], exec
	s_and_b64 s[44:45], s[46:47], exec
	s_or_b64 s[44:45], s[4:5], s[44:45]
	s_andn2_b64 s[4:5], s[30:31], exec
	s_and_b64 s[30:31], s[2:3], exec
	s_or_b64 s[30:31], s[4:5], s[30:31]
	s_andn2_b64 exec, exec, s[28:29]
	s_cbranch_execz .LBB1605_533
.LBB1605_531:                           ; =>This Inner Loop Header: Depth=1
	global_load_dwordx2 v[12:13], v[6:7], off
	global_load_dwordx2 v[24:25], v[8:9], off
	s_andn2_b64 s[48:49], s[2:3], exec
	s_or_b64 s[40:41], s[40:41], exec
	s_waitcnt vmcnt(0)
	v_cmp_le_u64_e64 s[2:3], v[12:13], v[24:25]
	v_cmp_lt_u64_e32 vcc, v[12:13], v[24:25]
	s_and_b64 s[2:3], s[2:3], s[44:45]
	s_or_b64 s[46:47], vcc, s[2:3]
	s_and_b64 s[2:3], s[46:47], exec
	v_cmp_eq_u64_e64 s[4:5], v[12:13], v[24:25]
	s_or_b64 s[2:3], s[48:49], s[2:3]
	s_and_saveexec_b64 s[48:49], s[4:5]
	s_cbranch_execz .LBB1605_530
; %bb.532:                              ;   in Loop: Header=BB1605_531 Depth=1
	s_add_u32 s42, s42, -1
	s_addc_u32 s43, s43, -1
	s_cmp_eq_u64 s[42:43], 0
	s_cselect_b64 s[4:5], -1, 0
	s_andn2_b64 s[40:41], s[40:41], exec
	s_and_b64 s[4:5], s[4:5], exec
	v_lshl_add_u64 v[6:7], v[6:7], 0, 8
	v_lshl_add_u64 v[8:9], v[8:9], 0, 8
	s_andn2_b64 s[2:3], s[2:3], exec
	s_or_b64 s[40:41], s[40:41], s[4:5]
                                        ; implicit-def: $sgpr44_sgpr45
	s_branch .LBB1605_530
.LBB1605_533:
	s_or_b64 exec, exec, s[28:29]
	s_xor_b64 s[2:3], s[30:31], -1
	s_branch .LBB1605_535
.LBB1605_534:
	s_mov_b64 s[2:3], -1
.LBB1605_535:
	s_and_b64 s[2:3], s[2:3], exec
.LBB1605_536:
	s_or_b64 exec, exec, s[24:25]
	s_orn2_b64 s[24:25], s[2:3], exec
.LBB1605_537:
	s_or_b64 exec, exec, s[26:27]
	v_cndmask_b32_e64 v6, v36, v37, s[24:25]
	v_cndmask_b32_e64 v7, v27, v26, s[24:25]
	v_add_u32_e32 v8, 1, v6
	v_add_u32_e32 v6, -1, v7
	v_min_u32_e32 v6, v8, v6
	v_lshl_add_u32 v6, v6, 3, v35
	ds_read_b64 v[6:7], v6
	v_cndmask_b32_e64 v40, v8, v36, s[24:25]
	v_cndmask_b32_e64 v41, v37, v8, s[24:25]
	v_cmp_lt_u32_e32 vcc, v40, v27
	s_mov_b64 s[28:29], -1
	s_waitcnt lgkmcnt(0)
	v_cndmask_b32_e64 v12, v7, v10, s[24:25]
	v_cndmask_b32_e64 v24, v6, v17, s[24:25]
	;; [unrolled: 1-line block ×4, first 2 shown]
	s_mov_b64 s[26:27], -1
	s_and_saveexec_b64 s[30:31], vcc
	s_cbranch_execz .LBB1605_548
; %bb.538:
	v_cmp_lt_u32_e32 vcc, v41, v26
	s_mov_b64 s[2:3], 0
	s_and_saveexec_b64 s[26:27], vcc
	s_cbranch_execz .LBB1605_547
; %bb.539:
	s_and_b64 vcc, exec, s[0:1]
	s_cbranch_vccnz .LBB1605_545
; %bb.540:
	v_mul_lo_u32 v8, v12, s36
	v_mul_lo_u32 v9, v24, s37
	v_mad_u64_u32 v[6:7], s[2:3], v24, s36, 0
	v_add3_u32 v7, v7, v9, v8
	v_mul_lo_u32 v36, v13, s36
	v_mul_lo_u32 v37, v25, s37
	v_mad_u64_u32 v[8:9], s[2:3], v25, s36, 0
	v_add3_u32 v9, v9, v37, v36
	v_lshl_add_u64 v[6:7], v[6:7], 3, s[38:39]
	v_lshl_add_u64 v[8:9], v[8:9], 3, s[38:39]
	s_mov_b64 s[40:41], 0
	s_mov_b64 s[46:47], s[36:37]
                                        ; implicit-def: $sgpr42_sgpr43
                                        ; implicit-def: $sgpr44_sgpr45
                                        ; implicit-def: $sgpr2_sgpr3
                                        ; implicit-def: $sgpr48_sgpr49
	s_branch .LBB1605_542
.LBB1605_541:                           ;   in Loop: Header=BB1605_542 Depth=1
	s_or_b64 exec, exec, s[52:53]
	s_and_b64 s[4:5], exec, s[44:45]
	s_or_b64 s[40:41], s[4:5], s[40:41]
	s_andn2_b64 s[4:5], s[48:49], exec
	s_and_b64 s[48:49], s[50:51], exec
	s_or_b64 s[48:49], s[4:5], s[48:49]
	s_andn2_b64 s[4:5], s[42:43], exec
	s_and_b64 s[42:43], s[2:3], exec
	s_or_b64 s[42:43], s[4:5], s[42:43]
	s_andn2_b64 exec, exec, s[40:41]
	s_cbranch_execz .LBB1605_544
.LBB1605_542:                           ; =>This Inner Loop Header: Depth=1
	global_load_dwordx2 v[36:37], v[6:7], off
	global_load_dwordx2 v[38:39], v[8:9], off
	s_andn2_b64 s[52:53], s[2:3], exec
	s_or_b64 s[44:45], s[44:45], exec
	s_waitcnt vmcnt(0)
	v_cmp_le_u64_e64 s[2:3], v[36:37], v[38:39]
	v_cmp_lt_u64_e32 vcc, v[36:37], v[38:39]
	s_and_b64 s[2:3], s[2:3], s[48:49]
	s_or_b64 s[50:51], vcc, s[2:3]
	s_and_b64 s[2:3], s[50:51], exec
	v_cmp_eq_u64_e64 s[4:5], v[36:37], v[38:39]
	s_or_b64 s[2:3], s[52:53], s[2:3]
	s_and_saveexec_b64 s[52:53], s[4:5]
	s_cbranch_execz .LBB1605_541
; %bb.543:                              ;   in Loop: Header=BB1605_542 Depth=1
	s_add_u32 s46, s46, -1
	s_addc_u32 s47, s47, -1
	s_cmp_eq_u64 s[46:47], 0
	s_cselect_b64 s[4:5], -1, 0
	s_andn2_b64 s[44:45], s[44:45], exec
	s_and_b64 s[4:5], s[4:5], exec
	v_lshl_add_u64 v[6:7], v[6:7], 0, 8
	v_lshl_add_u64 v[8:9], v[8:9], 0, 8
	s_andn2_b64 s[2:3], s[2:3], exec
	s_or_b64 s[44:45], s[44:45], s[4:5]
                                        ; implicit-def: $sgpr48_sgpr49
	s_branch .LBB1605_541
.LBB1605_544:
	s_or_b64 exec, exec, s[40:41]
	s_xor_b64 s[2:3], s[42:43], -1
	s_branch .LBB1605_546
.LBB1605_545:
	s_mov_b64 s[2:3], -1
.LBB1605_546:
	s_and_b64 s[2:3], s[2:3], exec
.LBB1605_547:
	s_or_b64 exec, exec, s[26:27]
	s_orn2_b64 s[26:27], s[2:3], exec
.LBB1605_548:
	s_or_b64 exec, exec, s[30:31]
	v_cndmask_b32_e64 v6, v40, v41, s[26:27]
	v_cndmask_b32_e64 v7, v27, v26, s[26:27]
	v_add_u32_e32 v8, 1, v6
	v_add_u32_e32 v6, -1, v7
	v_min_u32_e32 v6, v8, v6
	v_lshl_add_u32 v6, v6, 3, v35
	ds_read_b64 v[6:7], v6
	v_cndmask_b32_e64 v44, v8, v40, s[26:27]
	v_cndmask_b32_e64 v45, v41, v8, s[26:27]
	v_cmp_lt_u32_e32 vcc, v44, v27
	s_waitcnt lgkmcnt(0)
	v_cndmask_b32_e64 v36, v7, v12, s[26:27]
	v_cndmask_b32_e64 v37, v6, v24, s[26:27]
	;; [unrolled: 1-line block ×4, first 2 shown]
	s_and_saveexec_b64 s[30:31], vcc
	s_cbranch_execz .LBB1605_559
; %bb.549:
	v_cmp_lt_u32_e32 vcc, v45, v26
	s_mov_b64 s[2:3], 0
	s_and_saveexec_b64 s[28:29], vcc
	s_cbranch_execz .LBB1605_558
; %bb.550:
	s_and_b64 vcc, exec, s[0:1]
	s_cbranch_vccnz .LBB1605_556
; %bb.551:
	v_mul_lo_u32 v8, v36, s36
	v_mul_lo_u32 v9, v37, s37
	v_mad_u64_u32 v[6:7], s[2:3], v37, s36, 0
	v_add3_u32 v7, v7, v9, v8
	v_mul_lo_u32 v40, v38, s36
	v_mul_lo_u32 v41, v39, s37
	v_mad_u64_u32 v[8:9], s[2:3], v39, s36, 0
	v_add3_u32 v9, v9, v41, v40
	v_lshl_add_u64 v[6:7], v[6:7], 3, s[38:39]
	v_lshl_add_u64 v[8:9], v[8:9], 3, s[38:39]
	s_mov_b64 s[40:41], 0
	s_mov_b64 s[46:47], s[36:37]
                                        ; implicit-def: $sgpr42_sgpr43
                                        ; implicit-def: $sgpr44_sgpr45
                                        ; implicit-def: $sgpr2_sgpr3
                                        ; implicit-def: $sgpr48_sgpr49
	s_branch .LBB1605_553
.LBB1605_552:                           ;   in Loop: Header=BB1605_553 Depth=1
	s_or_b64 exec, exec, s[52:53]
	s_and_b64 s[4:5], exec, s[44:45]
	s_or_b64 s[40:41], s[4:5], s[40:41]
	s_andn2_b64 s[4:5], s[48:49], exec
	s_and_b64 s[48:49], s[50:51], exec
	s_or_b64 s[48:49], s[4:5], s[48:49]
	s_andn2_b64 s[4:5], s[42:43], exec
	s_and_b64 s[42:43], s[2:3], exec
	s_or_b64 s[42:43], s[4:5], s[42:43]
	s_andn2_b64 exec, exec, s[40:41]
	s_cbranch_execz .LBB1605_555
.LBB1605_553:                           ; =>This Inner Loop Header: Depth=1
	global_load_dwordx2 v[40:41], v[6:7], off
	global_load_dwordx2 v[42:43], v[8:9], off
	s_andn2_b64 s[52:53], s[2:3], exec
	s_or_b64 s[44:45], s[44:45], exec
	s_waitcnt vmcnt(0)
	v_cmp_le_u64_e64 s[2:3], v[40:41], v[42:43]
	v_cmp_lt_u64_e32 vcc, v[40:41], v[42:43]
	s_and_b64 s[2:3], s[2:3], s[48:49]
	s_or_b64 s[50:51], vcc, s[2:3]
	s_and_b64 s[2:3], s[50:51], exec
	v_cmp_eq_u64_e64 s[4:5], v[40:41], v[42:43]
	s_or_b64 s[2:3], s[52:53], s[2:3]
	s_and_saveexec_b64 s[52:53], s[4:5]
	s_cbranch_execz .LBB1605_552
; %bb.554:                              ;   in Loop: Header=BB1605_553 Depth=1
	s_add_u32 s46, s46, -1
	s_addc_u32 s47, s47, -1
	s_cmp_eq_u64 s[46:47], 0
	s_cselect_b64 s[4:5], -1, 0
	s_andn2_b64 s[44:45], s[44:45], exec
	s_and_b64 s[4:5], s[4:5], exec
	v_lshl_add_u64 v[6:7], v[6:7], 0, 8
	v_lshl_add_u64 v[8:9], v[8:9], 0, 8
	s_andn2_b64 s[2:3], s[2:3], exec
	s_or_b64 s[44:45], s[44:45], s[4:5]
                                        ; implicit-def: $sgpr48_sgpr49
	s_branch .LBB1605_552
.LBB1605_555:
	s_or_b64 exec, exec, s[40:41]
	s_xor_b64 s[2:3], s[42:43], -1
	s_branch .LBB1605_557
.LBB1605_556:
	s_mov_b64 s[2:3], -1
.LBB1605_557:
	s_and_b64 s[2:3], s[2:3], exec
.LBB1605_558:
	s_or_b64 exec, exec, s[28:29]
	s_orn2_b64 s[28:29], s[2:3], exec
.LBB1605_559:
	s_or_b64 exec, exec, s[30:31]
	v_cndmask_b32_e64 v6, v44, v45, s[28:29]
	v_cndmask_b32_e64 v7, v27, v26, s[28:29]
	v_add_u32_e32 v8, 1, v6
	v_add_u32_e32 v6, -1, v7
	v_min_u32_e32 v6, v8, v6
	v_lshl_add_u32 v6, v6, 3, v35
	ds_read_b64 v[6:7], v6
	v_cndmask_b32_e64 v46, v8, v44, s[28:29]
	v_cndmask_b32_e64 v50, v45, v8, s[28:29]
	v_cmp_lt_u32_e32 vcc, v46, v27
	s_mov_b64 s[30:31], -1
	s_waitcnt lgkmcnt(0)
	v_cndmask_b32_e64 v40, v7, v36, s[28:29]
	v_cndmask_b32_e64 v41, v6, v37, s[28:29]
	;; [unrolled: 1-line block ×4, first 2 shown]
	s_mov_b64 s[40:41], -1
	s_and_saveexec_b64 s[42:43], vcc
	s_cbranch_execz .LBB1605_570
; %bb.560:
	v_cmp_lt_u32_e32 vcc, v50, v26
	s_mov_b64 s[2:3], 0
	s_and_saveexec_b64 s[40:41], vcc
	s_cbranch_execz .LBB1605_569
; %bb.561:
	s_and_b64 vcc, exec, s[0:1]
	s_cbranch_vccnz .LBB1605_567
; %bb.562:
	v_mul_lo_u32 v8, v40, s36
	v_mul_lo_u32 v9, v41, s37
	v_mad_u64_u32 v[6:7], s[2:3], v41, s36, 0
	v_add3_u32 v7, v7, v9, v8
	v_mul_lo_u32 v44, v42, s36
	v_mul_lo_u32 v45, v43, s37
	v_mad_u64_u32 v[8:9], s[2:3], v43, s36, 0
	v_add3_u32 v9, v9, v45, v44
	v_lshl_add_u64 v[6:7], v[6:7], 3, s[38:39]
	v_lshl_add_u64 v[8:9], v[8:9], 3, s[38:39]
	s_mov_b64 s[44:45], 0
	s_mov_b64 s[50:51], s[36:37]
                                        ; implicit-def: $sgpr46_sgpr47
                                        ; implicit-def: $sgpr48_sgpr49
                                        ; implicit-def: $sgpr2_sgpr3
                                        ; implicit-def: $sgpr52_sgpr53
	s_branch .LBB1605_564
.LBB1605_563:                           ;   in Loop: Header=BB1605_564 Depth=1
	s_or_b64 exec, exec, s[56:57]
	s_and_b64 s[4:5], exec, s[48:49]
	s_or_b64 s[44:45], s[4:5], s[44:45]
	s_andn2_b64 s[4:5], s[52:53], exec
	s_and_b64 s[52:53], s[54:55], exec
	s_or_b64 s[52:53], s[4:5], s[52:53]
	s_andn2_b64 s[4:5], s[46:47], exec
	s_and_b64 s[46:47], s[2:3], exec
	s_or_b64 s[46:47], s[4:5], s[46:47]
	s_andn2_b64 exec, exec, s[44:45]
	s_cbranch_execz .LBB1605_566
.LBB1605_564:                           ; =>This Inner Loop Header: Depth=1
	global_load_dwordx2 v[44:45], v[6:7], off
	global_load_dwordx2 v[48:49], v[8:9], off
	s_andn2_b64 s[56:57], s[2:3], exec
	s_or_b64 s[48:49], s[48:49], exec
	s_waitcnt vmcnt(0)
	v_cmp_le_u64_e64 s[2:3], v[44:45], v[48:49]
	v_cmp_lt_u64_e32 vcc, v[44:45], v[48:49]
	s_and_b64 s[2:3], s[2:3], s[52:53]
	s_or_b64 s[54:55], vcc, s[2:3]
	s_and_b64 s[2:3], s[54:55], exec
	v_cmp_eq_u64_e64 s[4:5], v[44:45], v[48:49]
	s_or_b64 s[2:3], s[56:57], s[2:3]
	s_and_saveexec_b64 s[56:57], s[4:5]
	s_cbranch_execz .LBB1605_563
; %bb.565:                              ;   in Loop: Header=BB1605_564 Depth=1
	s_add_u32 s50, s50, -1
	s_addc_u32 s51, s51, -1
	s_cmp_eq_u64 s[50:51], 0
	s_cselect_b64 s[4:5], -1, 0
	s_andn2_b64 s[48:49], s[48:49], exec
	s_and_b64 s[4:5], s[4:5], exec
	v_lshl_add_u64 v[6:7], v[6:7], 0, 8
	v_lshl_add_u64 v[8:9], v[8:9], 0, 8
	s_andn2_b64 s[2:3], s[2:3], exec
	s_or_b64 s[48:49], s[48:49], s[4:5]
                                        ; implicit-def: $sgpr52_sgpr53
	s_branch .LBB1605_563
.LBB1605_566:
	s_or_b64 exec, exec, s[44:45]
	s_xor_b64 s[2:3], s[46:47], -1
	s_branch .LBB1605_568
.LBB1605_567:
	s_mov_b64 s[2:3], -1
.LBB1605_568:
	s_and_b64 s[2:3], s[2:3], exec
.LBB1605_569:
	s_or_b64 exec, exec, s[40:41]
	s_orn2_b64 s[40:41], s[2:3], exec
.LBB1605_570:
	s_or_b64 exec, exec, s[42:43]
	v_cndmask_b32_e64 v6, v46, v50, s[40:41]
	v_cndmask_b32_e64 v7, v27, v26, s[40:41]
	v_add_u32_e32 v8, 1, v6
	v_add_u32_e32 v6, -1, v7
	v_min_u32_e32 v6, v8, v6
	v_lshl_add_u32 v6, v6, 3, v35
	ds_read_b64 v[6:7], v6
	v_cndmask_b32_e64 v47, v8, v46, s[40:41]
	v_cndmask_b32_e64 v46, v50, v8, s[40:41]
	v_cmp_lt_u32_e32 vcc, v47, v27
	s_waitcnt lgkmcnt(0)
	v_cndmask_b32_e64 v44, v7, v40, s[40:41]
	v_cndmask_b32_e64 v45, v6, v41, s[40:41]
	;; [unrolled: 1-line block ×4, first 2 shown]
	s_and_saveexec_b64 s[42:43], vcc
	s_cbranch_execz .LBB1605_581
; %bb.571:
	v_cmp_lt_u32_e32 vcc, v46, v26
	s_mov_b64 s[2:3], 0
	s_and_saveexec_b64 s[30:31], vcc
	s_cbranch_execz .LBB1605_580
; %bb.572:
	s_and_b64 vcc, exec, s[0:1]
	s_cbranch_vccnz .LBB1605_578
; %bb.573:
	v_mul_lo_u32 v8, v44, s36
	v_mul_lo_u32 v9, v45, s37
	v_mad_u64_u32 v[6:7], s[2:3], v45, s36, 0
	v_add3_u32 v7, v7, v9, v8
	v_mul_lo_u32 v50, v48, s36
	v_mul_lo_u32 v51, v49, s37
	v_mad_u64_u32 v[8:9], s[2:3], v49, s36, 0
	v_add3_u32 v9, v9, v51, v50
	v_lshl_add_u64 v[6:7], v[6:7], 3, s[38:39]
	v_lshl_add_u64 v[8:9], v[8:9], 3, s[38:39]
	s_mov_b64 s[44:45], 0
	s_mov_b64 s[50:51], s[36:37]
                                        ; implicit-def: $sgpr46_sgpr47
                                        ; implicit-def: $sgpr48_sgpr49
                                        ; implicit-def: $sgpr2_sgpr3
                                        ; implicit-def: $sgpr52_sgpr53
	s_branch .LBB1605_575
.LBB1605_574:                           ;   in Loop: Header=BB1605_575 Depth=1
	s_or_b64 exec, exec, s[56:57]
	s_and_b64 s[4:5], exec, s[48:49]
	s_or_b64 s[44:45], s[4:5], s[44:45]
	s_andn2_b64 s[4:5], s[52:53], exec
	s_and_b64 s[52:53], s[54:55], exec
	s_or_b64 s[52:53], s[4:5], s[52:53]
	s_andn2_b64 s[4:5], s[46:47], exec
	s_and_b64 s[46:47], s[2:3], exec
	s_or_b64 s[46:47], s[4:5], s[46:47]
	s_andn2_b64 exec, exec, s[44:45]
	s_cbranch_execz .LBB1605_577
.LBB1605_575:                           ; =>This Inner Loop Header: Depth=1
	global_load_dwordx2 v[50:51], v[6:7], off
	global_load_dwordx2 v[52:53], v[8:9], off
	s_andn2_b64 s[56:57], s[2:3], exec
	s_or_b64 s[48:49], s[48:49], exec
	s_waitcnt vmcnt(0)
	v_cmp_le_u64_e64 s[2:3], v[50:51], v[52:53]
	v_cmp_lt_u64_e32 vcc, v[50:51], v[52:53]
	s_and_b64 s[2:3], s[2:3], s[52:53]
	s_or_b64 s[54:55], vcc, s[2:3]
	s_and_b64 s[2:3], s[54:55], exec
	v_cmp_eq_u64_e64 s[4:5], v[50:51], v[52:53]
	s_or_b64 s[2:3], s[56:57], s[2:3]
	s_and_saveexec_b64 s[56:57], s[4:5]
	s_cbranch_execz .LBB1605_574
; %bb.576:                              ;   in Loop: Header=BB1605_575 Depth=1
	s_add_u32 s50, s50, -1
	s_addc_u32 s51, s51, -1
	s_cmp_eq_u64 s[50:51], 0
	s_cselect_b64 s[4:5], -1, 0
	s_andn2_b64 s[48:49], s[48:49], exec
	s_and_b64 s[4:5], s[4:5], exec
	v_lshl_add_u64 v[6:7], v[6:7], 0, 8
	v_lshl_add_u64 v[8:9], v[8:9], 0, 8
	s_andn2_b64 s[2:3], s[2:3], exec
	s_or_b64 s[48:49], s[48:49], s[4:5]
                                        ; implicit-def: $sgpr52_sgpr53
	s_branch .LBB1605_574
.LBB1605_577:
	s_or_b64 exec, exec, s[44:45]
	s_xor_b64 s[2:3], s[46:47], -1
	s_branch .LBB1605_579
.LBB1605_578:
	s_mov_b64 s[2:3], -1
.LBB1605_579:
	s_and_b64 s[2:3], s[2:3], exec
.LBB1605_580:
	s_or_b64 exec, exec, s[30:31]
	s_orn2_b64 s[30:31], s[2:3], exec
.LBB1605_581:
	s_or_b64 exec, exec, s[42:43]
	v_cndmask_b32_e64 v11, v10, v11, s[24:25]
	v_cndmask_b32_e64 v10, v17, v23, s[24:25]
	;; [unrolled: 1-line block ×8, first 2 shown]
	v_add_u32_e32 v24, 1, v14
	v_add_u32_e32 v14, -1, v15
	v_min_u32_e32 v14, v24, v14
	v_lshl_add_u32 v14, v14, 3, v35
	ds_read_b64 v[22:23], v14
	v_cndmask_b32_e64 v25, v24, v47, s[30:31]
	v_cndmask_b32_e64 v9, v40, v42, s[40:41]
	;; [unrolled: 1-line block ×9, first 2 shown]
	s_waitcnt lgkmcnt(0)
	v_cndmask_b32_e64 v5, v48, v23, s[30:31]
	v_cndmask_b32_e64 v4, v49, v22, s[30:31]
	v_cmp_lt_u32_e32 vcc, v25, v27
	s_and_saveexec_b64 s[12:13], vcc
	s_cbranch_execz .LBB1605_591
; %bb.582:
	v_cndmask_b32_e64 v24, v46, v24, s[30:31]
	v_cndmask_b32_e64 v23, v23, v44, s[30:31]
	;; [unrolled: 1-line block ×3, first 2 shown]
	v_cmp_lt_u32_e32 vcc, v24, v26
	s_and_saveexec_b64 s[22:23], vcc
	s_cbranch_execz .LBB1605_590
; %bb.583:
	s_and_b64 vcc, exec, s[0:1]
	s_cbranch_vccnz .LBB1605_589
; %bb.584:
	v_mul_lo_u32 v26, v23, s36
	v_mul_lo_u32 v27, v22, s37
	v_mad_u64_u32 v[24:25], s[2:3], v22, s36, 0
	v_add3_u32 v25, v25, v27, v26
	v_mul_lo_u32 v35, v5, s36
	v_mul_lo_u32 v36, v4, s37
	v_mad_u64_u32 v[26:27], s[2:3], v4, s36, 0
	v_add3_u32 v27, v27, v36, v35
	v_lshl_add_u64 v[24:25], v[24:25], 3, s[38:39]
	v_lshl_add_u64 v[26:27], v[26:27], 3, s[38:39]
	s_mov_b64 s[24:25], 0
	s_mov_b64 s[30:31], s[36:37]
                                        ; implicit-def: $sgpr26_sgpr27
                                        ; implicit-def: $sgpr28_sgpr29
                                        ; implicit-def: $sgpr2_sgpr3
                                        ; implicit-def: $sgpr40_sgpr41
	s_branch .LBB1605_586
.LBB1605_585:                           ;   in Loop: Header=BB1605_586 Depth=1
	s_or_b64 exec, exec, s[44:45]
	s_and_b64 s[4:5], exec, s[28:29]
	s_or_b64 s[24:25], s[4:5], s[24:25]
	s_andn2_b64 s[4:5], s[40:41], exec
	s_and_b64 s[40:41], s[42:43], exec
	s_or_b64 s[40:41], s[4:5], s[40:41]
	s_andn2_b64 s[4:5], s[26:27], exec
	s_and_b64 s[26:27], s[2:3], exec
	s_or_b64 s[26:27], s[4:5], s[26:27]
	s_andn2_b64 exec, exec, s[24:25]
	s_cbranch_execz .LBB1605_588
.LBB1605_586:                           ; =>This Inner Loop Header: Depth=1
	global_load_dwordx2 v[36:37], v[24:25], off
	global_load_dwordx2 v[38:39], v[26:27], off
	s_andn2_b64 s[44:45], s[2:3], exec
	s_or_b64 s[28:29], s[28:29], exec
	s_waitcnt vmcnt(0)
	v_cmp_le_u64_e64 s[2:3], v[36:37], v[38:39]
	v_cmp_lt_u64_e32 vcc, v[36:37], v[38:39]
	s_and_b64 s[2:3], s[2:3], s[40:41]
	s_or_b64 s[42:43], vcc, s[2:3]
	s_and_b64 s[2:3], s[42:43], exec
	v_cmp_eq_u64_e64 s[4:5], v[36:37], v[38:39]
	s_or_b64 s[2:3], s[44:45], s[2:3]
	s_and_saveexec_b64 s[44:45], s[4:5]
	s_cbranch_execz .LBB1605_585
; %bb.587:                              ;   in Loop: Header=BB1605_586 Depth=1
	s_add_u32 s30, s30, -1
	s_addc_u32 s31, s31, -1
	s_cmp_eq_u64 s[30:31], 0
	s_cselect_b64 s[4:5], -1, 0
	s_andn2_b64 s[28:29], s[28:29], exec
	s_and_b64 s[4:5], s[4:5], exec
	v_lshl_add_u64 v[24:25], v[24:25], 0, 8
	v_lshl_add_u64 v[26:27], v[26:27], 0, 8
	s_andn2_b64 s[2:3], s[2:3], exec
	s_or_b64 s[28:29], s[28:29], s[4:5]
                                        ; implicit-def: $sgpr40_sgpr41
	s_branch .LBB1605_585
.LBB1605_588:
	s_or_b64 exec, exec, s[24:25]
	v_cndmask_b32_e64 v5, v5, v23, s[26:27]
	v_cndmask_b32_e64 v4, v4, v22, s[26:27]
.LBB1605_589:
	v_mov_b64_e32 v[22:23], v[4:5]
.LBB1605_590:
	s_or_b64 exec, exec, s[22:23]
	v_mov_b64_e32 v[4:5], v[22:23]
.LBB1605_591:
	s_or_b64 exec, exec, s[12:13]
.LBB1605_592:
	s_or_b64 exec, exec, s[10:11]
	v_lshlrev_b32_e32 v26, 3, v20
	s_lshl_b64 s[10:11], s[36:37], 3
	s_movk_i32 s9, 0x80
	; wave barrier
	s_waitcnt lgkmcnt(0)
	s_barrier
.LBB1605_593:                           ; =>This Loop Header: Depth=1
                                        ;     Child Loop BB1605_597 Depth 2
                                        ;       Child Loop BB1605_600 Depth 3
                                        ;     Child Loop BB1605_612 Depth 2
                                        ;     Child Loop BB1605_622 Depth 2
	;; [unrolled: 1-line block ×8, first 2 shown]
	s_lshl_b32 s15, s9, 1
	s_sub_i32 s3, 0, s15
	v_and_b32_e32 v38, s3, v20
	v_add_u32_e32 v22, s9, v38
	v_min_u32_e32 v27, 0x800, v22
	s_add_i32 s2, s15, -1
	v_add_u32_e32 v22, s9, v27
	v_min_u32_e32 v35, 0x800, v22
	v_and_b32_e32 v22, s2, v20
	v_min_u32_e32 v39, 0x800, v22
	v_sub_u32_e32 v22, v27, v38
	v_sub_u32_e32 v23, v35, v27
	v_sub_u32_e64 v37, v39, v23 clamp
	v_min_u32_e32 v40, v39, v22
	v_lshlrev_b32_e32 v36, 3, v38
	v_cmp_lt_u32_e32 vcc, v37, v40
	ds_write_b128 v26, v[14:17]
	ds_write_b128 v26, v[10:13] offset:16
	ds_write_b128 v26, v[6:9] offset:32
	;; [unrolled: 1-line block ×3, first 2 shown]
	s_waitcnt lgkmcnt(0)
	s_barrier
	s_and_saveexec_b64 s[12:13], vcc
	s_cbranch_execz .LBB1605_603
; %bb.594:                              ;   in Loop: Header=BB1605_593 Depth=1
	v_lshlrev_b32_e32 v22, 3, v39
	v_lshl_add_u32 v41, v27, 3, v22
	s_mov_b64 s[22:23], 0
	s_branch .LBB1605_597
.LBB1605_595:                           ;   in Loop: Header=BB1605_597 Depth=2
	s_or_b64 exec, exec, s[26:27]
.LBB1605_596:                           ;   in Loop: Header=BB1605_597 Depth=2
	v_add_u32_e32 v22, 1, v42
	v_cndmask_b32_e64 v40, v40, v42, s[24:25]
	v_cndmask_b32_e64 v37, v22, v37, s[24:25]
	v_cmp_ge_u32_e32 vcc, v37, v40
	s_or_b64 s[22:23], vcc, s[22:23]
	s_andn2_b64 exec, exec, s[22:23]
	s_cbranch_execz .LBB1605_602
.LBB1605_597:                           ;   Parent Loop BB1605_593 Depth=1
                                        ; =>  This Loop Header: Depth=2
                                        ;       Child Loop BB1605_600 Depth 3
	v_add_u32_e32 v22, v40, v37
	v_lshrrev_b32_e32 v42, 1, v22
	s_and_b64 vcc, exec, s[0:1]
	s_mov_b64 s[24:25], 0
	s_cbranch_vccnz .LBB1605_596
; %bb.598:                              ;   in Loop: Header=BB1605_597 Depth=2
	v_not_b32_e32 v22, v42
	v_lshl_add_u32 v22, v22, 3, v41
	ds_read_b64 v[22:23], v22
	v_lshl_add_u32 v43, v42, 3, v36
	ds_read_b64 v[44:45], v43
	v_mov_b64_e32 v[24:25], s[38:39]
	s_mov_b64 s[26:27], 0
	s_waitcnt lgkmcnt(1)
	v_mul_lo_u32 v43, s10, v23
	v_mul_lo_u32 v46, s11, v22
	v_mad_u64_u32 v[22:23], s[2:3], s10, v22, v[24:25]
	v_add3_u32 v23, v46, v23, v43
	s_waitcnt lgkmcnt(0)
	v_mul_lo_u32 v43, s10, v45
	v_mul_lo_u32 v45, s11, v44
	v_mad_u64_u32 v[24:25], s[2:3], s10, v44, v[24:25]
	v_add3_u32 v25, v45, v25, v43
	s_mov_b64 s[30:31], s[36:37]
                                        ; implicit-def: $sgpr24_sgpr25
                                        ; implicit-def: $sgpr28_sgpr29
                                        ; implicit-def: $sgpr2_sgpr3
                                        ; implicit-def: $sgpr40_sgpr41
	s_branch .LBB1605_600
.LBB1605_599:                           ;   in Loop: Header=BB1605_600 Depth=3
	s_or_b64 exec, exec, s[44:45]
	s_and_b64 s[4:5], exec, s[28:29]
	s_or_b64 s[26:27], s[4:5], s[26:27]
	s_andn2_b64 s[4:5], s[40:41], exec
	s_and_b64 s[40:41], s[42:43], exec
	s_or_b64 s[40:41], s[4:5], s[40:41]
	s_andn2_b64 s[4:5], s[24:25], exec
	s_and_b64 s[24:25], s[2:3], exec
	s_or_b64 s[24:25], s[4:5], s[24:25]
	s_andn2_b64 exec, exec, s[26:27]
	s_cbranch_execz .LBB1605_595
.LBB1605_600:                           ;   Parent Loop BB1605_593 Depth=1
                                        ;     Parent Loop BB1605_597 Depth=2
                                        ; =>    This Inner Loop Header: Depth=3
	global_load_dwordx2 v[44:45], v[22:23], off
	global_load_dwordx2 v[46:47], v[24:25], off
	s_andn2_b64 s[44:45], s[2:3], exec
	s_or_b64 s[28:29], s[28:29], exec
	s_waitcnt vmcnt(0)
	v_cmp_le_u64_e64 s[2:3], v[44:45], v[46:47]
	v_cmp_lt_u64_e32 vcc, v[44:45], v[46:47]
	s_and_b64 s[2:3], s[2:3], s[40:41]
	s_or_b64 s[42:43], vcc, s[2:3]
	s_and_b64 s[2:3], s[42:43], exec
	v_cmp_eq_u64_e64 s[4:5], v[44:45], v[46:47]
	s_or_b64 s[2:3], s[44:45], s[2:3]
	s_and_saveexec_b64 s[44:45], s[4:5]
	s_cbranch_execz .LBB1605_599
; %bb.601:                              ;   in Loop: Header=BB1605_600 Depth=3
	s_add_u32 s30, s30, -1
	s_addc_u32 s31, s31, -1
	s_cmp_eq_u64 s[30:31], 0
	s_cselect_b64 s[4:5], -1, 0
	s_andn2_b64 s[28:29], s[28:29], exec
	s_and_b64 s[4:5], s[4:5], exec
	v_lshl_add_u64 v[22:23], v[22:23], 0, 8
	v_lshl_add_u64 v[24:25], v[24:25], 0, 8
	s_andn2_b64 s[2:3], s[2:3], exec
	s_or_b64 s[28:29], s[28:29], s[4:5]
                                        ; implicit-def: $sgpr40_sgpr41
	s_branch .LBB1605_599
.LBB1605_602:                           ;   in Loop: Header=BB1605_593 Depth=1
	s_or_b64 exec, exec, s[22:23]
.LBB1605_603:                           ;   in Loop: Header=BB1605_593 Depth=1
	s_or_b64 exec, exec, s[12:13]
	v_sub_u32_e32 v22, v39, v37
	v_add_u32_e32 v24, v37, v38
	v_add_u32_e32 v25, v22, v27
	v_cmp_le_u32_e32 vcc, v24, v27
	v_cmp_le_u32_e64 s[2:3], v25, v35
	s_or_b64 s[2:3], vcc, s[2:3]
	s_and_saveexec_b64 s[12:13], s[2:3]
	s_cbranch_execz .LBB1605_694
; %bb.604:                              ;   in Loop: Header=BB1605_593 Depth=1
	v_cmp_ge_u32_e32 vcc, v24, v27
	v_cmp_lt_u32_e64 s[2:3], v24, v27
                                        ; implicit-def: $vgpr2_vgpr3
	s_and_saveexec_b64 s[4:5], s[2:3]
; %bb.605:                              ;   in Loop: Header=BB1605_593 Depth=1
	v_lshl_add_u32 v2, v37, 3, v36
	ds_read_b64 v[2:3], v2
; %bb.606:                              ;   in Loop: Header=BB1605_593 Depth=1
	s_or_b64 exec, exec, s[4:5]
	v_cmp_ge_u32_e64 s[22:23], v25, v35
	v_cmp_lt_u32_e64 s[2:3], v25, v35
                                        ; implicit-def: $vgpr14_vgpr15
	s_and_saveexec_b64 s[4:5], s[2:3]
; %bb.607:                              ;   in Loop: Header=BB1605_593 Depth=1
	v_lshlrev_b32_e32 v4, 3, v25
	ds_read_b64 v[14:15], v4
; %bb.608:                              ;   in Loop: Header=BB1605_593 Depth=1
	s_or_b64 exec, exec, s[4:5]
	s_nor_b64 s[2:3], vcc, s[22:23]
	s_and_saveexec_b64 s[24:25], s[2:3]
	s_cbranch_execz .LBB1605_617
; %bb.609:                              ;   in Loop: Header=BB1605_593 Depth=1
	s_and_b64 vcc, exec, s[0:1]
	s_cbranch_vccnz .LBB1605_615
; %bb.610:                              ;   in Loop: Header=BB1605_593 Depth=1
	v_mov_b64_e32 v[6:7], s[38:39]
	s_waitcnt lgkmcnt(0)
	v_mad_u64_u32 v[4:5], s[2:3], s10, v14, v[6:7]
	v_mul_lo_u32 v8, s10, v15
	v_mul_lo_u32 v9, s11, v14
	v_add3_u32 v5, v9, v5, v8
	v_mad_u64_u32 v[6:7], s[2:3], s10, v2, v[6:7]
	v_mul_lo_u32 v8, s10, v3
	v_mul_lo_u32 v9, s11, v2
	v_add3_u32 v7, v9, v7, v8
	s_mov_b64 s[26:27], 0
	s_mov_b64 s[40:41], s[36:37]
                                        ; implicit-def: $sgpr28_sgpr29
                                        ; implicit-def: $sgpr30_sgpr31
                                        ; implicit-def: $sgpr2_sgpr3
                                        ; implicit-def: $sgpr42_sgpr43
	s_branch .LBB1605_612
.LBB1605_611:                           ;   in Loop: Header=BB1605_612 Depth=2
	s_or_b64 exec, exec, s[46:47]
	s_and_b64 s[4:5], exec, s[30:31]
	s_or_b64 s[26:27], s[4:5], s[26:27]
	s_andn2_b64 s[4:5], s[42:43], exec
	s_and_b64 s[42:43], s[44:45], exec
	s_or_b64 s[42:43], s[4:5], s[42:43]
	s_andn2_b64 s[4:5], s[28:29], exec
	s_and_b64 s[28:29], s[2:3], exec
	s_or_b64 s[28:29], s[4:5], s[28:29]
	s_andn2_b64 exec, exec, s[26:27]
	s_cbranch_execz .LBB1605_614
.LBB1605_612:                           ;   Parent Loop BB1605_593 Depth=1
                                        ; =>  This Inner Loop Header: Depth=2
	global_load_dwordx2 v[8:9], v[4:5], off
	global_load_dwordx2 v[10:11], v[6:7], off
	s_andn2_b64 s[46:47], s[2:3], exec
	s_or_b64 s[30:31], s[30:31], exec
	s_waitcnt vmcnt(0)
	v_cmp_le_u64_e64 s[2:3], v[8:9], v[10:11]
	v_cmp_lt_u64_e32 vcc, v[8:9], v[10:11]
	s_and_b64 s[2:3], s[2:3], s[42:43]
	s_or_b64 s[44:45], vcc, s[2:3]
	s_and_b64 s[2:3], s[44:45], exec
	v_cmp_eq_u64_e64 s[4:5], v[8:9], v[10:11]
	s_or_b64 s[2:3], s[46:47], s[2:3]
	s_and_saveexec_b64 s[46:47], s[4:5]
	s_cbranch_execz .LBB1605_611
; %bb.613:                              ;   in Loop: Header=BB1605_612 Depth=2
	s_add_u32 s40, s40, -1
	s_addc_u32 s41, s41, -1
	s_cmp_eq_u64 s[40:41], 0
	s_cselect_b64 s[4:5], -1, 0
	s_andn2_b64 s[30:31], s[30:31], exec
	s_and_b64 s[4:5], s[4:5], exec
	v_lshl_add_u64 v[4:5], v[4:5], 0, 8
	v_lshl_add_u64 v[6:7], v[6:7], 0, 8
	s_andn2_b64 s[2:3], s[2:3], exec
	s_or_b64 s[30:31], s[30:31], s[4:5]
                                        ; implicit-def: $sgpr42_sgpr43
	s_branch .LBB1605_611
.LBB1605_614:                           ;   in Loop: Header=BB1605_593 Depth=1
	s_or_b64 exec, exec, s[26:27]
	s_xor_b64 s[2:3], s[28:29], -1
	s_branch .LBB1605_616
.LBB1605_615:                           ;   in Loop: Header=BB1605_593 Depth=1
	s_mov_b64 s[2:3], -1
.LBB1605_616:                           ;   in Loop: Header=BB1605_593 Depth=1
	s_andn2_b64 s[4:5], s[22:23], exec
	s_and_b64 s[2:3], s[2:3], exec
	s_or_b64 s[22:23], s[4:5], s[2:3]
.LBB1605_617:                           ;   in Loop: Header=BB1605_593 Depth=1
	s_or_b64 exec, exec, s[24:25]
	v_cndmask_b32_e64 v4, v25, v24, s[22:23]
	v_cndmask_b32_e64 v5, v35, v27, s[22:23]
	v_add_u32_e32 v6, 1, v4
	v_add_u32_e32 v4, -1, v5
	v_min_u32_e32 v4, v6, v4
	v_lshlrev_b32_e32 v4, 3, v4
	ds_read_b64 v[4:5], v4
	v_cndmask_b32_e64 v8, v6, v25, s[22:23]
	v_cndmask_b32_e64 v9, v24, v6, s[22:23]
	v_cmp_lt_u32_e32 vcc, v8, v35
	s_mov_b64 s[26:27], -1
	s_waitcnt lgkmcnt(0)
	v_cndmask_b32_e64 v16, v5, v15, s[22:23]
	v_cndmask_b32_e64 v22, v4, v14, s[22:23]
	v_cndmask_b32_e64 v17, v3, v5, s[22:23]
	v_cndmask_b32_e64 v23, v2, v4, s[22:23]
	s_mov_b64 s[24:25], -1
	s_and_saveexec_b64 s[28:29], vcc
	s_cbranch_execz .LBB1605_628
; %bb.618:                              ;   in Loop: Header=BB1605_593 Depth=1
	v_cmp_lt_u32_e32 vcc, v9, v27
	s_mov_b64 s[2:3], 0
	s_and_saveexec_b64 s[24:25], vcc
	s_cbranch_execz .LBB1605_627
; %bb.619:                              ;   in Loop: Header=BB1605_593 Depth=1
	s_and_b64 vcc, exec, s[0:1]
	s_cbranch_vccnz .LBB1605_625
; %bb.620:                              ;   in Loop: Header=BB1605_593 Depth=1
	v_mov_b64_e32 v[6:7], s[38:39]
	v_mad_u64_u32 v[4:5], s[2:3], s10, v22, v[6:7]
	v_mul_lo_u32 v10, s10, v16
	v_mul_lo_u32 v11, s11, v22
	v_add3_u32 v5, v11, v5, v10
	v_mad_u64_u32 v[6:7], s[2:3], s10, v23, v[6:7]
	v_mul_lo_u32 v10, s10, v17
	v_mul_lo_u32 v11, s11, v23
	v_add3_u32 v7, v11, v7, v10
	s_mov_b64 s[30:31], 0
	s_mov_b64 s[44:45], s[36:37]
                                        ; implicit-def: $sgpr40_sgpr41
                                        ; implicit-def: $sgpr42_sgpr43
                                        ; implicit-def: $sgpr2_sgpr3
                                        ; implicit-def: $sgpr46_sgpr47
	s_branch .LBB1605_622
.LBB1605_621:                           ;   in Loop: Header=BB1605_622 Depth=2
	s_or_b64 exec, exec, s[50:51]
	s_and_b64 s[4:5], exec, s[42:43]
	s_or_b64 s[30:31], s[4:5], s[30:31]
	s_andn2_b64 s[4:5], s[46:47], exec
	s_and_b64 s[46:47], s[48:49], exec
	s_or_b64 s[46:47], s[4:5], s[46:47]
	s_andn2_b64 s[4:5], s[40:41], exec
	s_and_b64 s[40:41], s[2:3], exec
	s_or_b64 s[40:41], s[4:5], s[40:41]
	s_andn2_b64 exec, exec, s[30:31]
	s_cbranch_execz .LBB1605_624
.LBB1605_622:                           ;   Parent Loop BB1605_593 Depth=1
                                        ; =>  This Inner Loop Header: Depth=2
	global_load_dwordx2 v[10:11], v[4:5], off
	global_load_dwordx2 v[12:13], v[6:7], off
	s_andn2_b64 s[50:51], s[2:3], exec
	s_or_b64 s[42:43], s[42:43], exec
	s_waitcnt vmcnt(0)
	v_cmp_le_u64_e64 s[2:3], v[10:11], v[12:13]
	v_cmp_lt_u64_e32 vcc, v[10:11], v[12:13]
	s_and_b64 s[2:3], s[2:3], s[46:47]
	s_or_b64 s[48:49], vcc, s[2:3]
	s_and_b64 s[2:3], s[48:49], exec
	v_cmp_eq_u64_e64 s[4:5], v[10:11], v[12:13]
	s_or_b64 s[2:3], s[50:51], s[2:3]
	s_and_saveexec_b64 s[50:51], s[4:5]
	s_cbranch_execz .LBB1605_621
; %bb.623:                              ;   in Loop: Header=BB1605_622 Depth=2
	s_add_u32 s44, s44, -1
	s_addc_u32 s45, s45, -1
	s_cmp_eq_u64 s[44:45], 0
	s_cselect_b64 s[4:5], -1, 0
	s_andn2_b64 s[42:43], s[42:43], exec
	s_and_b64 s[4:5], s[4:5], exec
	v_lshl_add_u64 v[4:5], v[4:5], 0, 8
	v_lshl_add_u64 v[6:7], v[6:7], 0, 8
	s_andn2_b64 s[2:3], s[2:3], exec
	s_or_b64 s[42:43], s[42:43], s[4:5]
                                        ; implicit-def: $sgpr46_sgpr47
	s_branch .LBB1605_621
.LBB1605_624:                           ;   in Loop: Header=BB1605_593 Depth=1
	s_or_b64 exec, exec, s[30:31]
	s_xor_b64 s[2:3], s[40:41], -1
	s_branch .LBB1605_626
.LBB1605_625:                           ;   in Loop: Header=BB1605_593 Depth=1
	s_mov_b64 s[2:3], -1
.LBB1605_626:                           ;   in Loop: Header=BB1605_593 Depth=1
	s_and_b64 s[2:3], s[2:3], exec
.LBB1605_627:                           ;   in Loop: Header=BB1605_593 Depth=1
	s_or_b64 exec, exec, s[24:25]
	s_orn2_b64 s[24:25], s[2:3], exec
.LBB1605_628:                           ;   in Loop: Header=BB1605_593 Depth=1
	s_or_b64 exec, exec, s[28:29]
	v_cndmask_b32_e64 v4, v8, v9, s[24:25]
	v_cndmask_b32_e64 v5, v35, v27, s[24:25]
	v_add_u32_e32 v6, 1, v4
	v_add_u32_e32 v4, -1, v5
	v_min_u32_e32 v4, v6, v4
	v_lshlrev_b32_e32 v4, 3, v4
	ds_read_b64 v[4:5], v4
	v_cndmask_b32_e64 v8, v6, v8, s[24:25]
	v_cndmask_b32_e64 v9, v9, v6, s[24:25]
	v_cmp_lt_u32_e32 vcc, v8, v35
	s_waitcnt lgkmcnt(0)
	v_cndmask_b32_e64 v24, v5, v16, s[24:25]
	v_cndmask_b32_e64 v25, v4, v22, s[24:25]
	;; [unrolled: 1-line block ×4, first 2 shown]
	s_and_saveexec_b64 s[28:29], vcc
	s_cbranch_execz .LBB1605_639
; %bb.629:                              ;   in Loop: Header=BB1605_593 Depth=1
	v_cmp_lt_u32_e32 vcc, v9, v27
	s_mov_b64 s[2:3], 0
	s_and_saveexec_b64 s[26:27], vcc
	s_cbranch_execz .LBB1605_638
; %bb.630:                              ;   in Loop: Header=BB1605_593 Depth=1
	s_and_b64 vcc, exec, s[0:1]
	s_cbranch_vccnz .LBB1605_636
; %bb.631:                              ;   in Loop: Header=BB1605_593 Depth=1
	v_mov_b64_e32 v[6:7], s[38:39]
	v_mad_u64_u32 v[4:5], s[2:3], s10, v25, v[6:7]
	v_mul_lo_u32 v10, s10, v24
	v_mul_lo_u32 v11, s11, v25
	v_add3_u32 v5, v11, v5, v10
	v_mad_u64_u32 v[6:7], s[2:3], s10, v37, v[6:7]
	v_mul_lo_u32 v10, s10, v36
	v_mul_lo_u32 v11, s11, v37
	v_add3_u32 v7, v11, v7, v10
	s_mov_b64 s[30:31], 0
	s_mov_b64 s[44:45], s[36:37]
                                        ; implicit-def: $sgpr40_sgpr41
                                        ; implicit-def: $sgpr42_sgpr43
                                        ; implicit-def: $sgpr2_sgpr3
                                        ; implicit-def: $sgpr46_sgpr47
	s_branch .LBB1605_633
.LBB1605_632:                           ;   in Loop: Header=BB1605_633 Depth=2
	s_or_b64 exec, exec, s[50:51]
	s_and_b64 s[4:5], exec, s[42:43]
	s_or_b64 s[30:31], s[4:5], s[30:31]
	s_andn2_b64 s[4:5], s[46:47], exec
	s_and_b64 s[46:47], s[48:49], exec
	s_or_b64 s[46:47], s[4:5], s[46:47]
	s_andn2_b64 s[4:5], s[40:41], exec
	s_and_b64 s[40:41], s[2:3], exec
	s_or_b64 s[40:41], s[4:5], s[40:41]
	s_andn2_b64 exec, exec, s[30:31]
	s_cbranch_execz .LBB1605_635
.LBB1605_633:                           ;   Parent Loop BB1605_593 Depth=1
                                        ; =>  This Inner Loop Header: Depth=2
	global_load_dwordx2 v[10:11], v[4:5], off
	global_load_dwordx2 v[12:13], v[6:7], off
	s_andn2_b64 s[50:51], s[2:3], exec
	s_or_b64 s[42:43], s[42:43], exec
	s_waitcnt vmcnt(0)
	v_cmp_le_u64_e64 s[2:3], v[10:11], v[12:13]
	v_cmp_lt_u64_e32 vcc, v[10:11], v[12:13]
	s_and_b64 s[2:3], s[2:3], s[46:47]
	s_or_b64 s[48:49], vcc, s[2:3]
	s_and_b64 s[2:3], s[48:49], exec
	v_cmp_eq_u64_e64 s[4:5], v[10:11], v[12:13]
	s_or_b64 s[2:3], s[50:51], s[2:3]
	s_and_saveexec_b64 s[50:51], s[4:5]
	s_cbranch_execz .LBB1605_632
; %bb.634:                              ;   in Loop: Header=BB1605_633 Depth=2
	s_add_u32 s44, s44, -1
	s_addc_u32 s45, s45, -1
	s_cmp_eq_u64 s[44:45], 0
	s_cselect_b64 s[4:5], -1, 0
	s_andn2_b64 s[42:43], s[42:43], exec
	s_and_b64 s[4:5], s[4:5], exec
	v_lshl_add_u64 v[4:5], v[4:5], 0, 8
	v_lshl_add_u64 v[6:7], v[6:7], 0, 8
	s_andn2_b64 s[2:3], s[2:3], exec
	s_or_b64 s[42:43], s[42:43], s[4:5]
                                        ; implicit-def: $sgpr46_sgpr47
	s_branch .LBB1605_632
.LBB1605_635:                           ;   in Loop: Header=BB1605_593 Depth=1
	s_or_b64 exec, exec, s[30:31]
	s_xor_b64 s[2:3], s[40:41], -1
	s_branch .LBB1605_637
.LBB1605_636:                           ;   in Loop: Header=BB1605_593 Depth=1
	s_mov_b64 s[2:3], -1
.LBB1605_637:                           ;   in Loop: Header=BB1605_593 Depth=1
	s_and_b64 s[2:3], s[2:3], exec
.LBB1605_638:                           ;   in Loop: Header=BB1605_593 Depth=1
	s_or_b64 exec, exec, s[26:27]
	s_orn2_b64 s[26:27], s[2:3], exec
.LBB1605_639:                           ;   in Loop: Header=BB1605_593 Depth=1
	s_or_b64 exec, exec, s[28:29]
	v_cndmask_b32_e64 v4, v8, v9, s[26:27]
	v_cndmask_b32_e64 v5, v35, v27, s[26:27]
	v_add_u32_e32 v6, 1, v4
	v_add_u32_e32 v4, -1, v5
	v_min_u32_e32 v4, v6, v4
	v_lshlrev_b32_e32 v4, 3, v4
	ds_read_b64 v[4:5], v4
	v_cndmask_b32_e64 v8, v6, v8, s[26:27]
	v_cndmask_b32_e64 v9, v9, v6, s[26:27]
	v_cmp_lt_u32_e32 vcc, v8, v35
	s_mov_b64 s[30:31], -1
	s_waitcnt lgkmcnt(0)
	v_cndmask_b32_e64 v12, v5, v24, s[26:27]
	v_cndmask_b32_e64 v38, v4, v25, s[26:27]
	;; [unrolled: 1-line block ×4, first 2 shown]
	s_mov_b64 s[28:29], -1
	s_and_saveexec_b64 s[40:41], vcc
	s_cbranch_execz .LBB1605_650
; %bb.640:                              ;   in Loop: Header=BB1605_593 Depth=1
	v_cmp_lt_u32_e32 vcc, v9, v27
	s_mov_b64 s[2:3], 0
	s_and_saveexec_b64 s[28:29], vcc
	s_cbranch_execz .LBB1605_649
; %bb.641:                              ;   in Loop: Header=BB1605_593 Depth=1
	s_and_b64 vcc, exec, s[0:1]
	s_cbranch_vccnz .LBB1605_647
; %bb.642:                              ;   in Loop: Header=BB1605_593 Depth=1
	v_mov_b64_e32 v[6:7], s[38:39]
	v_mad_u64_u32 v[4:5], s[2:3], s10, v38, v[6:7]
	v_mul_lo_u32 v10, s10, v12
	v_mul_lo_u32 v11, s11, v38
	v_add3_u32 v5, v11, v5, v10
	v_mad_u64_u32 v[6:7], s[2:3], s10, v39, v[6:7]
	v_mul_lo_u32 v10, s10, v13
	v_mul_lo_u32 v11, s11, v39
	v_add3_u32 v7, v11, v7, v10
	s_mov_b64 s[42:43], 0
	s_mov_b64 s[48:49], s[36:37]
                                        ; implicit-def: $sgpr44_sgpr45
                                        ; implicit-def: $sgpr46_sgpr47
                                        ; implicit-def: $sgpr2_sgpr3
                                        ; implicit-def: $sgpr50_sgpr51
	s_branch .LBB1605_644
.LBB1605_643:                           ;   in Loop: Header=BB1605_644 Depth=2
	s_or_b64 exec, exec, s[54:55]
	s_and_b64 s[4:5], exec, s[46:47]
	s_or_b64 s[42:43], s[4:5], s[42:43]
	s_andn2_b64 s[4:5], s[50:51], exec
	s_and_b64 s[50:51], s[52:53], exec
	s_or_b64 s[50:51], s[4:5], s[50:51]
	s_andn2_b64 s[4:5], s[44:45], exec
	s_and_b64 s[44:45], s[2:3], exec
	s_or_b64 s[44:45], s[4:5], s[44:45]
	s_andn2_b64 exec, exec, s[42:43]
	s_cbranch_execz .LBB1605_646
.LBB1605_644:                           ;   Parent Loop BB1605_593 Depth=1
                                        ; =>  This Inner Loop Header: Depth=2
	global_load_dwordx2 v[10:11], v[4:5], off
	global_load_dwordx2 v[40:41], v[6:7], off
	s_andn2_b64 s[54:55], s[2:3], exec
	s_or_b64 s[46:47], s[46:47], exec
	s_waitcnt vmcnt(0)
	v_cmp_le_u64_e64 s[2:3], v[10:11], v[40:41]
	v_cmp_lt_u64_e32 vcc, v[10:11], v[40:41]
	s_and_b64 s[2:3], s[2:3], s[50:51]
	s_or_b64 s[52:53], vcc, s[2:3]
	s_and_b64 s[2:3], s[52:53], exec
	v_cmp_eq_u64_e64 s[4:5], v[10:11], v[40:41]
	s_or_b64 s[2:3], s[54:55], s[2:3]
	s_and_saveexec_b64 s[54:55], s[4:5]
	s_cbranch_execz .LBB1605_643
; %bb.645:                              ;   in Loop: Header=BB1605_644 Depth=2
	s_add_u32 s48, s48, -1
	s_addc_u32 s49, s49, -1
	s_cmp_eq_u64 s[48:49], 0
	s_cselect_b64 s[4:5], -1, 0
	s_andn2_b64 s[46:47], s[46:47], exec
	s_and_b64 s[4:5], s[4:5], exec
	v_lshl_add_u64 v[4:5], v[4:5], 0, 8
	v_lshl_add_u64 v[6:7], v[6:7], 0, 8
	s_andn2_b64 s[2:3], s[2:3], exec
	s_or_b64 s[46:47], s[46:47], s[4:5]
                                        ; implicit-def: $sgpr50_sgpr51
	s_branch .LBB1605_643
.LBB1605_646:                           ;   in Loop: Header=BB1605_593 Depth=1
	s_or_b64 exec, exec, s[42:43]
	s_xor_b64 s[2:3], s[44:45], -1
	s_branch .LBB1605_648
.LBB1605_647:                           ;   in Loop: Header=BB1605_593 Depth=1
	s_mov_b64 s[2:3], -1
.LBB1605_648:                           ;   in Loop: Header=BB1605_593 Depth=1
	s_and_b64 s[2:3], s[2:3], exec
.LBB1605_649:                           ;   in Loop: Header=BB1605_593 Depth=1
	s_or_b64 exec, exec, s[28:29]
	s_orn2_b64 s[28:29], s[2:3], exec
.LBB1605_650:                           ;   in Loop: Header=BB1605_593 Depth=1
	s_or_b64 exec, exec, s[40:41]
	v_cndmask_b32_e64 v4, v8, v9, s[28:29]
	v_cndmask_b32_e64 v5, v35, v27, s[28:29]
	v_add_u32_e32 v6, 1, v4
	v_add_u32_e32 v4, -1, v5
	v_min_u32_e32 v4, v6, v4
	v_lshlrev_b32_e32 v4, 3, v4
	ds_read_b64 v[4:5], v4
	v_cndmask_b32_e64 v8, v6, v8, s[28:29]
	v_cndmask_b32_e64 v9, v9, v6, s[28:29]
	v_cmp_lt_u32_e32 vcc, v8, v35
	s_waitcnt lgkmcnt(0)
	v_cndmask_b32_e64 v40, v5, v12, s[28:29]
	v_cndmask_b32_e64 v41, v4, v38, s[28:29]
	;; [unrolled: 1-line block ×4, first 2 shown]
	s_and_saveexec_b64 s[40:41], vcc
	s_cbranch_execz .LBB1605_661
; %bb.651:                              ;   in Loop: Header=BB1605_593 Depth=1
	v_cmp_lt_u32_e32 vcc, v9, v27
	s_mov_b64 s[2:3], 0
	s_and_saveexec_b64 s[30:31], vcc
	s_cbranch_execz .LBB1605_660
; %bb.652:                              ;   in Loop: Header=BB1605_593 Depth=1
	s_and_b64 vcc, exec, s[0:1]
	s_cbranch_vccnz .LBB1605_658
; %bb.653:                              ;   in Loop: Header=BB1605_593 Depth=1
	v_mov_b64_e32 v[6:7], s[38:39]
	v_mad_u64_u32 v[4:5], s[2:3], s10, v41, v[6:7]
	v_mul_lo_u32 v10, s10, v40
	v_mul_lo_u32 v11, s11, v41
	v_add3_u32 v5, v11, v5, v10
	v_mad_u64_u32 v[6:7], s[2:3], s10, v43, v[6:7]
	v_mul_lo_u32 v10, s10, v42
	v_mul_lo_u32 v11, s11, v43
	v_add3_u32 v7, v11, v7, v10
	s_mov_b64 s[42:43], 0
	s_mov_b64 s[48:49], s[36:37]
                                        ; implicit-def: $sgpr44_sgpr45
                                        ; implicit-def: $sgpr46_sgpr47
                                        ; implicit-def: $sgpr2_sgpr3
                                        ; implicit-def: $sgpr50_sgpr51
	s_branch .LBB1605_655
.LBB1605_654:                           ;   in Loop: Header=BB1605_655 Depth=2
	s_or_b64 exec, exec, s[54:55]
	s_and_b64 s[4:5], exec, s[46:47]
	s_or_b64 s[42:43], s[4:5], s[42:43]
	s_andn2_b64 s[4:5], s[50:51], exec
	s_and_b64 s[50:51], s[52:53], exec
	s_or_b64 s[50:51], s[4:5], s[50:51]
	s_andn2_b64 s[4:5], s[44:45], exec
	s_and_b64 s[44:45], s[2:3], exec
	s_or_b64 s[44:45], s[4:5], s[44:45]
	s_andn2_b64 exec, exec, s[42:43]
	s_cbranch_execz .LBB1605_657
.LBB1605_655:                           ;   Parent Loop BB1605_593 Depth=1
                                        ; =>  This Inner Loop Header: Depth=2
	global_load_dwordx2 v[10:11], v[4:5], off
	global_load_dwordx2 v[44:45], v[6:7], off
	s_andn2_b64 s[54:55], s[2:3], exec
	s_or_b64 s[46:47], s[46:47], exec
	s_waitcnt vmcnt(0)
	v_cmp_le_u64_e64 s[2:3], v[10:11], v[44:45]
	v_cmp_lt_u64_e32 vcc, v[10:11], v[44:45]
	s_and_b64 s[2:3], s[2:3], s[50:51]
	s_or_b64 s[52:53], vcc, s[2:3]
	s_and_b64 s[2:3], s[52:53], exec
	v_cmp_eq_u64_e64 s[4:5], v[10:11], v[44:45]
	s_or_b64 s[2:3], s[54:55], s[2:3]
	s_and_saveexec_b64 s[54:55], s[4:5]
	s_cbranch_execz .LBB1605_654
; %bb.656:                              ;   in Loop: Header=BB1605_655 Depth=2
	s_add_u32 s48, s48, -1
	s_addc_u32 s49, s49, -1
	s_cmp_eq_u64 s[48:49], 0
	s_cselect_b64 s[4:5], -1, 0
	s_andn2_b64 s[46:47], s[46:47], exec
	s_and_b64 s[4:5], s[4:5], exec
	v_lshl_add_u64 v[4:5], v[4:5], 0, 8
	v_lshl_add_u64 v[6:7], v[6:7], 0, 8
	s_andn2_b64 s[2:3], s[2:3], exec
	s_or_b64 s[46:47], s[46:47], s[4:5]
                                        ; implicit-def: $sgpr50_sgpr51
	s_branch .LBB1605_654
.LBB1605_657:                           ;   in Loop: Header=BB1605_593 Depth=1
	s_or_b64 exec, exec, s[42:43]
	s_xor_b64 s[2:3], s[44:45], -1
	s_branch .LBB1605_659
.LBB1605_658:                           ;   in Loop: Header=BB1605_593 Depth=1
	s_mov_b64 s[2:3], -1
.LBB1605_659:                           ;   in Loop: Header=BB1605_593 Depth=1
	s_and_b64 s[2:3], s[2:3], exec
.LBB1605_660:                           ;   in Loop: Header=BB1605_593 Depth=1
	s_or_b64 exec, exec, s[30:31]
	s_orn2_b64 s[30:31], s[2:3], exec
.LBB1605_661:                           ;   in Loop: Header=BB1605_593 Depth=1
	s_or_b64 exec, exec, s[40:41]
	v_cndmask_b32_e64 v4, v8, v9, s[30:31]
	v_cndmask_b32_e64 v5, v35, v27, s[30:31]
	v_add_u32_e32 v6, 1, v4
	v_add_u32_e32 v4, -1, v5
	v_min_u32_e32 v4, v6, v4
	v_lshlrev_b32_e32 v4, 3, v4
	ds_read_b64 v[4:5], v4
	v_cndmask_b32_e64 v8, v6, v8, s[30:31]
	v_cndmask_b32_e64 v9, v9, v6, s[30:31]
	v_cmp_lt_u32_e32 vcc, v8, v35
	s_mov_b64 s[40:41], -1
	s_waitcnt lgkmcnt(0)
	v_cndmask_b32_e64 v44, v5, v40, s[30:31]
	v_cndmask_b32_e64 v45, v4, v41, s[30:31]
	;; [unrolled: 1-line block ×4, first 2 shown]
	s_mov_b64 s[42:43], -1
	s_and_saveexec_b64 s[44:45], vcc
	s_cbranch_execz .LBB1605_672
; %bb.662:                              ;   in Loop: Header=BB1605_593 Depth=1
	v_cmp_lt_u32_e32 vcc, v9, v27
	s_mov_b64 s[2:3], 0
	s_and_saveexec_b64 s[42:43], vcc
	s_cbranch_execz .LBB1605_671
; %bb.663:                              ;   in Loop: Header=BB1605_593 Depth=1
	s_and_b64 vcc, exec, s[0:1]
	s_cbranch_vccnz .LBB1605_669
; %bb.664:                              ;   in Loop: Header=BB1605_593 Depth=1
	v_mov_b64_e32 v[6:7], s[38:39]
	v_mad_u64_u32 v[4:5], s[2:3], s10, v45, v[6:7]
	v_mul_lo_u32 v10, s10, v44
	v_mul_lo_u32 v11, s11, v45
	v_add3_u32 v5, v11, v5, v10
	v_mad_u64_u32 v[6:7], s[2:3], s10, v47, v[6:7]
	v_mul_lo_u32 v10, s10, v46
	v_mul_lo_u32 v11, s11, v47
	v_add3_u32 v7, v11, v7, v10
	s_mov_b64 s[46:47], 0
	s_mov_b64 s[52:53], s[36:37]
                                        ; implicit-def: $sgpr48_sgpr49
                                        ; implicit-def: $sgpr50_sgpr51
                                        ; implicit-def: $sgpr2_sgpr3
                                        ; implicit-def: $sgpr54_sgpr55
	s_branch .LBB1605_666
.LBB1605_665:                           ;   in Loop: Header=BB1605_666 Depth=2
	s_or_b64 exec, exec, s[58:59]
	s_and_b64 s[4:5], exec, s[50:51]
	s_or_b64 s[46:47], s[4:5], s[46:47]
	s_andn2_b64 s[4:5], s[54:55], exec
	s_and_b64 s[54:55], s[56:57], exec
	s_or_b64 s[54:55], s[4:5], s[54:55]
	s_andn2_b64 s[4:5], s[48:49], exec
	s_and_b64 s[48:49], s[2:3], exec
	s_or_b64 s[48:49], s[4:5], s[48:49]
	s_andn2_b64 exec, exec, s[46:47]
	s_cbranch_execz .LBB1605_668
.LBB1605_666:                           ;   Parent Loop BB1605_593 Depth=1
                                        ; =>  This Inner Loop Header: Depth=2
	global_load_dwordx2 v[10:11], v[4:5], off
	global_load_dwordx2 v[48:49], v[6:7], off
	s_andn2_b64 s[58:59], s[2:3], exec
	s_or_b64 s[50:51], s[50:51], exec
	s_waitcnt vmcnt(0)
	v_cmp_le_u64_e64 s[2:3], v[10:11], v[48:49]
	v_cmp_lt_u64_e32 vcc, v[10:11], v[48:49]
	s_and_b64 s[2:3], s[2:3], s[54:55]
	s_or_b64 s[56:57], vcc, s[2:3]
	s_and_b64 s[2:3], s[56:57], exec
	v_cmp_eq_u64_e64 s[4:5], v[10:11], v[48:49]
	s_or_b64 s[2:3], s[58:59], s[2:3]
	s_and_saveexec_b64 s[58:59], s[4:5]
	s_cbranch_execz .LBB1605_665
; %bb.667:                              ;   in Loop: Header=BB1605_666 Depth=2
	s_add_u32 s52, s52, -1
	s_addc_u32 s53, s53, -1
	s_cmp_eq_u64 s[52:53], 0
	s_cselect_b64 s[4:5], -1, 0
	s_andn2_b64 s[50:51], s[50:51], exec
	s_and_b64 s[4:5], s[4:5], exec
	v_lshl_add_u64 v[4:5], v[4:5], 0, 8
	v_lshl_add_u64 v[6:7], v[6:7], 0, 8
	s_andn2_b64 s[2:3], s[2:3], exec
	s_or_b64 s[50:51], s[50:51], s[4:5]
                                        ; implicit-def: $sgpr54_sgpr55
	s_branch .LBB1605_665
.LBB1605_668:                           ;   in Loop: Header=BB1605_593 Depth=1
	s_or_b64 exec, exec, s[46:47]
	s_xor_b64 s[2:3], s[48:49], -1
	s_branch .LBB1605_670
.LBB1605_669:                           ;   in Loop: Header=BB1605_593 Depth=1
	s_mov_b64 s[2:3], -1
.LBB1605_670:                           ;   in Loop: Header=BB1605_593 Depth=1
	s_and_b64 s[2:3], s[2:3], exec
.LBB1605_671:                           ;   in Loop: Header=BB1605_593 Depth=1
	s_or_b64 exec, exec, s[42:43]
	s_orn2_b64 s[42:43], s[2:3], exec
.LBB1605_672:                           ;   in Loop: Header=BB1605_593 Depth=1
	s_or_b64 exec, exec, s[44:45]
	v_cndmask_b32_e64 v4, v8, v9, s[42:43]
	v_cndmask_b32_e64 v5, v35, v27, s[42:43]
	v_add_u32_e32 v6, 1, v4
	v_add_u32_e32 v4, -1, v5
	v_min_u32_e32 v4, v6, v4
	v_lshlrev_b32_e32 v4, 3, v4
	ds_read_b64 v[4:5], v4
	v_cndmask_b32_e64 v10, v6, v8, s[42:43]
	v_cndmask_b32_e64 v8, v9, v6, s[42:43]
	v_cmp_lt_u32_e32 vcc, v10, v35
	s_waitcnt lgkmcnt(0)
	v_cndmask_b32_e64 v48, v5, v44, s[42:43]
	v_cndmask_b32_e64 v49, v4, v45, s[42:43]
	;; [unrolled: 1-line block ×4, first 2 shown]
	s_and_saveexec_b64 s[44:45], vcc
	s_cbranch_execz .LBB1605_683
; %bb.673:                              ;   in Loop: Header=BB1605_593 Depth=1
	v_cmp_lt_u32_e32 vcc, v8, v27
	s_mov_b64 s[2:3], 0
	s_and_saveexec_b64 s[40:41], vcc
	s_cbranch_execz .LBB1605_682
; %bb.674:                              ;   in Loop: Header=BB1605_593 Depth=1
	s_and_b64 vcc, exec, s[0:1]
	s_cbranch_vccnz .LBB1605_680
; %bb.675:                              ;   in Loop: Header=BB1605_593 Depth=1
	v_mov_b64_e32 v[6:7], s[38:39]
	v_mad_u64_u32 v[4:5], s[2:3], s10, v49, v[6:7]
	v_mul_lo_u32 v9, s10, v48
	v_mul_lo_u32 v11, s11, v49
	v_add3_u32 v5, v11, v5, v9
	v_mad_u64_u32 v[6:7], s[2:3], s10, v51, v[6:7]
	v_mul_lo_u32 v9, s10, v50
	v_mul_lo_u32 v11, s11, v51
	v_add3_u32 v7, v11, v7, v9
	s_mov_b64 s[46:47], 0
	s_mov_b64 s[52:53], s[36:37]
                                        ; implicit-def: $sgpr48_sgpr49
                                        ; implicit-def: $sgpr50_sgpr51
                                        ; implicit-def: $sgpr2_sgpr3
                                        ; implicit-def: $sgpr54_sgpr55
	s_branch .LBB1605_677
.LBB1605_676:                           ;   in Loop: Header=BB1605_677 Depth=2
	s_or_b64 exec, exec, s[58:59]
	s_and_b64 s[4:5], exec, s[50:51]
	s_or_b64 s[46:47], s[4:5], s[46:47]
	s_andn2_b64 s[4:5], s[54:55], exec
	s_and_b64 s[54:55], s[56:57], exec
	s_or_b64 s[54:55], s[4:5], s[54:55]
	s_andn2_b64 s[4:5], s[48:49], exec
	s_and_b64 s[48:49], s[2:3], exec
	s_or_b64 s[48:49], s[4:5], s[48:49]
	s_andn2_b64 exec, exec, s[46:47]
	s_cbranch_execz .LBB1605_679
.LBB1605_677:                           ;   Parent Loop BB1605_593 Depth=1
                                        ; =>  This Inner Loop Header: Depth=2
	global_load_dwordx2 v[52:53], v[4:5], off
	global_load_dwordx2 v[54:55], v[6:7], off
	s_andn2_b64 s[58:59], s[2:3], exec
	s_or_b64 s[50:51], s[50:51], exec
	s_waitcnt vmcnt(0)
	v_cmp_le_u64_e64 s[2:3], v[52:53], v[54:55]
	v_cmp_lt_u64_e32 vcc, v[52:53], v[54:55]
	s_and_b64 s[2:3], s[2:3], s[54:55]
	s_or_b64 s[56:57], vcc, s[2:3]
	s_and_b64 s[2:3], s[56:57], exec
	v_cmp_eq_u64_e64 s[4:5], v[52:53], v[54:55]
	s_or_b64 s[2:3], s[58:59], s[2:3]
	s_and_saveexec_b64 s[58:59], s[4:5]
	s_cbranch_execz .LBB1605_676
; %bb.678:                              ;   in Loop: Header=BB1605_677 Depth=2
	s_add_u32 s52, s52, -1
	s_addc_u32 s53, s53, -1
	s_cmp_eq_u64 s[52:53], 0
	s_cselect_b64 s[4:5], -1, 0
	s_andn2_b64 s[50:51], s[50:51], exec
	s_and_b64 s[4:5], s[4:5], exec
	v_lshl_add_u64 v[4:5], v[4:5], 0, 8
	v_lshl_add_u64 v[6:7], v[6:7], 0, 8
	s_andn2_b64 s[2:3], s[2:3], exec
	s_or_b64 s[50:51], s[50:51], s[4:5]
                                        ; implicit-def: $sgpr54_sgpr55
	s_branch .LBB1605_676
.LBB1605_679:                           ;   in Loop: Header=BB1605_593 Depth=1
	s_or_b64 exec, exec, s[46:47]
	s_xor_b64 s[2:3], s[48:49], -1
	s_branch .LBB1605_681
.LBB1605_680:                           ;   in Loop: Header=BB1605_593 Depth=1
	s_mov_b64 s[2:3], -1
.LBB1605_681:                           ;   in Loop: Header=BB1605_593 Depth=1
	s_and_b64 s[2:3], s[2:3], exec
.LBB1605_682:                           ;   in Loop: Header=BB1605_593 Depth=1
	s_or_b64 exec, exec, s[40:41]
	s_orn2_b64 s[40:41], s[2:3], exec
.LBB1605_683:                           ;   in Loop: Header=BB1605_593 Depth=1
	s_or_b64 exec, exec, s[44:45]
	v_cndmask_b32_e64 v4, v10, v8, s[40:41]
	v_cndmask_b32_e64 v5, v35, v27, s[40:41]
	v_add_u32_e32 v9, 1, v4
	v_add_u32_e32 v4, -1, v5
	v_min_u32_e32 v4, v9, v4
	v_lshlrev_b32_e32 v4, 3, v4
	ds_read_b64 v[6:7], v4
	v_cndmask_b32_e64 v10, v9, v10, s[40:41]
	v_cmp_lt_u32_e32 vcc, v10, v35
	s_waitcnt lgkmcnt(0)
	v_cndmask_b32_e64 v5, v50, v7, s[40:41]
	v_cndmask_b32_e64 v4, v51, v6, s[40:41]
	s_and_saveexec_b64 s[44:45], vcc
	s_cbranch_execz .LBB1605_693
; %bb.684:                              ;   in Loop: Header=BB1605_593 Depth=1
	v_cndmask_b32_e64 v8, v8, v9, s[40:41]
	v_cndmask_b32_e64 v7, v7, v48, s[40:41]
	;; [unrolled: 1-line block ×3, first 2 shown]
	v_cmp_lt_u32_e32 vcc, v8, v27
	s_and_saveexec_b64 s[46:47], vcc
	s_cbranch_execz .LBB1605_692
; %bb.685:                              ;   in Loop: Header=BB1605_593 Depth=1
	s_and_b64 vcc, exec, s[0:1]
	s_cbranch_vccnz .LBB1605_691
; %bb.686:                              ;   in Loop: Header=BB1605_593 Depth=1
	v_mov_b64_e32 v[10:11], s[38:39]
	v_mad_u64_u32 v[8:9], s[2:3], s10, v6, v[10:11]
	v_mul_lo_u32 v27, s10, v7
	v_mul_lo_u32 v35, s11, v6
	v_add3_u32 v9, v35, v9, v27
	v_mad_u64_u32 v[10:11], s[2:3], s10, v4, v[10:11]
	v_mul_lo_u32 v27, s10, v5
	v_mul_lo_u32 v35, s11, v4
	v_add3_u32 v11, v35, v11, v27
	s_mov_b64 s[48:49], 0
	s_mov_b64 s[54:55], s[36:37]
                                        ; implicit-def: $sgpr50_sgpr51
                                        ; implicit-def: $sgpr52_sgpr53
                                        ; implicit-def: $sgpr2_sgpr3
                                        ; implicit-def: $sgpr56_sgpr57
	s_branch .LBB1605_688
.LBB1605_687:                           ;   in Loop: Header=BB1605_688 Depth=2
	s_or_b64 exec, exec, s[60:61]
	s_and_b64 s[4:5], exec, s[52:53]
	s_or_b64 s[48:49], s[4:5], s[48:49]
	s_andn2_b64 s[4:5], s[56:57], exec
	s_and_b64 s[56:57], s[58:59], exec
	s_or_b64 s[56:57], s[4:5], s[56:57]
	s_andn2_b64 s[4:5], s[50:51], exec
	s_and_b64 s[50:51], s[2:3], exec
	s_or_b64 s[50:51], s[4:5], s[50:51]
	s_andn2_b64 exec, exec, s[48:49]
	s_cbranch_execz .LBB1605_690
.LBB1605_688:                           ;   Parent Loop BB1605_593 Depth=1
                                        ; =>  This Inner Loop Header: Depth=2
	global_load_dwordx2 v[52:53], v[8:9], off
	global_load_dwordx2 v[54:55], v[10:11], off
	s_andn2_b64 s[60:61], s[2:3], exec
	s_or_b64 s[52:53], s[52:53], exec
	s_waitcnt vmcnt(0)
	v_cmp_le_u64_e64 s[2:3], v[52:53], v[54:55]
	v_cmp_lt_u64_e32 vcc, v[52:53], v[54:55]
	s_and_b64 s[2:3], s[2:3], s[56:57]
	s_or_b64 s[58:59], vcc, s[2:3]
	s_and_b64 s[2:3], s[58:59], exec
	v_cmp_eq_u64_e64 s[4:5], v[52:53], v[54:55]
	s_or_b64 s[2:3], s[60:61], s[2:3]
	s_and_saveexec_b64 s[60:61], s[4:5]
	s_cbranch_execz .LBB1605_687
; %bb.689:                              ;   in Loop: Header=BB1605_688 Depth=2
	s_add_u32 s54, s54, -1
	s_addc_u32 s55, s55, -1
	s_cmp_eq_u64 s[54:55], 0
	s_cselect_b64 s[4:5], -1, 0
	s_andn2_b64 s[52:53], s[52:53], exec
	s_and_b64 s[4:5], s[4:5], exec
	v_lshl_add_u64 v[8:9], v[8:9], 0, 8
	v_lshl_add_u64 v[10:11], v[10:11], 0, 8
	s_andn2_b64 s[2:3], s[2:3], exec
	s_or_b64 s[52:53], s[52:53], s[4:5]
                                        ; implicit-def: $sgpr56_sgpr57
	s_branch .LBB1605_687
.LBB1605_690:                           ;   in Loop: Header=BB1605_593 Depth=1
	s_or_b64 exec, exec, s[48:49]
	v_cndmask_b32_e64 v5, v5, v7, s[50:51]
	v_cndmask_b32_e64 v4, v4, v6, s[50:51]
.LBB1605_691:                           ;   in Loop: Header=BB1605_593 Depth=1
	v_mov_b64_e32 v[6:7], v[4:5]
.LBB1605_692:                           ;   in Loop: Header=BB1605_593 Depth=1
	s_or_b64 exec, exec, s[46:47]
	v_mov_b64_e32 v[4:5], v[6:7]
.LBB1605_693:                           ;   in Loop: Header=BB1605_593 Depth=1
	s_or_b64 exec, exec, s[44:45]
	v_cndmask_b32_e64 v9, v44, v46, s[42:43]
	v_cndmask_b32_e64 v8, v45, v47, s[42:43]
	;; [unrolled: 1-line block ×14, first 2 shown]
.LBB1605_694:                           ;   in Loop: Header=BB1605_593 Depth=1
	s_or_b64 exec, exec, s[12:13]
	s_cmpk_lt_u32 s9, 0x400
	s_barrier
	s_cbranch_scc0 .LBB1605_696
; %bb.695:                              ;   in Loop: Header=BB1605_593 Depth=1
	s_mov_b32 s9, s15
	s_branch .LBB1605_593
.LBB1605_696:
	s_barrier
	ds_write2_b64 v34, v[14:15], v[16:17] offset1:1
	ds_write2_b64 v34, v[10:11], v[12:13] offset0:2 offset1:3
	ds_write2_b64 v34, v[6:7], v[8:9] offset0:4 offset1:5
	;; [unrolled: 1-line block ×3, first 2 shown]
	s_waitcnt lgkmcnt(0)
	s_barrier
	ds_read_b64 v[2:3], v1
	ds_read_b64 v[4:5], v21 offset:2048
	ds_read_b64 v[6:7], v28 offset:4096
	;; [unrolled: 1-line block ×7, first 2 shown]
	v_mov_b32_e32 v21, 0
	v_lshl_add_u64 v[22:23], s[34:35], 0, v[20:21]
	s_movk_i32 s0, 0x1000
	s_waitcnt lgkmcnt(7)
	global_store_dwordx2 v20, v[2:3], s[34:35]
	s_waitcnt lgkmcnt(6)
	global_store_dwordx2 v20, v[4:5], s[34:35] offset:2048
	v_add_co_u32_e32 v2, vcc, s0, v22
	s_nop 1
	v_addc_co_u32_e32 v3, vcc, 0, v23, vcc
	s_waitcnt lgkmcnt(5)
	global_store_dwordx2 v[2:3], v[6:7], off
	s_waitcnt lgkmcnt(4)
	global_store_dwordx2 v[2:3], v[8:9], off offset:2048
	v_add_co_u32_e32 v2, vcc, 0x2000, v22
	s_mov_b64 s[40:41], -1
	s_nop 0
	v_addc_co_u32_e32 v3, vcc, 0, v23, vcc
	s_waitcnt lgkmcnt(3)
	global_store_dwordx2 v[2:3], v[10:11], off
	s_waitcnt lgkmcnt(2)
	global_store_dwordx2 v[2:3], v[12:13], off offset:2048
	v_add_co_u32_e32 v2, vcc, 0x3000, v22
	s_nop 1
	v_addc_co_u32_e32 v3, vcc, 0, v23, vcc
	s_waitcnt lgkmcnt(1)
	global_store_dwordx2 v[2:3], v[16:17], off
	s_branch .LBB1605_1482
.LBB1605_697:
	s_lshl_b64 s[0:1], s[6:7], 11
	s_sub_i32 s33, s8, s0
	v_cmp_gt_u32_e64 s[0:1], s33, v18
	v_lshlrev_b32_e32 v20, 3, v18
                                        ; implicit-def: $vgpr8_vgpr9
	s_and_saveexec_b64 s[2:3], s[0:1]
	s_cbranch_execz .LBB1605_699
; %bb.698:
	global_load_dwordx2 v[8:9], v20, s[20:21]
.LBB1605_699:
	s_or_b64 exec, exec, s[2:3]
	v_add_u32_e32 v1, 0x100, v18
	v_cmp_gt_u32_e64 s[2:3], s33, v1
                                        ; implicit-def: $vgpr10_vgpr11
	s_and_saveexec_b64 s[4:5], s[2:3]
	s_cbranch_execz .LBB1605_701
; %bb.700:
	global_load_dwordx2 v[10:11], v20, s[20:21] offset:2048
.LBB1605_701:
	s_or_b64 exec, exec, s[4:5]
	v_add_u32_e32 v2, 0x200, v18
	v_cmp_gt_u32_e64 s[4:5], s33, v2
                                        ; implicit-def: $vgpr12_vgpr13
	s_and_saveexec_b64 s[6:7], s[4:5]
	s_cbranch_execz .LBB1605_703
; %bb.702:
	v_lshlrev_b32_e32 v3, 3, v2
	global_load_dwordx2 v[12:13], v3, s[20:21]
.LBB1605_703:
	s_or_b64 exec, exec, s[6:7]
	v_add_u32_e32 v3, 0x300, v18
	v_cmp_gt_u32_e64 s[6:7], s33, v3
                                        ; implicit-def: $vgpr14_vgpr15
	s_and_saveexec_b64 s[8:9], s[6:7]
	s_cbranch_execz .LBB1605_705
; %bb.704:
	v_lshlrev_b32_e32 v4, 3, v3
	s_waitcnt lgkmcnt(0)
	global_load_dwordx2 v[14:15], v4, s[20:21]
.LBB1605_705:
	s_or_b64 exec, exec, s[8:9]
	v_or_b32_e32 v4, 0x400, v18
	v_cmp_gt_u32_e64 s[8:9], s33, v4
                                        ; implicit-def: $vgpr16_vgpr17
	s_and_saveexec_b64 s[10:11], s[8:9]
	s_cbranch_execz .LBB1605_707
; %bb.706:
	v_lshlrev_b32_e32 v5, 3, v4
	global_load_dwordx2 v[16:17], v5, s[20:21]
.LBB1605_707:
	s_or_b64 exec, exec, s[10:11]
	v_add_u32_e32 v5, 0x500, v18
	v_cmp_gt_u32_e64 s[10:11], s33, v5
                                        ; implicit-def: $vgpr22_vgpr23
	s_and_saveexec_b64 s[12:13], s[10:11]
	s_cbranch_execz .LBB1605_709
; %bb.708:
	v_lshlrev_b32_e32 v6, 3, v5
	global_load_dwordx2 v[22:23], v6, s[20:21]
.LBB1605_709:
	s_or_b64 exec, exec, s[12:13]
	v_add_u32_e32 v6, 0x600, v18
	v_cmp_gt_u32_e64 s[12:13], s33, v6
                                        ; implicit-def: $vgpr24_vgpr25
	s_and_saveexec_b64 s[22:23], s[12:13]
	s_cbranch_execz .LBB1605_711
; %bb.710:
	v_lshlrev_b32_e32 v7, 3, v6
	global_load_dwordx2 v[24:25], v7, s[20:21]
.LBB1605_711:
	s_or_b64 exec, exec, s[22:23]
	v_add_u32_e32 v7, 0x700, v18
	v_cmp_gt_u32_e64 s[40:41], s33, v7
                                        ; implicit-def: $vgpr32_vgpr33
	s_and_saveexec_b64 s[22:23], s[40:41]
	s_cbranch_execz .LBB1605_713
; %bb.712:
	v_lshlrev_b32_e32 v19, 3, v7
	global_load_dwordx2 v[32:33], v19, s[20:21]
.LBB1605_713:
	s_or_b64 exec, exec, s[22:23]
	v_lshrrev_b32_e32 v1, 2, v1
	v_and_b32_e32 v1, 0x1f8, v1
	v_add_u32_e32 v21, v1, v20
	v_lshrrev_b32_e32 v1, 2, v2
	v_and_b32_e32 v1, 0x1f8, v1
	v_add_u32_e32 v26, v1, v20
	v_lshrrev_b32_e32 v1, 2, v3
	v_and_b32_e32 v1, 0x1f8, v1
	v_add_u32_e32 v27, v1, v20
	v_lshrrev_b32_e32 v1, 2, v4
	v_and_b32_e32 v1, 0x1f8, v1
	v_add_u32_e32 v28, v1, v20
	v_lshrrev_b32_e32 v1, 2, v5
	v_and_b32_e32 v1, 0x3f8, v1
	v_add_u32_e32 v29, v1, v20
	v_lshrrev_b32_e32 v1, 2, v6
	v_and_b32_e32 v1, 0x3f8, v1
	v_add_u32_e32 v30, v1, v20
	v_lshrrev_b32_e32 v1, 2, v7
	v_and_b32_e32 v1, 0x3f8, v1
	v_lshrrev_b32_e32 v19, 2, v18
	v_add_u32_e32 v31, v1, v20
	v_lshlrev_b32_e32 v1, 1, v18
	v_and_b32_e32 v19, 0xf8, v19
	v_and_b32_e32 v1, 0x7f8, v1
	v_add_u32_e32 v19, v19, v20
	s_waitcnt vmcnt(0)
	ds_write_b64 v31, v[32:33] offset:14336
	v_lshl_add_u32 v32, v18, 6, v1
	ds_write_b64 v19, v[8:9]
	ds_write_b64 v21, v[10:11] offset:2048
	ds_write_b64 v26, v[12:13] offset:4096
	s_waitcnt lgkmcnt(4)
	ds_write_b64 v27, v[14:15] offset:6144
	ds_write_b64 v28, v[16:17] offset:8192
	;; [unrolled: 1-line block ×4, first 2 shown]
	s_waitcnt lgkmcnt(0)
	s_barrier
	ds_read2_b64 v[14:17], v32 offset1:1
	ds_read2_b64 v[10:13], v32 offset0:2 offset1:3
	ds_read2_b64 v[6:9], v32 offset0:4 offset1:5
	;; [unrolled: 1-line block ×3, first 2 shown]
	s_waitcnt lgkmcnt(0)
	s_barrier
	s_load_dword s15, s[16:17], 0xc
	v_mov_b32_e32 v1, 0
	v_bfe_u32 v22, v0, 10, 10
	v_bfe_u32 v0, v0, 20, 10
	v_cmp_gt_i64_e64 s[42:43], s[36:37], 0
	s_waitcnt lgkmcnt(0)
	s_lshr_b32 s19, s15, 16
	s_cmp_lt_u32 s14, s18
	s_cselect_b32 s14, 12, 18
	s_add_u32 s14, s16, s14
	s_addc_u32 s15, s17, 0
	global_load_ushort v1, v1, s[14:15]
	v_mad_u32_u24 v0, v0, s19, v22
	s_waitcnt vmcnt(0)
	v_mul_lo_u32 v0, v0, v1
	v_add_lshl_u32 v24, v0, v18, 3
	v_sub_u32_e64 v25, s33, v24 clamp
	v_cmp_lt_u32_e64 s[14:15], 1, v25
	s_and_saveexec_b64 s[20:21], s[14:15]
	s_cbranch_execz .LBB1605_722
; %bb.714:
	s_andn2_b64 vcc, exec, s[42:43]
	s_cbranch_vccnz .LBB1605_722
; %bb.715:
	v_mul_lo_u32 v22, v17, s36
	v_mul_lo_u32 v23, v16, s37
	v_mad_u64_u32 v[0:1], s[16:17], v16, s36, 0
	v_add3_u32 v1, v1, v23, v22
	v_mul_lo_u32 v33, v15, s36
	v_mul_lo_u32 v34, v14, s37
	v_mad_u64_u32 v[22:23], s[16:17], v14, s36, 0
	v_add3_u32 v23, v23, v34, v33
	v_lshl_add_u64 v[0:1], v[0:1], 3, s[38:39]
	v_lshl_add_u64 v[22:23], v[22:23], 3, s[38:39]
	s_mov_b64 s[24:25], 0
	s_mov_b64 s[46:47], s[36:37]
                                        ; implicit-def: $sgpr22_sgpr23
                                        ; implicit-def: $sgpr26_sgpr27
                                        ; implicit-def: $sgpr30_sgpr31
                                        ; implicit-def: $sgpr28_sgpr29
                                        ; implicit-def: $sgpr44_sgpr45
	s_branch .LBB1605_717
.LBB1605_716:                           ;   in Loop: Header=BB1605_717 Depth=1
	s_or_b64 exec, exec, s[48:49]
	s_and_b64 s[16:17], s[16:17], s[44:45]
	s_or_b64 s[16:17], vcc, s[16:17]
	s_and_b64 s[18:19], exec, s[30:31]
	s_or_b64 s[24:25], s[18:19], s[24:25]
	s_andn2_b64 s[18:19], s[44:45], exec
	s_and_b64 s[16:17], s[16:17], exec
	s_or_b64 s[44:45], s[18:19], s[16:17]
	s_andn2_b64 s[18:19], s[26:27], exec
	s_and_b64 s[26:27], s[28:29], exec
	s_or_b64 s[26:27], s[18:19], s[26:27]
	s_andn2_b64 s[18:19], s[22:23], exec
	s_or_b64 s[22:23], s[18:19], s[16:17]
	s_andn2_b64 exec, exec, s[24:25]
	s_cbranch_execz .LBB1605_719
.LBB1605_717:                           ; =>This Inner Loop Header: Depth=1
	global_load_dwordx2 v[34:35], v[0:1], off
	global_load_dwordx2 v[36:37], v[22:23], off
	s_or_b64 s[28:29], s[28:29], exec
	s_or_b64 s[30:31], s[30:31], exec
	s_waitcnt vmcnt(0)
	v_cmp_lt_u64_e32 vcc, v[34:35], v[36:37]
	v_cmp_le_u64_e64 s[16:17], v[34:35], v[36:37]
	v_cmp_eq_u64_e64 s[18:19], v[34:35], v[36:37]
	s_and_saveexec_b64 s[48:49], s[18:19]
	s_cbranch_execz .LBB1605_716
; %bb.718:                              ;   in Loop: Header=BB1605_717 Depth=1
	s_add_u32 s46, s46, -1
	s_addc_u32 s47, s47, -1
	s_cmp_eq_u64 s[46:47], 0
	s_cselect_b64 s[18:19], -1, 0
	s_andn2_b64 s[30:31], s[30:31], exec
	s_and_b64 s[18:19], s[18:19], exec
	v_lshl_add_u64 v[0:1], v[0:1], 0, 8
	v_lshl_add_u64 v[22:23], v[22:23], 0, 8
	s_andn2_b64 s[28:29], s[28:29], exec
	s_or_b64 s[30:31], s[30:31], s[18:19]
	s_branch .LBB1605_716
.LBB1605_719:
	s_or_b64 exec, exec, s[24:25]
	s_and_saveexec_b64 s[16:17], s[26:27]
	s_xor_b64 s[16:17], exec, s[16:17]
; %bb.720:
	v_cndmask_b32_e64 v1, v17, v15, s[22:23]
	v_cndmask_b32_e64 v0, v16, v14, s[22:23]
	;; [unrolled: 1-line block ×4, first 2 shown]
	v_mov_b64_e32 v[16:17], v[0:1]
; %bb.721:
	s_or_b64 exec, exec, s[16:17]
.LBB1605_722:
	s_or_b64 exec, exec, s[20:21]
	v_cmp_lt_u32_e64 s[16:17], 3, v25
	s_and_saveexec_b64 s[22:23], s[16:17]
	s_cbranch_execz .LBB1605_731
; %bb.723:
	s_andn2_b64 vcc, exec, s[42:43]
	s_cbranch_vccnz .LBB1605_731
; %bb.724:
	v_mul_lo_u32 v22, v13, s36
	v_mul_lo_u32 v23, v12, s37
	v_mad_u64_u32 v[0:1], s[18:19], v12, s36, 0
	v_add3_u32 v1, v1, v23, v22
	v_mul_lo_u32 v33, v11, s36
	v_mul_lo_u32 v34, v10, s37
	v_mad_u64_u32 v[22:23], s[18:19], v10, s36, 0
	v_add3_u32 v23, v23, v34, v33
	v_lshl_add_u64 v[0:1], v[0:1], 3, s[38:39]
	v_lshl_add_u64 v[22:23], v[22:23], 3, s[38:39]
	s_mov_b64 s[26:27], 0
	s_mov_b64 s[48:49], s[36:37]
                                        ; implicit-def: $sgpr24_sgpr25
                                        ; implicit-def: $sgpr28_sgpr29
                                        ; implicit-def: $sgpr44_sgpr45
                                        ; implicit-def: $sgpr30_sgpr31
                                        ; implicit-def: $sgpr46_sgpr47
	s_branch .LBB1605_726
.LBB1605_725:                           ;   in Loop: Header=BB1605_726 Depth=1
	s_or_b64 exec, exec, s[50:51]
	s_and_b64 s[18:19], s[18:19], s[46:47]
	s_or_b64 s[18:19], vcc, s[18:19]
	s_and_b64 s[20:21], exec, s[44:45]
	s_or_b64 s[26:27], s[20:21], s[26:27]
	s_andn2_b64 s[20:21], s[46:47], exec
	s_and_b64 s[18:19], s[18:19], exec
	s_or_b64 s[46:47], s[20:21], s[18:19]
	s_andn2_b64 s[20:21], s[28:29], exec
	s_and_b64 s[28:29], s[30:31], exec
	s_or_b64 s[28:29], s[20:21], s[28:29]
	s_andn2_b64 s[20:21], s[24:25], exec
	s_or_b64 s[24:25], s[20:21], s[18:19]
	s_andn2_b64 exec, exec, s[26:27]
	s_cbranch_execz .LBB1605_728
.LBB1605_726:                           ; =>This Inner Loop Header: Depth=1
	global_load_dwordx2 v[34:35], v[0:1], off
	global_load_dwordx2 v[36:37], v[22:23], off
	s_or_b64 s[30:31], s[30:31], exec
	s_or_b64 s[44:45], s[44:45], exec
	s_waitcnt vmcnt(0)
	v_cmp_lt_u64_e32 vcc, v[34:35], v[36:37]
	v_cmp_le_u64_e64 s[18:19], v[34:35], v[36:37]
	v_cmp_eq_u64_e64 s[20:21], v[34:35], v[36:37]
	s_and_saveexec_b64 s[50:51], s[20:21]
	s_cbranch_execz .LBB1605_725
; %bb.727:                              ;   in Loop: Header=BB1605_726 Depth=1
	s_add_u32 s48, s48, -1
	s_addc_u32 s49, s49, -1
	s_cmp_eq_u64 s[48:49], 0
	s_cselect_b64 s[20:21], -1, 0
	s_andn2_b64 s[44:45], s[44:45], exec
	s_and_b64 s[20:21], s[20:21], exec
	v_lshl_add_u64 v[0:1], v[0:1], 0, 8
	v_lshl_add_u64 v[22:23], v[22:23], 0, 8
	s_andn2_b64 s[30:31], s[30:31], exec
	s_or_b64 s[44:45], s[44:45], s[20:21]
	s_branch .LBB1605_725
.LBB1605_728:
	s_or_b64 exec, exec, s[26:27]
	s_and_saveexec_b64 s[18:19], s[28:29]
	s_xor_b64 s[18:19], exec, s[18:19]
; %bb.729:
	v_cndmask_b32_e64 v1, v11, v13, s[24:25]
	v_cndmask_b32_e64 v0, v10, v12, s[24:25]
	;; [unrolled: 1-line block ×4, first 2 shown]
	v_mov_b64_e32 v[10:11], v[0:1]
; %bb.730:
	s_or_b64 exec, exec, s[18:19]
.LBB1605_731:
	s_or_b64 exec, exec, s[22:23]
	v_cmp_lt_u32_e64 s[18:19], 5, v25
	s_and_saveexec_b64 s[24:25], s[18:19]
	s_cbranch_execz .LBB1605_740
; %bb.732:
	s_andn2_b64 vcc, exec, s[42:43]
	s_cbranch_vccnz .LBB1605_740
; %bb.733:
	v_mul_lo_u32 v22, v9, s36
	v_mul_lo_u32 v23, v8, s37
	v_mad_u64_u32 v[0:1], s[20:21], v8, s36, 0
	v_add3_u32 v1, v1, v23, v22
	v_mul_lo_u32 v33, v7, s36
	v_mul_lo_u32 v34, v6, s37
	v_mad_u64_u32 v[22:23], s[20:21], v6, s36, 0
	v_add3_u32 v23, v23, v34, v33
	v_lshl_add_u64 v[0:1], v[0:1], 3, s[38:39]
	v_lshl_add_u64 v[22:23], v[22:23], 3, s[38:39]
	s_mov_b64 s[28:29], 0
	s_mov_b64 s[50:51], s[36:37]
                                        ; implicit-def: $sgpr26_sgpr27
                                        ; implicit-def: $sgpr30_sgpr31
                                        ; implicit-def: $sgpr46_sgpr47
                                        ; implicit-def: $sgpr44_sgpr45
                                        ; implicit-def: $sgpr48_sgpr49
	s_branch .LBB1605_735
.LBB1605_734:                           ;   in Loop: Header=BB1605_735 Depth=1
	s_or_b64 exec, exec, s[52:53]
	s_and_b64 s[20:21], s[20:21], s[48:49]
	s_or_b64 s[20:21], vcc, s[20:21]
	s_and_b64 s[22:23], exec, s[46:47]
	s_or_b64 s[28:29], s[22:23], s[28:29]
	s_andn2_b64 s[22:23], s[48:49], exec
	s_and_b64 s[20:21], s[20:21], exec
	s_or_b64 s[48:49], s[22:23], s[20:21]
	s_andn2_b64 s[22:23], s[30:31], exec
	s_and_b64 s[30:31], s[44:45], exec
	s_or_b64 s[30:31], s[22:23], s[30:31]
	s_andn2_b64 s[22:23], s[26:27], exec
	s_or_b64 s[26:27], s[22:23], s[20:21]
	s_andn2_b64 exec, exec, s[28:29]
	s_cbranch_execz .LBB1605_737
.LBB1605_735:                           ; =>This Inner Loop Header: Depth=1
	global_load_dwordx2 v[34:35], v[0:1], off
	global_load_dwordx2 v[36:37], v[22:23], off
	s_or_b64 s[44:45], s[44:45], exec
	s_or_b64 s[46:47], s[46:47], exec
	s_waitcnt vmcnt(0)
	v_cmp_lt_u64_e32 vcc, v[34:35], v[36:37]
	v_cmp_le_u64_e64 s[20:21], v[34:35], v[36:37]
	v_cmp_eq_u64_e64 s[22:23], v[34:35], v[36:37]
	s_and_saveexec_b64 s[52:53], s[22:23]
	s_cbranch_execz .LBB1605_734
; %bb.736:                              ;   in Loop: Header=BB1605_735 Depth=1
	s_add_u32 s50, s50, -1
	s_addc_u32 s51, s51, -1
	s_cmp_eq_u64 s[50:51], 0
	s_cselect_b64 s[22:23], -1, 0
	s_andn2_b64 s[46:47], s[46:47], exec
	s_and_b64 s[22:23], s[22:23], exec
	v_lshl_add_u64 v[0:1], v[0:1], 0, 8
	v_lshl_add_u64 v[22:23], v[22:23], 0, 8
	s_andn2_b64 s[44:45], s[44:45], exec
	s_or_b64 s[46:47], s[46:47], s[22:23]
	s_branch .LBB1605_734
.LBB1605_737:
	s_or_b64 exec, exec, s[28:29]
	s_and_saveexec_b64 s[20:21], s[30:31]
	s_xor_b64 s[20:21], exec, s[20:21]
; %bb.738:
	v_cndmask_b32_e64 v1, v7, v9, s[26:27]
	v_cndmask_b32_e64 v0, v6, v8, s[26:27]
	;; [unrolled: 1-line block ×4, first 2 shown]
	v_mov_b64_e32 v[6:7], v[0:1]
; %bb.739:
	s_or_b64 exec, exec, s[20:21]
.LBB1605_740:
	s_or_b64 exec, exec, s[24:25]
	v_cmp_lt_u32_e64 s[20:21], 7, v25
	s_and_saveexec_b64 s[26:27], s[20:21]
	s_cbranch_execz .LBB1605_749
; %bb.741:
	s_andn2_b64 vcc, exec, s[42:43]
	s_cbranch_vccnz .LBB1605_749
; %bb.742:
	v_mul_lo_u32 v22, v5, s36
	v_mul_lo_u32 v23, v4, s37
	v_mad_u64_u32 v[0:1], s[22:23], v4, s36, 0
	v_add3_u32 v1, v1, v23, v22
	v_mul_lo_u32 v33, v3, s36
	v_mul_lo_u32 v34, v2, s37
	v_mad_u64_u32 v[22:23], s[22:23], v2, s36, 0
	v_add3_u32 v23, v23, v34, v33
	v_lshl_add_u64 v[0:1], v[0:1], 3, s[38:39]
	v_lshl_add_u64 v[22:23], v[22:23], 3, s[38:39]
	s_mov_b64 s[30:31], 0
	s_mov_b64 s[52:53], s[36:37]
                                        ; implicit-def: $sgpr28_sgpr29
                                        ; implicit-def: $sgpr44_sgpr45
                                        ; implicit-def: $sgpr48_sgpr49
                                        ; implicit-def: $sgpr46_sgpr47
                                        ; implicit-def: $sgpr50_sgpr51
	s_branch .LBB1605_744
.LBB1605_743:                           ;   in Loop: Header=BB1605_744 Depth=1
	s_or_b64 exec, exec, s[54:55]
	s_and_b64 s[22:23], s[22:23], s[50:51]
	s_or_b64 s[22:23], vcc, s[22:23]
	s_and_b64 s[24:25], exec, s[48:49]
	s_or_b64 s[30:31], s[24:25], s[30:31]
	s_andn2_b64 s[24:25], s[50:51], exec
	s_and_b64 s[22:23], s[22:23], exec
	s_or_b64 s[50:51], s[24:25], s[22:23]
	s_andn2_b64 s[24:25], s[44:45], exec
	s_and_b64 s[44:45], s[46:47], exec
	s_or_b64 s[44:45], s[24:25], s[44:45]
	s_andn2_b64 s[24:25], s[28:29], exec
	s_or_b64 s[28:29], s[24:25], s[22:23]
	s_andn2_b64 exec, exec, s[30:31]
	s_cbranch_execz .LBB1605_746
.LBB1605_744:                           ; =>This Inner Loop Header: Depth=1
	global_load_dwordx2 v[34:35], v[0:1], off
	global_load_dwordx2 v[36:37], v[22:23], off
	s_or_b64 s[46:47], s[46:47], exec
	s_or_b64 s[48:49], s[48:49], exec
	s_waitcnt vmcnt(0)
	v_cmp_lt_u64_e32 vcc, v[34:35], v[36:37]
	v_cmp_le_u64_e64 s[22:23], v[34:35], v[36:37]
	v_cmp_eq_u64_e64 s[24:25], v[34:35], v[36:37]
	s_and_saveexec_b64 s[54:55], s[24:25]
	s_cbranch_execz .LBB1605_743
; %bb.745:                              ;   in Loop: Header=BB1605_744 Depth=1
	s_add_u32 s52, s52, -1
	s_addc_u32 s53, s53, -1
	s_cmp_eq_u64 s[52:53], 0
	s_cselect_b64 s[24:25], -1, 0
	s_andn2_b64 s[48:49], s[48:49], exec
	s_and_b64 s[24:25], s[24:25], exec
	v_lshl_add_u64 v[0:1], v[0:1], 0, 8
	v_lshl_add_u64 v[22:23], v[22:23], 0, 8
	s_andn2_b64 s[46:47], s[46:47], exec
	s_or_b64 s[48:49], s[48:49], s[24:25]
	s_branch .LBB1605_743
.LBB1605_746:
	s_or_b64 exec, exec, s[30:31]
	s_and_saveexec_b64 s[22:23], s[44:45]
	s_xor_b64 s[22:23], exec, s[22:23]
; %bb.747:
	v_cndmask_b32_e64 v1, v3, v5, s[28:29]
	v_cndmask_b32_e64 v0, v2, v4, s[28:29]
	;; [unrolled: 1-line block ×4, first 2 shown]
	v_mov_b64_e32 v[2:3], v[0:1]
; %bb.748:
	s_or_b64 exec, exec, s[22:23]
.LBB1605_749:
	s_or_b64 exec, exec, s[26:27]
	v_cmp_lt_u32_e64 s[22:23], 2, v25
	s_and_saveexec_b64 s[24:25], s[22:23]
	s_xor_b64 s[28:29], exec, s[24:25]
	s_cbranch_execz .LBB1605_758
; %bb.750:
	s_andn2_b64 vcc, exec, s[42:43]
	s_cbranch_vccnz .LBB1605_758
; %bb.751:
	v_mul_lo_u32 v22, v11, s36
	v_mul_lo_u32 v23, v10, s37
	v_mad_u64_u32 v[0:1], s[24:25], v10, s36, 0
	v_add3_u32 v1, v1, v23, v22
	v_mul_lo_u32 v33, v17, s36
	v_mul_lo_u32 v34, v16, s37
	v_mad_u64_u32 v[22:23], s[24:25], v16, s36, 0
	v_add3_u32 v23, v23, v34, v33
	v_lshl_add_u64 v[0:1], v[0:1], 3, s[38:39]
	v_lshl_add_u64 v[22:23], v[22:23], 3, s[38:39]
	s_mov_b64 s[44:45], 0
	s_mov_b64 s[54:55], s[36:37]
                                        ; implicit-def: $sgpr30_sgpr31
                                        ; implicit-def: $sgpr46_sgpr47
                                        ; implicit-def: $sgpr50_sgpr51
                                        ; implicit-def: $sgpr48_sgpr49
                                        ; implicit-def: $sgpr52_sgpr53
	s_branch .LBB1605_753
.LBB1605_752:                           ;   in Loop: Header=BB1605_753 Depth=1
	s_or_b64 exec, exec, s[56:57]
	s_and_b64 s[24:25], s[24:25], s[52:53]
	s_or_b64 s[24:25], vcc, s[24:25]
	s_and_b64 s[26:27], exec, s[50:51]
	s_or_b64 s[44:45], s[26:27], s[44:45]
	s_andn2_b64 s[26:27], s[52:53], exec
	s_and_b64 s[24:25], s[24:25], exec
	s_or_b64 s[52:53], s[26:27], s[24:25]
	s_andn2_b64 s[26:27], s[46:47], exec
	s_and_b64 s[46:47], s[48:49], exec
	s_or_b64 s[46:47], s[26:27], s[46:47]
	s_andn2_b64 s[26:27], s[30:31], exec
	s_or_b64 s[30:31], s[26:27], s[24:25]
	s_andn2_b64 exec, exec, s[44:45]
	s_cbranch_execz .LBB1605_755
.LBB1605_753:                           ; =>This Inner Loop Header: Depth=1
	global_load_dwordx2 v[34:35], v[0:1], off
	global_load_dwordx2 v[36:37], v[22:23], off
	s_or_b64 s[48:49], s[48:49], exec
	s_or_b64 s[50:51], s[50:51], exec
	s_waitcnt vmcnt(0)
	v_cmp_lt_u64_e32 vcc, v[34:35], v[36:37]
	v_cmp_le_u64_e64 s[24:25], v[34:35], v[36:37]
	v_cmp_eq_u64_e64 s[26:27], v[34:35], v[36:37]
	s_and_saveexec_b64 s[56:57], s[26:27]
	s_cbranch_execz .LBB1605_752
; %bb.754:                              ;   in Loop: Header=BB1605_753 Depth=1
	s_add_u32 s54, s54, -1
	s_addc_u32 s55, s55, -1
	s_cmp_eq_u64 s[54:55], 0
	s_cselect_b64 s[26:27], -1, 0
	s_andn2_b64 s[50:51], s[50:51], exec
	s_and_b64 s[26:27], s[26:27], exec
	v_lshl_add_u64 v[0:1], v[0:1], 0, 8
	v_lshl_add_u64 v[22:23], v[22:23], 0, 8
	s_andn2_b64 s[48:49], s[48:49], exec
	s_or_b64 s[50:51], s[50:51], s[26:27]
	s_branch .LBB1605_752
.LBB1605_755:
	s_or_b64 exec, exec, s[44:45]
	s_and_saveexec_b64 s[24:25], s[46:47]
	s_xor_b64 s[24:25], exec, s[24:25]
; %bb.756:
	v_cndmask_b32_e64 v1, v17, v11, s[30:31]
	v_cndmask_b32_e64 v0, v16, v10, s[30:31]
	;; [unrolled: 1-line block ×4, first 2 shown]
	v_mov_b64_e32 v[16:17], v[0:1]
; %bb.757:
	s_or_b64 exec, exec, s[24:25]
.LBB1605_758:
	s_or_b64 exec, exec, s[28:29]
	v_cmp_lt_u32_e64 s[24:25], 4, v25
	s_and_saveexec_b64 s[30:31], s[24:25]
	s_cbranch_execz .LBB1605_767
; %bb.759:
	s_andn2_b64 vcc, exec, s[42:43]
	s_cbranch_vccnz .LBB1605_767
; %bb.760:
	v_mul_lo_u32 v22, v7, s36
	v_mul_lo_u32 v23, v6, s37
	v_mad_u64_u32 v[0:1], s[26:27], v6, s36, 0
	v_add3_u32 v1, v1, v23, v22
	v_mul_lo_u32 v33, v13, s36
	v_mul_lo_u32 v34, v12, s37
	v_mad_u64_u32 v[22:23], s[26:27], v12, s36, 0
	v_add3_u32 v23, v23, v34, v33
	v_lshl_add_u64 v[0:1], v[0:1], 3, s[38:39]
	v_lshl_add_u64 v[22:23], v[22:23], 3, s[38:39]
	s_mov_b64 s[46:47], 0
	s_mov_b64 s[56:57], s[36:37]
                                        ; implicit-def: $sgpr44_sgpr45
                                        ; implicit-def: $sgpr48_sgpr49
                                        ; implicit-def: $sgpr52_sgpr53
                                        ; implicit-def: $sgpr50_sgpr51
                                        ; implicit-def: $sgpr54_sgpr55
	s_branch .LBB1605_762
.LBB1605_761:                           ;   in Loop: Header=BB1605_762 Depth=1
	s_or_b64 exec, exec, s[58:59]
	s_and_b64 s[26:27], s[26:27], s[54:55]
	s_or_b64 s[26:27], vcc, s[26:27]
	s_and_b64 s[28:29], exec, s[52:53]
	s_or_b64 s[46:47], s[28:29], s[46:47]
	s_andn2_b64 s[28:29], s[54:55], exec
	s_and_b64 s[26:27], s[26:27], exec
	s_or_b64 s[54:55], s[28:29], s[26:27]
	s_andn2_b64 s[28:29], s[48:49], exec
	s_and_b64 s[48:49], s[50:51], exec
	s_or_b64 s[48:49], s[28:29], s[48:49]
	s_andn2_b64 s[28:29], s[44:45], exec
	s_or_b64 s[44:45], s[28:29], s[26:27]
	s_andn2_b64 exec, exec, s[46:47]
	s_cbranch_execz .LBB1605_764
.LBB1605_762:                           ; =>This Inner Loop Header: Depth=1
	global_load_dwordx2 v[34:35], v[0:1], off
	global_load_dwordx2 v[36:37], v[22:23], off
	s_or_b64 s[50:51], s[50:51], exec
	s_or_b64 s[52:53], s[52:53], exec
	s_waitcnt vmcnt(0)
	v_cmp_lt_u64_e32 vcc, v[34:35], v[36:37]
	v_cmp_le_u64_e64 s[26:27], v[34:35], v[36:37]
	v_cmp_eq_u64_e64 s[28:29], v[34:35], v[36:37]
	s_and_saveexec_b64 s[58:59], s[28:29]
	s_cbranch_execz .LBB1605_761
; %bb.763:                              ;   in Loop: Header=BB1605_762 Depth=1
	s_add_u32 s56, s56, -1
	s_addc_u32 s57, s57, -1
	s_cmp_eq_u64 s[56:57], 0
	s_cselect_b64 s[28:29], -1, 0
	s_andn2_b64 s[52:53], s[52:53], exec
	s_and_b64 s[28:29], s[28:29], exec
	v_lshl_add_u64 v[0:1], v[0:1], 0, 8
	v_lshl_add_u64 v[22:23], v[22:23], 0, 8
	s_andn2_b64 s[50:51], s[50:51], exec
	s_or_b64 s[52:53], s[52:53], s[28:29]
	s_branch .LBB1605_761
.LBB1605_764:
	s_or_b64 exec, exec, s[46:47]
	s_and_saveexec_b64 s[26:27], s[48:49]
	s_xor_b64 s[26:27], exec, s[26:27]
; %bb.765:
	v_cndmask_b32_e64 v1, v13, v7, s[44:45]
	v_cndmask_b32_e64 v0, v12, v6, s[44:45]
	;; [unrolled: 1-line block ×4, first 2 shown]
	v_mov_b64_e32 v[12:13], v[0:1]
; %bb.766:
	s_or_b64 exec, exec, s[26:27]
.LBB1605_767:
	s_or_b64 exec, exec, s[30:31]
	v_cmp_lt_u32_e64 s[26:27], 6, v25
	s_and_saveexec_b64 s[44:45], s[26:27]
	s_cbranch_execz .LBB1605_776
; %bb.768:
	s_andn2_b64 vcc, exec, s[42:43]
	s_cbranch_vccnz .LBB1605_776
; %bb.769:
	v_mul_lo_u32 v22, v3, s36
	v_mul_lo_u32 v23, v2, s37
	v_mad_u64_u32 v[0:1], s[28:29], v2, s36, 0
	v_add3_u32 v1, v1, v23, v22
	v_mul_lo_u32 v25, v9, s36
	v_mul_lo_u32 v33, v8, s37
	v_mad_u64_u32 v[22:23], s[28:29], v8, s36, 0
	v_add3_u32 v23, v23, v33, v25
	v_lshl_add_u64 v[0:1], v[0:1], 3, s[38:39]
	v_lshl_add_u64 v[22:23], v[22:23], 3, s[38:39]
	s_mov_b64 s[48:49], 0
	s_mov_b64 s[58:59], s[36:37]
                                        ; implicit-def: $sgpr46_sgpr47
                                        ; implicit-def: $sgpr50_sgpr51
                                        ; implicit-def: $sgpr54_sgpr55
                                        ; implicit-def: $sgpr52_sgpr53
                                        ; implicit-def: $sgpr56_sgpr57
	s_branch .LBB1605_771
.LBB1605_770:                           ;   in Loop: Header=BB1605_771 Depth=1
	s_or_b64 exec, exec, s[60:61]
	s_and_b64 s[28:29], s[28:29], s[56:57]
	s_or_b64 s[28:29], vcc, s[28:29]
	s_and_b64 s[30:31], exec, s[54:55]
	s_or_b64 s[48:49], s[30:31], s[48:49]
	s_andn2_b64 s[30:31], s[56:57], exec
	s_and_b64 s[28:29], s[28:29], exec
	s_or_b64 s[56:57], s[30:31], s[28:29]
	s_andn2_b64 s[30:31], s[50:51], exec
	s_and_b64 s[50:51], s[52:53], exec
	s_or_b64 s[50:51], s[30:31], s[50:51]
	s_andn2_b64 s[30:31], s[46:47], exec
	s_or_b64 s[46:47], s[30:31], s[28:29]
	s_andn2_b64 exec, exec, s[48:49]
	s_cbranch_execz .LBB1605_773
.LBB1605_771:                           ; =>This Inner Loop Header: Depth=1
	global_load_dwordx2 v[34:35], v[0:1], off
	global_load_dwordx2 v[36:37], v[22:23], off
	s_or_b64 s[52:53], s[52:53], exec
	s_or_b64 s[54:55], s[54:55], exec
	s_waitcnt vmcnt(0)
	v_cmp_lt_u64_e32 vcc, v[34:35], v[36:37]
	v_cmp_le_u64_e64 s[28:29], v[34:35], v[36:37]
	v_cmp_eq_u64_e64 s[30:31], v[34:35], v[36:37]
	s_and_saveexec_b64 s[60:61], s[30:31]
	s_cbranch_execz .LBB1605_770
; %bb.772:                              ;   in Loop: Header=BB1605_771 Depth=1
	s_add_u32 s58, s58, -1
	s_addc_u32 s59, s59, -1
	s_cmp_eq_u64 s[58:59], 0
	s_cselect_b64 s[30:31], -1, 0
	s_andn2_b64 s[54:55], s[54:55], exec
	s_and_b64 s[30:31], s[30:31], exec
	v_lshl_add_u64 v[0:1], v[0:1], 0, 8
	v_lshl_add_u64 v[22:23], v[22:23], 0, 8
	s_andn2_b64 s[52:53], s[52:53], exec
	s_or_b64 s[54:55], s[54:55], s[30:31]
	s_branch .LBB1605_770
.LBB1605_773:
	s_or_b64 exec, exec, s[48:49]
	s_and_saveexec_b64 s[28:29], s[50:51]
	s_xor_b64 s[28:29], exec, s[28:29]
; %bb.774:
	v_cndmask_b32_e64 v1, v9, v3, s[46:47]
	v_cndmask_b32_e64 v0, v8, v2, s[46:47]
	;; [unrolled: 1-line block ×4, first 2 shown]
	v_mov_b64_e32 v[8:9], v[0:1]
; %bb.775:
	s_or_b64 exec, exec, s[28:29]
.LBB1605_776:
	s_or_b64 exec, exec, s[44:45]
	s_and_saveexec_b64 s[44:45], s[14:15]
	s_cbranch_execz .LBB1605_785
; %bb.777:
	s_andn2_b64 vcc, exec, s[42:43]
	s_cbranch_vccnz .LBB1605_785
; %bb.778:
	v_mul_lo_u32 v22, v17, s36
	v_mul_lo_u32 v23, v16, s37
	v_mad_u64_u32 v[0:1], s[28:29], v16, s36, 0
	v_add3_u32 v1, v1, v23, v22
	v_mul_lo_u32 v25, v15, s36
	v_mul_lo_u32 v33, v14, s37
	v_mad_u64_u32 v[22:23], s[28:29], v14, s36, 0
	v_add3_u32 v23, v23, v33, v25
	v_lshl_add_u64 v[0:1], v[0:1], 3, s[38:39]
	v_lshl_add_u64 v[22:23], v[22:23], 3, s[38:39]
	s_mov_b64 s[48:49], 0
	s_mov_b64 s[58:59], s[36:37]
                                        ; implicit-def: $sgpr46_sgpr47
                                        ; implicit-def: $sgpr50_sgpr51
                                        ; implicit-def: $sgpr54_sgpr55
                                        ; implicit-def: $sgpr52_sgpr53
                                        ; implicit-def: $sgpr56_sgpr57
	s_branch .LBB1605_780
.LBB1605_779:                           ;   in Loop: Header=BB1605_780 Depth=1
	s_or_b64 exec, exec, s[60:61]
	s_and_b64 s[28:29], s[28:29], s[56:57]
	s_or_b64 s[28:29], vcc, s[28:29]
	s_and_b64 s[30:31], exec, s[54:55]
	s_or_b64 s[48:49], s[30:31], s[48:49]
	s_andn2_b64 s[30:31], s[56:57], exec
	s_and_b64 s[28:29], s[28:29], exec
	s_or_b64 s[56:57], s[30:31], s[28:29]
	s_andn2_b64 s[30:31], s[50:51], exec
	s_and_b64 s[50:51], s[52:53], exec
	s_or_b64 s[50:51], s[30:31], s[50:51]
	s_andn2_b64 s[30:31], s[46:47], exec
	s_or_b64 s[46:47], s[30:31], s[28:29]
	s_andn2_b64 exec, exec, s[48:49]
	s_cbranch_execz .LBB1605_782
.LBB1605_780:                           ; =>This Inner Loop Header: Depth=1
	global_load_dwordx2 v[34:35], v[0:1], off
	global_load_dwordx2 v[36:37], v[22:23], off
	s_or_b64 s[52:53], s[52:53], exec
	s_or_b64 s[54:55], s[54:55], exec
	s_waitcnt vmcnt(0)
	v_cmp_lt_u64_e32 vcc, v[34:35], v[36:37]
	v_cmp_le_u64_e64 s[28:29], v[34:35], v[36:37]
	v_cmp_eq_u64_e64 s[30:31], v[34:35], v[36:37]
	s_and_saveexec_b64 s[60:61], s[30:31]
	s_cbranch_execz .LBB1605_779
; %bb.781:                              ;   in Loop: Header=BB1605_780 Depth=1
	s_add_u32 s58, s58, -1
	s_addc_u32 s59, s59, -1
	s_cmp_eq_u64 s[58:59], 0
	s_cselect_b64 s[30:31], -1, 0
	s_andn2_b64 s[54:55], s[54:55], exec
	s_and_b64 s[30:31], s[30:31], exec
	v_lshl_add_u64 v[0:1], v[0:1], 0, 8
	v_lshl_add_u64 v[22:23], v[22:23], 0, 8
	s_andn2_b64 s[52:53], s[52:53], exec
	s_or_b64 s[54:55], s[54:55], s[30:31]
	s_branch .LBB1605_779
.LBB1605_782:
	s_or_b64 exec, exec, s[48:49]
	s_and_saveexec_b64 s[28:29], s[50:51]
	s_xor_b64 s[28:29], exec, s[28:29]
; %bb.783:
	v_cndmask_b32_e64 v1, v17, v15, s[46:47]
	v_cndmask_b32_e64 v0, v16, v14, s[46:47]
	;; [unrolled: 1-line block ×4, first 2 shown]
	v_mov_b64_e32 v[16:17], v[0:1]
; %bb.784:
	s_or_b64 exec, exec, s[28:29]
.LBB1605_785:
	s_or_b64 exec, exec, s[44:45]
	s_and_saveexec_b64 s[44:45], s[16:17]
	s_cbranch_execz .LBB1605_794
; %bb.786:
	s_andn2_b64 vcc, exec, s[42:43]
	s_cbranch_vccnz .LBB1605_794
; %bb.787:
	v_mul_lo_u32 v22, v13, s36
	v_mul_lo_u32 v23, v12, s37
	v_mad_u64_u32 v[0:1], s[28:29], v12, s36, 0
	v_add3_u32 v1, v1, v23, v22
	v_mul_lo_u32 v25, v11, s36
	v_mul_lo_u32 v33, v10, s37
	v_mad_u64_u32 v[22:23], s[28:29], v10, s36, 0
	v_add3_u32 v23, v23, v33, v25
	v_lshl_add_u64 v[0:1], v[0:1], 3, s[38:39]
	v_lshl_add_u64 v[22:23], v[22:23], 3, s[38:39]
	s_mov_b64 s[48:49], 0
	s_mov_b64 s[58:59], s[36:37]
                                        ; implicit-def: $sgpr46_sgpr47
                                        ; implicit-def: $sgpr50_sgpr51
                                        ; implicit-def: $sgpr54_sgpr55
                                        ; implicit-def: $sgpr52_sgpr53
                                        ; implicit-def: $sgpr56_sgpr57
	s_branch .LBB1605_789
.LBB1605_788:                           ;   in Loop: Header=BB1605_789 Depth=1
	s_or_b64 exec, exec, s[60:61]
	s_and_b64 s[28:29], s[28:29], s[56:57]
	s_or_b64 s[28:29], vcc, s[28:29]
	s_and_b64 s[30:31], exec, s[54:55]
	s_or_b64 s[48:49], s[30:31], s[48:49]
	s_andn2_b64 s[30:31], s[56:57], exec
	s_and_b64 s[28:29], s[28:29], exec
	s_or_b64 s[56:57], s[30:31], s[28:29]
	s_andn2_b64 s[30:31], s[50:51], exec
	s_and_b64 s[50:51], s[52:53], exec
	s_or_b64 s[50:51], s[30:31], s[50:51]
	s_andn2_b64 s[30:31], s[46:47], exec
	s_or_b64 s[46:47], s[30:31], s[28:29]
	s_andn2_b64 exec, exec, s[48:49]
	s_cbranch_execz .LBB1605_791
.LBB1605_789:                           ; =>This Inner Loop Header: Depth=1
	global_load_dwordx2 v[34:35], v[0:1], off
	global_load_dwordx2 v[36:37], v[22:23], off
	s_or_b64 s[52:53], s[52:53], exec
	s_or_b64 s[54:55], s[54:55], exec
	s_waitcnt vmcnt(0)
	v_cmp_lt_u64_e32 vcc, v[34:35], v[36:37]
	v_cmp_le_u64_e64 s[28:29], v[34:35], v[36:37]
	v_cmp_eq_u64_e64 s[30:31], v[34:35], v[36:37]
	s_and_saveexec_b64 s[60:61], s[30:31]
	s_cbranch_execz .LBB1605_788
; %bb.790:                              ;   in Loop: Header=BB1605_789 Depth=1
	s_add_u32 s58, s58, -1
	s_addc_u32 s59, s59, -1
	s_cmp_eq_u64 s[58:59], 0
	s_cselect_b64 s[30:31], -1, 0
	s_andn2_b64 s[54:55], s[54:55], exec
	s_and_b64 s[30:31], s[30:31], exec
	v_lshl_add_u64 v[0:1], v[0:1], 0, 8
	v_lshl_add_u64 v[22:23], v[22:23], 0, 8
	s_andn2_b64 s[52:53], s[52:53], exec
	s_or_b64 s[54:55], s[54:55], s[30:31]
	s_branch .LBB1605_788
.LBB1605_791:
	s_or_b64 exec, exec, s[48:49]
	s_and_saveexec_b64 s[28:29], s[50:51]
	s_xor_b64 s[28:29], exec, s[28:29]
; %bb.792:
	v_cndmask_b32_e64 v1, v11, v13, s[46:47]
	v_cndmask_b32_e64 v0, v10, v12, s[46:47]
	;; [unrolled: 1-line block ×4, first 2 shown]
	v_mov_b64_e32 v[10:11], v[0:1]
; %bb.793:
	s_or_b64 exec, exec, s[28:29]
.LBB1605_794:
	s_or_b64 exec, exec, s[44:45]
	s_and_saveexec_b64 s[44:45], s[18:19]
	s_cbranch_execz .LBB1605_803
; %bb.795:
	s_andn2_b64 vcc, exec, s[42:43]
	s_cbranch_vccnz .LBB1605_803
; %bb.796:
	v_mul_lo_u32 v22, v9, s36
	v_mul_lo_u32 v23, v8, s37
	v_mad_u64_u32 v[0:1], s[28:29], v8, s36, 0
	v_add3_u32 v1, v1, v23, v22
	v_mul_lo_u32 v25, v7, s36
	v_mul_lo_u32 v33, v6, s37
	v_mad_u64_u32 v[22:23], s[28:29], v6, s36, 0
	v_add3_u32 v23, v23, v33, v25
	v_lshl_add_u64 v[0:1], v[0:1], 3, s[38:39]
	v_lshl_add_u64 v[22:23], v[22:23], 3, s[38:39]
	s_mov_b64 s[48:49], 0
	s_mov_b64 s[58:59], s[36:37]
                                        ; implicit-def: $sgpr46_sgpr47
                                        ; implicit-def: $sgpr50_sgpr51
                                        ; implicit-def: $sgpr54_sgpr55
                                        ; implicit-def: $sgpr52_sgpr53
                                        ; implicit-def: $sgpr56_sgpr57
	s_branch .LBB1605_798
.LBB1605_797:                           ;   in Loop: Header=BB1605_798 Depth=1
	s_or_b64 exec, exec, s[60:61]
	s_and_b64 s[28:29], s[28:29], s[56:57]
	s_or_b64 s[28:29], vcc, s[28:29]
	s_and_b64 s[30:31], exec, s[54:55]
	s_or_b64 s[48:49], s[30:31], s[48:49]
	s_andn2_b64 s[30:31], s[56:57], exec
	s_and_b64 s[28:29], s[28:29], exec
	s_or_b64 s[56:57], s[30:31], s[28:29]
	s_andn2_b64 s[30:31], s[50:51], exec
	s_and_b64 s[50:51], s[52:53], exec
	s_or_b64 s[50:51], s[30:31], s[50:51]
	s_andn2_b64 s[30:31], s[46:47], exec
	s_or_b64 s[46:47], s[30:31], s[28:29]
	s_andn2_b64 exec, exec, s[48:49]
	s_cbranch_execz .LBB1605_800
.LBB1605_798:                           ; =>This Inner Loop Header: Depth=1
	global_load_dwordx2 v[34:35], v[0:1], off
	global_load_dwordx2 v[36:37], v[22:23], off
	s_or_b64 s[52:53], s[52:53], exec
	s_or_b64 s[54:55], s[54:55], exec
	s_waitcnt vmcnt(0)
	v_cmp_lt_u64_e32 vcc, v[34:35], v[36:37]
	v_cmp_le_u64_e64 s[28:29], v[34:35], v[36:37]
	v_cmp_eq_u64_e64 s[30:31], v[34:35], v[36:37]
	s_and_saveexec_b64 s[60:61], s[30:31]
	s_cbranch_execz .LBB1605_797
; %bb.799:                              ;   in Loop: Header=BB1605_798 Depth=1
	s_add_u32 s58, s58, -1
	s_addc_u32 s59, s59, -1
	s_cmp_eq_u64 s[58:59], 0
	s_cselect_b64 s[30:31], -1, 0
	s_andn2_b64 s[54:55], s[54:55], exec
	s_and_b64 s[30:31], s[30:31], exec
	v_lshl_add_u64 v[0:1], v[0:1], 0, 8
	v_lshl_add_u64 v[22:23], v[22:23], 0, 8
	s_andn2_b64 s[52:53], s[52:53], exec
	s_or_b64 s[54:55], s[54:55], s[30:31]
	s_branch .LBB1605_797
.LBB1605_800:
	s_or_b64 exec, exec, s[48:49]
	s_and_saveexec_b64 s[28:29], s[50:51]
	s_xor_b64 s[28:29], exec, s[28:29]
; %bb.801:
	v_cndmask_b32_e64 v1, v7, v9, s[46:47]
	v_cndmask_b32_e64 v0, v6, v8, s[46:47]
	;; [unrolled: 1-line block ×4, first 2 shown]
	v_mov_b64_e32 v[6:7], v[0:1]
; %bb.802:
	s_or_b64 exec, exec, s[28:29]
.LBB1605_803:
	s_or_b64 exec, exec, s[44:45]
	s_and_saveexec_b64 s[44:45], s[20:21]
	s_cbranch_execz .LBB1605_812
; %bb.804:
	s_andn2_b64 vcc, exec, s[42:43]
	s_cbranch_vccnz .LBB1605_812
; %bb.805:
	v_mul_lo_u32 v22, v5, s36
	v_mul_lo_u32 v23, v4, s37
	v_mad_u64_u32 v[0:1], s[28:29], v4, s36, 0
	v_add3_u32 v1, v1, v23, v22
	v_mul_lo_u32 v25, v3, s36
	v_mul_lo_u32 v33, v2, s37
	v_mad_u64_u32 v[22:23], s[28:29], v2, s36, 0
	v_add3_u32 v23, v23, v33, v25
	v_lshl_add_u64 v[0:1], v[0:1], 3, s[38:39]
	v_lshl_add_u64 v[22:23], v[22:23], 3, s[38:39]
	s_mov_b64 s[48:49], 0
	s_mov_b64 s[58:59], s[36:37]
                                        ; implicit-def: $sgpr46_sgpr47
                                        ; implicit-def: $sgpr50_sgpr51
                                        ; implicit-def: $sgpr54_sgpr55
                                        ; implicit-def: $sgpr52_sgpr53
                                        ; implicit-def: $sgpr56_sgpr57
	s_branch .LBB1605_807
.LBB1605_806:                           ;   in Loop: Header=BB1605_807 Depth=1
	s_or_b64 exec, exec, s[60:61]
	s_and_b64 s[28:29], s[28:29], s[56:57]
	s_or_b64 s[28:29], vcc, s[28:29]
	s_and_b64 s[30:31], exec, s[54:55]
	s_or_b64 s[48:49], s[30:31], s[48:49]
	s_andn2_b64 s[30:31], s[56:57], exec
	s_and_b64 s[28:29], s[28:29], exec
	s_or_b64 s[56:57], s[30:31], s[28:29]
	s_andn2_b64 s[30:31], s[50:51], exec
	s_and_b64 s[50:51], s[52:53], exec
	s_or_b64 s[50:51], s[30:31], s[50:51]
	s_andn2_b64 s[30:31], s[46:47], exec
	s_or_b64 s[46:47], s[30:31], s[28:29]
	s_andn2_b64 exec, exec, s[48:49]
	s_cbranch_execz .LBB1605_809
.LBB1605_807:                           ; =>This Inner Loop Header: Depth=1
	global_load_dwordx2 v[34:35], v[0:1], off
	global_load_dwordx2 v[36:37], v[22:23], off
	s_or_b64 s[52:53], s[52:53], exec
	s_or_b64 s[54:55], s[54:55], exec
	s_waitcnt vmcnt(0)
	v_cmp_lt_u64_e32 vcc, v[34:35], v[36:37]
	v_cmp_le_u64_e64 s[28:29], v[34:35], v[36:37]
	v_cmp_eq_u64_e64 s[30:31], v[34:35], v[36:37]
	s_and_saveexec_b64 s[60:61], s[30:31]
	s_cbranch_execz .LBB1605_806
; %bb.808:                              ;   in Loop: Header=BB1605_807 Depth=1
	s_add_u32 s58, s58, -1
	s_addc_u32 s59, s59, -1
	s_cmp_eq_u64 s[58:59], 0
	s_cselect_b64 s[30:31], -1, 0
	s_andn2_b64 s[54:55], s[54:55], exec
	s_and_b64 s[30:31], s[30:31], exec
	v_lshl_add_u64 v[0:1], v[0:1], 0, 8
	v_lshl_add_u64 v[22:23], v[22:23], 0, 8
	s_andn2_b64 s[52:53], s[52:53], exec
	s_or_b64 s[54:55], s[54:55], s[30:31]
	s_branch .LBB1605_806
.LBB1605_809:
	s_or_b64 exec, exec, s[48:49]
	s_and_saveexec_b64 s[28:29], s[50:51]
	s_xor_b64 s[28:29], exec, s[28:29]
; %bb.810:
	v_cndmask_b32_e64 v1, v3, v5, s[46:47]
	v_cndmask_b32_e64 v0, v2, v4, s[46:47]
	;; [unrolled: 1-line block ×4, first 2 shown]
	v_mov_b64_e32 v[2:3], v[0:1]
; %bb.811:
	s_or_b64 exec, exec, s[28:29]
.LBB1605_812:
	s_or_b64 exec, exec, s[44:45]
	s_and_saveexec_b64 s[44:45], s[22:23]
	s_cbranch_execz .LBB1605_821
; %bb.813:
	s_andn2_b64 vcc, exec, s[42:43]
	s_cbranch_vccnz .LBB1605_821
; %bb.814:
	v_mul_lo_u32 v22, v11, s36
	v_mul_lo_u32 v23, v10, s37
	v_mad_u64_u32 v[0:1], s[28:29], v10, s36, 0
	v_add3_u32 v1, v1, v23, v22
	v_mul_lo_u32 v25, v17, s36
	v_mul_lo_u32 v33, v16, s37
	v_mad_u64_u32 v[22:23], s[28:29], v16, s36, 0
	v_add3_u32 v23, v23, v33, v25
	v_lshl_add_u64 v[0:1], v[0:1], 3, s[38:39]
	v_lshl_add_u64 v[22:23], v[22:23], 3, s[38:39]
	s_mov_b64 s[48:49], 0
	s_mov_b64 s[58:59], s[36:37]
                                        ; implicit-def: $sgpr46_sgpr47
                                        ; implicit-def: $sgpr50_sgpr51
                                        ; implicit-def: $sgpr54_sgpr55
                                        ; implicit-def: $sgpr52_sgpr53
                                        ; implicit-def: $sgpr56_sgpr57
	s_branch .LBB1605_816
.LBB1605_815:                           ;   in Loop: Header=BB1605_816 Depth=1
	s_or_b64 exec, exec, s[60:61]
	s_and_b64 s[28:29], s[28:29], s[56:57]
	s_or_b64 s[28:29], vcc, s[28:29]
	s_and_b64 s[30:31], exec, s[54:55]
	s_or_b64 s[48:49], s[30:31], s[48:49]
	s_andn2_b64 s[30:31], s[56:57], exec
	s_and_b64 s[28:29], s[28:29], exec
	s_or_b64 s[56:57], s[30:31], s[28:29]
	s_andn2_b64 s[30:31], s[50:51], exec
	s_and_b64 s[50:51], s[52:53], exec
	s_or_b64 s[50:51], s[30:31], s[50:51]
	s_andn2_b64 s[30:31], s[46:47], exec
	s_or_b64 s[46:47], s[30:31], s[28:29]
	s_andn2_b64 exec, exec, s[48:49]
	s_cbranch_execz .LBB1605_818
.LBB1605_816:                           ; =>This Inner Loop Header: Depth=1
	global_load_dwordx2 v[34:35], v[0:1], off
	global_load_dwordx2 v[36:37], v[22:23], off
	s_or_b64 s[52:53], s[52:53], exec
	s_or_b64 s[54:55], s[54:55], exec
	s_waitcnt vmcnt(0)
	v_cmp_lt_u64_e32 vcc, v[34:35], v[36:37]
	v_cmp_le_u64_e64 s[28:29], v[34:35], v[36:37]
	v_cmp_eq_u64_e64 s[30:31], v[34:35], v[36:37]
	s_and_saveexec_b64 s[60:61], s[30:31]
	s_cbranch_execz .LBB1605_815
; %bb.817:                              ;   in Loop: Header=BB1605_816 Depth=1
	s_add_u32 s58, s58, -1
	s_addc_u32 s59, s59, -1
	s_cmp_eq_u64 s[58:59], 0
	s_cselect_b64 s[30:31], -1, 0
	s_andn2_b64 s[54:55], s[54:55], exec
	s_and_b64 s[30:31], s[30:31], exec
	v_lshl_add_u64 v[0:1], v[0:1], 0, 8
	v_lshl_add_u64 v[22:23], v[22:23], 0, 8
	s_andn2_b64 s[52:53], s[52:53], exec
	s_or_b64 s[54:55], s[54:55], s[30:31]
	s_branch .LBB1605_815
.LBB1605_818:
	s_or_b64 exec, exec, s[48:49]
	s_and_saveexec_b64 s[28:29], s[50:51]
	s_xor_b64 s[28:29], exec, s[28:29]
; %bb.819:
	v_cndmask_b32_e64 v1, v17, v11, s[46:47]
	v_cndmask_b32_e64 v0, v16, v10, s[46:47]
	;; [unrolled: 1-line block ×4, first 2 shown]
	v_mov_b64_e32 v[16:17], v[0:1]
; %bb.820:
	s_or_b64 exec, exec, s[28:29]
.LBB1605_821:
	s_or_b64 exec, exec, s[44:45]
	s_and_saveexec_b64 s[44:45], s[24:25]
	s_cbranch_execz .LBB1605_830
; %bb.822:
	s_andn2_b64 vcc, exec, s[42:43]
	s_cbranch_vccnz .LBB1605_830
; %bb.823:
	v_mul_lo_u32 v22, v7, s36
	v_mul_lo_u32 v23, v6, s37
	v_mad_u64_u32 v[0:1], s[28:29], v6, s36, 0
	v_add3_u32 v1, v1, v23, v22
	v_mul_lo_u32 v25, v13, s36
	v_mul_lo_u32 v33, v12, s37
	v_mad_u64_u32 v[22:23], s[28:29], v12, s36, 0
	v_add3_u32 v23, v23, v33, v25
	v_lshl_add_u64 v[0:1], v[0:1], 3, s[38:39]
	v_lshl_add_u64 v[22:23], v[22:23], 3, s[38:39]
	s_mov_b64 s[48:49], 0
	s_mov_b64 s[58:59], s[36:37]
                                        ; implicit-def: $sgpr46_sgpr47
                                        ; implicit-def: $sgpr50_sgpr51
                                        ; implicit-def: $sgpr54_sgpr55
                                        ; implicit-def: $sgpr52_sgpr53
                                        ; implicit-def: $sgpr56_sgpr57
	s_branch .LBB1605_825
.LBB1605_824:                           ;   in Loop: Header=BB1605_825 Depth=1
	s_or_b64 exec, exec, s[60:61]
	s_and_b64 s[28:29], s[28:29], s[56:57]
	s_or_b64 s[28:29], vcc, s[28:29]
	s_and_b64 s[30:31], exec, s[54:55]
	s_or_b64 s[48:49], s[30:31], s[48:49]
	s_andn2_b64 s[30:31], s[56:57], exec
	s_and_b64 s[28:29], s[28:29], exec
	s_or_b64 s[56:57], s[30:31], s[28:29]
	s_andn2_b64 s[30:31], s[50:51], exec
	s_and_b64 s[50:51], s[52:53], exec
	s_or_b64 s[50:51], s[30:31], s[50:51]
	s_andn2_b64 s[30:31], s[46:47], exec
	s_or_b64 s[46:47], s[30:31], s[28:29]
	s_andn2_b64 exec, exec, s[48:49]
	s_cbranch_execz .LBB1605_827
.LBB1605_825:                           ; =>This Inner Loop Header: Depth=1
	global_load_dwordx2 v[34:35], v[0:1], off
	global_load_dwordx2 v[36:37], v[22:23], off
	s_or_b64 s[52:53], s[52:53], exec
	s_or_b64 s[54:55], s[54:55], exec
	s_waitcnt vmcnt(0)
	v_cmp_lt_u64_e32 vcc, v[34:35], v[36:37]
	v_cmp_le_u64_e64 s[28:29], v[34:35], v[36:37]
	v_cmp_eq_u64_e64 s[30:31], v[34:35], v[36:37]
	s_and_saveexec_b64 s[60:61], s[30:31]
	s_cbranch_execz .LBB1605_824
; %bb.826:                              ;   in Loop: Header=BB1605_825 Depth=1
	s_add_u32 s58, s58, -1
	s_addc_u32 s59, s59, -1
	s_cmp_eq_u64 s[58:59], 0
	s_cselect_b64 s[30:31], -1, 0
	s_andn2_b64 s[54:55], s[54:55], exec
	s_and_b64 s[30:31], s[30:31], exec
	v_lshl_add_u64 v[0:1], v[0:1], 0, 8
	v_lshl_add_u64 v[22:23], v[22:23], 0, 8
	s_andn2_b64 s[52:53], s[52:53], exec
	s_or_b64 s[54:55], s[54:55], s[30:31]
	s_branch .LBB1605_824
.LBB1605_827:
	s_or_b64 exec, exec, s[48:49]
	s_and_saveexec_b64 s[28:29], s[50:51]
	s_xor_b64 s[28:29], exec, s[28:29]
; %bb.828:
	v_cndmask_b32_e64 v1, v13, v7, s[46:47]
	v_cndmask_b32_e64 v0, v12, v6, s[46:47]
	;; [unrolled: 1-line block ×4, first 2 shown]
	v_mov_b64_e32 v[12:13], v[0:1]
; %bb.829:
	s_or_b64 exec, exec, s[28:29]
.LBB1605_830:
	s_or_b64 exec, exec, s[44:45]
	s_and_saveexec_b64 s[44:45], s[26:27]
	s_cbranch_execz .LBB1605_839
; %bb.831:
	s_andn2_b64 vcc, exec, s[42:43]
	s_cbranch_vccnz .LBB1605_839
; %bb.832:
	v_mul_lo_u32 v22, v3, s36
	v_mul_lo_u32 v23, v2, s37
	v_mad_u64_u32 v[0:1], s[28:29], v2, s36, 0
	v_add3_u32 v1, v1, v23, v22
	v_mul_lo_u32 v25, v9, s36
	v_mul_lo_u32 v33, v8, s37
	v_mad_u64_u32 v[22:23], s[28:29], v8, s36, 0
	v_add3_u32 v23, v23, v33, v25
	v_lshl_add_u64 v[0:1], v[0:1], 3, s[38:39]
	v_lshl_add_u64 v[22:23], v[22:23], 3, s[38:39]
	s_mov_b64 s[48:49], 0
	s_mov_b64 s[58:59], s[36:37]
                                        ; implicit-def: $sgpr46_sgpr47
                                        ; implicit-def: $sgpr50_sgpr51
                                        ; implicit-def: $sgpr54_sgpr55
                                        ; implicit-def: $sgpr52_sgpr53
                                        ; implicit-def: $sgpr56_sgpr57
	s_branch .LBB1605_834
.LBB1605_833:                           ;   in Loop: Header=BB1605_834 Depth=1
	s_or_b64 exec, exec, s[60:61]
	s_and_b64 s[28:29], s[28:29], s[56:57]
	s_or_b64 s[28:29], vcc, s[28:29]
	s_and_b64 s[30:31], exec, s[54:55]
	s_or_b64 s[48:49], s[30:31], s[48:49]
	s_andn2_b64 s[30:31], s[56:57], exec
	s_and_b64 s[28:29], s[28:29], exec
	s_or_b64 s[56:57], s[30:31], s[28:29]
	s_andn2_b64 s[30:31], s[50:51], exec
	s_and_b64 s[50:51], s[52:53], exec
	s_or_b64 s[50:51], s[30:31], s[50:51]
	s_andn2_b64 s[30:31], s[46:47], exec
	s_or_b64 s[46:47], s[30:31], s[28:29]
	s_andn2_b64 exec, exec, s[48:49]
	s_cbranch_execz .LBB1605_836
.LBB1605_834:                           ; =>This Inner Loop Header: Depth=1
	global_load_dwordx2 v[34:35], v[0:1], off
	global_load_dwordx2 v[36:37], v[22:23], off
	s_or_b64 s[52:53], s[52:53], exec
	s_or_b64 s[54:55], s[54:55], exec
	s_waitcnt vmcnt(0)
	v_cmp_lt_u64_e32 vcc, v[34:35], v[36:37]
	v_cmp_le_u64_e64 s[28:29], v[34:35], v[36:37]
	v_cmp_eq_u64_e64 s[30:31], v[34:35], v[36:37]
	s_and_saveexec_b64 s[60:61], s[30:31]
	s_cbranch_execz .LBB1605_833
; %bb.835:                              ;   in Loop: Header=BB1605_834 Depth=1
	s_add_u32 s58, s58, -1
	s_addc_u32 s59, s59, -1
	s_cmp_eq_u64 s[58:59], 0
	s_cselect_b64 s[30:31], -1, 0
	s_andn2_b64 s[54:55], s[54:55], exec
	s_and_b64 s[30:31], s[30:31], exec
	v_lshl_add_u64 v[0:1], v[0:1], 0, 8
	v_lshl_add_u64 v[22:23], v[22:23], 0, 8
	s_andn2_b64 s[52:53], s[52:53], exec
	s_or_b64 s[54:55], s[54:55], s[30:31]
	s_branch .LBB1605_833
.LBB1605_836:
	s_or_b64 exec, exec, s[48:49]
	s_and_saveexec_b64 s[28:29], s[50:51]
	s_xor_b64 s[28:29], exec, s[28:29]
; %bb.837:
	v_cndmask_b32_e64 v1, v9, v3, s[46:47]
	v_cndmask_b32_e64 v0, v8, v2, s[46:47]
	;; [unrolled: 1-line block ×4, first 2 shown]
	v_mov_b64_e32 v[8:9], v[0:1]
; %bb.838:
	s_or_b64 exec, exec, s[28:29]
.LBB1605_839:
	s_or_b64 exec, exec, s[44:45]
	s_and_saveexec_b64 s[44:45], s[14:15]
	s_cbranch_execz .LBB1605_848
; %bb.840:
	s_andn2_b64 vcc, exec, s[42:43]
	s_cbranch_vccnz .LBB1605_848
; %bb.841:
	v_mul_lo_u32 v22, v17, s36
	v_mul_lo_u32 v23, v16, s37
	v_mad_u64_u32 v[0:1], s[28:29], v16, s36, 0
	v_add3_u32 v1, v1, v23, v22
	v_mul_lo_u32 v25, v15, s36
	v_mul_lo_u32 v33, v14, s37
	v_mad_u64_u32 v[22:23], s[28:29], v14, s36, 0
	v_add3_u32 v23, v23, v33, v25
	v_lshl_add_u64 v[0:1], v[0:1], 3, s[38:39]
	v_lshl_add_u64 v[22:23], v[22:23], 3, s[38:39]
	s_mov_b64 s[48:49], 0
	s_mov_b64 s[58:59], s[36:37]
                                        ; implicit-def: $sgpr46_sgpr47
                                        ; implicit-def: $sgpr50_sgpr51
                                        ; implicit-def: $sgpr54_sgpr55
                                        ; implicit-def: $sgpr52_sgpr53
                                        ; implicit-def: $sgpr56_sgpr57
	s_branch .LBB1605_843
.LBB1605_842:                           ;   in Loop: Header=BB1605_843 Depth=1
	s_or_b64 exec, exec, s[60:61]
	s_and_b64 s[28:29], s[28:29], s[56:57]
	s_or_b64 s[28:29], vcc, s[28:29]
	s_and_b64 s[30:31], exec, s[54:55]
	s_or_b64 s[48:49], s[30:31], s[48:49]
	s_andn2_b64 s[30:31], s[56:57], exec
	s_and_b64 s[28:29], s[28:29], exec
	s_or_b64 s[56:57], s[30:31], s[28:29]
	s_andn2_b64 s[30:31], s[50:51], exec
	s_and_b64 s[50:51], s[52:53], exec
	s_or_b64 s[50:51], s[30:31], s[50:51]
	s_andn2_b64 s[30:31], s[46:47], exec
	s_or_b64 s[46:47], s[30:31], s[28:29]
	s_andn2_b64 exec, exec, s[48:49]
	s_cbranch_execz .LBB1605_845
.LBB1605_843:                           ; =>This Inner Loop Header: Depth=1
	global_load_dwordx2 v[34:35], v[0:1], off
	global_load_dwordx2 v[36:37], v[22:23], off
	s_or_b64 s[52:53], s[52:53], exec
	s_or_b64 s[54:55], s[54:55], exec
	s_waitcnt vmcnt(0)
	v_cmp_lt_u64_e32 vcc, v[34:35], v[36:37]
	v_cmp_le_u64_e64 s[28:29], v[34:35], v[36:37]
	v_cmp_eq_u64_e64 s[30:31], v[34:35], v[36:37]
	s_and_saveexec_b64 s[60:61], s[30:31]
	s_cbranch_execz .LBB1605_842
; %bb.844:                              ;   in Loop: Header=BB1605_843 Depth=1
	s_add_u32 s58, s58, -1
	s_addc_u32 s59, s59, -1
	s_cmp_eq_u64 s[58:59], 0
	s_cselect_b64 s[30:31], -1, 0
	s_andn2_b64 s[54:55], s[54:55], exec
	s_and_b64 s[30:31], s[30:31], exec
	v_lshl_add_u64 v[0:1], v[0:1], 0, 8
	v_lshl_add_u64 v[22:23], v[22:23], 0, 8
	s_andn2_b64 s[52:53], s[52:53], exec
	s_or_b64 s[54:55], s[54:55], s[30:31]
	s_branch .LBB1605_842
.LBB1605_845:
	s_or_b64 exec, exec, s[48:49]
	s_and_saveexec_b64 s[28:29], s[50:51]
	s_xor_b64 s[28:29], exec, s[28:29]
; %bb.846:
	v_cndmask_b32_e64 v1, v17, v15, s[46:47]
	v_cndmask_b32_e64 v0, v16, v14, s[46:47]
	;; [unrolled: 1-line block ×4, first 2 shown]
	v_mov_b64_e32 v[16:17], v[0:1]
; %bb.847:
	s_or_b64 exec, exec, s[28:29]
.LBB1605_848:
	s_or_b64 exec, exec, s[44:45]
	s_and_saveexec_b64 s[44:45], s[16:17]
	s_cbranch_execz .LBB1605_857
; %bb.849:
	s_andn2_b64 vcc, exec, s[42:43]
	s_cbranch_vccnz .LBB1605_857
; %bb.850:
	v_mul_lo_u32 v22, v13, s36
	v_mul_lo_u32 v23, v12, s37
	v_mad_u64_u32 v[0:1], s[28:29], v12, s36, 0
	v_add3_u32 v1, v1, v23, v22
	v_mul_lo_u32 v25, v11, s36
	v_mul_lo_u32 v33, v10, s37
	v_mad_u64_u32 v[22:23], s[28:29], v10, s36, 0
	v_add3_u32 v23, v23, v33, v25
	v_lshl_add_u64 v[0:1], v[0:1], 3, s[38:39]
	v_lshl_add_u64 v[22:23], v[22:23], 3, s[38:39]
	s_mov_b64 s[48:49], 0
	s_mov_b64 s[58:59], s[36:37]
                                        ; implicit-def: $sgpr46_sgpr47
                                        ; implicit-def: $sgpr50_sgpr51
                                        ; implicit-def: $sgpr54_sgpr55
                                        ; implicit-def: $sgpr52_sgpr53
                                        ; implicit-def: $sgpr56_sgpr57
	s_branch .LBB1605_852
.LBB1605_851:                           ;   in Loop: Header=BB1605_852 Depth=1
	s_or_b64 exec, exec, s[60:61]
	s_and_b64 s[28:29], s[28:29], s[56:57]
	s_or_b64 s[28:29], vcc, s[28:29]
	s_and_b64 s[30:31], exec, s[54:55]
	s_or_b64 s[48:49], s[30:31], s[48:49]
	s_andn2_b64 s[30:31], s[56:57], exec
	s_and_b64 s[28:29], s[28:29], exec
	s_or_b64 s[56:57], s[30:31], s[28:29]
	s_andn2_b64 s[30:31], s[50:51], exec
	s_and_b64 s[50:51], s[52:53], exec
	s_or_b64 s[50:51], s[30:31], s[50:51]
	s_andn2_b64 s[30:31], s[46:47], exec
	s_or_b64 s[46:47], s[30:31], s[28:29]
	s_andn2_b64 exec, exec, s[48:49]
	s_cbranch_execz .LBB1605_854
.LBB1605_852:                           ; =>This Inner Loop Header: Depth=1
	global_load_dwordx2 v[34:35], v[0:1], off
	global_load_dwordx2 v[36:37], v[22:23], off
	s_or_b64 s[52:53], s[52:53], exec
	s_or_b64 s[54:55], s[54:55], exec
	s_waitcnt vmcnt(0)
	v_cmp_lt_u64_e32 vcc, v[34:35], v[36:37]
	v_cmp_le_u64_e64 s[28:29], v[34:35], v[36:37]
	v_cmp_eq_u64_e64 s[30:31], v[34:35], v[36:37]
	s_and_saveexec_b64 s[60:61], s[30:31]
	s_cbranch_execz .LBB1605_851
; %bb.853:                              ;   in Loop: Header=BB1605_852 Depth=1
	s_add_u32 s58, s58, -1
	s_addc_u32 s59, s59, -1
	s_cmp_eq_u64 s[58:59], 0
	s_cselect_b64 s[30:31], -1, 0
	s_andn2_b64 s[54:55], s[54:55], exec
	s_and_b64 s[30:31], s[30:31], exec
	v_lshl_add_u64 v[0:1], v[0:1], 0, 8
	v_lshl_add_u64 v[22:23], v[22:23], 0, 8
	s_andn2_b64 s[52:53], s[52:53], exec
	s_or_b64 s[54:55], s[54:55], s[30:31]
	s_branch .LBB1605_851
.LBB1605_854:
	s_or_b64 exec, exec, s[48:49]
	s_and_saveexec_b64 s[28:29], s[50:51]
	s_xor_b64 s[28:29], exec, s[28:29]
; %bb.855:
	v_cndmask_b32_e64 v1, v11, v13, s[46:47]
	v_cndmask_b32_e64 v0, v10, v12, s[46:47]
	v_cndmask_b32_e64 v13, v13, v11, s[46:47]
	v_cndmask_b32_e64 v12, v12, v10, s[46:47]
	v_mov_b64_e32 v[10:11], v[0:1]
; %bb.856:
	s_or_b64 exec, exec, s[28:29]
.LBB1605_857:
	s_or_b64 exec, exec, s[44:45]
	s_and_saveexec_b64 s[44:45], s[18:19]
	s_cbranch_execz .LBB1605_866
; %bb.858:
	s_andn2_b64 vcc, exec, s[42:43]
	s_cbranch_vccnz .LBB1605_866
; %bb.859:
	v_mul_lo_u32 v22, v9, s36
	v_mul_lo_u32 v23, v8, s37
	v_mad_u64_u32 v[0:1], s[28:29], v8, s36, 0
	v_add3_u32 v1, v1, v23, v22
	v_mul_lo_u32 v25, v7, s36
	v_mul_lo_u32 v33, v6, s37
	v_mad_u64_u32 v[22:23], s[28:29], v6, s36, 0
	v_add3_u32 v23, v23, v33, v25
	v_lshl_add_u64 v[0:1], v[0:1], 3, s[38:39]
	v_lshl_add_u64 v[22:23], v[22:23], 3, s[38:39]
	s_mov_b64 s[48:49], 0
	s_mov_b64 s[58:59], s[36:37]
                                        ; implicit-def: $sgpr46_sgpr47
                                        ; implicit-def: $sgpr50_sgpr51
                                        ; implicit-def: $sgpr54_sgpr55
                                        ; implicit-def: $sgpr52_sgpr53
                                        ; implicit-def: $sgpr56_sgpr57
	s_branch .LBB1605_861
.LBB1605_860:                           ;   in Loop: Header=BB1605_861 Depth=1
	s_or_b64 exec, exec, s[60:61]
	s_and_b64 s[28:29], s[28:29], s[56:57]
	s_or_b64 s[28:29], vcc, s[28:29]
	s_and_b64 s[30:31], exec, s[54:55]
	s_or_b64 s[48:49], s[30:31], s[48:49]
	s_andn2_b64 s[30:31], s[56:57], exec
	s_and_b64 s[28:29], s[28:29], exec
	s_or_b64 s[56:57], s[30:31], s[28:29]
	s_andn2_b64 s[30:31], s[50:51], exec
	s_and_b64 s[50:51], s[52:53], exec
	s_or_b64 s[50:51], s[30:31], s[50:51]
	s_andn2_b64 s[30:31], s[46:47], exec
	s_or_b64 s[46:47], s[30:31], s[28:29]
	s_andn2_b64 exec, exec, s[48:49]
	s_cbranch_execz .LBB1605_863
.LBB1605_861:                           ; =>This Inner Loop Header: Depth=1
	global_load_dwordx2 v[34:35], v[0:1], off
	global_load_dwordx2 v[36:37], v[22:23], off
	s_or_b64 s[52:53], s[52:53], exec
	s_or_b64 s[54:55], s[54:55], exec
	s_waitcnt vmcnt(0)
	v_cmp_lt_u64_e32 vcc, v[34:35], v[36:37]
	v_cmp_le_u64_e64 s[28:29], v[34:35], v[36:37]
	v_cmp_eq_u64_e64 s[30:31], v[34:35], v[36:37]
	s_and_saveexec_b64 s[60:61], s[30:31]
	s_cbranch_execz .LBB1605_860
; %bb.862:                              ;   in Loop: Header=BB1605_861 Depth=1
	s_add_u32 s58, s58, -1
	s_addc_u32 s59, s59, -1
	s_cmp_eq_u64 s[58:59], 0
	s_cselect_b64 s[30:31], -1, 0
	s_andn2_b64 s[54:55], s[54:55], exec
	s_and_b64 s[30:31], s[30:31], exec
	v_lshl_add_u64 v[0:1], v[0:1], 0, 8
	v_lshl_add_u64 v[22:23], v[22:23], 0, 8
	s_andn2_b64 s[52:53], s[52:53], exec
	s_or_b64 s[54:55], s[54:55], s[30:31]
	s_branch .LBB1605_860
.LBB1605_863:
	s_or_b64 exec, exec, s[48:49]
	s_and_saveexec_b64 s[28:29], s[50:51]
	s_xor_b64 s[28:29], exec, s[28:29]
; %bb.864:
	v_cndmask_b32_e64 v1, v7, v9, s[46:47]
	v_cndmask_b32_e64 v0, v6, v8, s[46:47]
	;; [unrolled: 1-line block ×4, first 2 shown]
	v_mov_b64_e32 v[6:7], v[0:1]
; %bb.865:
	s_or_b64 exec, exec, s[28:29]
.LBB1605_866:
	s_or_b64 exec, exec, s[44:45]
	s_and_saveexec_b64 s[44:45], s[20:21]
	s_cbranch_execz .LBB1605_875
; %bb.867:
	s_andn2_b64 vcc, exec, s[42:43]
	s_cbranch_vccnz .LBB1605_875
; %bb.868:
	v_mul_lo_u32 v22, v5, s36
	v_mul_lo_u32 v23, v4, s37
	v_mad_u64_u32 v[0:1], s[28:29], v4, s36, 0
	v_add3_u32 v1, v1, v23, v22
	v_mul_lo_u32 v25, v3, s36
	v_mul_lo_u32 v33, v2, s37
	v_mad_u64_u32 v[22:23], s[28:29], v2, s36, 0
	v_add3_u32 v23, v23, v33, v25
	v_lshl_add_u64 v[0:1], v[0:1], 3, s[38:39]
	v_lshl_add_u64 v[22:23], v[22:23], 3, s[38:39]
	s_mov_b64 s[48:49], 0
	s_mov_b64 s[58:59], s[36:37]
                                        ; implicit-def: $sgpr46_sgpr47
                                        ; implicit-def: $sgpr50_sgpr51
                                        ; implicit-def: $sgpr54_sgpr55
                                        ; implicit-def: $sgpr52_sgpr53
                                        ; implicit-def: $sgpr56_sgpr57
	s_branch .LBB1605_870
.LBB1605_869:                           ;   in Loop: Header=BB1605_870 Depth=1
	s_or_b64 exec, exec, s[60:61]
	s_and_b64 s[28:29], s[28:29], s[56:57]
	s_or_b64 s[28:29], vcc, s[28:29]
	s_and_b64 s[30:31], exec, s[54:55]
	s_or_b64 s[48:49], s[30:31], s[48:49]
	s_andn2_b64 s[30:31], s[56:57], exec
	s_and_b64 s[28:29], s[28:29], exec
	s_or_b64 s[56:57], s[30:31], s[28:29]
	s_andn2_b64 s[30:31], s[50:51], exec
	s_and_b64 s[50:51], s[52:53], exec
	s_or_b64 s[50:51], s[30:31], s[50:51]
	s_andn2_b64 s[30:31], s[46:47], exec
	s_or_b64 s[46:47], s[30:31], s[28:29]
	s_andn2_b64 exec, exec, s[48:49]
	s_cbranch_execz .LBB1605_872
.LBB1605_870:                           ; =>This Inner Loop Header: Depth=1
	global_load_dwordx2 v[34:35], v[0:1], off
	global_load_dwordx2 v[36:37], v[22:23], off
	s_or_b64 s[52:53], s[52:53], exec
	s_or_b64 s[54:55], s[54:55], exec
	s_waitcnt vmcnt(0)
	v_cmp_lt_u64_e32 vcc, v[34:35], v[36:37]
	v_cmp_le_u64_e64 s[28:29], v[34:35], v[36:37]
	v_cmp_eq_u64_e64 s[30:31], v[34:35], v[36:37]
	s_and_saveexec_b64 s[60:61], s[30:31]
	s_cbranch_execz .LBB1605_869
; %bb.871:                              ;   in Loop: Header=BB1605_870 Depth=1
	s_add_u32 s58, s58, -1
	s_addc_u32 s59, s59, -1
	s_cmp_eq_u64 s[58:59], 0
	s_cselect_b64 s[30:31], -1, 0
	s_andn2_b64 s[54:55], s[54:55], exec
	s_and_b64 s[30:31], s[30:31], exec
	v_lshl_add_u64 v[0:1], v[0:1], 0, 8
	v_lshl_add_u64 v[22:23], v[22:23], 0, 8
	s_andn2_b64 s[52:53], s[52:53], exec
	s_or_b64 s[54:55], s[54:55], s[30:31]
	s_branch .LBB1605_869
.LBB1605_872:
	s_or_b64 exec, exec, s[48:49]
	s_and_saveexec_b64 s[28:29], s[50:51]
	s_xor_b64 s[28:29], exec, s[28:29]
; %bb.873:
	v_cndmask_b32_e64 v1, v3, v5, s[46:47]
	v_cndmask_b32_e64 v0, v2, v4, s[46:47]
	;; [unrolled: 1-line block ×4, first 2 shown]
	v_mov_b64_e32 v[2:3], v[0:1]
; %bb.874:
	s_or_b64 exec, exec, s[28:29]
.LBB1605_875:
	s_or_b64 exec, exec, s[44:45]
	s_and_saveexec_b64 s[44:45], s[22:23]
	s_cbranch_execz .LBB1605_884
; %bb.876:
	s_andn2_b64 vcc, exec, s[42:43]
	s_cbranch_vccnz .LBB1605_884
; %bb.877:
	v_mul_lo_u32 v22, v11, s36
	v_mul_lo_u32 v23, v10, s37
	v_mad_u64_u32 v[0:1], s[28:29], v10, s36, 0
	v_add3_u32 v1, v1, v23, v22
	v_mul_lo_u32 v25, v17, s36
	v_mul_lo_u32 v33, v16, s37
	v_mad_u64_u32 v[22:23], s[28:29], v16, s36, 0
	v_add3_u32 v23, v23, v33, v25
	v_lshl_add_u64 v[0:1], v[0:1], 3, s[38:39]
	v_lshl_add_u64 v[22:23], v[22:23], 3, s[38:39]
	s_mov_b64 s[48:49], 0
	s_mov_b64 s[58:59], s[36:37]
                                        ; implicit-def: $sgpr46_sgpr47
                                        ; implicit-def: $sgpr50_sgpr51
                                        ; implicit-def: $sgpr54_sgpr55
                                        ; implicit-def: $sgpr52_sgpr53
                                        ; implicit-def: $sgpr56_sgpr57
	s_branch .LBB1605_879
.LBB1605_878:                           ;   in Loop: Header=BB1605_879 Depth=1
	s_or_b64 exec, exec, s[60:61]
	s_and_b64 s[28:29], s[28:29], s[56:57]
	s_or_b64 s[28:29], vcc, s[28:29]
	s_and_b64 s[30:31], exec, s[54:55]
	s_or_b64 s[48:49], s[30:31], s[48:49]
	s_andn2_b64 s[30:31], s[56:57], exec
	s_and_b64 s[28:29], s[28:29], exec
	s_or_b64 s[56:57], s[30:31], s[28:29]
	s_andn2_b64 s[30:31], s[50:51], exec
	s_and_b64 s[50:51], s[52:53], exec
	s_or_b64 s[50:51], s[30:31], s[50:51]
	s_andn2_b64 s[30:31], s[46:47], exec
	s_or_b64 s[46:47], s[30:31], s[28:29]
	s_andn2_b64 exec, exec, s[48:49]
	s_cbranch_execz .LBB1605_881
.LBB1605_879:                           ; =>This Inner Loop Header: Depth=1
	global_load_dwordx2 v[34:35], v[0:1], off
	global_load_dwordx2 v[36:37], v[22:23], off
	s_or_b64 s[52:53], s[52:53], exec
	s_or_b64 s[54:55], s[54:55], exec
	s_waitcnt vmcnt(0)
	v_cmp_lt_u64_e32 vcc, v[34:35], v[36:37]
	v_cmp_le_u64_e64 s[28:29], v[34:35], v[36:37]
	v_cmp_eq_u64_e64 s[30:31], v[34:35], v[36:37]
	s_and_saveexec_b64 s[60:61], s[30:31]
	s_cbranch_execz .LBB1605_878
; %bb.880:                              ;   in Loop: Header=BB1605_879 Depth=1
	s_add_u32 s58, s58, -1
	s_addc_u32 s59, s59, -1
	s_cmp_eq_u64 s[58:59], 0
	s_cselect_b64 s[30:31], -1, 0
	s_andn2_b64 s[54:55], s[54:55], exec
	s_and_b64 s[30:31], s[30:31], exec
	v_lshl_add_u64 v[0:1], v[0:1], 0, 8
	v_lshl_add_u64 v[22:23], v[22:23], 0, 8
	s_andn2_b64 s[52:53], s[52:53], exec
	s_or_b64 s[54:55], s[54:55], s[30:31]
	s_branch .LBB1605_878
.LBB1605_881:
	s_or_b64 exec, exec, s[48:49]
	s_and_saveexec_b64 s[28:29], s[50:51]
	s_xor_b64 s[28:29], exec, s[28:29]
; %bb.882:
	v_cndmask_b32_e64 v1, v17, v11, s[46:47]
	v_cndmask_b32_e64 v0, v16, v10, s[46:47]
	v_cndmask_b32_e64 v11, v11, v17, s[46:47]
	v_cndmask_b32_e64 v10, v10, v16, s[46:47]
	v_mov_b64_e32 v[16:17], v[0:1]
; %bb.883:
	s_or_b64 exec, exec, s[28:29]
.LBB1605_884:
	s_or_b64 exec, exec, s[44:45]
	s_and_saveexec_b64 s[44:45], s[24:25]
	s_cbranch_execz .LBB1605_893
; %bb.885:
	s_andn2_b64 vcc, exec, s[42:43]
	s_cbranch_vccnz .LBB1605_893
; %bb.886:
	v_mul_lo_u32 v22, v7, s36
	v_mul_lo_u32 v23, v6, s37
	v_mad_u64_u32 v[0:1], s[28:29], v6, s36, 0
	v_add3_u32 v1, v1, v23, v22
	v_mul_lo_u32 v25, v13, s36
	v_mul_lo_u32 v33, v12, s37
	v_mad_u64_u32 v[22:23], s[28:29], v12, s36, 0
	v_add3_u32 v23, v23, v33, v25
	v_lshl_add_u64 v[0:1], v[0:1], 3, s[38:39]
	v_lshl_add_u64 v[22:23], v[22:23], 3, s[38:39]
	s_mov_b64 s[48:49], 0
	s_mov_b64 s[58:59], s[36:37]
                                        ; implicit-def: $sgpr46_sgpr47
                                        ; implicit-def: $sgpr50_sgpr51
                                        ; implicit-def: $sgpr54_sgpr55
                                        ; implicit-def: $sgpr52_sgpr53
                                        ; implicit-def: $sgpr56_sgpr57
	s_branch .LBB1605_888
.LBB1605_887:                           ;   in Loop: Header=BB1605_888 Depth=1
	s_or_b64 exec, exec, s[60:61]
	s_and_b64 s[28:29], s[28:29], s[56:57]
	s_or_b64 s[28:29], vcc, s[28:29]
	s_and_b64 s[30:31], exec, s[54:55]
	s_or_b64 s[48:49], s[30:31], s[48:49]
	s_andn2_b64 s[30:31], s[56:57], exec
	s_and_b64 s[28:29], s[28:29], exec
	s_or_b64 s[56:57], s[30:31], s[28:29]
	s_andn2_b64 s[30:31], s[50:51], exec
	s_and_b64 s[50:51], s[52:53], exec
	s_or_b64 s[50:51], s[30:31], s[50:51]
	s_andn2_b64 s[30:31], s[46:47], exec
	s_or_b64 s[46:47], s[30:31], s[28:29]
	s_andn2_b64 exec, exec, s[48:49]
	s_cbranch_execz .LBB1605_890
.LBB1605_888:                           ; =>This Inner Loop Header: Depth=1
	global_load_dwordx2 v[34:35], v[0:1], off
	global_load_dwordx2 v[36:37], v[22:23], off
	s_or_b64 s[52:53], s[52:53], exec
	s_or_b64 s[54:55], s[54:55], exec
	s_waitcnt vmcnt(0)
	v_cmp_lt_u64_e32 vcc, v[34:35], v[36:37]
	v_cmp_le_u64_e64 s[28:29], v[34:35], v[36:37]
	v_cmp_eq_u64_e64 s[30:31], v[34:35], v[36:37]
	s_and_saveexec_b64 s[60:61], s[30:31]
	s_cbranch_execz .LBB1605_887
; %bb.889:                              ;   in Loop: Header=BB1605_888 Depth=1
	s_add_u32 s58, s58, -1
	s_addc_u32 s59, s59, -1
	s_cmp_eq_u64 s[58:59], 0
	s_cselect_b64 s[30:31], -1, 0
	s_andn2_b64 s[54:55], s[54:55], exec
	s_and_b64 s[30:31], s[30:31], exec
	v_lshl_add_u64 v[0:1], v[0:1], 0, 8
	v_lshl_add_u64 v[22:23], v[22:23], 0, 8
	s_andn2_b64 s[52:53], s[52:53], exec
	s_or_b64 s[54:55], s[54:55], s[30:31]
	s_branch .LBB1605_887
.LBB1605_890:
	s_or_b64 exec, exec, s[48:49]
	s_and_saveexec_b64 s[28:29], s[50:51]
	s_xor_b64 s[28:29], exec, s[28:29]
; %bb.891:
	v_cndmask_b32_e64 v1, v13, v7, s[46:47]
	v_cndmask_b32_e64 v0, v12, v6, s[46:47]
	;; [unrolled: 1-line block ×4, first 2 shown]
	v_mov_b64_e32 v[12:13], v[0:1]
; %bb.892:
	s_or_b64 exec, exec, s[28:29]
.LBB1605_893:
	s_or_b64 exec, exec, s[44:45]
	s_and_saveexec_b64 s[44:45], s[26:27]
	s_cbranch_execz .LBB1605_902
; %bb.894:
	s_andn2_b64 vcc, exec, s[42:43]
	s_cbranch_vccnz .LBB1605_902
; %bb.895:
	v_mul_lo_u32 v22, v3, s36
	v_mul_lo_u32 v23, v2, s37
	v_mad_u64_u32 v[0:1], s[28:29], v2, s36, 0
	v_add3_u32 v1, v1, v23, v22
	v_mul_lo_u32 v25, v9, s36
	v_mul_lo_u32 v33, v8, s37
	v_mad_u64_u32 v[22:23], s[28:29], v8, s36, 0
	v_add3_u32 v23, v23, v33, v25
	v_lshl_add_u64 v[0:1], v[0:1], 3, s[38:39]
	v_lshl_add_u64 v[22:23], v[22:23], 3, s[38:39]
	s_mov_b64 s[48:49], 0
	s_mov_b64 s[58:59], s[36:37]
                                        ; implicit-def: $sgpr46_sgpr47
                                        ; implicit-def: $sgpr50_sgpr51
                                        ; implicit-def: $sgpr54_sgpr55
                                        ; implicit-def: $sgpr52_sgpr53
                                        ; implicit-def: $sgpr56_sgpr57
	s_branch .LBB1605_897
.LBB1605_896:                           ;   in Loop: Header=BB1605_897 Depth=1
	s_or_b64 exec, exec, s[60:61]
	s_and_b64 s[28:29], s[28:29], s[56:57]
	s_or_b64 s[28:29], vcc, s[28:29]
	s_and_b64 s[30:31], exec, s[54:55]
	s_or_b64 s[48:49], s[30:31], s[48:49]
	s_andn2_b64 s[30:31], s[56:57], exec
	s_and_b64 s[28:29], s[28:29], exec
	s_or_b64 s[56:57], s[30:31], s[28:29]
	s_andn2_b64 s[30:31], s[50:51], exec
	s_and_b64 s[50:51], s[52:53], exec
	s_or_b64 s[50:51], s[30:31], s[50:51]
	s_andn2_b64 s[30:31], s[46:47], exec
	s_or_b64 s[46:47], s[30:31], s[28:29]
	s_andn2_b64 exec, exec, s[48:49]
	s_cbranch_execz .LBB1605_899
.LBB1605_897:                           ; =>This Inner Loop Header: Depth=1
	global_load_dwordx2 v[34:35], v[0:1], off
	global_load_dwordx2 v[36:37], v[22:23], off
	s_or_b64 s[52:53], s[52:53], exec
	s_or_b64 s[54:55], s[54:55], exec
	s_waitcnt vmcnt(0)
	v_cmp_lt_u64_e32 vcc, v[34:35], v[36:37]
	v_cmp_le_u64_e64 s[28:29], v[34:35], v[36:37]
	v_cmp_eq_u64_e64 s[30:31], v[34:35], v[36:37]
	s_and_saveexec_b64 s[60:61], s[30:31]
	s_cbranch_execz .LBB1605_896
; %bb.898:                              ;   in Loop: Header=BB1605_897 Depth=1
	s_add_u32 s58, s58, -1
	s_addc_u32 s59, s59, -1
	s_cmp_eq_u64 s[58:59], 0
	s_cselect_b64 s[30:31], -1, 0
	s_andn2_b64 s[54:55], s[54:55], exec
	s_and_b64 s[30:31], s[30:31], exec
	v_lshl_add_u64 v[0:1], v[0:1], 0, 8
	v_lshl_add_u64 v[22:23], v[22:23], 0, 8
	s_andn2_b64 s[52:53], s[52:53], exec
	s_or_b64 s[54:55], s[54:55], s[30:31]
	s_branch .LBB1605_896
.LBB1605_899:
	s_or_b64 exec, exec, s[48:49]
	s_and_saveexec_b64 s[28:29], s[50:51]
	s_xor_b64 s[28:29], exec, s[28:29]
; %bb.900:
	v_cndmask_b32_e64 v1, v9, v3, s[46:47]
	v_cndmask_b32_e64 v0, v8, v2, s[46:47]
	;; [unrolled: 1-line block ×4, first 2 shown]
	v_mov_b64_e32 v[8:9], v[0:1]
; %bb.901:
	s_or_b64 exec, exec, s[28:29]
.LBB1605_902:
	s_or_b64 exec, exec, s[44:45]
	s_and_saveexec_b64 s[30:31], s[14:15]
	s_cbranch_execz .LBB1605_911
; %bb.903:
	s_andn2_b64 vcc, exec, s[42:43]
	s_cbranch_vccnz .LBB1605_911
; %bb.904:
	v_mul_lo_u32 v22, v17, s36
	v_mul_lo_u32 v23, v16, s37
	v_mad_u64_u32 v[0:1], s[14:15], v16, s36, 0
	v_add3_u32 v1, v1, v23, v22
	v_mul_lo_u32 v25, v15, s36
	v_mul_lo_u32 v33, v14, s37
	v_mad_u64_u32 v[22:23], s[14:15], v14, s36, 0
	v_add3_u32 v23, v23, v33, v25
	v_lshl_add_u64 v[0:1], v[0:1], 3, s[38:39]
	v_lshl_add_u64 v[22:23], v[22:23], 3, s[38:39]
	s_mov_b64 s[46:47], 0
	s_mov_b64 s[56:57], s[36:37]
                                        ; implicit-def: $sgpr44_sgpr45
                                        ; implicit-def: $sgpr48_sgpr49
                                        ; implicit-def: $sgpr52_sgpr53
                                        ; implicit-def: $sgpr50_sgpr51
                                        ; implicit-def: $sgpr54_sgpr55
	s_branch .LBB1605_906
.LBB1605_905:                           ;   in Loop: Header=BB1605_906 Depth=1
	s_or_b64 exec, exec, s[58:59]
	s_and_b64 s[14:15], s[14:15], s[54:55]
	s_or_b64 s[14:15], vcc, s[14:15]
	s_and_b64 s[28:29], exec, s[52:53]
	s_or_b64 s[46:47], s[28:29], s[46:47]
	s_andn2_b64 s[28:29], s[54:55], exec
	s_and_b64 s[14:15], s[14:15], exec
	s_or_b64 s[54:55], s[28:29], s[14:15]
	s_andn2_b64 s[28:29], s[48:49], exec
	s_and_b64 s[48:49], s[50:51], exec
	s_or_b64 s[48:49], s[28:29], s[48:49]
	s_andn2_b64 s[28:29], s[44:45], exec
	s_or_b64 s[44:45], s[28:29], s[14:15]
	s_andn2_b64 exec, exec, s[46:47]
	s_cbranch_execz .LBB1605_908
.LBB1605_906:                           ; =>This Inner Loop Header: Depth=1
	global_load_dwordx2 v[34:35], v[0:1], off
	global_load_dwordx2 v[36:37], v[22:23], off
	s_or_b64 s[50:51], s[50:51], exec
	s_or_b64 s[52:53], s[52:53], exec
	s_waitcnt vmcnt(0)
	v_cmp_lt_u64_e32 vcc, v[34:35], v[36:37]
	v_cmp_le_u64_e64 s[14:15], v[34:35], v[36:37]
	v_cmp_eq_u64_e64 s[28:29], v[34:35], v[36:37]
	s_and_saveexec_b64 s[58:59], s[28:29]
	s_cbranch_execz .LBB1605_905
; %bb.907:                              ;   in Loop: Header=BB1605_906 Depth=1
	s_add_u32 s56, s56, -1
	s_addc_u32 s57, s57, -1
	s_cmp_eq_u64 s[56:57], 0
	s_cselect_b64 s[28:29], -1, 0
	s_andn2_b64 s[52:53], s[52:53], exec
	s_and_b64 s[28:29], s[28:29], exec
	v_lshl_add_u64 v[0:1], v[0:1], 0, 8
	v_lshl_add_u64 v[22:23], v[22:23], 0, 8
	s_andn2_b64 s[50:51], s[50:51], exec
	s_or_b64 s[52:53], s[52:53], s[28:29]
	s_branch .LBB1605_905
.LBB1605_908:
	s_or_b64 exec, exec, s[46:47]
	s_and_saveexec_b64 s[14:15], s[48:49]
	s_xor_b64 s[14:15], exec, s[14:15]
; %bb.909:
	v_cndmask_b32_e64 v1, v17, v15, s[44:45]
	v_cndmask_b32_e64 v0, v16, v14, s[44:45]
	;; [unrolled: 1-line block ×4, first 2 shown]
	v_mov_b64_e32 v[16:17], v[0:1]
; %bb.910:
	s_or_b64 exec, exec, s[14:15]
.LBB1605_911:
	s_or_b64 exec, exec, s[30:31]
	s_and_saveexec_b64 s[28:29], s[16:17]
	s_cbranch_execz .LBB1605_920
; %bb.912:
	s_andn2_b64 vcc, exec, s[42:43]
	s_cbranch_vccnz .LBB1605_920
; %bb.913:
	v_mul_lo_u32 v22, v13, s36
	v_mul_lo_u32 v23, v12, s37
	v_mad_u64_u32 v[0:1], s[14:15], v12, s36, 0
	v_add3_u32 v1, v1, v23, v22
	v_mul_lo_u32 v25, v11, s36
	v_mul_lo_u32 v33, v10, s37
	v_mad_u64_u32 v[22:23], s[14:15], v10, s36, 0
	v_add3_u32 v23, v23, v33, v25
	v_lshl_add_u64 v[0:1], v[0:1], 3, s[38:39]
	v_lshl_add_u64 v[22:23], v[22:23], 3, s[38:39]
	s_mov_b64 s[44:45], 0
	s_mov_b64 s[54:55], s[36:37]
                                        ; implicit-def: $sgpr30_sgpr31
                                        ; implicit-def: $sgpr46_sgpr47
                                        ; implicit-def: $sgpr50_sgpr51
                                        ; implicit-def: $sgpr48_sgpr49
                                        ; implicit-def: $sgpr52_sgpr53
	s_branch .LBB1605_915
.LBB1605_914:                           ;   in Loop: Header=BB1605_915 Depth=1
	s_or_b64 exec, exec, s[56:57]
	s_and_b64 s[14:15], s[14:15], s[52:53]
	s_or_b64 s[14:15], vcc, s[14:15]
	s_and_b64 s[16:17], exec, s[50:51]
	s_or_b64 s[44:45], s[16:17], s[44:45]
	s_andn2_b64 s[16:17], s[52:53], exec
	s_and_b64 s[14:15], s[14:15], exec
	s_or_b64 s[52:53], s[16:17], s[14:15]
	s_andn2_b64 s[16:17], s[46:47], exec
	s_and_b64 s[46:47], s[48:49], exec
	s_or_b64 s[46:47], s[16:17], s[46:47]
	s_andn2_b64 s[16:17], s[30:31], exec
	s_or_b64 s[30:31], s[16:17], s[14:15]
	s_andn2_b64 exec, exec, s[44:45]
	s_cbranch_execz .LBB1605_917
.LBB1605_915:                           ; =>This Inner Loop Header: Depth=1
	global_load_dwordx2 v[34:35], v[0:1], off
	global_load_dwordx2 v[36:37], v[22:23], off
	s_or_b64 s[48:49], s[48:49], exec
	s_or_b64 s[50:51], s[50:51], exec
	s_waitcnt vmcnt(0)
	v_cmp_lt_u64_e32 vcc, v[34:35], v[36:37]
	v_cmp_le_u64_e64 s[14:15], v[34:35], v[36:37]
	v_cmp_eq_u64_e64 s[16:17], v[34:35], v[36:37]
	s_and_saveexec_b64 s[56:57], s[16:17]
	s_cbranch_execz .LBB1605_914
; %bb.916:                              ;   in Loop: Header=BB1605_915 Depth=1
	s_add_u32 s54, s54, -1
	s_addc_u32 s55, s55, -1
	s_cmp_eq_u64 s[54:55], 0
	s_cselect_b64 s[16:17], -1, 0
	s_andn2_b64 s[50:51], s[50:51], exec
	s_and_b64 s[16:17], s[16:17], exec
	v_lshl_add_u64 v[0:1], v[0:1], 0, 8
	v_lshl_add_u64 v[22:23], v[22:23], 0, 8
	s_andn2_b64 s[48:49], s[48:49], exec
	s_or_b64 s[50:51], s[50:51], s[16:17]
	s_branch .LBB1605_914
.LBB1605_917:
	s_or_b64 exec, exec, s[44:45]
	s_and_saveexec_b64 s[14:15], s[46:47]
	s_xor_b64 s[14:15], exec, s[14:15]
; %bb.918:
	v_cndmask_b32_e64 v1, v11, v13, s[30:31]
	v_cndmask_b32_e64 v0, v10, v12, s[30:31]
	;; [unrolled: 1-line block ×4, first 2 shown]
	v_mov_b64_e32 v[10:11], v[0:1]
; %bb.919:
	s_or_b64 exec, exec, s[14:15]
.LBB1605_920:
	s_or_b64 exec, exec, s[28:29]
	s_and_saveexec_b64 s[28:29], s[18:19]
	s_cbranch_execz .LBB1605_929
; %bb.921:
	s_andn2_b64 vcc, exec, s[42:43]
	s_cbranch_vccnz .LBB1605_929
; %bb.922:
	v_mul_lo_u32 v22, v9, s36
	v_mul_lo_u32 v23, v8, s37
	v_mad_u64_u32 v[0:1], s[14:15], v8, s36, 0
	v_add3_u32 v1, v1, v23, v22
	v_mul_lo_u32 v25, v7, s36
	v_mul_lo_u32 v33, v6, s37
	v_mad_u64_u32 v[22:23], s[14:15], v6, s36, 0
	v_add3_u32 v23, v23, v33, v25
	v_lshl_add_u64 v[0:1], v[0:1], 3, s[38:39]
	v_lshl_add_u64 v[22:23], v[22:23], 3, s[38:39]
	s_mov_b64 s[30:31], 0
	s_mov_b64 s[52:53], s[36:37]
                                        ; implicit-def: $sgpr18_sgpr19
                                        ; implicit-def: $sgpr44_sgpr45
                                        ; implicit-def: $sgpr48_sgpr49
                                        ; implicit-def: $sgpr46_sgpr47
                                        ; implicit-def: $sgpr50_sgpr51
	s_branch .LBB1605_924
.LBB1605_923:                           ;   in Loop: Header=BB1605_924 Depth=1
	s_or_b64 exec, exec, s[54:55]
	s_and_b64 s[14:15], s[14:15], s[50:51]
	s_or_b64 s[14:15], vcc, s[14:15]
	s_and_b64 s[16:17], exec, s[48:49]
	s_or_b64 s[30:31], s[16:17], s[30:31]
	s_andn2_b64 s[16:17], s[50:51], exec
	s_and_b64 s[14:15], s[14:15], exec
	s_or_b64 s[50:51], s[16:17], s[14:15]
	s_andn2_b64 s[16:17], s[44:45], exec
	s_and_b64 s[44:45], s[46:47], exec
	s_or_b64 s[44:45], s[16:17], s[44:45]
	s_andn2_b64 s[16:17], s[18:19], exec
	s_or_b64 s[18:19], s[16:17], s[14:15]
	s_andn2_b64 exec, exec, s[30:31]
	s_cbranch_execz .LBB1605_926
.LBB1605_924:                           ; =>This Inner Loop Header: Depth=1
	global_load_dwordx2 v[34:35], v[0:1], off
	global_load_dwordx2 v[36:37], v[22:23], off
	s_or_b64 s[46:47], s[46:47], exec
	s_or_b64 s[48:49], s[48:49], exec
	s_waitcnt vmcnt(0)
	v_cmp_lt_u64_e32 vcc, v[34:35], v[36:37]
	v_cmp_le_u64_e64 s[14:15], v[34:35], v[36:37]
	v_cmp_eq_u64_e64 s[16:17], v[34:35], v[36:37]
	s_and_saveexec_b64 s[54:55], s[16:17]
	s_cbranch_execz .LBB1605_923
; %bb.925:                              ;   in Loop: Header=BB1605_924 Depth=1
	s_add_u32 s52, s52, -1
	s_addc_u32 s53, s53, -1
	s_cmp_eq_u64 s[52:53], 0
	s_cselect_b64 s[16:17], -1, 0
	s_andn2_b64 s[48:49], s[48:49], exec
	s_and_b64 s[16:17], s[16:17], exec
	v_lshl_add_u64 v[0:1], v[0:1], 0, 8
	v_lshl_add_u64 v[22:23], v[22:23], 0, 8
	s_andn2_b64 s[46:47], s[46:47], exec
	s_or_b64 s[48:49], s[48:49], s[16:17]
	s_branch .LBB1605_923
.LBB1605_926:
	s_or_b64 exec, exec, s[30:31]
	s_and_saveexec_b64 s[14:15], s[44:45]
	s_xor_b64 s[14:15], exec, s[14:15]
; %bb.927:
	v_cndmask_b32_e64 v1, v7, v9, s[18:19]
	v_cndmask_b32_e64 v0, v6, v8, s[18:19]
	;; [unrolled: 1-line block ×4, first 2 shown]
	v_mov_b64_e32 v[6:7], v[0:1]
; %bb.928:
	s_or_b64 exec, exec, s[14:15]
.LBB1605_929:
	s_or_b64 exec, exec, s[28:29]
	s_and_saveexec_b64 s[18:19], s[20:21]
	s_cbranch_execz .LBB1605_938
; %bb.930:
	s_andn2_b64 vcc, exec, s[42:43]
	s_cbranch_vccnz .LBB1605_938
; %bb.931:
	v_mul_lo_u32 v22, v5, s36
	v_mul_lo_u32 v23, v4, s37
	v_mad_u64_u32 v[0:1], s[14:15], v4, s36, 0
	v_add3_u32 v1, v1, v23, v22
	v_mul_lo_u32 v25, v3, s36
	v_mul_lo_u32 v33, v2, s37
	v_mad_u64_u32 v[22:23], s[14:15], v2, s36, 0
	v_add3_u32 v23, v23, v33, v25
	v_lshl_add_u64 v[0:1], v[0:1], 3, s[38:39]
	v_lshl_add_u64 v[22:23], v[22:23], 3, s[38:39]
	s_mov_b64 s[28:29], 0
	s_mov_b64 s[50:51], s[36:37]
                                        ; implicit-def: $sgpr20_sgpr21
                                        ; implicit-def: $sgpr30_sgpr31
                                        ; implicit-def: $sgpr46_sgpr47
                                        ; implicit-def: $sgpr44_sgpr45
                                        ; implicit-def: $sgpr48_sgpr49
	s_branch .LBB1605_933
.LBB1605_932:                           ;   in Loop: Header=BB1605_933 Depth=1
	s_or_b64 exec, exec, s[52:53]
	s_and_b64 s[14:15], s[14:15], s[48:49]
	s_or_b64 s[14:15], vcc, s[14:15]
	s_and_b64 s[16:17], exec, s[46:47]
	s_or_b64 s[28:29], s[16:17], s[28:29]
	s_andn2_b64 s[16:17], s[48:49], exec
	s_and_b64 s[14:15], s[14:15], exec
	s_or_b64 s[48:49], s[16:17], s[14:15]
	s_andn2_b64 s[16:17], s[30:31], exec
	s_and_b64 s[30:31], s[44:45], exec
	s_or_b64 s[30:31], s[16:17], s[30:31]
	s_andn2_b64 s[16:17], s[20:21], exec
	s_or_b64 s[20:21], s[16:17], s[14:15]
	s_andn2_b64 exec, exec, s[28:29]
	s_cbranch_execz .LBB1605_935
.LBB1605_933:                           ; =>This Inner Loop Header: Depth=1
	global_load_dwordx2 v[34:35], v[0:1], off
	global_load_dwordx2 v[36:37], v[22:23], off
	s_or_b64 s[44:45], s[44:45], exec
	s_or_b64 s[46:47], s[46:47], exec
	s_waitcnt vmcnt(0)
	v_cmp_lt_u64_e32 vcc, v[34:35], v[36:37]
	v_cmp_le_u64_e64 s[14:15], v[34:35], v[36:37]
	v_cmp_eq_u64_e64 s[16:17], v[34:35], v[36:37]
	s_and_saveexec_b64 s[52:53], s[16:17]
	s_cbranch_execz .LBB1605_932
; %bb.934:                              ;   in Loop: Header=BB1605_933 Depth=1
	s_add_u32 s50, s50, -1
	s_addc_u32 s51, s51, -1
	s_cmp_eq_u64 s[50:51], 0
	s_cselect_b64 s[16:17], -1, 0
	s_andn2_b64 s[46:47], s[46:47], exec
	s_and_b64 s[16:17], s[16:17], exec
	v_lshl_add_u64 v[0:1], v[0:1], 0, 8
	v_lshl_add_u64 v[22:23], v[22:23], 0, 8
	s_andn2_b64 s[44:45], s[44:45], exec
	s_or_b64 s[46:47], s[46:47], s[16:17]
	s_branch .LBB1605_932
.LBB1605_935:
	s_or_b64 exec, exec, s[28:29]
	s_and_saveexec_b64 s[14:15], s[30:31]
	s_xor_b64 s[14:15], exec, s[14:15]
; %bb.936:
	v_cndmask_b32_e64 v1, v3, v5, s[20:21]
	v_cndmask_b32_e64 v0, v2, v4, s[20:21]
	;; [unrolled: 1-line block ×4, first 2 shown]
	v_mov_b64_e32 v[2:3], v[0:1]
; %bb.937:
	s_or_b64 exec, exec, s[14:15]
.LBB1605_938:
	s_or_b64 exec, exec, s[18:19]
	s_and_saveexec_b64 s[18:19], s[22:23]
	s_cbranch_execz .LBB1605_947
; %bb.939:
	s_andn2_b64 vcc, exec, s[42:43]
	s_cbranch_vccnz .LBB1605_947
; %bb.940:
	v_mul_lo_u32 v22, v11, s36
	v_mul_lo_u32 v23, v10, s37
	v_mad_u64_u32 v[0:1], s[14:15], v10, s36, 0
	v_add3_u32 v1, v1, v23, v22
	v_mul_lo_u32 v25, v17, s36
	v_mul_lo_u32 v33, v16, s37
	v_mad_u64_u32 v[22:23], s[14:15], v16, s36, 0
	v_add3_u32 v23, v23, v33, v25
	v_lshl_add_u64 v[0:1], v[0:1], 3, s[38:39]
	v_lshl_add_u64 v[22:23], v[22:23], 3, s[38:39]
	s_mov_b64 s[22:23], 0
	s_mov_b64 s[48:49], s[36:37]
                                        ; implicit-def: $sgpr20_sgpr21
                                        ; implicit-def: $sgpr28_sgpr29
                                        ; implicit-def: $sgpr44_sgpr45
                                        ; implicit-def: $sgpr30_sgpr31
                                        ; implicit-def: $sgpr46_sgpr47
	s_branch .LBB1605_942
.LBB1605_941:                           ;   in Loop: Header=BB1605_942 Depth=1
	s_or_b64 exec, exec, s[50:51]
	s_and_b64 s[14:15], s[14:15], s[46:47]
	s_or_b64 s[14:15], vcc, s[14:15]
	s_and_b64 s[16:17], exec, s[44:45]
	s_or_b64 s[22:23], s[16:17], s[22:23]
	s_andn2_b64 s[16:17], s[46:47], exec
	s_and_b64 s[14:15], s[14:15], exec
	s_or_b64 s[46:47], s[16:17], s[14:15]
	s_andn2_b64 s[16:17], s[28:29], exec
	s_and_b64 s[28:29], s[30:31], exec
	s_or_b64 s[28:29], s[16:17], s[28:29]
	s_andn2_b64 s[16:17], s[20:21], exec
	s_or_b64 s[20:21], s[16:17], s[14:15]
	s_andn2_b64 exec, exec, s[22:23]
	s_cbranch_execz .LBB1605_944
.LBB1605_942:                           ; =>This Inner Loop Header: Depth=1
	global_load_dwordx2 v[34:35], v[0:1], off
	global_load_dwordx2 v[36:37], v[22:23], off
	s_or_b64 s[30:31], s[30:31], exec
	s_or_b64 s[44:45], s[44:45], exec
	s_waitcnt vmcnt(0)
	v_cmp_lt_u64_e32 vcc, v[34:35], v[36:37]
	v_cmp_le_u64_e64 s[14:15], v[34:35], v[36:37]
	v_cmp_eq_u64_e64 s[16:17], v[34:35], v[36:37]
	s_and_saveexec_b64 s[50:51], s[16:17]
	s_cbranch_execz .LBB1605_941
; %bb.943:                              ;   in Loop: Header=BB1605_942 Depth=1
	s_add_u32 s48, s48, -1
	s_addc_u32 s49, s49, -1
	s_cmp_eq_u64 s[48:49], 0
	s_cselect_b64 s[16:17], -1, 0
	s_andn2_b64 s[44:45], s[44:45], exec
	s_and_b64 s[16:17], s[16:17], exec
	v_lshl_add_u64 v[0:1], v[0:1], 0, 8
	v_lshl_add_u64 v[22:23], v[22:23], 0, 8
	s_andn2_b64 s[30:31], s[30:31], exec
	s_or_b64 s[44:45], s[44:45], s[16:17]
	s_branch .LBB1605_941
.LBB1605_944:
	s_or_b64 exec, exec, s[22:23]
	s_and_saveexec_b64 s[14:15], s[28:29]
	s_xor_b64 s[14:15], exec, s[14:15]
; %bb.945:
	v_cndmask_b32_e64 v1, v17, v11, s[20:21]
	v_cndmask_b32_e64 v0, v16, v10, s[20:21]
	;; [unrolled: 1-line block ×4, first 2 shown]
	v_mov_b64_e32 v[16:17], v[0:1]
; %bb.946:
	s_or_b64 exec, exec, s[14:15]
.LBB1605_947:
	s_or_b64 exec, exec, s[18:19]
	s_and_saveexec_b64 s[18:19], s[24:25]
	s_cbranch_execz .LBB1605_956
; %bb.948:
	s_andn2_b64 vcc, exec, s[42:43]
	s_cbranch_vccnz .LBB1605_956
; %bb.949:
	v_mul_lo_u32 v22, v7, s36
	v_mul_lo_u32 v23, v6, s37
	v_mad_u64_u32 v[0:1], s[14:15], v6, s36, 0
	v_add3_u32 v1, v1, v23, v22
	v_mul_lo_u32 v25, v13, s36
	v_mul_lo_u32 v33, v12, s37
	v_mad_u64_u32 v[22:23], s[14:15], v12, s36, 0
	v_add3_u32 v23, v23, v33, v25
	v_lshl_add_u64 v[0:1], v[0:1], 3, s[38:39]
	v_lshl_add_u64 v[22:23], v[22:23], 3, s[38:39]
	s_mov_b64 s[22:23], 0
	s_mov_b64 s[46:47], s[36:37]
                                        ; implicit-def: $sgpr20_sgpr21
                                        ; implicit-def: $sgpr24_sgpr25
                                        ; implicit-def: $sgpr30_sgpr31
                                        ; implicit-def: $sgpr28_sgpr29
                                        ; implicit-def: $sgpr44_sgpr45
	s_branch .LBB1605_951
.LBB1605_950:                           ;   in Loop: Header=BB1605_951 Depth=1
	s_or_b64 exec, exec, s[48:49]
	s_and_b64 s[14:15], s[14:15], s[44:45]
	s_or_b64 s[14:15], vcc, s[14:15]
	s_and_b64 s[16:17], exec, s[30:31]
	s_or_b64 s[22:23], s[16:17], s[22:23]
	s_andn2_b64 s[16:17], s[44:45], exec
	s_and_b64 s[14:15], s[14:15], exec
	s_or_b64 s[44:45], s[16:17], s[14:15]
	s_andn2_b64 s[16:17], s[24:25], exec
	s_and_b64 s[24:25], s[28:29], exec
	s_or_b64 s[24:25], s[16:17], s[24:25]
	s_andn2_b64 s[16:17], s[20:21], exec
	s_or_b64 s[20:21], s[16:17], s[14:15]
	s_andn2_b64 exec, exec, s[22:23]
	s_cbranch_execz .LBB1605_953
.LBB1605_951:                           ; =>This Inner Loop Header: Depth=1
	global_load_dwordx2 v[34:35], v[0:1], off
	global_load_dwordx2 v[36:37], v[22:23], off
	s_or_b64 s[28:29], s[28:29], exec
	s_or_b64 s[30:31], s[30:31], exec
	s_waitcnt vmcnt(0)
	v_cmp_lt_u64_e32 vcc, v[34:35], v[36:37]
	v_cmp_le_u64_e64 s[14:15], v[34:35], v[36:37]
	v_cmp_eq_u64_e64 s[16:17], v[34:35], v[36:37]
	s_and_saveexec_b64 s[48:49], s[16:17]
	s_cbranch_execz .LBB1605_950
; %bb.952:                              ;   in Loop: Header=BB1605_951 Depth=1
	s_add_u32 s46, s46, -1
	s_addc_u32 s47, s47, -1
	s_cmp_eq_u64 s[46:47], 0
	s_cselect_b64 s[16:17], -1, 0
	s_andn2_b64 s[30:31], s[30:31], exec
	s_and_b64 s[16:17], s[16:17], exec
	v_lshl_add_u64 v[0:1], v[0:1], 0, 8
	v_lshl_add_u64 v[22:23], v[22:23], 0, 8
	s_andn2_b64 s[28:29], s[28:29], exec
	s_or_b64 s[30:31], s[30:31], s[16:17]
	s_branch .LBB1605_950
.LBB1605_953:
	s_or_b64 exec, exec, s[22:23]
	s_and_saveexec_b64 s[14:15], s[24:25]
	s_xor_b64 s[14:15], exec, s[14:15]
; %bb.954:
	v_cndmask_b32_e64 v1, v13, v7, s[20:21]
	v_cndmask_b32_e64 v0, v12, v6, s[20:21]
	v_cndmask_b32_e64 v7, v7, v13, s[20:21]
	v_cndmask_b32_e64 v6, v6, v12, s[20:21]
	v_mov_b64_e32 v[12:13], v[0:1]
; %bb.955:
	s_or_b64 exec, exec, s[14:15]
.LBB1605_956:
	s_or_b64 exec, exec, s[18:19]
	s_and_saveexec_b64 s[18:19], s[26:27]
	s_cbranch_execz .LBB1605_965
; %bb.957:
	s_andn2_b64 vcc, exec, s[42:43]
	s_cbranch_vccnz .LBB1605_965
; %bb.958:
	v_mul_lo_u32 v22, v3, s36
	v_mul_lo_u32 v23, v2, s37
	v_mad_u64_u32 v[0:1], s[14:15], v2, s36, 0
	v_add3_u32 v1, v1, v23, v22
	v_mul_lo_u32 v25, v9, s36
	v_mul_lo_u32 v33, v8, s37
	v_mad_u64_u32 v[22:23], s[14:15], v8, s36, 0
	v_add3_u32 v23, v23, v33, v25
	v_lshl_add_u64 v[0:1], v[0:1], 3, s[38:39]
	v_lshl_add_u64 v[22:23], v[22:23], 3, s[38:39]
	s_mov_b64 s[22:23], 0
	s_mov_b64 s[44:45], s[36:37]
                                        ; implicit-def: $sgpr20_sgpr21
                                        ; implicit-def: $sgpr24_sgpr25
                                        ; implicit-def: $sgpr28_sgpr29
                                        ; implicit-def: $sgpr26_sgpr27
                                        ; implicit-def: $sgpr30_sgpr31
	s_branch .LBB1605_960
.LBB1605_959:                           ;   in Loop: Header=BB1605_960 Depth=1
	s_or_b64 exec, exec, s[46:47]
	s_and_b64 s[14:15], s[14:15], s[30:31]
	s_or_b64 s[14:15], vcc, s[14:15]
	s_and_b64 s[16:17], exec, s[28:29]
	s_or_b64 s[22:23], s[16:17], s[22:23]
	s_andn2_b64 s[16:17], s[30:31], exec
	s_and_b64 s[14:15], s[14:15], exec
	s_or_b64 s[30:31], s[16:17], s[14:15]
	s_andn2_b64 s[16:17], s[24:25], exec
	s_and_b64 s[24:25], s[26:27], exec
	s_or_b64 s[24:25], s[16:17], s[24:25]
	s_andn2_b64 s[16:17], s[20:21], exec
	s_or_b64 s[20:21], s[16:17], s[14:15]
	s_andn2_b64 exec, exec, s[22:23]
	s_cbranch_execz .LBB1605_962
.LBB1605_960:                           ; =>This Inner Loop Header: Depth=1
	global_load_dwordx2 v[34:35], v[0:1], off
	global_load_dwordx2 v[36:37], v[22:23], off
	s_or_b64 s[26:27], s[26:27], exec
	s_or_b64 s[28:29], s[28:29], exec
	s_waitcnt vmcnt(0)
	v_cmp_lt_u64_e32 vcc, v[34:35], v[36:37]
	v_cmp_le_u64_e64 s[14:15], v[34:35], v[36:37]
	v_cmp_eq_u64_e64 s[16:17], v[34:35], v[36:37]
	s_and_saveexec_b64 s[46:47], s[16:17]
	s_cbranch_execz .LBB1605_959
; %bb.961:                              ;   in Loop: Header=BB1605_960 Depth=1
	s_add_u32 s44, s44, -1
	s_addc_u32 s45, s45, -1
	s_cmp_eq_u64 s[44:45], 0
	s_cselect_b64 s[16:17], -1, 0
	s_andn2_b64 s[28:29], s[28:29], exec
	s_and_b64 s[16:17], s[16:17], exec
	v_lshl_add_u64 v[0:1], v[0:1], 0, 8
	v_lshl_add_u64 v[22:23], v[22:23], 0, 8
	s_andn2_b64 s[26:27], s[26:27], exec
	s_or_b64 s[28:29], s[28:29], s[16:17]
	s_branch .LBB1605_959
.LBB1605_962:
	s_or_b64 exec, exec, s[22:23]
	s_and_saveexec_b64 s[14:15], s[24:25]
	s_xor_b64 s[14:15], exec, s[14:15]
; %bb.963:
	v_cndmask_b32_e64 v1, v9, v3, s[20:21]
	v_cndmask_b32_e64 v0, v8, v2, s[20:21]
	;; [unrolled: 1-line block ×4, first 2 shown]
	v_mov_b64_e32 v[8:9], v[0:1]
; %bb.964:
	s_or_b64 exec, exec, s[14:15]
.LBB1605_965:
	s_or_b64 exec, exec, s[18:19]
	v_mbcnt_lo_u32_b32 v0, -1, 0
	v_mbcnt_hi_u32_b32 v0, -1, v0
	v_and_b32_e32 v1, 0xfffffe00, v24
	v_lshlrev_b32_e32 v33, 3, v1
	v_lshlrev_b32_e32 v35, 3, v0
	v_sub_u32_e64 v34, s33, v1 clamp
	v_lshl_add_u32 v36, v0, 6, v33
	v_or_b32_e32 v0, 8, v35
	v_min_u32_e32 v24, v34, v0
	v_add_u32_e32 v0, 8, v24
	v_and_b32_e32 v39, 0x3f0, v35
	v_min_u32_e32 v25, v34, v0
	v_and_b32_e32 v0, 8, v35
	v_min_u32_e32 v40, v34, v0
	v_sub_u32_e32 v0, v24, v39
	v_sub_u32_e32 v1, v25, v24
	v_sub_u32_e64 v38, v40, v1 clamp
	v_min_u32_e32 v41, v40, v0
	v_lshl_add_u32 v37, v39, 3, v33
	v_cmp_lt_u32_e32 vcc, v38, v41
	ds_write_b128 v36, v[14:17]
	ds_write_b128 v36, v[10:13] offset:16
	ds_write_b128 v36, v[6:9] offset:32
	;; [unrolled: 1-line block ×3, first 2 shown]
	; wave barrier
	s_and_saveexec_b64 s[20:21], vcc
	s_cbranch_execz .LBB1605_975
; %bb.966:
	v_lshlrev_b32_e32 v0, 3, v24
	v_lshlrev_b32_e32 v1, 3, v40
	v_add3_u32 v42, v33, v0, v1
	v_cndmask_b32_e64 v0, 0, 1, s[42:43]
	s_lshl_b64 s[24:25], s[36:37], 3
	s_mov_b64 s[22:23], 0
	v_cmp_ne_u32_e64 s[14:15], 1, v0
	s_branch .LBB1605_969
.LBB1605_967:                           ;   in Loop: Header=BB1605_969 Depth=1
	s_or_b64 exec, exec, s[28:29]
.LBB1605_968:                           ;   in Loop: Header=BB1605_969 Depth=1
	v_add_u32_e32 v0, 1, v43
	v_cndmask_b32_e64 v41, v41, v43, s[26:27]
	v_cndmask_b32_e64 v38, v0, v38, s[26:27]
	v_cmp_ge_u32_e32 vcc, v38, v41
	s_or_b64 s[22:23], vcc, s[22:23]
	s_andn2_b64 exec, exec, s[22:23]
	s_cbranch_execz .LBB1605_974
.LBB1605_969:                           ; =>This Loop Header: Depth=1
                                        ;     Child Loop BB1605_972 Depth 2
	v_add_u32_e32 v0, v41, v38
	v_lshrrev_b32_e32 v43, 1, v0
	s_and_b64 vcc, exec, s[14:15]
	s_mov_b64 s[26:27], 0
	s_cbranch_vccnz .LBB1605_968
; %bb.970:                              ;   in Loop: Header=BB1605_969 Depth=1
	v_not_b32_e32 v0, v43
	v_lshl_add_u32 v0, v0, 3, v42
	ds_read_b64 v[0:1], v0
	v_lshl_add_u32 v44, v43, 3, v37
	ds_read_b64 v[44:45], v44
	v_mov_b64_e32 v[22:23], s[38:39]
	s_mov_b64 s[28:29], 0
	s_waitcnt lgkmcnt(1)
	v_mul_lo_u32 v46, s24, v1
	v_mul_lo_u32 v47, s25, v0
	v_mad_u64_u32 v[0:1], s[16:17], s24, v0, v[22:23]
	v_add3_u32 v1, v47, v1, v46
	s_waitcnt lgkmcnt(0)
	v_mul_lo_u32 v45, s24, v45
	v_mul_lo_u32 v46, s25, v44
	v_mad_u64_u32 v[22:23], s[16:17], s24, v44, v[22:23]
	v_add3_u32 v23, v46, v23, v45
	s_mov_b64 s[44:45], s[36:37]
                                        ; implicit-def: $sgpr26_sgpr27
                                        ; implicit-def: $sgpr30_sgpr31
                                        ; implicit-def: $sgpr16_sgpr17
                                        ; implicit-def: $sgpr46_sgpr47
	s_branch .LBB1605_972
.LBB1605_971:                           ;   in Loop: Header=BB1605_972 Depth=2
	s_or_b64 exec, exec, s[50:51]
	s_and_b64 s[18:19], exec, s[30:31]
	s_or_b64 s[28:29], s[18:19], s[28:29]
	s_andn2_b64 s[18:19], s[46:47], exec
	s_and_b64 s[46:47], s[48:49], exec
	s_or_b64 s[46:47], s[18:19], s[46:47]
	s_andn2_b64 s[18:19], s[26:27], exec
	s_and_b64 s[26:27], s[16:17], exec
	s_or_b64 s[26:27], s[18:19], s[26:27]
	s_andn2_b64 exec, exec, s[28:29]
	s_cbranch_execz .LBB1605_967
.LBB1605_972:                           ;   Parent Loop BB1605_969 Depth=1
                                        ; =>  This Inner Loop Header: Depth=2
	global_load_dwordx2 v[44:45], v[0:1], off
	global_load_dwordx2 v[46:47], v[22:23], off
	s_andn2_b64 s[50:51], s[16:17], exec
	s_or_b64 s[30:31], s[30:31], exec
	s_waitcnt vmcnt(0)
	v_cmp_le_u64_e64 s[16:17], v[44:45], v[46:47]
	v_cmp_lt_u64_e32 vcc, v[44:45], v[46:47]
	s_and_b64 s[16:17], s[16:17], s[46:47]
	s_or_b64 s[48:49], vcc, s[16:17]
	s_and_b64 s[16:17], s[48:49], exec
	v_cmp_eq_u64_e64 s[18:19], v[44:45], v[46:47]
	s_or_b64 s[16:17], s[50:51], s[16:17]
	s_and_saveexec_b64 s[50:51], s[18:19]
	s_cbranch_execz .LBB1605_971
; %bb.973:                              ;   in Loop: Header=BB1605_972 Depth=2
	s_add_u32 s44, s44, -1
	s_addc_u32 s45, s45, -1
	s_cmp_eq_u64 s[44:45], 0
	s_cselect_b64 s[18:19], -1, 0
	s_andn2_b64 s[30:31], s[30:31], exec
	s_and_b64 s[18:19], s[18:19], exec
	v_lshl_add_u64 v[0:1], v[0:1], 0, 8
	v_lshl_add_u64 v[22:23], v[22:23], 0, 8
	s_andn2_b64 s[16:17], s[16:17], exec
	s_or_b64 s[30:31], s[30:31], s[18:19]
                                        ; implicit-def: $sgpr46_sgpr47
	s_branch .LBB1605_971
.LBB1605_974:
	s_or_b64 exec, exec, s[22:23]
.LBB1605_975:
	s_or_b64 exec, exec, s[20:21]
	v_add_u32_e32 v0, v24, v40
	v_add_u32_e32 v23, v38, v39
	v_sub_u32_e32 v39, v0, v38
	v_cmp_le_u32_e32 vcc, v23, v24
	v_cmp_le_u32_e64 s[14:15], v39, v25
	s_or_b64 s[14:15], vcc, s[14:15]
	s_and_saveexec_b64 s[18:19], s[14:15]
	s_cbranch_execz .LBB1605_1066
; %bb.976:
	v_cmp_ge_u32_e32 vcc, v23, v24
	v_cmp_lt_u32_e64 s[14:15], v23, v24
                                        ; implicit-def: $vgpr0_vgpr1
	s_and_saveexec_b64 s[16:17], s[14:15]
; %bb.977:
	v_lshl_add_u32 v0, v38, 3, v37
	ds_read_b64 v[0:1], v0
; %bb.978:
	s_or_b64 exec, exec, s[16:17]
	v_cmp_ge_u32_e64 s[20:21], v39, v25
	v_cmp_lt_u32_e64 s[14:15], v39, v25
                                        ; implicit-def: $vgpr2_vgpr3
	s_and_saveexec_b64 s[16:17], s[14:15]
; %bb.979:
	v_lshl_add_u32 v2, v39, 3, v33
	ds_read_b64 v[2:3], v2
; %bb.980:
	s_or_b64 exec, exec, s[16:17]
	s_nor_b64 s[14:15], vcc, s[20:21]
	s_and_saveexec_b64 s[22:23], s[14:15]
	s_cbranch_execz .LBB1605_989
; %bb.981:
	s_andn2_b64 vcc, exec, s[42:43]
	s_cbranch_vccnz .LBB1605_987
; %bb.982:
	s_waitcnt lgkmcnt(0)
	v_mul_lo_u32 v6, v3, s36
	v_mul_lo_u32 v7, v2, s37
	v_mad_u64_u32 v[4:5], s[14:15], v2, s36, 0
	v_add3_u32 v5, v5, v7, v6
	v_mul_lo_u32 v8, v1, s36
	v_mul_lo_u32 v9, v0, s37
	v_mad_u64_u32 v[6:7], s[14:15], v0, s36, 0
	v_add3_u32 v7, v7, v9, v8
	v_lshl_add_u64 v[4:5], v[4:5], 3, s[38:39]
	v_lshl_add_u64 v[6:7], v[6:7], 3, s[38:39]
	s_mov_b64 s[24:25], 0
	s_mov_b64 s[30:31], s[36:37]
                                        ; implicit-def: $sgpr26_sgpr27
                                        ; implicit-def: $sgpr28_sgpr29
                                        ; implicit-def: $sgpr14_sgpr15
                                        ; implicit-def: $sgpr44_sgpr45
	s_branch .LBB1605_984
.LBB1605_983:                           ;   in Loop: Header=BB1605_984 Depth=1
	s_or_b64 exec, exec, s[48:49]
	s_and_b64 s[16:17], exec, s[28:29]
	s_or_b64 s[24:25], s[16:17], s[24:25]
	s_andn2_b64 s[16:17], s[44:45], exec
	s_and_b64 s[44:45], s[46:47], exec
	s_or_b64 s[44:45], s[16:17], s[44:45]
	s_andn2_b64 s[16:17], s[26:27], exec
	s_and_b64 s[26:27], s[14:15], exec
	s_or_b64 s[26:27], s[16:17], s[26:27]
	s_andn2_b64 exec, exec, s[24:25]
	s_cbranch_execz .LBB1605_986
.LBB1605_984:                           ; =>This Inner Loop Header: Depth=1
	global_load_dwordx2 v[8:9], v[4:5], off
	global_load_dwordx2 v[10:11], v[6:7], off
	s_andn2_b64 s[48:49], s[14:15], exec
	s_or_b64 s[28:29], s[28:29], exec
	s_waitcnt vmcnt(0)
	v_cmp_le_u64_e64 s[14:15], v[8:9], v[10:11]
	v_cmp_lt_u64_e32 vcc, v[8:9], v[10:11]
	s_and_b64 s[14:15], s[14:15], s[44:45]
	s_or_b64 s[46:47], vcc, s[14:15]
	s_and_b64 s[14:15], s[46:47], exec
	v_cmp_eq_u64_e64 s[16:17], v[8:9], v[10:11]
	s_or_b64 s[14:15], s[48:49], s[14:15]
	s_and_saveexec_b64 s[48:49], s[16:17]
	s_cbranch_execz .LBB1605_983
; %bb.985:                              ;   in Loop: Header=BB1605_984 Depth=1
	s_add_u32 s30, s30, -1
	s_addc_u32 s31, s31, -1
	s_cmp_eq_u64 s[30:31], 0
	s_cselect_b64 s[16:17], -1, 0
	s_andn2_b64 s[28:29], s[28:29], exec
	s_and_b64 s[16:17], s[16:17], exec
	v_lshl_add_u64 v[4:5], v[4:5], 0, 8
	v_lshl_add_u64 v[6:7], v[6:7], 0, 8
	s_andn2_b64 s[14:15], s[14:15], exec
	s_or_b64 s[28:29], s[28:29], s[16:17]
                                        ; implicit-def: $sgpr44_sgpr45
	s_branch .LBB1605_983
.LBB1605_986:
	s_or_b64 exec, exec, s[24:25]
	s_xor_b64 s[14:15], s[26:27], -1
	s_branch .LBB1605_988
.LBB1605_987:
	s_mov_b64 s[14:15], -1
.LBB1605_988:
	s_andn2_b64 s[16:17], s[20:21], exec
	s_and_b64 s[14:15], s[14:15], exec
	s_or_b64 s[20:21], s[16:17], s[14:15]
.LBB1605_989:
	s_or_b64 exec, exec, s[22:23]
	v_cndmask_b32_e64 v4, v39, v23, s[20:21]
	v_cndmask_b32_e64 v5, v25, v24, s[20:21]
	v_add_u32_e32 v6, 1, v4
	v_add_u32_e32 v4, -1, v5
	v_min_u32_e32 v4, v6, v4
	v_lshl_add_u32 v4, v4, 3, v33
	ds_read_b64 v[4:5], v4
	v_cndmask_b32_e64 v8, v6, v39, s[20:21]
	v_cndmask_b32_e64 v9, v23, v6, s[20:21]
	v_cmp_lt_u32_e32 vcc, v8, v25
	s_mov_b64 s[24:25], -1
	s_waitcnt lgkmcnt(0)
	v_cndmask_b32_e64 v14, v5, v3, s[20:21]
	v_cndmask_b32_e64 v15, v4, v2, s[20:21]
	;; [unrolled: 1-line block ×4, first 2 shown]
	s_mov_b64 s[22:23], -1
	s_and_saveexec_b64 s[26:27], vcc
	s_cbranch_execz .LBB1605_1000
; %bb.990:
	v_cmp_lt_u32_e32 vcc, v9, v24
	s_mov_b64 s[14:15], 0
	s_and_saveexec_b64 s[22:23], vcc
	s_cbranch_execz .LBB1605_999
; %bb.991:
	s_andn2_b64 vcc, exec, s[42:43]
	s_cbranch_vccnz .LBB1605_997
; %bb.992:
	v_mul_lo_u32 v6, v14, s36
	v_mul_lo_u32 v7, v15, s37
	v_mad_u64_u32 v[4:5], s[14:15], v15, s36, 0
	v_add3_u32 v5, v5, v7, v6
	v_mul_lo_u32 v10, v16, s36
	v_mul_lo_u32 v11, v22, s37
	v_mad_u64_u32 v[6:7], s[14:15], v22, s36, 0
	v_add3_u32 v7, v7, v11, v10
	v_lshl_add_u64 v[4:5], v[4:5], 3, s[38:39]
	v_lshl_add_u64 v[6:7], v[6:7], 3, s[38:39]
	s_mov_b64 s[28:29], 0
	s_mov_b64 s[46:47], s[36:37]
                                        ; implicit-def: $sgpr30_sgpr31
                                        ; implicit-def: $sgpr44_sgpr45
                                        ; implicit-def: $sgpr14_sgpr15
                                        ; implicit-def: $sgpr48_sgpr49
	s_branch .LBB1605_994
.LBB1605_993:                           ;   in Loop: Header=BB1605_994 Depth=1
	s_or_b64 exec, exec, s[52:53]
	s_and_b64 s[16:17], exec, s[44:45]
	s_or_b64 s[28:29], s[16:17], s[28:29]
	s_andn2_b64 s[16:17], s[48:49], exec
	s_and_b64 s[48:49], s[50:51], exec
	s_or_b64 s[48:49], s[16:17], s[48:49]
	s_andn2_b64 s[16:17], s[30:31], exec
	s_and_b64 s[30:31], s[14:15], exec
	s_or_b64 s[30:31], s[16:17], s[30:31]
	s_andn2_b64 exec, exec, s[28:29]
	s_cbranch_execz .LBB1605_996
.LBB1605_994:                           ; =>This Inner Loop Header: Depth=1
	global_load_dwordx2 v[10:11], v[4:5], off
	global_load_dwordx2 v[12:13], v[6:7], off
	s_andn2_b64 s[52:53], s[14:15], exec
	s_or_b64 s[44:45], s[44:45], exec
	s_waitcnt vmcnt(0)
	v_cmp_le_u64_e64 s[14:15], v[10:11], v[12:13]
	v_cmp_lt_u64_e32 vcc, v[10:11], v[12:13]
	s_and_b64 s[14:15], s[14:15], s[48:49]
	s_or_b64 s[50:51], vcc, s[14:15]
	s_and_b64 s[14:15], s[50:51], exec
	v_cmp_eq_u64_e64 s[16:17], v[10:11], v[12:13]
	s_or_b64 s[14:15], s[52:53], s[14:15]
	s_and_saveexec_b64 s[52:53], s[16:17]
	s_cbranch_execz .LBB1605_993
; %bb.995:                              ;   in Loop: Header=BB1605_994 Depth=1
	s_add_u32 s46, s46, -1
	s_addc_u32 s47, s47, -1
	s_cmp_eq_u64 s[46:47], 0
	s_cselect_b64 s[16:17], -1, 0
	s_andn2_b64 s[44:45], s[44:45], exec
	s_and_b64 s[16:17], s[16:17], exec
	v_lshl_add_u64 v[4:5], v[4:5], 0, 8
	v_lshl_add_u64 v[6:7], v[6:7], 0, 8
	s_andn2_b64 s[14:15], s[14:15], exec
	s_or_b64 s[44:45], s[44:45], s[16:17]
                                        ; implicit-def: $sgpr48_sgpr49
	s_branch .LBB1605_993
.LBB1605_996:
	s_or_b64 exec, exec, s[28:29]
	s_xor_b64 s[14:15], s[30:31], -1
	s_branch .LBB1605_998
.LBB1605_997:
	s_mov_b64 s[14:15], -1
.LBB1605_998:
	s_and_b64 s[14:15], s[14:15], exec
.LBB1605_999:
	s_or_b64 exec, exec, s[22:23]
	s_orn2_b64 s[22:23], s[14:15], exec
.LBB1605_1000:
	s_or_b64 exec, exec, s[26:27]
	v_cndmask_b32_e64 v4, v8, v9, s[22:23]
	v_cndmask_b32_e64 v5, v25, v24, s[22:23]
	v_add_u32_e32 v6, 1, v4
	v_add_u32_e32 v4, -1, v5
	v_min_u32_e32 v4, v6, v4
	v_lshl_add_u32 v4, v4, 3, v33
	ds_read_b64 v[4:5], v4
	v_cndmask_b32_e64 v8, v6, v8, s[22:23]
	v_cndmask_b32_e64 v9, v9, v6, s[22:23]
	v_cmp_lt_u32_e32 vcc, v8, v25
	s_waitcnt lgkmcnt(0)
	v_cndmask_b32_e64 v10, v5, v14, s[22:23]
	v_cndmask_b32_e64 v17, v4, v15, s[22:23]
	;; [unrolled: 1-line block ×4, first 2 shown]
	s_and_saveexec_b64 s[26:27], vcc
	s_cbranch_execz .LBB1605_1011
; %bb.1001:
	v_cmp_lt_u32_e32 vcc, v9, v24
	s_mov_b64 s[14:15], 0
	s_and_saveexec_b64 s[24:25], vcc
	s_cbranch_execz .LBB1605_1010
; %bb.1002:
	s_andn2_b64 vcc, exec, s[42:43]
	s_cbranch_vccnz .LBB1605_1008
; %bb.1003:
	v_mul_lo_u32 v6, v10, s36
	v_mul_lo_u32 v7, v17, s37
	v_mad_u64_u32 v[4:5], s[14:15], v17, s36, 0
	v_add3_u32 v5, v5, v7, v6
	v_mul_lo_u32 v12, v11, s36
	v_mul_lo_u32 v13, v23, s37
	v_mad_u64_u32 v[6:7], s[14:15], v23, s36, 0
	v_add3_u32 v7, v7, v13, v12
	v_lshl_add_u64 v[4:5], v[4:5], 3, s[38:39]
	v_lshl_add_u64 v[6:7], v[6:7], 3, s[38:39]
	s_mov_b64 s[28:29], 0
	s_mov_b64 s[46:47], s[36:37]
                                        ; implicit-def: $sgpr30_sgpr31
                                        ; implicit-def: $sgpr44_sgpr45
                                        ; implicit-def: $sgpr14_sgpr15
                                        ; implicit-def: $sgpr48_sgpr49
	s_branch .LBB1605_1005
.LBB1605_1004:                          ;   in Loop: Header=BB1605_1005 Depth=1
	s_or_b64 exec, exec, s[52:53]
	s_and_b64 s[16:17], exec, s[44:45]
	s_or_b64 s[28:29], s[16:17], s[28:29]
	s_andn2_b64 s[16:17], s[48:49], exec
	s_and_b64 s[48:49], s[50:51], exec
	s_or_b64 s[48:49], s[16:17], s[48:49]
	s_andn2_b64 s[16:17], s[30:31], exec
	s_and_b64 s[30:31], s[14:15], exec
	s_or_b64 s[30:31], s[16:17], s[30:31]
	s_andn2_b64 exec, exec, s[28:29]
	s_cbranch_execz .LBB1605_1007
.LBB1605_1005:                          ; =>This Inner Loop Header: Depth=1
	global_load_dwordx2 v[12:13], v[4:5], off
	global_load_dwordx2 v[38:39], v[6:7], off
	s_andn2_b64 s[52:53], s[14:15], exec
	s_or_b64 s[44:45], s[44:45], exec
	s_waitcnt vmcnt(0)
	v_cmp_le_u64_e64 s[14:15], v[12:13], v[38:39]
	v_cmp_lt_u64_e32 vcc, v[12:13], v[38:39]
	s_and_b64 s[14:15], s[14:15], s[48:49]
	s_or_b64 s[50:51], vcc, s[14:15]
	s_and_b64 s[14:15], s[50:51], exec
	v_cmp_eq_u64_e64 s[16:17], v[12:13], v[38:39]
	s_or_b64 s[14:15], s[52:53], s[14:15]
	s_and_saveexec_b64 s[52:53], s[16:17]
	s_cbranch_execz .LBB1605_1004
; %bb.1006:                             ;   in Loop: Header=BB1605_1005 Depth=1
	s_add_u32 s46, s46, -1
	s_addc_u32 s47, s47, -1
	s_cmp_eq_u64 s[46:47], 0
	s_cselect_b64 s[16:17], -1, 0
	s_andn2_b64 s[44:45], s[44:45], exec
	s_and_b64 s[16:17], s[16:17], exec
	v_lshl_add_u64 v[4:5], v[4:5], 0, 8
	v_lshl_add_u64 v[6:7], v[6:7], 0, 8
	s_andn2_b64 s[14:15], s[14:15], exec
	s_or_b64 s[44:45], s[44:45], s[16:17]
                                        ; implicit-def: $sgpr48_sgpr49
	s_branch .LBB1605_1004
.LBB1605_1007:
	s_or_b64 exec, exec, s[28:29]
	s_xor_b64 s[14:15], s[30:31], -1
	s_branch .LBB1605_1009
.LBB1605_1008:
	s_mov_b64 s[14:15], -1
.LBB1605_1009:
	s_and_b64 s[14:15], s[14:15], exec
.LBB1605_1010:
	s_or_b64 exec, exec, s[24:25]
	s_orn2_b64 s[24:25], s[14:15], exec
.LBB1605_1011:
	s_or_b64 exec, exec, s[26:27]
	v_cndmask_b32_e64 v4, v8, v9, s[24:25]
	v_cndmask_b32_e64 v5, v25, v24, s[24:25]
	v_add_u32_e32 v6, 1, v4
	v_add_u32_e32 v4, -1, v5
	v_min_u32_e32 v4, v6, v4
	v_lshl_add_u32 v4, v4, 3, v33
	ds_read_b64 v[4:5], v4
	v_cndmask_b32_e64 v8, v6, v8, s[24:25]
	v_cndmask_b32_e64 v9, v9, v6, s[24:25]
	v_cmp_lt_u32_e32 vcc, v8, v25
	s_mov_b64 s[28:29], -1
	s_waitcnt lgkmcnt(0)
	v_cndmask_b32_e64 v12, v5, v10, s[24:25]
	v_cndmask_b32_e64 v37, v4, v17, s[24:25]
	v_cndmask_b32_e64 v13, v11, v5, s[24:25]
	v_cndmask_b32_e64 v38, v23, v4, s[24:25]
	s_mov_b64 s[26:27], -1
	s_and_saveexec_b64 s[30:31], vcc
	s_cbranch_execz .LBB1605_1022
; %bb.1012:
	v_cmp_lt_u32_e32 vcc, v9, v24
	s_mov_b64 s[14:15], 0
	s_and_saveexec_b64 s[26:27], vcc
	s_cbranch_execz .LBB1605_1021
; %bb.1013:
	s_andn2_b64 vcc, exec, s[42:43]
	s_cbranch_vccnz .LBB1605_1019
; %bb.1014:
	v_mul_lo_u32 v6, v12, s36
	v_mul_lo_u32 v7, v37, s37
	v_mad_u64_u32 v[4:5], s[14:15], v37, s36, 0
	v_add3_u32 v5, v5, v7, v6
	v_mul_lo_u32 v39, v13, s36
	v_mul_lo_u32 v40, v38, s37
	v_mad_u64_u32 v[6:7], s[14:15], v38, s36, 0
	v_add3_u32 v7, v7, v40, v39
	v_lshl_add_u64 v[4:5], v[4:5], 3, s[38:39]
	v_lshl_add_u64 v[6:7], v[6:7], 3, s[38:39]
	s_mov_b64 s[44:45], 0
	s_mov_b64 s[50:51], s[36:37]
                                        ; implicit-def: $sgpr46_sgpr47
                                        ; implicit-def: $sgpr48_sgpr49
                                        ; implicit-def: $sgpr14_sgpr15
                                        ; implicit-def: $sgpr52_sgpr53
	s_branch .LBB1605_1016
.LBB1605_1015:                          ;   in Loop: Header=BB1605_1016 Depth=1
	s_or_b64 exec, exec, s[56:57]
	s_and_b64 s[16:17], exec, s[48:49]
	s_or_b64 s[44:45], s[16:17], s[44:45]
	s_andn2_b64 s[16:17], s[52:53], exec
	s_and_b64 s[52:53], s[54:55], exec
	s_or_b64 s[52:53], s[16:17], s[52:53]
	s_andn2_b64 s[16:17], s[46:47], exec
	s_and_b64 s[46:47], s[14:15], exec
	s_or_b64 s[46:47], s[16:17], s[46:47]
	s_andn2_b64 exec, exec, s[44:45]
	s_cbranch_execz .LBB1605_1018
.LBB1605_1016:                          ; =>This Inner Loop Header: Depth=1
	global_load_dwordx2 v[40:41], v[4:5], off
	global_load_dwordx2 v[42:43], v[6:7], off
	s_andn2_b64 s[56:57], s[14:15], exec
	s_or_b64 s[48:49], s[48:49], exec
	s_waitcnt vmcnt(0)
	v_cmp_le_u64_e64 s[14:15], v[40:41], v[42:43]
	v_cmp_lt_u64_e32 vcc, v[40:41], v[42:43]
	s_and_b64 s[14:15], s[14:15], s[52:53]
	s_or_b64 s[54:55], vcc, s[14:15]
	s_and_b64 s[14:15], s[54:55], exec
	v_cmp_eq_u64_e64 s[16:17], v[40:41], v[42:43]
	s_or_b64 s[14:15], s[56:57], s[14:15]
	s_and_saveexec_b64 s[56:57], s[16:17]
	s_cbranch_execz .LBB1605_1015
; %bb.1017:                             ;   in Loop: Header=BB1605_1016 Depth=1
	s_add_u32 s50, s50, -1
	s_addc_u32 s51, s51, -1
	s_cmp_eq_u64 s[50:51], 0
	s_cselect_b64 s[16:17], -1, 0
	s_andn2_b64 s[48:49], s[48:49], exec
	s_and_b64 s[16:17], s[16:17], exec
	v_lshl_add_u64 v[4:5], v[4:5], 0, 8
	v_lshl_add_u64 v[6:7], v[6:7], 0, 8
	s_andn2_b64 s[14:15], s[14:15], exec
	s_or_b64 s[48:49], s[48:49], s[16:17]
                                        ; implicit-def: $sgpr52_sgpr53
	s_branch .LBB1605_1015
.LBB1605_1018:
	s_or_b64 exec, exec, s[44:45]
	s_xor_b64 s[14:15], s[46:47], -1
	s_branch .LBB1605_1020
.LBB1605_1019:
	s_mov_b64 s[14:15], -1
.LBB1605_1020:
	s_and_b64 s[14:15], s[14:15], exec
.LBB1605_1021:
	s_or_b64 exec, exec, s[26:27]
	s_orn2_b64 s[26:27], s[14:15], exec
.LBB1605_1022:
	s_or_b64 exec, exec, s[30:31]
	v_cndmask_b32_e64 v4, v8, v9, s[26:27]
	v_cndmask_b32_e64 v5, v25, v24, s[26:27]
	v_add_u32_e32 v6, 1, v4
	v_add_u32_e32 v4, -1, v5
	v_min_u32_e32 v4, v6, v4
	v_lshl_add_u32 v4, v4, 3, v33
	ds_read_b64 v[4:5], v4
	v_cndmask_b32_e64 v45, v6, v8, s[26:27]
	v_cndmask_b32_e64 v46, v9, v6, s[26:27]
	v_cmp_lt_u32_e32 vcc, v45, v25
	s_waitcnt lgkmcnt(0)
	v_cndmask_b32_e64 v39, v5, v12, s[26:27]
	v_cndmask_b32_e64 v40, v4, v37, s[26:27]
	;; [unrolled: 1-line block ×4, first 2 shown]
	s_and_saveexec_b64 s[30:31], vcc
	s_cbranch_execz .LBB1605_1033
; %bb.1023:
	v_cmp_lt_u32_e32 vcc, v46, v24
	s_mov_b64 s[14:15], 0
	s_and_saveexec_b64 s[28:29], vcc
	s_cbranch_execz .LBB1605_1032
; %bb.1024:
	s_andn2_b64 vcc, exec, s[42:43]
	s_cbranch_vccnz .LBB1605_1030
; %bb.1025:
	v_mul_lo_u32 v6, v39, s36
	v_mul_lo_u32 v7, v40, s37
	v_mad_u64_u32 v[4:5], s[14:15], v40, s36, 0
	v_add3_u32 v5, v5, v7, v6
	v_mul_lo_u32 v8, v41, s36
	v_mul_lo_u32 v9, v42, s37
	v_mad_u64_u32 v[6:7], s[14:15], v42, s36, 0
	v_add3_u32 v7, v7, v9, v8
	v_lshl_add_u64 v[4:5], v[4:5], 3, s[38:39]
	v_lshl_add_u64 v[6:7], v[6:7], 3, s[38:39]
	s_mov_b64 s[44:45], 0
	s_mov_b64 s[50:51], s[36:37]
                                        ; implicit-def: $sgpr46_sgpr47
                                        ; implicit-def: $sgpr48_sgpr49
                                        ; implicit-def: $sgpr14_sgpr15
                                        ; implicit-def: $sgpr52_sgpr53
	s_branch .LBB1605_1027
.LBB1605_1026:                          ;   in Loop: Header=BB1605_1027 Depth=1
	s_or_b64 exec, exec, s[56:57]
	s_and_b64 s[16:17], exec, s[48:49]
	s_or_b64 s[44:45], s[16:17], s[44:45]
	s_andn2_b64 s[16:17], s[52:53], exec
	s_and_b64 s[52:53], s[54:55], exec
	s_or_b64 s[52:53], s[16:17], s[52:53]
	s_andn2_b64 s[16:17], s[46:47], exec
	s_and_b64 s[46:47], s[14:15], exec
	s_or_b64 s[46:47], s[16:17], s[46:47]
	s_andn2_b64 exec, exec, s[44:45]
	s_cbranch_execz .LBB1605_1029
.LBB1605_1027:                          ; =>This Inner Loop Header: Depth=1
	global_load_dwordx2 v[8:9], v[4:5], off
	global_load_dwordx2 v[48:49], v[6:7], off
	s_andn2_b64 s[56:57], s[14:15], exec
	s_or_b64 s[48:49], s[48:49], exec
	s_waitcnt vmcnt(0)
	v_cmp_le_u64_e64 s[14:15], v[8:9], v[48:49]
	v_cmp_lt_u64_e32 vcc, v[8:9], v[48:49]
	s_and_b64 s[14:15], s[14:15], s[52:53]
	s_or_b64 s[54:55], vcc, s[14:15]
	s_and_b64 s[14:15], s[54:55], exec
	v_cmp_eq_u64_e64 s[16:17], v[8:9], v[48:49]
	s_or_b64 s[14:15], s[56:57], s[14:15]
	s_and_saveexec_b64 s[56:57], s[16:17]
	s_cbranch_execz .LBB1605_1026
; %bb.1028:                             ;   in Loop: Header=BB1605_1027 Depth=1
	s_add_u32 s50, s50, -1
	s_addc_u32 s51, s51, -1
	s_cmp_eq_u64 s[50:51], 0
	s_cselect_b64 s[16:17], -1, 0
	s_andn2_b64 s[48:49], s[48:49], exec
	s_and_b64 s[16:17], s[16:17], exec
	v_lshl_add_u64 v[4:5], v[4:5], 0, 8
	v_lshl_add_u64 v[6:7], v[6:7], 0, 8
	s_andn2_b64 s[14:15], s[14:15], exec
	s_or_b64 s[48:49], s[48:49], s[16:17]
                                        ; implicit-def: $sgpr52_sgpr53
	s_branch .LBB1605_1026
.LBB1605_1029:
	s_or_b64 exec, exec, s[44:45]
	s_xor_b64 s[14:15], s[46:47], -1
	s_branch .LBB1605_1031
.LBB1605_1030:
	s_mov_b64 s[14:15], -1
.LBB1605_1031:
	s_and_b64 s[14:15], s[14:15], exec
.LBB1605_1032:
	s_or_b64 exec, exec, s[28:29]
	s_orn2_b64 s[28:29], s[14:15], exec
.LBB1605_1033:
	s_or_b64 exec, exec, s[30:31]
	v_cndmask_b32_e64 v4, v45, v46, s[28:29]
	v_cndmask_b32_e64 v5, v25, v24, s[28:29]
	v_add_u32_e32 v6, 1, v4
	v_add_u32_e32 v4, -1, v5
	v_min_u32_e32 v4, v6, v4
	v_lshl_add_u32 v4, v4, 3, v33
	ds_read_b64 v[4:5], v4
	v_cndmask_b32_e64 v47, v6, v45, s[28:29]
	v_cndmask_b32_e64 v51, v46, v6, s[28:29]
	v_cmp_lt_u32_e32 vcc, v47, v25
	s_mov_b64 s[30:31], -1
	s_waitcnt lgkmcnt(0)
	v_cndmask_b32_e64 v8, v5, v39, s[28:29]
	v_cndmask_b32_e64 v43, v4, v40, s[28:29]
	;; [unrolled: 1-line block ×4, first 2 shown]
	s_mov_b64 s[44:45], -1
	s_and_saveexec_b64 s[46:47], vcc
	s_cbranch_execz .LBB1605_1044
; %bb.1034:
	v_cmp_lt_u32_e32 vcc, v51, v24
	s_mov_b64 s[14:15], 0
	s_and_saveexec_b64 s[44:45], vcc
	s_cbranch_execz .LBB1605_1043
; %bb.1035:
	s_andn2_b64 vcc, exec, s[42:43]
	s_cbranch_vccnz .LBB1605_1041
; %bb.1036:
	v_mul_lo_u32 v6, v8, s36
	v_mul_lo_u32 v7, v43, s37
	v_mad_u64_u32 v[4:5], s[14:15], v43, s36, 0
	v_add3_u32 v5, v5, v7, v6
	v_mul_lo_u32 v45, v9, s36
	v_mul_lo_u32 v46, v44, s37
	v_mad_u64_u32 v[6:7], s[14:15], v44, s36, 0
	v_add3_u32 v7, v7, v46, v45
	v_lshl_add_u64 v[4:5], v[4:5], 3, s[38:39]
	v_lshl_add_u64 v[6:7], v[6:7], 3, s[38:39]
	s_mov_b64 s[48:49], 0
	s_mov_b64 s[54:55], s[36:37]
                                        ; implicit-def: $sgpr50_sgpr51
                                        ; implicit-def: $sgpr52_sgpr53
                                        ; implicit-def: $sgpr14_sgpr15
                                        ; implicit-def: $sgpr56_sgpr57
	s_branch .LBB1605_1038
.LBB1605_1037:                          ;   in Loop: Header=BB1605_1038 Depth=1
	s_or_b64 exec, exec, s[60:61]
	s_and_b64 s[16:17], exec, s[52:53]
	s_or_b64 s[48:49], s[16:17], s[48:49]
	s_andn2_b64 s[16:17], s[56:57], exec
	s_and_b64 s[56:57], s[58:59], exec
	s_or_b64 s[56:57], s[16:17], s[56:57]
	s_andn2_b64 s[16:17], s[50:51], exec
	s_and_b64 s[50:51], s[14:15], exec
	s_or_b64 s[50:51], s[16:17], s[50:51]
	s_andn2_b64 exec, exec, s[48:49]
	s_cbranch_execz .LBB1605_1040
.LBB1605_1038:                          ; =>This Inner Loop Header: Depth=1
	global_load_dwordx2 v[48:49], v[4:5], off
	global_load_dwordx2 v[52:53], v[6:7], off
	s_andn2_b64 s[60:61], s[14:15], exec
	s_or_b64 s[52:53], s[52:53], exec
	s_waitcnt vmcnt(0)
	v_cmp_le_u64_e64 s[14:15], v[48:49], v[52:53]
	v_cmp_lt_u64_e32 vcc, v[48:49], v[52:53]
	s_and_b64 s[14:15], s[14:15], s[56:57]
	s_or_b64 s[58:59], vcc, s[14:15]
	s_and_b64 s[14:15], s[58:59], exec
	v_cmp_eq_u64_e64 s[16:17], v[48:49], v[52:53]
	s_or_b64 s[14:15], s[60:61], s[14:15]
	s_and_saveexec_b64 s[60:61], s[16:17]
	s_cbranch_execz .LBB1605_1037
; %bb.1039:                             ;   in Loop: Header=BB1605_1038 Depth=1
	s_add_u32 s54, s54, -1
	s_addc_u32 s55, s55, -1
	s_cmp_eq_u64 s[54:55], 0
	s_cselect_b64 s[16:17], -1, 0
	s_andn2_b64 s[52:53], s[52:53], exec
	s_and_b64 s[16:17], s[16:17], exec
	v_lshl_add_u64 v[4:5], v[4:5], 0, 8
	v_lshl_add_u64 v[6:7], v[6:7], 0, 8
	s_andn2_b64 s[14:15], s[14:15], exec
	s_or_b64 s[52:53], s[52:53], s[16:17]
                                        ; implicit-def: $sgpr56_sgpr57
	s_branch .LBB1605_1037
.LBB1605_1040:
	s_or_b64 exec, exec, s[48:49]
	s_xor_b64 s[14:15], s[50:51], -1
	s_branch .LBB1605_1042
.LBB1605_1041:
	s_mov_b64 s[14:15], -1
.LBB1605_1042:
	s_and_b64 s[14:15], s[14:15], exec
.LBB1605_1043:
	s_or_b64 exec, exec, s[44:45]
	s_orn2_b64 s[44:45], s[14:15], exec
.LBB1605_1044:
	s_or_b64 exec, exec, s[46:47]
	v_cndmask_b32_e64 v4, v47, v51, s[44:45]
	v_cndmask_b32_e64 v5, v25, v24, s[44:45]
	v_add_u32_e32 v6, 1, v4
	v_add_u32_e32 v4, -1, v5
	v_min_u32_e32 v4, v6, v4
	v_lshl_add_u32 v4, v4, 3, v33
	ds_read_b64 v[4:5], v4
	v_cndmask_b32_e64 v48, v6, v47, s[44:45]
	v_cndmask_b32_e64 v47, v51, v6, s[44:45]
	v_cmp_lt_u32_e32 vcc, v48, v25
	s_waitcnt lgkmcnt(0)
	v_cndmask_b32_e64 v45, v5, v8, s[44:45]
	v_cndmask_b32_e64 v46, v4, v43, s[44:45]
	;; [unrolled: 1-line block ×4, first 2 shown]
	s_and_saveexec_b64 s[46:47], vcc
	s_cbranch_execz .LBB1605_1055
; %bb.1045:
	v_cmp_lt_u32_e32 vcc, v47, v24
	s_mov_b64 s[14:15], 0
	s_and_saveexec_b64 s[30:31], vcc
	s_cbranch_execz .LBB1605_1054
; %bb.1046:
	s_andn2_b64 vcc, exec, s[42:43]
	s_cbranch_vccnz .LBB1605_1052
; %bb.1047:
	v_mul_lo_u32 v6, v45, s36
	v_mul_lo_u32 v7, v46, s37
	v_mad_u64_u32 v[4:5], s[14:15], v46, s36, 0
	v_add3_u32 v5, v5, v7, v6
	v_mul_lo_u32 v51, v49, s36
	v_mul_lo_u32 v52, v50, s37
	v_mad_u64_u32 v[6:7], s[14:15], v50, s36, 0
	v_add3_u32 v7, v7, v52, v51
	v_lshl_add_u64 v[4:5], v[4:5], 3, s[38:39]
	v_lshl_add_u64 v[6:7], v[6:7], 3, s[38:39]
	s_mov_b64 s[48:49], 0
	s_mov_b64 s[54:55], s[36:37]
                                        ; implicit-def: $sgpr50_sgpr51
                                        ; implicit-def: $sgpr52_sgpr53
                                        ; implicit-def: $sgpr14_sgpr15
                                        ; implicit-def: $sgpr56_sgpr57
	s_branch .LBB1605_1049
.LBB1605_1048:                          ;   in Loop: Header=BB1605_1049 Depth=1
	s_or_b64 exec, exec, s[60:61]
	s_and_b64 s[16:17], exec, s[52:53]
	s_or_b64 s[48:49], s[16:17], s[48:49]
	s_andn2_b64 s[16:17], s[56:57], exec
	s_and_b64 s[56:57], s[58:59], exec
	s_or_b64 s[56:57], s[16:17], s[56:57]
	s_andn2_b64 s[16:17], s[50:51], exec
	s_and_b64 s[50:51], s[14:15], exec
	s_or_b64 s[50:51], s[16:17], s[50:51]
	s_andn2_b64 exec, exec, s[48:49]
	s_cbranch_execz .LBB1605_1051
.LBB1605_1049:                          ; =>This Inner Loop Header: Depth=1
	global_load_dwordx2 v[52:53], v[4:5], off
	global_load_dwordx2 v[54:55], v[6:7], off
	s_andn2_b64 s[60:61], s[14:15], exec
	s_or_b64 s[52:53], s[52:53], exec
	s_waitcnt vmcnt(0)
	v_cmp_le_u64_e64 s[14:15], v[52:53], v[54:55]
	v_cmp_lt_u64_e32 vcc, v[52:53], v[54:55]
	s_and_b64 s[14:15], s[14:15], s[56:57]
	s_or_b64 s[58:59], vcc, s[14:15]
	s_and_b64 s[14:15], s[58:59], exec
	v_cmp_eq_u64_e64 s[16:17], v[52:53], v[54:55]
	s_or_b64 s[14:15], s[60:61], s[14:15]
	s_and_saveexec_b64 s[60:61], s[16:17]
	s_cbranch_execz .LBB1605_1048
; %bb.1050:                             ;   in Loop: Header=BB1605_1049 Depth=1
	s_add_u32 s54, s54, -1
	s_addc_u32 s55, s55, -1
	s_cmp_eq_u64 s[54:55], 0
	s_cselect_b64 s[16:17], -1, 0
	s_andn2_b64 s[52:53], s[52:53], exec
	s_and_b64 s[16:17], s[16:17], exec
	v_lshl_add_u64 v[4:5], v[4:5], 0, 8
	v_lshl_add_u64 v[6:7], v[6:7], 0, 8
	s_andn2_b64 s[14:15], s[14:15], exec
	s_or_b64 s[52:53], s[52:53], s[16:17]
                                        ; implicit-def: $sgpr56_sgpr57
	s_branch .LBB1605_1048
.LBB1605_1051:
	s_or_b64 exec, exec, s[48:49]
	s_xor_b64 s[14:15], s[50:51], -1
	s_branch .LBB1605_1053
.LBB1605_1052:
	s_mov_b64 s[14:15], -1
.LBB1605_1053:
	s_and_b64 s[14:15], s[14:15], exec
.LBB1605_1054:
	s_or_b64 exec, exec, s[30:31]
	s_orn2_b64 s[30:31], s[14:15], exec
.LBB1605_1055:
	s_or_b64 exec, exec, s[46:47]
	v_cndmask_b32_e64 v4, v48, v47, s[30:31]
	v_cndmask_b32_e64 v5, v25, v24, s[30:31]
	;; [unrolled: 1-line block ×4, first 2 shown]
	v_add_u32_e32 v37, 1, v4
	v_add_u32_e32 v4, -1, v5
	v_min_u32_e32 v4, v37, v4
	v_lshl_add_u32 v4, v4, 3, v33
	v_cndmask_b32_e64 v11, v10, v11, s[24:25]
	v_cndmask_b32_e64 v10, v17, v23, s[24:25]
	;; [unrolled: 1-line block ×4, first 2 shown]
	ds_read_b64 v[22:23], v4
	v_cndmask_b32_e64 v14, v2, v0, s[20:21]
	v_cndmask_b32_e64 v0, v37, v48, s[30:31]
	;; [unrolled: 1-line block ×9, first 2 shown]
	s_waitcnt lgkmcnt(0)
	v_cndmask_b32_e64 v5, v49, v23, s[30:31]
	v_cndmask_b32_e64 v4, v50, v22, s[30:31]
	v_cmp_lt_u32_e32 vcc, v0, v25
	s_and_saveexec_b64 s[20:21], vcc
	s_cbranch_execz .LBB1605_1065
; %bb.1056:
	v_cndmask_b32_e64 v0, v22, v46, s[30:31]
	v_cndmask_b32_e64 v22, v47, v37, s[30:31]
	;; [unrolled: 1-line block ×3, first 2 shown]
	v_cmp_lt_u32_e32 vcc, v22, v24
	s_and_saveexec_b64 s[22:23], vcc
	s_cbranch_execz .LBB1605_1064
; %bb.1057:
	s_andn2_b64 vcc, exec, s[42:43]
	s_cbranch_vccnz .LBB1605_1063
; %bb.1058:
	v_mul_lo_u32 v24, v1, s36
	v_mul_lo_u32 v25, v0, s37
	v_mad_u64_u32 v[22:23], s[14:15], v0, s36, 0
	v_add3_u32 v23, v23, v25, v24
	v_mul_lo_u32 v37, v5, s36
	v_mul_lo_u32 v38, v4, s37
	v_mad_u64_u32 v[24:25], s[14:15], v4, s36, 0
	v_add3_u32 v25, v25, v38, v37
	v_lshl_add_u64 v[22:23], v[22:23], 3, s[38:39]
	v_lshl_add_u64 v[24:25], v[24:25], 3, s[38:39]
	s_mov_b64 s[24:25], 0
	s_mov_b64 s[30:31], s[36:37]
                                        ; implicit-def: $sgpr26_sgpr27
                                        ; implicit-def: $sgpr28_sgpr29
                                        ; implicit-def: $sgpr14_sgpr15
                                        ; implicit-def: $sgpr44_sgpr45
	s_branch .LBB1605_1060
.LBB1605_1059:                          ;   in Loop: Header=BB1605_1060 Depth=1
	s_or_b64 exec, exec, s[48:49]
	s_and_b64 s[16:17], exec, s[28:29]
	s_or_b64 s[24:25], s[16:17], s[24:25]
	s_andn2_b64 s[16:17], s[44:45], exec
	s_and_b64 s[44:45], s[46:47], exec
	s_or_b64 s[44:45], s[16:17], s[44:45]
	s_andn2_b64 s[16:17], s[26:27], exec
	s_and_b64 s[26:27], s[14:15], exec
	s_or_b64 s[26:27], s[16:17], s[26:27]
	s_andn2_b64 exec, exec, s[24:25]
	s_cbranch_execz .LBB1605_1062
.LBB1605_1060:                          ; =>This Inner Loop Header: Depth=1
	global_load_dwordx2 v[38:39], v[22:23], off
	global_load_dwordx2 v[40:41], v[24:25], off
	s_andn2_b64 s[48:49], s[14:15], exec
	s_or_b64 s[28:29], s[28:29], exec
	s_waitcnt vmcnt(0)
	v_cmp_le_u64_e64 s[14:15], v[38:39], v[40:41]
	v_cmp_lt_u64_e32 vcc, v[38:39], v[40:41]
	s_and_b64 s[14:15], s[14:15], s[44:45]
	s_or_b64 s[46:47], vcc, s[14:15]
	s_and_b64 s[14:15], s[46:47], exec
	v_cmp_eq_u64_e64 s[16:17], v[38:39], v[40:41]
	s_or_b64 s[14:15], s[48:49], s[14:15]
	s_and_saveexec_b64 s[48:49], s[16:17]
	s_cbranch_execz .LBB1605_1059
; %bb.1061:                             ;   in Loop: Header=BB1605_1060 Depth=1
	s_add_u32 s30, s30, -1
	s_addc_u32 s31, s31, -1
	s_cmp_eq_u64 s[30:31], 0
	s_cselect_b64 s[16:17], -1, 0
	s_andn2_b64 s[28:29], s[28:29], exec
	s_and_b64 s[16:17], s[16:17], exec
	v_lshl_add_u64 v[22:23], v[22:23], 0, 8
	v_lshl_add_u64 v[24:25], v[24:25], 0, 8
	s_andn2_b64 s[14:15], s[14:15], exec
	s_or_b64 s[28:29], s[28:29], s[16:17]
                                        ; implicit-def: $sgpr44_sgpr45
	s_branch .LBB1605_1059
.LBB1605_1062:
	s_or_b64 exec, exec, s[24:25]
	v_cndmask_b32_e64 v5, v5, v1, s[26:27]
	v_cndmask_b32_e64 v4, v4, v0, s[26:27]
.LBB1605_1063:
	v_mov_b64_e32 v[0:1], v[4:5]
.LBB1605_1064:
	s_or_b64 exec, exec, s[22:23]
	v_mov_b64_e32 v[4:5], v[0:1]
.LBB1605_1065:
	s_or_b64 exec, exec, s[20:21]
.LBB1605_1066:
	s_or_b64 exec, exec, s[18:19]
	v_and_b32_e32 v39, 0x3e0, v35
	v_or_b32_e32 v0, 16, v39
	v_min_u32_e32 v24, v34, v0
	v_add_u32_e32 v0, 16, v24
	v_min_u32_e32 v25, v34, v0
	v_and_b32_e32 v0, 24, v35
	v_min_u32_e32 v40, v34, v0
	v_sub_u32_e32 v0, v24, v39
	v_sub_u32_e32 v1, v25, v24
	v_sub_u32_e64 v38, v40, v1 clamp
	v_min_u32_e32 v41, v40, v0
	v_lshl_add_u32 v37, v39, 3, v33
	v_cmp_lt_u32_e32 vcc, v38, v41
	; wave barrier
	ds_write_b128 v36, v[14:17]
	ds_write_b128 v36, v[10:13] offset:16
	ds_write_b128 v36, v[6:9] offset:32
	;; [unrolled: 1-line block ×3, first 2 shown]
	; wave barrier
	s_and_saveexec_b64 s[20:21], vcc
	s_cbranch_execz .LBB1605_1076
; %bb.1067:
	v_lshlrev_b32_e32 v0, 3, v24
	v_lshlrev_b32_e32 v1, 3, v40
	v_add3_u32 v42, v33, v0, v1
	v_cndmask_b32_e64 v0, 0, 1, s[42:43]
	s_lshl_b64 s[24:25], s[36:37], 3
	s_mov_b64 s[22:23], 0
	v_cmp_ne_u32_e64 s[14:15], 1, v0
	s_branch .LBB1605_1070
.LBB1605_1068:                          ;   in Loop: Header=BB1605_1070 Depth=1
	s_or_b64 exec, exec, s[28:29]
.LBB1605_1069:                          ;   in Loop: Header=BB1605_1070 Depth=1
	v_add_u32_e32 v0, 1, v43
	v_cndmask_b32_e64 v41, v41, v43, s[26:27]
	v_cndmask_b32_e64 v38, v0, v38, s[26:27]
	v_cmp_ge_u32_e32 vcc, v38, v41
	s_or_b64 s[22:23], vcc, s[22:23]
	s_andn2_b64 exec, exec, s[22:23]
	s_cbranch_execz .LBB1605_1075
.LBB1605_1070:                          ; =>This Loop Header: Depth=1
                                        ;     Child Loop BB1605_1073 Depth 2
	v_add_u32_e32 v0, v41, v38
	v_lshrrev_b32_e32 v43, 1, v0
	s_and_b64 vcc, exec, s[14:15]
	s_mov_b64 s[26:27], 0
	s_cbranch_vccnz .LBB1605_1069
; %bb.1071:                             ;   in Loop: Header=BB1605_1070 Depth=1
	v_not_b32_e32 v0, v43
	v_lshl_add_u32 v0, v0, 3, v42
	ds_read_b64 v[0:1], v0
	v_lshl_add_u32 v44, v43, 3, v37
	ds_read_b64 v[44:45], v44
	v_mov_b64_e32 v[22:23], s[38:39]
	s_mov_b64 s[28:29], 0
	s_waitcnt lgkmcnt(1)
	v_mul_lo_u32 v46, s24, v1
	v_mul_lo_u32 v47, s25, v0
	v_mad_u64_u32 v[0:1], s[16:17], s24, v0, v[22:23]
	v_add3_u32 v1, v47, v1, v46
	s_waitcnt lgkmcnt(0)
	v_mul_lo_u32 v45, s24, v45
	v_mul_lo_u32 v46, s25, v44
	v_mad_u64_u32 v[22:23], s[16:17], s24, v44, v[22:23]
	v_add3_u32 v23, v46, v23, v45
	s_mov_b64 s[44:45], s[36:37]
                                        ; implicit-def: $sgpr26_sgpr27
                                        ; implicit-def: $sgpr30_sgpr31
                                        ; implicit-def: $sgpr16_sgpr17
                                        ; implicit-def: $sgpr46_sgpr47
	s_branch .LBB1605_1073
.LBB1605_1072:                          ;   in Loop: Header=BB1605_1073 Depth=2
	s_or_b64 exec, exec, s[50:51]
	s_and_b64 s[18:19], exec, s[30:31]
	s_or_b64 s[28:29], s[18:19], s[28:29]
	s_andn2_b64 s[18:19], s[46:47], exec
	s_and_b64 s[46:47], s[48:49], exec
	s_or_b64 s[46:47], s[18:19], s[46:47]
	s_andn2_b64 s[18:19], s[26:27], exec
	s_and_b64 s[26:27], s[16:17], exec
	s_or_b64 s[26:27], s[18:19], s[26:27]
	s_andn2_b64 exec, exec, s[28:29]
	s_cbranch_execz .LBB1605_1068
.LBB1605_1073:                          ;   Parent Loop BB1605_1070 Depth=1
                                        ; =>  This Inner Loop Header: Depth=2
	global_load_dwordx2 v[44:45], v[0:1], off
	global_load_dwordx2 v[46:47], v[22:23], off
	s_andn2_b64 s[50:51], s[16:17], exec
	s_or_b64 s[30:31], s[30:31], exec
	s_waitcnt vmcnt(0)
	v_cmp_le_u64_e64 s[16:17], v[44:45], v[46:47]
	v_cmp_lt_u64_e32 vcc, v[44:45], v[46:47]
	s_and_b64 s[16:17], s[16:17], s[46:47]
	s_or_b64 s[48:49], vcc, s[16:17]
	s_and_b64 s[16:17], s[48:49], exec
	v_cmp_eq_u64_e64 s[18:19], v[44:45], v[46:47]
	s_or_b64 s[16:17], s[50:51], s[16:17]
	s_and_saveexec_b64 s[50:51], s[18:19]
	s_cbranch_execz .LBB1605_1072
; %bb.1074:                             ;   in Loop: Header=BB1605_1073 Depth=2
	s_add_u32 s44, s44, -1
	s_addc_u32 s45, s45, -1
	s_cmp_eq_u64 s[44:45], 0
	s_cselect_b64 s[18:19], -1, 0
	s_andn2_b64 s[30:31], s[30:31], exec
	s_and_b64 s[18:19], s[18:19], exec
	v_lshl_add_u64 v[0:1], v[0:1], 0, 8
	v_lshl_add_u64 v[22:23], v[22:23], 0, 8
	s_andn2_b64 s[16:17], s[16:17], exec
	s_or_b64 s[30:31], s[30:31], s[18:19]
                                        ; implicit-def: $sgpr46_sgpr47
	s_branch .LBB1605_1072
.LBB1605_1075:
	s_or_b64 exec, exec, s[22:23]
.LBB1605_1076:
	s_or_b64 exec, exec, s[20:21]
	v_add_u32_e32 v0, v24, v40
	v_add_u32_e32 v23, v38, v39
	v_sub_u32_e32 v39, v0, v38
	v_cmp_le_u32_e32 vcc, v23, v24
	v_cmp_le_u32_e64 s[14:15], v39, v25
	s_or_b64 s[14:15], vcc, s[14:15]
	s_and_saveexec_b64 s[18:19], s[14:15]
	s_cbranch_execz .LBB1605_1167
; %bb.1077:
	v_cmp_ge_u32_e32 vcc, v23, v24
	v_cmp_lt_u32_e64 s[14:15], v23, v24
                                        ; implicit-def: $vgpr0_vgpr1
	s_and_saveexec_b64 s[16:17], s[14:15]
; %bb.1078:
	v_lshl_add_u32 v0, v38, 3, v37
	ds_read_b64 v[0:1], v0
; %bb.1079:
	s_or_b64 exec, exec, s[16:17]
	v_cmp_ge_u32_e64 s[20:21], v39, v25
	v_cmp_lt_u32_e64 s[14:15], v39, v25
                                        ; implicit-def: $vgpr2_vgpr3
	s_and_saveexec_b64 s[16:17], s[14:15]
; %bb.1080:
	v_lshl_add_u32 v2, v39, 3, v33
	ds_read_b64 v[2:3], v2
; %bb.1081:
	s_or_b64 exec, exec, s[16:17]
	s_nor_b64 s[14:15], vcc, s[20:21]
	s_and_saveexec_b64 s[22:23], s[14:15]
	s_cbranch_execz .LBB1605_1090
; %bb.1082:
	s_andn2_b64 vcc, exec, s[42:43]
	s_cbranch_vccnz .LBB1605_1088
; %bb.1083:
	s_waitcnt lgkmcnt(0)
	v_mul_lo_u32 v6, v3, s36
	v_mul_lo_u32 v7, v2, s37
	v_mad_u64_u32 v[4:5], s[14:15], v2, s36, 0
	v_add3_u32 v5, v5, v7, v6
	v_mul_lo_u32 v8, v1, s36
	v_mul_lo_u32 v9, v0, s37
	v_mad_u64_u32 v[6:7], s[14:15], v0, s36, 0
	v_add3_u32 v7, v7, v9, v8
	v_lshl_add_u64 v[4:5], v[4:5], 3, s[38:39]
	v_lshl_add_u64 v[6:7], v[6:7], 3, s[38:39]
	s_mov_b64 s[24:25], 0
	s_mov_b64 s[30:31], s[36:37]
                                        ; implicit-def: $sgpr26_sgpr27
                                        ; implicit-def: $sgpr28_sgpr29
                                        ; implicit-def: $sgpr14_sgpr15
                                        ; implicit-def: $sgpr44_sgpr45
	s_branch .LBB1605_1085
.LBB1605_1084:                          ;   in Loop: Header=BB1605_1085 Depth=1
	s_or_b64 exec, exec, s[48:49]
	s_and_b64 s[16:17], exec, s[28:29]
	s_or_b64 s[24:25], s[16:17], s[24:25]
	s_andn2_b64 s[16:17], s[44:45], exec
	s_and_b64 s[44:45], s[46:47], exec
	s_or_b64 s[44:45], s[16:17], s[44:45]
	s_andn2_b64 s[16:17], s[26:27], exec
	s_and_b64 s[26:27], s[14:15], exec
	s_or_b64 s[26:27], s[16:17], s[26:27]
	s_andn2_b64 exec, exec, s[24:25]
	s_cbranch_execz .LBB1605_1087
.LBB1605_1085:                          ; =>This Inner Loop Header: Depth=1
	global_load_dwordx2 v[8:9], v[4:5], off
	global_load_dwordx2 v[10:11], v[6:7], off
	s_andn2_b64 s[48:49], s[14:15], exec
	s_or_b64 s[28:29], s[28:29], exec
	s_waitcnt vmcnt(0)
	v_cmp_le_u64_e64 s[14:15], v[8:9], v[10:11]
	v_cmp_lt_u64_e32 vcc, v[8:9], v[10:11]
	s_and_b64 s[14:15], s[14:15], s[44:45]
	s_or_b64 s[46:47], vcc, s[14:15]
	s_and_b64 s[14:15], s[46:47], exec
	v_cmp_eq_u64_e64 s[16:17], v[8:9], v[10:11]
	s_or_b64 s[14:15], s[48:49], s[14:15]
	s_and_saveexec_b64 s[48:49], s[16:17]
	s_cbranch_execz .LBB1605_1084
; %bb.1086:                             ;   in Loop: Header=BB1605_1085 Depth=1
	s_add_u32 s30, s30, -1
	s_addc_u32 s31, s31, -1
	s_cmp_eq_u64 s[30:31], 0
	s_cselect_b64 s[16:17], -1, 0
	s_andn2_b64 s[28:29], s[28:29], exec
	s_and_b64 s[16:17], s[16:17], exec
	v_lshl_add_u64 v[4:5], v[4:5], 0, 8
	v_lshl_add_u64 v[6:7], v[6:7], 0, 8
	s_andn2_b64 s[14:15], s[14:15], exec
	s_or_b64 s[28:29], s[28:29], s[16:17]
                                        ; implicit-def: $sgpr44_sgpr45
	s_branch .LBB1605_1084
.LBB1605_1087:
	s_or_b64 exec, exec, s[24:25]
	s_xor_b64 s[14:15], s[26:27], -1
	s_branch .LBB1605_1089
.LBB1605_1088:
	s_mov_b64 s[14:15], -1
.LBB1605_1089:
	s_andn2_b64 s[16:17], s[20:21], exec
	s_and_b64 s[14:15], s[14:15], exec
	s_or_b64 s[20:21], s[16:17], s[14:15]
.LBB1605_1090:
	s_or_b64 exec, exec, s[22:23]
	v_cndmask_b32_e64 v4, v39, v23, s[20:21]
	v_cndmask_b32_e64 v5, v25, v24, s[20:21]
	v_add_u32_e32 v6, 1, v4
	v_add_u32_e32 v4, -1, v5
	v_min_u32_e32 v4, v6, v4
	v_lshl_add_u32 v4, v4, 3, v33
	ds_read_b64 v[4:5], v4
	v_cndmask_b32_e64 v8, v6, v39, s[20:21]
	v_cndmask_b32_e64 v9, v23, v6, s[20:21]
	v_cmp_lt_u32_e32 vcc, v8, v25
	s_mov_b64 s[24:25], -1
	s_waitcnt lgkmcnt(0)
	v_cndmask_b32_e64 v14, v5, v3, s[20:21]
	v_cndmask_b32_e64 v15, v4, v2, s[20:21]
	;; [unrolled: 1-line block ×4, first 2 shown]
	s_mov_b64 s[22:23], -1
	s_and_saveexec_b64 s[26:27], vcc
	s_cbranch_execz .LBB1605_1101
; %bb.1091:
	v_cmp_lt_u32_e32 vcc, v9, v24
	s_mov_b64 s[14:15], 0
	s_and_saveexec_b64 s[22:23], vcc
	s_cbranch_execz .LBB1605_1100
; %bb.1092:
	s_andn2_b64 vcc, exec, s[42:43]
	s_cbranch_vccnz .LBB1605_1098
; %bb.1093:
	v_mul_lo_u32 v6, v14, s36
	v_mul_lo_u32 v7, v15, s37
	v_mad_u64_u32 v[4:5], s[14:15], v15, s36, 0
	v_add3_u32 v5, v5, v7, v6
	v_mul_lo_u32 v10, v16, s36
	v_mul_lo_u32 v11, v22, s37
	v_mad_u64_u32 v[6:7], s[14:15], v22, s36, 0
	v_add3_u32 v7, v7, v11, v10
	v_lshl_add_u64 v[4:5], v[4:5], 3, s[38:39]
	v_lshl_add_u64 v[6:7], v[6:7], 3, s[38:39]
	s_mov_b64 s[28:29], 0
	s_mov_b64 s[46:47], s[36:37]
                                        ; implicit-def: $sgpr30_sgpr31
                                        ; implicit-def: $sgpr44_sgpr45
                                        ; implicit-def: $sgpr14_sgpr15
                                        ; implicit-def: $sgpr48_sgpr49
	s_branch .LBB1605_1095
.LBB1605_1094:                          ;   in Loop: Header=BB1605_1095 Depth=1
	s_or_b64 exec, exec, s[52:53]
	s_and_b64 s[16:17], exec, s[44:45]
	s_or_b64 s[28:29], s[16:17], s[28:29]
	s_andn2_b64 s[16:17], s[48:49], exec
	s_and_b64 s[48:49], s[50:51], exec
	s_or_b64 s[48:49], s[16:17], s[48:49]
	s_andn2_b64 s[16:17], s[30:31], exec
	s_and_b64 s[30:31], s[14:15], exec
	s_or_b64 s[30:31], s[16:17], s[30:31]
	s_andn2_b64 exec, exec, s[28:29]
	s_cbranch_execz .LBB1605_1097
.LBB1605_1095:                          ; =>This Inner Loop Header: Depth=1
	global_load_dwordx2 v[10:11], v[4:5], off
	global_load_dwordx2 v[12:13], v[6:7], off
	s_andn2_b64 s[52:53], s[14:15], exec
	s_or_b64 s[44:45], s[44:45], exec
	s_waitcnt vmcnt(0)
	v_cmp_le_u64_e64 s[14:15], v[10:11], v[12:13]
	v_cmp_lt_u64_e32 vcc, v[10:11], v[12:13]
	s_and_b64 s[14:15], s[14:15], s[48:49]
	s_or_b64 s[50:51], vcc, s[14:15]
	s_and_b64 s[14:15], s[50:51], exec
	v_cmp_eq_u64_e64 s[16:17], v[10:11], v[12:13]
	s_or_b64 s[14:15], s[52:53], s[14:15]
	s_and_saveexec_b64 s[52:53], s[16:17]
	s_cbranch_execz .LBB1605_1094
; %bb.1096:                             ;   in Loop: Header=BB1605_1095 Depth=1
	s_add_u32 s46, s46, -1
	s_addc_u32 s47, s47, -1
	s_cmp_eq_u64 s[46:47], 0
	s_cselect_b64 s[16:17], -1, 0
	s_andn2_b64 s[44:45], s[44:45], exec
	s_and_b64 s[16:17], s[16:17], exec
	v_lshl_add_u64 v[4:5], v[4:5], 0, 8
	v_lshl_add_u64 v[6:7], v[6:7], 0, 8
	s_andn2_b64 s[14:15], s[14:15], exec
	s_or_b64 s[44:45], s[44:45], s[16:17]
                                        ; implicit-def: $sgpr48_sgpr49
	s_branch .LBB1605_1094
.LBB1605_1097:
	s_or_b64 exec, exec, s[28:29]
	s_xor_b64 s[14:15], s[30:31], -1
	s_branch .LBB1605_1099
.LBB1605_1098:
	s_mov_b64 s[14:15], -1
.LBB1605_1099:
	s_and_b64 s[14:15], s[14:15], exec
.LBB1605_1100:
	s_or_b64 exec, exec, s[22:23]
	s_orn2_b64 s[22:23], s[14:15], exec
.LBB1605_1101:
	s_or_b64 exec, exec, s[26:27]
	v_cndmask_b32_e64 v4, v8, v9, s[22:23]
	v_cndmask_b32_e64 v5, v25, v24, s[22:23]
	v_add_u32_e32 v6, 1, v4
	v_add_u32_e32 v4, -1, v5
	v_min_u32_e32 v4, v6, v4
	v_lshl_add_u32 v4, v4, 3, v33
	ds_read_b64 v[4:5], v4
	v_cndmask_b32_e64 v8, v6, v8, s[22:23]
	v_cndmask_b32_e64 v9, v9, v6, s[22:23]
	v_cmp_lt_u32_e32 vcc, v8, v25
	s_waitcnt lgkmcnt(0)
	v_cndmask_b32_e64 v10, v5, v14, s[22:23]
	v_cndmask_b32_e64 v17, v4, v15, s[22:23]
	;; [unrolled: 1-line block ×4, first 2 shown]
	s_and_saveexec_b64 s[26:27], vcc
	s_cbranch_execz .LBB1605_1112
; %bb.1102:
	v_cmp_lt_u32_e32 vcc, v9, v24
	s_mov_b64 s[14:15], 0
	s_and_saveexec_b64 s[24:25], vcc
	s_cbranch_execz .LBB1605_1111
; %bb.1103:
	s_andn2_b64 vcc, exec, s[42:43]
	s_cbranch_vccnz .LBB1605_1109
; %bb.1104:
	v_mul_lo_u32 v6, v10, s36
	v_mul_lo_u32 v7, v17, s37
	v_mad_u64_u32 v[4:5], s[14:15], v17, s36, 0
	v_add3_u32 v5, v5, v7, v6
	v_mul_lo_u32 v12, v11, s36
	v_mul_lo_u32 v13, v23, s37
	v_mad_u64_u32 v[6:7], s[14:15], v23, s36, 0
	v_add3_u32 v7, v7, v13, v12
	v_lshl_add_u64 v[4:5], v[4:5], 3, s[38:39]
	v_lshl_add_u64 v[6:7], v[6:7], 3, s[38:39]
	s_mov_b64 s[28:29], 0
	s_mov_b64 s[46:47], s[36:37]
                                        ; implicit-def: $sgpr30_sgpr31
                                        ; implicit-def: $sgpr44_sgpr45
                                        ; implicit-def: $sgpr14_sgpr15
                                        ; implicit-def: $sgpr48_sgpr49
	s_branch .LBB1605_1106
.LBB1605_1105:                          ;   in Loop: Header=BB1605_1106 Depth=1
	s_or_b64 exec, exec, s[52:53]
	s_and_b64 s[16:17], exec, s[44:45]
	s_or_b64 s[28:29], s[16:17], s[28:29]
	s_andn2_b64 s[16:17], s[48:49], exec
	s_and_b64 s[48:49], s[50:51], exec
	s_or_b64 s[48:49], s[16:17], s[48:49]
	s_andn2_b64 s[16:17], s[30:31], exec
	s_and_b64 s[30:31], s[14:15], exec
	s_or_b64 s[30:31], s[16:17], s[30:31]
	s_andn2_b64 exec, exec, s[28:29]
	s_cbranch_execz .LBB1605_1108
.LBB1605_1106:                          ; =>This Inner Loop Header: Depth=1
	global_load_dwordx2 v[12:13], v[4:5], off
	global_load_dwordx2 v[38:39], v[6:7], off
	s_andn2_b64 s[52:53], s[14:15], exec
	s_or_b64 s[44:45], s[44:45], exec
	s_waitcnt vmcnt(0)
	v_cmp_le_u64_e64 s[14:15], v[12:13], v[38:39]
	v_cmp_lt_u64_e32 vcc, v[12:13], v[38:39]
	s_and_b64 s[14:15], s[14:15], s[48:49]
	s_or_b64 s[50:51], vcc, s[14:15]
	s_and_b64 s[14:15], s[50:51], exec
	v_cmp_eq_u64_e64 s[16:17], v[12:13], v[38:39]
	s_or_b64 s[14:15], s[52:53], s[14:15]
	s_and_saveexec_b64 s[52:53], s[16:17]
	s_cbranch_execz .LBB1605_1105
; %bb.1107:                             ;   in Loop: Header=BB1605_1106 Depth=1
	s_add_u32 s46, s46, -1
	s_addc_u32 s47, s47, -1
	s_cmp_eq_u64 s[46:47], 0
	s_cselect_b64 s[16:17], -1, 0
	s_andn2_b64 s[44:45], s[44:45], exec
	s_and_b64 s[16:17], s[16:17], exec
	v_lshl_add_u64 v[4:5], v[4:5], 0, 8
	v_lshl_add_u64 v[6:7], v[6:7], 0, 8
	s_andn2_b64 s[14:15], s[14:15], exec
	s_or_b64 s[44:45], s[44:45], s[16:17]
                                        ; implicit-def: $sgpr48_sgpr49
	s_branch .LBB1605_1105
.LBB1605_1108:
	s_or_b64 exec, exec, s[28:29]
	s_xor_b64 s[14:15], s[30:31], -1
	s_branch .LBB1605_1110
.LBB1605_1109:
	s_mov_b64 s[14:15], -1
.LBB1605_1110:
	s_and_b64 s[14:15], s[14:15], exec
.LBB1605_1111:
	s_or_b64 exec, exec, s[24:25]
	s_orn2_b64 s[24:25], s[14:15], exec
.LBB1605_1112:
	s_or_b64 exec, exec, s[26:27]
	v_cndmask_b32_e64 v4, v8, v9, s[24:25]
	v_cndmask_b32_e64 v5, v25, v24, s[24:25]
	v_add_u32_e32 v6, 1, v4
	v_add_u32_e32 v4, -1, v5
	v_min_u32_e32 v4, v6, v4
	v_lshl_add_u32 v4, v4, 3, v33
	ds_read_b64 v[4:5], v4
	v_cndmask_b32_e64 v8, v6, v8, s[24:25]
	v_cndmask_b32_e64 v9, v9, v6, s[24:25]
	v_cmp_lt_u32_e32 vcc, v8, v25
	s_mov_b64 s[28:29], -1
	s_waitcnt lgkmcnt(0)
	v_cndmask_b32_e64 v12, v5, v10, s[24:25]
	v_cndmask_b32_e64 v37, v4, v17, s[24:25]
	;; [unrolled: 1-line block ×4, first 2 shown]
	s_mov_b64 s[26:27], -1
	s_and_saveexec_b64 s[30:31], vcc
	s_cbranch_execz .LBB1605_1123
; %bb.1113:
	v_cmp_lt_u32_e32 vcc, v9, v24
	s_mov_b64 s[14:15], 0
	s_and_saveexec_b64 s[26:27], vcc
	s_cbranch_execz .LBB1605_1122
; %bb.1114:
	s_andn2_b64 vcc, exec, s[42:43]
	s_cbranch_vccnz .LBB1605_1120
; %bb.1115:
	v_mul_lo_u32 v6, v12, s36
	v_mul_lo_u32 v7, v37, s37
	v_mad_u64_u32 v[4:5], s[14:15], v37, s36, 0
	v_add3_u32 v5, v5, v7, v6
	v_mul_lo_u32 v39, v13, s36
	v_mul_lo_u32 v40, v38, s37
	v_mad_u64_u32 v[6:7], s[14:15], v38, s36, 0
	v_add3_u32 v7, v7, v40, v39
	v_lshl_add_u64 v[4:5], v[4:5], 3, s[38:39]
	v_lshl_add_u64 v[6:7], v[6:7], 3, s[38:39]
	s_mov_b64 s[44:45], 0
	s_mov_b64 s[50:51], s[36:37]
                                        ; implicit-def: $sgpr46_sgpr47
                                        ; implicit-def: $sgpr48_sgpr49
                                        ; implicit-def: $sgpr14_sgpr15
                                        ; implicit-def: $sgpr52_sgpr53
	s_branch .LBB1605_1117
.LBB1605_1116:                          ;   in Loop: Header=BB1605_1117 Depth=1
	s_or_b64 exec, exec, s[56:57]
	s_and_b64 s[16:17], exec, s[48:49]
	s_or_b64 s[44:45], s[16:17], s[44:45]
	s_andn2_b64 s[16:17], s[52:53], exec
	s_and_b64 s[52:53], s[54:55], exec
	s_or_b64 s[52:53], s[16:17], s[52:53]
	s_andn2_b64 s[16:17], s[46:47], exec
	s_and_b64 s[46:47], s[14:15], exec
	s_or_b64 s[46:47], s[16:17], s[46:47]
	s_andn2_b64 exec, exec, s[44:45]
	s_cbranch_execz .LBB1605_1119
.LBB1605_1117:                          ; =>This Inner Loop Header: Depth=1
	global_load_dwordx2 v[40:41], v[4:5], off
	global_load_dwordx2 v[42:43], v[6:7], off
	s_andn2_b64 s[56:57], s[14:15], exec
	s_or_b64 s[48:49], s[48:49], exec
	s_waitcnt vmcnt(0)
	v_cmp_le_u64_e64 s[14:15], v[40:41], v[42:43]
	v_cmp_lt_u64_e32 vcc, v[40:41], v[42:43]
	s_and_b64 s[14:15], s[14:15], s[52:53]
	s_or_b64 s[54:55], vcc, s[14:15]
	s_and_b64 s[14:15], s[54:55], exec
	v_cmp_eq_u64_e64 s[16:17], v[40:41], v[42:43]
	s_or_b64 s[14:15], s[56:57], s[14:15]
	s_and_saveexec_b64 s[56:57], s[16:17]
	s_cbranch_execz .LBB1605_1116
; %bb.1118:                             ;   in Loop: Header=BB1605_1117 Depth=1
	s_add_u32 s50, s50, -1
	s_addc_u32 s51, s51, -1
	s_cmp_eq_u64 s[50:51], 0
	s_cselect_b64 s[16:17], -1, 0
	s_andn2_b64 s[48:49], s[48:49], exec
	s_and_b64 s[16:17], s[16:17], exec
	v_lshl_add_u64 v[4:5], v[4:5], 0, 8
	v_lshl_add_u64 v[6:7], v[6:7], 0, 8
	s_andn2_b64 s[14:15], s[14:15], exec
	s_or_b64 s[48:49], s[48:49], s[16:17]
                                        ; implicit-def: $sgpr52_sgpr53
	s_branch .LBB1605_1116
.LBB1605_1119:
	s_or_b64 exec, exec, s[44:45]
	s_xor_b64 s[14:15], s[46:47], -1
	s_branch .LBB1605_1121
.LBB1605_1120:
	s_mov_b64 s[14:15], -1
.LBB1605_1121:
	s_and_b64 s[14:15], s[14:15], exec
.LBB1605_1122:
	s_or_b64 exec, exec, s[26:27]
	s_orn2_b64 s[26:27], s[14:15], exec
.LBB1605_1123:
	s_or_b64 exec, exec, s[30:31]
	v_cndmask_b32_e64 v4, v8, v9, s[26:27]
	v_cndmask_b32_e64 v5, v25, v24, s[26:27]
	v_add_u32_e32 v6, 1, v4
	v_add_u32_e32 v4, -1, v5
	v_min_u32_e32 v4, v6, v4
	v_lshl_add_u32 v4, v4, 3, v33
	ds_read_b64 v[4:5], v4
	v_cndmask_b32_e64 v45, v6, v8, s[26:27]
	v_cndmask_b32_e64 v46, v9, v6, s[26:27]
	v_cmp_lt_u32_e32 vcc, v45, v25
	s_waitcnt lgkmcnt(0)
	v_cndmask_b32_e64 v39, v5, v12, s[26:27]
	v_cndmask_b32_e64 v40, v4, v37, s[26:27]
	;; [unrolled: 1-line block ×4, first 2 shown]
	s_and_saveexec_b64 s[30:31], vcc
	s_cbranch_execz .LBB1605_1134
; %bb.1124:
	v_cmp_lt_u32_e32 vcc, v46, v24
	s_mov_b64 s[14:15], 0
	s_and_saveexec_b64 s[28:29], vcc
	s_cbranch_execz .LBB1605_1133
; %bb.1125:
	s_andn2_b64 vcc, exec, s[42:43]
	s_cbranch_vccnz .LBB1605_1131
; %bb.1126:
	v_mul_lo_u32 v6, v39, s36
	v_mul_lo_u32 v7, v40, s37
	v_mad_u64_u32 v[4:5], s[14:15], v40, s36, 0
	v_add3_u32 v5, v5, v7, v6
	v_mul_lo_u32 v8, v41, s36
	v_mul_lo_u32 v9, v42, s37
	v_mad_u64_u32 v[6:7], s[14:15], v42, s36, 0
	v_add3_u32 v7, v7, v9, v8
	v_lshl_add_u64 v[4:5], v[4:5], 3, s[38:39]
	v_lshl_add_u64 v[6:7], v[6:7], 3, s[38:39]
	s_mov_b64 s[44:45], 0
	s_mov_b64 s[50:51], s[36:37]
                                        ; implicit-def: $sgpr46_sgpr47
                                        ; implicit-def: $sgpr48_sgpr49
                                        ; implicit-def: $sgpr14_sgpr15
                                        ; implicit-def: $sgpr52_sgpr53
	s_branch .LBB1605_1128
.LBB1605_1127:                          ;   in Loop: Header=BB1605_1128 Depth=1
	s_or_b64 exec, exec, s[56:57]
	s_and_b64 s[16:17], exec, s[48:49]
	s_or_b64 s[44:45], s[16:17], s[44:45]
	s_andn2_b64 s[16:17], s[52:53], exec
	s_and_b64 s[52:53], s[54:55], exec
	s_or_b64 s[52:53], s[16:17], s[52:53]
	s_andn2_b64 s[16:17], s[46:47], exec
	s_and_b64 s[46:47], s[14:15], exec
	s_or_b64 s[46:47], s[16:17], s[46:47]
	s_andn2_b64 exec, exec, s[44:45]
	s_cbranch_execz .LBB1605_1130
.LBB1605_1128:                          ; =>This Inner Loop Header: Depth=1
	global_load_dwordx2 v[8:9], v[4:5], off
	global_load_dwordx2 v[48:49], v[6:7], off
	s_andn2_b64 s[56:57], s[14:15], exec
	s_or_b64 s[48:49], s[48:49], exec
	s_waitcnt vmcnt(0)
	v_cmp_le_u64_e64 s[14:15], v[8:9], v[48:49]
	v_cmp_lt_u64_e32 vcc, v[8:9], v[48:49]
	s_and_b64 s[14:15], s[14:15], s[52:53]
	s_or_b64 s[54:55], vcc, s[14:15]
	s_and_b64 s[14:15], s[54:55], exec
	v_cmp_eq_u64_e64 s[16:17], v[8:9], v[48:49]
	s_or_b64 s[14:15], s[56:57], s[14:15]
	s_and_saveexec_b64 s[56:57], s[16:17]
	s_cbranch_execz .LBB1605_1127
; %bb.1129:                             ;   in Loop: Header=BB1605_1128 Depth=1
	s_add_u32 s50, s50, -1
	s_addc_u32 s51, s51, -1
	s_cmp_eq_u64 s[50:51], 0
	s_cselect_b64 s[16:17], -1, 0
	s_andn2_b64 s[48:49], s[48:49], exec
	s_and_b64 s[16:17], s[16:17], exec
	v_lshl_add_u64 v[4:5], v[4:5], 0, 8
	v_lshl_add_u64 v[6:7], v[6:7], 0, 8
	s_andn2_b64 s[14:15], s[14:15], exec
	s_or_b64 s[48:49], s[48:49], s[16:17]
                                        ; implicit-def: $sgpr52_sgpr53
	s_branch .LBB1605_1127
.LBB1605_1130:
	s_or_b64 exec, exec, s[44:45]
	s_xor_b64 s[14:15], s[46:47], -1
	s_branch .LBB1605_1132
.LBB1605_1131:
	s_mov_b64 s[14:15], -1
.LBB1605_1132:
	s_and_b64 s[14:15], s[14:15], exec
.LBB1605_1133:
	s_or_b64 exec, exec, s[28:29]
	s_orn2_b64 s[28:29], s[14:15], exec
.LBB1605_1134:
	s_or_b64 exec, exec, s[30:31]
	v_cndmask_b32_e64 v4, v45, v46, s[28:29]
	v_cndmask_b32_e64 v5, v25, v24, s[28:29]
	v_add_u32_e32 v6, 1, v4
	v_add_u32_e32 v4, -1, v5
	v_min_u32_e32 v4, v6, v4
	v_lshl_add_u32 v4, v4, 3, v33
	ds_read_b64 v[4:5], v4
	v_cndmask_b32_e64 v47, v6, v45, s[28:29]
	v_cndmask_b32_e64 v51, v46, v6, s[28:29]
	v_cmp_lt_u32_e32 vcc, v47, v25
	s_mov_b64 s[30:31], -1
	s_waitcnt lgkmcnt(0)
	v_cndmask_b32_e64 v8, v5, v39, s[28:29]
	v_cndmask_b32_e64 v43, v4, v40, s[28:29]
	;; [unrolled: 1-line block ×4, first 2 shown]
	s_mov_b64 s[44:45], -1
	s_and_saveexec_b64 s[46:47], vcc
	s_cbranch_execz .LBB1605_1145
; %bb.1135:
	v_cmp_lt_u32_e32 vcc, v51, v24
	s_mov_b64 s[14:15], 0
	s_and_saveexec_b64 s[44:45], vcc
	s_cbranch_execz .LBB1605_1144
; %bb.1136:
	s_andn2_b64 vcc, exec, s[42:43]
	s_cbranch_vccnz .LBB1605_1142
; %bb.1137:
	v_mul_lo_u32 v6, v8, s36
	v_mul_lo_u32 v7, v43, s37
	v_mad_u64_u32 v[4:5], s[14:15], v43, s36, 0
	v_add3_u32 v5, v5, v7, v6
	v_mul_lo_u32 v45, v9, s36
	v_mul_lo_u32 v46, v44, s37
	v_mad_u64_u32 v[6:7], s[14:15], v44, s36, 0
	v_add3_u32 v7, v7, v46, v45
	v_lshl_add_u64 v[4:5], v[4:5], 3, s[38:39]
	v_lshl_add_u64 v[6:7], v[6:7], 3, s[38:39]
	s_mov_b64 s[48:49], 0
	s_mov_b64 s[54:55], s[36:37]
                                        ; implicit-def: $sgpr50_sgpr51
                                        ; implicit-def: $sgpr52_sgpr53
                                        ; implicit-def: $sgpr14_sgpr15
                                        ; implicit-def: $sgpr56_sgpr57
	s_branch .LBB1605_1139
.LBB1605_1138:                          ;   in Loop: Header=BB1605_1139 Depth=1
	s_or_b64 exec, exec, s[60:61]
	s_and_b64 s[16:17], exec, s[52:53]
	s_or_b64 s[48:49], s[16:17], s[48:49]
	s_andn2_b64 s[16:17], s[56:57], exec
	s_and_b64 s[56:57], s[58:59], exec
	s_or_b64 s[56:57], s[16:17], s[56:57]
	s_andn2_b64 s[16:17], s[50:51], exec
	s_and_b64 s[50:51], s[14:15], exec
	s_or_b64 s[50:51], s[16:17], s[50:51]
	s_andn2_b64 exec, exec, s[48:49]
	s_cbranch_execz .LBB1605_1141
.LBB1605_1139:                          ; =>This Inner Loop Header: Depth=1
	global_load_dwordx2 v[48:49], v[4:5], off
	global_load_dwordx2 v[52:53], v[6:7], off
	s_andn2_b64 s[60:61], s[14:15], exec
	s_or_b64 s[52:53], s[52:53], exec
	s_waitcnt vmcnt(0)
	v_cmp_le_u64_e64 s[14:15], v[48:49], v[52:53]
	v_cmp_lt_u64_e32 vcc, v[48:49], v[52:53]
	s_and_b64 s[14:15], s[14:15], s[56:57]
	s_or_b64 s[58:59], vcc, s[14:15]
	s_and_b64 s[14:15], s[58:59], exec
	v_cmp_eq_u64_e64 s[16:17], v[48:49], v[52:53]
	s_or_b64 s[14:15], s[60:61], s[14:15]
	s_and_saveexec_b64 s[60:61], s[16:17]
	s_cbranch_execz .LBB1605_1138
; %bb.1140:                             ;   in Loop: Header=BB1605_1139 Depth=1
	s_add_u32 s54, s54, -1
	s_addc_u32 s55, s55, -1
	s_cmp_eq_u64 s[54:55], 0
	s_cselect_b64 s[16:17], -1, 0
	s_andn2_b64 s[52:53], s[52:53], exec
	s_and_b64 s[16:17], s[16:17], exec
	v_lshl_add_u64 v[4:5], v[4:5], 0, 8
	v_lshl_add_u64 v[6:7], v[6:7], 0, 8
	s_andn2_b64 s[14:15], s[14:15], exec
	s_or_b64 s[52:53], s[52:53], s[16:17]
                                        ; implicit-def: $sgpr56_sgpr57
	s_branch .LBB1605_1138
.LBB1605_1141:
	s_or_b64 exec, exec, s[48:49]
	s_xor_b64 s[14:15], s[50:51], -1
	s_branch .LBB1605_1143
.LBB1605_1142:
	s_mov_b64 s[14:15], -1
.LBB1605_1143:
	s_and_b64 s[14:15], s[14:15], exec
.LBB1605_1144:
	s_or_b64 exec, exec, s[44:45]
	s_orn2_b64 s[44:45], s[14:15], exec
.LBB1605_1145:
	s_or_b64 exec, exec, s[46:47]
	v_cndmask_b32_e64 v4, v47, v51, s[44:45]
	v_cndmask_b32_e64 v5, v25, v24, s[44:45]
	v_add_u32_e32 v6, 1, v4
	v_add_u32_e32 v4, -1, v5
	v_min_u32_e32 v4, v6, v4
	v_lshl_add_u32 v4, v4, 3, v33
	ds_read_b64 v[4:5], v4
	v_cndmask_b32_e64 v48, v6, v47, s[44:45]
	v_cndmask_b32_e64 v47, v51, v6, s[44:45]
	v_cmp_lt_u32_e32 vcc, v48, v25
	s_waitcnt lgkmcnt(0)
	v_cndmask_b32_e64 v45, v5, v8, s[44:45]
	v_cndmask_b32_e64 v46, v4, v43, s[44:45]
	;; [unrolled: 1-line block ×4, first 2 shown]
	s_and_saveexec_b64 s[46:47], vcc
	s_cbranch_execz .LBB1605_1156
; %bb.1146:
	v_cmp_lt_u32_e32 vcc, v47, v24
	s_mov_b64 s[14:15], 0
	s_and_saveexec_b64 s[30:31], vcc
	s_cbranch_execz .LBB1605_1155
; %bb.1147:
	s_andn2_b64 vcc, exec, s[42:43]
	s_cbranch_vccnz .LBB1605_1153
; %bb.1148:
	v_mul_lo_u32 v6, v45, s36
	v_mul_lo_u32 v7, v46, s37
	v_mad_u64_u32 v[4:5], s[14:15], v46, s36, 0
	v_add3_u32 v5, v5, v7, v6
	v_mul_lo_u32 v51, v49, s36
	v_mul_lo_u32 v52, v50, s37
	v_mad_u64_u32 v[6:7], s[14:15], v50, s36, 0
	v_add3_u32 v7, v7, v52, v51
	v_lshl_add_u64 v[4:5], v[4:5], 3, s[38:39]
	v_lshl_add_u64 v[6:7], v[6:7], 3, s[38:39]
	s_mov_b64 s[48:49], 0
	s_mov_b64 s[54:55], s[36:37]
                                        ; implicit-def: $sgpr50_sgpr51
                                        ; implicit-def: $sgpr52_sgpr53
                                        ; implicit-def: $sgpr14_sgpr15
                                        ; implicit-def: $sgpr56_sgpr57
	s_branch .LBB1605_1150
.LBB1605_1149:                          ;   in Loop: Header=BB1605_1150 Depth=1
	s_or_b64 exec, exec, s[60:61]
	s_and_b64 s[16:17], exec, s[52:53]
	s_or_b64 s[48:49], s[16:17], s[48:49]
	s_andn2_b64 s[16:17], s[56:57], exec
	s_and_b64 s[56:57], s[58:59], exec
	s_or_b64 s[56:57], s[16:17], s[56:57]
	s_andn2_b64 s[16:17], s[50:51], exec
	s_and_b64 s[50:51], s[14:15], exec
	s_or_b64 s[50:51], s[16:17], s[50:51]
	s_andn2_b64 exec, exec, s[48:49]
	s_cbranch_execz .LBB1605_1152
.LBB1605_1150:                          ; =>This Inner Loop Header: Depth=1
	global_load_dwordx2 v[52:53], v[4:5], off
	global_load_dwordx2 v[54:55], v[6:7], off
	s_andn2_b64 s[60:61], s[14:15], exec
	s_or_b64 s[52:53], s[52:53], exec
	s_waitcnt vmcnt(0)
	v_cmp_le_u64_e64 s[14:15], v[52:53], v[54:55]
	v_cmp_lt_u64_e32 vcc, v[52:53], v[54:55]
	s_and_b64 s[14:15], s[14:15], s[56:57]
	s_or_b64 s[58:59], vcc, s[14:15]
	s_and_b64 s[14:15], s[58:59], exec
	v_cmp_eq_u64_e64 s[16:17], v[52:53], v[54:55]
	s_or_b64 s[14:15], s[60:61], s[14:15]
	s_and_saveexec_b64 s[60:61], s[16:17]
	s_cbranch_execz .LBB1605_1149
; %bb.1151:                             ;   in Loop: Header=BB1605_1150 Depth=1
	s_add_u32 s54, s54, -1
	s_addc_u32 s55, s55, -1
	s_cmp_eq_u64 s[54:55], 0
	s_cselect_b64 s[16:17], -1, 0
	s_andn2_b64 s[52:53], s[52:53], exec
	s_and_b64 s[16:17], s[16:17], exec
	v_lshl_add_u64 v[4:5], v[4:5], 0, 8
	v_lshl_add_u64 v[6:7], v[6:7], 0, 8
	s_andn2_b64 s[14:15], s[14:15], exec
	s_or_b64 s[52:53], s[52:53], s[16:17]
                                        ; implicit-def: $sgpr56_sgpr57
	s_branch .LBB1605_1149
.LBB1605_1152:
	s_or_b64 exec, exec, s[48:49]
	s_xor_b64 s[14:15], s[50:51], -1
	s_branch .LBB1605_1154
.LBB1605_1153:
	s_mov_b64 s[14:15], -1
.LBB1605_1154:
	s_and_b64 s[14:15], s[14:15], exec
.LBB1605_1155:
	s_or_b64 exec, exec, s[30:31]
	s_orn2_b64 s[30:31], s[14:15], exec
.LBB1605_1156:
	s_or_b64 exec, exec, s[46:47]
	v_cndmask_b32_e64 v4, v48, v47, s[30:31]
	v_cndmask_b32_e64 v5, v25, v24, s[30:31]
	;; [unrolled: 1-line block ×4, first 2 shown]
	v_add_u32_e32 v37, 1, v4
	v_add_u32_e32 v4, -1, v5
	v_min_u32_e32 v4, v37, v4
	v_lshl_add_u32 v4, v4, 3, v33
	v_cndmask_b32_e64 v11, v10, v11, s[24:25]
	v_cndmask_b32_e64 v10, v17, v23, s[24:25]
	;; [unrolled: 1-line block ×4, first 2 shown]
	ds_read_b64 v[22:23], v4
	v_cndmask_b32_e64 v14, v2, v0, s[20:21]
	v_cndmask_b32_e64 v0, v37, v48, s[30:31]
	;; [unrolled: 1-line block ×9, first 2 shown]
	s_waitcnt lgkmcnt(0)
	v_cndmask_b32_e64 v5, v49, v23, s[30:31]
	v_cndmask_b32_e64 v4, v50, v22, s[30:31]
	v_cmp_lt_u32_e32 vcc, v0, v25
	s_and_saveexec_b64 s[20:21], vcc
	s_cbranch_execz .LBB1605_1166
; %bb.1157:
	v_cndmask_b32_e64 v0, v22, v46, s[30:31]
	v_cndmask_b32_e64 v22, v47, v37, s[30:31]
	v_cndmask_b32_e64 v1, v23, v45, s[30:31]
	v_cmp_lt_u32_e32 vcc, v22, v24
	s_and_saveexec_b64 s[22:23], vcc
	s_cbranch_execz .LBB1605_1165
; %bb.1158:
	s_andn2_b64 vcc, exec, s[42:43]
	s_cbranch_vccnz .LBB1605_1164
; %bb.1159:
	v_mul_lo_u32 v24, v1, s36
	v_mul_lo_u32 v25, v0, s37
	v_mad_u64_u32 v[22:23], s[14:15], v0, s36, 0
	v_add3_u32 v23, v23, v25, v24
	v_mul_lo_u32 v37, v5, s36
	v_mul_lo_u32 v38, v4, s37
	v_mad_u64_u32 v[24:25], s[14:15], v4, s36, 0
	v_add3_u32 v25, v25, v38, v37
	v_lshl_add_u64 v[22:23], v[22:23], 3, s[38:39]
	v_lshl_add_u64 v[24:25], v[24:25], 3, s[38:39]
	s_mov_b64 s[24:25], 0
	s_mov_b64 s[30:31], s[36:37]
                                        ; implicit-def: $sgpr26_sgpr27
                                        ; implicit-def: $sgpr28_sgpr29
                                        ; implicit-def: $sgpr14_sgpr15
                                        ; implicit-def: $sgpr44_sgpr45
	s_branch .LBB1605_1161
.LBB1605_1160:                          ;   in Loop: Header=BB1605_1161 Depth=1
	s_or_b64 exec, exec, s[48:49]
	s_and_b64 s[16:17], exec, s[28:29]
	s_or_b64 s[24:25], s[16:17], s[24:25]
	s_andn2_b64 s[16:17], s[44:45], exec
	s_and_b64 s[44:45], s[46:47], exec
	s_or_b64 s[44:45], s[16:17], s[44:45]
	s_andn2_b64 s[16:17], s[26:27], exec
	s_and_b64 s[26:27], s[14:15], exec
	s_or_b64 s[26:27], s[16:17], s[26:27]
	s_andn2_b64 exec, exec, s[24:25]
	s_cbranch_execz .LBB1605_1163
.LBB1605_1161:                          ; =>This Inner Loop Header: Depth=1
	global_load_dwordx2 v[38:39], v[22:23], off
	global_load_dwordx2 v[40:41], v[24:25], off
	s_andn2_b64 s[48:49], s[14:15], exec
	s_or_b64 s[28:29], s[28:29], exec
	s_waitcnt vmcnt(0)
	v_cmp_le_u64_e64 s[14:15], v[38:39], v[40:41]
	v_cmp_lt_u64_e32 vcc, v[38:39], v[40:41]
	s_and_b64 s[14:15], s[14:15], s[44:45]
	s_or_b64 s[46:47], vcc, s[14:15]
	s_and_b64 s[14:15], s[46:47], exec
	v_cmp_eq_u64_e64 s[16:17], v[38:39], v[40:41]
	s_or_b64 s[14:15], s[48:49], s[14:15]
	s_and_saveexec_b64 s[48:49], s[16:17]
	s_cbranch_execz .LBB1605_1160
; %bb.1162:                             ;   in Loop: Header=BB1605_1161 Depth=1
	s_add_u32 s30, s30, -1
	s_addc_u32 s31, s31, -1
	s_cmp_eq_u64 s[30:31], 0
	s_cselect_b64 s[16:17], -1, 0
	s_andn2_b64 s[28:29], s[28:29], exec
	s_and_b64 s[16:17], s[16:17], exec
	v_lshl_add_u64 v[22:23], v[22:23], 0, 8
	v_lshl_add_u64 v[24:25], v[24:25], 0, 8
	s_andn2_b64 s[14:15], s[14:15], exec
	s_or_b64 s[28:29], s[28:29], s[16:17]
                                        ; implicit-def: $sgpr44_sgpr45
	s_branch .LBB1605_1160
.LBB1605_1163:
	s_or_b64 exec, exec, s[24:25]
	v_cndmask_b32_e64 v5, v5, v1, s[26:27]
	v_cndmask_b32_e64 v4, v4, v0, s[26:27]
.LBB1605_1164:
	v_mov_b64_e32 v[0:1], v[4:5]
.LBB1605_1165:
	s_or_b64 exec, exec, s[22:23]
	v_mov_b64_e32 v[4:5], v[0:1]
.LBB1605_1166:
	s_or_b64 exec, exec, s[20:21]
.LBB1605_1167:
	s_or_b64 exec, exec, s[18:19]
	v_and_b32_e32 v39, 0x3c0, v35
	v_or_b32_e32 v0, 32, v39
	v_min_u32_e32 v24, v34, v0
	v_add_u32_e32 v0, 32, v24
	v_min_u32_e32 v25, v34, v0
	v_and_b32_e32 v0, 56, v35
	v_min_u32_e32 v40, v34, v0
	v_sub_u32_e32 v0, v24, v39
	v_sub_u32_e32 v1, v25, v24
	v_sub_u32_e64 v38, v40, v1 clamp
	v_min_u32_e32 v41, v40, v0
	v_lshl_add_u32 v37, v39, 3, v33
	v_cmp_lt_u32_e32 vcc, v38, v41
	; wave barrier
	ds_write_b128 v36, v[14:17]
	ds_write_b128 v36, v[10:13] offset:16
	ds_write_b128 v36, v[6:9] offset:32
	;; [unrolled: 1-line block ×3, first 2 shown]
	; wave barrier
	s_and_saveexec_b64 s[20:21], vcc
	s_cbranch_execz .LBB1605_1177
; %bb.1168:
	v_lshlrev_b32_e32 v0, 3, v24
	v_lshlrev_b32_e32 v1, 3, v40
	v_add3_u32 v42, v33, v0, v1
	v_cndmask_b32_e64 v0, 0, 1, s[42:43]
	s_lshl_b64 s[24:25], s[36:37], 3
	s_mov_b64 s[22:23], 0
	v_cmp_ne_u32_e64 s[14:15], 1, v0
	s_branch .LBB1605_1171
.LBB1605_1169:                          ;   in Loop: Header=BB1605_1171 Depth=1
	s_or_b64 exec, exec, s[28:29]
.LBB1605_1170:                          ;   in Loop: Header=BB1605_1171 Depth=1
	v_add_u32_e32 v0, 1, v43
	v_cndmask_b32_e64 v41, v41, v43, s[26:27]
	v_cndmask_b32_e64 v38, v0, v38, s[26:27]
	v_cmp_ge_u32_e32 vcc, v38, v41
	s_or_b64 s[22:23], vcc, s[22:23]
	s_andn2_b64 exec, exec, s[22:23]
	s_cbranch_execz .LBB1605_1176
.LBB1605_1171:                          ; =>This Loop Header: Depth=1
                                        ;     Child Loop BB1605_1174 Depth 2
	v_add_u32_e32 v0, v41, v38
	v_lshrrev_b32_e32 v43, 1, v0
	s_and_b64 vcc, exec, s[14:15]
	s_mov_b64 s[26:27], 0
	s_cbranch_vccnz .LBB1605_1170
; %bb.1172:                             ;   in Loop: Header=BB1605_1171 Depth=1
	v_not_b32_e32 v0, v43
	v_lshl_add_u32 v0, v0, 3, v42
	ds_read_b64 v[0:1], v0
	v_lshl_add_u32 v44, v43, 3, v37
	ds_read_b64 v[44:45], v44
	v_mov_b64_e32 v[22:23], s[38:39]
	s_mov_b64 s[28:29], 0
	s_waitcnt lgkmcnt(1)
	v_mul_lo_u32 v46, s24, v1
	v_mul_lo_u32 v47, s25, v0
	v_mad_u64_u32 v[0:1], s[16:17], s24, v0, v[22:23]
	v_add3_u32 v1, v47, v1, v46
	s_waitcnt lgkmcnt(0)
	v_mul_lo_u32 v45, s24, v45
	v_mul_lo_u32 v46, s25, v44
	v_mad_u64_u32 v[22:23], s[16:17], s24, v44, v[22:23]
	v_add3_u32 v23, v46, v23, v45
	s_mov_b64 s[44:45], s[36:37]
                                        ; implicit-def: $sgpr26_sgpr27
                                        ; implicit-def: $sgpr30_sgpr31
                                        ; implicit-def: $sgpr16_sgpr17
                                        ; implicit-def: $sgpr46_sgpr47
	s_branch .LBB1605_1174
.LBB1605_1173:                          ;   in Loop: Header=BB1605_1174 Depth=2
	s_or_b64 exec, exec, s[50:51]
	s_and_b64 s[18:19], exec, s[30:31]
	s_or_b64 s[28:29], s[18:19], s[28:29]
	s_andn2_b64 s[18:19], s[46:47], exec
	s_and_b64 s[46:47], s[48:49], exec
	s_or_b64 s[46:47], s[18:19], s[46:47]
	s_andn2_b64 s[18:19], s[26:27], exec
	s_and_b64 s[26:27], s[16:17], exec
	s_or_b64 s[26:27], s[18:19], s[26:27]
	s_andn2_b64 exec, exec, s[28:29]
	s_cbranch_execz .LBB1605_1169
.LBB1605_1174:                          ;   Parent Loop BB1605_1171 Depth=1
                                        ; =>  This Inner Loop Header: Depth=2
	global_load_dwordx2 v[44:45], v[0:1], off
	global_load_dwordx2 v[46:47], v[22:23], off
	s_andn2_b64 s[50:51], s[16:17], exec
	s_or_b64 s[30:31], s[30:31], exec
	s_waitcnt vmcnt(0)
	v_cmp_le_u64_e64 s[16:17], v[44:45], v[46:47]
	v_cmp_lt_u64_e32 vcc, v[44:45], v[46:47]
	s_and_b64 s[16:17], s[16:17], s[46:47]
	s_or_b64 s[48:49], vcc, s[16:17]
	s_and_b64 s[16:17], s[48:49], exec
	v_cmp_eq_u64_e64 s[18:19], v[44:45], v[46:47]
	s_or_b64 s[16:17], s[50:51], s[16:17]
	s_and_saveexec_b64 s[50:51], s[18:19]
	s_cbranch_execz .LBB1605_1173
; %bb.1175:                             ;   in Loop: Header=BB1605_1174 Depth=2
	s_add_u32 s44, s44, -1
	s_addc_u32 s45, s45, -1
	s_cmp_eq_u64 s[44:45], 0
	s_cselect_b64 s[18:19], -1, 0
	s_andn2_b64 s[30:31], s[30:31], exec
	s_and_b64 s[18:19], s[18:19], exec
	v_lshl_add_u64 v[0:1], v[0:1], 0, 8
	v_lshl_add_u64 v[22:23], v[22:23], 0, 8
	s_andn2_b64 s[16:17], s[16:17], exec
	s_or_b64 s[30:31], s[30:31], s[18:19]
                                        ; implicit-def: $sgpr46_sgpr47
	s_branch .LBB1605_1173
.LBB1605_1176:
	s_or_b64 exec, exec, s[22:23]
.LBB1605_1177:
	s_or_b64 exec, exec, s[20:21]
	v_add_u32_e32 v0, v24, v40
	v_add_u32_e32 v23, v38, v39
	v_sub_u32_e32 v39, v0, v38
	v_cmp_le_u32_e32 vcc, v23, v24
	v_cmp_le_u32_e64 s[14:15], v39, v25
	s_or_b64 s[14:15], vcc, s[14:15]
	s_and_saveexec_b64 s[18:19], s[14:15]
	s_cbranch_execz .LBB1605_1268
; %bb.1178:
	v_cmp_ge_u32_e32 vcc, v23, v24
	v_cmp_lt_u32_e64 s[14:15], v23, v24
                                        ; implicit-def: $vgpr0_vgpr1
	s_and_saveexec_b64 s[16:17], s[14:15]
; %bb.1179:
	v_lshl_add_u32 v0, v38, 3, v37
	ds_read_b64 v[0:1], v0
; %bb.1180:
	s_or_b64 exec, exec, s[16:17]
	v_cmp_ge_u32_e64 s[20:21], v39, v25
	v_cmp_lt_u32_e64 s[14:15], v39, v25
                                        ; implicit-def: $vgpr2_vgpr3
	s_and_saveexec_b64 s[16:17], s[14:15]
; %bb.1181:
	v_lshl_add_u32 v2, v39, 3, v33
	ds_read_b64 v[2:3], v2
; %bb.1182:
	s_or_b64 exec, exec, s[16:17]
	s_nor_b64 s[14:15], vcc, s[20:21]
	s_and_saveexec_b64 s[22:23], s[14:15]
	s_cbranch_execz .LBB1605_1191
; %bb.1183:
	s_andn2_b64 vcc, exec, s[42:43]
	s_cbranch_vccnz .LBB1605_1189
; %bb.1184:
	s_waitcnt lgkmcnt(0)
	v_mul_lo_u32 v6, v3, s36
	v_mul_lo_u32 v7, v2, s37
	v_mad_u64_u32 v[4:5], s[14:15], v2, s36, 0
	v_add3_u32 v5, v5, v7, v6
	v_mul_lo_u32 v8, v1, s36
	v_mul_lo_u32 v9, v0, s37
	v_mad_u64_u32 v[6:7], s[14:15], v0, s36, 0
	v_add3_u32 v7, v7, v9, v8
	v_lshl_add_u64 v[4:5], v[4:5], 3, s[38:39]
	v_lshl_add_u64 v[6:7], v[6:7], 3, s[38:39]
	s_mov_b64 s[24:25], 0
	s_mov_b64 s[30:31], s[36:37]
                                        ; implicit-def: $sgpr26_sgpr27
                                        ; implicit-def: $sgpr28_sgpr29
                                        ; implicit-def: $sgpr14_sgpr15
                                        ; implicit-def: $sgpr44_sgpr45
	s_branch .LBB1605_1186
.LBB1605_1185:                          ;   in Loop: Header=BB1605_1186 Depth=1
	s_or_b64 exec, exec, s[48:49]
	s_and_b64 s[16:17], exec, s[28:29]
	s_or_b64 s[24:25], s[16:17], s[24:25]
	s_andn2_b64 s[16:17], s[44:45], exec
	s_and_b64 s[44:45], s[46:47], exec
	s_or_b64 s[44:45], s[16:17], s[44:45]
	s_andn2_b64 s[16:17], s[26:27], exec
	s_and_b64 s[26:27], s[14:15], exec
	s_or_b64 s[26:27], s[16:17], s[26:27]
	s_andn2_b64 exec, exec, s[24:25]
	s_cbranch_execz .LBB1605_1188
.LBB1605_1186:                          ; =>This Inner Loop Header: Depth=1
	global_load_dwordx2 v[8:9], v[4:5], off
	global_load_dwordx2 v[10:11], v[6:7], off
	s_andn2_b64 s[48:49], s[14:15], exec
	s_or_b64 s[28:29], s[28:29], exec
	s_waitcnt vmcnt(0)
	v_cmp_le_u64_e64 s[14:15], v[8:9], v[10:11]
	v_cmp_lt_u64_e32 vcc, v[8:9], v[10:11]
	s_and_b64 s[14:15], s[14:15], s[44:45]
	s_or_b64 s[46:47], vcc, s[14:15]
	s_and_b64 s[14:15], s[46:47], exec
	v_cmp_eq_u64_e64 s[16:17], v[8:9], v[10:11]
	s_or_b64 s[14:15], s[48:49], s[14:15]
	s_and_saveexec_b64 s[48:49], s[16:17]
	s_cbranch_execz .LBB1605_1185
; %bb.1187:                             ;   in Loop: Header=BB1605_1186 Depth=1
	s_add_u32 s30, s30, -1
	s_addc_u32 s31, s31, -1
	s_cmp_eq_u64 s[30:31], 0
	s_cselect_b64 s[16:17], -1, 0
	s_andn2_b64 s[28:29], s[28:29], exec
	s_and_b64 s[16:17], s[16:17], exec
	v_lshl_add_u64 v[4:5], v[4:5], 0, 8
	v_lshl_add_u64 v[6:7], v[6:7], 0, 8
	s_andn2_b64 s[14:15], s[14:15], exec
	s_or_b64 s[28:29], s[28:29], s[16:17]
                                        ; implicit-def: $sgpr44_sgpr45
	s_branch .LBB1605_1185
.LBB1605_1188:
	s_or_b64 exec, exec, s[24:25]
	s_xor_b64 s[14:15], s[26:27], -1
	s_branch .LBB1605_1190
.LBB1605_1189:
	s_mov_b64 s[14:15], -1
.LBB1605_1190:
	s_andn2_b64 s[16:17], s[20:21], exec
	s_and_b64 s[14:15], s[14:15], exec
	s_or_b64 s[20:21], s[16:17], s[14:15]
.LBB1605_1191:
	s_or_b64 exec, exec, s[22:23]
	v_cndmask_b32_e64 v4, v39, v23, s[20:21]
	v_cndmask_b32_e64 v5, v25, v24, s[20:21]
	v_add_u32_e32 v6, 1, v4
	v_add_u32_e32 v4, -1, v5
	v_min_u32_e32 v4, v6, v4
	v_lshl_add_u32 v4, v4, 3, v33
	ds_read_b64 v[4:5], v4
	v_cndmask_b32_e64 v8, v6, v39, s[20:21]
	v_cndmask_b32_e64 v9, v23, v6, s[20:21]
	v_cmp_lt_u32_e32 vcc, v8, v25
	s_mov_b64 s[24:25], -1
	s_waitcnt lgkmcnt(0)
	v_cndmask_b32_e64 v14, v5, v3, s[20:21]
	v_cndmask_b32_e64 v15, v4, v2, s[20:21]
	;; [unrolled: 1-line block ×4, first 2 shown]
	s_mov_b64 s[22:23], -1
	s_and_saveexec_b64 s[26:27], vcc
	s_cbranch_execz .LBB1605_1202
; %bb.1192:
	v_cmp_lt_u32_e32 vcc, v9, v24
	s_mov_b64 s[14:15], 0
	s_and_saveexec_b64 s[22:23], vcc
	s_cbranch_execz .LBB1605_1201
; %bb.1193:
	s_andn2_b64 vcc, exec, s[42:43]
	s_cbranch_vccnz .LBB1605_1199
; %bb.1194:
	v_mul_lo_u32 v6, v14, s36
	v_mul_lo_u32 v7, v15, s37
	v_mad_u64_u32 v[4:5], s[14:15], v15, s36, 0
	v_add3_u32 v5, v5, v7, v6
	v_mul_lo_u32 v10, v16, s36
	v_mul_lo_u32 v11, v22, s37
	v_mad_u64_u32 v[6:7], s[14:15], v22, s36, 0
	v_add3_u32 v7, v7, v11, v10
	v_lshl_add_u64 v[4:5], v[4:5], 3, s[38:39]
	v_lshl_add_u64 v[6:7], v[6:7], 3, s[38:39]
	s_mov_b64 s[28:29], 0
	s_mov_b64 s[46:47], s[36:37]
                                        ; implicit-def: $sgpr30_sgpr31
                                        ; implicit-def: $sgpr44_sgpr45
                                        ; implicit-def: $sgpr14_sgpr15
                                        ; implicit-def: $sgpr48_sgpr49
	s_branch .LBB1605_1196
.LBB1605_1195:                          ;   in Loop: Header=BB1605_1196 Depth=1
	s_or_b64 exec, exec, s[52:53]
	s_and_b64 s[16:17], exec, s[44:45]
	s_or_b64 s[28:29], s[16:17], s[28:29]
	s_andn2_b64 s[16:17], s[48:49], exec
	s_and_b64 s[48:49], s[50:51], exec
	s_or_b64 s[48:49], s[16:17], s[48:49]
	s_andn2_b64 s[16:17], s[30:31], exec
	s_and_b64 s[30:31], s[14:15], exec
	s_or_b64 s[30:31], s[16:17], s[30:31]
	s_andn2_b64 exec, exec, s[28:29]
	s_cbranch_execz .LBB1605_1198
.LBB1605_1196:                          ; =>This Inner Loop Header: Depth=1
	global_load_dwordx2 v[10:11], v[4:5], off
	global_load_dwordx2 v[12:13], v[6:7], off
	s_andn2_b64 s[52:53], s[14:15], exec
	s_or_b64 s[44:45], s[44:45], exec
	s_waitcnt vmcnt(0)
	v_cmp_le_u64_e64 s[14:15], v[10:11], v[12:13]
	v_cmp_lt_u64_e32 vcc, v[10:11], v[12:13]
	s_and_b64 s[14:15], s[14:15], s[48:49]
	s_or_b64 s[50:51], vcc, s[14:15]
	s_and_b64 s[14:15], s[50:51], exec
	v_cmp_eq_u64_e64 s[16:17], v[10:11], v[12:13]
	s_or_b64 s[14:15], s[52:53], s[14:15]
	s_and_saveexec_b64 s[52:53], s[16:17]
	s_cbranch_execz .LBB1605_1195
; %bb.1197:                             ;   in Loop: Header=BB1605_1196 Depth=1
	s_add_u32 s46, s46, -1
	s_addc_u32 s47, s47, -1
	s_cmp_eq_u64 s[46:47], 0
	s_cselect_b64 s[16:17], -1, 0
	s_andn2_b64 s[44:45], s[44:45], exec
	s_and_b64 s[16:17], s[16:17], exec
	v_lshl_add_u64 v[4:5], v[4:5], 0, 8
	v_lshl_add_u64 v[6:7], v[6:7], 0, 8
	s_andn2_b64 s[14:15], s[14:15], exec
	s_or_b64 s[44:45], s[44:45], s[16:17]
                                        ; implicit-def: $sgpr48_sgpr49
	s_branch .LBB1605_1195
.LBB1605_1198:
	s_or_b64 exec, exec, s[28:29]
	s_xor_b64 s[14:15], s[30:31], -1
	s_branch .LBB1605_1200
.LBB1605_1199:
	s_mov_b64 s[14:15], -1
.LBB1605_1200:
	s_and_b64 s[14:15], s[14:15], exec
.LBB1605_1201:
	s_or_b64 exec, exec, s[22:23]
	s_orn2_b64 s[22:23], s[14:15], exec
.LBB1605_1202:
	s_or_b64 exec, exec, s[26:27]
	v_cndmask_b32_e64 v4, v8, v9, s[22:23]
	v_cndmask_b32_e64 v5, v25, v24, s[22:23]
	v_add_u32_e32 v6, 1, v4
	v_add_u32_e32 v4, -1, v5
	v_min_u32_e32 v4, v6, v4
	v_lshl_add_u32 v4, v4, 3, v33
	ds_read_b64 v[4:5], v4
	v_cndmask_b32_e64 v8, v6, v8, s[22:23]
	v_cndmask_b32_e64 v9, v9, v6, s[22:23]
	v_cmp_lt_u32_e32 vcc, v8, v25
	s_waitcnt lgkmcnt(0)
	v_cndmask_b32_e64 v10, v5, v14, s[22:23]
	v_cndmask_b32_e64 v17, v4, v15, s[22:23]
	v_cndmask_b32_e64 v11, v16, v5, s[22:23]
	v_cndmask_b32_e64 v23, v22, v4, s[22:23]
	s_and_saveexec_b64 s[26:27], vcc
	s_cbranch_execz .LBB1605_1213
; %bb.1203:
	v_cmp_lt_u32_e32 vcc, v9, v24
	s_mov_b64 s[14:15], 0
	s_and_saveexec_b64 s[24:25], vcc
	s_cbranch_execz .LBB1605_1212
; %bb.1204:
	s_andn2_b64 vcc, exec, s[42:43]
	s_cbranch_vccnz .LBB1605_1210
; %bb.1205:
	v_mul_lo_u32 v6, v10, s36
	v_mul_lo_u32 v7, v17, s37
	v_mad_u64_u32 v[4:5], s[14:15], v17, s36, 0
	v_add3_u32 v5, v5, v7, v6
	v_mul_lo_u32 v12, v11, s36
	v_mul_lo_u32 v13, v23, s37
	v_mad_u64_u32 v[6:7], s[14:15], v23, s36, 0
	v_add3_u32 v7, v7, v13, v12
	v_lshl_add_u64 v[4:5], v[4:5], 3, s[38:39]
	v_lshl_add_u64 v[6:7], v[6:7], 3, s[38:39]
	s_mov_b64 s[28:29], 0
	s_mov_b64 s[46:47], s[36:37]
                                        ; implicit-def: $sgpr30_sgpr31
                                        ; implicit-def: $sgpr44_sgpr45
                                        ; implicit-def: $sgpr14_sgpr15
                                        ; implicit-def: $sgpr48_sgpr49
	s_branch .LBB1605_1207
.LBB1605_1206:                          ;   in Loop: Header=BB1605_1207 Depth=1
	s_or_b64 exec, exec, s[52:53]
	s_and_b64 s[16:17], exec, s[44:45]
	s_or_b64 s[28:29], s[16:17], s[28:29]
	s_andn2_b64 s[16:17], s[48:49], exec
	s_and_b64 s[48:49], s[50:51], exec
	s_or_b64 s[48:49], s[16:17], s[48:49]
	s_andn2_b64 s[16:17], s[30:31], exec
	s_and_b64 s[30:31], s[14:15], exec
	s_or_b64 s[30:31], s[16:17], s[30:31]
	s_andn2_b64 exec, exec, s[28:29]
	s_cbranch_execz .LBB1605_1209
.LBB1605_1207:                          ; =>This Inner Loop Header: Depth=1
	global_load_dwordx2 v[12:13], v[4:5], off
	global_load_dwordx2 v[38:39], v[6:7], off
	s_andn2_b64 s[52:53], s[14:15], exec
	s_or_b64 s[44:45], s[44:45], exec
	s_waitcnt vmcnt(0)
	v_cmp_le_u64_e64 s[14:15], v[12:13], v[38:39]
	v_cmp_lt_u64_e32 vcc, v[12:13], v[38:39]
	s_and_b64 s[14:15], s[14:15], s[48:49]
	s_or_b64 s[50:51], vcc, s[14:15]
	s_and_b64 s[14:15], s[50:51], exec
	v_cmp_eq_u64_e64 s[16:17], v[12:13], v[38:39]
	s_or_b64 s[14:15], s[52:53], s[14:15]
	s_and_saveexec_b64 s[52:53], s[16:17]
	s_cbranch_execz .LBB1605_1206
; %bb.1208:                             ;   in Loop: Header=BB1605_1207 Depth=1
	s_add_u32 s46, s46, -1
	s_addc_u32 s47, s47, -1
	s_cmp_eq_u64 s[46:47], 0
	s_cselect_b64 s[16:17], -1, 0
	s_andn2_b64 s[44:45], s[44:45], exec
	s_and_b64 s[16:17], s[16:17], exec
	v_lshl_add_u64 v[4:5], v[4:5], 0, 8
	v_lshl_add_u64 v[6:7], v[6:7], 0, 8
	s_andn2_b64 s[14:15], s[14:15], exec
	s_or_b64 s[44:45], s[44:45], s[16:17]
                                        ; implicit-def: $sgpr48_sgpr49
	s_branch .LBB1605_1206
.LBB1605_1209:
	s_or_b64 exec, exec, s[28:29]
	s_xor_b64 s[14:15], s[30:31], -1
	s_branch .LBB1605_1211
.LBB1605_1210:
	s_mov_b64 s[14:15], -1
.LBB1605_1211:
	s_and_b64 s[14:15], s[14:15], exec
.LBB1605_1212:
	s_or_b64 exec, exec, s[24:25]
	s_orn2_b64 s[24:25], s[14:15], exec
.LBB1605_1213:
	s_or_b64 exec, exec, s[26:27]
	v_cndmask_b32_e64 v4, v8, v9, s[24:25]
	v_cndmask_b32_e64 v5, v25, v24, s[24:25]
	v_add_u32_e32 v6, 1, v4
	v_add_u32_e32 v4, -1, v5
	v_min_u32_e32 v4, v6, v4
	v_lshl_add_u32 v4, v4, 3, v33
	ds_read_b64 v[4:5], v4
	v_cndmask_b32_e64 v8, v6, v8, s[24:25]
	v_cndmask_b32_e64 v9, v9, v6, s[24:25]
	v_cmp_lt_u32_e32 vcc, v8, v25
	s_mov_b64 s[28:29], -1
	s_waitcnt lgkmcnt(0)
	v_cndmask_b32_e64 v12, v5, v10, s[24:25]
	v_cndmask_b32_e64 v37, v4, v17, s[24:25]
	;; [unrolled: 1-line block ×4, first 2 shown]
	s_mov_b64 s[26:27], -1
	s_and_saveexec_b64 s[30:31], vcc
	s_cbranch_execz .LBB1605_1224
; %bb.1214:
	v_cmp_lt_u32_e32 vcc, v9, v24
	s_mov_b64 s[14:15], 0
	s_and_saveexec_b64 s[26:27], vcc
	s_cbranch_execz .LBB1605_1223
; %bb.1215:
	s_andn2_b64 vcc, exec, s[42:43]
	s_cbranch_vccnz .LBB1605_1221
; %bb.1216:
	v_mul_lo_u32 v6, v12, s36
	v_mul_lo_u32 v7, v37, s37
	v_mad_u64_u32 v[4:5], s[14:15], v37, s36, 0
	v_add3_u32 v5, v5, v7, v6
	v_mul_lo_u32 v39, v13, s36
	v_mul_lo_u32 v40, v38, s37
	v_mad_u64_u32 v[6:7], s[14:15], v38, s36, 0
	v_add3_u32 v7, v7, v40, v39
	v_lshl_add_u64 v[4:5], v[4:5], 3, s[38:39]
	v_lshl_add_u64 v[6:7], v[6:7], 3, s[38:39]
	s_mov_b64 s[44:45], 0
	s_mov_b64 s[50:51], s[36:37]
                                        ; implicit-def: $sgpr46_sgpr47
                                        ; implicit-def: $sgpr48_sgpr49
                                        ; implicit-def: $sgpr14_sgpr15
                                        ; implicit-def: $sgpr52_sgpr53
	s_branch .LBB1605_1218
.LBB1605_1217:                          ;   in Loop: Header=BB1605_1218 Depth=1
	s_or_b64 exec, exec, s[56:57]
	s_and_b64 s[16:17], exec, s[48:49]
	s_or_b64 s[44:45], s[16:17], s[44:45]
	s_andn2_b64 s[16:17], s[52:53], exec
	s_and_b64 s[52:53], s[54:55], exec
	s_or_b64 s[52:53], s[16:17], s[52:53]
	s_andn2_b64 s[16:17], s[46:47], exec
	s_and_b64 s[46:47], s[14:15], exec
	s_or_b64 s[46:47], s[16:17], s[46:47]
	s_andn2_b64 exec, exec, s[44:45]
	s_cbranch_execz .LBB1605_1220
.LBB1605_1218:                          ; =>This Inner Loop Header: Depth=1
	global_load_dwordx2 v[40:41], v[4:5], off
	global_load_dwordx2 v[42:43], v[6:7], off
	s_andn2_b64 s[56:57], s[14:15], exec
	s_or_b64 s[48:49], s[48:49], exec
	s_waitcnt vmcnt(0)
	v_cmp_le_u64_e64 s[14:15], v[40:41], v[42:43]
	v_cmp_lt_u64_e32 vcc, v[40:41], v[42:43]
	s_and_b64 s[14:15], s[14:15], s[52:53]
	s_or_b64 s[54:55], vcc, s[14:15]
	s_and_b64 s[14:15], s[54:55], exec
	v_cmp_eq_u64_e64 s[16:17], v[40:41], v[42:43]
	s_or_b64 s[14:15], s[56:57], s[14:15]
	s_and_saveexec_b64 s[56:57], s[16:17]
	s_cbranch_execz .LBB1605_1217
; %bb.1219:                             ;   in Loop: Header=BB1605_1218 Depth=1
	s_add_u32 s50, s50, -1
	s_addc_u32 s51, s51, -1
	s_cmp_eq_u64 s[50:51], 0
	s_cselect_b64 s[16:17], -1, 0
	s_andn2_b64 s[48:49], s[48:49], exec
	s_and_b64 s[16:17], s[16:17], exec
	v_lshl_add_u64 v[4:5], v[4:5], 0, 8
	v_lshl_add_u64 v[6:7], v[6:7], 0, 8
	s_andn2_b64 s[14:15], s[14:15], exec
	s_or_b64 s[48:49], s[48:49], s[16:17]
                                        ; implicit-def: $sgpr52_sgpr53
	s_branch .LBB1605_1217
.LBB1605_1220:
	s_or_b64 exec, exec, s[44:45]
	s_xor_b64 s[14:15], s[46:47], -1
	s_branch .LBB1605_1222
.LBB1605_1221:
	s_mov_b64 s[14:15], -1
.LBB1605_1222:
	s_and_b64 s[14:15], s[14:15], exec
.LBB1605_1223:
	s_or_b64 exec, exec, s[26:27]
	s_orn2_b64 s[26:27], s[14:15], exec
.LBB1605_1224:
	s_or_b64 exec, exec, s[30:31]
	v_cndmask_b32_e64 v4, v8, v9, s[26:27]
	v_cndmask_b32_e64 v5, v25, v24, s[26:27]
	v_add_u32_e32 v6, 1, v4
	v_add_u32_e32 v4, -1, v5
	v_min_u32_e32 v4, v6, v4
	v_lshl_add_u32 v4, v4, 3, v33
	ds_read_b64 v[4:5], v4
	v_cndmask_b32_e64 v45, v6, v8, s[26:27]
	v_cndmask_b32_e64 v46, v9, v6, s[26:27]
	v_cmp_lt_u32_e32 vcc, v45, v25
	s_waitcnt lgkmcnt(0)
	v_cndmask_b32_e64 v39, v5, v12, s[26:27]
	v_cndmask_b32_e64 v40, v4, v37, s[26:27]
	;; [unrolled: 1-line block ×4, first 2 shown]
	s_and_saveexec_b64 s[30:31], vcc
	s_cbranch_execz .LBB1605_1235
; %bb.1225:
	v_cmp_lt_u32_e32 vcc, v46, v24
	s_mov_b64 s[14:15], 0
	s_and_saveexec_b64 s[28:29], vcc
	s_cbranch_execz .LBB1605_1234
; %bb.1226:
	s_andn2_b64 vcc, exec, s[42:43]
	s_cbranch_vccnz .LBB1605_1232
; %bb.1227:
	v_mul_lo_u32 v6, v39, s36
	v_mul_lo_u32 v7, v40, s37
	v_mad_u64_u32 v[4:5], s[14:15], v40, s36, 0
	v_add3_u32 v5, v5, v7, v6
	v_mul_lo_u32 v8, v41, s36
	v_mul_lo_u32 v9, v42, s37
	v_mad_u64_u32 v[6:7], s[14:15], v42, s36, 0
	v_add3_u32 v7, v7, v9, v8
	v_lshl_add_u64 v[4:5], v[4:5], 3, s[38:39]
	v_lshl_add_u64 v[6:7], v[6:7], 3, s[38:39]
	s_mov_b64 s[44:45], 0
	s_mov_b64 s[50:51], s[36:37]
                                        ; implicit-def: $sgpr46_sgpr47
                                        ; implicit-def: $sgpr48_sgpr49
                                        ; implicit-def: $sgpr14_sgpr15
                                        ; implicit-def: $sgpr52_sgpr53
	s_branch .LBB1605_1229
.LBB1605_1228:                          ;   in Loop: Header=BB1605_1229 Depth=1
	s_or_b64 exec, exec, s[56:57]
	s_and_b64 s[16:17], exec, s[48:49]
	s_or_b64 s[44:45], s[16:17], s[44:45]
	s_andn2_b64 s[16:17], s[52:53], exec
	s_and_b64 s[52:53], s[54:55], exec
	s_or_b64 s[52:53], s[16:17], s[52:53]
	s_andn2_b64 s[16:17], s[46:47], exec
	s_and_b64 s[46:47], s[14:15], exec
	s_or_b64 s[46:47], s[16:17], s[46:47]
	s_andn2_b64 exec, exec, s[44:45]
	s_cbranch_execz .LBB1605_1231
.LBB1605_1229:                          ; =>This Inner Loop Header: Depth=1
	global_load_dwordx2 v[8:9], v[4:5], off
	global_load_dwordx2 v[48:49], v[6:7], off
	s_andn2_b64 s[56:57], s[14:15], exec
	s_or_b64 s[48:49], s[48:49], exec
	s_waitcnt vmcnt(0)
	v_cmp_le_u64_e64 s[14:15], v[8:9], v[48:49]
	v_cmp_lt_u64_e32 vcc, v[8:9], v[48:49]
	s_and_b64 s[14:15], s[14:15], s[52:53]
	s_or_b64 s[54:55], vcc, s[14:15]
	s_and_b64 s[14:15], s[54:55], exec
	v_cmp_eq_u64_e64 s[16:17], v[8:9], v[48:49]
	s_or_b64 s[14:15], s[56:57], s[14:15]
	s_and_saveexec_b64 s[56:57], s[16:17]
	s_cbranch_execz .LBB1605_1228
; %bb.1230:                             ;   in Loop: Header=BB1605_1229 Depth=1
	s_add_u32 s50, s50, -1
	s_addc_u32 s51, s51, -1
	s_cmp_eq_u64 s[50:51], 0
	s_cselect_b64 s[16:17], -1, 0
	s_andn2_b64 s[48:49], s[48:49], exec
	s_and_b64 s[16:17], s[16:17], exec
	v_lshl_add_u64 v[4:5], v[4:5], 0, 8
	v_lshl_add_u64 v[6:7], v[6:7], 0, 8
	s_andn2_b64 s[14:15], s[14:15], exec
	s_or_b64 s[48:49], s[48:49], s[16:17]
                                        ; implicit-def: $sgpr52_sgpr53
	s_branch .LBB1605_1228
.LBB1605_1231:
	s_or_b64 exec, exec, s[44:45]
	s_xor_b64 s[14:15], s[46:47], -1
	s_branch .LBB1605_1233
.LBB1605_1232:
	s_mov_b64 s[14:15], -1
.LBB1605_1233:
	s_and_b64 s[14:15], s[14:15], exec
.LBB1605_1234:
	s_or_b64 exec, exec, s[28:29]
	s_orn2_b64 s[28:29], s[14:15], exec
.LBB1605_1235:
	s_or_b64 exec, exec, s[30:31]
	v_cndmask_b32_e64 v4, v45, v46, s[28:29]
	v_cndmask_b32_e64 v5, v25, v24, s[28:29]
	v_add_u32_e32 v6, 1, v4
	v_add_u32_e32 v4, -1, v5
	v_min_u32_e32 v4, v6, v4
	v_lshl_add_u32 v4, v4, 3, v33
	ds_read_b64 v[4:5], v4
	v_cndmask_b32_e64 v47, v6, v45, s[28:29]
	v_cndmask_b32_e64 v51, v46, v6, s[28:29]
	v_cmp_lt_u32_e32 vcc, v47, v25
	s_mov_b64 s[30:31], -1
	s_waitcnt lgkmcnt(0)
	v_cndmask_b32_e64 v8, v5, v39, s[28:29]
	v_cndmask_b32_e64 v43, v4, v40, s[28:29]
	;; [unrolled: 1-line block ×4, first 2 shown]
	s_mov_b64 s[44:45], -1
	s_and_saveexec_b64 s[46:47], vcc
	s_cbranch_execz .LBB1605_1246
; %bb.1236:
	v_cmp_lt_u32_e32 vcc, v51, v24
	s_mov_b64 s[14:15], 0
	s_and_saveexec_b64 s[44:45], vcc
	s_cbranch_execz .LBB1605_1245
; %bb.1237:
	s_andn2_b64 vcc, exec, s[42:43]
	s_cbranch_vccnz .LBB1605_1243
; %bb.1238:
	v_mul_lo_u32 v6, v8, s36
	v_mul_lo_u32 v7, v43, s37
	v_mad_u64_u32 v[4:5], s[14:15], v43, s36, 0
	v_add3_u32 v5, v5, v7, v6
	v_mul_lo_u32 v45, v9, s36
	v_mul_lo_u32 v46, v44, s37
	v_mad_u64_u32 v[6:7], s[14:15], v44, s36, 0
	v_add3_u32 v7, v7, v46, v45
	v_lshl_add_u64 v[4:5], v[4:5], 3, s[38:39]
	v_lshl_add_u64 v[6:7], v[6:7], 3, s[38:39]
	s_mov_b64 s[48:49], 0
	s_mov_b64 s[54:55], s[36:37]
                                        ; implicit-def: $sgpr50_sgpr51
                                        ; implicit-def: $sgpr52_sgpr53
                                        ; implicit-def: $sgpr14_sgpr15
                                        ; implicit-def: $sgpr56_sgpr57
	s_branch .LBB1605_1240
.LBB1605_1239:                          ;   in Loop: Header=BB1605_1240 Depth=1
	s_or_b64 exec, exec, s[60:61]
	s_and_b64 s[16:17], exec, s[52:53]
	s_or_b64 s[48:49], s[16:17], s[48:49]
	s_andn2_b64 s[16:17], s[56:57], exec
	s_and_b64 s[56:57], s[58:59], exec
	s_or_b64 s[56:57], s[16:17], s[56:57]
	s_andn2_b64 s[16:17], s[50:51], exec
	s_and_b64 s[50:51], s[14:15], exec
	s_or_b64 s[50:51], s[16:17], s[50:51]
	s_andn2_b64 exec, exec, s[48:49]
	s_cbranch_execz .LBB1605_1242
.LBB1605_1240:                          ; =>This Inner Loop Header: Depth=1
	global_load_dwordx2 v[48:49], v[4:5], off
	global_load_dwordx2 v[52:53], v[6:7], off
	s_andn2_b64 s[60:61], s[14:15], exec
	s_or_b64 s[52:53], s[52:53], exec
	s_waitcnt vmcnt(0)
	v_cmp_le_u64_e64 s[14:15], v[48:49], v[52:53]
	v_cmp_lt_u64_e32 vcc, v[48:49], v[52:53]
	s_and_b64 s[14:15], s[14:15], s[56:57]
	s_or_b64 s[58:59], vcc, s[14:15]
	s_and_b64 s[14:15], s[58:59], exec
	v_cmp_eq_u64_e64 s[16:17], v[48:49], v[52:53]
	s_or_b64 s[14:15], s[60:61], s[14:15]
	s_and_saveexec_b64 s[60:61], s[16:17]
	s_cbranch_execz .LBB1605_1239
; %bb.1241:                             ;   in Loop: Header=BB1605_1240 Depth=1
	s_add_u32 s54, s54, -1
	s_addc_u32 s55, s55, -1
	s_cmp_eq_u64 s[54:55], 0
	s_cselect_b64 s[16:17], -1, 0
	s_andn2_b64 s[52:53], s[52:53], exec
	s_and_b64 s[16:17], s[16:17], exec
	v_lshl_add_u64 v[4:5], v[4:5], 0, 8
	v_lshl_add_u64 v[6:7], v[6:7], 0, 8
	s_andn2_b64 s[14:15], s[14:15], exec
	s_or_b64 s[52:53], s[52:53], s[16:17]
                                        ; implicit-def: $sgpr56_sgpr57
	s_branch .LBB1605_1239
.LBB1605_1242:
	s_or_b64 exec, exec, s[48:49]
	s_xor_b64 s[14:15], s[50:51], -1
	s_branch .LBB1605_1244
.LBB1605_1243:
	s_mov_b64 s[14:15], -1
.LBB1605_1244:
	s_and_b64 s[14:15], s[14:15], exec
.LBB1605_1245:
	s_or_b64 exec, exec, s[44:45]
	s_orn2_b64 s[44:45], s[14:15], exec
.LBB1605_1246:
	s_or_b64 exec, exec, s[46:47]
	v_cndmask_b32_e64 v4, v47, v51, s[44:45]
	v_cndmask_b32_e64 v5, v25, v24, s[44:45]
	v_add_u32_e32 v6, 1, v4
	v_add_u32_e32 v4, -1, v5
	v_min_u32_e32 v4, v6, v4
	v_lshl_add_u32 v4, v4, 3, v33
	ds_read_b64 v[4:5], v4
	v_cndmask_b32_e64 v48, v6, v47, s[44:45]
	v_cndmask_b32_e64 v47, v51, v6, s[44:45]
	v_cmp_lt_u32_e32 vcc, v48, v25
	s_waitcnt lgkmcnt(0)
	v_cndmask_b32_e64 v45, v5, v8, s[44:45]
	v_cndmask_b32_e64 v46, v4, v43, s[44:45]
	;; [unrolled: 1-line block ×4, first 2 shown]
	s_and_saveexec_b64 s[46:47], vcc
	s_cbranch_execz .LBB1605_1257
; %bb.1247:
	v_cmp_lt_u32_e32 vcc, v47, v24
	s_mov_b64 s[14:15], 0
	s_and_saveexec_b64 s[30:31], vcc
	s_cbranch_execz .LBB1605_1256
; %bb.1248:
	s_andn2_b64 vcc, exec, s[42:43]
	s_cbranch_vccnz .LBB1605_1254
; %bb.1249:
	v_mul_lo_u32 v6, v45, s36
	v_mul_lo_u32 v7, v46, s37
	v_mad_u64_u32 v[4:5], s[14:15], v46, s36, 0
	v_add3_u32 v5, v5, v7, v6
	v_mul_lo_u32 v51, v49, s36
	v_mul_lo_u32 v52, v50, s37
	v_mad_u64_u32 v[6:7], s[14:15], v50, s36, 0
	v_add3_u32 v7, v7, v52, v51
	v_lshl_add_u64 v[4:5], v[4:5], 3, s[38:39]
	v_lshl_add_u64 v[6:7], v[6:7], 3, s[38:39]
	s_mov_b64 s[48:49], 0
	s_mov_b64 s[54:55], s[36:37]
                                        ; implicit-def: $sgpr50_sgpr51
                                        ; implicit-def: $sgpr52_sgpr53
                                        ; implicit-def: $sgpr14_sgpr15
                                        ; implicit-def: $sgpr56_sgpr57
	s_branch .LBB1605_1251
.LBB1605_1250:                          ;   in Loop: Header=BB1605_1251 Depth=1
	s_or_b64 exec, exec, s[60:61]
	s_and_b64 s[16:17], exec, s[52:53]
	s_or_b64 s[48:49], s[16:17], s[48:49]
	s_andn2_b64 s[16:17], s[56:57], exec
	s_and_b64 s[56:57], s[58:59], exec
	s_or_b64 s[56:57], s[16:17], s[56:57]
	s_andn2_b64 s[16:17], s[50:51], exec
	s_and_b64 s[50:51], s[14:15], exec
	s_or_b64 s[50:51], s[16:17], s[50:51]
	s_andn2_b64 exec, exec, s[48:49]
	s_cbranch_execz .LBB1605_1253
.LBB1605_1251:                          ; =>This Inner Loop Header: Depth=1
	global_load_dwordx2 v[52:53], v[4:5], off
	global_load_dwordx2 v[54:55], v[6:7], off
	s_andn2_b64 s[60:61], s[14:15], exec
	s_or_b64 s[52:53], s[52:53], exec
	s_waitcnt vmcnt(0)
	v_cmp_le_u64_e64 s[14:15], v[52:53], v[54:55]
	v_cmp_lt_u64_e32 vcc, v[52:53], v[54:55]
	s_and_b64 s[14:15], s[14:15], s[56:57]
	s_or_b64 s[58:59], vcc, s[14:15]
	s_and_b64 s[14:15], s[58:59], exec
	v_cmp_eq_u64_e64 s[16:17], v[52:53], v[54:55]
	s_or_b64 s[14:15], s[60:61], s[14:15]
	s_and_saveexec_b64 s[60:61], s[16:17]
	s_cbranch_execz .LBB1605_1250
; %bb.1252:                             ;   in Loop: Header=BB1605_1251 Depth=1
	s_add_u32 s54, s54, -1
	s_addc_u32 s55, s55, -1
	s_cmp_eq_u64 s[54:55], 0
	s_cselect_b64 s[16:17], -1, 0
	s_andn2_b64 s[52:53], s[52:53], exec
	s_and_b64 s[16:17], s[16:17], exec
	v_lshl_add_u64 v[4:5], v[4:5], 0, 8
	v_lshl_add_u64 v[6:7], v[6:7], 0, 8
	s_andn2_b64 s[14:15], s[14:15], exec
	s_or_b64 s[52:53], s[52:53], s[16:17]
                                        ; implicit-def: $sgpr56_sgpr57
	s_branch .LBB1605_1250
.LBB1605_1253:
	s_or_b64 exec, exec, s[48:49]
	s_xor_b64 s[14:15], s[50:51], -1
	s_branch .LBB1605_1255
.LBB1605_1254:
	s_mov_b64 s[14:15], -1
.LBB1605_1255:
	s_and_b64 s[14:15], s[14:15], exec
.LBB1605_1256:
	s_or_b64 exec, exec, s[30:31]
	s_orn2_b64 s[30:31], s[14:15], exec
.LBB1605_1257:
	s_or_b64 exec, exec, s[46:47]
	v_cndmask_b32_e64 v4, v48, v47, s[30:31]
	v_cndmask_b32_e64 v5, v25, v24, s[30:31]
	;; [unrolled: 1-line block ×4, first 2 shown]
	v_add_u32_e32 v37, 1, v4
	v_add_u32_e32 v4, -1, v5
	v_min_u32_e32 v4, v37, v4
	v_lshl_add_u32 v4, v4, 3, v33
	v_cndmask_b32_e64 v11, v10, v11, s[24:25]
	v_cndmask_b32_e64 v10, v17, v23, s[24:25]
	;; [unrolled: 1-line block ×4, first 2 shown]
	ds_read_b64 v[22:23], v4
	v_cndmask_b32_e64 v14, v2, v0, s[20:21]
	v_cndmask_b32_e64 v0, v37, v48, s[30:31]
	;; [unrolled: 1-line block ×9, first 2 shown]
	s_waitcnt lgkmcnt(0)
	v_cndmask_b32_e64 v5, v49, v23, s[30:31]
	v_cndmask_b32_e64 v4, v50, v22, s[30:31]
	v_cmp_lt_u32_e32 vcc, v0, v25
	s_and_saveexec_b64 s[20:21], vcc
	s_cbranch_execz .LBB1605_1267
; %bb.1258:
	v_cndmask_b32_e64 v0, v22, v46, s[30:31]
	v_cndmask_b32_e64 v22, v47, v37, s[30:31]
	;; [unrolled: 1-line block ×3, first 2 shown]
	v_cmp_lt_u32_e32 vcc, v22, v24
	s_and_saveexec_b64 s[22:23], vcc
	s_cbranch_execz .LBB1605_1266
; %bb.1259:
	s_andn2_b64 vcc, exec, s[42:43]
	s_cbranch_vccnz .LBB1605_1265
; %bb.1260:
	v_mul_lo_u32 v24, v1, s36
	v_mul_lo_u32 v25, v0, s37
	v_mad_u64_u32 v[22:23], s[14:15], v0, s36, 0
	v_add3_u32 v23, v23, v25, v24
	v_mul_lo_u32 v37, v5, s36
	v_mul_lo_u32 v38, v4, s37
	v_mad_u64_u32 v[24:25], s[14:15], v4, s36, 0
	v_add3_u32 v25, v25, v38, v37
	v_lshl_add_u64 v[22:23], v[22:23], 3, s[38:39]
	v_lshl_add_u64 v[24:25], v[24:25], 3, s[38:39]
	s_mov_b64 s[24:25], 0
	s_mov_b64 s[30:31], s[36:37]
                                        ; implicit-def: $sgpr26_sgpr27
                                        ; implicit-def: $sgpr28_sgpr29
                                        ; implicit-def: $sgpr14_sgpr15
                                        ; implicit-def: $sgpr44_sgpr45
	s_branch .LBB1605_1262
.LBB1605_1261:                          ;   in Loop: Header=BB1605_1262 Depth=1
	s_or_b64 exec, exec, s[48:49]
	s_and_b64 s[16:17], exec, s[28:29]
	s_or_b64 s[24:25], s[16:17], s[24:25]
	s_andn2_b64 s[16:17], s[44:45], exec
	s_and_b64 s[44:45], s[46:47], exec
	s_or_b64 s[44:45], s[16:17], s[44:45]
	s_andn2_b64 s[16:17], s[26:27], exec
	s_and_b64 s[26:27], s[14:15], exec
	s_or_b64 s[26:27], s[16:17], s[26:27]
	s_andn2_b64 exec, exec, s[24:25]
	s_cbranch_execz .LBB1605_1264
.LBB1605_1262:                          ; =>This Inner Loop Header: Depth=1
	global_load_dwordx2 v[38:39], v[22:23], off
	global_load_dwordx2 v[40:41], v[24:25], off
	s_andn2_b64 s[48:49], s[14:15], exec
	s_or_b64 s[28:29], s[28:29], exec
	s_waitcnt vmcnt(0)
	v_cmp_le_u64_e64 s[14:15], v[38:39], v[40:41]
	v_cmp_lt_u64_e32 vcc, v[38:39], v[40:41]
	s_and_b64 s[14:15], s[14:15], s[44:45]
	s_or_b64 s[46:47], vcc, s[14:15]
	s_and_b64 s[14:15], s[46:47], exec
	v_cmp_eq_u64_e64 s[16:17], v[38:39], v[40:41]
	s_or_b64 s[14:15], s[48:49], s[14:15]
	s_and_saveexec_b64 s[48:49], s[16:17]
	s_cbranch_execz .LBB1605_1261
; %bb.1263:                             ;   in Loop: Header=BB1605_1262 Depth=1
	s_add_u32 s30, s30, -1
	s_addc_u32 s31, s31, -1
	s_cmp_eq_u64 s[30:31], 0
	s_cselect_b64 s[16:17], -1, 0
	s_andn2_b64 s[28:29], s[28:29], exec
	s_and_b64 s[16:17], s[16:17], exec
	v_lshl_add_u64 v[22:23], v[22:23], 0, 8
	v_lshl_add_u64 v[24:25], v[24:25], 0, 8
	s_andn2_b64 s[14:15], s[14:15], exec
	s_or_b64 s[28:29], s[28:29], s[16:17]
                                        ; implicit-def: $sgpr44_sgpr45
	s_branch .LBB1605_1261
.LBB1605_1264:
	s_or_b64 exec, exec, s[24:25]
	v_cndmask_b32_e64 v5, v5, v1, s[26:27]
	v_cndmask_b32_e64 v4, v4, v0, s[26:27]
.LBB1605_1265:
	v_mov_b64_e32 v[0:1], v[4:5]
.LBB1605_1266:
	s_or_b64 exec, exec, s[22:23]
	v_mov_b64_e32 v[4:5], v[0:1]
.LBB1605_1267:
	s_or_b64 exec, exec, s[20:21]
.LBB1605_1268:
	s_or_b64 exec, exec, s[18:19]
	; wave barrier
	ds_write_b128 v36, v[14:17]
	ds_write_b128 v36, v[10:13] offset:16
	ds_write_b128 v36, v[6:9] offset:32
	;; [unrolled: 1-line block ×3, first 2 shown]
	v_and_b32_e32 v36, 0x380, v35
	v_or_b32_e32 v0, 64, v36
	v_min_u32_e32 v24, v34, v0
	v_add_u32_e32 v0, 64, v24
	v_min_u32_e32 v25, v34, v0
	v_and_b32_e32 v0, 0x78, v35
	v_min_u32_e32 v37, v34, v0
	v_sub_u32_e32 v0, v24, v36
	v_sub_u32_e32 v1, v25, v24
	v_sub_u32_e64 v35, v37, v1 clamp
	v_min_u32_e32 v38, v37, v0
	v_lshl_add_u32 v34, v36, 3, v33
	v_cmp_lt_u32_e32 vcc, v35, v38
	; wave barrier
	s_and_saveexec_b64 s[20:21], vcc
	s_cbranch_execz .LBB1605_1278
; %bb.1269:
	v_lshlrev_b32_e32 v0, 3, v24
	v_lshlrev_b32_e32 v1, 3, v37
	v_add3_u32 v39, v33, v0, v1
	v_cndmask_b32_e64 v0, 0, 1, s[42:43]
	s_lshl_b64 s[24:25], s[36:37], 3
	s_mov_b64 s[22:23], 0
	v_cmp_ne_u32_e64 s[14:15], 1, v0
	s_branch .LBB1605_1272
.LBB1605_1270:                          ;   in Loop: Header=BB1605_1272 Depth=1
	s_or_b64 exec, exec, s[28:29]
.LBB1605_1271:                          ;   in Loop: Header=BB1605_1272 Depth=1
	v_add_u32_e32 v0, 1, v40
	v_cndmask_b32_e64 v38, v38, v40, s[26:27]
	v_cndmask_b32_e64 v35, v0, v35, s[26:27]
	v_cmp_ge_u32_e32 vcc, v35, v38
	s_or_b64 s[22:23], vcc, s[22:23]
	s_andn2_b64 exec, exec, s[22:23]
	s_cbranch_execz .LBB1605_1277
.LBB1605_1272:                          ; =>This Loop Header: Depth=1
                                        ;     Child Loop BB1605_1275 Depth 2
	v_add_u32_e32 v0, v38, v35
	v_lshrrev_b32_e32 v40, 1, v0
	s_and_b64 vcc, exec, s[14:15]
	s_mov_b64 s[26:27], 0
	s_cbranch_vccnz .LBB1605_1271
; %bb.1273:                             ;   in Loop: Header=BB1605_1272 Depth=1
	v_not_b32_e32 v0, v40
	v_lshl_add_u32 v0, v0, 3, v39
	ds_read_b64 v[0:1], v0
	v_lshl_add_u32 v41, v40, 3, v34
	ds_read_b64 v[42:43], v41
	v_mov_b64_e32 v[22:23], s[38:39]
	s_mov_b64 s[28:29], 0
	s_waitcnt lgkmcnt(1)
	v_mul_lo_u32 v41, s24, v1
	v_mul_lo_u32 v44, s25, v0
	v_mad_u64_u32 v[0:1], s[16:17], s24, v0, v[22:23]
	v_add3_u32 v1, v44, v1, v41
	s_waitcnt lgkmcnt(0)
	v_mul_lo_u32 v41, s24, v43
	v_mul_lo_u32 v43, s25, v42
	v_mad_u64_u32 v[22:23], s[16:17], s24, v42, v[22:23]
	v_add3_u32 v23, v43, v23, v41
	s_mov_b64 s[44:45], s[36:37]
                                        ; implicit-def: $sgpr26_sgpr27
                                        ; implicit-def: $sgpr30_sgpr31
                                        ; implicit-def: $sgpr16_sgpr17
                                        ; implicit-def: $sgpr46_sgpr47
	s_branch .LBB1605_1275
.LBB1605_1274:                          ;   in Loop: Header=BB1605_1275 Depth=2
	s_or_b64 exec, exec, s[50:51]
	s_and_b64 s[18:19], exec, s[30:31]
	s_or_b64 s[28:29], s[18:19], s[28:29]
	s_andn2_b64 s[18:19], s[46:47], exec
	s_and_b64 s[46:47], s[48:49], exec
	s_or_b64 s[46:47], s[18:19], s[46:47]
	s_andn2_b64 s[18:19], s[26:27], exec
	s_and_b64 s[26:27], s[16:17], exec
	s_or_b64 s[26:27], s[18:19], s[26:27]
	s_andn2_b64 exec, exec, s[28:29]
	s_cbranch_execz .LBB1605_1270
.LBB1605_1275:                          ;   Parent Loop BB1605_1272 Depth=1
                                        ; =>  This Inner Loop Header: Depth=2
	global_load_dwordx2 v[42:43], v[0:1], off
	global_load_dwordx2 v[44:45], v[22:23], off
	s_andn2_b64 s[50:51], s[16:17], exec
	s_or_b64 s[30:31], s[30:31], exec
	s_waitcnt vmcnt(0)
	v_cmp_le_u64_e64 s[16:17], v[42:43], v[44:45]
	v_cmp_lt_u64_e32 vcc, v[42:43], v[44:45]
	s_and_b64 s[16:17], s[16:17], s[46:47]
	s_or_b64 s[48:49], vcc, s[16:17]
	s_and_b64 s[16:17], s[48:49], exec
	v_cmp_eq_u64_e64 s[18:19], v[42:43], v[44:45]
	s_or_b64 s[16:17], s[50:51], s[16:17]
	s_and_saveexec_b64 s[50:51], s[18:19]
	s_cbranch_execz .LBB1605_1274
; %bb.1276:                             ;   in Loop: Header=BB1605_1275 Depth=2
	s_add_u32 s44, s44, -1
	s_addc_u32 s45, s45, -1
	s_cmp_eq_u64 s[44:45], 0
	s_cselect_b64 s[18:19], -1, 0
	s_andn2_b64 s[30:31], s[30:31], exec
	s_and_b64 s[18:19], s[18:19], exec
	v_lshl_add_u64 v[0:1], v[0:1], 0, 8
	v_lshl_add_u64 v[22:23], v[22:23], 0, 8
	s_andn2_b64 s[16:17], s[16:17], exec
	s_or_b64 s[30:31], s[30:31], s[18:19]
                                        ; implicit-def: $sgpr46_sgpr47
	s_branch .LBB1605_1274
.LBB1605_1277:
	s_or_b64 exec, exec, s[22:23]
.LBB1605_1278:
	s_or_b64 exec, exec, s[20:21]
	v_add_u32_e32 v0, v24, v37
	v_add_u32_e32 v23, v35, v36
	v_sub_u32_e32 v36, v0, v35
	v_cmp_le_u32_e32 vcc, v23, v24
	v_cmp_le_u32_e64 s[14:15], v36, v25
	s_or_b64 s[14:15], vcc, s[14:15]
	s_and_saveexec_b64 s[18:19], s[14:15]
	s_cbranch_execz .LBB1605_1369
; %bb.1279:
	v_cmp_ge_u32_e32 vcc, v23, v24
	v_cmp_lt_u32_e64 s[14:15], v23, v24
                                        ; implicit-def: $vgpr0_vgpr1
	s_and_saveexec_b64 s[16:17], s[14:15]
; %bb.1280:
	v_lshl_add_u32 v0, v35, 3, v34
	ds_read_b64 v[0:1], v0
; %bb.1281:
	s_or_b64 exec, exec, s[16:17]
	v_cmp_ge_u32_e64 s[20:21], v36, v25
	v_cmp_lt_u32_e64 s[14:15], v36, v25
                                        ; implicit-def: $vgpr2_vgpr3
	s_and_saveexec_b64 s[16:17], s[14:15]
; %bb.1282:
	v_lshl_add_u32 v2, v36, 3, v33
	ds_read_b64 v[2:3], v2
; %bb.1283:
	s_or_b64 exec, exec, s[16:17]
	s_nor_b64 s[14:15], vcc, s[20:21]
	s_and_saveexec_b64 s[22:23], s[14:15]
	s_cbranch_execz .LBB1605_1292
; %bb.1284:
	s_andn2_b64 vcc, exec, s[42:43]
	s_cbranch_vccnz .LBB1605_1290
; %bb.1285:
	s_waitcnt lgkmcnt(0)
	v_mul_lo_u32 v6, v3, s36
	v_mul_lo_u32 v7, v2, s37
	v_mad_u64_u32 v[4:5], s[14:15], v2, s36, 0
	v_add3_u32 v5, v5, v7, v6
	v_mul_lo_u32 v8, v1, s36
	v_mul_lo_u32 v9, v0, s37
	v_mad_u64_u32 v[6:7], s[14:15], v0, s36, 0
	v_add3_u32 v7, v7, v9, v8
	v_lshl_add_u64 v[4:5], v[4:5], 3, s[38:39]
	v_lshl_add_u64 v[6:7], v[6:7], 3, s[38:39]
	s_mov_b64 s[24:25], 0
	s_mov_b64 s[30:31], s[36:37]
                                        ; implicit-def: $sgpr26_sgpr27
                                        ; implicit-def: $sgpr28_sgpr29
                                        ; implicit-def: $sgpr14_sgpr15
                                        ; implicit-def: $sgpr44_sgpr45
	s_branch .LBB1605_1287
.LBB1605_1286:                          ;   in Loop: Header=BB1605_1287 Depth=1
	s_or_b64 exec, exec, s[48:49]
	s_and_b64 s[16:17], exec, s[28:29]
	s_or_b64 s[24:25], s[16:17], s[24:25]
	s_andn2_b64 s[16:17], s[44:45], exec
	s_and_b64 s[44:45], s[46:47], exec
	s_or_b64 s[44:45], s[16:17], s[44:45]
	s_andn2_b64 s[16:17], s[26:27], exec
	s_and_b64 s[26:27], s[14:15], exec
	s_or_b64 s[26:27], s[16:17], s[26:27]
	s_andn2_b64 exec, exec, s[24:25]
	s_cbranch_execz .LBB1605_1289
.LBB1605_1287:                          ; =>This Inner Loop Header: Depth=1
	global_load_dwordx2 v[8:9], v[4:5], off
	global_load_dwordx2 v[10:11], v[6:7], off
	s_andn2_b64 s[48:49], s[14:15], exec
	s_or_b64 s[28:29], s[28:29], exec
	s_waitcnt vmcnt(0)
	v_cmp_le_u64_e64 s[14:15], v[8:9], v[10:11]
	v_cmp_lt_u64_e32 vcc, v[8:9], v[10:11]
	s_and_b64 s[14:15], s[14:15], s[44:45]
	s_or_b64 s[46:47], vcc, s[14:15]
	s_and_b64 s[14:15], s[46:47], exec
	v_cmp_eq_u64_e64 s[16:17], v[8:9], v[10:11]
	s_or_b64 s[14:15], s[48:49], s[14:15]
	s_and_saveexec_b64 s[48:49], s[16:17]
	s_cbranch_execz .LBB1605_1286
; %bb.1288:                             ;   in Loop: Header=BB1605_1287 Depth=1
	s_add_u32 s30, s30, -1
	s_addc_u32 s31, s31, -1
	s_cmp_eq_u64 s[30:31], 0
	s_cselect_b64 s[16:17], -1, 0
	s_andn2_b64 s[28:29], s[28:29], exec
	s_and_b64 s[16:17], s[16:17], exec
	v_lshl_add_u64 v[4:5], v[4:5], 0, 8
	v_lshl_add_u64 v[6:7], v[6:7], 0, 8
	s_andn2_b64 s[14:15], s[14:15], exec
	s_or_b64 s[28:29], s[28:29], s[16:17]
                                        ; implicit-def: $sgpr44_sgpr45
	s_branch .LBB1605_1286
.LBB1605_1289:
	s_or_b64 exec, exec, s[24:25]
	s_xor_b64 s[14:15], s[26:27], -1
	s_branch .LBB1605_1291
.LBB1605_1290:
	s_mov_b64 s[14:15], -1
.LBB1605_1291:
	s_andn2_b64 s[16:17], s[20:21], exec
	s_and_b64 s[14:15], s[14:15], exec
	s_or_b64 s[20:21], s[16:17], s[14:15]
.LBB1605_1292:
	s_or_b64 exec, exec, s[22:23]
	v_cndmask_b32_e64 v4, v36, v23, s[20:21]
	v_cndmask_b32_e64 v5, v25, v24, s[20:21]
	v_add_u32_e32 v6, 1, v4
	v_add_u32_e32 v4, -1, v5
	v_min_u32_e32 v4, v6, v4
	v_lshl_add_u32 v4, v4, 3, v33
	ds_read_b64 v[4:5], v4
	v_cndmask_b32_e64 v8, v6, v36, s[20:21]
	v_cndmask_b32_e64 v9, v23, v6, s[20:21]
	v_cmp_lt_u32_e32 vcc, v8, v25
	s_mov_b64 s[24:25], -1
	s_waitcnt lgkmcnt(0)
	v_cndmask_b32_e64 v14, v5, v3, s[20:21]
	v_cndmask_b32_e64 v15, v4, v2, s[20:21]
	;; [unrolled: 1-line block ×4, first 2 shown]
	s_mov_b64 s[22:23], -1
	s_and_saveexec_b64 s[26:27], vcc
	s_cbranch_execz .LBB1605_1303
; %bb.1293:
	v_cmp_lt_u32_e32 vcc, v9, v24
	s_mov_b64 s[14:15], 0
	s_and_saveexec_b64 s[22:23], vcc
	s_cbranch_execz .LBB1605_1302
; %bb.1294:
	s_andn2_b64 vcc, exec, s[42:43]
	s_cbranch_vccnz .LBB1605_1300
; %bb.1295:
	v_mul_lo_u32 v6, v14, s36
	v_mul_lo_u32 v7, v15, s37
	v_mad_u64_u32 v[4:5], s[14:15], v15, s36, 0
	v_add3_u32 v5, v5, v7, v6
	v_mul_lo_u32 v10, v16, s36
	v_mul_lo_u32 v11, v22, s37
	v_mad_u64_u32 v[6:7], s[14:15], v22, s36, 0
	v_add3_u32 v7, v7, v11, v10
	v_lshl_add_u64 v[4:5], v[4:5], 3, s[38:39]
	v_lshl_add_u64 v[6:7], v[6:7], 3, s[38:39]
	s_mov_b64 s[28:29], 0
	s_mov_b64 s[46:47], s[36:37]
                                        ; implicit-def: $sgpr30_sgpr31
                                        ; implicit-def: $sgpr44_sgpr45
                                        ; implicit-def: $sgpr14_sgpr15
                                        ; implicit-def: $sgpr48_sgpr49
	s_branch .LBB1605_1297
.LBB1605_1296:                          ;   in Loop: Header=BB1605_1297 Depth=1
	s_or_b64 exec, exec, s[52:53]
	s_and_b64 s[16:17], exec, s[44:45]
	s_or_b64 s[28:29], s[16:17], s[28:29]
	s_andn2_b64 s[16:17], s[48:49], exec
	s_and_b64 s[48:49], s[50:51], exec
	s_or_b64 s[48:49], s[16:17], s[48:49]
	s_andn2_b64 s[16:17], s[30:31], exec
	s_and_b64 s[30:31], s[14:15], exec
	s_or_b64 s[30:31], s[16:17], s[30:31]
	s_andn2_b64 exec, exec, s[28:29]
	s_cbranch_execz .LBB1605_1299
.LBB1605_1297:                          ; =>This Inner Loop Header: Depth=1
	global_load_dwordx2 v[10:11], v[4:5], off
	global_load_dwordx2 v[12:13], v[6:7], off
	s_andn2_b64 s[52:53], s[14:15], exec
	s_or_b64 s[44:45], s[44:45], exec
	s_waitcnt vmcnt(0)
	v_cmp_le_u64_e64 s[14:15], v[10:11], v[12:13]
	v_cmp_lt_u64_e32 vcc, v[10:11], v[12:13]
	s_and_b64 s[14:15], s[14:15], s[48:49]
	s_or_b64 s[50:51], vcc, s[14:15]
	s_and_b64 s[14:15], s[50:51], exec
	v_cmp_eq_u64_e64 s[16:17], v[10:11], v[12:13]
	s_or_b64 s[14:15], s[52:53], s[14:15]
	s_and_saveexec_b64 s[52:53], s[16:17]
	s_cbranch_execz .LBB1605_1296
; %bb.1298:                             ;   in Loop: Header=BB1605_1297 Depth=1
	s_add_u32 s46, s46, -1
	s_addc_u32 s47, s47, -1
	s_cmp_eq_u64 s[46:47], 0
	s_cselect_b64 s[16:17], -1, 0
	s_andn2_b64 s[44:45], s[44:45], exec
	s_and_b64 s[16:17], s[16:17], exec
	v_lshl_add_u64 v[4:5], v[4:5], 0, 8
	v_lshl_add_u64 v[6:7], v[6:7], 0, 8
	s_andn2_b64 s[14:15], s[14:15], exec
	s_or_b64 s[44:45], s[44:45], s[16:17]
                                        ; implicit-def: $sgpr48_sgpr49
	s_branch .LBB1605_1296
.LBB1605_1299:
	s_or_b64 exec, exec, s[28:29]
	s_xor_b64 s[14:15], s[30:31], -1
	s_branch .LBB1605_1301
.LBB1605_1300:
	s_mov_b64 s[14:15], -1
.LBB1605_1301:
	s_and_b64 s[14:15], s[14:15], exec
.LBB1605_1302:
	s_or_b64 exec, exec, s[22:23]
	s_orn2_b64 s[22:23], s[14:15], exec
.LBB1605_1303:
	s_or_b64 exec, exec, s[26:27]
	v_cndmask_b32_e64 v4, v8, v9, s[22:23]
	v_cndmask_b32_e64 v5, v25, v24, s[22:23]
	v_add_u32_e32 v6, 1, v4
	v_add_u32_e32 v4, -1, v5
	v_min_u32_e32 v4, v6, v4
	v_lshl_add_u32 v4, v4, 3, v33
	ds_read_b64 v[4:5], v4
	v_cndmask_b32_e64 v8, v6, v8, s[22:23]
	v_cndmask_b32_e64 v9, v9, v6, s[22:23]
	v_cmp_lt_u32_e32 vcc, v8, v25
	s_waitcnt lgkmcnt(0)
	v_cndmask_b32_e64 v10, v5, v14, s[22:23]
	v_cndmask_b32_e64 v17, v4, v15, s[22:23]
	;; [unrolled: 1-line block ×4, first 2 shown]
	s_and_saveexec_b64 s[26:27], vcc
	s_cbranch_execz .LBB1605_1314
; %bb.1304:
	v_cmp_lt_u32_e32 vcc, v9, v24
	s_mov_b64 s[14:15], 0
	s_and_saveexec_b64 s[24:25], vcc
	s_cbranch_execz .LBB1605_1313
; %bb.1305:
	s_andn2_b64 vcc, exec, s[42:43]
	s_cbranch_vccnz .LBB1605_1311
; %bb.1306:
	v_mul_lo_u32 v6, v10, s36
	v_mul_lo_u32 v7, v17, s37
	v_mad_u64_u32 v[4:5], s[14:15], v17, s36, 0
	v_add3_u32 v5, v5, v7, v6
	v_mul_lo_u32 v12, v11, s36
	v_mul_lo_u32 v13, v23, s37
	v_mad_u64_u32 v[6:7], s[14:15], v23, s36, 0
	v_add3_u32 v7, v7, v13, v12
	v_lshl_add_u64 v[4:5], v[4:5], 3, s[38:39]
	v_lshl_add_u64 v[6:7], v[6:7], 3, s[38:39]
	s_mov_b64 s[28:29], 0
	s_mov_b64 s[46:47], s[36:37]
                                        ; implicit-def: $sgpr30_sgpr31
                                        ; implicit-def: $sgpr44_sgpr45
                                        ; implicit-def: $sgpr14_sgpr15
                                        ; implicit-def: $sgpr48_sgpr49
	s_branch .LBB1605_1308
.LBB1605_1307:                          ;   in Loop: Header=BB1605_1308 Depth=1
	s_or_b64 exec, exec, s[52:53]
	s_and_b64 s[16:17], exec, s[44:45]
	s_or_b64 s[28:29], s[16:17], s[28:29]
	s_andn2_b64 s[16:17], s[48:49], exec
	s_and_b64 s[48:49], s[50:51], exec
	s_or_b64 s[48:49], s[16:17], s[48:49]
	s_andn2_b64 s[16:17], s[30:31], exec
	s_and_b64 s[30:31], s[14:15], exec
	s_or_b64 s[30:31], s[16:17], s[30:31]
	s_andn2_b64 exec, exec, s[28:29]
	s_cbranch_execz .LBB1605_1310
.LBB1605_1308:                          ; =>This Inner Loop Header: Depth=1
	global_load_dwordx2 v[12:13], v[4:5], off
	global_load_dwordx2 v[34:35], v[6:7], off
	s_andn2_b64 s[52:53], s[14:15], exec
	s_or_b64 s[44:45], s[44:45], exec
	s_waitcnt vmcnt(0)
	v_cmp_le_u64_e64 s[14:15], v[12:13], v[34:35]
	v_cmp_lt_u64_e32 vcc, v[12:13], v[34:35]
	s_and_b64 s[14:15], s[14:15], s[48:49]
	s_or_b64 s[50:51], vcc, s[14:15]
	s_and_b64 s[14:15], s[50:51], exec
	v_cmp_eq_u64_e64 s[16:17], v[12:13], v[34:35]
	s_or_b64 s[14:15], s[52:53], s[14:15]
	s_and_saveexec_b64 s[52:53], s[16:17]
	s_cbranch_execz .LBB1605_1307
; %bb.1309:                             ;   in Loop: Header=BB1605_1308 Depth=1
	s_add_u32 s46, s46, -1
	s_addc_u32 s47, s47, -1
	s_cmp_eq_u64 s[46:47], 0
	s_cselect_b64 s[16:17], -1, 0
	s_andn2_b64 s[44:45], s[44:45], exec
	s_and_b64 s[16:17], s[16:17], exec
	v_lshl_add_u64 v[4:5], v[4:5], 0, 8
	v_lshl_add_u64 v[6:7], v[6:7], 0, 8
	s_andn2_b64 s[14:15], s[14:15], exec
	s_or_b64 s[44:45], s[44:45], s[16:17]
                                        ; implicit-def: $sgpr48_sgpr49
	s_branch .LBB1605_1307
.LBB1605_1310:
	s_or_b64 exec, exec, s[28:29]
	s_xor_b64 s[14:15], s[30:31], -1
	s_branch .LBB1605_1312
.LBB1605_1311:
	s_mov_b64 s[14:15], -1
.LBB1605_1312:
	s_and_b64 s[14:15], s[14:15], exec
.LBB1605_1313:
	s_or_b64 exec, exec, s[24:25]
	s_orn2_b64 s[24:25], s[14:15], exec
.LBB1605_1314:
	s_or_b64 exec, exec, s[26:27]
	v_cndmask_b32_e64 v4, v8, v9, s[24:25]
	v_cndmask_b32_e64 v5, v25, v24, s[24:25]
	v_add_u32_e32 v6, 1, v4
	v_add_u32_e32 v4, -1, v5
	v_min_u32_e32 v4, v6, v4
	v_lshl_add_u32 v4, v4, 3, v33
	ds_read_b64 v[4:5], v4
	v_cndmask_b32_e64 v8, v6, v8, s[24:25]
	v_cndmask_b32_e64 v9, v9, v6, s[24:25]
	v_cmp_lt_u32_e32 vcc, v8, v25
	s_mov_b64 s[28:29], -1
	s_waitcnt lgkmcnt(0)
	v_cndmask_b32_e64 v12, v5, v10, s[24:25]
	v_cndmask_b32_e64 v34, v4, v17, s[24:25]
	;; [unrolled: 1-line block ×4, first 2 shown]
	s_mov_b64 s[26:27], -1
	s_and_saveexec_b64 s[30:31], vcc
	s_cbranch_execz .LBB1605_1325
; %bb.1315:
	v_cmp_lt_u32_e32 vcc, v9, v24
	s_mov_b64 s[14:15], 0
	s_and_saveexec_b64 s[26:27], vcc
	s_cbranch_execz .LBB1605_1324
; %bb.1316:
	s_andn2_b64 vcc, exec, s[42:43]
	s_cbranch_vccnz .LBB1605_1322
; %bb.1317:
	v_mul_lo_u32 v6, v12, s36
	v_mul_lo_u32 v7, v34, s37
	v_mad_u64_u32 v[4:5], s[14:15], v34, s36, 0
	v_add3_u32 v5, v5, v7, v6
	v_mul_lo_u32 v36, v13, s36
	v_mul_lo_u32 v37, v35, s37
	v_mad_u64_u32 v[6:7], s[14:15], v35, s36, 0
	v_add3_u32 v7, v7, v37, v36
	v_lshl_add_u64 v[4:5], v[4:5], 3, s[38:39]
	v_lshl_add_u64 v[6:7], v[6:7], 3, s[38:39]
	s_mov_b64 s[44:45], 0
	s_mov_b64 s[50:51], s[36:37]
                                        ; implicit-def: $sgpr46_sgpr47
                                        ; implicit-def: $sgpr48_sgpr49
                                        ; implicit-def: $sgpr14_sgpr15
                                        ; implicit-def: $sgpr52_sgpr53
	s_branch .LBB1605_1319
.LBB1605_1318:                          ;   in Loop: Header=BB1605_1319 Depth=1
	s_or_b64 exec, exec, s[56:57]
	s_and_b64 s[16:17], exec, s[48:49]
	s_or_b64 s[44:45], s[16:17], s[44:45]
	s_andn2_b64 s[16:17], s[52:53], exec
	s_and_b64 s[52:53], s[54:55], exec
	s_or_b64 s[52:53], s[16:17], s[52:53]
	s_andn2_b64 s[16:17], s[46:47], exec
	s_and_b64 s[46:47], s[14:15], exec
	s_or_b64 s[46:47], s[16:17], s[46:47]
	s_andn2_b64 exec, exec, s[44:45]
	s_cbranch_execz .LBB1605_1321
.LBB1605_1319:                          ; =>This Inner Loop Header: Depth=1
	global_load_dwordx2 v[36:37], v[4:5], off
	global_load_dwordx2 v[38:39], v[6:7], off
	s_andn2_b64 s[56:57], s[14:15], exec
	s_or_b64 s[48:49], s[48:49], exec
	s_waitcnt vmcnt(0)
	v_cmp_le_u64_e64 s[14:15], v[36:37], v[38:39]
	v_cmp_lt_u64_e32 vcc, v[36:37], v[38:39]
	s_and_b64 s[14:15], s[14:15], s[52:53]
	s_or_b64 s[54:55], vcc, s[14:15]
	s_and_b64 s[14:15], s[54:55], exec
	v_cmp_eq_u64_e64 s[16:17], v[36:37], v[38:39]
	s_or_b64 s[14:15], s[56:57], s[14:15]
	s_and_saveexec_b64 s[56:57], s[16:17]
	s_cbranch_execz .LBB1605_1318
; %bb.1320:                             ;   in Loop: Header=BB1605_1319 Depth=1
	s_add_u32 s50, s50, -1
	s_addc_u32 s51, s51, -1
	s_cmp_eq_u64 s[50:51], 0
	s_cselect_b64 s[16:17], -1, 0
	s_andn2_b64 s[48:49], s[48:49], exec
	s_and_b64 s[16:17], s[16:17], exec
	v_lshl_add_u64 v[4:5], v[4:5], 0, 8
	v_lshl_add_u64 v[6:7], v[6:7], 0, 8
	s_andn2_b64 s[14:15], s[14:15], exec
	s_or_b64 s[48:49], s[48:49], s[16:17]
                                        ; implicit-def: $sgpr52_sgpr53
	s_branch .LBB1605_1318
.LBB1605_1321:
	s_or_b64 exec, exec, s[44:45]
	s_xor_b64 s[14:15], s[46:47], -1
	s_branch .LBB1605_1323
.LBB1605_1322:
	s_mov_b64 s[14:15], -1
.LBB1605_1323:
	s_and_b64 s[14:15], s[14:15], exec
.LBB1605_1324:
	s_or_b64 exec, exec, s[26:27]
	s_orn2_b64 s[26:27], s[14:15], exec
.LBB1605_1325:
	s_or_b64 exec, exec, s[30:31]
	v_cndmask_b32_e64 v4, v8, v9, s[26:27]
	v_cndmask_b32_e64 v5, v25, v24, s[26:27]
	v_add_u32_e32 v6, 1, v4
	v_add_u32_e32 v4, -1, v5
	v_min_u32_e32 v4, v6, v4
	v_lshl_add_u32 v4, v4, 3, v33
	ds_read_b64 v[4:5], v4
	v_cndmask_b32_e64 v42, v6, v8, s[26:27]
	v_cndmask_b32_e64 v43, v9, v6, s[26:27]
	v_cmp_lt_u32_e32 vcc, v42, v25
	s_waitcnt lgkmcnt(0)
	v_cndmask_b32_e64 v36, v5, v12, s[26:27]
	v_cndmask_b32_e64 v37, v4, v34, s[26:27]
	;; [unrolled: 1-line block ×4, first 2 shown]
	s_and_saveexec_b64 s[30:31], vcc
	s_cbranch_execz .LBB1605_1336
; %bb.1326:
	v_cmp_lt_u32_e32 vcc, v43, v24
	s_mov_b64 s[14:15], 0
	s_and_saveexec_b64 s[28:29], vcc
	s_cbranch_execz .LBB1605_1335
; %bb.1327:
	s_andn2_b64 vcc, exec, s[42:43]
	s_cbranch_vccnz .LBB1605_1333
; %bb.1328:
	v_mul_lo_u32 v6, v36, s36
	v_mul_lo_u32 v7, v37, s37
	v_mad_u64_u32 v[4:5], s[14:15], v37, s36, 0
	v_add3_u32 v5, v5, v7, v6
	v_mul_lo_u32 v8, v38, s36
	v_mul_lo_u32 v9, v39, s37
	v_mad_u64_u32 v[6:7], s[14:15], v39, s36, 0
	v_add3_u32 v7, v7, v9, v8
	v_lshl_add_u64 v[4:5], v[4:5], 3, s[38:39]
	v_lshl_add_u64 v[6:7], v[6:7], 3, s[38:39]
	s_mov_b64 s[44:45], 0
	s_mov_b64 s[50:51], s[36:37]
                                        ; implicit-def: $sgpr46_sgpr47
                                        ; implicit-def: $sgpr48_sgpr49
                                        ; implicit-def: $sgpr14_sgpr15
                                        ; implicit-def: $sgpr52_sgpr53
	s_branch .LBB1605_1330
.LBB1605_1329:                          ;   in Loop: Header=BB1605_1330 Depth=1
	s_or_b64 exec, exec, s[56:57]
	s_and_b64 s[16:17], exec, s[48:49]
	s_or_b64 s[44:45], s[16:17], s[44:45]
	s_andn2_b64 s[16:17], s[52:53], exec
	s_and_b64 s[52:53], s[54:55], exec
	s_or_b64 s[52:53], s[16:17], s[52:53]
	s_andn2_b64 s[16:17], s[46:47], exec
	s_and_b64 s[46:47], s[14:15], exec
	s_or_b64 s[46:47], s[16:17], s[46:47]
	s_andn2_b64 exec, exec, s[44:45]
	s_cbranch_execz .LBB1605_1332
.LBB1605_1330:                          ; =>This Inner Loop Header: Depth=1
	global_load_dwordx2 v[8:9], v[4:5], off
	global_load_dwordx2 v[40:41], v[6:7], off
	s_andn2_b64 s[56:57], s[14:15], exec
	s_or_b64 s[48:49], s[48:49], exec
	s_waitcnt vmcnt(0)
	v_cmp_le_u64_e64 s[14:15], v[8:9], v[40:41]
	v_cmp_lt_u64_e32 vcc, v[8:9], v[40:41]
	s_and_b64 s[14:15], s[14:15], s[52:53]
	s_or_b64 s[54:55], vcc, s[14:15]
	s_and_b64 s[14:15], s[54:55], exec
	v_cmp_eq_u64_e64 s[16:17], v[8:9], v[40:41]
	s_or_b64 s[14:15], s[56:57], s[14:15]
	s_and_saveexec_b64 s[56:57], s[16:17]
	s_cbranch_execz .LBB1605_1329
; %bb.1331:                             ;   in Loop: Header=BB1605_1330 Depth=1
	s_add_u32 s50, s50, -1
	s_addc_u32 s51, s51, -1
	s_cmp_eq_u64 s[50:51], 0
	s_cselect_b64 s[16:17], -1, 0
	s_andn2_b64 s[48:49], s[48:49], exec
	s_and_b64 s[16:17], s[16:17], exec
	v_lshl_add_u64 v[4:5], v[4:5], 0, 8
	v_lshl_add_u64 v[6:7], v[6:7], 0, 8
	s_andn2_b64 s[14:15], s[14:15], exec
	s_or_b64 s[48:49], s[48:49], s[16:17]
                                        ; implicit-def: $sgpr52_sgpr53
	s_branch .LBB1605_1329
.LBB1605_1332:
	s_or_b64 exec, exec, s[44:45]
	s_xor_b64 s[14:15], s[46:47], -1
	s_branch .LBB1605_1334
.LBB1605_1333:
	s_mov_b64 s[14:15], -1
.LBB1605_1334:
	s_and_b64 s[14:15], s[14:15], exec
.LBB1605_1335:
	s_or_b64 exec, exec, s[28:29]
	s_orn2_b64 s[28:29], s[14:15], exec
.LBB1605_1336:
	s_or_b64 exec, exec, s[30:31]
	v_cndmask_b32_e64 v4, v42, v43, s[28:29]
	v_cndmask_b32_e64 v5, v25, v24, s[28:29]
	v_add_u32_e32 v6, 1, v4
	v_add_u32_e32 v4, -1, v5
	v_min_u32_e32 v4, v6, v4
	v_lshl_add_u32 v4, v4, 3, v33
	ds_read_b64 v[4:5], v4
	v_cndmask_b32_e64 v44, v6, v42, s[28:29]
	v_cndmask_b32_e64 v48, v43, v6, s[28:29]
	v_cmp_lt_u32_e32 vcc, v44, v25
	s_mov_b64 s[30:31], -1
	s_waitcnt lgkmcnt(0)
	v_cndmask_b32_e64 v8, v5, v36, s[28:29]
	v_cndmask_b32_e64 v40, v4, v37, s[28:29]
	;; [unrolled: 1-line block ×4, first 2 shown]
	s_mov_b64 s[44:45], -1
	s_and_saveexec_b64 s[46:47], vcc
	s_cbranch_execz .LBB1605_1347
; %bb.1337:
	v_cmp_lt_u32_e32 vcc, v48, v24
	s_mov_b64 s[14:15], 0
	s_and_saveexec_b64 s[44:45], vcc
	s_cbranch_execz .LBB1605_1346
; %bb.1338:
	s_andn2_b64 vcc, exec, s[42:43]
	s_cbranch_vccnz .LBB1605_1344
; %bb.1339:
	v_mul_lo_u32 v6, v8, s36
	v_mul_lo_u32 v7, v40, s37
	v_mad_u64_u32 v[4:5], s[14:15], v40, s36, 0
	v_add3_u32 v5, v5, v7, v6
	v_mul_lo_u32 v42, v9, s36
	v_mul_lo_u32 v43, v41, s37
	v_mad_u64_u32 v[6:7], s[14:15], v41, s36, 0
	v_add3_u32 v7, v7, v43, v42
	v_lshl_add_u64 v[4:5], v[4:5], 3, s[38:39]
	v_lshl_add_u64 v[6:7], v[6:7], 3, s[38:39]
	s_mov_b64 s[48:49], 0
	s_mov_b64 s[54:55], s[36:37]
                                        ; implicit-def: $sgpr50_sgpr51
                                        ; implicit-def: $sgpr52_sgpr53
                                        ; implicit-def: $sgpr14_sgpr15
                                        ; implicit-def: $sgpr56_sgpr57
	s_branch .LBB1605_1341
.LBB1605_1340:                          ;   in Loop: Header=BB1605_1341 Depth=1
	s_or_b64 exec, exec, s[60:61]
	s_and_b64 s[16:17], exec, s[52:53]
	s_or_b64 s[48:49], s[16:17], s[48:49]
	s_andn2_b64 s[16:17], s[56:57], exec
	s_and_b64 s[56:57], s[58:59], exec
	s_or_b64 s[56:57], s[16:17], s[56:57]
	s_andn2_b64 s[16:17], s[50:51], exec
	s_and_b64 s[50:51], s[14:15], exec
	s_or_b64 s[50:51], s[16:17], s[50:51]
	s_andn2_b64 exec, exec, s[48:49]
	s_cbranch_execz .LBB1605_1343
.LBB1605_1341:                          ; =>This Inner Loop Header: Depth=1
	global_load_dwordx2 v[42:43], v[4:5], off
	global_load_dwordx2 v[46:47], v[6:7], off
	s_andn2_b64 s[60:61], s[14:15], exec
	s_or_b64 s[52:53], s[52:53], exec
	s_waitcnt vmcnt(0)
	v_cmp_le_u64_e64 s[14:15], v[42:43], v[46:47]
	v_cmp_lt_u64_e32 vcc, v[42:43], v[46:47]
	s_and_b64 s[14:15], s[14:15], s[56:57]
	s_or_b64 s[58:59], vcc, s[14:15]
	s_and_b64 s[14:15], s[58:59], exec
	v_cmp_eq_u64_e64 s[16:17], v[42:43], v[46:47]
	s_or_b64 s[14:15], s[60:61], s[14:15]
	s_and_saveexec_b64 s[60:61], s[16:17]
	s_cbranch_execz .LBB1605_1340
; %bb.1342:                             ;   in Loop: Header=BB1605_1341 Depth=1
	s_add_u32 s54, s54, -1
	s_addc_u32 s55, s55, -1
	s_cmp_eq_u64 s[54:55], 0
	s_cselect_b64 s[16:17], -1, 0
	s_andn2_b64 s[52:53], s[52:53], exec
	s_and_b64 s[16:17], s[16:17], exec
	v_lshl_add_u64 v[4:5], v[4:5], 0, 8
	v_lshl_add_u64 v[6:7], v[6:7], 0, 8
	s_andn2_b64 s[14:15], s[14:15], exec
	s_or_b64 s[52:53], s[52:53], s[16:17]
                                        ; implicit-def: $sgpr56_sgpr57
	s_branch .LBB1605_1340
.LBB1605_1343:
	s_or_b64 exec, exec, s[48:49]
	s_xor_b64 s[14:15], s[50:51], -1
	s_branch .LBB1605_1345
.LBB1605_1344:
	s_mov_b64 s[14:15], -1
.LBB1605_1345:
	s_and_b64 s[14:15], s[14:15], exec
.LBB1605_1346:
	s_or_b64 exec, exec, s[44:45]
	s_orn2_b64 s[44:45], s[14:15], exec
.LBB1605_1347:
	s_or_b64 exec, exec, s[46:47]
	v_cndmask_b32_e64 v4, v44, v48, s[44:45]
	v_cndmask_b32_e64 v5, v25, v24, s[44:45]
	v_add_u32_e32 v6, 1, v4
	v_add_u32_e32 v4, -1, v5
	v_min_u32_e32 v4, v6, v4
	v_lshl_add_u32 v4, v4, 3, v33
	ds_read_b64 v[4:5], v4
	v_cndmask_b32_e64 v45, v6, v44, s[44:45]
	v_cndmask_b32_e64 v44, v48, v6, s[44:45]
	v_cmp_lt_u32_e32 vcc, v45, v25
	s_waitcnt lgkmcnt(0)
	v_cndmask_b32_e64 v42, v5, v8, s[44:45]
	v_cndmask_b32_e64 v43, v4, v40, s[44:45]
	;; [unrolled: 1-line block ×4, first 2 shown]
	s_and_saveexec_b64 s[46:47], vcc
	s_cbranch_execz .LBB1605_1358
; %bb.1348:
	v_cmp_lt_u32_e32 vcc, v44, v24
	s_mov_b64 s[14:15], 0
	s_and_saveexec_b64 s[30:31], vcc
	s_cbranch_execz .LBB1605_1357
; %bb.1349:
	s_andn2_b64 vcc, exec, s[42:43]
	s_cbranch_vccnz .LBB1605_1355
; %bb.1350:
	v_mul_lo_u32 v6, v42, s36
	v_mul_lo_u32 v7, v43, s37
	v_mad_u64_u32 v[4:5], s[14:15], v43, s36, 0
	v_add3_u32 v5, v5, v7, v6
	v_mul_lo_u32 v48, v46, s36
	v_mul_lo_u32 v49, v47, s37
	v_mad_u64_u32 v[6:7], s[14:15], v47, s36, 0
	v_add3_u32 v7, v7, v49, v48
	v_lshl_add_u64 v[4:5], v[4:5], 3, s[38:39]
	v_lshl_add_u64 v[6:7], v[6:7], 3, s[38:39]
	s_mov_b64 s[48:49], 0
	s_mov_b64 s[54:55], s[36:37]
                                        ; implicit-def: $sgpr50_sgpr51
                                        ; implicit-def: $sgpr52_sgpr53
                                        ; implicit-def: $sgpr14_sgpr15
                                        ; implicit-def: $sgpr56_sgpr57
	s_branch .LBB1605_1352
.LBB1605_1351:                          ;   in Loop: Header=BB1605_1352 Depth=1
	s_or_b64 exec, exec, s[60:61]
	s_and_b64 s[16:17], exec, s[52:53]
	s_or_b64 s[48:49], s[16:17], s[48:49]
	s_andn2_b64 s[16:17], s[56:57], exec
	s_and_b64 s[56:57], s[58:59], exec
	s_or_b64 s[56:57], s[16:17], s[56:57]
	s_andn2_b64 s[16:17], s[50:51], exec
	s_and_b64 s[50:51], s[14:15], exec
	s_or_b64 s[50:51], s[16:17], s[50:51]
	s_andn2_b64 exec, exec, s[48:49]
	s_cbranch_execz .LBB1605_1354
.LBB1605_1352:                          ; =>This Inner Loop Header: Depth=1
	global_load_dwordx2 v[48:49], v[4:5], off
	global_load_dwordx2 v[50:51], v[6:7], off
	s_andn2_b64 s[60:61], s[14:15], exec
	s_or_b64 s[52:53], s[52:53], exec
	s_waitcnt vmcnt(0)
	v_cmp_le_u64_e64 s[14:15], v[48:49], v[50:51]
	v_cmp_lt_u64_e32 vcc, v[48:49], v[50:51]
	s_and_b64 s[14:15], s[14:15], s[56:57]
	s_or_b64 s[58:59], vcc, s[14:15]
	s_and_b64 s[14:15], s[58:59], exec
	v_cmp_eq_u64_e64 s[16:17], v[48:49], v[50:51]
	s_or_b64 s[14:15], s[60:61], s[14:15]
	s_and_saveexec_b64 s[60:61], s[16:17]
	s_cbranch_execz .LBB1605_1351
; %bb.1353:                             ;   in Loop: Header=BB1605_1352 Depth=1
	s_add_u32 s54, s54, -1
	s_addc_u32 s55, s55, -1
	s_cmp_eq_u64 s[54:55], 0
	s_cselect_b64 s[16:17], -1, 0
	s_andn2_b64 s[52:53], s[52:53], exec
	s_and_b64 s[16:17], s[16:17], exec
	v_lshl_add_u64 v[4:5], v[4:5], 0, 8
	v_lshl_add_u64 v[6:7], v[6:7], 0, 8
	s_andn2_b64 s[14:15], s[14:15], exec
	s_or_b64 s[52:53], s[52:53], s[16:17]
                                        ; implicit-def: $sgpr56_sgpr57
	s_branch .LBB1605_1351
.LBB1605_1354:
	s_or_b64 exec, exec, s[48:49]
	s_xor_b64 s[14:15], s[50:51], -1
	s_branch .LBB1605_1356
.LBB1605_1355:
	s_mov_b64 s[14:15], -1
.LBB1605_1356:
	s_and_b64 s[14:15], s[14:15], exec
.LBB1605_1357:
	s_or_b64 exec, exec, s[30:31]
	s_orn2_b64 s[30:31], s[14:15], exec
.LBB1605_1358:
	s_or_b64 exec, exec, s[46:47]
	v_cndmask_b32_e64 v4, v45, v44, s[30:31]
	v_cndmask_b32_e64 v5, v25, v24, s[30:31]
	v_cndmask_b32_e64 v13, v12, v13, s[26:27]
	v_cndmask_b32_e64 v12, v34, v35, s[26:27]
	v_add_u32_e32 v34, 1, v4
	v_add_u32_e32 v4, -1, v5
	v_min_u32_e32 v4, v34, v4
	v_lshl_add_u32 v4, v4, 3, v33
	v_cndmask_b32_e64 v11, v10, v11, s[24:25]
	v_cndmask_b32_e64 v10, v17, v23, s[24:25]
	;; [unrolled: 1-line block ×4, first 2 shown]
	ds_read_b64 v[22:23], v4
	v_cndmask_b32_e64 v14, v2, v0, s[20:21]
	v_cndmask_b32_e64 v0, v34, v45, s[30:31]
	;; [unrolled: 1-line block ×9, first 2 shown]
	s_waitcnt lgkmcnt(0)
	v_cndmask_b32_e64 v5, v46, v23, s[30:31]
	v_cndmask_b32_e64 v4, v47, v22, s[30:31]
	v_cmp_lt_u32_e32 vcc, v0, v25
	s_and_saveexec_b64 s[20:21], vcc
	s_cbranch_execz .LBB1605_1368
; %bb.1359:
	v_cndmask_b32_e64 v0, v22, v43, s[30:31]
	v_cndmask_b32_e64 v22, v44, v34, s[30:31]
	;; [unrolled: 1-line block ×3, first 2 shown]
	v_cmp_lt_u32_e32 vcc, v22, v24
	s_and_saveexec_b64 s[22:23], vcc
	s_cbranch_execz .LBB1605_1367
; %bb.1360:
	s_andn2_b64 vcc, exec, s[42:43]
	s_cbranch_vccnz .LBB1605_1366
; %bb.1361:
	v_mul_lo_u32 v24, v1, s36
	v_mul_lo_u32 v25, v0, s37
	v_mad_u64_u32 v[22:23], s[14:15], v0, s36, 0
	v_add3_u32 v23, v23, v25, v24
	v_mul_lo_u32 v33, v5, s36
	v_mul_lo_u32 v34, v4, s37
	v_mad_u64_u32 v[24:25], s[14:15], v4, s36, 0
	v_add3_u32 v25, v25, v34, v33
	v_lshl_add_u64 v[22:23], v[22:23], 3, s[38:39]
	v_lshl_add_u64 v[24:25], v[24:25], 3, s[38:39]
	s_mov_b64 s[24:25], 0
	s_mov_b64 s[30:31], s[36:37]
                                        ; implicit-def: $sgpr26_sgpr27
                                        ; implicit-def: $sgpr28_sgpr29
                                        ; implicit-def: $sgpr14_sgpr15
                                        ; implicit-def: $sgpr44_sgpr45
	s_branch .LBB1605_1363
.LBB1605_1362:                          ;   in Loop: Header=BB1605_1363 Depth=1
	s_or_b64 exec, exec, s[48:49]
	s_and_b64 s[16:17], exec, s[28:29]
	s_or_b64 s[24:25], s[16:17], s[24:25]
	s_andn2_b64 s[16:17], s[44:45], exec
	s_and_b64 s[44:45], s[46:47], exec
	s_or_b64 s[44:45], s[16:17], s[44:45]
	s_andn2_b64 s[16:17], s[26:27], exec
	s_and_b64 s[26:27], s[14:15], exec
	s_or_b64 s[26:27], s[16:17], s[26:27]
	s_andn2_b64 exec, exec, s[24:25]
	s_cbranch_execz .LBB1605_1365
.LBB1605_1363:                          ; =>This Inner Loop Header: Depth=1
	global_load_dwordx2 v[34:35], v[22:23], off
	global_load_dwordx2 v[36:37], v[24:25], off
	s_andn2_b64 s[48:49], s[14:15], exec
	s_or_b64 s[28:29], s[28:29], exec
	s_waitcnt vmcnt(0)
	v_cmp_le_u64_e64 s[14:15], v[34:35], v[36:37]
	v_cmp_lt_u64_e32 vcc, v[34:35], v[36:37]
	s_and_b64 s[14:15], s[14:15], s[44:45]
	s_or_b64 s[46:47], vcc, s[14:15]
	s_and_b64 s[14:15], s[46:47], exec
	v_cmp_eq_u64_e64 s[16:17], v[34:35], v[36:37]
	s_or_b64 s[14:15], s[48:49], s[14:15]
	s_and_saveexec_b64 s[48:49], s[16:17]
	s_cbranch_execz .LBB1605_1362
; %bb.1364:                             ;   in Loop: Header=BB1605_1363 Depth=1
	s_add_u32 s30, s30, -1
	s_addc_u32 s31, s31, -1
	s_cmp_eq_u64 s[30:31], 0
	s_cselect_b64 s[16:17], -1, 0
	s_andn2_b64 s[28:29], s[28:29], exec
	s_and_b64 s[16:17], s[16:17], exec
	v_lshl_add_u64 v[22:23], v[22:23], 0, 8
	v_lshl_add_u64 v[24:25], v[24:25], 0, 8
	s_andn2_b64 s[14:15], s[14:15], exec
	s_or_b64 s[28:29], s[28:29], s[16:17]
                                        ; implicit-def: $sgpr44_sgpr45
	s_branch .LBB1605_1362
.LBB1605_1365:
	s_or_b64 exec, exec, s[24:25]
	v_cndmask_b32_e64 v5, v5, v1, s[26:27]
	v_cndmask_b32_e64 v4, v4, v0, s[26:27]
.LBB1605_1366:
	v_mov_b64_e32 v[0:1], v[4:5]
.LBB1605_1367:
	s_or_b64 exec, exec, s[22:23]
	v_mov_b64_e32 v[4:5], v[0:1]
.LBB1605_1368:
	s_or_b64 exec, exec, s[20:21]
.LBB1605_1369:
	s_or_b64 exec, exec, s[18:19]
	s_cmpk_lt_u32 s33, 0x81
	; wave barrier
	s_waitcnt lgkmcnt(0)
	s_barrier
	s_cbranch_scc1 .LBB1605_1473
; %bb.1370:
	v_cndmask_b32_e64 v0, 0, 1, s[42:43]
	v_lshlrev_b32_e32 v24, 3, v20
	s_lshl_b64 s[20:21], s[36:37], 3
	s_movk_i32 s66, 0x80
	v_cmp_ne_u32_e64 s[14:15], 1, v0
	s_branch .LBB1605_1376
.LBB1605_1371:                          ;   in Loop: Header=BB1605_1376 Depth=1
	s_or_b64 exec, exec, s[52:53]
	v_cndmask_b32_e64 v5, v5, v7, s[54:55]
	v_cndmask_b32_e64 v4, v4, v6, s[54:55]
.LBB1605_1372:                          ;   in Loop: Header=BB1605_1376 Depth=1
	v_mov_b64_e32 v[6:7], v[4:5]
.LBB1605_1373:                          ;   in Loop: Header=BB1605_1376 Depth=1
	s_or_b64 exec, exec, s[50:51]
	v_mov_b64_e32 v[4:5], v[6:7]
.LBB1605_1374:                          ;   in Loop: Header=BB1605_1376 Depth=1
	s_or_b64 exec, exec, s[48:49]
	v_cndmask_b32_e64 v9, v42, v44, s[46:47]
	v_cndmask_b32_e64 v8, v43, v45, s[46:47]
	;; [unrolled: 1-line block ×14, first 2 shown]
.LBB1605_1375:                          ;   in Loop: Header=BB1605_1376 Depth=1
	s_or_b64 exec, exec, s[22:23]
	s_cmp_lt_u32 s66, s33
	s_barrier
	s_cbranch_scc0 .LBB1605_1473
.LBB1605_1376:                          ; =>This Loop Header: Depth=1
                                        ;     Child Loop BB1605_1380 Depth 2
                                        ;       Child Loop BB1605_1383 Depth 3
                                        ;     Child Loop BB1605_1395 Depth 2
                                        ;     Child Loop BB1605_1405 Depth 2
	;; [unrolled: 1-line block ×8, first 2 shown]
	s_mov_b32 s16, s66
	s_lshl_b32 s66, s66, 1
	s_sub_i32 s18, 0, s66
	v_and_b32_e32 v36, s18, v20
	v_add_u32_e32 v0, s16, v36
	v_min_u32_e32 v25, s33, v0
	s_add_i32 s17, s66, -1
	v_add_u32_e32 v0, s16, v25
	v_min_u32_e32 v33, s33, v0
	v_and_b32_e32 v0, s17, v20
	v_min_u32_e32 v37, s33, v0
	v_sub_u32_e32 v0, v25, v36
	v_sub_u32_e32 v1, v33, v25
	v_sub_u32_e64 v35, v37, v1 clamp
	v_min_u32_e32 v38, v37, v0
	v_lshlrev_b32_e32 v34, 3, v36
	v_cmp_lt_u32_e32 vcc, v35, v38
	ds_write_b128 v24, v[14:17]
	ds_write_b128 v24, v[10:13] offset:16
	ds_write_b128 v24, v[6:9] offset:32
	;; [unrolled: 1-line block ×3, first 2 shown]
	s_waitcnt lgkmcnt(0)
	s_barrier
	s_and_saveexec_b64 s[22:23], vcc
	s_cbranch_execz .LBB1605_1386
; %bb.1377:                             ;   in Loop: Header=BB1605_1376 Depth=1
	v_lshlrev_b32_e32 v0, 3, v37
	v_lshl_add_u32 v39, v25, 3, v0
	s_mov_b64 s[24:25], 0
	s_branch .LBB1605_1380
.LBB1605_1378:                          ;   in Loop: Header=BB1605_1380 Depth=2
	s_or_b64 exec, exec, s[28:29]
.LBB1605_1379:                          ;   in Loop: Header=BB1605_1380 Depth=2
	v_add_u32_e32 v0, 1, v40
	v_cndmask_b32_e64 v38, v38, v40, s[26:27]
	v_cndmask_b32_e64 v35, v0, v35, s[26:27]
	v_cmp_ge_u32_e32 vcc, v35, v38
	s_or_b64 s[24:25], vcc, s[24:25]
	s_andn2_b64 exec, exec, s[24:25]
	s_cbranch_execz .LBB1605_1385
.LBB1605_1380:                          ;   Parent Loop BB1605_1376 Depth=1
                                        ; =>  This Loop Header: Depth=2
                                        ;       Child Loop BB1605_1383 Depth 3
	v_add_u32_e32 v0, v38, v35
	v_lshrrev_b32_e32 v40, 1, v0
	s_and_b64 vcc, exec, s[14:15]
	s_mov_b64 s[26:27], 0
	s_cbranch_vccnz .LBB1605_1379
; %bb.1381:                             ;   in Loop: Header=BB1605_1380 Depth=2
	v_not_b32_e32 v0, v40
	v_lshl_add_u32 v0, v0, 3, v39
	ds_read_b64 v[0:1], v0
	v_lshl_add_u32 v41, v40, 3, v34
	ds_read_b64 v[42:43], v41
	v_mov_b64_e32 v[22:23], s[38:39]
	s_mov_b64 s[28:29], 0
	s_waitcnt lgkmcnt(1)
	v_mul_lo_u32 v41, s20, v1
	v_mul_lo_u32 v44, s21, v0
	v_mad_u64_u32 v[0:1], s[16:17], s20, v0, v[22:23]
	v_add3_u32 v1, v44, v1, v41
	s_waitcnt lgkmcnt(0)
	v_mul_lo_u32 v41, s20, v43
	v_mul_lo_u32 v43, s21, v42
	v_mad_u64_u32 v[22:23], s[16:17], s20, v42, v[22:23]
	v_add3_u32 v23, v43, v23, v41
	s_mov_b64 s[42:43], s[36:37]
                                        ; implicit-def: $sgpr26_sgpr27
                                        ; implicit-def: $sgpr30_sgpr31
                                        ; implicit-def: $sgpr16_sgpr17
                                        ; implicit-def: $sgpr44_sgpr45
	s_branch .LBB1605_1383
.LBB1605_1382:                          ;   in Loop: Header=BB1605_1383 Depth=3
	s_or_b64 exec, exec, s[48:49]
	s_and_b64 s[18:19], exec, s[30:31]
	s_or_b64 s[28:29], s[18:19], s[28:29]
	s_andn2_b64 s[18:19], s[44:45], exec
	s_and_b64 s[44:45], s[46:47], exec
	s_or_b64 s[44:45], s[18:19], s[44:45]
	s_andn2_b64 s[18:19], s[26:27], exec
	s_and_b64 s[26:27], s[16:17], exec
	s_or_b64 s[26:27], s[18:19], s[26:27]
	s_andn2_b64 exec, exec, s[28:29]
	s_cbranch_execz .LBB1605_1378
.LBB1605_1383:                          ;   Parent Loop BB1605_1376 Depth=1
                                        ;     Parent Loop BB1605_1380 Depth=2
                                        ; =>    This Inner Loop Header: Depth=3
	global_load_dwordx2 v[42:43], v[0:1], off
	global_load_dwordx2 v[44:45], v[22:23], off
	s_andn2_b64 s[48:49], s[16:17], exec
	s_or_b64 s[30:31], s[30:31], exec
	s_waitcnt vmcnt(0)
	v_cmp_le_u64_e64 s[16:17], v[42:43], v[44:45]
	v_cmp_lt_u64_e32 vcc, v[42:43], v[44:45]
	s_and_b64 s[16:17], s[16:17], s[44:45]
	s_or_b64 s[46:47], vcc, s[16:17]
	s_and_b64 s[16:17], s[46:47], exec
	v_cmp_eq_u64_e64 s[18:19], v[42:43], v[44:45]
	s_or_b64 s[16:17], s[48:49], s[16:17]
	s_and_saveexec_b64 s[48:49], s[18:19]
	s_cbranch_execz .LBB1605_1382
; %bb.1384:                             ;   in Loop: Header=BB1605_1383 Depth=3
	s_add_u32 s42, s42, -1
	s_addc_u32 s43, s43, -1
	s_cmp_eq_u64 s[42:43], 0
	s_cselect_b64 s[18:19], -1, 0
	s_andn2_b64 s[30:31], s[30:31], exec
	s_and_b64 s[18:19], s[18:19], exec
	v_lshl_add_u64 v[0:1], v[0:1], 0, 8
	v_lshl_add_u64 v[22:23], v[22:23], 0, 8
	s_andn2_b64 s[16:17], s[16:17], exec
	s_or_b64 s[30:31], s[30:31], s[18:19]
                                        ; implicit-def: $sgpr44_sgpr45
	s_branch .LBB1605_1382
.LBB1605_1385:                          ;   in Loop: Header=BB1605_1376 Depth=1
	s_or_b64 exec, exec, s[24:25]
.LBB1605_1386:                          ;   in Loop: Header=BB1605_1376 Depth=1
	s_or_b64 exec, exec, s[22:23]
	v_sub_u32_e32 v0, v37, v35
	v_add_u32_e32 v23, v35, v36
	v_add_u32_e32 v36, v0, v25
	v_cmp_le_u32_e32 vcc, v23, v25
	v_cmp_le_u32_e64 s[16:17], v36, v33
	s_or_b64 s[16:17], vcc, s[16:17]
	s_and_saveexec_b64 s[22:23], s[16:17]
	s_cbranch_execz .LBB1605_1375
; %bb.1387:                             ;   in Loop: Header=BB1605_1376 Depth=1
	v_cmp_ge_u32_e32 vcc, v23, v25
	v_cmp_lt_u32_e64 s[16:17], v23, v25
                                        ; implicit-def: $vgpr0_vgpr1
	s_and_saveexec_b64 s[18:19], s[16:17]
; %bb.1388:                             ;   in Loop: Header=BB1605_1376 Depth=1
	v_lshl_add_u32 v0, v35, 3, v34
	ds_read_b64 v[0:1], v0
; %bb.1389:                             ;   in Loop: Header=BB1605_1376 Depth=1
	s_or_b64 exec, exec, s[18:19]
	v_cmp_ge_u32_e64 s[24:25], v36, v33
	v_cmp_lt_u32_e64 s[16:17], v36, v33
                                        ; implicit-def: $vgpr2_vgpr3
	s_and_saveexec_b64 s[18:19], s[16:17]
; %bb.1390:                             ;   in Loop: Header=BB1605_1376 Depth=1
	v_lshlrev_b32_e32 v2, 3, v36
	ds_read_b64 v[2:3], v2
; %bb.1391:                             ;   in Loop: Header=BB1605_1376 Depth=1
	s_or_b64 exec, exec, s[18:19]
	s_nor_b64 s[16:17], vcc, s[24:25]
	s_and_saveexec_b64 s[26:27], s[16:17]
	s_cbranch_execz .LBB1605_1400
; %bb.1392:                             ;   in Loop: Header=BB1605_1376 Depth=1
	s_and_b64 vcc, exec, s[14:15]
	s_cbranch_vccnz .LBB1605_1398
; %bb.1393:                             ;   in Loop: Header=BB1605_1376 Depth=1
	v_mov_b64_e32 v[6:7], s[38:39]
	s_waitcnt lgkmcnt(0)
	v_mad_u64_u32 v[4:5], s[16:17], s20, v2, v[6:7]
	v_mul_lo_u32 v8, s20, v3
	v_mul_lo_u32 v9, s21, v2
	v_add3_u32 v5, v9, v5, v8
	v_mad_u64_u32 v[6:7], s[16:17], s20, v0, v[6:7]
	v_mul_lo_u32 v8, s20, v1
	v_mul_lo_u32 v9, s21, v0
	v_add3_u32 v7, v9, v7, v8
	s_mov_b64 s[28:29], 0
	s_mov_b64 s[44:45], s[36:37]
                                        ; implicit-def: $sgpr30_sgpr31
                                        ; implicit-def: $sgpr42_sgpr43
                                        ; implicit-def: $sgpr16_sgpr17
                                        ; implicit-def: $sgpr46_sgpr47
	s_branch .LBB1605_1395
.LBB1605_1394:                          ;   in Loop: Header=BB1605_1395 Depth=2
	s_or_b64 exec, exec, s[50:51]
	s_and_b64 s[18:19], exec, s[42:43]
	s_or_b64 s[28:29], s[18:19], s[28:29]
	s_andn2_b64 s[18:19], s[46:47], exec
	s_and_b64 s[46:47], s[48:49], exec
	s_or_b64 s[46:47], s[18:19], s[46:47]
	s_andn2_b64 s[18:19], s[30:31], exec
	s_and_b64 s[30:31], s[16:17], exec
	s_or_b64 s[30:31], s[18:19], s[30:31]
	s_andn2_b64 exec, exec, s[28:29]
	s_cbranch_execz .LBB1605_1397
.LBB1605_1395:                          ;   Parent Loop BB1605_1376 Depth=1
                                        ; =>  This Inner Loop Header: Depth=2
	global_load_dwordx2 v[8:9], v[4:5], off
	global_load_dwordx2 v[10:11], v[6:7], off
	s_andn2_b64 s[50:51], s[16:17], exec
	s_or_b64 s[42:43], s[42:43], exec
	s_waitcnt vmcnt(0)
	v_cmp_le_u64_e64 s[16:17], v[8:9], v[10:11]
	v_cmp_lt_u64_e32 vcc, v[8:9], v[10:11]
	s_and_b64 s[16:17], s[16:17], s[46:47]
	s_or_b64 s[48:49], vcc, s[16:17]
	s_and_b64 s[16:17], s[48:49], exec
	v_cmp_eq_u64_e64 s[18:19], v[8:9], v[10:11]
	s_or_b64 s[16:17], s[50:51], s[16:17]
	s_and_saveexec_b64 s[50:51], s[18:19]
	s_cbranch_execz .LBB1605_1394
; %bb.1396:                             ;   in Loop: Header=BB1605_1395 Depth=2
	s_add_u32 s44, s44, -1
	s_addc_u32 s45, s45, -1
	s_cmp_eq_u64 s[44:45], 0
	s_cselect_b64 s[18:19], -1, 0
	s_andn2_b64 s[42:43], s[42:43], exec
	s_and_b64 s[18:19], s[18:19], exec
	v_lshl_add_u64 v[4:5], v[4:5], 0, 8
	v_lshl_add_u64 v[6:7], v[6:7], 0, 8
	s_andn2_b64 s[16:17], s[16:17], exec
	s_or_b64 s[42:43], s[42:43], s[18:19]
                                        ; implicit-def: $sgpr46_sgpr47
	s_branch .LBB1605_1394
.LBB1605_1397:                          ;   in Loop: Header=BB1605_1376 Depth=1
	s_or_b64 exec, exec, s[28:29]
	s_xor_b64 s[16:17], s[30:31], -1
	s_branch .LBB1605_1399
.LBB1605_1398:                          ;   in Loop: Header=BB1605_1376 Depth=1
	s_mov_b64 s[16:17], -1
.LBB1605_1399:                          ;   in Loop: Header=BB1605_1376 Depth=1
	s_andn2_b64 s[18:19], s[24:25], exec
	s_and_b64 s[16:17], s[16:17], exec
	s_or_b64 s[24:25], s[18:19], s[16:17]
.LBB1605_1400:                          ;   in Loop: Header=BB1605_1376 Depth=1
	s_or_b64 exec, exec, s[26:27]
	v_cndmask_b32_e64 v4, v36, v23, s[24:25]
	v_cndmask_b32_e64 v5, v33, v25, s[24:25]
	v_add_u32_e32 v6, 1, v4
	v_add_u32_e32 v4, -1, v5
	v_min_u32_e32 v4, v6, v4
	v_lshlrev_b32_e32 v4, 3, v4
	ds_read_b64 v[4:5], v4
	v_cndmask_b32_e64 v8, v6, v36, s[24:25]
	v_cndmask_b32_e64 v9, v23, v6, s[24:25]
	v_cmp_lt_u32_e32 vcc, v8, v33
	s_mov_b64 s[28:29], -1
	s_waitcnt lgkmcnt(0)
	v_cndmask_b32_e64 v14, v5, v3, s[24:25]
	v_cndmask_b32_e64 v15, v4, v2, s[24:25]
	;; [unrolled: 1-line block ×4, first 2 shown]
	s_mov_b64 s[26:27], -1
	s_and_saveexec_b64 s[30:31], vcc
	s_cbranch_execz .LBB1605_1411
; %bb.1401:                             ;   in Loop: Header=BB1605_1376 Depth=1
	v_cmp_lt_u32_e32 vcc, v9, v25
	s_mov_b64 s[16:17], 0
	s_and_saveexec_b64 s[26:27], vcc
	s_cbranch_execz .LBB1605_1410
; %bb.1402:                             ;   in Loop: Header=BB1605_1376 Depth=1
	s_and_b64 vcc, exec, s[14:15]
	s_cbranch_vccnz .LBB1605_1408
; %bb.1403:                             ;   in Loop: Header=BB1605_1376 Depth=1
	v_mov_b64_e32 v[6:7], s[38:39]
	v_mad_u64_u32 v[4:5], s[16:17], s20, v15, v[6:7]
	v_mul_lo_u32 v10, s20, v14
	v_mul_lo_u32 v11, s21, v15
	v_add3_u32 v5, v11, v5, v10
	v_mad_u64_u32 v[6:7], s[16:17], s20, v22, v[6:7]
	v_mul_lo_u32 v10, s20, v16
	v_mul_lo_u32 v11, s21, v22
	v_add3_u32 v7, v11, v7, v10
	s_mov_b64 s[42:43], 0
	s_mov_b64 s[48:49], s[36:37]
                                        ; implicit-def: $sgpr44_sgpr45
                                        ; implicit-def: $sgpr46_sgpr47
                                        ; implicit-def: $sgpr16_sgpr17
                                        ; implicit-def: $sgpr50_sgpr51
	s_branch .LBB1605_1405
.LBB1605_1404:                          ;   in Loop: Header=BB1605_1405 Depth=2
	s_or_b64 exec, exec, s[54:55]
	s_and_b64 s[18:19], exec, s[46:47]
	s_or_b64 s[42:43], s[18:19], s[42:43]
	s_andn2_b64 s[18:19], s[50:51], exec
	s_and_b64 s[50:51], s[52:53], exec
	s_or_b64 s[50:51], s[18:19], s[50:51]
	s_andn2_b64 s[18:19], s[44:45], exec
	s_and_b64 s[44:45], s[16:17], exec
	s_or_b64 s[44:45], s[18:19], s[44:45]
	s_andn2_b64 exec, exec, s[42:43]
	s_cbranch_execz .LBB1605_1407
.LBB1605_1405:                          ;   Parent Loop BB1605_1376 Depth=1
                                        ; =>  This Inner Loop Header: Depth=2
	global_load_dwordx2 v[10:11], v[4:5], off
	global_load_dwordx2 v[12:13], v[6:7], off
	s_andn2_b64 s[54:55], s[16:17], exec
	s_or_b64 s[46:47], s[46:47], exec
	s_waitcnt vmcnt(0)
	v_cmp_le_u64_e64 s[16:17], v[10:11], v[12:13]
	v_cmp_lt_u64_e32 vcc, v[10:11], v[12:13]
	s_and_b64 s[16:17], s[16:17], s[50:51]
	s_or_b64 s[52:53], vcc, s[16:17]
	s_and_b64 s[16:17], s[52:53], exec
	v_cmp_eq_u64_e64 s[18:19], v[10:11], v[12:13]
	s_or_b64 s[16:17], s[54:55], s[16:17]
	s_and_saveexec_b64 s[54:55], s[18:19]
	s_cbranch_execz .LBB1605_1404
; %bb.1406:                             ;   in Loop: Header=BB1605_1405 Depth=2
	s_add_u32 s48, s48, -1
	s_addc_u32 s49, s49, -1
	s_cmp_eq_u64 s[48:49], 0
	s_cselect_b64 s[18:19], -1, 0
	s_andn2_b64 s[46:47], s[46:47], exec
	s_and_b64 s[18:19], s[18:19], exec
	v_lshl_add_u64 v[4:5], v[4:5], 0, 8
	v_lshl_add_u64 v[6:7], v[6:7], 0, 8
	s_andn2_b64 s[16:17], s[16:17], exec
	s_or_b64 s[46:47], s[46:47], s[18:19]
                                        ; implicit-def: $sgpr50_sgpr51
	s_branch .LBB1605_1404
.LBB1605_1407:                          ;   in Loop: Header=BB1605_1376 Depth=1
	s_or_b64 exec, exec, s[42:43]
	s_xor_b64 s[16:17], s[44:45], -1
	s_branch .LBB1605_1409
.LBB1605_1408:                          ;   in Loop: Header=BB1605_1376 Depth=1
	s_mov_b64 s[16:17], -1
.LBB1605_1409:                          ;   in Loop: Header=BB1605_1376 Depth=1
	s_and_b64 s[16:17], s[16:17], exec
.LBB1605_1410:                          ;   in Loop: Header=BB1605_1376 Depth=1
	s_or_b64 exec, exec, s[26:27]
	s_orn2_b64 s[26:27], s[16:17], exec
.LBB1605_1411:                          ;   in Loop: Header=BB1605_1376 Depth=1
	s_or_b64 exec, exec, s[30:31]
	v_cndmask_b32_e64 v4, v8, v9, s[26:27]
	v_cndmask_b32_e64 v5, v33, v25, s[26:27]
	v_add_u32_e32 v6, 1, v4
	v_add_u32_e32 v4, -1, v5
	v_min_u32_e32 v4, v6, v4
	v_lshlrev_b32_e32 v4, 3, v4
	ds_read_b64 v[4:5], v4
	v_cndmask_b32_e64 v8, v6, v8, s[26:27]
	v_cndmask_b32_e64 v9, v9, v6, s[26:27]
	v_cmp_lt_u32_e32 vcc, v8, v33
	s_waitcnt lgkmcnt(0)
	v_cndmask_b32_e64 v17, v5, v14, s[26:27]
	v_cndmask_b32_e64 v23, v4, v15, s[26:27]
	;; [unrolled: 1-line block ×4, first 2 shown]
	s_and_saveexec_b64 s[30:31], vcc
	s_cbranch_execz .LBB1605_1422
; %bb.1412:                             ;   in Loop: Header=BB1605_1376 Depth=1
	v_cmp_lt_u32_e32 vcc, v9, v25
	s_mov_b64 s[16:17], 0
	s_and_saveexec_b64 s[28:29], vcc
	s_cbranch_execz .LBB1605_1421
; %bb.1413:                             ;   in Loop: Header=BB1605_1376 Depth=1
	s_and_b64 vcc, exec, s[14:15]
	s_cbranch_vccnz .LBB1605_1419
; %bb.1414:                             ;   in Loop: Header=BB1605_1376 Depth=1
	v_mov_b64_e32 v[6:7], s[38:39]
	v_mad_u64_u32 v[4:5], s[16:17], s20, v23, v[6:7]
	v_mul_lo_u32 v10, s20, v17
	v_mul_lo_u32 v11, s21, v23
	v_add3_u32 v5, v11, v5, v10
	v_mad_u64_u32 v[6:7], s[16:17], s20, v35, v[6:7]
	v_mul_lo_u32 v10, s20, v34
	v_mul_lo_u32 v11, s21, v35
	v_add3_u32 v7, v11, v7, v10
	s_mov_b64 s[42:43], 0
	s_mov_b64 s[48:49], s[36:37]
                                        ; implicit-def: $sgpr44_sgpr45
                                        ; implicit-def: $sgpr46_sgpr47
                                        ; implicit-def: $sgpr16_sgpr17
                                        ; implicit-def: $sgpr50_sgpr51
	s_branch .LBB1605_1416
.LBB1605_1415:                          ;   in Loop: Header=BB1605_1416 Depth=2
	s_or_b64 exec, exec, s[54:55]
	s_and_b64 s[18:19], exec, s[46:47]
	s_or_b64 s[42:43], s[18:19], s[42:43]
	s_andn2_b64 s[18:19], s[50:51], exec
	s_and_b64 s[50:51], s[52:53], exec
	s_or_b64 s[50:51], s[18:19], s[50:51]
	s_andn2_b64 s[18:19], s[44:45], exec
	s_and_b64 s[44:45], s[16:17], exec
	s_or_b64 s[44:45], s[18:19], s[44:45]
	s_andn2_b64 exec, exec, s[42:43]
	s_cbranch_execz .LBB1605_1418
.LBB1605_1416:                          ;   Parent Loop BB1605_1376 Depth=1
                                        ; =>  This Inner Loop Header: Depth=2
	global_load_dwordx2 v[10:11], v[4:5], off
	global_load_dwordx2 v[12:13], v[6:7], off
	s_andn2_b64 s[54:55], s[16:17], exec
	s_or_b64 s[46:47], s[46:47], exec
	s_waitcnt vmcnt(0)
	v_cmp_le_u64_e64 s[16:17], v[10:11], v[12:13]
	v_cmp_lt_u64_e32 vcc, v[10:11], v[12:13]
	s_and_b64 s[16:17], s[16:17], s[50:51]
	s_or_b64 s[52:53], vcc, s[16:17]
	s_and_b64 s[16:17], s[52:53], exec
	v_cmp_eq_u64_e64 s[18:19], v[10:11], v[12:13]
	s_or_b64 s[16:17], s[54:55], s[16:17]
	s_and_saveexec_b64 s[54:55], s[18:19]
	s_cbranch_execz .LBB1605_1415
; %bb.1417:                             ;   in Loop: Header=BB1605_1416 Depth=2
	s_add_u32 s48, s48, -1
	s_addc_u32 s49, s49, -1
	s_cmp_eq_u64 s[48:49], 0
	s_cselect_b64 s[18:19], -1, 0
	s_andn2_b64 s[46:47], s[46:47], exec
	s_and_b64 s[18:19], s[18:19], exec
	v_lshl_add_u64 v[4:5], v[4:5], 0, 8
	v_lshl_add_u64 v[6:7], v[6:7], 0, 8
	s_andn2_b64 s[16:17], s[16:17], exec
	s_or_b64 s[46:47], s[46:47], s[18:19]
                                        ; implicit-def: $sgpr50_sgpr51
	s_branch .LBB1605_1415
.LBB1605_1418:                          ;   in Loop: Header=BB1605_1376 Depth=1
	s_or_b64 exec, exec, s[42:43]
	s_xor_b64 s[16:17], s[44:45], -1
	s_branch .LBB1605_1420
.LBB1605_1419:                          ;   in Loop: Header=BB1605_1376 Depth=1
	s_mov_b64 s[16:17], -1
.LBB1605_1420:                          ;   in Loop: Header=BB1605_1376 Depth=1
	s_and_b64 s[16:17], s[16:17], exec
.LBB1605_1421:                          ;   in Loop: Header=BB1605_1376 Depth=1
	s_or_b64 exec, exec, s[28:29]
	s_orn2_b64 s[28:29], s[16:17], exec
.LBB1605_1422:                          ;   in Loop: Header=BB1605_1376 Depth=1
	s_or_b64 exec, exec, s[30:31]
	v_cndmask_b32_e64 v4, v8, v9, s[28:29]
	v_cndmask_b32_e64 v5, v33, v25, s[28:29]
	v_add_u32_e32 v6, 1, v4
	v_add_u32_e32 v4, -1, v5
	v_min_u32_e32 v4, v6, v4
	v_lshlrev_b32_e32 v4, 3, v4
	ds_read_b64 v[4:5], v4
	v_cndmask_b32_e64 v8, v6, v8, s[28:29]
	v_cndmask_b32_e64 v9, v9, v6, s[28:29]
	v_cmp_lt_u32_e32 vcc, v8, v33
	s_mov_b64 s[42:43], -1
	s_waitcnt lgkmcnt(0)
	v_cndmask_b32_e64 v12, v5, v17, s[28:29]
	v_cndmask_b32_e64 v36, v4, v23, s[28:29]
	;; [unrolled: 1-line block ×4, first 2 shown]
	s_mov_b64 s[30:31], -1
	s_and_saveexec_b64 s[44:45], vcc
	s_cbranch_execz .LBB1605_1433
; %bb.1423:                             ;   in Loop: Header=BB1605_1376 Depth=1
	v_cmp_lt_u32_e32 vcc, v9, v25
	s_mov_b64 s[16:17], 0
	s_and_saveexec_b64 s[30:31], vcc
	s_cbranch_execz .LBB1605_1432
; %bb.1424:                             ;   in Loop: Header=BB1605_1376 Depth=1
	s_and_b64 vcc, exec, s[14:15]
	s_cbranch_vccnz .LBB1605_1430
; %bb.1425:                             ;   in Loop: Header=BB1605_1376 Depth=1
	v_mov_b64_e32 v[6:7], s[38:39]
	v_mad_u64_u32 v[4:5], s[16:17], s20, v36, v[6:7]
	v_mul_lo_u32 v10, s20, v12
	v_mul_lo_u32 v11, s21, v36
	v_add3_u32 v5, v11, v5, v10
	v_mad_u64_u32 v[6:7], s[16:17], s20, v37, v[6:7]
	v_mul_lo_u32 v10, s20, v13
	v_mul_lo_u32 v11, s21, v37
	v_add3_u32 v7, v11, v7, v10
	s_mov_b64 s[46:47], 0
	s_mov_b64 s[52:53], s[36:37]
                                        ; implicit-def: $sgpr48_sgpr49
                                        ; implicit-def: $sgpr50_sgpr51
                                        ; implicit-def: $sgpr16_sgpr17
                                        ; implicit-def: $sgpr54_sgpr55
	s_branch .LBB1605_1427
.LBB1605_1426:                          ;   in Loop: Header=BB1605_1427 Depth=2
	s_or_b64 exec, exec, s[58:59]
	s_and_b64 s[18:19], exec, s[50:51]
	s_or_b64 s[46:47], s[18:19], s[46:47]
	s_andn2_b64 s[18:19], s[54:55], exec
	s_and_b64 s[54:55], s[56:57], exec
	s_or_b64 s[54:55], s[18:19], s[54:55]
	s_andn2_b64 s[18:19], s[48:49], exec
	s_and_b64 s[48:49], s[16:17], exec
	s_or_b64 s[48:49], s[18:19], s[48:49]
	s_andn2_b64 exec, exec, s[46:47]
	s_cbranch_execz .LBB1605_1429
.LBB1605_1427:                          ;   Parent Loop BB1605_1376 Depth=1
                                        ; =>  This Inner Loop Header: Depth=2
	global_load_dwordx2 v[10:11], v[4:5], off
	global_load_dwordx2 v[38:39], v[6:7], off
	s_andn2_b64 s[58:59], s[16:17], exec
	s_or_b64 s[50:51], s[50:51], exec
	s_waitcnt vmcnt(0)
	v_cmp_le_u64_e64 s[16:17], v[10:11], v[38:39]
	v_cmp_lt_u64_e32 vcc, v[10:11], v[38:39]
	s_and_b64 s[16:17], s[16:17], s[54:55]
	s_or_b64 s[56:57], vcc, s[16:17]
	s_and_b64 s[16:17], s[56:57], exec
	v_cmp_eq_u64_e64 s[18:19], v[10:11], v[38:39]
	s_or_b64 s[16:17], s[58:59], s[16:17]
	s_and_saveexec_b64 s[58:59], s[18:19]
	s_cbranch_execz .LBB1605_1426
; %bb.1428:                             ;   in Loop: Header=BB1605_1427 Depth=2
	s_add_u32 s52, s52, -1
	s_addc_u32 s53, s53, -1
	s_cmp_eq_u64 s[52:53], 0
	s_cselect_b64 s[18:19], -1, 0
	s_andn2_b64 s[50:51], s[50:51], exec
	s_and_b64 s[18:19], s[18:19], exec
	v_lshl_add_u64 v[4:5], v[4:5], 0, 8
	v_lshl_add_u64 v[6:7], v[6:7], 0, 8
	s_andn2_b64 s[16:17], s[16:17], exec
	s_or_b64 s[50:51], s[50:51], s[18:19]
                                        ; implicit-def: $sgpr54_sgpr55
	s_branch .LBB1605_1426
.LBB1605_1429:                          ;   in Loop: Header=BB1605_1376 Depth=1
	s_or_b64 exec, exec, s[46:47]
	s_xor_b64 s[16:17], s[48:49], -1
	s_branch .LBB1605_1431
.LBB1605_1430:                          ;   in Loop: Header=BB1605_1376 Depth=1
	s_mov_b64 s[16:17], -1
.LBB1605_1431:                          ;   in Loop: Header=BB1605_1376 Depth=1
	s_and_b64 s[16:17], s[16:17], exec
.LBB1605_1432:                          ;   in Loop: Header=BB1605_1376 Depth=1
	s_or_b64 exec, exec, s[30:31]
	s_orn2_b64 s[30:31], s[16:17], exec
.LBB1605_1433:                          ;   in Loop: Header=BB1605_1376 Depth=1
	s_or_b64 exec, exec, s[44:45]
	v_cndmask_b32_e64 v4, v8, v9, s[30:31]
	v_cndmask_b32_e64 v5, v33, v25, s[30:31]
	v_add_u32_e32 v6, 1, v4
	v_add_u32_e32 v4, -1, v5
	v_min_u32_e32 v4, v6, v4
	v_lshlrev_b32_e32 v4, 3, v4
	ds_read_b64 v[4:5], v4
	v_cndmask_b32_e64 v8, v6, v8, s[30:31]
	v_cndmask_b32_e64 v9, v9, v6, s[30:31]
	v_cmp_lt_u32_e32 vcc, v8, v33
	s_waitcnt lgkmcnt(0)
	v_cndmask_b32_e64 v38, v5, v12, s[30:31]
	v_cndmask_b32_e64 v39, v4, v36, s[30:31]
	;; [unrolled: 1-line block ×4, first 2 shown]
	s_and_saveexec_b64 s[44:45], vcc
	s_cbranch_execz .LBB1605_1444
; %bb.1434:                             ;   in Loop: Header=BB1605_1376 Depth=1
	v_cmp_lt_u32_e32 vcc, v9, v25
	s_mov_b64 s[16:17], 0
	s_and_saveexec_b64 s[42:43], vcc
	s_cbranch_execz .LBB1605_1443
; %bb.1435:                             ;   in Loop: Header=BB1605_1376 Depth=1
	s_and_b64 vcc, exec, s[14:15]
	s_cbranch_vccnz .LBB1605_1441
; %bb.1436:                             ;   in Loop: Header=BB1605_1376 Depth=1
	v_mov_b64_e32 v[6:7], s[38:39]
	v_mad_u64_u32 v[4:5], s[16:17], s20, v39, v[6:7]
	v_mul_lo_u32 v10, s20, v38
	v_mul_lo_u32 v11, s21, v39
	v_add3_u32 v5, v11, v5, v10
	v_mad_u64_u32 v[6:7], s[16:17], s20, v41, v[6:7]
	v_mul_lo_u32 v10, s20, v40
	v_mul_lo_u32 v11, s21, v41
	v_add3_u32 v7, v11, v7, v10
	s_mov_b64 s[46:47], 0
	s_mov_b64 s[52:53], s[36:37]
                                        ; implicit-def: $sgpr48_sgpr49
                                        ; implicit-def: $sgpr50_sgpr51
                                        ; implicit-def: $sgpr16_sgpr17
                                        ; implicit-def: $sgpr54_sgpr55
	s_branch .LBB1605_1438
.LBB1605_1437:                          ;   in Loop: Header=BB1605_1438 Depth=2
	s_or_b64 exec, exec, s[58:59]
	s_and_b64 s[18:19], exec, s[50:51]
	s_or_b64 s[46:47], s[18:19], s[46:47]
	s_andn2_b64 s[18:19], s[54:55], exec
	s_and_b64 s[54:55], s[56:57], exec
	s_or_b64 s[54:55], s[18:19], s[54:55]
	s_andn2_b64 s[18:19], s[48:49], exec
	s_and_b64 s[48:49], s[16:17], exec
	s_or_b64 s[48:49], s[18:19], s[48:49]
	s_andn2_b64 exec, exec, s[46:47]
	s_cbranch_execz .LBB1605_1440
.LBB1605_1438:                          ;   Parent Loop BB1605_1376 Depth=1
                                        ; =>  This Inner Loop Header: Depth=2
	global_load_dwordx2 v[10:11], v[4:5], off
	global_load_dwordx2 v[42:43], v[6:7], off
	s_andn2_b64 s[58:59], s[16:17], exec
	s_or_b64 s[50:51], s[50:51], exec
	s_waitcnt vmcnt(0)
	v_cmp_le_u64_e64 s[16:17], v[10:11], v[42:43]
	v_cmp_lt_u64_e32 vcc, v[10:11], v[42:43]
	s_and_b64 s[16:17], s[16:17], s[54:55]
	s_or_b64 s[56:57], vcc, s[16:17]
	s_and_b64 s[16:17], s[56:57], exec
	v_cmp_eq_u64_e64 s[18:19], v[10:11], v[42:43]
	s_or_b64 s[16:17], s[58:59], s[16:17]
	s_and_saveexec_b64 s[58:59], s[18:19]
	s_cbranch_execz .LBB1605_1437
; %bb.1439:                             ;   in Loop: Header=BB1605_1438 Depth=2
	s_add_u32 s52, s52, -1
	s_addc_u32 s53, s53, -1
	s_cmp_eq_u64 s[52:53], 0
	s_cselect_b64 s[18:19], -1, 0
	s_andn2_b64 s[50:51], s[50:51], exec
	s_and_b64 s[18:19], s[18:19], exec
	v_lshl_add_u64 v[4:5], v[4:5], 0, 8
	v_lshl_add_u64 v[6:7], v[6:7], 0, 8
	s_andn2_b64 s[16:17], s[16:17], exec
	s_or_b64 s[50:51], s[50:51], s[18:19]
                                        ; implicit-def: $sgpr54_sgpr55
	s_branch .LBB1605_1437
.LBB1605_1440:                          ;   in Loop: Header=BB1605_1376 Depth=1
	s_or_b64 exec, exec, s[46:47]
	s_xor_b64 s[16:17], s[48:49], -1
	s_branch .LBB1605_1442
.LBB1605_1441:                          ;   in Loop: Header=BB1605_1376 Depth=1
	s_mov_b64 s[16:17], -1
.LBB1605_1442:                          ;   in Loop: Header=BB1605_1376 Depth=1
	s_and_b64 s[16:17], s[16:17], exec
.LBB1605_1443:                          ;   in Loop: Header=BB1605_1376 Depth=1
	s_or_b64 exec, exec, s[42:43]
	s_orn2_b64 s[42:43], s[16:17], exec
.LBB1605_1444:                          ;   in Loop: Header=BB1605_1376 Depth=1
	s_or_b64 exec, exec, s[44:45]
	v_cndmask_b32_e64 v4, v8, v9, s[42:43]
	v_cndmask_b32_e64 v5, v33, v25, s[42:43]
	v_add_u32_e32 v6, 1, v4
	v_add_u32_e32 v4, -1, v5
	v_min_u32_e32 v4, v6, v4
	v_lshlrev_b32_e32 v4, 3, v4
	ds_read_b64 v[4:5], v4
	v_cndmask_b32_e64 v8, v6, v8, s[42:43]
	v_cndmask_b32_e64 v9, v9, v6, s[42:43]
	v_cmp_lt_u32_e32 vcc, v8, v33
	s_mov_b64 s[44:45], -1
	s_waitcnt lgkmcnt(0)
	v_cndmask_b32_e64 v42, v5, v38, s[42:43]
	v_cndmask_b32_e64 v43, v4, v39, s[42:43]
	;; [unrolled: 1-line block ×4, first 2 shown]
	s_mov_b64 s[46:47], -1
	s_and_saveexec_b64 s[48:49], vcc
	s_cbranch_execz .LBB1605_1455
; %bb.1445:                             ;   in Loop: Header=BB1605_1376 Depth=1
	v_cmp_lt_u32_e32 vcc, v9, v25
	s_mov_b64 s[16:17], 0
	s_and_saveexec_b64 s[46:47], vcc
	s_cbranch_execz .LBB1605_1454
; %bb.1446:                             ;   in Loop: Header=BB1605_1376 Depth=1
	s_and_b64 vcc, exec, s[14:15]
	s_cbranch_vccnz .LBB1605_1452
; %bb.1447:                             ;   in Loop: Header=BB1605_1376 Depth=1
	v_mov_b64_e32 v[6:7], s[38:39]
	v_mad_u64_u32 v[4:5], s[16:17], s20, v43, v[6:7]
	v_mul_lo_u32 v10, s20, v42
	v_mul_lo_u32 v11, s21, v43
	v_add3_u32 v5, v11, v5, v10
	v_mad_u64_u32 v[6:7], s[16:17], s20, v45, v[6:7]
	v_mul_lo_u32 v10, s20, v44
	v_mul_lo_u32 v11, s21, v45
	v_add3_u32 v7, v11, v7, v10
	s_mov_b64 s[50:51], 0
	s_mov_b64 s[56:57], s[36:37]
                                        ; implicit-def: $sgpr52_sgpr53
                                        ; implicit-def: $sgpr54_sgpr55
                                        ; implicit-def: $sgpr16_sgpr17
                                        ; implicit-def: $sgpr58_sgpr59
	s_branch .LBB1605_1449
.LBB1605_1448:                          ;   in Loop: Header=BB1605_1449 Depth=2
	s_or_b64 exec, exec, s[62:63]
	s_and_b64 s[18:19], exec, s[54:55]
	s_or_b64 s[50:51], s[18:19], s[50:51]
	s_andn2_b64 s[18:19], s[58:59], exec
	s_and_b64 s[58:59], s[60:61], exec
	s_or_b64 s[58:59], s[18:19], s[58:59]
	s_andn2_b64 s[18:19], s[52:53], exec
	s_and_b64 s[52:53], s[16:17], exec
	s_or_b64 s[52:53], s[18:19], s[52:53]
	s_andn2_b64 exec, exec, s[50:51]
	s_cbranch_execz .LBB1605_1451
.LBB1605_1449:                          ;   Parent Loop BB1605_1376 Depth=1
                                        ; =>  This Inner Loop Header: Depth=2
	global_load_dwordx2 v[10:11], v[4:5], off
	global_load_dwordx2 v[46:47], v[6:7], off
	s_andn2_b64 s[62:63], s[16:17], exec
	s_or_b64 s[54:55], s[54:55], exec
	s_waitcnt vmcnt(0)
	v_cmp_le_u64_e64 s[16:17], v[10:11], v[46:47]
	v_cmp_lt_u64_e32 vcc, v[10:11], v[46:47]
	s_and_b64 s[16:17], s[16:17], s[58:59]
	s_or_b64 s[60:61], vcc, s[16:17]
	s_and_b64 s[16:17], s[60:61], exec
	v_cmp_eq_u64_e64 s[18:19], v[10:11], v[46:47]
	s_or_b64 s[16:17], s[62:63], s[16:17]
	s_and_saveexec_b64 s[62:63], s[18:19]
	s_cbranch_execz .LBB1605_1448
; %bb.1450:                             ;   in Loop: Header=BB1605_1449 Depth=2
	s_add_u32 s56, s56, -1
	s_addc_u32 s57, s57, -1
	s_cmp_eq_u64 s[56:57], 0
	s_cselect_b64 s[18:19], -1, 0
	s_andn2_b64 s[54:55], s[54:55], exec
	s_and_b64 s[18:19], s[18:19], exec
	v_lshl_add_u64 v[4:5], v[4:5], 0, 8
	v_lshl_add_u64 v[6:7], v[6:7], 0, 8
	s_andn2_b64 s[16:17], s[16:17], exec
	s_or_b64 s[54:55], s[54:55], s[18:19]
                                        ; implicit-def: $sgpr58_sgpr59
	s_branch .LBB1605_1448
.LBB1605_1451:                          ;   in Loop: Header=BB1605_1376 Depth=1
	s_or_b64 exec, exec, s[50:51]
	s_xor_b64 s[16:17], s[52:53], -1
	s_branch .LBB1605_1453
.LBB1605_1452:                          ;   in Loop: Header=BB1605_1376 Depth=1
	s_mov_b64 s[16:17], -1
.LBB1605_1453:                          ;   in Loop: Header=BB1605_1376 Depth=1
	s_and_b64 s[16:17], s[16:17], exec
.LBB1605_1454:                          ;   in Loop: Header=BB1605_1376 Depth=1
	s_or_b64 exec, exec, s[46:47]
	s_orn2_b64 s[46:47], s[16:17], exec
.LBB1605_1455:                          ;   in Loop: Header=BB1605_1376 Depth=1
	s_or_b64 exec, exec, s[48:49]
	v_cndmask_b32_e64 v4, v8, v9, s[46:47]
	v_cndmask_b32_e64 v5, v33, v25, s[46:47]
	v_add_u32_e32 v6, 1, v4
	v_add_u32_e32 v4, -1, v5
	v_min_u32_e32 v4, v6, v4
	v_lshlrev_b32_e32 v4, 3, v4
	ds_read_b64 v[4:5], v4
	v_cndmask_b32_e64 v10, v6, v8, s[46:47]
	v_cndmask_b32_e64 v8, v9, v6, s[46:47]
	v_cmp_lt_u32_e32 vcc, v10, v33
	s_waitcnt lgkmcnt(0)
	v_cndmask_b32_e64 v46, v5, v42, s[46:47]
	v_cndmask_b32_e64 v47, v4, v43, s[46:47]
	v_cndmask_b32_e64 v48, v44, v5, s[46:47]
	v_cndmask_b32_e64 v49, v45, v4, s[46:47]
	s_and_saveexec_b64 s[48:49], vcc
	s_cbranch_execz .LBB1605_1466
; %bb.1456:                             ;   in Loop: Header=BB1605_1376 Depth=1
	v_cmp_lt_u32_e32 vcc, v8, v25
	s_mov_b64 s[16:17], 0
	s_and_saveexec_b64 s[44:45], vcc
	s_cbranch_execz .LBB1605_1465
; %bb.1457:                             ;   in Loop: Header=BB1605_1376 Depth=1
	s_and_b64 vcc, exec, s[14:15]
	s_cbranch_vccnz .LBB1605_1463
; %bb.1458:                             ;   in Loop: Header=BB1605_1376 Depth=1
	v_mov_b64_e32 v[6:7], s[38:39]
	v_mad_u64_u32 v[4:5], s[16:17], s20, v47, v[6:7]
	v_mul_lo_u32 v9, s20, v46
	v_mul_lo_u32 v11, s21, v47
	v_add3_u32 v5, v11, v5, v9
	v_mad_u64_u32 v[6:7], s[16:17], s20, v49, v[6:7]
	v_mul_lo_u32 v9, s20, v48
	v_mul_lo_u32 v11, s21, v49
	v_add3_u32 v7, v11, v7, v9
	s_mov_b64 s[50:51], 0
	s_mov_b64 s[56:57], s[36:37]
                                        ; implicit-def: $sgpr52_sgpr53
                                        ; implicit-def: $sgpr54_sgpr55
                                        ; implicit-def: $sgpr16_sgpr17
                                        ; implicit-def: $sgpr58_sgpr59
	s_branch .LBB1605_1460
.LBB1605_1459:                          ;   in Loop: Header=BB1605_1460 Depth=2
	s_or_b64 exec, exec, s[62:63]
	s_and_b64 s[18:19], exec, s[54:55]
	s_or_b64 s[50:51], s[18:19], s[50:51]
	s_andn2_b64 s[18:19], s[58:59], exec
	s_and_b64 s[58:59], s[60:61], exec
	s_or_b64 s[58:59], s[18:19], s[58:59]
	s_andn2_b64 s[18:19], s[52:53], exec
	s_and_b64 s[52:53], s[16:17], exec
	s_or_b64 s[52:53], s[18:19], s[52:53]
	s_andn2_b64 exec, exec, s[50:51]
	s_cbranch_execz .LBB1605_1462
.LBB1605_1460:                          ;   Parent Loop BB1605_1376 Depth=1
                                        ; =>  This Inner Loop Header: Depth=2
	global_load_dwordx2 v[50:51], v[4:5], off
	global_load_dwordx2 v[52:53], v[6:7], off
	s_andn2_b64 s[62:63], s[16:17], exec
	s_or_b64 s[54:55], s[54:55], exec
	s_waitcnt vmcnt(0)
	v_cmp_le_u64_e64 s[16:17], v[50:51], v[52:53]
	v_cmp_lt_u64_e32 vcc, v[50:51], v[52:53]
	s_and_b64 s[16:17], s[16:17], s[58:59]
	s_or_b64 s[60:61], vcc, s[16:17]
	s_and_b64 s[16:17], s[60:61], exec
	v_cmp_eq_u64_e64 s[18:19], v[50:51], v[52:53]
	s_or_b64 s[16:17], s[62:63], s[16:17]
	s_and_saveexec_b64 s[62:63], s[18:19]
	s_cbranch_execz .LBB1605_1459
; %bb.1461:                             ;   in Loop: Header=BB1605_1460 Depth=2
	s_add_u32 s56, s56, -1
	s_addc_u32 s57, s57, -1
	s_cmp_eq_u64 s[56:57], 0
	s_cselect_b64 s[18:19], -1, 0
	s_andn2_b64 s[54:55], s[54:55], exec
	s_and_b64 s[18:19], s[18:19], exec
	v_lshl_add_u64 v[4:5], v[4:5], 0, 8
	v_lshl_add_u64 v[6:7], v[6:7], 0, 8
	s_andn2_b64 s[16:17], s[16:17], exec
	s_or_b64 s[54:55], s[54:55], s[18:19]
                                        ; implicit-def: $sgpr58_sgpr59
	s_branch .LBB1605_1459
.LBB1605_1462:                          ;   in Loop: Header=BB1605_1376 Depth=1
	s_or_b64 exec, exec, s[50:51]
	s_xor_b64 s[16:17], s[52:53], -1
	s_branch .LBB1605_1464
.LBB1605_1463:                          ;   in Loop: Header=BB1605_1376 Depth=1
	s_mov_b64 s[16:17], -1
.LBB1605_1464:                          ;   in Loop: Header=BB1605_1376 Depth=1
	s_and_b64 s[16:17], s[16:17], exec
.LBB1605_1465:                          ;   in Loop: Header=BB1605_1376 Depth=1
	s_or_b64 exec, exec, s[44:45]
	s_orn2_b64 s[44:45], s[16:17], exec
.LBB1605_1466:                          ;   in Loop: Header=BB1605_1376 Depth=1
	s_or_b64 exec, exec, s[48:49]
	v_cndmask_b32_e64 v4, v10, v8, s[44:45]
	v_cndmask_b32_e64 v5, v33, v25, s[44:45]
	v_add_u32_e32 v9, 1, v4
	v_add_u32_e32 v4, -1, v5
	v_min_u32_e32 v4, v9, v4
	v_lshlrev_b32_e32 v4, 3, v4
	ds_read_b64 v[6:7], v4
	v_cndmask_b32_e64 v10, v9, v10, s[44:45]
	v_cmp_lt_u32_e32 vcc, v10, v33
	s_waitcnt lgkmcnt(0)
	v_cndmask_b32_e64 v5, v48, v7, s[44:45]
	v_cndmask_b32_e64 v4, v49, v6, s[44:45]
	s_and_saveexec_b64 s[48:49], vcc
	s_cbranch_execz .LBB1605_1374
; %bb.1467:                             ;   in Loop: Header=BB1605_1376 Depth=1
	v_cndmask_b32_e64 v8, v8, v9, s[44:45]
	v_cndmask_b32_e64 v7, v7, v46, s[44:45]
	;; [unrolled: 1-line block ×3, first 2 shown]
	v_cmp_lt_u32_e32 vcc, v8, v25
	s_and_saveexec_b64 s[50:51], vcc
	s_cbranch_execz .LBB1605_1373
; %bb.1468:                             ;   in Loop: Header=BB1605_1376 Depth=1
	s_and_b64 vcc, exec, s[14:15]
	s_cbranch_vccnz .LBB1605_1372
; %bb.1469:                             ;   in Loop: Header=BB1605_1376 Depth=1
	v_mov_b64_e32 v[10:11], s[38:39]
	v_mad_u64_u32 v[8:9], s[16:17], s20, v6, v[10:11]
	v_mul_lo_u32 v25, s20, v7
	v_mul_lo_u32 v33, s21, v6
	v_add3_u32 v9, v33, v9, v25
	v_mad_u64_u32 v[10:11], s[16:17], s20, v4, v[10:11]
	v_mul_lo_u32 v25, s20, v5
	v_mul_lo_u32 v33, s21, v4
	v_add3_u32 v11, v33, v11, v25
	s_mov_b64 s[52:53], 0
	s_mov_b64 s[58:59], s[36:37]
                                        ; implicit-def: $sgpr54_sgpr55
                                        ; implicit-def: $sgpr56_sgpr57
                                        ; implicit-def: $sgpr16_sgpr17
                                        ; implicit-def: $sgpr60_sgpr61
	s_branch .LBB1605_1471
.LBB1605_1470:                          ;   in Loop: Header=BB1605_1471 Depth=2
	s_or_b64 exec, exec, s[64:65]
	s_and_b64 s[18:19], exec, s[56:57]
	s_or_b64 s[52:53], s[18:19], s[52:53]
	s_andn2_b64 s[18:19], s[60:61], exec
	s_and_b64 s[60:61], s[62:63], exec
	s_or_b64 s[60:61], s[18:19], s[60:61]
	s_andn2_b64 s[18:19], s[54:55], exec
	s_and_b64 s[54:55], s[16:17], exec
	s_or_b64 s[54:55], s[18:19], s[54:55]
	s_andn2_b64 exec, exec, s[52:53]
	s_cbranch_execz .LBB1605_1371
.LBB1605_1471:                          ;   Parent Loop BB1605_1376 Depth=1
                                        ; =>  This Inner Loop Header: Depth=2
	global_load_dwordx2 v[50:51], v[8:9], off
	global_load_dwordx2 v[52:53], v[10:11], off
	s_andn2_b64 s[64:65], s[16:17], exec
	s_or_b64 s[56:57], s[56:57], exec
	s_waitcnt vmcnt(0)
	v_cmp_le_u64_e64 s[16:17], v[50:51], v[52:53]
	v_cmp_lt_u64_e32 vcc, v[50:51], v[52:53]
	s_and_b64 s[16:17], s[16:17], s[60:61]
	s_or_b64 s[62:63], vcc, s[16:17]
	s_and_b64 s[16:17], s[62:63], exec
	v_cmp_eq_u64_e64 s[18:19], v[50:51], v[52:53]
	s_or_b64 s[16:17], s[64:65], s[16:17]
	s_and_saveexec_b64 s[64:65], s[18:19]
	s_cbranch_execz .LBB1605_1470
; %bb.1472:                             ;   in Loop: Header=BB1605_1471 Depth=2
	s_add_u32 s58, s58, -1
	s_addc_u32 s59, s59, -1
	s_cmp_eq_u64 s[58:59], 0
	s_cselect_b64 s[18:19], -1, 0
	s_andn2_b64 s[56:57], s[56:57], exec
	s_and_b64 s[18:19], s[18:19], exec
	v_lshl_add_u64 v[8:9], v[8:9], 0, 8
	v_lshl_add_u64 v[10:11], v[10:11], 0, 8
	s_andn2_b64 s[16:17], s[16:17], exec
	s_or_b64 s[56:57], s[56:57], s[18:19]
                                        ; implicit-def: $sgpr60_sgpr61
	s_branch .LBB1605_1470
.LBB1605_1473:
	s_barrier
	ds_write2_b64 v32, v[14:15], v[16:17] offset1:1
	ds_write2_b64 v32, v[10:11], v[12:13] offset0:2 offset1:3
	ds_write2_b64 v32, v[6:7], v[8:9] offset0:4 offset1:5
	;; [unrolled: 1-line block ×3, first 2 shown]
	s_waitcnt lgkmcnt(0)
	s_barrier
	ds_read_b64 v[12:13], v21 offset:2048
	ds_read_b64 v[10:11], v26 offset:4096
	;; [unrolled: 1-line block ×7, first 2 shown]
	v_mov_b32_e32 v21, 0
	v_lshl_add_u64 v[2:3], s[34:35], 0, v[20:21]
	s_and_saveexec_b64 s[14:15], s[0:1]
	s_cbranch_execnz .LBB1605_1485
; %bb.1474:
	s_or_b64 exec, exec, s[14:15]
	s_and_saveexec_b64 s[0:1], s[2:3]
	s_cbranch_execnz .LBB1605_1486
.LBB1605_1475:
	s_or_b64 exec, exec, s[0:1]
	s_and_saveexec_b64 s[0:1], s[4:5]
	s_cbranch_execnz .LBB1605_1487
.LBB1605_1476:
	s_or_b64 exec, exec, s[0:1]
	s_and_saveexec_b64 s[0:1], s[6:7]
	s_cbranch_execnz .LBB1605_1488
.LBB1605_1477:
	s_or_b64 exec, exec, s[0:1]
	s_and_saveexec_b64 s[0:1], s[8:9]
	s_cbranch_execnz .LBB1605_1489
.LBB1605_1478:
	s_or_b64 exec, exec, s[0:1]
	s_and_saveexec_b64 s[0:1], s[10:11]
	s_cbranch_execnz .LBB1605_1490
.LBB1605_1479:
	s_or_b64 exec, exec, s[0:1]
	s_and_saveexec_b64 s[0:1], s[12:13]
	s_cbranch_execz .LBB1605_1481
.LBB1605_1480:
	v_add_co_u32_e32 v2, vcc, 0x3000, v2
	s_nop 1
	v_addc_co_u32_e32 v3, vcc, 0, v3, vcc
	s_waitcnt lgkmcnt(1)
	global_store_dwordx2 v[2:3], v[0:1], off
.LBB1605_1481:
	s_or_b64 exec, exec, s[0:1]
	v_mov_b32_e32 v19, v21
.LBB1605_1482:
	s_and_saveexec_b64 s[0:1], s[40:41]
	s_cbranch_execz .LBB1605_1484
; %bb.1483:
	s_waitcnt lgkmcnt(1)
	v_lshl_add_u64 v[0:1], v[18:19], 3, s[34:35]
	v_add_co_u32_e32 v0, vcc, 0x3000, v0
	s_nop 1
	v_addc_co_u32_e32 v1, vcc, 0, v1, vcc
	s_waitcnt lgkmcnt(0)
	global_store_dwordx2 v[0:1], v[14:15], off offset:2048
.LBB1605_1484:
	s_endpgm
.LBB1605_1485:
	ds_read_b64 v[16:17], v19
	s_waitcnt lgkmcnt(0)
	global_store_dwordx2 v[2:3], v[16:17], off
	s_or_b64 exec, exec, s[14:15]
	s_and_saveexec_b64 s[0:1], s[2:3]
	s_cbranch_execz .LBB1605_1475
.LBB1605_1486:
	s_waitcnt lgkmcnt(6)
	global_store_dwordx2 v[2:3], v[12:13], off offset:2048
	s_or_b64 exec, exec, s[0:1]
	s_and_saveexec_b64 s[0:1], s[4:5]
	s_cbranch_execz .LBB1605_1476
.LBB1605_1487:
	s_waitcnt lgkmcnt(6)
	v_add_co_u32_e32 v12, vcc, 0x1000, v2
	s_nop 1
	v_addc_co_u32_e32 v13, vcc, 0, v3, vcc
	s_waitcnt lgkmcnt(5)
	global_store_dwordx2 v[12:13], v[10:11], off
	s_or_b64 exec, exec, s[0:1]
	s_and_saveexec_b64 s[0:1], s[6:7]
	s_cbranch_execz .LBB1605_1477
.LBB1605_1488:
	s_waitcnt lgkmcnt(5)
	v_add_co_u32_e32 v10, vcc, 0x1000, v2
	s_nop 1
	v_addc_co_u32_e32 v11, vcc, 0, v3, vcc
	s_waitcnt lgkmcnt(4)
	global_store_dwordx2 v[10:11], v[8:9], off offset:2048
	s_or_b64 exec, exec, s[0:1]
	s_and_saveexec_b64 s[0:1], s[8:9]
	s_cbranch_execz .LBB1605_1478
.LBB1605_1489:
	s_waitcnt lgkmcnt(4)
	v_add_co_u32_e32 v8, vcc, 0x2000, v2
	s_nop 1
	v_addc_co_u32_e32 v9, vcc, 0, v3, vcc
	s_waitcnt lgkmcnt(3)
	global_store_dwordx2 v[8:9], v[6:7], off
	s_or_b64 exec, exec, s[0:1]
	s_and_saveexec_b64 s[0:1], s[10:11]
	s_cbranch_execz .LBB1605_1479
.LBB1605_1490:
	s_waitcnt lgkmcnt(3)
	v_add_co_u32_e32 v6, vcc, 0x2000, v2
	s_nop 1
	v_addc_co_u32_e32 v7, vcc, 0, v3, vcc
	s_waitcnt lgkmcnt(2)
	global_store_dwordx2 v[6:7], v[4:5], off offset:2048
	s_or_b64 exec, exec, s[0:1]
	s_and_saveexec_b64 s[0:1], s[12:13]
	s_cbranch_execnz .LBB1605_1480
	s_branch .LBB1605_1481
	.section	.rodata,"a",@progbits
	.p2align	6, 0x0
	.amdhsa_kernel _ZN7rocprim17ROCPRIM_400000_NS6detail17trampoline_kernelINS0_14default_configENS1_37merge_sort_block_sort_config_selectorIlNS0_10empty_typeEEEZNS1_21merge_sort_block_sortIS3_PlS8_PS5_S9_ZN2at6native12_GLOBAL__N_124unique_dim_cuda_templateImEESt5tupleIJNSA_6TensorESF_SF_EERKSF_lbbbEUlllE_EE10hipError_tT0_T1_T2_T3_mRjT4_P12ihipStream_tbNS1_7vsmem_tEEUlT_E_NS1_11comp_targetILNS1_3genE0ELNS1_11target_archE4294967295ELNS1_3gpuE0ELNS1_3repE0EEENS1_30default_config_static_selectorELNS0_4arch9wavefront6targetE1EEEvSM_
		.amdhsa_group_segment_fixed_size 16896
		.amdhsa_private_segment_fixed_size 0
		.amdhsa_kernarg_size 328
		.amdhsa_user_sgpr_count 2
		.amdhsa_user_sgpr_dispatch_ptr 0
		.amdhsa_user_sgpr_queue_ptr 0
		.amdhsa_user_sgpr_kernarg_segment_ptr 1
		.amdhsa_user_sgpr_dispatch_id 0
		.amdhsa_user_sgpr_kernarg_preload_length 0
		.amdhsa_user_sgpr_kernarg_preload_offset 0
		.amdhsa_user_sgpr_private_segment_size 0
		.amdhsa_uses_dynamic_stack 0
		.amdhsa_enable_private_segment 0
		.amdhsa_system_sgpr_workgroup_id_x 1
		.amdhsa_system_sgpr_workgroup_id_y 1
		.amdhsa_system_sgpr_workgroup_id_z 1
		.amdhsa_system_sgpr_workgroup_info 0
		.amdhsa_system_vgpr_workitem_id 2
		.amdhsa_next_free_vgpr 58
		.amdhsa_next_free_sgpr 67
		.amdhsa_accum_offset 60
		.amdhsa_reserve_vcc 1
		.amdhsa_float_round_mode_32 0
		.amdhsa_float_round_mode_16_64 0
		.amdhsa_float_denorm_mode_32 3
		.amdhsa_float_denorm_mode_16_64 3
		.amdhsa_dx10_clamp 1
		.amdhsa_ieee_mode 1
		.amdhsa_fp16_overflow 0
		.amdhsa_tg_split 0
		.amdhsa_exception_fp_ieee_invalid_op 0
		.amdhsa_exception_fp_denorm_src 0
		.amdhsa_exception_fp_ieee_div_zero 0
		.amdhsa_exception_fp_ieee_overflow 0
		.amdhsa_exception_fp_ieee_underflow 0
		.amdhsa_exception_fp_ieee_inexact 0
		.amdhsa_exception_int_div_zero 0
	.end_amdhsa_kernel
	.section	.text._ZN7rocprim17ROCPRIM_400000_NS6detail17trampoline_kernelINS0_14default_configENS1_37merge_sort_block_sort_config_selectorIlNS0_10empty_typeEEEZNS1_21merge_sort_block_sortIS3_PlS8_PS5_S9_ZN2at6native12_GLOBAL__N_124unique_dim_cuda_templateImEESt5tupleIJNSA_6TensorESF_SF_EERKSF_lbbbEUlllE_EE10hipError_tT0_T1_T2_T3_mRjT4_P12ihipStream_tbNS1_7vsmem_tEEUlT_E_NS1_11comp_targetILNS1_3genE0ELNS1_11target_archE4294967295ELNS1_3gpuE0ELNS1_3repE0EEENS1_30default_config_static_selectorELNS0_4arch9wavefront6targetE1EEEvSM_,"axG",@progbits,_ZN7rocprim17ROCPRIM_400000_NS6detail17trampoline_kernelINS0_14default_configENS1_37merge_sort_block_sort_config_selectorIlNS0_10empty_typeEEEZNS1_21merge_sort_block_sortIS3_PlS8_PS5_S9_ZN2at6native12_GLOBAL__N_124unique_dim_cuda_templateImEESt5tupleIJNSA_6TensorESF_SF_EERKSF_lbbbEUlllE_EE10hipError_tT0_T1_T2_T3_mRjT4_P12ihipStream_tbNS1_7vsmem_tEEUlT_E_NS1_11comp_targetILNS1_3genE0ELNS1_11target_archE4294967295ELNS1_3gpuE0ELNS1_3repE0EEENS1_30default_config_static_selectorELNS0_4arch9wavefront6targetE1EEEvSM_,comdat
.Lfunc_end1605:
	.size	_ZN7rocprim17ROCPRIM_400000_NS6detail17trampoline_kernelINS0_14default_configENS1_37merge_sort_block_sort_config_selectorIlNS0_10empty_typeEEEZNS1_21merge_sort_block_sortIS3_PlS8_PS5_S9_ZN2at6native12_GLOBAL__N_124unique_dim_cuda_templateImEESt5tupleIJNSA_6TensorESF_SF_EERKSF_lbbbEUlllE_EE10hipError_tT0_T1_T2_T3_mRjT4_P12ihipStream_tbNS1_7vsmem_tEEUlT_E_NS1_11comp_targetILNS1_3genE0ELNS1_11target_archE4294967295ELNS1_3gpuE0ELNS1_3repE0EEENS1_30default_config_static_selectorELNS0_4arch9wavefront6targetE1EEEvSM_, .Lfunc_end1605-_ZN7rocprim17ROCPRIM_400000_NS6detail17trampoline_kernelINS0_14default_configENS1_37merge_sort_block_sort_config_selectorIlNS0_10empty_typeEEEZNS1_21merge_sort_block_sortIS3_PlS8_PS5_S9_ZN2at6native12_GLOBAL__N_124unique_dim_cuda_templateImEESt5tupleIJNSA_6TensorESF_SF_EERKSF_lbbbEUlllE_EE10hipError_tT0_T1_T2_T3_mRjT4_P12ihipStream_tbNS1_7vsmem_tEEUlT_E_NS1_11comp_targetILNS1_3genE0ELNS1_11target_archE4294967295ELNS1_3gpuE0ELNS1_3repE0EEENS1_30default_config_static_selectorELNS0_4arch9wavefront6targetE1EEEvSM_
                                        ; -- End function
	.set _ZN7rocprim17ROCPRIM_400000_NS6detail17trampoline_kernelINS0_14default_configENS1_37merge_sort_block_sort_config_selectorIlNS0_10empty_typeEEEZNS1_21merge_sort_block_sortIS3_PlS8_PS5_S9_ZN2at6native12_GLOBAL__N_124unique_dim_cuda_templateImEESt5tupleIJNSA_6TensorESF_SF_EERKSF_lbbbEUlllE_EE10hipError_tT0_T1_T2_T3_mRjT4_P12ihipStream_tbNS1_7vsmem_tEEUlT_E_NS1_11comp_targetILNS1_3genE0ELNS1_11target_archE4294967295ELNS1_3gpuE0ELNS1_3repE0EEENS1_30default_config_static_selectorELNS0_4arch9wavefront6targetE1EEEvSM_.num_vgpr, 58
	.set _ZN7rocprim17ROCPRIM_400000_NS6detail17trampoline_kernelINS0_14default_configENS1_37merge_sort_block_sort_config_selectorIlNS0_10empty_typeEEEZNS1_21merge_sort_block_sortIS3_PlS8_PS5_S9_ZN2at6native12_GLOBAL__N_124unique_dim_cuda_templateImEESt5tupleIJNSA_6TensorESF_SF_EERKSF_lbbbEUlllE_EE10hipError_tT0_T1_T2_T3_mRjT4_P12ihipStream_tbNS1_7vsmem_tEEUlT_E_NS1_11comp_targetILNS1_3genE0ELNS1_11target_archE4294967295ELNS1_3gpuE0ELNS1_3repE0EEENS1_30default_config_static_selectorELNS0_4arch9wavefront6targetE1EEEvSM_.num_agpr, 0
	.set _ZN7rocprim17ROCPRIM_400000_NS6detail17trampoline_kernelINS0_14default_configENS1_37merge_sort_block_sort_config_selectorIlNS0_10empty_typeEEEZNS1_21merge_sort_block_sortIS3_PlS8_PS5_S9_ZN2at6native12_GLOBAL__N_124unique_dim_cuda_templateImEESt5tupleIJNSA_6TensorESF_SF_EERKSF_lbbbEUlllE_EE10hipError_tT0_T1_T2_T3_mRjT4_P12ihipStream_tbNS1_7vsmem_tEEUlT_E_NS1_11comp_targetILNS1_3genE0ELNS1_11target_archE4294967295ELNS1_3gpuE0ELNS1_3repE0EEENS1_30default_config_static_selectorELNS0_4arch9wavefront6targetE1EEEvSM_.numbered_sgpr, 67
	.set _ZN7rocprim17ROCPRIM_400000_NS6detail17trampoline_kernelINS0_14default_configENS1_37merge_sort_block_sort_config_selectorIlNS0_10empty_typeEEEZNS1_21merge_sort_block_sortIS3_PlS8_PS5_S9_ZN2at6native12_GLOBAL__N_124unique_dim_cuda_templateImEESt5tupleIJNSA_6TensorESF_SF_EERKSF_lbbbEUlllE_EE10hipError_tT0_T1_T2_T3_mRjT4_P12ihipStream_tbNS1_7vsmem_tEEUlT_E_NS1_11comp_targetILNS1_3genE0ELNS1_11target_archE4294967295ELNS1_3gpuE0ELNS1_3repE0EEENS1_30default_config_static_selectorELNS0_4arch9wavefront6targetE1EEEvSM_.num_named_barrier, 0
	.set _ZN7rocprim17ROCPRIM_400000_NS6detail17trampoline_kernelINS0_14default_configENS1_37merge_sort_block_sort_config_selectorIlNS0_10empty_typeEEEZNS1_21merge_sort_block_sortIS3_PlS8_PS5_S9_ZN2at6native12_GLOBAL__N_124unique_dim_cuda_templateImEESt5tupleIJNSA_6TensorESF_SF_EERKSF_lbbbEUlllE_EE10hipError_tT0_T1_T2_T3_mRjT4_P12ihipStream_tbNS1_7vsmem_tEEUlT_E_NS1_11comp_targetILNS1_3genE0ELNS1_11target_archE4294967295ELNS1_3gpuE0ELNS1_3repE0EEENS1_30default_config_static_selectorELNS0_4arch9wavefront6targetE1EEEvSM_.private_seg_size, 0
	.set _ZN7rocprim17ROCPRIM_400000_NS6detail17trampoline_kernelINS0_14default_configENS1_37merge_sort_block_sort_config_selectorIlNS0_10empty_typeEEEZNS1_21merge_sort_block_sortIS3_PlS8_PS5_S9_ZN2at6native12_GLOBAL__N_124unique_dim_cuda_templateImEESt5tupleIJNSA_6TensorESF_SF_EERKSF_lbbbEUlllE_EE10hipError_tT0_T1_T2_T3_mRjT4_P12ihipStream_tbNS1_7vsmem_tEEUlT_E_NS1_11comp_targetILNS1_3genE0ELNS1_11target_archE4294967295ELNS1_3gpuE0ELNS1_3repE0EEENS1_30default_config_static_selectorELNS0_4arch9wavefront6targetE1EEEvSM_.uses_vcc, 1
	.set _ZN7rocprim17ROCPRIM_400000_NS6detail17trampoline_kernelINS0_14default_configENS1_37merge_sort_block_sort_config_selectorIlNS0_10empty_typeEEEZNS1_21merge_sort_block_sortIS3_PlS8_PS5_S9_ZN2at6native12_GLOBAL__N_124unique_dim_cuda_templateImEESt5tupleIJNSA_6TensorESF_SF_EERKSF_lbbbEUlllE_EE10hipError_tT0_T1_T2_T3_mRjT4_P12ihipStream_tbNS1_7vsmem_tEEUlT_E_NS1_11comp_targetILNS1_3genE0ELNS1_11target_archE4294967295ELNS1_3gpuE0ELNS1_3repE0EEENS1_30default_config_static_selectorELNS0_4arch9wavefront6targetE1EEEvSM_.uses_flat_scratch, 0
	.set _ZN7rocprim17ROCPRIM_400000_NS6detail17trampoline_kernelINS0_14default_configENS1_37merge_sort_block_sort_config_selectorIlNS0_10empty_typeEEEZNS1_21merge_sort_block_sortIS3_PlS8_PS5_S9_ZN2at6native12_GLOBAL__N_124unique_dim_cuda_templateImEESt5tupleIJNSA_6TensorESF_SF_EERKSF_lbbbEUlllE_EE10hipError_tT0_T1_T2_T3_mRjT4_P12ihipStream_tbNS1_7vsmem_tEEUlT_E_NS1_11comp_targetILNS1_3genE0ELNS1_11target_archE4294967295ELNS1_3gpuE0ELNS1_3repE0EEENS1_30default_config_static_selectorELNS0_4arch9wavefront6targetE1EEEvSM_.has_dyn_sized_stack, 0
	.set _ZN7rocprim17ROCPRIM_400000_NS6detail17trampoline_kernelINS0_14default_configENS1_37merge_sort_block_sort_config_selectorIlNS0_10empty_typeEEEZNS1_21merge_sort_block_sortIS3_PlS8_PS5_S9_ZN2at6native12_GLOBAL__N_124unique_dim_cuda_templateImEESt5tupleIJNSA_6TensorESF_SF_EERKSF_lbbbEUlllE_EE10hipError_tT0_T1_T2_T3_mRjT4_P12ihipStream_tbNS1_7vsmem_tEEUlT_E_NS1_11comp_targetILNS1_3genE0ELNS1_11target_archE4294967295ELNS1_3gpuE0ELNS1_3repE0EEENS1_30default_config_static_selectorELNS0_4arch9wavefront6targetE1EEEvSM_.has_recursion, 0
	.set _ZN7rocprim17ROCPRIM_400000_NS6detail17trampoline_kernelINS0_14default_configENS1_37merge_sort_block_sort_config_selectorIlNS0_10empty_typeEEEZNS1_21merge_sort_block_sortIS3_PlS8_PS5_S9_ZN2at6native12_GLOBAL__N_124unique_dim_cuda_templateImEESt5tupleIJNSA_6TensorESF_SF_EERKSF_lbbbEUlllE_EE10hipError_tT0_T1_T2_T3_mRjT4_P12ihipStream_tbNS1_7vsmem_tEEUlT_E_NS1_11comp_targetILNS1_3genE0ELNS1_11target_archE4294967295ELNS1_3gpuE0ELNS1_3repE0EEENS1_30default_config_static_selectorELNS0_4arch9wavefront6targetE1EEEvSM_.has_indirect_call, 0
	.section	.AMDGPU.csdata,"",@progbits
; Kernel info:
; codeLenInByte = 60688
; TotalNumSgprs: 73
; NumVgprs: 58
; NumAgprs: 0
; TotalNumVgprs: 58
; ScratchSize: 0
; MemoryBound: 0
; FloatMode: 240
; IeeeMode: 1
; LDSByteSize: 16896 bytes/workgroup (compile time only)
; SGPRBlocks: 9
; VGPRBlocks: 7
; NumSGPRsForWavesPerEU: 73
; NumVGPRsForWavesPerEU: 58
; AccumOffset: 60
; Occupancy: 8
; WaveLimiterHint : 1
; COMPUTE_PGM_RSRC2:SCRATCH_EN: 0
; COMPUTE_PGM_RSRC2:USER_SGPR: 2
; COMPUTE_PGM_RSRC2:TRAP_HANDLER: 0
; COMPUTE_PGM_RSRC2:TGID_X_EN: 1
; COMPUTE_PGM_RSRC2:TGID_Y_EN: 1
; COMPUTE_PGM_RSRC2:TGID_Z_EN: 1
; COMPUTE_PGM_RSRC2:TIDIG_COMP_CNT: 2
; COMPUTE_PGM_RSRC3_GFX90A:ACCUM_OFFSET: 14
; COMPUTE_PGM_RSRC3_GFX90A:TG_SPLIT: 0
	.section	.text._ZN7rocprim17ROCPRIM_400000_NS6detail17trampoline_kernelINS0_14default_configENS1_37merge_sort_block_sort_config_selectorIlNS0_10empty_typeEEEZNS1_21merge_sort_block_sortIS3_PlS8_PS5_S9_ZN2at6native12_GLOBAL__N_124unique_dim_cuda_templateImEESt5tupleIJNSA_6TensorESF_SF_EERKSF_lbbbEUlllE_EE10hipError_tT0_T1_T2_T3_mRjT4_P12ihipStream_tbNS1_7vsmem_tEEUlT_E_NS1_11comp_targetILNS1_3genE5ELNS1_11target_archE942ELNS1_3gpuE9ELNS1_3repE0EEENS1_30default_config_static_selectorELNS0_4arch9wavefront6targetE1EEEvSM_,"axG",@progbits,_ZN7rocprim17ROCPRIM_400000_NS6detail17trampoline_kernelINS0_14default_configENS1_37merge_sort_block_sort_config_selectorIlNS0_10empty_typeEEEZNS1_21merge_sort_block_sortIS3_PlS8_PS5_S9_ZN2at6native12_GLOBAL__N_124unique_dim_cuda_templateImEESt5tupleIJNSA_6TensorESF_SF_EERKSF_lbbbEUlllE_EE10hipError_tT0_T1_T2_T3_mRjT4_P12ihipStream_tbNS1_7vsmem_tEEUlT_E_NS1_11comp_targetILNS1_3genE5ELNS1_11target_archE942ELNS1_3gpuE9ELNS1_3repE0EEENS1_30default_config_static_selectorELNS0_4arch9wavefront6targetE1EEEvSM_,comdat
	.globl	_ZN7rocprim17ROCPRIM_400000_NS6detail17trampoline_kernelINS0_14default_configENS1_37merge_sort_block_sort_config_selectorIlNS0_10empty_typeEEEZNS1_21merge_sort_block_sortIS3_PlS8_PS5_S9_ZN2at6native12_GLOBAL__N_124unique_dim_cuda_templateImEESt5tupleIJNSA_6TensorESF_SF_EERKSF_lbbbEUlllE_EE10hipError_tT0_T1_T2_T3_mRjT4_P12ihipStream_tbNS1_7vsmem_tEEUlT_E_NS1_11comp_targetILNS1_3genE5ELNS1_11target_archE942ELNS1_3gpuE9ELNS1_3repE0EEENS1_30default_config_static_selectorELNS0_4arch9wavefront6targetE1EEEvSM_ ; -- Begin function _ZN7rocprim17ROCPRIM_400000_NS6detail17trampoline_kernelINS0_14default_configENS1_37merge_sort_block_sort_config_selectorIlNS0_10empty_typeEEEZNS1_21merge_sort_block_sortIS3_PlS8_PS5_S9_ZN2at6native12_GLOBAL__N_124unique_dim_cuda_templateImEESt5tupleIJNSA_6TensorESF_SF_EERKSF_lbbbEUlllE_EE10hipError_tT0_T1_T2_T3_mRjT4_P12ihipStream_tbNS1_7vsmem_tEEUlT_E_NS1_11comp_targetILNS1_3genE5ELNS1_11target_archE942ELNS1_3gpuE9ELNS1_3repE0EEENS1_30default_config_static_selectorELNS0_4arch9wavefront6targetE1EEEvSM_
	.p2align	8
	.type	_ZN7rocprim17ROCPRIM_400000_NS6detail17trampoline_kernelINS0_14default_configENS1_37merge_sort_block_sort_config_selectorIlNS0_10empty_typeEEEZNS1_21merge_sort_block_sortIS3_PlS8_PS5_S9_ZN2at6native12_GLOBAL__N_124unique_dim_cuda_templateImEESt5tupleIJNSA_6TensorESF_SF_EERKSF_lbbbEUlllE_EE10hipError_tT0_T1_T2_T3_mRjT4_P12ihipStream_tbNS1_7vsmem_tEEUlT_E_NS1_11comp_targetILNS1_3genE5ELNS1_11target_archE942ELNS1_3gpuE9ELNS1_3repE0EEENS1_30default_config_static_selectorELNS0_4arch9wavefront6targetE1EEEvSM_,@function
_ZN7rocprim17ROCPRIM_400000_NS6detail17trampoline_kernelINS0_14default_configENS1_37merge_sort_block_sort_config_selectorIlNS0_10empty_typeEEEZNS1_21merge_sort_block_sortIS3_PlS8_PS5_S9_ZN2at6native12_GLOBAL__N_124unique_dim_cuda_templateImEESt5tupleIJNSA_6TensorESF_SF_EERKSF_lbbbEUlllE_EE10hipError_tT0_T1_T2_T3_mRjT4_P12ihipStream_tbNS1_7vsmem_tEEUlT_E_NS1_11comp_targetILNS1_3genE5ELNS1_11target_archE942ELNS1_3gpuE9ELNS1_3repE0EEENS1_30default_config_static_selectorELNS0_4arch9wavefront6targetE1EEEvSM_: ; @_ZN7rocprim17ROCPRIM_400000_NS6detail17trampoline_kernelINS0_14default_configENS1_37merge_sort_block_sort_config_selectorIlNS0_10empty_typeEEEZNS1_21merge_sort_block_sortIS3_PlS8_PS5_S9_ZN2at6native12_GLOBAL__N_124unique_dim_cuda_templateImEESt5tupleIJNSA_6TensorESF_SF_EERKSF_lbbbEUlllE_EE10hipError_tT0_T1_T2_T3_mRjT4_P12ihipStream_tbNS1_7vsmem_tEEUlT_E_NS1_11comp_targetILNS1_3genE5ELNS1_11target_archE942ELNS1_3gpuE9ELNS1_3repE0EEENS1_30default_config_static_selectorELNS0_4arch9wavefront6targetE1EEEvSM_
; %bb.0:
	.section	.rodata,"a",@progbits
	.p2align	6, 0x0
	.amdhsa_kernel _ZN7rocprim17ROCPRIM_400000_NS6detail17trampoline_kernelINS0_14default_configENS1_37merge_sort_block_sort_config_selectorIlNS0_10empty_typeEEEZNS1_21merge_sort_block_sortIS3_PlS8_PS5_S9_ZN2at6native12_GLOBAL__N_124unique_dim_cuda_templateImEESt5tupleIJNSA_6TensorESF_SF_EERKSF_lbbbEUlllE_EE10hipError_tT0_T1_T2_T3_mRjT4_P12ihipStream_tbNS1_7vsmem_tEEUlT_E_NS1_11comp_targetILNS1_3genE5ELNS1_11target_archE942ELNS1_3gpuE9ELNS1_3repE0EEENS1_30default_config_static_selectorELNS0_4arch9wavefront6targetE1EEEvSM_
		.amdhsa_group_segment_fixed_size 0
		.amdhsa_private_segment_fixed_size 0
		.amdhsa_kernarg_size 72
		.amdhsa_user_sgpr_count 2
		.amdhsa_user_sgpr_dispatch_ptr 0
		.amdhsa_user_sgpr_queue_ptr 0
		.amdhsa_user_sgpr_kernarg_segment_ptr 1
		.amdhsa_user_sgpr_dispatch_id 0
		.amdhsa_user_sgpr_kernarg_preload_length 0
		.amdhsa_user_sgpr_kernarg_preload_offset 0
		.amdhsa_user_sgpr_private_segment_size 0
		.amdhsa_uses_dynamic_stack 0
		.amdhsa_enable_private_segment 0
		.amdhsa_system_sgpr_workgroup_id_x 1
		.amdhsa_system_sgpr_workgroup_id_y 0
		.amdhsa_system_sgpr_workgroup_id_z 0
		.amdhsa_system_sgpr_workgroup_info 0
		.amdhsa_system_vgpr_workitem_id 0
		.amdhsa_next_free_vgpr 1
		.amdhsa_next_free_sgpr 0
		.amdhsa_accum_offset 4
		.amdhsa_reserve_vcc 0
		.amdhsa_float_round_mode_32 0
		.amdhsa_float_round_mode_16_64 0
		.amdhsa_float_denorm_mode_32 3
		.amdhsa_float_denorm_mode_16_64 3
		.amdhsa_dx10_clamp 1
		.amdhsa_ieee_mode 1
		.amdhsa_fp16_overflow 0
		.amdhsa_tg_split 0
		.amdhsa_exception_fp_ieee_invalid_op 0
		.amdhsa_exception_fp_denorm_src 0
		.amdhsa_exception_fp_ieee_div_zero 0
		.amdhsa_exception_fp_ieee_overflow 0
		.amdhsa_exception_fp_ieee_underflow 0
		.amdhsa_exception_fp_ieee_inexact 0
		.amdhsa_exception_int_div_zero 0
	.end_amdhsa_kernel
	.section	.text._ZN7rocprim17ROCPRIM_400000_NS6detail17trampoline_kernelINS0_14default_configENS1_37merge_sort_block_sort_config_selectorIlNS0_10empty_typeEEEZNS1_21merge_sort_block_sortIS3_PlS8_PS5_S9_ZN2at6native12_GLOBAL__N_124unique_dim_cuda_templateImEESt5tupleIJNSA_6TensorESF_SF_EERKSF_lbbbEUlllE_EE10hipError_tT0_T1_T2_T3_mRjT4_P12ihipStream_tbNS1_7vsmem_tEEUlT_E_NS1_11comp_targetILNS1_3genE5ELNS1_11target_archE942ELNS1_3gpuE9ELNS1_3repE0EEENS1_30default_config_static_selectorELNS0_4arch9wavefront6targetE1EEEvSM_,"axG",@progbits,_ZN7rocprim17ROCPRIM_400000_NS6detail17trampoline_kernelINS0_14default_configENS1_37merge_sort_block_sort_config_selectorIlNS0_10empty_typeEEEZNS1_21merge_sort_block_sortIS3_PlS8_PS5_S9_ZN2at6native12_GLOBAL__N_124unique_dim_cuda_templateImEESt5tupleIJNSA_6TensorESF_SF_EERKSF_lbbbEUlllE_EE10hipError_tT0_T1_T2_T3_mRjT4_P12ihipStream_tbNS1_7vsmem_tEEUlT_E_NS1_11comp_targetILNS1_3genE5ELNS1_11target_archE942ELNS1_3gpuE9ELNS1_3repE0EEENS1_30default_config_static_selectorELNS0_4arch9wavefront6targetE1EEEvSM_,comdat
.Lfunc_end1606:
	.size	_ZN7rocprim17ROCPRIM_400000_NS6detail17trampoline_kernelINS0_14default_configENS1_37merge_sort_block_sort_config_selectorIlNS0_10empty_typeEEEZNS1_21merge_sort_block_sortIS3_PlS8_PS5_S9_ZN2at6native12_GLOBAL__N_124unique_dim_cuda_templateImEESt5tupleIJNSA_6TensorESF_SF_EERKSF_lbbbEUlllE_EE10hipError_tT0_T1_T2_T3_mRjT4_P12ihipStream_tbNS1_7vsmem_tEEUlT_E_NS1_11comp_targetILNS1_3genE5ELNS1_11target_archE942ELNS1_3gpuE9ELNS1_3repE0EEENS1_30default_config_static_selectorELNS0_4arch9wavefront6targetE1EEEvSM_, .Lfunc_end1606-_ZN7rocprim17ROCPRIM_400000_NS6detail17trampoline_kernelINS0_14default_configENS1_37merge_sort_block_sort_config_selectorIlNS0_10empty_typeEEEZNS1_21merge_sort_block_sortIS3_PlS8_PS5_S9_ZN2at6native12_GLOBAL__N_124unique_dim_cuda_templateImEESt5tupleIJNSA_6TensorESF_SF_EERKSF_lbbbEUlllE_EE10hipError_tT0_T1_T2_T3_mRjT4_P12ihipStream_tbNS1_7vsmem_tEEUlT_E_NS1_11comp_targetILNS1_3genE5ELNS1_11target_archE942ELNS1_3gpuE9ELNS1_3repE0EEENS1_30default_config_static_selectorELNS0_4arch9wavefront6targetE1EEEvSM_
                                        ; -- End function
	.set _ZN7rocprim17ROCPRIM_400000_NS6detail17trampoline_kernelINS0_14default_configENS1_37merge_sort_block_sort_config_selectorIlNS0_10empty_typeEEEZNS1_21merge_sort_block_sortIS3_PlS8_PS5_S9_ZN2at6native12_GLOBAL__N_124unique_dim_cuda_templateImEESt5tupleIJNSA_6TensorESF_SF_EERKSF_lbbbEUlllE_EE10hipError_tT0_T1_T2_T3_mRjT4_P12ihipStream_tbNS1_7vsmem_tEEUlT_E_NS1_11comp_targetILNS1_3genE5ELNS1_11target_archE942ELNS1_3gpuE9ELNS1_3repE0EEENS1_30default_config_static_selectorELNS0_4arch9wavefront6targetE1EEEvSM_.num_vgpr, 0
	.set _ZN7rocprim17ROCPRIM_400000_NS6detail17trampoline_kernelINS0_14default_configENS1_37merge_sort_block_sort_config_selectorIlNS0_10empty_typeEEEZNS1_21merge_sort_block_sortIS3_PlS8_PS5_S9_ZN2at6native12_GLOBAL__N_124unique_dim_cuda_templateImEESt5tupleIJNSA_6TensorESF_SF_EERKSF_lbbbEUlllE_EE10hipError_tT0_T1_T2_T3_mRjT4_P12ihipStream_tbNS1_7vsmem_tEEUlT_E_NS1_11comp_targetILNS1_3genE5ELNS1_11target_archE942ELNS1_3gpuE9ELNS1_3repE0EEENS1_30default_config_static_selectorELNS0_4arch9wavefront6targetE1EEEvSM_.num_agpr, 0
	.set _ZN7rocprim17ROCPRIM_400000_NS6detail17trampoline_kernelINS0_14default_configENS1_37merge_sort_block_sort_config_selectorIlNS0_10empty_typeEEEZNS1_21merge_sort_block_sortIS3_PlS8_PS5_S9_ZN2at6native12_GLOBAL__N_124unique_dim_cuda_templateImEESt5tupleIJNSA_6TensorESF_SF_EERKSF_lbbbEUlllE_EE10hipError_tT0_T1_T2_T3_mRjT4_P12ihipStream_tbNS1_7vsmem_tEEUlT_E_NS1_11comp_targetILNS1_3genE5ELNS1_11target_archE942ELNS1_3gpuE9ELNS1_3repE0EEENS1_30default_config_static_selectorELNS0_4arch9wavefront6targetE1EEEvSM_.numbered_sgpr, 0
	.set _ZN7rocprim17ROCPRIM_400000_NS6detail17trampoline_kernelINS0_14default_configENS1_37merge_sort_block_sort_config_selectorIlNS0_10empty_typeEEEZNS1_21merge_sort_block_sortIS3_PlS8_PS5_S9_ZN2at6native12_GLOBAL__N_124unique_dim_cuda_templateImEESt5tupleIJNSA_6TensorESF_SF_EERKSF_lbbbEUlllE_EE10hipError_tT0_T1_T2_T3_mRjT4_P12ihipStream_tbNS1_7vsmem_tEEUlT_E_NS1_11comp_targetILNS1_3genE5ELNS1_11target_archE942ELNS1_3gpuE9ELNS1_3repE0EEENS1_30default_config_static_selectorELNS0_4arch9wavefront6targetE1EEEvSM_.num_named_barrier, 0
	.set _ZN7rocprim17ROCPRIM_400000_NS6detail17trampoline_kernelINS0_14default_configENS1_37merge_sort_block_sort_config_selectorIlNS0_10empty_typeEEEZNS1_21merge_sort_block_sortIS3_PlS8_PS5_S9_ZN2at6native12_GLOBAL__N_124unique_dim_cuda_templateImEESt5tupleIJNSA_6TensorESF_SF_EERKSF_lbbbEUlllE_EE10hipError_tT0_T1_T2_T3_mRjT4_P12ihipStream_tbNS1_7vsmem_tEEUlT_E_NS1_11comp_targetILNS1_3genE5ELNS1_11target_archE942ELNS1_3gpuE9ELNS1_3repE0EEENS1_30default_config_static_selectorELNS0_4arch9wavefront6targetE1EEEvSM_.private_seg_size, 0
	.set _ZN7rocprim17ROCPRIM_400000_NS6detail17trampoline_kernelINS0_14default_configENS1_37merge_sort_block_sort_config_selectorIlNS0_10empty_typeEEEZNS1_21merge_sort_block_sortIS3_PlS8_PS5_S9_ZN2at6native12_GLOBAL__N_124unique_dim_cuda_templateImEESt5tupleIJNSA_6TensorESF_SF_EERKSF_lbbbEUlllE_EE10hipError_tT0_T1_T2_T3_mRjT4_P12ihipStream_tbNS1_7vsmem_tEEUlT_E_NS1_11comp_targetILNS1_3genE5ELNS1_11target_archE942ELNS1_3gpuE9ELNS1_3repE0EEENS1_30default_config_static_selectorELNS0_4arch9wavefront6targetE1EEEvSM_.uses_vcc, 0
	.set _ZN7rocprim17ROCPRIM_400000_NS6detail17trampoline_kernelINS0_14default_configENS1_37merge_sort_block_sort_config_selectorIlNS0_10empty_typeEEEZNS1_21merge_sort_block_sortIS3_PlS8_PS5_S9_ZN2at6native12_GLOBAL__N_124unique_dim_cuda_templateImEESt5tupleIJNSA_6TensorESF_SF_EERKSF_lbbbEUlllE_EE10hipError_tT0_T1_T2_T3_mRjT4_P12ihipStream_tbNS1_7vsmem_tEEUlT_E_NS1_11comp_targetILNS1_3genE5ELNS1_11target_archE942ELNS1_3gpuE9ELNS1_3repE0EEENS1_30default_config_static_selectorELNS0_4arch9wavefront6targetE1EEEvSM_.uses_flat_scratch, 0
	.set _ZN7rocprim17ROCPRIM_400000_NS6detail17trampoline_kernelINS0_14default_configENS1_37merge_sort_block_sort_config_selectorIlNS0_10empty_typeEEEZNS1_21merge_sort_block_sortIS3_PlS8_PS5_S9_ZN2at6native12_GLOBAL__N_124unique_dim_cuda_templateImEESt5tupleIJNSA_6TensorESF_SF_EERKSF_lbbbEUlllE_EE10hipError_tT0_T1_T2_T3_mRjT4_P12ihipStream_tbNS1_7vsmem_tEEUlT_E_NS1_11comp_targetILNS1_3genE5ELNS1_11target_archE942ELNS1_3gpuE9ELNS1_3repE0EEENS1_30default_config_static_selectorELNS0_4arch9wavefront6targetE1EEEvSM_.has_dyn_sized_stack, 0
	.set _ZN7rocprim17ROCPRIM_400000_NS6detail17trampoline_kernelINS0_14default_configENS1_37merge_sort_block_sort_config_selectorIlNS0_10empty_typeEEEZNS1_21merge_sort_block_sortIS3_PlS8_PS5_S9_ZN2at6native12_GLOBAL__N_124unique_dim_cuda_templateImEESt5tupleIJNSA_6TensorESF_SF_EERKSF_lbbbEUlllE_EE10hipError_tT0_T1_T2_T3_mRjT4_P12ihipStream_tbNS1_7vsmem_tEEUlT_E_NS1_11comp_targetILNS1_3genE5ELNS1_11target_archE942ELNS1_3gpuE9ELNS1_3repE0EEENS1_30default_config_static_selectorELNS0_4arch9wavefront6targetE1EEEvSM_.has_recursion, 0
	.set _ZN7rocprim17ROCPRIM_400000_NS6detail17trampoline_kernelINS0_14default_configENS1_37merge_sort_block_sort_config_selectorIlNS0_10empty_typeEEEZNS1_21merge_sort_block_sortIS3_PlS8_PS5_S9_ZN2at6native12_GLOBAL__N_124unique_dim_cuda_templateImEESt5tupleIJNSA_6TensorESF_SF_EERKSF_lbbbEUlllE_EE10hipError_tT0_T1_T2_T3_mRjT4_P12ihipStream_tbNS1_7vsmem_tEEUlT_E_NS1_11comp_targetILNS1_3genE5ELNS1_11target_archE942ELNS1_3gpuE9ELNS1_3repE0EEENS1_30default_config_static_selectorELNS0_4arch9wavefront6targetE1EEEvSM_.has_indirect_call, 0
	.section	.AMDGPU.csdata,"",@progbits
; Kernel info:
; codeLenInByte = 0
; TotalNumSgprs: 6
; NumVgprs: 0
; NumAgprs: 0
; TotalNumVgprs: 0
; ScratchSize: 0
; MemoryBound: 0
; FloatMode: 240
; IeeeMode: 1
; LDSByteSize: 0 bytes/workgroup (compile time only)
; SGPRBlocks: 0
; VGPRBlocks: 0
; NumSGPRsForWavesPerEU: 6
; NumVGPRsForWavesPerEU: 1
; AccumOffset: 4
; Occupancy: 8
; WaveLimiterHint : 0
; COMPUTE_PGM_RSRC2:SCRATCH_EN: 0
; COMPUTE_PGM_RSRC2:USER_SGPR: 2
; COMPUTE_PGM_RSRC2:TRAP_HANDLER: 0
; COMPUTE_PGM_RSRC2:TGID_X_EN: 1
; COMPUTE_PGM_RSRC2:TGID_Y_EN: 0
; COMPUTE_PGM_RSRC2:TGID_Z_EN: 0
; COMPUTE_PGM_RSRC2:TIDIG_COMP_CNT: 0
; COMPUTE_PGM_RSRC3_GFX90A:ACCUM_OFFSET: 0
; COMPUTE_PGM_RSRC3_GFX90A:TG_SPLIT: 0
	.section	.text._ZN7rocprim17ROCPRIM_400000_NS6detail17trampoline_kernelINS0_14default_configENS1_37merge_sort_block_sort_config_selectorIlNS0_10empty_typeEEEZNS1_21merge_sort_block_sortIS3_PlS8_PS5_S9_ZN2at6native12_GLOBAL__N_124unique_dim_cuda_templateImEESt5tupleIJNSA_6TensorESF_SF_EERKSF_lbbbEUlllE_EE10hipError_tT0_T1_T2_T3_mRjT4_P12ihipStream_tbNS1_7vsmem_tEEUlT_E_NS1_11comp_targetILNS1_3genE4ELNS1_11target_archE910ELNS1_3gpuE8ELNS1_3repE0EEENS1_30default_config_static_selectorELNS0_4arch9wavefront6targetE1EEEvSM_,"axG",@progbits,_ZN7rocprim17ROCPRIM_400000_NS6detail17trampoline_kernelINS0_14default_configENS1_37merge_sort_block_sort_config_selectorIlNS0_10empty_typeEEEZNS1_21merge_sort_block_sortIS3_PlS8_PS5_S9_ZN2at6native12_GLOBAL__N_124unique_dim_cuda_templateImEESt5tupleIJNSA_6TensorESF_SF_EERKSF_lbbbEUlllE_EE10hipError_tT0_T1_T2_T3_mRjT4_P12ihipStream_tbNS1_7vsmem_tEEUlT_E_NS1_11comp_targetILNS1_3genE4ELNS1_11target_archE910ELNS1_3gpuE8ELNS1_3repE0EEENS1_30default_config_static_selectorELNS0_4arch9wavefront6targetE1EEEvSM_,comdat
	.globl	_ZN7rocprim17ROCPRIM_400000_NS6detail17trampoline_kernelINS0_14default_configENS1_37merge_sort_block_sort_config_selectorIlNS0_10empty_typeEEEZNS1_21merge_sort_block_sortIS3_PlS8_PS5_S9_ZN2at6native12_GLOBAL__N_124unique_dim_cuda_templateImEESt5tupleIJNSA_6TensorESF_SF_EERKSF_lbbbEUlllE_EE10hipError_tT0_T1_T2_T3_mRjT4_P12ihipStream_tbNS1_7vsmem_tEEUlT_E_NS1_11comp_targetILNS1_3genE4ELNS1_11target_archE910ELNS1_3gpuE8ELNS1_3repE0EEENS1_30default_config_static_selectorELNS0_4arch9wavefront6targetE1EEEvSM_ ; -- Begin function _ZN7rocprim17ROCPRIM_400000_NS6detail17trampoline_kernelINS0_14default_configENS1_37merge_sort_block_sort_config_selectorIlNS0_10empty_typeEEEZNS1_21merge_sort_block_sortIS3_PlS8_PS5_S9_ZN2at6native12_GLOBAL__N_124unique_dim_cuda_templateImEESt5tupleIJNSA_6TensorESF_SF_EERKSF_lbbbEUlllE_EE10hipError_tT0_T1_T2_T3_mRjT4_P12ihipStream_tbNS1_7vsmem_tEEUlT_E_NS1_11comp_targetILNS1_3genE4ELNS1_11target_archE910ELNS1_3gpuE8ELNS1_3repE0EEENS1_30default_config_static_selectorELNS0_4arch9wavefront6targetE1EEEvSM_
	.p2align	8
	.type	_ZN7rocprim17ROCPRIM_400000_NS6detail17trampoline_kernelINS0_14default_configENS1_37merge_sort_block_sort_config_selectorIlNS0_10empty_typeEEEZNS1_21merge_sort_block_sortIS3_PlS8_PS5_S9_ZN2at6native12_GLOBAL__N_124unique_dim_cuda_templateImEESt5tupleIJNSA_6TensorESF_SF_EERKSF_lbbbEUlllE_EE10hipError_tT0_T1_T2_T3_mRjT4_P12ihipStream_tbNS1_7vsmem_tEEUlT_E_NS1_11comp_targetILNS1_3genE4ELNS1_11target_archE910ELNS1_3gpuE8ELNS1_3repE0EEENS1_30default_config_static_selectorELNS0_4arch9wavefront6targetE1EEEvSM_,@function
_ZN7rocprim17ROCPRIM_400000_NS6detail17trampoline_kernelINS0_14default_configENS1_37merge_sort_block_sort_config_selectorIlNS0_10empty_typeEEEZNS1_21merge_sort_block_sortIS3_PlS8_PS5_S9_ZN2at6native12_GLOBAL__N_124unique_dim_cuda_templateImEESt5tupleIJNSA_6TensorESF_SF_EERKSF_lbbbEUlllE_EE10hipError_tT0_T1_T2_T3_mRjT4_P12ihipStream_tbNS1_7vsmem_tEEUlT_E_NS1_11comp_targetILNS1_3genE4ELNS1_11target_archE910ELNS1_3gpuE8ELNS1_3repE0EEENS1_30default_config_static_selectorELNS0_4arch9wavefront6targetE1EEEvSM_: ; @_ZN7rocprim17ROCPRIM_400000_NS6detail17trampoline_kernelINS0_14default_configENS1_37merge_sort_block_sort_config_selectorIlNS0_10empty_typeEEEZNS1_21merge_sort_block_sortIS3_PlS8_PS5_S9_ZN2at6native12_GLOBAL__N_124unique_dim_cuda_templateImEESt5tupleIJNSA_6TensorESF_SF_EERKSF_lbbbEUlllE_EE10hipError_tT0_T1_T2_T3_mRjT4_P12ihipStream_tbNS1_7vsmem_tEEUlT_E_NS1_11comp_targetILNS1_3genE4ELNS1_11target_archE910ELNS1_3gpuE8ELNS1_3repE0EEENS1_30default_config_static_selectorELNS0_4arch9wavefront6targetE1EEEvSM_
; %bb.0:
	.section	.rodata,"a",@progbits
	.p2align	6, 0x0
	.amdhsa_kernel _ZN7rocprim17ROCPRIM_400000_NS6detail17trampoline_kernelINS0_14default_configENS1_37merge_sort_block_sort_config_selectorIlNS0_10empty_typeEEEZNS1_21merge_sort_block_sortIS3_PlS8_PS5_S9_ZN2at6native12_GLOBAL__N_124unique_dim_cuda_templateImEESt5tupleIJNSA_6TensorESF_SF_EERKSF_lbbbEUlllE_EE10hipError_tT0_T1_T2_T3_mRjT4_P12ihipStream_tbNS1_7vsmem_tEEUlT_E_NS1_11comp_targetILNS1_3genE4ELNS1_11target_archE910ELNS1_3gpuE8ELNS1_3repE0EEENS1_30default_config_static_selectorELNS0_4arch9wavefront6targetE1EEEvSM_
		.amdhsa_group_segment_fixed_size 0
		.amdhsa_private_segment_fixed_size 0
		.amdhsa_kernarg_size 72
		.amdhsa_user_sgpr_count 2
		.amdhsa_user_sgpr_dispatch_ptr 0
		.amdhsa_user_sgpr_queue_ptr 0
		.amdhsa_user_sgpr_kernarg_segment_ptr 1
		.amdhsa_user_sgpr_dispatch_id 0
		.amdhsa_user_sgpr_kernarg_preload_length 0
		.amdhsa_user_sgpr_kernarg_preload_offset 0
		.amdhsa_user_sgpr_private_segment_size 0
		.amdhsa_uses_dynamic_stack 0
		.amdhsa_enable_private_segment 0
		.amdhsa_system_sgpr_workgroup_id_x 1
		.amdhsa_system_sgpr_workgroup_id_y 0
		.amdhsa_system_sgpr_workgroup_id_z 0
		.amdhsa_system_sgpr_workgroup_info 0
		.amdhsa_system_vgpr_workitem_id 0
		.amdhsa_next_free_vgpr 1
		.amdhsa_next_free_sgpr 0
		.amdhsa_accum_offset 4
		.amdhsa_reserve_vcc 0
		.amdhsa_float_round_mode_32 0
		.amdhsa_float_round_mode_16_64 0
		.amdhsa_float_denorm_mode_32 3
		.amdhsa_float_denorm_mode_16_64 3
		.amdhsa_dx10_clamp 1
		.amdhsa_ieee_mode 1
		.amdhsa_fp16_overflow 0
		.amdhsa_tg_split 0
		.amdhsa_exception_fp_ieee_invalid_op 0
		.amdhsa_exception_fp_denorm_src 0
		.amdhsa_exception_fp_ieee_div_zero 0
		.amdhsa_exception_fp_ieee_overflow 0
		.amdhsa_exception_fp_ieee_underflow 0
		.amdhsa_exception_fp_ieee_inexact 0
		.amdhsa_exception_int_div_zero 0
	.end_amdhsa_kernel
	.section	.text._ZN7rocprim17ROCPRIM_400000_NS6detail17trampoline_kernelINS0_14default_configENS1_37merge_sort_block_sort_config_selectorIlNS0_10empty_typeEEEZNS1_21merge_sort_block_sortIS3_PlS8_PS5_S9_ZN2at6native12_GLOBAL__N_124unique_dim_cuda_templateImEESt5tupleIJNSA_6TensorESF_SF_EERKSF_lbbbEUlllE_EE10hipError_tT0_T1_T2_T3_mRjT4_P12ihipStream_tbNS1_7vsmem_tEEUlT_E_NS1_11comp_targetILNS1_3genE4ELNS1_11target_archE910ELNS1_3gpuE8ELNS1_3repE0EEENS1_30default_config_static_selectorELNS0_4arch9wavefront6targetE1EEEvSM_,"axG",@progbits,_ZN7rocprim17ROCPRIM_400000_NS6detail17trampoline_kernelINS0_14default_configENS1_37merge_sort_block_sort_config_selectorIlNS0_10empty_typeEEEZNS1_21merge_sort_block_sortIS3_PlS8_PS5_S9_ZN2at6native12_GLOBAL__N_124unique_dim_cuda_templateImEESt5tupleIJNSA_6TensorESF_SF_EERKSF_lbbbEUlllE_EE10hipError_tT0_T1_T2_T3_mRjT4_P12ihipStream_tbNS1_7vsmem_tEEUlT_E_NS1_11comp_targetILNS1_3genE4ELNS1_11target_archE910ELNS1_3gpuE8ELNS1_3repE0EEENS1_30default_config_static_selectorELNS0_4arch9wavefront6targetE1EEEvSM_,comdat
.Lfunc_end1607:
	.size	_ZN7rocprim17ROCPRIM_400000_NS6detail17trampoline_kernelINS0_14default_configENS1_37merge_sort_block_sort_config_selectorIlNS0_10empty_typeEEEZNS1_21merge_sort_block_sortIS3_PlS8_PS5_S9_ZN2at6native12_GLOBAL__N_124unique_dim_cuda_templateImEESt5tupleIJNSA_6TensorESF_SF_EERKSF_lbbbEUlllE_EE10hipError_tT0_T1_T2_T3_mRjT4_P12ihipStream_tbNS1_7vsmem_tEEUlT_E_NS1_11comp_targetILNS1_3genE4ELNS1_11target_archE910ELNS1_3gpuE8ELNS1_3repE0EEENS1_30default_config_static_selectorELNS0_4arch9wavefront6targetE1EEEvSM_, .Lfunc_end1607-_ZN7rocprim17ROCPRIM_400000_NS6detail17trampoline_kernelINS0_14default_configENS1_37merge_sort_block_sort_config_selectorIlNS0_10empty_typeEEEZNS1_21merge_sort_block_sortIS3_PlS8_PS5_S9_ZN2at6native12_GLOBAL__N_124unique_dim_cuda_templateImEESt5tupleIJNSA_6TensorESF_SF_EERKSF_lbbbEUlllE_EE10hipError_tT0_T1_T2_T3_mRjT4_P12ihipStream_tbNS1_7vsmem_tEEUlT_E_NS1_11comp_targetILNS1_3genE4ELNS1_11target_archE910ELNS1_3gpuE8ELNS1_3repE0EEENS1_30default_config_static_selectorELNS0_4arch9wavefront6targetE1EEEvSM_
                                        ; -- End function
	.set _ZN7rocprim17ROCPRIM_400000_NS6detail17trampoline_kernelINS0_14default_configENS1_37merge_sort_block_sort_config_selectorIlNS0_10empty_typeEEEZNS1_21merge_sort_block_sortIS3_PlS8_PS5_S9_ZN2at6native12_GLOBAL__N_124unique_dim_cuda_templateImEESt5tupleIJNSA_6TensorESF_SF_EERKSF_lbbbEUlllE_EE10hipError_tT0_T1_T2_T3_mRjT4_P12ihipStream_tbNS1_7vsmem_tEEUlT_E_NS1_11comp_targetILNS1_3genE4ELNS1_11target_archE910ELNS1_3gpuE8ELNS1_3repE0EEENS1_30default_config_static_selectorELNS0_4arch9wavefront6targetE1EEEvSM_.num_vgpr, 0
	.set _ZN7rocprim17ROCPRIM_400000_NS6detail17trampoline_kernelINS0_14default_configENS1_37merge_sort_block_sort_config_selectorIlNS0_10empty_typeEEEZNS1_21merge_sort_block_sortIS3_PlS8_PS5_S9_ZN2at6native12_GLOBAL__N_124unique_dim_cuda_templateImEESt5tupleIJNSA_6TensorESF_SF_EERKSF_lbbbEUlllE_EE10hipError_tT0_T1_T2_T3_mRjT4_P12ihipStream_tbNS1_7vsmem_tEEUlT_E_NS1_11comp_targetILNS1_3genE4ELNS1_11target_archE910ELNS1_3gpuE8ELNS1_3repE0EEENS1_30default_config_static_selectorELNS0_4arch9wavefront6targetE1EEEvSM_.num_agpr, 0
	.set _ZN7rocprim17ROCPRIM_400000_NS6detail17trampoline_kernelINS0_14default_configENS1_37merge_sort_block_sort_config_selectorIlNS0_10empty_typeEEEZNS1_21merge_sort_block_sortIS3_PlS8_PS5_S9_ZN2at6native12_GLOBAL__N_124unique_dim_cuda_templateImEESt5tupleIJNSA_6TensorESF_SF_EERKSF_lbbbEUlllE_EE10hipError_tT0_T1_T2_T3_mRjT4_P12ihipStream_tbNS1_7vsmem_tEEUlT_E_NS1_11comp_targetILNS1_3genE4ELNS1_11target_archE910ELNS1_3gpuE8ELNS1_3repE0EEENS1_30default_config_static_selectorELNS0_4arch9wavefront6targetE1EEEvSM_.numbered_sgpr, 0
	.set _ZN7rocprim17ROCPRIM_400000_NS6detail17trampoline_kernelINS0_14default_configENS1_37merge_sort_block_sort_config_selectorIlNS0_10empty_typeEEEZNS1_21merge_sort_block_sortIS3_PlS8_PS5_S9_ZN2at6native12_GLOBAL__N_124unique_dim_cuda_templateImEESt5tupleIJNSA_6TensorESF_SF_EERKSF_lbbbEUlllE_EE10hipError_tT0_T1_T2_T3_mRjT4_P12ihipStream_tbNS1_7vsmem_tEEUlT_E_NS1_11comp_targetILNS1_3genE4ELNS1_11target_archE910ELNS1_3gpuE8ELNS1_3repE0EEENS1_30default_config_static_selectorELNS0_4arch9wavefront6targetE1EEEvSM_.num_named_barrier, 0
	.set _ZN7rocprim17ROCPRIM_400000_NS6detail17trampoline_kernelINS0_14default_configENS1_37merge_sort_block_sort_config_selectorIlNS0_10empty_typeEEEZNS1_21merge_sort_block_sortIS3_PlS8_PS5_S9_ZN2at6native12_GLOBAL__N_124unique_dim_cuda_templateImEESt5tupleIJNSA_6TensorESF_SF_EERKSF_lbbbEUlllE_EE10hipError_tT0_T1_T2_T3_mRjT4_P12ihipStream_tbNS1_7vsmem_tEEUlT_E_NS1_11comp_targetILNS1_3genE4ELNS1_11target_archE910ELNS1_3gpuE8ELNS1_3repE0EEENS1_30default_config_static_selectorELNS0_4arch9wavefront6targetE1EEEvSM_.private_seg_size, 0
	.set _ZN7rocprim17ROCPRIM_400000_NS6detail17trampoline_kernelINS0_14default_configENS1_37merge_sort_block_sort_config_selectorIlNS0_10empty_typeEEEZNS1_21merge_sort_block_sortIS3_PlS8_PS5_S9_ZN2at6native12_GLOBAL__N_124unique_dim_cuda_templateImEESt5tupleIJNSA_6TensorESF_SF_EERKSF_lbbbEUlllE_EE10hipError_tT0_T1_T2_T3_mRjT4_P12ihipStream_tbNS1_7vsmem_tEEUlT_E_NS1_11comp_targetILNS1_3genE4ELNS1_11target_archE910ELNS1_3gpuE8ELNS1_3repE0EEENS1_30default_config_static_selectorELNS0_4arch9wavefront6targetE1EEEvSM_.uses_vcc, 0
	.set _ZN7rocprim17ROCPRIM_400000_NS6detail17trampoline_kernelINS0_14default_configENS1_37merge_sort_block_sort_config_selectorIlNS0_10empty_typeEEEZNS1_21merge_sort_block_sortIS3_PlS8_PS5_S9_ZN2at6native12_GLOBAL__N_124unique_dim_cuda_templateImEESt5tupleIJNSA_6TensorESF_SF_EERKSF_lbbbEUlllE_EE10hipError_tT0_T1_T2_T3_mRjT4_P12ihipStream_tbNS1_7vsmem_tEEUlT_E_NS1_11comp_targetILNS1_3genE4ELNS1_11target_archE910ELNS1_3gpuE8ELNS1_3repE0EEENS1_30default_config_static_selectorELNS0_4arch9wavefront6targetE1EEEvSM_.uses_flat_scratch, 0
	.set _ZN7rocprim17ROCPRIM_400000_NS6detail17trampoline_kernelINS0_14default_configENS1_37merge_sort_block_sort_config_selectorIlNS0_10empty_typeEEEZNS1_21merge_sort_block_sortIS3_PlS8_PS5_S9_ZN2at6native12_GLOBAL__N_124unique_dim_cuda_templateImEESt5tupleIJNSA_6TensorESF_SF_EERKSF_lbbbEUlllE_EE10hipError_tT0_T1_T2_T3_mRjT4_P12ihipStream_tbNS1_7vsmem_tEEUlT_E_NS1_11comp_targetILNS1_3genE4ELNS1_11target_archE910ELNS1_3gpuE8ELNS1_3repE0EEENS1_30default_config_static_selectorELNS0_4arch9wavefront6targetE1EEEvSM_.has_dyn_sized_stack, 0
	.set _ZN7rocprim17ROCPRIM_400000_NS6detail17trampoline_kernelINS0_14default_configENS1_37merge_sort_block_sort_config_selectorIlNS0_10empty_typeEEEZNS1_21merge_sort_block_sortIS3_PlS8_PS5_S9_ZN2at6native12_GLOBAL__N_124unique_dim_cuda_templateImEESt5tupleIJNSA_6TensorESF_SF_EERKSF_lbbbEUlllE_EE10hipError_tT0_T1_T2_T3_mRjT4_P12ihipStream_tbNS1_7vsmem_tEEUlT_E_NS1_11comp_targetILNS1_3genE4ELNS1_11target_archE910ELNS1_3gpuE8ELNS1_3repE0EEENS1_30default_config_static_selectorELNS0_4arch9wavefront6targetE1EEEvSM_.has_recursion, 0
	.set _ZN7rocprim17ROCPRIM_400000_NS6detail17trampoline_kernelINS0_14default_configENS1_37merge_sort_block_sort_config_selectorIlNS0_10empty_typeEEEZNS1_21merge_sort_block_sortIS3_PlS8_PS5_S9_ZN2at6native12_GLOBAL__N_124unique_dim_cuda_templateImEESt5tupleIJNSA_6TensorESF_SF_EERKSF_lbbbEUlllE_EE10hipError_tT0_T1_T2_T3_mRjT4_P12ihipStream_tbNS1_7vsmem_tEEUlT_E_NS1_11comp_targetILNS1_3genE4ELNS1_11target_archE910ELNS1_3gpuE8ELNS1_3repE0EEENS1_30default_config_static_selectorELNS0_4arch9wavefront6targetE1EEEvSM_.has_indirect_call, 0
	.section	.AMDGPU.csdata,"",@progbits
; Kernel info:
; codeLenInByte = 0
; TotalNumSgprs: 6
; NumVgprs: 0
; NumAgprs: 0
; TotalNumVgprs: 0
; ScratchSize: 0
; MemoryBound: 0
; FloatMode: 240
; IeeeMode: 1
; LDSByteSize: 0 bytes/workgroup (compile time only)
; SGPRBlocks: 0
; VGPRBlocks: 0
; NumSGPRsForWavesPerEU: 6
; NumVGPRsForWavesPerEU: 1
; AccumOffset: 4
; Occupancy: 8
; WaveLimiterHint : 0
; COMPUTE_PGM_RSRC2:SCRATCH_EN: 0
; COMPUTE_PGM_RSRC2:USER_SGPR: 2
; COMPUTE_PGM_RSRC2:TRAP_HANDLER: 0
; COMPUTE_PGM_RSRC2:TGID_X_EN: 1
; COMPUTE_PGM_RSRC2:TGID_Y_EN: 0
; COMPUTE_PGM_RSRC2:TGID_Z_EN: 0
; COMPUTE_PGM_RSRC2:TIDIG_COMP_CNT: 0
; COMPUTE_PGM_RSRC3_GFX90A:ACCUM_OFFSET: 0
; COMPUTE_PGM_RSRC3_GFX90A:TG_SPLIT: 0
	.section	.text._ZN7rocprim17ROCPRIM_400000_NS6detail17trampoline_kernelINS0_14default_configENS1_37merge_sort_block_sort_config_selectorIlNS0_10empty_typeEEEZNS1_21merge_sort_block_sortIS3_PlS8_PS5_S9_ZN2at6native12_GLOBAL__N_124unique_dim_cuda_templateImEESt5tupleIJNSA_6TensorESF_SF_EERKSF_lbbbEUlllE_EE10hipError_tT0_T1_T2_T3_mRjT4_P12ihipStream_tbNS1_7vsmem_tEEUlT_E_NS1_11comp_targetILNS1_3genE3ELNS1_11target_archE908ELNS1_3gpuE7ELNS1_3repE0EEENS1_30default_config_static_selectorELNS0_4arch9wavefront6targetE1EEEvSM_,"axG",@progbits,_ZN7rocprim17ROCPRIM_400000_NS6detail17trampoline_kernelINS0_14default_configENS1_37merge_sort_block_sort_config_selectorIlNS0_10empty_typeEEEZNS1_21merge_sort_block_sortIS3_PlS8_PS5_S9_ZN2at6native12_GLOBAL__N_124unique_dim_cuda_templateImEESt5tupleIJNSA_6TensorESF_SF_EERKSF_lbbbEUlllE_EE10hipError_tT0_T1_T2_T3_mRjT4_P12ihipStream_tbNS1_7vsmem_tEEUlT_E_NS1_11comp_targetILNS1_3genE3ELNS1_11target_archE908ELNS1_3gpuE7ELNS1_3repE0EEENS1_30default_config_static_selectorELNS0_4arch9wavefront6targetE1EEEvSM_,comdat
	.globl	_ZN7rocprim17ROCPRIM_400000_NS6detail17trampoline_kernelINS0_14default_configENS1_37merge_sort_block_sort_config_selectorIlNS0_10empty_typeEEEZNS1_21merge_sort_block_sortIS3_PlS8_PS5_S9_ZN2at6native12_GLOBAL__N_124unique_dim_cuda_templateImEESt5tupleIJNSA_6TensorESF_SF_EERKSF_lbbbEUlllE_EE10hipError_tT0_T1_T2_T3_mRjT4_P12ihipStream_tbNS1_7vsmem_tEEUlT_E_NS1_11comp_targetILNS1_3genE3ELNS1_11target_archE908ELNS1_3gpuE7ELNS1_3repE0EEENS1_30default_config_static_selectorELNS0_4arch9wavefront6targetE1EEEvSM_ ; -- Begin function _ZN7rocprim17ROCPRIM_400000_NS6detail17trampoline_kernelINS0_14default_configENS1_37merge_sort_block_sort_config_selectorIlNS0_10empty_typeEEEZNS1_21merge_sort_block_sortIS3_PlS8_PS5_S9_ZN2at6native12_GLOBAL__N_124unique_dim_cuda_templateImEESt5tupleIJNSA_6TensorESF_SF_EERKSF_lbbbEUlllE_EE10hipError_tT0_T1_T2_T3_mRjT4_P12ihipStream_tbNS1_7vsmem_tEEUlT_E_NS1_11comp_targetILNS1_3genE3ELNS1_11target_archE908ELNS1_3gpuE7ELNS1_3repE0EEENS1_30default_config_static_selectorELNS0_4arch9wavefront6targetE1EEEvSM_
	.p2align	8
	.type	_ZN7rocprim17ROCPRIM_400000_NS6detail17trampoline_kernelINS0_14default_configENS1_37merge_sort_block_sort_config_selectorIlNS0_10empty_typeEEEZNS1_21merge_sort_block_sortIS3_PlS8_PS5_S9_ZN2at6native12_GLOBAL__N_124unique_dim_cuda_templateImEESt5tupleIJNSA_6TensorESF_SF_EERKSF_lbbbEUlllE_EE10hipError_tT0_T1_T2_T3_mRjT4_P12ihipStream_tbNS1_7vsmem_tEEUlT_E_NS1_11comp_targetILNS1_3genE3ELNS1_11target_archE908ELNS1_3gpuE7ELNS1_3repE0EEENS1_30default_config_static_selectorELNS0_4arch9wavefront6targetE1EEEvSM_,@function
_ZN7rocprim17ROCPRIM_400000_NS6detail17trampoline_kernelINS0_14default_configENS1_37merge_sort_block_sort_config_selectorIlNS0_10empty_typeEEEZNS1_21merge_sort_block_sortIS3_PlS8_PS5_S9_ZN2at6native12_GLOBAL__N_124unique_dim_cuda_templateImEESt5tupleIJNSA_6TensorESF_SF_EERKSF_lbbbEUlllE_EE10hipError_tT0_T1_T2_T3_mRjT4_P12ihipStream_tbNS1_7vsmem_tEEUlT_E_NS1_11comp_targetILNS1_3genE3ELNS1_11target_archE908ELNS1_3gpuE7ELNS1_3repE0EEENS1_30default_config_static_selectorELNS0_4arch9wavefront6targetE1EEEvSM_: ; @_ZN7rocprim17ROCPRIM_400000_NS6detail17trampoline_kernelINS0_14default_configENS1_37merge_sort_block_sort_config_selectorIlNS0_10empty_typeEEEZNS1_21merge_sort_block_sortIS3_PlS8_PS5_S9_ZN2at6native12_GLOBAL__N_124unique_dim_cuda_templateImEESt5tupleIJNSA_6TensorESF_SF_EERKSF_lbbbEUlllE_EE10hipError_tT0_T1_T2_T3_mRjT4_P12ihipStream_tbNS1_7vsmem_tEEUlT_E_NS1_11comp_targetILNS1_3genE3ELNS1_11target_archE908ELNS1_3gpuE7ELNS1_3repE0EEENS1_30default_config_static_selectorELNS0_4arch9wavefront6targetE1EEEvSM_
; %bb.0:
	.section	.rodata,"a",@progbits
	.p2align	6, 0x0
	.amdhsa_kernel _ZN7rocprim17ROCPRIM_400000_NS6detail17trampoline_kernelINS0_14default_configENS1_37merge_sort_block_sort_config_selectorIlNS0_10empty_typeEEEZNS1_21merge_sort_block_sortIS3_PlS8_PS5_S9_ZN2at6native12_GLOBAL__N_124unique_dim_cuda_templateImEESt5tupleIJNSA_6TensorESF_SF_EERKSF_lbbbEUlllE_EE10hipError_tT0_T1_T2_T3_mRjT4_P12ihipStream_tbNS1_7vsmem_tEEUlT_E_NS1_11comp_targetILNS1_3genE3ELNS1_11target_archE908ELNS1_3gpuE7ELNS1_3repE0EEENS1_30default_config_static_selectorELNS0_4arch9wavefront6targetE1EEEvSM_
		.amdhsa_group_segment_fixed_size 0
		.amdhsa_private_segment_fixed_size 0
		.amdhsa_kernarg_size 72
		.amdhsa_user_sgpr_count 2
		.amdhsa_user_sgpr_dispatch_ptr 0
		.amdhsa_user_sgpr_queue_ptr 0
		.amdhsa_user_sgpr_kernarg_segment_ptr 1
		.amdhsa_user_sgpr_dispatch_id 0
		.amdhsa_user_sgpr_kernarg_preload_length 0
		.amdhsa_user_sgpr_kernarg_preload_offset 0
		.amdhsa_user_sgpr_private_segment_size 0
		.amdhsa_uses_dynamic_stack 0
		.amdhsa_enable_private_segment 0
		.amdhsa_system_sgpr_workgroup_id_x 1
		.amdhsa_system_sgpr_workgroup_id_y 0
		.amdhsa_system_sgpr_workgroup_id_z 0
		.amdhsa_system_sgpr_workgroup_info 0
		.amdhsa_system_vgpr_workitem_id 0
		.amdhsa_next_free_vgpr 1
		.amdhsa_next_free_sgpr 0
		.amdhsa_accum_offset 4
		.amdhsa_reserve_vcc 0
		.amdhsa_float_round_mode_32 0
		.amdhsa_float_round_mode_16_64 0
		.amdhsa_float_denorm_mode_32 3
		.amdhsa_float_denorm_mode_16_64 3
		.amdhsa_dx10_clamp 1
		.amdhsa_ieee_mode 1
		.amdhsa_fp16_overflow 0
		.amdhsa_tg_split 0
		.amdhsa_exception_fp_ieee_invalid_op 0
		.amdhsa_exception_fp_denorm_src 0
		.amdhsa_exception_fp_ieee_div_zero 0
		.amdhsa_exception_fp_ieee_overflow 0
		.amdhsa_exception_fp_ieee_underflow 0
		.amdhsa_exception_fp_ieee_inexact 0
		.amdhsa_exception_int_div_zero 0
	.end_amdhsa_kernel
	.section	.text._ZN7rocprim17ROCPRIM_400000_NS6detail17trampoline_kernelINS0_14default_configENS1_37merge_sort_block_sort_config_selectorIlNS0_10empty_typeEEEZNS1_21merge_sort_block_sortIS3_PlS8_PS5_S9_ZN2at6native12_GLOBAL__N_124unique_dim_cuda_templateImEESt5tupleIJNSA_6TensorESF_SF_EERKSF_lbbbEUlllE_EE10hipError_tT0_T1_T2_T3_mRjT4_P12ihipStream_tbNS1_7vsmem_tEEUlT_E_NS1_11comp_targetILNS1_3genE3ELNS1_11target_archE908ELNS1_3gpuE7ELNS1_3repE0EEENS1_30default_config_static_selectorELNS0_4arch9wavefront6targetE1EEEvSM_,"axG",@progbits,_ZN7rocprim17ROCPRIM_400000_NS6detail17trampoline_kernelINS0_14default_configENS1_37merge_sort_block_sort_config_selectorIlNS0_10empty_typeEEEZNS1_21merge_sort_block_sortIS3_PlS8_PS5_S9_ZN2at6native12_GLOBAL__N_124unique_dim_cuda_templateImEESt5tupleIJNSA_6TensorESF_SF_EERKSF_lbbbEUlllE_EE10hipError_tT0_T1_T2_T3_mRjT4_P12ihipStream_tbNS1_7vsmem_tEEUlT_E_NS1_11comp_targetILNS1_3genE3ELNS1_11target_archE908ELNS1_3gpuE7ELNS1_3repE0EEENS1_30default_config_static_selectorELNS0_4arch9wavefront6targetE1EEEvSM_,comdat
.Lfunc_end1608:
	.size	_ZN7rocprim17ROCPRIM_400000_NS6detail17trampoline_kernelINS0_14default_configENS1_37merge_sort_block_sort_config_selectorIlNS0_10empty_typeEEEZNS1_21merge_sort_block_sortIS3_PlS8_PS5_S9_ZN2at6native12_GLOBAL__N_124unique_dim_cuda_templateImEESt5tupleIJNSA_6TensorESF_SF_EERKSF_lbbbEUlllE_EE10hipError_tT0_T1_T2_T3_mRjT4_P12ihipStream_tbNS1_7vsmem_tEEUlT_E_NS1_11comp_targetILNS1_3genE3ELNS1_11target_archE908ELNS1_3gpuE7ELNS1_3repE0EEENS1_30default_config_static_selectorELNS0_4arch9wavefront6targetE1EEEvSM_, .Lfunc_end1608-_ZN7rocprim17ROCPRIM_400000_NS6detail17trampoline_kernelINS0_14default_configENS1_37merge_sort_block_sort_config_selectorIlNS0_10empty_typeEEEZNS1_21merge_sort_block_sortIS3_PlS8_PS5_S9_ZN2at6native12_GLOBAL__N_124unique_dim_cuda_templateImEESt5tupleIJNSA_6TensorESF_SF_EERKSF_lbbbEUlllE_EE10hipError_tT0_T1_T2_T3_mRjT4_P12ihipStream_tbNS1_7vsmem_tEEUlT_E_NS1_11comp_targetILNS1_3genE3ELNS1_11target_archE908ELNS1_3gpuE7ELNS1_3repE0EEENS1_30default_config_static_selectorELNS0_4arch9wavefront6targetE1EEEvSM_
                                        ; -- End function
	.set _ZN7rocprim17ROCPRIM_400000_NS6detail17trampoline_kernelINS0_14default_configENS1_37merge_sort_block_sort_config_selectorIlNS0_10empty_typeEEEZNS1_21merge_sort_block_sortIS3_PlS8_PS5_S9_ZN2at6native12_GLOBAL__N_124unique_dim_cuda_templateImEESt5tupleIJNSA_6TensorESF_SF_EERKSF_lbbbEUlllE_EE10hipError_tT0_T1_T2_T3_mRjT4_P12ihipStream_tbNS1_7vsmem_tEEUlT_E_NS1_11comp_targetILNS1_3genE3ELNS1_11target_archE908ELNS1_3gpuE7ELNS1_3repE0EEENS1_30default_config_static_selectorELNS0_4arch9wavefront6targetE1EEEvSM_.num_vgpr, 0
	.set _ZN7rocprim17ROCPRIM_400000_NS6detail17trampoline_kernelINS0_14default_configENS1_37merge_sort_block_sort_config_selectorIlNS0_10empty_typeEEEZNS1_21merge_sort_block_sortIS3_PlS8_PS5_S9_ZN2at6native12_GLOBAL__N_124unique_dim_cuda_templateImEESt5tupleIJNSA_6TensorESF_SF_EERKSF_lbbbEUlllE_EE10hipError_tT0_T1_T2_T3_mRjT4_P12ihipStream_tbNS1_7vsmem_tEEUlT_E_NS1_11comp_targetILNS1_3genE3ELNS1_11target_archE908ELNS1_3gpuE7ELNS1_3repE0EEENS1_30default_config_static_selectorELNS0_4arch9wavefront6targetE1EEEvSM_.num_agpr, 0
	.set _ZN7rocprim17ROCPRIM_400000_NS6detail17trampoline_kernelINS0_14default_configENS1_37merge_sort_block_sort_config_selectorIlNS0_10empty_typeEEEZNS1_21merge_sort_block_sortIS3_PlS8_PS5_S9_ZN2at6native12_GLOBAL__N_124unique_dim_cuda_templateImEESt5tupleIJNSA_6TensorESF_SF_EERKSF_lbbbEUlllE_EE10hipError_tT0_T1_T2_T3_mRjT4_P12ihipStream_tbNS1_7vsmem_tEEUlT_E_NS1_11comp_targetILNS1_3genE3ELNS1_11target_archE908ELNS1_3gpuE7ELNS1_3repE0EEENS1_30default_config_static_selectorELNS0_4arch9wavefront6targetE1EEEvSM_.numbered_sgpr, 0
	.set _ZN7rocprim17ROCPRIM_400000_NS6detail17trampoline_kernelINS0_14default_configENS1_37merge_sort_block_sort_config_selectorIlNS0_10empty_typeEEEZNS1_21merge_sort_block_sortIS3_PlS8_PS5_S9_ZN2at6native12_GLOBAL__N_124unique_dim_cuda_templateImEESt5tupleIJNSA_6TensorESF_SF_EERKSF_lbbbEUlllE_EE10hipError_tT0_T1_T2_T3_mRjT4_P12ihipStream_tbNS1_7vsmem_tEEUlT_E_NS1_11comp_targetILNS1_3genE3ELNS1_11target_archE908ELNS1_3gpuE7ELNS1_3repE0EEENS1_30default_config_static_selectorELNS0_4arch9wavefront6targetE1EEEvSM_.num_named_barrier, 0
	.set _ZN7rocprim17ROCPRIM_400000_NS6detail17trampoline_kernelINS0_14default_configENS1_37merge_sort_block_sort_config_selectorIlNS0_10empty_typeEEEZNS1_21merge_sort_block_sortIS3_PlS8_PS5_S9_ZN2at6native12_GLOBAL__N_124unique_dim_cuda_templateImEESt5tupleIJNSA_6TensorESF_SF_EERKSF_lbbbEUlllE_EE10hipError_tT0_T1_T2_T3_mRjT4_P12ihipStream_tbNS1_7vsmem_tEEUlT_E_NS1_11comp_targetILNS1_3genE3ELNS1_11target_archE908ELNS1_3gpuE7ELNS1_3repE0EEENS1_30default_config_static_selectorELNS0_4arch9wavefront6targetE1EEEvSM_.private_seg_size, 0
	.set _ZN7rocprim17ROCPRIM_400000_NS6detail17trampoline_kernelINS0_14default_configENS1_37merge_sort_block_sort_config_selectorIlNS0_10empty_typeEEEZNS1_21merge_sort_block_sortIS3_PlS8_PS5_S9_ZN2at6native12_GLOBAL__N_124unique_dim_cuda_templateImEESt5tupleIJNSA_6TensorESF_SF_EERKSF_lbbbEUlllE_EE10hipError_tT0_T1_T2_T3_mRjT4_P12ihipStream_tbNS1_7vsmem_tEEUlT_E_NS1_11comp_targetILNS1_3genE3ELNS1_11target_archE908ELNS1_3gpuE7ELNS1_3repE0EEENS1_30default_config_static_selectorELNS0_4arch9wavefront6targetE1EEEvSM_.uses_vcc, 0
	.set _ZN7rocprim17ROCPRIM_400000_NS6detail17trampoline_kernelINS0_14default_configENS1_37merge_sort_block_sort_config_selectorIlNS0_10empty_typeEEEZNS1_21merge_sort_block_sortIS3_PlS8_PS5_S9_ZN2at6native12_GLOBAL__N_124unique_dim_cuda_templateImEESt5tupleIJNSA_6TensorESF_SF_EERKSF_lbbbEUlllE_EE10hipError_tT0_T1_T2_T3_mRjT4_P12ihipStream_tbNS1_7vsmem_tEEUlT_E_NS1_11comp_targetILNS1_3genE3ELNS1_11target_archE908ELNS1_3gpuE7ELNS1_3repE0EEENS1_30default_config_static_selectorELNS0_4arch9wavefront6targetE1EEEvSM_.uses_flat_scratch, 0
	.set _ZN7rocprim17ROCPRIM_400000_NS6detail17trampoline_kernelINS0_14default_configENS1_37merge_sort_block_sort_config_selectorIlNS0_10empty_typeEEEZNS1_21merge_sort_block_sortIS3_PlS8_PS5_S9_ZN2at6native12_GLOBAL__N_124unique_dim_cuda_templateImEESt5tupleIJNSA_6TensorESF_SF_EERKSF_lbbbEUlllE_EE10hipError_tT0_T1_T2_T3_mRjT4_P12ihipStream_tbNS1_7vsmem_tEEUlT_E_NS1_11comp_targetILNS1_3genE3ELNS1_11target_archE908ELNS1_3gpuE7ELNS1_3repE0EEENS1_30default_config_static_selectorELNS0_4arch9wavefront6targetE1EEEvSM_.has_dyn_sized_stack, 0
	.set _ZN7rocprim17ROCPRIM_400000_NS6detail17trampoline_kernelINS0_14default_configENS1_37merge_sort_block_sort_config_selectorIlNS0_10empty_typeEEEZNS1_21merge_sort_block_sortIS3_PlS8_PS5_S9_ZN2at6native12_GLOBAL__N_124unique_dim_cuda_templateImEESt5tupleIJNSA_6TensorESF_SF_EERKSF_lbbbEUlllE_EE10hipError_tT0_T1_T2_T3_mRjT4_P12ihipStream_tbNS1_7vsmem_tEEUlT_E_NS1_11comp_targetILNS1_3genE3ELNS1_11target_archE908ELNS1_3gpuE7ELNS1_3repE0EEENS1_30default_config_static_selectorELNS0_4arch9wavefront6targetE1EEEvSM_.has_recursion, 0
	.set _ZN7rocprim17ROCPRIM_400000_NS6detail17trampoline_kernelINS0_14default_configENS1_37merge_sort_block_sort_config_selectorIlNS0_10empty_typeEEEZNS1_21merge_sort_block_sortIS3_PlS8_PS5_S9_ZN2at6native12_GLOBAL__N_124unique_dim_cuda_templateImEESt5tupleIJNSA_6TensorESF_SF_EERKSF_lbbbEUlllE_EE10hipError_tT0_T1_T2_T3_mRjT4_P12ihipStream_tbNS1_7vsmem_tEEUlT_E_NS1_11comp_targetILNS1_3genE3ELNS1_11target_archE908ELNS1_3gpuE7ELNS1_3repE0EEENS1_30default_config_static_selectorELNS0_4arch9wavefront6targetE1EEEvSM_.has_indirect_call, 0
	.section	.AMDGPU.csdata,"",@progbits
; Kernel info:
; codeLenInByte = 0
; TotalNumSgprs: 6
; NumVgprs: 0
; NumAgprs: 0
; TotalNumVgprs: 0
; ScratchSize: 0
; MemoryBound: 0
; FloatMode: 240
; IeeeMode: 1
; LDSByteSize: 0 bytes/workgroup (compile time only)
; SGPRBlocks: 0
; VGPRBlocks: 0
; NumSGPRsForWavesPerEU: 6
; NumVGPRsForWavesPerEU: 1
; AccumOffset: 4
; Occupancy: 8
; WaveLimiterHint : 0
; COMPUTE_PGM_RSRC2:SCRATCH_EN: 0
; COMPUTE_PGM_RSRC2:USER_SGPR: 2
; COMPUTE_PGM_RSRC2:TRAP_HANDLER: 0
; COMPUTE_PGM_RSRC2:TGID_X_EN: 1
; COMPUTE_PGM_RSRC2:TGID_Y_EN: 0
; COMPUTE_PGM_RSRC2:TGID_Z_EN: 0
; COMPUTE_PGM_RSRC2:TIDIG_COMP_CNT: 0
; COMPUTE_PGM_RSRC3_GFX90A:ACCUM_OFFSET: 0
; COMPUTE_PGM_RSRC3_GFX90A:TG_SPLIT: 0
	.section	.text._ZN7rocprim17ROCPRIM_400000_NS6detail17trampoline_kernelINS0_14default_configENS1_37merge_sort_block_sort_config_selectorIlNS0_10empty_typeEEEZNS1_21merge_sort_block_sortIS3_PlS8_PS5_S9_ZN2at6native12_GLOBAL__N_124unique_dim_cuda_templateImEESt5tupleIJNSA_6TensorESF_SF_EERKSF_lbbbEUlllE_EE10hipError_tT0_T1_T2_T3_mRjT4_P12ihipStream_tbNS1_7vsmem_tEEUlT_E_NS1_11comp_targetILNS1_3genE2ELNS1_11target_archE906ELNS1_3gpuE6ELNS1_3repE0EEENS1_30default_config_static_selectorELNS0_4arch9wavefront6targetE1EEEvSM_,"axG",@progbits,_ZN7rocprim17ROCPRIM_400000_NS6detail17trampoline_kernelINS0_14default_configENS1_37merge_sort_block_sort_config_selectorIlNS0_10empty_typeEEEZNS1_21merge_sort_block_sortIS3_PlS8_PS5_S9_ZN2at6native12_GLOBAL__N_124unique_dim_cuda_templateImEESt5tupleIJNSA_6TensorESF_SF_EERKSF_lbbbEUlllE_EE10hipError_tT0_T1_T2_T3_mRjT4_P12ihipStream_tbNS1_7vsmem_tEEUlT_E_NS1_11comp_targetILNS1_3genE2ELNS1_11target_archE906ELNS1_3gpuE6ELNS1_3repE0EEENS1_30default_config_static_selectorELNS0_4arch9wavefront6targetE1EEEvSM_,comdat
	.globl	_ZN7rocprim17ROCPRIM_400000_NS6detail17trampoline_kernelINS0_14default_configENS1_37merge_sort_block_sort_config_selectorIlNS0_10empty_typeEEEZNS1_21merge_sort_block_sortIS3_PlS8_PS5_S9_ZN2at6native12_GLOBAL__N_124unique_dim_cuda_templateImEESt5tupleIJNSA_6TensorESF_SF_EERKSF_lbbbEUlllE_EE10hipError_tT0_T1_T2_T3_mRjT4_P12ihipStream_tbNS1_7vsmem_tEEUlT_E_NS1_11comp_targetILNS1_3genE2ELNS1_11target_archE906ELNS1_3gpuE6ELNS1_3repE0EEENS1_30default_config_static_selectorELNS0_4arch9wavefront6targetE1EEEvSM_ ; -- Begin function _ZN7rocprim17ROCPRIM_400000_NS6detail17trampoline_kernelINS0_14default_configENS1_37merge_sort_block_sort_config_selectorIlNS0_10empty_typeEEEZNS1_21merge_sort_block_sortIS3_PlS8_PS5_S9_ZN2at6native12_GLOBAL__N_124unique_dim_cuda_templateImEESt5tupleIJNSA_6TensorESF_SF_EERKSF_lbbbEUlllE_EE10hipError_tT0_T1_T2_T3_mRjT4_P12ihipStream_tbNS1_7vsmem_tEEUlT_E_NS1_11comp_targetILNS1_3genE2ELNS1_11target_archE906ELNS1_3gpuE6ELNS1_3repE0EEENS1_30default_config_static_selectorELNS0_4arch9wavefront6targetE1EEEvSM_
	.p2align	8
	.type	_ZN7rocprim17ROCPRIM_400000_NS6detail17trampoline_kernelINS0_14default_configENS1_37merge_sort_block_sort_config_selectorIlNS0_10empty_typeEEEZNS1_21merge_sort_block_sortIS3_PlS8_PS5_S9_ZN2at6native12_GLOBAL__N_124unique_dim_cuda_templateImEESt5tupleIJNSA_6TensorESF_SF_EERKSF_lbbbEUlllE_EE10hipError_tT0_T1_T2_T3_mRjT4_P12ihipStream_tbNS1_7vsmem_tEEUlT_E_NS1_11comp_targetILNS1_3genE2ELNS1_11target_archE906ELNS1_3gpuE6ELNS1_3repE0EEENS1_30default_config_static_selectorELNS0_4arch9wavefront6targetE1EEEvSM_,@function
_ZN7rocprim17ROCPRIM_400000_NS6detail17trampoline_kernelINS0_14default_configENS1_37merge_sort_block_sort_config_selectorIlNS0_10empty_typeEEEZNS1_21merge_sort_block_sortIS3_PlS8_PS5_S9_ZN2at6native12_GLOBAL__N_124unique_dim_cuda_templateImEESt5tupleIJNSA_6TensorESF_SF_EERKSF_lbbbEUlllE_EE10hipError_tT0_T1_T2_T3_mRjT4_P12ihipStream_tbNS1_7vsmem_tEEUlT_E_NS1_11comp_targetILNS1_3genE2ELNS1_11target_archE906ELNS1_3gpuE6ELNS1_3repE0EEENS1_30default_config_static_selectorELNS0_4arch9wavefront6targetE1EEEvSM_: ; @_ZN7rocprim17ROCPRIM_400000_NS6detail17trampoline_kernelINS0_14default_configENS1_37merge_sort_block_sort_config_selectorIlNS0_10empty_typeEEEZNS1_21merge_sort_block_sortIS3_PlS8_PS5_S9_ZN2at6native12_GLOBAL__N_124unique_dim_cuda_templateImEESt5tupleIJNSA_6TensorESF_SF_EERKSF_lbbbEUlllE_EE10hipError_tT0_T1_T2_T3_mRjT4_P12ihipStream_tbNS1_7vsmem_tEEUlT_E_NS1_11comp_targetILNS1_3genE2ELNS1_11target_archE906ELNS1_3gpuE6ELNS1_3repE0EEENS1_30default_config_static_selectorELNS0_4arch9wavefront6targetE1EEEvSM_
; %bb.0:
	.section	.rodata,"a",@progbits
	.p2align	6, 0x0
	.amdhsa_kernel _ZN7rocprim17ROCPRIM_400000_NS6detail17trampoline_kernelINS0_14default_configENS1_37merge_sort_block_sort_config_selectorIlNS0_10empty_typeEEEZNS1_21merge_sort_block_sortIS3_PlS8_PS5_S9_ZN2at6native12_GLOBAL__N_124unique_dim_cuda_templateImEESt5tupleIJNSA_6TensorESF_SF_EERKSF_lbbbEUlllE_EE10hipError_tT0_T1_T2_T3_mRjT4_P12ihipStream_tbNS1_7vsmem_tEEUlT_E_NS1_11comp_targetILNS1_3genE2ELNS1_11target_archE906ELNS1_3gpuE6ELNS1_3repE0EEENS1_30default_config_static_selectorELNS0_4arch9wavefront6targetE1EEEvSM_
		.amdhsa_group_segment_fixed_size 0
		.amdhsa_private_segment_fixed_size 0
		.amdhsa_kernarg_size 72
		.amdhsa_user_sgpr_count 2
		.amdhsa_user_sgpr_dispatch_ptr 0
		.amdhsa_user_sgpr_queue_ptr 0
		.amdhsa_user_sgpr_kernarg_segment_ptr 1
		.amdhsa_user_sgpr_dispatch_id 0
		.amdhsa_user_sgpr_kernarg_preload_length 0
		.amdhsa_user_sgpr_kernarg_preload_offset 0
		.amdhsa_user_sgpr_private_segment_size 0
		.amdhsa_uses_dynamic_stack 0
		.amdhsa_enable_private_segment 0
		.amdhsa_system_sgpr_workgroup_id_x 1
		.amdhsa_system_sgpr_workgroup_id_y 0
		.amdhsa_system_sgpr_workgroup_id_z 0
		.amdhsa_system_sgpr_workgroup_info 0
		.amdhsa_system_vgpr_workitem_id 0
		.amdhsa_next_free_vgpr 1
		.amdhsa_next_free_sgpr 0
		.amdhsa_accum_offset 4
		.amdhsa_reserve_vcc 0
		.amdhsa_float_round_mode_32 0
		.amdhsa_float_round_mode_16_64 0
		.amdhsa_float_denorm_mode_32 3
		.amdhsa_float_denorm_mode_16_64 3
		.amdhsa_dx10_clamp 1
		.amdhsa_ieee_mode 1
		.amdhsa_fp16_overflow 0
		.amdhsa_tg_split 0
		.amdhsa_exception_fp_ieee_invalid_op 0
		.amdhsa_exception_fp_denorm_src 0
		.amdhsa_exception_fp_ieee_div_zero 0
		.amdhsa_exception_fp_ieee_overflow 0
		.amdhsa_exception_fp_ieee_underflow 0
		.amdhsa_exception_fp_ieee_inexact 0
		.amdhsa_exception_int_div_zero 0
	.end_amdhsa_kernel
	.section	.text._ZN7rocprim17ROCPRIM_400000_NS6detail17trampoline_kernelINS0_14default_configENS1_37merge_sort_block_sort_config_selectorIlNS0_10empty_typeEEEZNS1_21merge_sort_block_sortIS3_PlS8_PS5_S9_ZN2at6native12_GLOBAL__N_124unique_dim_cuda_templateImEESt5tupleIJNSA_6TensorESF_SF_EERKSF_lbbbEUlllE_EE10hipError_tT0_T1_T2_T3_mRjT4_P12ihipStream_tbNS1_7vsmem_tEEUlT_E_NS1_11comp_targetILNS1_3genE2ELNS1_11target_archE906ELNS1_3gpuE6ELNS1_3repE0EEENS1_30default_config_static_selectorELNS0_4arch9wavefront6targetE1EEEvSM_,"axG",@progbits,_ZN7rocprim17ROCPRIM_400000_NS6detail17trampoline_kernelINS0_14default_configENS1_37merge_sort_block_sort_config_selectorIlNS0_10empty_typeEEEZNS1_21merge_sort_block_sortIS3_PlS8_PS5_S9_ZN2at6native12_GLOBAL__N_124unique_dim_cuda_templateImEESt5tupleIJNSA_6TensorESF_SF_EERKSF_lbbbEUlllE_EE10hipError_tT0_T1_T2_T3_mRjT4_P12ihipStream_tbNS1_7vsmem_tEEUlT_E_NS1_11comp_targetILNS1_3genE2ELNS1_11target_archE906ELNS1_3gpuE6ELNS1_3repE0EEENS1_30default_config_static_selectorELNS0_4arch9wavefront6targetE1EEEvSM_,comdat
.Lfunc_end1609:
	.size	_ZN7rocprim17ROCPRIM_400000_NS6detail17trampoline_kernelINS0_14default_configENS1_37merge_sort_block_sort_config_selectorIlNS0_10empty_typeEEEZNS1_21merge_sort_block_sortIS3_PlS8_PS5_S9_ZN2at6native12_GLOBAL__N_124unique_dim_cuda_templateImEESt5tupleIJNSA_6TensorESF_SF_EERKSF_lbbbEUlllE_EE10hipError_tT0_T1_T2_T3_mRjT4_P12ihipStream_tbNS1_7vsmem_tEEUlT_E_NS1_11comp_targetILNS1_3genE2ELNS1_11target_archE906ELNS1_3gpuE6ELNS1_3repE0EEENS1_30default_config_static_selectorELNS0_4arch9wavefront6targetE1EEEvSM_, .Lfunc_end1609-_ZN7rocprim17ROCPRIM_400000_NS6detail17trampoline_kernelINS0_14default_configENS1_37merge_sort_block_sort_config_selectorIlNS0_10empty_typeEEEZNS1_21merge_sort_block_sortIS3_PlS8_PS5_S9_ZN2at6native12_GLOBAL__N_124unique_dim_cuda_templateImEESt5tupleIJNSA_6TensorESF_SF_EERKSF_lbbbEUlllE_EE10hipError_tT0_T1_T2_T3_mRjT4_P12ihipStream_tbNS1_7vsmem_tEEUlT_E_NS1_11comp_targetILNS1_3genE2ELNS1_11target_archE906ELNS1_3gpuE6ELNS1_3repE0EEENS1_30default_config_static_selectorELNS0_4arch9wavefront6targetE1EEEvSM_
                                        ; -- End function
	.set _ZN7rocprim17ROCPRIM_400000_NS6detail17trampoline_kernelINS0_14default_configENS1_37merge_sort_block_sort_config_selectorIlNS0_10empty_typeEEEZNS1_21merge_sort_block_sortIS3_PlS8_PS5_S9_ZN2at6native12_GLOBAL__N_124unique_dim_cuda_templateImEESt5tupleIJNSA_6TensorESF_SF_EERKSF_lbbbEUlllE_EE10hipError_tT0_T1_T2_T3_mRjT4_P12ihipStream_tbNS1_7vsmem_tEEUlT_E_NS1_11comp_targetILNS1_3genE2ELNS1_11target_archE906ELNS1_3gpuE6ELNS1_3repE0EEENS1_30default_config_static_selectorELNS0_4arch9wavefront6targetE1EEEvSM_.num_vgpr, 0
	.set _ZN7rocprim17ROCPRIM_400000_NS6detail17trampoline_kernelINS0_14default_configENS1_37merge_sort_block_sort_config_selectorIlNS0_10empty_typeEEEZNS1_21merge_sort_block_sortIS3_PlS8_PS5_S9_ZN2at6native12_GLOBAL__N_124unique_dim_cuda_templateImEESt5tupleIJNSA_6TensorESF_SF_EERKSF_lbbbEUlllE_EE10hipError_tT0_T1_T2_T3_mRjT4_P12ihipStream_tbNS1_7vsmem_tEEUlT_E_NS1_11comp_targetILNS1_3genE2ELNS1_11target_archE906ELNS1_3gpuE6ELNS1_3repE0EEENS1_30default_config_static_selectorELNS0_4arch9wavefront6targetE1EEEvSM_.num_agpr, 0
	.set _ZN7rocprim17ROCPRIM_400000_NS6detail17trampoline_kernelINS0_14default_configENS1_37merge_sort_block_sort_config_selectorIlNS0_10empty_typeEEEZNS1_21merge_sort_block_sortIS3_PlS8_PS5_S9_ZN2at6native12_GLOBAL__N_124unique_dim_cuda_templateImEESt5tupleIJNSA_6TensorESF_SF_EERKSF_lbbbEUlllE_EE10hipError_tT0_T1_T2_T3_mRjT4_P12ihipStream_tbNS1_7vsmem_tEEUlT_E_NS1_11comp_targetILNS1_3genE2ELNS1_11target_archE906ELNS1_3gpuE6ELNS1_3repE0EEENS1_30default_config_static_selectorELNS0_4arch9wavefront6targetE1EEEvSM_.numbered_sgpr, 0
	.set _ZN7rocprim17ROCPRIM_400000_NS6detail17trampoline_kernelINS0_14default_configENS1_37merge_sort_block_sort_config_selectorIlNS0_10empty_typeEEEZNS1_21merge_sort_block_sortIS3_PlS8_PS5_S9_ZN2at6native12_GLOBAL__N_124unique_dim_cuda_templateImEESt5tupleIJNSA_6TensorESF_SF_EERKSF_lbbbEUlllE_EE10hipError_tT0_T1_T2_T3_mRjT4_P12ihipStream_tbNS1_7vsmem_tEEUlT_E_NS1_11comp_targetILNS1_3genE2ELNS1_11target_archE906ELNS1_3gpuE6ELNS1_3repE0EEENS1_30default_config_static_selectorELNS0_4arch9wavefront6targetE1EEEvSM_.num_named_barrier, 0
	.set _ZN7rocprim17ROCPRIM_400000_NS6detail17trampoline_kernelINS0_14default_configENS1_37merge_sort_block_sort_config_selectorIlNS0_10empty_typeEEEZNS1_21merge_sort_block_sortIS3_PlS8_PS5_S9_ZN2at6native12_GLOBAL__N_124unique_dim_cuda_templateImEESt5tupleIJNSA_6TensorESF_SF_EERKSF_lbbbEUlllE_EE10hipError_tT0_T1_T2_T3_mRjT4_P12ihipStream_tbNS1_7vsmem_tEEUlT_E_NS1_11comp_targetILNS1_3genE2ELNS1_11target_archE906ELNS1_3gpuE6ELNS1_3repE0EEENS1_30default_config_static_selectorELNS0_4arch9wavefront6targetE1EEEvSM_.private_seg_size, 0
	.set _ZN7rocprim17ROCPRIM_400000_NS6detail17trampoline_kernelINS0_14default_configENS1_37merge_sort_block_sort_config_selectorIlNS0_10empty_typeEEEZNS1_21merge_sort_block_sortIS3_PlS8_PS5_S9_ZN2at6native12_GLOBAL__N_124unique_dim_cuda_templateImEESt5tupleIJNSA_6TensorESF_SF_EERKSF_lbbbEUlllE_EE10hipError_tT0_T1_T2_T3_mRjT4_P12ihipStream_tbNS1_7vsmem_tEEUlT_E_NS1_11comp_targetILNS1_3genE2ELNS1_11target_archE906ELNS1_3gpuE6ELNS1_3repE0EEENS1_30default_config_static_selectorELNS0_4arch9wavefront6targetE1EEEvSM_.uses_vcc, 0
	.set _ZN7rocprim17ROCPRIM_400000_NS6detail17trampoline_kernelINS0_14default_configENS1_37merge_sort_block_sort_config_selectorIlNS0_10empty_typeEEEZNS1_21merge_sort_block_sortIS3_PlS8_PS5_S9_ZN2at6native12_GLOBAL__N_124unique_dim_cuda_templateImEESt5tupleIJNSA_6TensorESF_SF_EERKSF_lbbbEUlllE_EE10hipError_tT0_T1_T2_T3_mRjT4_P12ihipStream_tbNS1_7vsmem_tEEUlT_E_NS1_11comp_targetILNS1_3genE2ELNS1_11target_archE906ELNS1_3gpuE6ELNS1_3repE0EEENS1_30default_config_static_selectorELNS0_4arch9wavefront6targetE1EEEvSM_.uses_flat_scratch, 0
	.set _ZN7rocprim17ROCPRIM_400000_NS6detail17trampoline_kernelINS0_14default_configENS1_37merge_sort_block_sort_config_selectorIlNS0_10empty_typeEEEZNS1_21merge_sort_block_sortIS3_PlS8_PS5_S9_ZN2at6native12_GLOBAL__N_124unique_dim_cuda_templateImEESt5tupleIJNSA_6TensorESF_SF_EERKSF_lbbbEUlllE_EE10hipError_tT0_T1_T2_T3_mRjT4_P12ihipStream_tbNS1_7vsmem_tEEUlT_E_NS1_11comp_targetILNS1_3genE2ELNS1_11target_archE906ELNS1_3gpuE6ELNS1_3repE0EEENS1_30default_config_static_selectorELNS0_4arch9wavefront6targetE1EEEvSM_.has_dyn_sized_stack, 0
	.set _ZN7rocprim17ROCPRIM_400000_NS6detail17trampoline_kernelINS0_14default_configENS1_37merge_sort_block_sort_config_selectorIlNS0_10empty_typeEEEZNS1_21merge_sort_block_sortIS3_PlS8_PS5_S9_ZN2at6native12_GLOBAL__N_124unique_dim_cuda_templateImEESt5tupleIJNSA_6TensorESF_SF_EERKSF_lbbbEUlllE_EE10hipError_tT0_T1_T2_T3_mRjT4_P12ihipStream_tbNS1_7vsmem_tEEUlT_E_NS1_11comp_targetILNS1_3genE2ELNS1_11target_archE906ELNS1_3gpuE6ELNS1_3repE0EEENS1_30default_config_static_selectorELNS0_4arch9wavefront6targetE1EEEvSM_.has_recursion, 0
	.set _ZN7rocprim17ROCPRIM_400000_NS6detail17trampoline_kernelINS0_14default_configENS1_37merge_sort_block_sort_config_selectorIlNS0_10empty_typeEEEZNS1_21merge_sort_block_sortIS3_PlS8_PS5_S9_ZN2at6native12_GLOBAL__N_124unique_dim_cuda_templateImEESt5tupleIJNSA_6TensorESF_SF_EERKSF_lbbbEUlllE_EE10hipError_tT0_T1_T2_T3_mRjT4_P12ihipStream_tbNS1_7vsmem_tEEUlT_E_NS1_11comp_targetILNS1_3genE2ELNS1_11target_archE906ELNS1_3gpuE6ELNS1_3repE0EEENS1_30default_config_static_selectorELNS0_4arch9wavefront6targetE1EEEvSM_.has_indirect_call, 0
	.section	.AMDGPU.csdata,"",@progbits
; Kernel info:
; codeLenInByte = 0
; TotalNumSgprs: 6
; NumVgprs: 0
; NumAgprs: 0
; TotalNumVgprs: 0
; ScratchSize: 0
; MemoryBound: 0
; FloatMode: 240
; IeeeMode: 1
; LDSByteSize: 0 bytes/workgroup (compile time only)
; SGPRBlocks: 0
; VGPRBlocks: 0
; NumSGPRsForWavesPerEU: 6
; NumVGPRsForWavesPerEU: 1
; AccumOffset: 4
; Occupancy: 8
; WaveLimiterHint : 0
; COMPUTE_PGM_RSRC2:SCRATCH_EN: 0
; COMPUTE_PGM_RSRC2:USER_SGPR: 2
; COMPUTE_PGM_RSRC2:TRAP_HANDLER: 0
; COMPUTE_PGM_RSRC2:TGID_X_EN: 1
; COMPUTE_PGM_RSRC2:TGID_Y_EN: 0
; COMPUTE_PGM_RSRC2:TGID_Z_EN: 0
; COMPUTE_PGM_RSRC2:TIDIG_COMP_CNT: 0
; COMPUTE_PGM_RSRC3_GFX90A:ACCUM_OFFSET: 0
; COMPUTE_PGM_RSRC3_GFX90A:TG_SPLIT: 0
	.section	.text._ZN7rocprim17ROCPRIM_400000_NS6detail17trampoline_kernelINS0_14default_configENS1_37merge_sort_block_sort_config_selectorIlNS0_10empty_typeEEEZNS1_21merge_sort_block_sortIS3_PlS8_PS5_S9_ZN2at6native12_GLOBAL__N_124unique_dim_cuda_templateImEESt5tupleIJNSA_6TensorESF_SF_EERKSF_lbbbEUlllE_EE10hipError_tT0_T1_T2_T3_mRjT4_P12ihipStream_tbNS1_7vsmem_tEEUlT_E_NS1_11comp_targetILNS1_3genE10ELNS1_11target_archE1201ELNS1_3gpuE5ELNS1_3repE0EEENS1_30default_config_static_selectorELNS0_4arch9wavefront6targetE1EEEvSM_,"axG",@progbits,_ZN7rocprim17ROCPRIM_400000_NS6detail17trampoline_kernelINS0_14default_configENS1_37merge_sort_block_sort_config_selectorIlNS0_10empty_typeEEEZNS1_21merge_sort_block_sortIS3_PlS8_PS5_S9_ZN2at6native12_GLOBAL__N_124unique_dim_cuda_templateImEESt5tupleIJNSA_6TensorESF_SF_EERKSF_lbbbEUlllE_EE10hipError_tT0_T1_T2_T3_mRjT4_P12ihipStream_tbNS1_7vsmem_tEEUlT_E_NS1_11comp_targetILNS1_3genE10ELNS1_11target_archE1201ELNS1_3gpuE5ELNS1_3repE0EEENS1_30default_config_static_selectorELNS0_4arch9wavefront6targetE1EEEvSM_,comdat
	.globl	_ZN7rocprim17ROCPRIM_400000_NS6detail17trampoline_kernelINS0_14default_configENS1_37merge_sort_block_sort_config_selectorIlNS0_10empty_typeEEEZNS1_21merge_sort_block_sortIS3_PlS8_PS5_S9_ZN2at6native12_GLOBAL__N_124unique_dim_cuda_templateImEESt5tupleIJNSA_6TensorESF_SF_EERKSF_lbbbEUlllE_EE10hipError_tT0_T1_T2_T3_mRjT4_P12ihipStream_tbNS1_7vsmem_tEEUlT_E_NS1_11comp_targetILNS1_3genE10ELNS1_11target_archE1201ELNS1_3gpuE5ELNS1_3repE0EEENS1_30default_config_static_selectorELNS0_4arch9wavefront6targetE1EEEvSM_ ; -- Begin function _ZN7rocprim17ROCPRIM_400000_NS6detail17trampoline_kernelINS0_14default_configENS1_37merge_sort_block_sort_config_selectorIlNS0_10empty_typeEEEZNS1_21merge_sort_block_sortIS3_PlS8_PS5_S9_ZN2at6native12_GLOBAL__N_124unique_dim_cuda_templateImEESt5tupleIJNSA_6TensorESF_SF_EERKSF_lbbbEUlllE_EE10hipError_tT0_T1_T2_T3_mRjT4_P12ihipStream_tbNS1_7vsmem_tEEUlT_E_NS1_11comp_targetILNS1_3genE10ELNS1_11target_archE1201ELNS1_3gpuE5ELNS1_3repE0EEENS1_30default_config_static_selectorELNS0_4arch9wavefront6targetE1EEEvSM_
	.p2align	8
	.type	_ZN7rocprim17ROCPRIM_400000_NS6detail17trampoline_kernelINS0_14default_configENS1_37merge_sort_block_sort_config_selectorIlNS0_10empty_typeEEEZNS1_21merge_sort_block_sortIS3_PlS8_PS5_S9_ZN2at6native12_GLOBAL__N_124unique_dim_cuda_templateImEESt5tupleIJNSA_6TensorESF_SF_EERKSF_lbbbEUlllE_EE10hipError_tT0_T1_T2_T3_mRjT4_P12ihipStream_tbNS1_7vsmem_tEEUlT_E_NS1_11comp_targetILNS1_3genE10ELNS1_11target_archE1201ELNS1_3gpuE5ELNS1_3repE0EEENS1_30default_config_static_selectorELNS0_4arch9wavefront6targetE1EEEvSM_,@function
_ZN7rocprim17ROCPRIM_400000_NS6detail17trampoline_kernelINS0_14default_configENS1_37merge_sort_block_sort_config_selectorIlNS0_10empty_typeEEEZNS1_21merge_sort_block_sortIS3_PlS8_PS5_S9_ZN2at6native12_GLOBAL__N_124unique_dim_cuda_templateImEESt5tupleIJNSA_6TensorESF_SF_EERKSF_lbbbEUlllE_EE10hipError_tT0_T1_T2_T3_mRjT4_P12ihipStream_tbNS1_7vsmem_tEEUlT_E_NS1_11comp_targetILNS1_3genE10ELNS1_11target_archE1201ELNS1_3gpuE5ELNS1_3repE0EEENS1_30default_config_static_selectorELNS0_4arch9wavefront6targetE1EEEvSM_: ; @_ZN7rocprim17ROCPRIM_400000_NS6detail17trampoline_kernelINS0_14default_configENS1_37merge_sort_block_sort_config_selectorIlNS0_10empty_typeEEEZNS1_21merge_sort_block_sortIS3_PlS8_PS5_S9_ZN2at6native12_GLOBAL__N_124unique_dim_cuda_templateImEESt5tupleIJNSA_6TensorESF_SF_EERKSF_lbbbEUlllE_EE10hipError_tT0_T1_T2_T3_mRjT4_P12ihipStream_tbNS1_7vsmem_tEEUlT_E_NS1_11comp_targetILNS1_3genE10ELNS1_11target_archE1201ELNS1_3gpuE5ELNS1_3repE0EEENS1_30default_config_static_selectorELNS0_4arch9wavefront6targetE1EEEvSM_
; %bb.0:
	.section	.rodata,"a",@progbits
	.p2align	6, 0x0
	.amdhsa_kernel _ZN7rocprim17ROCPRIM_400000_NS6detail17trampoline_kernelINS0_14default_configENS1_37merge_sort_block_sort_config_selectorIlNS0_10empty_typeEEEZNS1_21merge_sort_block_sortIS3_PlS8_PS5_S9_ZN2at6native12_GLOBAL__N_124unique_dim_cuda_templateImEESt5tupleIJNSA_6TensorESF_SF_EERKSF_lbbbEUlllE_EE10hipError_tT0_T1_T2_T3_mRjT4_P12ihipStream_tbNS1_7vsmem_tEEUlT_E_NS1_11comp_targetILNS1_3genE10ELNS1_11target_archE1201ELNS1_3gpuE5ELNS1_3repE0EEENS1_30default_config_static_selectorELNS0_4arch9wavefront6targetE1EEEvSM_
		.amdhsa_group_segment_fixed_size 0
		.amdhsa_private_segment_fixed_size 0
		.amdhsa_kernarg_size 72
		.amdhsa_user_sgpr_count 2
		.amdhsa_user_sgpr_dispatch_ptr 0
		.amdhsa_user_sgpr_queue_ptr 0
		.amdhsa_user_sgpr_kernarg_segment_ptr 1
		.amdhsa_user_sgpr_dispatch_id 0
		.amdhsa_user_sgpr_kernarg_preload_length 0
		.amdhsa_user_sgpr_kernarg_preload_offset 0
		.amdhsa_user_sgpr_private_segment_size 0
		.amdhsa_uses_dynamic_stack 0
		.amdhsa_enable_private_segment 0
		.amdhsa_system_sgpr_workgroup_id_x 1
		.amdhsa_system_sgpr_workgroup_id_y 0
		.amdhsa_system_sgpr_workgroup_id_z 0
		.amdhsa_system_sgpr_workgroup_info 0
		.amdhsa_system_vgpr_workitem_id 0
		.amdhsa_next_free_vgpr 1
		.amdhsa_next_free_sgpr 0
		.amdhsa_accum_offset 4
		.amdhsa_reserve_vcc 0
		.amdhsa_float_round_mode_32 0
		.amdhsa_float_round_mode_16_64 0
		.amdhsa_float_denorm_mode_32 3
		.amdhsa_float_denorm_mode_16_64 3
		.amdhsa_dx10_clamp 1
		.amdhsa_ieee_mode 1
		.amdhsa_fp16_overflow 0
		.amdhsa_tg_split 0
		.amdhsa_exception_fp_ieee_invalid_op 0
		.amdhsa_exception_fp_denorm_src 0
		.amdhsa_exception_fp_ieee_div_zero 0
		.amdhsa_exception_fp_ieee_overflow 0
		.amdhsa_exception_fp_ieee_underflow 0
		.amdhsa_exception_fp_ieee_inexact 0
		.amdhsa_exception_int_div_zero 0
	.end_amdhsa_kernel
	.section	.text._ZN7rocprim17ROCPRIM_400000_NS6detail17trampoline_kernelINS0_14default_configENS1_37merge_sort_block_sort_config_selectorIlNS0_10empty_typeEEEZNS1_21merge_sort_block_sortIS3_PlS8_PS5_S9_ZN2at6native12_GLOBAL__N_124unique_dim_cuda_templateImEESt5tupleIJNSA_6TensorESF_SF_EERKSF_lbbbEUlllE_EE10hipError_tT0_T1_T2_T3_mRjT4_P12ihipStream_tbNS1_7vsmem_tEEUlT_E_NS1_11comp_targetILNS1_3genE10ELNS1_11target_archE1201ELNS1_3gpuE5ELNS1_3repE0EEENS1_30default_config_static_selectorELNS0_4arch9wavefront6targetE1EEEvSM_,"axG",@progbits,_ZN7rocprim17ROCPRIM_400000_NS6detail17trampoline_kernelINS0_14default_configENS1_37merge_sort_block_sort_config_selectorIlNS0_10empty_typeEEEZNS1_21merge_sort_block_sortIS3_PlS8_PS5_S9_ZN2at6native12_GLOBAL__N_124unique_dim_cuda_templateImEESt5tupleIJNSA_6TensorESF_SF_EERKSF_lbbbEUlllE_EE10hipError_tT0_T1_T2_T3_mRjT4_P12ihipStream_tbNS1_7vsmem_tEEUlT_E_NS1_11comp_targetILNS1_3genE10ELNS1_11target_archE1201ELNS1_3gpuE5ELNS1_3repE0EEENS1_30default_config_static_selectorELNS0_4arch9wavefront6targetE1EEEvSM_,comdat
.Lfunc_end1610:
	.size	_ZN7rocprim17ROCPRIM_400000_NS6detail17trampoline_kernelINS0_14default_configENS1_37merge_sort_block_sort_config_selectorIlNS0_10empty_typeEEEZNS1_21merge_sort_block_sortIS3_PlS8_PS5_S9_ZN2at6native12_GLOBAL__N_124unique_dim_cuda_templateImEESt5tupleIJNSA_6TensorESF_SF_EERKSF_lbbbEUlllE_EE10hipError_tT0_T1_T2_T3_mRjT4_P12ihipStream_tbNS1_7vsmem_tEEUlT_E_NS1_11comp_targetILNS1_3genE10ELNS1_11target_archE1201ELNS1_3gpuE5ELNS1_3repE0EEENS1_30default_config_static_selectorELNS0_4arch9wavefront6targetE1EEEvSM_, .Lfunc_end1610-_ZN7rocprim17ROCPRIM_400000_NS6detail17trampoline_kernelINS0_14default_configENS1_37merge_sort_block_sort_config_selectorIlNS0_10empty_typeEEEZNS1_21merge_sort_block_sortIS3_PlS8_PS5_S9_ZN2at6native12_GLOBAL__N_124unique_dim_cuda_templateImEESt5tupleIJNSA_6TensorESF_SF_EERKSF_lbbbEUlllE_EE10hipError_tT0_T1_T2_T3_mRjT4_P12ihipStream_tbNS1_7vsmem_tEEUlT_E_NS1_11comp_targetILNS1_3genE10ELNS1_11target_archE1201ELNS1_3gpuE5ELNS1_3repE0EEENS1_30default_config_static_selectorELNS0_4arch9wavefront6targetE1EEEvSM_
                                        ; -- End function
	.set _ZN7rocprim17ROCPRIM_400000_NS6detail17trampoline_kernelINS0_14default_configENS1_37merge_sort_block_sort_config_selectorIlNS0_10empty_typeEEEZNS1_21merge_sort_block_sortIS3_PlS8_PS5_S9_ZN2at6native12_GLOBAL__N_124unique_dim_cuda_templateImEESt5tupleIJNSA_6TensorESF_SF_EERKSF_lbbbEUlllE_EE10hipError_tT0_T1_T2_T3_mRjT4_P12ihipStream_tbNS1_7vsmem_tEEUlT_E_NS1_11comp_targetILNS1_3genE10ELNS1_11target_archE1201ELNS1_3gpuE5ELNS1_3repE0EEENS1_30default_config_static_selectorELNS0_4arch9wavefront6targetE1EEEvSM_.num_vgpr, 0
	.set _ZN7rocprim17ROCPRIM_400000_NS6detail17trampoline_kernelINS0_14default_configENS1_37merge_sort_block_sort_config_selectorIlNS0_10empty_typeEEEZNS1_21merge_sort_block_sortIS3_PlS8_PS5_S9_ZN2at6native12_GLOBAL__N_124unique_dim_cuda_templateImEESt5tupleIJNSA_6TensorESF_SF_EERKSF_lbbbEUlllE_EE10hipError_tT0_T1_T2_T3_mRjT4_P12ihipStream_tbNS1_7vsmem_tEEUlT_E_NS1_11comp_targetILNS1_3genE10ELNS1_11target_archE1201ELNS1_3gpuE5ELNS1_3repE0EEENS1_30default_config_static_selectorELNS0_4arch9wavefront6targetE1EEEvSM_.num_agpr, 0
	.set _ZN7rocprim17ROCPRIM_400000_NS6detail17trampoline_kernelINS0_14default_configENS1_37merge_sort_block_sort_config_selectorIlNS0_10empty_typeEEEZNS1_21merge_sort_block_sortIS3_PlS8_PS5_S9_ZN2at6native12_GLOBAL__N_124unique_dim_cuda_templateImEESt5tupleIJNSA_6TensorESF_SF_EERKSF_lbbbEUlllE_EE10hipError_tT0_T1_T2_T3_mRjT4_P12ihipStream_tbNS1_7vsmem_tEEUlT_E_NS1_11comp_targetILNS1_3genE10ELNS1_11target_archE1201ELNS1_3gpuE5ELNS1_3repE0EEENS1_30default_config_static_selectorELNS0_4arch9wavefront6targetE1EEEvSM_.numbered_sgpr, 0
	.set _ZN7rocprim17ROCPRIM_400000_NS6detail17trampoline_kernelINS0_14default_configENS1_37merge_sort_block_sort_config_selectorIlNS0_10empty_typeEEEZNS1_21merge_sort_block_sortIS3_PlS8_PS5_S9_ZN2at6native12_GLOBAL__N_124unique_dim_cuda_templateImEESt5tupleIJNSA_6TensorESF_SF_EERKSF_lbbbEUlllE_EE10hipError_tT0_T1_T2_T3_mRjT4_P12ihipStream_tbNS1_7vsmem_tEEUlT_E_NS1_11comp_targetILNS1_3genE10ELNS1_11target_archE1201ELNS1_3gpuE5ELNS1_3repE0EEENS1_30default_config_static_selectorELNS0_4arch9wavefront6targetE1EEEvSM_.num_named_barrier, 0
	.set _ZN7rocprim17ROCPRIM_400000_NS6detail17trampoline_kernelINS0_14default_configENS1_37merge_sort_block_sort_config_selectorIlNS0_10empty_typeEEEZNS1_21merge_sort_block_sortIS3_PlS8_PS5_S9_ZN2at6native12_GLOBAL__N_124unique_dim_cuda_templateImEESt5tupleIJNSA_6TensorESF_SF_EERKSF_lbbbEUlllE_EE10hipError_tT0_T1_T2_T3_mRjT4_P12ihipStream_tbNS1_7vsmem_tEEUlT_E_NS1_11comp_targetILNS1_3genE10ELNS1_11target_archE1201ELNS1_3gpuE5ELNS1_3repE0EEENS1_30default_config_static_selectorELNS0_4arch9wavefront6targetE1EEEvSM_.private_seg_size, 0
	.set _ZN7rocprim17ROCPRIM_400000_NS6detail17trampoline_kernelINS0_14default_configENS1_37merge_sort_block_sort_config_selectorIlNS0_10empty_typeEEEZNS1_21merge_sort_block_sortIS3_PlS8_PS5_S9_ZN2at6native12_GLOBAL__N_124unique_dim_cuda_templateImEESt5tupleIJNSA_6TensorESF_SF_EERKSF_lbbbEUlllE_EE10hipError_tT0_T1_T2_T3_mRjT4_P12ihipStream_tbNS1_7vsmem_tEEUlT_E_NS1_11comp_targetILNS1_3genE10ELNS1_11target_archE1201ELNS1_3gpuE5ELNS1_3repE0EEENS1_30default_config_static_selectorELNS0_4arch9wavefront6targetE1EEEvSM_.uses_vcc, 0
	.set _ZN7rocprim17ROCPRIM_400000_NS6detail17trampoline_kernelINS0_14default_configENS1_37merge_sort_block_sort_config_selectorIlNS0_10empty_typeEEEZNS1_21merge_sort_block_sortIS3_PlS8_PS5_S9_ZN2at6native12_GLOBAL__N_124unique_dim_cuda_templateImEESt5tupleIJNSA_6TensorESF_SF_EERKSF_lbbbEUlllE_EE10hipError_tT0_T1_T2_T3_mRjT4_P12ihipStream_tbNS1_7vsmem_tEEUlT_E_NS1_11comp_targetILNS1_3genE10ELNS1_11target_archE1201ELNS1_3gpuE5ELNS1_3repE0EEENS1_30default_config_static_selectorELNS0_4arch9wavefront6targetE1EEEvSM_.uses_flat_scratch, 0
	.set _ZN7rocprim17ROCPRIM_400000_NS6detail17trampoline_kernelINS0_14default_configENS1_37merge_sort_block_sort_config_selectorIlNS0_10empty_typeEEEZNS1_21merge_sort_block_sortIS3_PlS8_PS5_S9_ZN2at6native12_GLOBAL__N_124unique_dim_cuda_templateImEESt5tupleIJNSA_6TensorESF_SF_EERKSF_lbbbEUlllE_EE10hipError_tT0_T1_T2_T3_mRjT4_P12ihipStream_tbNS1_7vsmem_tEEUlT_E_NS1_11comp_targetILNS1_3genE10ELNS1_11target_archE1201ELNS1_3gpuE5ELNS1_3repE0EEENS1_30default_config_static_selectorELNS0_4arch9wavefront6targetE1EEEvSM_.has_dyn_sized_stack, 0
	.set _ZN7rocprim17ROCPRIM_400000_NS6detail17trampoline_kernelINS0_14default_configENS1_37merge_sort_block_sort_config_selectorIlNS0_10empty_typeEEEZNS1_21merge_sort_block_sortIS3_PlS8_PS5_S9_ZN2at6native12_GLOBAL__N_124unique_dim_cuda_templateImEESt5tupleIJNSA_6TensorESF_SF_EERKSF_lbbbEUlllE_EE10hipError_tT0_T1_T2_T3_mRjT4_P12ihipStream_tbNS1_7vsmem_tEEUlT_E_NS1_11comp_targetILNS1_3genE10ELNS1_11target_archE1201ELNS1_3gpuE5ELNS1_3repE0EEENS1_30default_config_static_selectorELNS0_4arch9wavefront6targetE1EEEvSM_.has_recursion, 0
	.set _ZN7rocprim17ROCPRIM_400000_NS6detail17trampoline_kernelINS0_14default_configENS1_37merge_sort_block_sort_config_selectorIlNS0_10empty_typeEEEZNS1_21merge_sort_block_sortIS3_PlS8_PS5_S9_ZN2at6native12_GLOBAL__N_124unique_dim_cuda_templateImEESt5tupleIJNSA_6TensorESF_SF_EERKSF_lbbbEUlllE_EE10hipError_tT0_T1_T2_T3_mRjT4_P12ihipStream_tbNS1_7vsmem_tEEUlT_E_NS1_11comp_targetILNS1_3genE10ELNS1_11target_archE1201ELNS1_3gpuE5ELNS1_3repE0EEENS1_30default_config_static_selectorELNS0_4arch9wavefront6targetE1EEEvSM_.has_indirect_call, 0
	.section	.AMDGPU.csdata,"",@progbits
; Kernel info:
; codeLenInByte = 0
; TotalNumSgprs: 6
; NumVgprs: 0
; NumAgprs: 0
; TotalNumVgprs: 0
; ScratchSize: 0
; MemoryBound: 0
; FloatMode: 240
; IeeeMode: 1
; LDSByteSize: 0 bytes/workgroup (compile time only)
; SGPRBlocks: 0
; VGPRBlocks: 0
; NumSGPRsForWavesPerEU: 6
; NumVGPRsForWavesPerEU: 1
; AccumOffset: 4
; Occupancy: 8
; WaveLimiterHint : 0
; COMPUTE_PGM_RSRC2:SCRATCH_EN: 0
; COMPUTE_PGM_RSRC2:USER_SGPR: 2
; COMPUTE_PGM_RSRC2:TRAP_HANDLER: 0
; COMPUTE_PGM_RSRC2:TGID_X_EN: 1
; COMPUTE_PGM_RSRC2:TGID_Y_EN: 0
; COMPUTE_PGM_RSRC2:TGID_Z_EN: 0
; COMPUTE_PGM_RSRC2:TIDIG_COMP_CNT: 0
; COMPUTE_PGM_RSRC3_GFX90A:ACCUM_OFFSET: 0
; COMPUTE_PGM_RSRC3_GFX90A:TG_SPLIT: 0
	.section	.text._ZN7rocprim17ROCPRIM_400000_NS6detail17trampoline_kernelINS0_14default_configENS1_37merge_sort_block_sort_config_selectorIlNS0_10empty_typeEEEZNS1_21merge_sort_block_sortIS3_PlS8_PS5_S9_ZN2at6native12_GLOBAL__N_124unique_dim_cuda_templateImEESt5tupleIJNSA_6TensorESF_SF_EERKSF_lbbbEUlllE_EE10hipError_tT0_T1_T2_T3_mRjT4_P12ihipStream_tbNS1_7vsmem_tEEUlT_E_NS1_11comp_targetILNS1_3genE10ELNS1_11target_archE1200ELNS1_3gpuE4ELNS1_3repE0EEENS1_30default_config_static_selectorELNS0_4arch9wavefront6targetE1EEEvSM_,"axG",@progbits,_ZN7rocprim17ROCPRIM_400000_NS6detail17trampoline_kernelINS0_14default_configENS1_37merge_sort_block_sort_config_selectorIlNS0_10empty_typeEEEZNS1_21merge_sort_block_sortIS3_PlS8_PS5_S9_ZN2at6native12_GLOBAL__N_124unique_dim_cuda_templateImEESt5tupleIJNSA_6TensorESF_SF_EERKSF_lbbbEUlllE_EE10hipError_tT0_T1_T2_T3_mRjT4_P12ihipStream_tbNS1_7vsmem_tEEUlT_E_NS1_11comp_targetILNS1_3genE10ELNS1_11target_archE1200ELNS1_3gpuE4ELNS1_3repE0EEENS1_30default_config_static_selectorELNS0_4arch9wavefront6targetE1EEEvSM_,comdat
	.globl	_ZN7rocprim17ROCPRIM_400000_NS6detail17trampoline_kernelINS0_14default_configENS1_37merge_sort_block_sort_config_selectorIlNS0_10empty_typeEEEZNS1_21merge_sort_block_sortIS3_PlS8_PS5_S9_ZN2at6native12_GLOBAL__N_124unique_dim_cuda_templateImEESt5tupleIJNSA_6TensorESF_SF_EERKSF_lbbbEUlllE_EE10hipError_tT0_T1_T2_T3_mRjT4_P12ihipStream_tbNS1_7vsmem_tEEUlT_E_NS1_11comp_targetILNS1_3genE10ELNS1_11target_archE1200ELNS1_3gpuE4ELNS1_3repE0EEENS1_30default_config_static_selectorELNS0_4arch9wavefront6targetE1EEEvSM_ ; -- Begin function _ZN7rocprim17ROCPRIM_400000_NS6detail17trampoline_kernelINS0_14default_configENS1_37merge_sort_block_sort_config_selectorIlNS0_10empty_typeEEEZNS1_21merge_sort_block_sortIS3_PlS8_PS5_S9_ZN2at6native12_GLOBAL__N_124unique_dim_cuda_templateImEESt5tupleIJNSA_6TensorESF_SF_EERKSF_lbbbEUlllE_EE10hipError_tT0_T1_T2_T3_mRjT4_P12ihipStream_tbNS1_7vsmem_tEEUlT_E_NS1_11comp_targetILNS1_3genE10ELNS1_11target_archE1200ELNS1_3gpuE4ELNS1_3repE0EEENS1_30default_config_static_selectorELNS0_4arch9wavefront6targetE1EEEvSM_
	.p2align	8
	.type	_ZN7rocprim17ROCPRIM_400000_NS6detail17trampoline_kernelINS0_14default_configENS1_37merge_sort_block_sort_config_selectorIlNS0_10empty_typeEEEZNS1_21merge_sort_block_sortIS3_PlS8_PS5_S9_ZN2at6native12_GLOBAL__N_124unique_dim_cuda_templateImEESt5tupleIJNSA_6TensorESF_SF_EERKSF_lbbbEUlllE_EE10hipError_tT0_T1_T2_T3_mRjT4_P12ihipStream_tbNS1_7vsmem_tEEUlT_E_NS1_11comp_targetILNS1_3genE10ELNS1_11target_archE1200ELNS1_3gpuE4ELNS1_3repE0EEENS1_30default_config_static_selectorELNS0_4arch9wavefront6targetE1EEEvSM_,@function
_ZN7rocprim17ROCPRIM_400000_NS6detail17trampoline_kernelINS0_14default_configENS1_37merge_sort_block_sort_config_selectorIlNS0_10empty_typeEEEZNS1_21merge_sort_block_sortIS3_PlS8_PS5_S9_ZN2at6native12_GLOBAL__N_124unique_dim_cuda_templateImEESt5tupleIJNSA_6TensorESF_SF_EERKSF_lbbbEUlllE_EE10hipError_tT0_T1_T2_T3_mRjT4_P12ihipStream_tbNS1_7vsmem_tEEUlT_E_NS1_11comp_targetILNS1_3genE10ELNS1_11target_archE1200ELNS1_3gpuE4ELNS1_3repE0EEENS1_30default_config_static_selectorELNS0_4arch9wavefront6targetE1EEEvSM_: ; @_ZN7rocprim17ROCPRIM_400000_NS6detail17trampoline_kernelINS0_14default_configENS1_37merge_sort_block_sort_config_selectorIlNS0_10empty_typeEEEZNS1_21merge_sort_block_sortIS3_PlS8_PS5_S9_ZN2at6native12_GLOBAL__N_124unique_dim_cuda_templateImEESt5tupleIJNSA_6TensorESF_SF_EERKSF_lbbbEUlllE_EE10hipError_tT0_T1_T2_T3_mRjT4_P12ihipStream_tbNS1_7vsmem_tEEUlT_E_NS1_11comp_targetILNS1_3genE10ELNS1_11target_archE1200ELNS1_3gpuE4ELNS1_3repE0EEENS1_30default_config_static_selectorELNS0_4arch9wavefront6targetE1EEEvSM_
; %bb.0:
	.section	.rodata,"a",@progbits
	.p2align	6, 0x0
	.amdhsa_kernel _ZN7rocprim17ROCPRIM_400000_NS6detail17trampoline_kernelINS0_14default_configENS1_37merge_sort_block_sort_config_selectorIlNS0_10empty_typeEEEZNS1_21merge_sort_block_sortIS3_PlS8_PS5_S9_ZN2at6native12_GLOBAL__N_124unique_dim_cuda_templateImEESt5tupleIJNSA_6TensorESF_SF_EERKSF_lbbbEUlllE_EE10hipError_tT0_T1_T2_T3_mRjT4_P12ihipStream_tbNS1_7vsmem_tEEUlT_E_NS1_11comp_targetILNS1_3genE10ELNS1_11target_archE1200ELNS1_3gpuE4ELNS1_3repE0EEENS1_30default_config_static_selectorELNS0_4arch9wavefront6targetE1EEEvSM_
		.amdhsa_group_segment_fixed_size 0
		.amdhsa_private_segment_fixed_size 0
		.amdhsa_kernarg_size 72
		.amdhsa_user_sgpr_count 2
		.amdhsa_user_sgpr_dispatch_ptr 0
		.amdhsa_user_sgpr_queue_ptr 0
		.amdhsa_user_sgpr_kernarg_segment_ptr 1
		.amdhsa_user_sgpr_dispatch_id 0
		.amdhsa_user_sgpr_kernarg_preload_length 0
		.amdhsa_user_sgpr_kernarg_preload_offset 0
		.amdhsa_user_sgpr_private_segment_size 0
		.amdhsa_uses_dynamic_stack 0
		.amdhsa_enable_private_segment 0
		.amdhsa_system_sgpr_workgroup_id_x 1
		.amdhsa_system_sgpr_workgroup_id_y 0
		.amdhsa_system_sgpr_workgroup_id_z 0
		.amdhsa_system_sgpr_workgroup_info 0
		.amdhsa_system_vgpr_workitem_id 0
		.amdhsa_next_free_vgpr 1
		.amdhsa_next_free_sgpr 0
		.amdhsa_accum_offset 4
		.amdhsa_reserve_vcc 0
		.amdhsa_float_round_mode_32 0
		.amdhsa_float_round_mode_16_64 0
		.amdhsa_float_denorm_mode_32 3
		.amdhsa_float_denorm_mode_16_64 3
		.amdhsa_dx10_clamp 1
		.amdhsa_ieee_mode 1
		.amdhsa_fp16_overflow 0
		.amdhsa_tg_split 0
		.amdhsa_exception_fp_ieee_invalid_op 0
		.amdhsa_exception_fp_denorm_src 0
		.amdhsa_exception_fp_ieee_div_zero 0
		.amdhsa_exception_fp_ieee_overflow 0
		.amdhsa_exception_fp_ieee_underflow 0
		.amdhsa_exception_fp_ieee_inexact 0
		.amdhsa_exception_int_div_zero 0
	.end_amdhsa_kernel
	.section	.text._ZN7rocprim17ROCPRIM_400000_NS6detail17trampoline_kernelINS0_14default_configENS1_37merge_sort_block_sort_config_selectorIlNS0_10empty_typeEEEZNS1_21merge_sort_block_sortIS3_PlS8_PS5_S9_ZN2at6native12_GLOBAL__N_124unique_dim_cuda_templateImEESt5tupleIJNSA_6TensorESF_SF_EERKSF_lbbbEUlllE_EE10hipError_tT0_T1_T2_T3_mRjT4_P12ihipStream_tbNS1_7vsmem_tEEUlT_E_NS1_11comp_targetILNS1_3genE10ELNS1_11target_archE1200ELNS1_3gpuE4ELNS1_3repE0EEENS1_30default_config_static_selectorELNS0_4arch9wavefront6targetE1EEEvSM_,"axG",@progbits,_ZN7rocprim17ROCPRIM_400000_NS6detail17trampoline_kernelINS0_14default_configENS1_37merge_sort_block_sort_config_selectorIlNS0_10empty_typeEEEZNS1_21merge_sort_block_sortIS3_PlS8_PS5_S9_ZN2at6native12_GLOBAL__N_124unique_dim_cuda_templateImEESt5tupleIJNSA_6TensorESF_SF_EERKSF_lbbbEUlllE_EE10hipError_tT0_T1_T2_T3_mRjT4_P12ihipStream_tbNS1_7vsmem_tEEUlT_E_NS1_11comp_targetILNS1_3genE10ELNS1_11target_archE1200ELNS1_3gpuE4ELNS1_3repE0EEENS1_30default_config_static_selectorELNS0_4arch9wavefront6targetE1EEEvSM_,comdat
.Lfunc_end1611:
	.size	_ZN7rocprim17ROCPRIM_400000_NS6detail17trampoline_kernelINS0_14default_configENS1_37merge_sort_block_sort_config_selectorIlNS0_10empty_typeEEEZNS1_21merge_sort_block_sortIS3_PlS8_PS5_S9_ZN2at6native12_GLOBAL__N_124unique_dim_cuda_templateImEESt5tupleIJNSA_6TensorESF_SF_EERKSF_lbbbEUlllE_EE10hipError_tT0_T1_T2_T3_mRjT4_P12ihipStream_tbNS1_7vsmem_tEEUlT_E_NS1_11comp_targetILNS1_3genE10ELNS1_11target_archE1200ELNS1_3gpuE4ELNS1_3repE0EEENS1_30default_config_static_selectorELNS0_4arch9wavefront6targetE1EEEvSM_, .Lfunc_end1611-_ZN7rocprim17ROCPRIM_400000_NS6detail17trampoline_kernelINS0_14default_configENS1_37merge_sort_block_sort_config_selectorIlNS0_10empty_typeEEEZNS1_21merge_sort_block_sortIS3_PlS8_PS5_S9_ZN2at6native12_GLOBAL__N_124unique_dim_cuda_templateImEESt5tupleIJNSA_6TensorESF_SF_EERKSF_lbbbEUlllE_EE10hipError_tT0_T1_T2_T3_mRjT4_P12ihipStream_tbNS1_7vsmem_tEEUlT_E_NS1_11comp_targetILNS1_3genE10ELNS1_11target_archE1200ELNS1_3gpuE4ELNS1_3repE0EEENS1_30default_config_static_selectorELNS0_4arch9wavefront6targetE1EEEvSM_
                                        ; -- End function
	.set _ZN7rocprim17ROCPRIM_400000_NS6detail17trampoline_kernelINS0_14default_configENS1_37merge_sort_block_sort_config_selectorIlNS0_10empty_typeEEEZNS1_21merge_sort_block_sortIS3_PlS8_PS5_S9_ZN2at6native12_GLOBAL__N_124unique_dim_cuda_templateImEESt5tupleIJNSA_6TensorESF_SF_EERKSF_lbbbEUlllE_EE10hipError_tT0_T1_T2_T3_mRjT4_P12ihipStream_tbNS1_7vsmem_tEEUlT_E_NS1_11comp_targetILNS1_3genE10ELNS1_11target_archE1200ELNS1_3gpuE4ELNS1_3repE0EEENS1_30default_config_static_selectorELNS0_4arch9wavefront6targetE1EEEvSM_.num_vgpr, 0
	.set _ZN7rocprim17ROCPRIM_400000_NS6detail17trampoline_kernelINS0_14default_configENS1_37merge_sort_block_sort_config_selectorIlNS0_10empty_typeEEEZNS1_21merge_sort_block_sortIS3_PlS8_PS5_S9_ZN2at6native12_GLOBAL__N_124unique_dim_cuda_templateImEESt5tupleIJNSA_6TensorESF_SF_EERKSF_lbbbEUlllE_EE10hipError_tT0_T1_T2_T3_mRjT4_P12ihipStream_tbNS1_7vsmem_tEEUlT_E_NS1_11comp_targetILNS1_3genE10ELNS1_11target_archE1200ELNS1_3gpuE4ELNS1_3repE0EEENS1_30default_config_static_selectorELNS0_4arch9wavefront6targetE1EEEvSM_.num_agpr, 0
	.set _ZN7rocprim17ROCPRIM_400000_NS6detail17trampoline_kernelINS0_14default_configENS1_37merge_sort_block_sort_config_selectorIlNS0_10empty_typeEEEZNS1_21merge_sort_block_sortIS3_PlS8_PS5_S9_ZN2at6native12_GLOBAL__N_124unique_dim_cuda_templateImEESt5tupleIJNSA_6TensorESF_SF_EERKSF_lbbbEUlllE_EE10hipError_tT0_T1_T2_T3_mRjT4_P12ihipStream_tbNS1_7vsmem_tEEUlT_E_NS1_11comp_targetILNS1_3genE10ELNS1_11target_archE1200ELNS1_3gpuE4ELNS1_3repE0EEENS1_30default_config_static_selectorELNS0_4arch9wavefront6targetE1EEEvSM_.numbered_sgpr, 0
	.set _ZN7rocprim17ROCPRIM_400000_NS6detail17trampoline_kernelINS0_14default_configENS1_37merge_sort_block_sort_config_selectorIlNS0_10empty_typeEEEZNS1_21merge_sort_block_sortIS3_PlS8_PS5_S9_ZN2at6native12_GLOBAL__N_124unique_dim_cuda_templateImEESt5tupleIJNSA_6TensorESF_SF_EERKSF_lbbbEUlllE_EE10hipError_tT0_T1_T2_T3_mRjT4_P12ihipStream_tbNS1_7vsmem_tEEUlT_E_NS1_11comp_targetILNS1_3genE10ELNS1_11target_archE1200ELNS1_3gpuE4ELNS1_3repE0EEENS1_30default_config_static_selectorELNS0_4arch9wavefront6targetE1EEEvSM_.num_named_barrier, 0
	.set _ZN7rocprim17ROCPRIM_400000_NS6detail17trampoline_kernelINS0_14default_configENS1_37merge_sort_block_sort_config_selectorIlNS0_10empty_typeEEEZNS1_21merge_sort_block_sortIS3_PlS8_PS5_S9_ZN2at6native12_GLOBAL__N_124unique_dim_cuda_templateImEESt5tupleIJNSA_6TensorESF_SF_EERKSF_lbbbEUlllE_EE10hipError_tT0_T1_T2_T3_mRjT4_P12ihipStream_tbNS1_7vsmem_tEEUlT_E_NS1_11comp_targetILNS1_3genE10ELNS1_11target_archE1200ELNS1_3gpuE4ELNS1_3repE0EEENS1_30default_config_static_selectorELNS0_4arch9wavefront6targetE1EEEvSM_.private_seg_size, 0
	.set _ZN7rocprim17ROCPRIM_400000_NS6detail17trampoline_kernelINS0_14default_configENS1_37merge_sort_block_sort_config_selectorIlNS0_10empty_typeEEEZNS1_21merge_sort_block_sortIS3_PlS8_PS5_S9_ZN2at6native12_GLOBAL__N_124unique_dim_cuda_templateImEESt5tupleIJNSA_6TensorESF_SF_EERKSF_lbbbEUlllE_EE10hipError_tT0_T1_T2_T3_mRjT4_P12ihipStream_tbNS1_7vsmem_tEEUlT_E_NS1_11comp_targetILNS1_3genE10ELNS1_11target_archE1200ELNS1_3gpuE4ELNS1_3repE0EEENS1_30default_config_static_selectorELNS0_4arch9wavefront6targetE1EEEvSM_.uses_vcc, 0
	.set _ZN7rocprim17ROCPRIM_400000_NS6detail17trampoline_kernelINS0_14default_configENS1_37merge_sort_block_sort_config_selectorIlNS0_10empty_typeEEEZNS1_21merge_sort_block_sortIS3_PlS8_PS5_S9_ZN2at6native12_GLOBAL__N_124unique_dim_cuda_templateImEESt5tupleIJNSA_6TensorESF_SF_EERKSF_lbbbEUlllE_EE10hipError_tT0_T1_T2_T3_mRjT4_P12ihipStream_tbNS1_7vsmem_tEEUlT_E_NS1_11comp_targetILNS1_3genE10ELNS1_11target_archE1200ELNS1_3gpuE4ELNS1_3repE0EEENS1_30default_config_static_selectorELNS0_4arch9wavefront6targetE1EEEvSM_.uses_flat_scratch, 0
	.set _ZN7rocprim17ROCPRIM_400000_NS6detail17trampoline_kernelINS0_14default_configENS1_37merge_sort_block_sort_config_selectorIlNS0_10empty_typeEEEZNS1_21merge_sort_block_sortIS3_PlS8_PS5_S9_ZN2at6native12_GLOBAL__N_124unique_dim_cuda_templateImEESt5tupleIJNSA_6TensorESF_SF_EERKSF_lbbbEUlllE_EE10hipError_tT0_T1_T2_T3_mRjT4_P12ihipStream_tbNS1_7vsmem_tEEUlT_E_NS1_11comp_targetILNS1_3genE10ELNS1_11target_archE1200ELNS1_3gpuE4ELNS1_3repE0EEENS1_30default_config_static_selectorELNS0_4arch9wavefront6targetE1EEEvSM_.has_dyn_sized_stack, 0
	.set _ZN7rocprim17ROCPRIM_400000_NS6detail17trampoline_kernelINS0_14default_configENS1_37merge_sort_block_sort_config_selectorIlNS0_10empty_typeEEEZNS1_21merge_sort_block_sortIS3_PlS8_PS5_S9_ZN2at6native12_GLOBAL__N_124unique_dim_cuda_templateImEESt5tupleIJNSA_6TensorESF_SF_EERKSF_lbbbEUlllE_EE10hipError_tT0_T1_T2_T3_mRjT4_P12ihipStream_tbNS1_7vsmem_tEEUlT_E_NS1_11comp_targetILNS1_3genE10ELNS1_11target_archE1200ELNS1_3gpuE4ELNS1_3repE0EEENS1_30default_config_static_selectorELNS0_4arch9wavefront6targetE1EEEvSM_.has_recursion, 0
	.set _ZN7rocprim17ROCPRIM_400000_NS6detail17trampoline_kernelINS0_14default_configENS1_37merge_sort_block_sort_config_selectorIlNS0_10empty_typeEEEZNS1_21merge_sort_block_sortIS3_PlS8_PS5_S9_ZN2at6native12_GLOBAL__N_124unique_dim_cuda_templateImEESt5tupleIJNSA_6TensorESF_SF_EERKSF_lbbbEUlllE_EE10hipError_tT0_T1_T2_T3_mRjT4_P12ihipStream_tbNS1_7vsmem_tEEUlT_E_NS1_11comp_targetILNS1_3genE10ELNS1_11target_archE1200ELNS1_3gpuE4ELNS1_3repE0EEENS1_30default_config_static_selectorELNS0_4arch9wavefront6targetE1EEEvSM_.has_indirect_call, 0
	.section	.AMDGPU.csdata,"",@progbits
; Kernel info:
; codeLenInByte = 0
; TotalNumSgprs: 6
; NumVgprs: 0
; NumAgprs: 0
; TotalNumVgprs: 0
; ScratchSize: 0
; MemoryBound: 0
; FloatMode: 240
; IeeeMode: 1
; LDSByteSize: 0 bytes/workgroup (compile time only)
; SGPRBlocks: 0
; VGPRBlocks: 0
; NumSGPRsForWavesPerEU: 6
; NumVGPRsForWavesPerEU: 1
; AccumOffset: 4
; Occupancy: 8
; WaveLimiterHint : 0
; COMPUTE_PGM_RSRC2:SCRATCH_EN: 0
; COMPUTE_PGM_RSRC2:USER_SGPR: 2
; COMPUTE_PGM_RSRC2:TRAP_HANDLER: 0
; COMPUTE_PGM_RSRC2:TGID_X_EN: 1
; COMPUTE_PGM_RSRC2:TGID_Y_EN: 0
; COMPUTE_PGM_RSRC2:TGID_Z_EN: 0
; COMPUTE_PGM_RSRC2:TIDIG_COMP_CNT: 0
; COMPUTE_PGM_RSRC3_GFX90A:ACCUM_OFFSET: 0
; COMPUTE_PGM_RSRC3_GFX90A:TG_SPLIT: 0
	.section	.text._ZN7rocprim17ROCPRIM_400000_NS6detail17trampoline_kernelINS0_14default_configENS1_37merge_sort_block_sort_config_selectorIlNS0_10empty_typeEEEZNS1_21merge_sort_block_sortIS3_PlS8_PS5_S9_ZN2at6native12_GLOBAL__N_124unique_dim_cuda_templateImEESt5tupleIJNSA_6TensorESF_SF_EERKSF_lbbbEUlllE_EE10hipError_tT0_T1_T2_T3_mRjT4_P12ihipStream_tbNS1_7vsmem_tEEUlT_E_NS1_11comp_targetILNS1_3genE9ELNS1_11target_archE1100ELNS1_3gpuE3ELNS1_3repE0EEENS1_30default_config_static_selectorELNS0_4arch9wavefront6targetE1EEEvSM_,"axG",@progbits,_ZN7rocprim17ROCPRIM_400000_NS6detail17trampoline_kernelINS0_14default_configENS1_37merge_sort_block_sort_config_selectorIlNS0_10empty_typeEEEZNS1_21merge_sort_block_sortIS3_PlS8_PS5_S9_ZN2at6native12_GLOBAL__N_124unique_dim_cuda_templateImEESt5tupleIJNSA_6TensorESF_SF_EERKSF_lbbbEUlllE_EE10hipError_tT0_T1_T2_T3_mRjT4_P12ihipStream_tbNS1_7vsmem_tEEUlT_E_NS1_11comp_targetILNS1_3genE9ELNS1_11target_archE1100ELNS1_3gpuE3ELNS1_3repE0EEENS1_30default_config_static_selectorELNS0_4arch9wavefront6targetE1EEEvSM_,comdat
	.globl	_ZN7rocprim17ROCPRIM_400000_NS6detail17trampoline_kernelINS0_14default_configENS1_37merge_sort_block_sort_config_selectorIlNS0_10empty_typeEEEZNS1_21merge_sort_block_sortIS3_PlS8_PS5_S9_ZN2at6native12_GLOBAL__N_124unique_dim_cuda_templateImEESt5tupleIJNSA_6TensorESF_SF_EERKSF_lbbbEUlllE_EE10hipError_tT0_T1_T2_T3_mRjT4_P12ihipStream_tbNS1_7vsmem_tEEUlT_E_NS1_11comp_targetILNS1_3genE9ELNS1_11target_archE1100ELNS1_3gpuE3ELNS1_3repE0EEENS1_30default_config_static_selectorELNS0_4arch9wavefront6targetE1EEEvSM_ ; -- Begin function _ZN7rocprim17ROCPRIM_400000_NS6detail17trampoline_kernelINS0_14default_configENS1_37merge_sort_block_sort_config_selectorIlNS0_10empty_typeEEEZNS1_21merge_sort_block_sortIS3_PlS8_PS5_S9_ZN2at6native12_GLOBAL__N_124unique_dim_cuda_templateImEESt5tupleIJNSA_6TensorESF_SF_EERKSF_lbbbEUlllE_EE10hipError_tT0_T1_T2_T3_mRjT4_P12ihipStream_tbNS1_7vsmem_tEEUlT_E_NS1_11comp_targetILNS1_3genE9ELNS1_11target_archE1100ELNS1_3gpuE3ELNS1_3repE0EEENS1_30default_config_static_selectorELNS0_4arch9wavefront6targetE1EEEvSM_
	.p2align	8
	.type	_ZN7rocprim17ROCPRIM_400000_NS6detail17trampoline_kernelINS0_14default_configENS1_37merge_sort_block_sort_config_selectorIlNS0_10empty_typeEEEZNS1_21merge_sort_block_sortIS3_PlS8_PS5_S9_ZN2at6native12_GLOBAL__N_124unique_dim_cuda_templateImEESt5tupleIJNSA_6TensorESF_SF_EERKSF_lbbbEUlllE_EE10hipError_tT0_T1_T2_T3_mRjT4_P12ihipStream_tbNS1_7vsmem_tEEUlT_E_NS1_11comp_targetILNS1_3genE9ELNS1_11target_archE1100ELNS1_3gpuE3ELNS1_3repE0EEENS1_30default_config_static_selectorELNS0_4arch9wavefront6targetE1EEEvSM_,@function
_ZN7rocprim17ROCPRIM_400000_NS6detail17trampoline_kernelINS0_14default_configENS1_37merge_sort_block_sort_config_selectorIlNS0_10empty_typeEEEZNS1_21merge_sort_block_sortIS3_PlS8_PS5_S9_ZN2at6native12_GLOBAL__N_124unique_dim_cuda_templateImEESt5tupleIJNSA_6TensorESF_SF_EERKSF_lbbbEUlllE_EE10hipError_tT0_T1_T2_T3_mRjT4_P12ihipStream_tbNS1_7vsmem_tEEUlT_E_NS1_11comp_targetILNS1_3genE9ELNS1_11target_archE1100ELNS1_3gpuE3ELNS1_3repE0EEENS1_30default_config_static_selectorELNS0_4arch9wavefront6targetE1EEEvSM_: ; @_ZN7rocprim17ROCPRIM_400000_NS6detail17trampoline_kernelINS0_14default_configENS1_37merge_sort_block_sort_config_selectorIlNS0_10empty_typeEEEZNS1_21merge_sort_block_sortIS3_PlS8_PS5_S9_ZN2at6native12_GLOBAL__N_124unique_dim_cuda_templateImEESt5tupleIJNSA_6TensorESF_SF_EERKSF_lbbbEUlllE_EE10hipError_tT0_T1_T2_T3_mRjT4_P12ihipStream_tbNS1_7vsmem_tEEUlT_E_NS1_11comp_targetILNS1_3genE9ELNS1_11target_archE1100ELNS1_3gpuE3ELNS1_3repE0EEENS1_30default_config_static_selectorELNS0_4arch9wavefront6targetE1EEEvSM_
; %bb.0:
	.section	.rodata,"a",@progbits
	.p2align	6, 0x0
	.amdhsa_kernel _ZN7rocprim17ROCPRIM_400000_NS6detail17trampoline_kernelINS0_14default_configENS1_37merge_sort_block_sort_config_selectorIlNS0_10empty_typeEEEZNS1_21merge_sort_block_sortIS3_PlS8_PS5_S9_ZN2at6native12_GLOBAL__N_124unique_dim_cuda_templateImEESt5tupleIJNSA_6TensorESF_SF_EERKSF_lbbbEUlllE_EE10hipError_tT0_T1_T2_T3_mRjT4_P12ihipStream_tbNS1_7vsmem_tEEUlT_E_NS1_11comp_targetILNS1_3genE9ELNS1_11target_archE1100ELNS1_3gpuE3ELNS1_3repE0EEENS1_30default_config_static_selectorELNS0_4arch9wavefront6targetE1EEEvSM_
		.amdhsa_group_segment_fixed_size 0
		.amdhsa_private_segment_fixed_size 0
		.amdhsa_kernarg_size 72
		.amdhsa_user_sgpr_count 2
		.amdhsa_user_sgpr_dispatch_ptr 0
		.amdhsa_user_sgpr_queue_ptr 0
		.amdhsa_user_sgpr_kernarg_segment_ptr 1
		.amdhsa_user_sgpr_dispatch_id 0
		.amdhsa_user_sgpr_kernarg_preload_length 0
		.amdhsa_user_sgpr_kernarg_preload_offset 0
		.amdhsa_user_sgpr_private_segment_size 0
		.amdhsa_uses_dynamic_stack 0
		.amdhsa_enable_private_segment 0
		.amdhsa_system_sgpr_workgroup_id_x 1
		.amdhsa_system_sgpr_workgroup_id_y 0
		.amdhsa_system_sgpr_workgroup_id_z 0
		.amdhsa_system_sgpr_workgroup_info 0
		.amdhsa_system_vgpr_workitem_id 0
		.amdhsa_next_free_vgpr 1
		.amdhsa_next_free_sgpr 0
		.amdhsa_accum_offset 4
		.amdhsa_reserve_vcc 0
		.amdhsa_float_round_mode_32 0
		.amdhsa_float_round_mode_16_64 0
		.amdhsa_float_denorm_mode_32 3
		.amdhsa_float_denorm_mode_16_64 3
		.amdhsa_dx10_clamp 1
		.amdhsa_ieee_mode 1
		.amdhsa_fp16_overflow 0
		.amdhsa_tg_split 0
		.amdhsa_exception_fp_ieee_invalid_op 0
		.amdhsa_exception_fp_denorm_src 0
		.amdhsa_exception_fp_ieee_div_zero 0
		.amdhsa_exception_fp_ieee_overflow 0
		.amdhsa_exception_fp_ieee_underflow 0
		.amdhsa_exception_fp_ieee_inexact 0
		.amdhsa_exception_int_div_zero 0
	.end_amdhsa_kernel
	.section	.text._ZN7rocprim17ROCPRIM_400000_NS6detail17trampoline_kernelINS0_14default_configENS1_37merge_sort_block_sort_config_selectorIlNS0_10empty_typeEEEZNS1_21merge_sort_block_sortIS3_PlS8_PS5_S9_ZN2at6native12_GLOBAL__N_124unique_dim_cuda_templateImEESt5tupleIJNSA_6TensorESF_SF_EERKSF_lbbbEUlllE_EE10hipError_tT0_T1_T2_T3_mRjT4_P12ihipStream_tbNS1_7vsmem_tEEUlT_E_NS1_11comp_targetILNS1_3genE9ELNS1_11target_archE1100ELNS1_3gpuE3ELNS1_3repE0EEENS1_30default_config_static_selectorELNS0_4arch9wavefront6targetE1EEEvSM_,"axG",@progbits,_ZN7rocprim17ROCPRIM_400000_NS6detail17trampoline_kernelINS0_14default_configENS1_37merge_sort_block_sort_config_selectorIlNS0_10empty_typeEEEZNS1_21merge_sort_block_sortIS3_PlS8_PS5_S9_ZN2at6native12_GLOBAL__N_124unique_dim_cuda_templateImEESt5tupleIJNSA_6TensorESF_SF_EERKSF_lbbbEUlllE_EE10hipError_tT0_T1_T2_T3_mRjT4_P12ihipStream_tbNS1_7vsmem_tEEUlT_E_NS1_11comp_targetILNS1_3genE9ELNS1_11target_archE1100ELNS1_3gpuE3ELNS1_3repE0EEENS1_30default_config_static_selectorELNS0_4arch9wavefront6targetE1EEEvSM_,comdat
.Lfunc_end1612:
	.size	_ZN7rocprim17ROCPRIM_400000_NS6detail17trampoline_kernelINS0_14default_configENS1_37merge_sort_block_sort_config_selectorIlNS0_10empty_typeEEEZNS1_21merge_sort_block_sortIS3_PlS8_PS5_S9_ZN2at6native12_GLOBAL__N_124unique_dim_cuda_templateImEESt5tupleIJNSA_6TensorESF_SF_EERKSF_lbbbEUlllE_EE10hipError_tT0_T1_T2_T3_mRjT4_P12ihipStream_tbNS1_7vsmem_tEEUlT_E_NS1_11comp_targetILNS1_3genE9ELNS1_11target_archE1100ELNS1_3gpuE3ELNS1_3repE0EEENS1_30default_config_static_selectorELNS0_4arch9wavefront6targetE1EEEvSM_, .Lfunc_end1612-_ZN7rocprim17ROCPRIM_400000_NS6detail17trampoline_kernelINS0_14default_configENS1_37merge_sort_block_sort_config_selectorIlNS0_10empty_typeEEEZNS1_21merge_sort_block_sortIS3_PlS8_PS5_S9_ZN2at6native12_GLOBAL__N_124unique_dim_cuda_templateImEESt5tupleIJNSA_6TensorESF_SF_EERKSF_lbbbEUlllE_EE10hipError_tT0_T1_T2_T3_mRjT4_P12ihipStream_tbNS1_7vsmem_tEEUlT_E_NS1_11comp_targetILNS1_3genE9ELNS1_11target_archE1100ELNS1_3gpuE3ELNS1_3repE0EEENS1_30default_config_static_selectorELNS0_4arch9wavefront6targetE1EEEvSM_
                                        ; -- End function
	.set _ZN7rocprim17ROCPRIM_400000_NS6detail17trampoline_kernelINS0_14default_configENS1_37merge_sort_block_sort_config_selectorIlNS0_10empty_typeEEEZNS1_21merge_sort_block_sortIS3_PlS8_PS5_S9_ZN2at6native12_GLOBAL__N_124unique_dim_cuda_templateImEESt5tupleIJNSA_6TensorESF_SF_EERKSF_lbbbEUlllE_EE10hipError_tT0_T1_T2_T3_mRjT4_P12ihipStream_tbNS1_7vsmem_tEEUlT_E_NS1_11comp_targetILNS1_3genE9ELNS1_11target_archE1100ELNS1_3gpuE3ELNS1_3repE0EEENS1_30default_config_static_selectorELNS0_4arch9wavefront6targetE1EEEvSM_.num_vgpr, 0
	.set _ZN7rocprim17ROCPRIM_400000_NS6detail17trampoline_kernelINS0_14default_configENS1_37merge_sort_block_sort_config_selectorIlNS0_10empty_typeEEEZNS1_21merge_sort_block_sortIS3_PlS8_PS5_S9_ZN2at6native12_GLOBAL__N_124unique_dim_cuda_templateImEESt5tupleIJNSA_6TensorESF_SF_EERKSF_lbbbEUlllE_EE10hipError_tT0_T1_T2_T3_mRjT4_P12ihipStream_tbNS1_7vsmem_tEEUlT_E_NS1_11comp_targetILNS1_3genE9ELNS1_11target_archE1100ELNS1_3gpuE3ELNS1_3repE0EEENS1_30default_config_static_selectorELNS0_4arch9wavefront6targetE1EEEvSM_.num_agpr, 0
	.set _ZN7rocprim17ROCPRIM_400000_NS6detail17trampoline_kernelINS0_14default_configENS1_37merge_sort_block_sort_config_selectorIlNS0_10empty_typeEEEZNS1_21merge_sort_block_sortIS3_PlS8_PS5_S9_ZN2at6native12_GLOBAL__N_124unique_dim_cuda_templateImEESt5tupleIJNSA_6TensorESF_SF_EERKSF_lbbbEUlllE_EE10hipError_tT0_T1_T2_T3_mRjT4_P12ihipStream_tbNS1_7vsmem_tEEUlT_E_NS1_11comp_targetILNS1_3genE9ELNS1_11target_archE1100ELNS1_3gpuE3ELNS1_3repE0EEENS1_30default_config_static_selectorELNS0_4arch9wavefront6targetE1EEEvSM_.numbered_sgpr, 0
	.set _ZN7rocprim17ROCPRIM_400000_NS6detail17trampoline_kernelINS0_14default_configENS1_37merge_sort_block_sort_config_selectorIlNS0_10empty_typeEEEZNS1_21merge_sort_block_sortIS3_PlS8_PS5_S9_ZN2at6native12_GLOBAL__N_124unique_dim_cuda_templateImEESt5tupleIJNSA_6TensorESF_SF_EERKSF_lbbbEUlllE_EE10hipError_tT0_T1_T2_T3_mRjT4_P12ihipStream_tbNS1_7vsmem_tEEUlT_E_NS1_11comp_targetILNS1_3genE9ELNS1_11target_archE1100ELNS1_3gpuE3ELNS1_3repE0EEENS1_30default_config_static_selectorELNS0_4arch9wavefront6targetE1EEEvSM_.num_named_barrier, 0
	.set _ZN7rocprim17ROCPRIM_400000_NS6detail17trampoline_kernelINS0_14default_configENS1_37merge_sort_block_sort_config_selectorIlNS0_10empty_typeEEEZNS1_21merge_sort_block_sortIS3_PlS8_PS5_S9_ZN2at6native12_GLOBAL__N_124unique_dim_cuda_templateImEESt5tupleIJNSA_6TensorESF_SF_EERKSF_lbbbEUlllE_EE10hipError_tT0_T1_T2_T3_mRjT4_P12ihipStream_tbNS1_7vsmem_tEEUlT_E_NS1_11comp_targetILNS1_3genE9ELNS1_11target_archE1100ELNS1_3gpuE3ELNS1_3repE0EEENS1_30default_config_static_selectorELNS0_4arch9wavefront6targetE1EEEvSM_.private_seg_size, 0
	.set _ZN7rocprim17ROCPRIM_400000_NS6detail17trampoline_kernelINS0_14default_configENS1_37merge_sort_block_sort_config_selectorIlNS0_10empty_typeEEEZNS1_21merge_sort_block_sortIS3_PlS8_PS5_S9_ZN2at6native12_GLOBAL__N_124unique_dim_cuda_templateImEESt5tupleIJNSA_6TensorESF_SF_EERKSF_lbbbEUlllE_EE10hipError_tT0_T1_T2_T3_mRjT4_P12ihipStream_tbNS1_7vsmem_tEEUlT_E_NS1_11comp_targetILNS1_3genE9ELNS1_11target_archE1100ELNS1_3gpuE3ELNS1_3repE0EEENS1_30default_config_static_selectorELNS0_4arch9wavefront6targetE1EEEvSM_.uses_vcc, 0
	.set _ZN7rocprim17ROCPRIM_400000_NS6detail17trampoline_kernelINS0_14default_configENS1_37merge_sort_block_sort_config_selectorIlNS0_10empty_typeEEEZNS1_21merge_sort_block_sortIS3_PlS8_PS5_S9_ZN2at6native12_GLOBAL__N_124unique_dim_cuda_templateImEESt5tupleIJNSA_6TensorESF_SF_EERKSF_lbbbEUlllE_EE10hipError_tT0_T1_T2_T3_mRjT4_P12ihipStream_tbNS1_7vsmem_tEEUlT_E_NS1_11comp_targetILNS1_3genE9ELNS1_11target_archE1100ELNS1_3gpuE3ELNS1_3repE0EEENS1_30default_config_static_selectorELNS0_4arch9wavefront6targetE1EEEvSM_.uses_flat_scratch, 0
	.set _ZN7rocprim17ROCPRIM_400000_NS6detail17trampoline_kernelINS0_14default_configENS1_37merge_sort_block_sort_config_selectorIlNS0_10empty_typeEEEZNS1_21merge_sort_block_sortIS3_PlS8_PS5_S9_ZN2at6native12_GLOBAL__N_124unique_dim_cuda_templateImEESt5tupleIJNSA_6TensorESF_SF_EERKSF_lbbbEUlllE_EE10hipError_tT0_T1_T2_T3_mRjT4_P12ihipStream_tbNS1_7vsmem_tEEUlT_E_NS1_11comp_targetILNS1_3genE9ELNS1_11target_archE1100ELNS1_3gpuE3ELNS1_3repE0EEENS1_30default_config_static_selectorELNS0_4arch9wavefront6targetE1EEEvSM_.has_dyn_sized_stack, 0
	.set _ZN7rocprim17ROCPRIM_400000_NS6detail17trampoline_kernelINS0_14default_configENS1_37merge_sort_block_sort_config_selectorIlNS0_10empty_typeEEEZNS1_21merge_sort_block_sortIS3_PlS8_PS5_S9_ZN2at6native12_GLOBAL__N_124unique_dim_cuda_templateImEESt5tupleIJNSA_6TensorESF_SF_EERKSF_lbbbEUlllE_EE10hipError_tT0_T1_T2_T3_mRjT4_P12ihipStream_tbNS1_7vsmem_tEEUlT_E_NS1_11comp_targetILNS1_3genE9ELNS1_11target_archE1100ELNS1_3gpuE3ELNS1_3repE0EEENS1_30default_config_static_selectorELNS0_4arch9wavefront6targetE1EEEvSM_.has_recursion, 0
	.set _ZN7rocprim17ROCPRIM_400000_NS6detail17trampoline_kernelINS0_14default_configENS1_37merge_sort_block_sort_config_selectorIlNS0_10empty_typeEEEZNS1_21merge_sort_block_sortIS3_PlS8_PS5_S9_ZN2at6native12_GLOBAL__N_124unique_dim_cuda_templateImEESt5tupleIJNSA_6TensorESF_SF_EERKSF_lbbbEUlllE_EE10hipError_tT0_T1_T2_T3_mRjT4_P12ihipStream_tbNS1_7vsmem_tEEUlT_E_NS1_11comp_targetILNS1_3genE9ELNS1_11target_archE1100ELNS1_3gpuE3ELNS1_3repE0EEENS1_30default_config_static_selectorELNS0_4arch9wavefront6targetE1EEEvSM_.has_indirect_call, 0
	.section	.AMDGPU.csdata,"",@progbits
; Kernel info:
; codeLenInByte = 0
; TotalNumSgprs: 6
; NumVgprs: 0
; NumAgprs: 0
; TotalNumVgprs: 0
; ScratchSize: 0
; MemoryBound: 0
; FloatMode: 240
; IeeeMode: 1
; LDSByteSize: 0 bytes/workgroup (compile time only)
; SGPRBlocks: 0
; VGPRBlocks: 0
; NumSGPRsForWavesPerEU: 6
; NumVGPRsForWavesPerEU: 1
; AccumOffset: 4
; Occupancy: 8
; WaveLimiterHint : 0
; COMPUTE_PGM_RSRC2:SCRATCH_EN: 0
; COMPUTE_PGM_RSRC2:USER_SGPR: 2
; COMPUTE_PGM_RSRC2:TRAP_HANDLER: 0
; COMPUTE_PGM_RSRC2:TGID_X_EN: 1
; COMPUTE_PGM_RSRC2:TGID_Y_EN: 0
; COMPUTE_PGM_RSRC2:TGID_Z_EN: 0
; COMPUTE_PGM_RSRC2:TIDIG_COMP_CNT: 0
; COMPUTE_PGM_RSRC3_GFX90A:ACCUM_OFFSET: 0
; COMPUTE_PGM_RSRC3_GFX90A:TG_SPLIT: 0
	.section	.text._ZN7rocprim17ROCPRIM_400000_NS6detail17trampoline_kernelINS0_14default_configENS1_37merge_sort_block_sort_config_selectorIlNS0_10empty_typeEEEZNS1_21merge_sort_block_sortIS3_PlS8_PS5_S9_ZN2at6native12_GLOBAL__N_124unique_dim_cuda_templateImEESt5tupleIJNSA_6TensorESF_SF_EERKSF_lbbbEUlllE_EE10hipError_tT0_T1_T2_T3_mRjT4_P12ihipStream_tbNS1_7vsmem_tEEUlT_E_NS1_11comp_targetILNS1_3genE8ELNS1_11target_archE1030ELNS1_3gpuE2ELNS1_3repE0EEENS1_30default_config_static_selectorELNS0_4arch9wavefront6targetE1EEEvSM_,"axG",@progbits,_ZN7rocprim17ROCPRIM_400000_NS6detail17trampoline_kernelINS0_14default_configENS1_37merge_sort_block_sort_config_selectorIlNS0_10empty_typeEEEZNS1_21merge_sort_block_sortIS3_PlS8_PS5_S9_ZN2at6native12_GLOBAL__N_124unique_dim_cuda_templateImEESt5tupleIJNSA_6TensorESF_SF_EERKSF_lbbbEUlllE_EE10hipError_tT0_T1_T2_T3_mRjT4_P12ihipStream_tbNS1_7vsmem_tEEUlT_E_NS1_11comp_targetILNS1_3genE8ELNS1_11target_archE1030ELNS1_3gpuE2ELNS1_3repE0EEENS1_30default_config_static_selectorELNS0_4arch9wavefront6targetE1EEEvSM_,comdat
	.globl	_ZN7rocprim17ROCPRIM_400000_NS6detail17trampoline_kernelINS0_14default_configENS1_37merge_sort_block_sort_config_selectorIlNS0_10empty_typeEEEZNS1_21merge_sort_block_sortIS3_PlS8_PS5_S9_ZN2at6native12_GLOBAL__N_124unique_dim_cuda_templateImEESt5tupleIJNSA_6TensorESF_SF_EERKSF_lbbbEUlllE_EE10hipError_tT0_T1_T2_T3_mRjT4_P12ihipStream_tbNS1_7vsmem_tEEUlT_E_NS1_11comp_targetILNS1_3genE8ELNS1_11target_archE1030ELNS1_3gpuE2ELNS1_3repE0EEENS1_30default_config_static_selectorELNS0_4arch9wavefront6targetE1EEEvSM_ ; -- Begin function _ZN7rocprim17ROCPRIM_400000_NS6detail17trampoline_kernelINS0_14default_configENS1_37merge_sort_block_sort_config_selectorIlNS0_10empty_typeEEEZNS1_21merge_sort_block_sortIS3_PlS8_PS5_S9_ZN2at6native12_GLOBAL__N_124unique_dim_cuda_templateImEESt5tupleIJNSA_6TensorESF_SF_EERKSF_lbbbEUlllE_EE10hipError_tT0_T1_T2_T3_mRjT4_P12ihipStream_tbNS1_7vsmem_tEEUlT_E_NS1_11comp_targetILNS1_3genE8ELNS1_11target_archE1030ELNS1_3gpuE2ELNS1_3repE0EEENS1_30default_config_static_selectorELNS0_4arch9wavefront6targetE1EEEvSM_
	.p2align	8
	.type	_ZN7rocprim17ROCPRIM_400000_NS6detail17trampoline_kernelINS0_14default_configENS1_37merge_sort_block_sort_config_selectorIlNS0_10empty_typeEEEZNS1_21merge_sort_block_sortIS3_PlS8_PS5_S9_ZN2at6native12_GLOBAL__N_124unique_dim_cuda_templateImEESt5tupleIJNSA_6TensorESF_SF_EERKSF_lbbbEUlllE_EE10hipError_tT0_T1_T2_T3_mRjT4_P12ihipStream_tbNS1_7vsmem_tEEUlT_E_NS1_11comp_targetILNS1_3genE8ELNS1_11target_archE1030ELNS1_3gpuE2ELNS1_3repE0EEENS1_30default_config_static_selectorELNS0_4arch9wavefront6targetE1EEEvSM_,@function
_ZN7rocprim17ROCPRIM_400000_NS6detail17trampoline_kernelINS0_14default_configENS1_37merge_sort_block_sort_config_selectorIlNS0_10empty_typeEEEZNS1_21merge_sort_block_sortIS3_PlS8_PS5_S9_ZN2at6native12_GLOBAL__N_124unique_dim_cuda_templateImEESt5tupleIJNSA_6TensorESF_SF_EERKSF_lbbbEUlllE_EE10hipError_tT0_T1_T2_T3_mRjT4_P12ihipStream_tbNS1_7vsmem_tEEUlT_E_NS1_11comp_targetILNS1_3genE8ELNS1_11target_archE1030ELNS1_3gpuE2ELNS1_3repE0EEENS1_30default_config_static_selectorELNS0_4arch9wavefront6targetE1EEEvSM_: ; @_ZN7rocprim17ROCPRIM_400000_NS6detail17trampoline_kernelINS0_14default_configENS1_37merge_sort_block_sort_config_selectorIlNS0_10empty_typeEEEZNS1_21merge_sort_block_sortIS3_PlS8_PS5_S9_ZN2at6native12_GLOBAL__N_124unique_dim_cuda_templateImEESt5tupleIJNSA_6TensorESF_SF_EERKSF_lbbbEUlllE_EE10hipError_tT0_T1_T2_T3_mRjT4_P12ihipStream_tbNS1_7vsmem_tEEUlT_E_NS1_11comp_targetILNS1_3genE8ELNS1_11target_archE1030ELNS1_3gpuE2ELNS1_3repE0EEENS1_30default_config_static_selectorELNS0_4arch9wavefront6targetE1EEEvSM_
; %bb.0:
	.section	.rodata,"a",@progbits
	.p2align	6, 0x0
	.amdhsa_kernel _ZN7rocprim17ROCPRIM_400000_NS6detail17trampoline_kernelINS0_14default_configENS1_37merge_sort_block_sort_config_selectorIlNS0_10empty_typeEEEZNS1_21merge_sort_block_sortIS3_PlS8_PS5_S9_ZN2at6native12_GLOBAL__N_124unique_dim_cuda_templateImEESt5tupleIJNSA_6TensorESF_SF_EERKSF_lbbbEUlllE_EE10hipError_tT0_T1_T2_T3_mRjT4_P12ihipStream_tbNS1_7vsmem_tEEUlT_E_NS1_11comp_targetILNS1_3genE8ELNS1_11target_archE1030ELNS1_3gpuE2ELNS1_3repE0EEENS1_30default_config_static_selectorELNS0_4arch9wavefront6targetE1EEEvSM_
		.amdhsa_group_segment_fixed_size 0
		.amdhsa_private_segment_fixed_size 0
		.amdhsa_kernarg_size 72
		.amdhsa_user_sgpr_count 2
		.amdhsa_user_sgpr_dispatch_ptr 0
		.amdhsa_user_sgpr_queue_ptr 0
		.amdhsa_user_sgpr_kernarg_segment_ptr 1
		.amdhsa_user_sgpr_dispatch_id 0
		.amdhsa_user_sgpr_kernarg_preload_length 0
		.amdhsa_user_sgpr_kernarg_preload_offset 0
		.amdhsa_user_sgpr_private_segment_size 0
		.amdhsa_uses_dynamic_stack 0
		.amdhsa_enable_private_segment 0
		.amdhsa_system_sgpr_workgroup_id_x 1
		.amdhsa_system_sgpr_workgroup_id_y 0
		.amdhsa_system_sgpr_workgroup_id_z 0
		.amdhsa_system_sgpr_workgroup_info 0
		.amdhsa_system_vgpr_workitem_id 0
		.amdhsa_next_free_vgpr 1
		.amdhsa_next_free_sgpr 0
		.amdhsa_accum_offset 4
		.amdhsa_reserve_vcc 0
		.amdhsa_float_round_mode_32 0
		.amdhsa_float_round_mode_16_64 0
		.amdhsa_float_denorm_mode_32 3
		.amdhsa_float_denorm_mode_16_64 3
		.amdhsa_dx10_clamp 1
		.amdhsa_ieee_mode 1
		.amdhsa_fp16_overflow 0
		.amdhsa_tg_split 0
		.amdhsa_exception_fp_ieee_invalid_op 0
		.amdhsa_exception_fp_denorm_src 0
		.amdhsa_exception_fp_ieee_div_zero 0
		.amdhsa_exception_fp_ieee_overflow 0
		.amdhsa_exception_fp_ieee_underflow 0
		.amdhsa_exception_fp_ieee_inexact 0
		.amdhsa_exception_int_div_zero 0
	.end_amdhsa_kernel
	.section	.text._ZN7rocprim17ROCPRIM_400000_NS6detail17trampoline_kernelINS0_14default_configENS1_37merge_sort_block_sort_config_selectorIlNS0_10empty_typeEEEZNS1_21merge_sort_block_sortIS3_PlS8_PS5_S9_ZN2at6native12_GLOBAL__N_124unique_dim_cuda_templateImEESt5tupleIJNSA_6TensorESF_SF_EERKSF_lbbbEUlllE_EE10hipError_tT0_T1_T2_T3_mRjT4_P12ihipStream_tbNS1_7vsmem_tEEUlT_E_NS1_11comp_targetILNS1_3genE8ELNS1_11target_archE1030ELNS1_3gpuE2ELNS1_3repE0EEENS1_30default_config_static_selectorELNS0_4arch9wavefront6targetE1EEEvSM_,"axG",@progbits,_ZN7rocprim17ROCPRIM_400000_NS6detail17trampoline_kernelINS0_14default_configENS1_37merge_sort_block_sort_config_selectorIlNS0_10empty_typeEEEZNS1_21merge_sort_block_sortIS3_PlS8_PS5_S9_ZN2at6native12_GLOBAL__N_124unique_dim_cuda_templateImEESt5tupleIJNSA_6TensorESF_SF_EERKSF_lbbbEUlllE_EE10hipError_tT0_T1_T2_T3_mRjT4_P12ihipStream_tbNS1_7vsmem_tEEUlT_E_NS1_11comp_targetILNS1_3genE8ELNS1_11target_archE1030ELNS1_3gpuE2ELNS1_3repE0EEENS1_30default_config_static_selectorELNS0_4arch9wavefront6targetE1EEEvSM_,comdat
.Lfunc_end1613:
	.size	_ZN7rocprim17ROCPRIM_400000_NS6detail17trampoline_kernelINS0_14default_configENS1_37merge_sort_block_sort_config_selectorIlNS0_10empty_typeEEEZNS1_21merge_sort_block_sortIS3_PlS8_PS5_S9_ZN2at6native12_GLOBAL__N_124unique_dim_cuda_templateImEESt5tupleIJNSA_6TensorESF_SF_EERKSF_lbbbEUlllE_EE10hipError_tT0_T1_T2_T3_mRjT4_P12ihipStream_tbNS1_7vsmem_tEEUlT_E_NS1_11comp_targetILNS1_3genE8ELNS1_11target_archE1030ELNS1_3gpuE2ELNS1_3repE0EEENS1_30default_config_static_selectorELNS0_4arch9wavefront6targetE1EEEvSM_, .Lfunc_end1613-_ZN7rocprim17ROCPRIM_400000_NS6detail17trampoline_kernelINS0_14default_configENS1_37merge_sort_block_sort_config_selectorIlNS0_10empty_typeEEEZNS1_21merge_sort_block_sortIS3_PlS8_PS5_S9_ZN2at6native12_GLOBAL__N_124unique_dim_cuda_templateImEESt5tupleIJNSA_6TensorESF_SF_EERKSF_lbbbEUlllE_EE10hipError_tT0_T1_T2_T3_mRjT4_P12ihipStream_tbNS1_7vsmem_tEEUlT_E_NS1_11comp_targetILNS1_3genE8ELNS1_11target_archE1030ELNS1_3gpuE2ELNS1_3repE0EEENS1_30default_config_static_selectorELNS0_4arch9wavefront6targetE1EEEvSM_
                                        ; -- End function
	.set _ZN7rocprim17ROCPRIM_400000_NS6detail17trampoline_kernelINS0_14default_configENS1_37merge_sort_block_sort_config_selectorIlNS0_10empty_typeEEEZNS1_21merge_sort_block_sortIS3_PlS8_PS5_S9_ZN2at6native12_GLOBAL__N_124unique_dim_cuda_templateImEESt5tupleIJNSA_6TensorESF_SF_EERKSF_lbbbEUlllE_EE10hipError_tT0_T1_T2_T3_mRjT4_P12ihipStream_tbNS1_7vsmem_tEEUlT_E_NS1_11comp_targetILNS1_3genE8ELNS1_11target_archE1030ELNS1_3gpuE2ELNS1_3repE0EEENS1_30default_config_static_selectorELNS0_4arch9wavefront6targetE1EEEvSM_.num_vgpr, 0
	.set _ZN7rocprim17ROCPRIM_400000_NS6detail17trampoline_kernelINS0_14default_configENS1_37merge_sort_block_sort_config_selectorIlNS0_10empty_typeEEEZNS1_21merge_sort_block_sortIS3_PlS8_PS5_S9_ZN2at6native12_GLOBAL__N_124unique_dim_cuda_templateImEESt5tupleIJNSA_6TensorESF_SF_EERKSF_lbbbEUlllE_EE10hipError_tT0_T1_T2_T3_mRjT4_P12ihipStream_tbNS1_7vsmem_tEEUlT_E_NS1_11comp_targetILNS1_3genE8ELNS1_11target_archE1030ELNS1_3gpuE2ELNS1_3repE0EEENS1_30default_config_static_selectorELNS0_4arch9wavefront6targetE1EEEvSM_.num_agpr, 0
	.set _ZN7rocprim17ROCPRIM_400000_NS6detail17trampoline_kernelINS0_14default_configENS1_37merge_sort_block_sort_config_selectorIlNS0_10empty_typeEEEZNS1_21merge_sort_block_sortIS3_PlS8_PS5_S9_ZN2at6native12_GLOBAL__N_124unique_dim_cuda_templateImEESt5tupleIJNSA_6TensorESF_SF_EERKSF_lbbbEUlllE_EE10hipError_tT0_T1_T2_T3_mRjT4_P12ihipStream_tbNS1_7vsmem_tEEUlT_E_NS1_11comp_targetILNS1_3genE8ELNS1_11target_archE1030ELNS1_3gpuE2ELNS1_3repE0EEENS1_30default_config_static_selectorELNS0_4arch9wavefront6targetE1EEEvSM_.numbered_sgpr, 0
	.set _ZN7rocprim17ROCPRIM_400000_NS6detail17trampoline_kernelINS0_14default_configENS1_37merge_sort_block_sort_config_selectorIlNS0_10empty_typeEEEZNS1_21merge_sort_block_sortIS3_PlS8_PS5_S9_ZN2at6native12_GLOBAL__N_124unique_dim_cuda_templateImEESt5tupleIJNSA_6TensorESF_SF_EERKSF_lbbbEUlllE_EE10hipError_tT0_T1_T2_T3_mRjT4_P12ihipStream_tbNS1_7vsmem_tEEUlT_E_NS1_11comp_targetILNS1_3genE8ELNS1_11target_archE1030ELNS1_3gpuE2ELNS1_3repE0EEENS1_30default_config_static_selectorELNS0_4arch9wavefront6targetE1EEEvSM_.num_named_barrier, 0
	.set _ZN7rocprim17ROCPRIM_400000_NS6detail17trampoline_kernelINS0_14default_configENS1_37merge_sort_block_sort_config_selectorIlNS0_10empty_typeEEEZNS1_21merge_sort_block_sortIS3_PlS8_PS5_S9_ZN2at6native12_GLOBAL__N_124unique_dim_cuda_templateImEESt5tupleIJNSA_6TensorESF_SF_EERKSF_lbbbEUlllE_EE10hipError_tT0_T1_T2_T3_mRjT4_P12ihipStream_tbNS1_7vsmem_tEEUlT_E_NS1_11comp_targetILNS1_3genE8ELNS1_11target_archE1030ELNS1_3gpuE2ELNS1_3repE0EEENS1_30default_config_static_selectorELNS0_4arch9wavefront6targetE1EEEvSM_.private_seg_size, 0
	.set _ZN7rocprim17ROCPRIM_400000_NS6detail17trampoline_kernelINS0_14default_configENS1_37merge_sort_block_sort_config_selectorIlNS0_10empty_typeEEEZNS1_21merge_sort_block_sortIS3_PlS8_PS5_S9_ZN2at6native12_GLOBAL__N_124unique_dim_cuda_templateImEESt5tupleIJNSA_6TensorESF_SF_EERKSF_lbbbEUlllE_EE10hipError_tT0_T1_T2_T3_mRjT4_P12ihipStream_tbNS1_7vsmem_tEEUlT_E_NS1_11comp_targetILNS1_3genE8ELNS1_11target_archE1030ELNS1_3gpuE2ELNS1_3repE0EEENS1_30default_config_static_selectorELNS0_4arch9wavefront6targetE1EEEvSM_.uses_vcc, 0
	.set _ZN7rocprim17ROCPRIM_400000_NS6detail17trampoline_kernelINS0_14default_configENS1_37merge_sort_block_sort_config_selectorIlNS0_10empty_typeEEEZNS1_21merge_sort_block_sortIS3_PlS8_PS5_S9_ZN2at6native12_GLOBAL__N_124unique_dim_cuda_templateImEESt5tupleIJNSA_6TensorESF_SF_EERKSF_lbbbEUlllE_EE10hipError_tT0_T1_T2_T3_mRjT4_P12ihipStream_tbNS1_7vsmem_tEEUlT_E_NS1_11comp_targetILNS1_3genE8ELNS1_11target_archE1030ELNS1_3gpuE2ELNS1_3repE0EEENS1_30default_config_static_selectorELNS0_4arch9wavefront6targetE1EEEvSM_.uses_flat_scratch, 0
	.set _ZN7rocprim17ROCPRIM_400000_NS6detail17trampoline_kernelINS0_14default_configENS1_37merge_sort_block_sort_config_selectorIlNS0_10empty_typeEEEZNS1_21merge_sort_block_sortIS3_PlS8_PS5_S9_ZN2at6native12_GLOBAL__N_124unique_dim_cuda_templateImEESt5tupleIJNSA_6TensorESF_SF_EERKSF_lbbbEUlllE_EE10hipError_tT0_T1_T2_T3_mRjT4_P12ihipStream_tbNS1_7vsmem_tEEUlT_E_NS1_11comp_targetILNS1_3genE8ELNS1_11target_archE1030ELNS1_3gpuE2ELNS1_3repE0EEENS1_30default_config_static_selectorELNS0_4arch9wavefront6targetE1EEEvSM_.has_dyn_sized_stack, 0
	.set _ZN7rocprim17ROCPRIM_400000_NS6detail17trampoline_kernelINS0_14default_configENS1_37merge_sort_block_sort_config_selectorIlNS0_10empty_typeEEEZNS1_21merge_sort_block_sortIS3_PlS8_PS5_S9_ZN2at6native12_GLOBAL__N_124unique_dim_cuda_templateImEESt5tupleIJNSA_6TensorESF_SF_EERKSF_lbbbEUlllE_EE10hipError_tT0_T1_T2_T3_mRjT4_P12ihipStream_tbNS1_7vsmem_tEEUlT_E_NS1_11comp_targetILNS1_3genE8ELNS1_11target_archE1030ELNS1_3gpuE2ELNS1_3repE0EEENS1_30default_config_static_selectorELNS0_4arch9wavefront6targetE1EEEvSM_.has_recursion, 0
	.set _ZN7rocprim17ROCPRIM_400000_NS6detail17trampoline_kernelINS0_14default_configENS1_37merge_sort_block_sort_config_selectorIlNS0_10empty_typeEEEZNS1_21merge_sort_block_sortIS3_PlS8_PS5_S9_ZN2at6native12_GLOBAL__N_124unique_dim_cuda_templateImEESt5tupleIJNSA_6TensorESF_SF_EERKSF_lbbbEUlllE_EE10hipError_tT0_T1_T2_T3_mRjT4_P12ihipStream_tbNS1_7vsmem_tEEUlT_E_NS1_11comp_targetILNS1_3genE8ELNS1_11target_archE1030ELNS1_3gpuE2ELNS1_3repE0EEENS1_30default_config_static_selectorELNS0_4arch9wavefront6targetE1EEEvSM_.has_indirect_call, 0
	.section	.AMDGPU.csdata,"",@progbits
; Kernel info:
; codeLenInByte = 0
; TotalNumSgprs: 6
; NumVgprs: 0
; NumAgprs: 0
; TotalNumVgprs: 0
; ScratchSize: 0
; MemoryBound: 0
; FloatMode: 240
; IeeeMode: 1
; LDSByteSize: 0 bytes/workgroup (compile time only)
; SGPRBlocks: 0
; VGPRBlocks: 0
; NumSGPRsForWavesPerEU: 6
; NumVGPRsForWavesPerEU: 1
; AccumOffset: 4
; Occupancy: 8
; WaveLimiterHint : 0
; COMPUTE_PGM_RSRC2:SCRATCH_EN: 0
; COMPUTE_PGM_RSRC2:USER_SGPR: 2
; COMPUTE_PGM_RSRC2:TRAP_HANDLER: 0
; COMPUTE_PGM_RSRC2:TGID_X_EN: 1
; COMPUTE_PGM_RSRC2:TGID_Y_EN: 0
; COMPUTE_PGM_RSRC2:TGID_Z_EN: 0
; COMPUTE_PGM_RSRC2:TIDIG_COMP_CNT: 0
; COMPUTE_PGM_RSRC3_GFX90A:ACCUM_OFFSET: 0
; COMPUTE_PGM_RSRC3_GFX90A:TG_SPLIT: 0
	.section	.text._ZN7rocprim17ROCPRIM_400000_NS6detail17trampoline_kernelINS0_14default_configENS1_38merge_sort_block_merge_config_selectorIlNS0_10empty_typeEEEZZNS1_27merge_sort_block_merge_implIS3_PlPS5_mZN2at6native12_GLOBAL__N_124unique_dim_cuda_templateImEESt5tupleIJNSA_6TensorESF_SF_EERKSF_lbbbEUlllE_EE10hipError_tT0_T1_T2_jT3_P12ihipStream_tbPNSt15iterator_traitsISL_E10value_typeEPNSR_ISM_E10value_typeEPSN_NS1_7vsmem_tEENKUlT_SL_SM_SN_E_clIS8_S8_S9_S9_EESK_S10_SL_SM_SN_EUlS10_E_NS1_11comp_targetILNS1_3genE0ELNS1_11target_archE4294967295ELNS1_3gpuE0ELNS1_3repE0EEENS1_48merge_mergepath_partition_config_static_selectorELNS0_4arch9wavefront6targetE1EEEvSM_,"axG",@progbits,_ZN7rocprim17ROCPRIM_400000_NS6detail17trampoline_kernelINS0_14default_configENS1_38merge_sort_block_merge_config_selectorIlNS0_10empty_typeEEEZZNS1_27merge_sort_block_merge_implIS3_PlPS5_mZN2at6native12_GLOBAL__N_124unique_dim_cuda_templateImEESt5tupleIJNSA_6TensorESF_SF_EERKSF_lbbbEUlllE_EE10hipError_tT0_T1_T2_jT3_P12ihipStream_tbPNSt15iterator_traitsISL_E10value_typeEPNSR_ISM_E10value_typeEPSN_NS1_7vsmem_tEENKUlT_SL_SM_SN_E_clIS8_S8_S9_S9_EESK_S10_SL_SM_SN_EUlS10_E_NS1_11comp_targetILNS1_3genE0ELNS1_11target_archE4294967295ELNS1_3gpuE0ELNS1_3repE0EEENS1_48merge_mergepath_partition_config_static_selectorELNS0_4arch9wavefront6targetE1EEEvSM_,comdat
	.globl	_ZN7rocprim17ROCPRIM_400000_NS6detail17trampoline_kernelINS0_14default_configENS1_38merge_sort_block_merge_config_selectorIlNS0_10empty_typeEEEZZNS1_27merge_sort_block_merge_implIS3_PlPS5_mZN2at6native12_GLOBAL__N_124unique_dim_cuda_templateImEESt5tupleIJNSA_6TensorESF_SF_EERKSF_lbbbEUlllE_EE10hipError_tT0_T1_T2_jT3_P12ihipStream_tbPNSt15iterator_traitsISL_E10value_typeEPNSR_ISM_E10value_typeEPSN_NS1_7vsmem_tEENKUlT_SL_SM_SN_E_clIS8_S8_S9_S9_EESK_S10_SL_SM_SN_EUlS10_E_NS1_11comp_targetILNS1_3genE0ELNS1_11target_archE4294967295ELNS1_3gpuE0ELNS1_3repE0EEENS1_48merge_mergepath_partition_config_static_selectorELNS0_4arch9wavefront6targetE1EEEvSM_ ; -- Begin function _ZN7rocprim17ROCPRIM_400000_NS6detail17trampoline_kernelINS0_14default_configENS1_38merge_sort_block_merge_config_selectorIlNS0_10empty_typeEEEZZNS1_27merge_sort_block_merge_implIS3_PlPS5_mZN2at6native12_GLOBAL__N_124unique_dim_cuda_templateImEESt5tupleIJNSA_6TensorESF_SF_EERKSF_lbbbEUlllE_EE10hipError_tT0_T1_T2_jT3_P12ihipStream_tbPNSt15iterator_traitsISL_E10value_typeEPNSR_ISM_E10value_typeEPSN_NS1_7vsmem_tEENKUlT_SL_SM_SN_E_clIS8_S8_S9_S9_EESK_S10_SL_SM_SN_EUlS10_E_NS1_11comp_targetILNS1_3genE0ELNS1_11target_archE4294967295ELNS1_3gpuE0ELNS1_3repE0EEENS1_48merge_mergepath_partition_config_static_selectorELNS0_4arch9wavefront6targetE1EEEvSM_
	.p2align	8
	.type	_ZN7rocprim17ROCPRIM_400000_NS6detail17trampoline_kernelINS0_14default_configENS1_38merge_sort_block_merge_config_selectorIlNS0_10empty_typeEEEZZNS1_27merge_sort_block_merge_implIS3_PlPS5_mZN2at6native12_GLOBAL__N_124unique_dim_cuda_templateImEESt5tupleIJNSA_6TensorESF_SF_EERKSF_lbbbEUlllE_EE10hipError_tT0_T1_T2_jT3_P12ihipStream_tbPNSt15iterator_traitsISL_E10value_typeEPNSR_ISM_E10value_typeEPSN_NS1_7vsmem_tEENKUlT_SL_SM_SN_E_clIS8_S8_S9_S9_EESK_S10_SL_SM_SN_EUlS10_E_NS1_11comp_targetILNS1_3genE0ELNS1_11target_archE4294967295ELNS1_3gpuE0ELNS1_3repE0EEENS1_48merge_mergepath_partition_config_static_selectorELNS0_4arch9wavefront6targetE1EEEvSM_,@function
_ZN7rocprim17ROCPRIM_400000_NS6detail17trampoline_kernelINS0_14default_configENS1_38merge_sort_block_merge_config_selectorIlNS0_10empty_typeEEEZZNS1_27merge_sort_block_merge_implIS3_PlPS5_mZN2at6native12_GLOBAL__N_124unique_dim_cuda_templateImEESt5tupleIJNSA_6TensorESF_SF_EERKSF_lbbbEUlllE_EE10hipError_tT0_T1_T2_jT3_P12ihipStream_tbPNSt15iterator_traitsISL_E10value_typeEPNSR_ISM_E10value_typeEPSN_NS1_7vsmem_tEENKUlT_SL_SM_SN_E_clIS8_S8_S9_S9_EESK_S10_SL_SM_SN_EUlS10_E_NS1_11comp_targetILNS1_3genE0ELNS1_11target_archE4294967295ELNS1_3gpuE0ELNS1_3repE0EEENS1_48merge_mergepath_partition_config_static_selectorELNS0_4arch9wavefront6targetE1EEEvSM_: ; @_ZN7rocprim17ROCPRIM_400000_NS6detail17trampoline_kernelINS0_14default_configENS1_38merge_sort_block_merge_config_selectorIlNS0_10empty_typeEEEZZNS1_27merge_sort_block_merge_implIS3_PlPS5_mZN2at6native12_GLOBAL__N_124unique_dim_cuda_templateImEESt5tupleIJNSA_6TensorESF_SF_EERKSF_lbbbEUlllE_EE10hipError_tT0_T1_T2_jT3_P12ihipStream_tbPNSt15iterator_traitsISL_E10value_typeEPNSR_ISM_E10value_typeEPSN_NS1_7vsmem_tEENKUlT_SL_SM_SN_E_clIS8_S8_S9_S9_EESK_S10_SL_SM_SN_EUlS10_E_NS1_11comp_targetILNS1_3genE0ELNS1_11target_archE4294967295ELNS1_3gpuE0ELNS1_3repE0EEENS1_48merge_mergepath_partition_config_static_selectorELNS0_4arch9wavefront6targetE1EEEvSM_
; %bb.0:
	s_load_dword s3, s[0:1], 0x0
	v_lshl_or_b32 v0, s2, 7, v0
	s_waitcnt lgkmcnt(0)
	v_cmp_gt_u32_e32 vcc, s3, v0
	s_and_saveexec_b64 s[2:3], vcc
	s_cbranch_execz .LBB1614_12
; %bb.1:
	s_load_dwordx4 s[12:15], s[0:1], 0x8
	s_load_dwordx8 s[4:11], s[0:1], 0x18
	v_mov_b32_e32 v5, 0
	v_mov_b32_e32 v7, v5
	s_waitcnt lgkmcnt(0)
	s_lshr_b64 s[0:1], s[12:13], 9
	s_and_b32 s0, s0, -2
	s_add_i32 s1, s0, -1
	s_sub_i32 s0, 0, s0
	v_and_b32_e32 v4, s0, v0
	v_lshlrev_b64 v[8:9], 10, v[4:5]
	v_mov_b32_e32 v1, s15
	v_cmp_lt_u64_e32 vcc, s[14:15], v[8:9]
	v_mov_b32_e32 v4, s14
	v_and_b32_e32 v6, s1, v0
	v_cndmask_b32_e32 v3, v9, v1, vcc
	v_cndmask_b32_e32 v2, v8, v4, vcc
	v_lshl_add_u64 v[8:9], v[8:9], 0, s[12:13]
	v_cmp_lt_u64_e32 vcc, s[14:15], v[8:9]
	s_nop 1
	v_cndmask_b32_e32 v11, v9, v1, vcc
	v_cndmask_b32_e32 v10, v8, v4, vcc
	v_lshl_add_u64 v[8:9], v[10:11], 0, s[12:13]
	v_cmp_lt_u64_e32 vcc, s[14:15], v[8:9]
	s_nop 1
	v_cndmask_b32_e32 v14, v8, v4, vcc
	v_cndmask_b32_e32 v1, v9, v1, vcc
	v_sub_co_u32_e32 v8, vcc, v14, v2
	v_lshlrev_b64 v[4:5], 10, v[6:7]
	s_nop 0
	v_subb_co_u32_e32 v9, vcc, v1, v3, vcc
	v_cmp_lt_u64_e32 vcc, v[8:9], v[4:5]
	s_nop 1
	v_cndmask_b32_e32 v13, v5, v9, vcc
	v_cndmask_b32_e32 v12, v4, v8, vcc
	v_sub_co_u32_e32 v6, vcc, v10, v2
	s_nop 1
	v_subb_co_u32_e32 v7, vcc, v11, v3, vcc
	v_sub_co_u32_e32 v4, vcc, v10, v14
	s_nop 1
	v_subb_co_u32_e32 v5, vcc, v11, v1, vcc
	v_lshl_add_u64 v[4:5], v[12:13], 0, v[4:5]
	v_cmp_gt_u64_e32 vcc, v[4:5], v[12:13]
	s_nop 1
	v_cndmask_b32_e64 v5, v5, 0, vcc
	v_cndmask_b32_e64 v4, v4, 0, vcc
	v_cmp_lt_u64_e32 vcc, v[12:13], v[6:7]
	s_nop 1
	v_cndmask_b32_e32 v7, v7, v13, vcc
	v_cndmask_b32_e32 v6, v6, v12, vcc
	v_cmp_lt_u64_e32 vcc, v[4:5], v[6:7]
	s_and_saveexec_b64 s[12:13], vcc
	s_cbranch_execz .LBB1614_11
; %bb.2:
	v_cmp_gt_i64_e64 s[0:1], s[6:7], 0
	v_lshl_add_u64 v[10:11], v[10:11], 3, s[4:5]
	v_lshl_add_u64 v[8:9], v[2:3], 3, s[4:5]
	v_cndmask_b32_e64 v1, 0, 1, s[0:1]
	v_lshl_add_u64 v[10:11], v[12:13], 3, v[10:11]
	s_mov_b64 s[14:15], 0
	s_lshl_b64 s[16:17], s[6:7], 3
	v_cmp_ne_u32_e64 s[0:1], 1, v1
	s_branch .LBB1614_5
.LBB1614_3:                             ;   in Loop: Header=BB1614_5 Depth=1
	s_or_b64 exec, exec, s[20:21]
.LBB1614_4:                             ;   in Loop: Header=BB1614_5 Depth=1
	v_lshl_add_u64 v[14:15], v[12:13], 0, 1
	v_cndmask_b32_e64 v7, v7, v13, s[18:19]
	v_cndmask_b32_e64 v6, v6, v12, s[18:19]
	;; [unrolled: 1-line block ×4, first 2 shown]
	v_cmp_ge_u64_e32 vcc, v[4:5], v[6:7]
	s_or_b64 s[14:15], vcc, s[14:15]
	s_andn2_b64 exec, exec, s[14:15]
	s_cbranch_execz .LBB1614_10
.LBB1614_5:                             ; =>This Loop Header: Depth=1
                                        ;     Child Loop BB1614_8 Depth 2
	v_lshl_add_u64 v[12:13], v[6:7], 0, v[4:5]
	v_lshrrev_b64 v[12:13], 1, v[12:13]
	s_and_b64 vcc, exec, s[0:1]
	s_mov_b64 s[18:19], 0
	s_cbranch_vccnz .LBB1614_4
; %bb.6:                                ;   in Loop: Header=BB1614_5 Depth=1
	v_not_b32_e32 v15, v13
	v_not_b32_e32 v14, v12
	v_lshl_add_u64 v[14:15], v[14:15], 3, v[10:11]
	v_lshl_add_u64 v[16:17], v[12:13], 3, v[8:9]
	global_load_dwordx2 v[14:15], v[14:15], off
	v_mov_b64_e32 v[18:19], s[8:9]
	global_load_dwordx2 v[16:17], v[16:17], off
	s_mov_b64 s[20:21], 0
	s_mov_b64 s[24:25], s[6:7]
                                        ; implicit-def: $sgpr18_sgpr19
                                        ; implicit-def: $sgpr22_sgpr23
                                        ; implicit-def: $sgpr2_sgpr3
                                        ; implicit-def: $sgpr26_sgpr27
	s_waitcnt vmcnt(1)
	v_mul_lo_u32 v1, s16, v15
	v_mul_lo_u32 v20, s17, v14
	v_mad_u64_u32 v[14:15], s[4:5], s16, v14, v[18:19]
	s_waitcnt vmcnt(0)
	v_mul_lo_u32 v21, s16, v17
	v_mul_lo_u32 v22, s17, v16
	v_mad_u64_u32 v[16:17], s[4:5], s16, v16, v[18:19]
	v_add3_u32 v15, v20, v15, v1
	v_add3_u32 v17, v22, v17, v21
	s_branch .LBB1614_8
.LBB1614_7:                             ;   in Loop: Header=BB1614_8 Depth=2
	s_or_b64 exec, exec, s[30:31]
	s_and_b64 s[4:5], exec, s[22:23]
	s_or_b64 s[20:21], s[4:5], s[20:21]
	s_andn2_b64 s[4:5], s[26:27], exec
	s_and_b64 s[26:27], s[28:29], exec
	s_or_b64 s[26:27], s[4:5], s[26:27]
	s_andn2_b64 s[4:5], s[18:19], exec
	s_and_b64 s[18:19], s[2:3], exec
	s_or_b64 s[18:19], s[4:5], s[18:19]
	s_andn2_b64 exec, exec, s[20:21]
	s_cbranch_execz .LBB1614_3
.LBB1614_8:                             ;   Parent Loop BB1614_5 Depth=1
                                        ; =>  This Inner Loop Header: Depth=2
	global_load_dwordx2 v[18:19], v[14:15], off
	global_load_dwordx2 v[20:21], v[16:17], off
	s_andn2_b64 s[30:31], s[2:3], exec
	s_or_b64 s[22:23], s[22:23], exec
	s_waitcnt vmcnt(0)
	v_cmp_le_u64_e64 s[2:3], v[18:19], v[20:21]
	v_cmp_lt_u64_e32 vcc, v[18:19], v[20:21]
	s_and_b64 s[2:3], s[2:3], s[26:27]
	s_or_b64 s[28:29], vcc, s[2:3]
	s_and_b64 s[2:3], s[28:29], exec
	v_cmp_eq_u64_e64 s[4:5], v[18:19], v[20:21]
	s_or_b64 s[2:3], s[30:31], s[2:3]
	s_and_saveexec_b64 s[30:31], s[4:5]
	s_cbranch_execz .LBB1614_7
; %bb.9:                                ;   in Loop: Header=BB1614_8 Depth=2
	s_add_u32 s24, s24, -1
	s_addc_u32 s25, s25, -1
	s_cmp_eq_u64 s[24:25], 0
	s_cselect_b64 s[4:5], -1, 0
	s_andn2_b64 s[22:23], s[22:23], exec
	s_and_b64 s[4:5], s[4:5], exec
	v_lshl_add_u64 v[14:15], v[14:15], 0, 8
	v_lshl_add_u64 v[16:17], v[16:17], 0, 8
	s_andn2_b64 s[2:3], s[2:3], exec
	s_or_b64 s[22:23], s[22:23], s[4:5]
                                        ; implicit-def: $sgpr26_sgpr27
	s_branch .LBB1614_7
.LBB1614_10:
	s_or_b64 exec, exec, s[14:15]
.LBB1614_11:
	s_or_b64 exec, exec, s[12:13]
	v_mov_b32_e32 v6, s10
	v_mov_b32_e32 v7, s11
	;; [unrolled: 1-line block ×3, first 2 shown]
	v_lshl_add_u64 v[2:3], v[4:5], 0, v[2:3]
	v_lshl_add_u64 v[0:1], v[0:1], 3, v[6:7]
	global_store_dwordx2 v[0:1], v[2:3], off
.LBB1614_12:
	s_endpgm
	.section	.rodata,"a",@progbits
	.p2align	6, 0x0
	.amdhsa_kernel _ZN7rocprim17ROCPRIM_400000_NS6detail17trampoline_kernelINS0_14default_configENS1_38merge_sort_block_merge_config_selectorIlNS0_10empty_typeEEEZZNS1_27merge_sort_block_merge_implIS3_PlPS5_mZN2at6native12_GLOBAL__N_124unique_dim_cuda_templateImEESt5tupleIJNSA_6TensorESF_SF_EERKSF_lbbbEUlllE_EE10hipError_tT0_T1_T2_jT3_P12ihipStream_tbPNSt15iterator_traitsISL_E10value_typeEPNSR_ISM_E10value_typeEPSN_NS1_7vsmem_tEENKUlT_SL_SM_SN_E_clIS8_S8_S9_S9_EESK_S10_SL_SM_SN_EUlS10_E_NS1_11comp_targetILNS1_3genE0ELNS1_11target_archE4294967295ELNS1_3gpuE0ELNS1_3repE0EEENS1_48merge_mergepath_partition_config_static_selectorELNS0_4arch9wavefront6targetE1EEEvSM_
		.amdhsa_group_segment_fixed_size 0
		.amdhsa_private_segment_fixed_size 0
		.amdhsa_kernarg_size 56
		.amdhsa_user_sgpr_count 2
		.amdhsa_user_sgpr_dispatch_ptr 0
		.amdhsa_user_sgpr_queue_ptr 0
		.amdhsa_user_sgpr_kernarg_segment_ptr 1
		.amdhsa_user_sgpr_dispatch_id 0
		.amdhsa_user_sgpr_kernarg_preload_length 0
		.amdhsa_user_sgpr_kernarg_preload_offset 0
		.amdhsa_user_sgpr_private_segment_size 0
		.amdhsa_uses_dynamic_stack 0
		.amdhsa_enable_private_segment 0
		.amdhsa_system_sgpr_workgroup_id_x 1
		.amdhsa_system_sgpr_workgroup_id_y 0
		.amdhsa_system_sgpr_workgroup_id_z 0
		.amdhsa_system_sgpr_workgroup_info 0
		.amdhsa_system_vgpr_workitem_id 0
		.amdhsa_next_free_vgpr 23
		.amdhsa_next_free_sgpr 32
		.amdhsa_accum_offset 24
		.amdhsa_reserve_vcc 1
		.amdhsa_float_round_mode_32 0
		.amdhsa_float_round_mode_16_64 0
		.amdhsa_float_denorm_mode_32 3
		.amdhsa_float_denorm_mode_16_64 3
		.amdhsa_dx10_clamp 1
		.amdhsa_ieee_mode 1
		.amdhsa_fp16_overflow 0
		.amdhsa_tg_split 0
		.amdhsa_exception_fp_ieee_invalid_op 0
		.amdhsa_exception_fp_denorm_src 0
		.amdhsa_exception_fp_ieee_div_zero 0
		.amdhsa_exception_fp_ieee_overflow 0
		.amdhsa_exception_fp_ieee_underflow 0
		.amdhsa_exception_fp_ieee_inexact 0
		.amdhsa_exception_int_div_zero 0
	.end_amdhsa_kernel
	.section	.text._ZN7rocprim17ROCPRIM_400000_NS6detail17trampoline_kernelINS0_14default_configENS1_38merge_sort_block_merge_config_selectorIlNS0_10empty_typeEEEZZNS1_27merge_sort_block_merge_implIS3_PlPS5_mZN2at6native12_GLOBAL__N_124unique_dim_cuda_templateImEESt5tupleIJNSA_6TensorESF_SF_EERKSF_lbbbEUlllE_EE10hipError_tT0_T1_T2_jT3_P12ihipStream_tbPNSt15iterator_traitsISL_E10value_typeEPNSR_ISM_E10value_typeEPSN_NS1_7vsmem_tEENKUlT_SL_SM_SN_E_clIS8_S8_S9_S9_EESK_S10_SL_SM_SN_EUlS10_E_NS1_11comp_targetILNS1_3genE0ELNS1_11target_archE4294967295ELNS1_3gpuE0ELNS1_3repE0EEENS1_48merge_mergepath_partition_config_static_selectorELNS0_4arch9wavefront6targetE1EEEvSM_,"axG",@progbits,_ZN7rocprim17ROCPRIM_400000_NS6detail17trampoline_kernelINS0_14default_configENS1_38merge_sort_block_merge_config_selectorIlNS0_10empty_typeEEEZZNS1_27merge_sort_block_merge_implIS3_PlPS5_mZN2at6native12_GLOBAL__N_124unique_dim_cuda_templateImEESt5tupleIJNSA_6TensorESF_SF_EERKSF_lbbbEUlllE_EE10hipError_tT0_T1_T2_jT3_P12ihipStream_tbPNSt15iterator_traitsISL_E10value_typeEPNSR_ISM_E10value_typeEPSN_NS1_7vsmem_tEENKUlT_SL_SM_SN_E_clIS8_S8_S9_S9_EESK_S10_SL_SM_SN_EUlS10_E_NS1_11comp_targetILNS1_3genE0ELNS1_11target_archE4294967295ELNS1_3gpuE0ELNS1_3repE0EEENS1_48merge_mergepath_partition_config_static_selectorELNS0_4arch9wavefront6targetE1EEEvSM_,comdat
.Lfunc_end1614:
	.size	_ZN7rocprim17ROCPRIM_400000_NS6detail17trampoline_kernelINS0_14default_configENS1_38merge_sort_block_merge_config_selectorIlNS0_10empty_typeEEEZZNS1_27merge_sort_block_merge_implIS3_PlPS5_mZN2at6native12_GLOBAL__N_124unique_dim_cuda_templateImEESt5tupleIJNSA_6TensorESF_SF_EERKSF_lbbbEUlllE_EE10hipError_tT0_T1_T2_jT3_P12ihipStream_tbPNSt15iterator_traitsISL_E10value_typeEPNSR_ISM_E10value_typeEPSN_NS1_7vsmem_tEENKUlT_SL_SM_SN_E_clIS8_S8_S9_S9_EESK_S10_SL_SM_SN_EUlS10_E_NS1_11comp_targetILNS1_3genE0ELNS1_11target_archE4294967295ELNS1_3gpuE0ELNS1_3repE0EEENS1_48merge_mergepath_partition_config_static_selectorELNS0_4arch9wavefront6targetE1EEEvSM_, .Lfunc_end1614-_ZN7rocprim17ROCPRIM_400000_NS6detail17trampoline_kernelINS0_14default_configENS1_38merge_sort_block_merge_config_selectorIlNS0_10empty_typeEEEZZNS1_27merge_sort_block_merge_implIS3_PlPS5_mZN2at6native12_GLOBAL__N_124unique_dim_cuda_templateImEESt5tupleIJNSA_6TensorESF_SF_EERKSF_lbbbEUlllE_EE10hipError_tT0_T1_T2_jT3_P12ihipStream_tbPNSt15iterator_traitsISL_E10value_typeEPNSR_ISM_E10value_typeEPSN_NS1_7vsmem_tEENKUlT_SL_SM_SN_E_clIS8_S8_S9_S9_EESK_S10_SL_SM_SN_EUlS10_E_NS1_11comp_targetILNS1_3genE0ELNS1_11target_archE4294967295ELNS1_3gpuE0ELNS1_3repE0EEENS1_48merge_mergepath_partition_config_static_selectorELNS0_4arch9wavefront6targetE1EEEvSM_
                                        ; -- End function
	.set _ZN7rocprim17ROCPRIM_400000_NS6detail17trampoline_kernelINS0_14default_configENS1_38merge_sort_block_merge_config_selectorIlNS0_10empty_typeEEEZZNS1_27merge_sort_block_merge_implIS3_PlPS5_mZN2at6native12_GLOBAL__N_124unique_dim_cuda_templateImEESt5tupleIJNSA_6TensorESF_SF_EERKSF_lbbbEUlllE_EE10hipError_tT0_T1_T2_jT3_P12ihipStream_tbPNSt15iterator_traitsISL_E10value_typeEPNSR_ISM_E10value_typeEPSN_NS1_7vsmem_tEENKUlT_SL_SM_SN_E_clIS8_S8_S9_S9_EESK_S10_SL_SM_SN_EUlS10_E_NS1_11comp_targetILNS1_3genE0ELNS1_11target_archE4294967295ELNS1_3gpuE0ELNS1_3repE0EEENS1_48merge_mergepath_partition_config_static_selectorELNS0_4arch9wavefront6targetE1EEEvSM_.num_vgpr, 23
	.set _ZN7rocprim17ROCPRIM_400000_NS6detail17trampoline_kernelINS0_14default_configENS1_38merge_sort_block_merge_config_selectorIlNS0_10empty_typeEEEZZNS1_27merge_sort_block_merge_implIS3_PlPS5_mZN2at6native12_GLOBAL__N_124unique_dim_cuda_templateImEESt5tupleIJNSA_6TensorESF_SF_EERKSF_lbbbEUlllE_EE10hipError_tT0_T1_T2_jT3_P12ihipStream_tbPNSt15iterator_traitsISL_E10value_typeEPNSR_ISM_E10value_typeEPSN_NS1_7vsmem_tEENKUlT_SL_SM_SN_E_clIS8_S8_S9_S9_EESK_S10_SL_SM_SN_EUlS10_E_NS1_11comp_targetILNS1_3genE0ELNS1_11target_archE4294967295ELNS1_3gpuE0ELNS1_3repE0EEENS1_48merge_mergepath_partition_config_static_selectorELNS0_4arch9wavefront6targetE1EEEvSM_.num_agpr, 0
	.set _ZN7rocprim17ROCPRIM_400000_NS6detail17trampoline_kernelINS0_14default_configENS1_38merge_sort_block_merge_config_selectorIlNS0_10empty_typeEEEZZNS1_27merge_sort_block_merge_implIS3_PlPS5_mZN2at6native12_GLOBAL__N_124unique_dim_cuda_templateImEESt5tupleIJNSA_6TensorESF_SF_EERKSF_lbbbEUlllE_EE10hipError_tT0_T1_T2_jT3_P12ihipStream_tbPNSt15iterator_traitsISL_E10value_typeEPNSR_ISM_E10value_typeEPSN_NS1_7vsmem_tEENKUlT_SL_SM_SN_E_clIS8_S8_S9_S9_EESK_S10_SL_SM_SN_EUlS10_E_NS1_11comp_targetILNS1_3genE0ELNS1_11target_archE4294967295ELNS1_3gpuE0ELNS1_3repE0EEENS1_48merge_mergepath_partition_config_static_selectorELNS0_4arch9wavefront6targetE1EEEvSM_.numbered_sgpr, 32
	.set _ZN7rocprim17ROCPRIM_400000_NS6detail17trampoline_kernelINS0_14default_configENS1_38merge_sort_block_merge_config_selectorIlNS0_10empty_typeEEEZZNS1_27merge_sort_block_merge_implIS3_PlPS5_mZN2at6native12_GLOBAL__N_124unique_dim_cuda_templateImEESt5tupleIJNSA_6TensorESF_SF_EERKSF_lbbbEUlllE_EE10hipError_tT0_T1_T2_jT3_P12ihipStream_tbPNSt15iterator_traitsISL_E10value_typeEPNSR_ISM_E10value_typeEPSN_NS1_7vsmem_tEENKUlT_SL_SM_SN_E_clIS8_S8_S9_S9_EESK_S10_SL_SM_SN_EUlS10_E_NS1_11comp_targetILNS1_3genE0ELNS1_11target_archE4294967295ELNS1_3gpuE0ELNS1_3repE0EEENS1_48merge_mergepath_partition_config_static_selectorELNS0_4arch9wavefront6targetE1EEEvSM_.num_named_barrier, 0
	.set _ZN7rocprim17ROCPRIM_400000_NS6detail17trampoline_kernelINS0_14default_configENS1_38merge_sort_block_merge_config_selectorIlNS0_10empty_typeEEEZZNS1_27merge_sort_block_merge_implIS3_PlPS5_mZN2at6native12_GLOBAL__N_124unique_dim_cuda_templateImEESt5tupleIJNSA_6TensorESF_SF_EERKSF_lbbbEUlllE_EE10hipError_tT0_T1_T2_jT3_P12ihipStream_tbPNSt15iterator_traitsISL_E10value_typeEPNSR_ISM_E10value_typeEPSN_NS1_7vsmem_tEENKUlT_SL_SM_SN_E_clIS8_S8_S9_S9_EESK_S10_SL_SM_SN_EUlS10_E_NS1_11comp_targetILNS1_3genE0ELNS1_11target_archE4294967295ELNS1_3gpuE0ELNS1_3repE0EEENS1_48merge_mergepath_partition_config_static_selectorELNS0_4arch9wavefront6targetE1EEEvSM_.private_seg_size, 0
	.set _ZN7rocprim17ROCPRIM_400000_NS6detail17trampoline_kernelINS0_14default_configENS1_38merge_sort_block_merge_config_selectorIlNS0_10empty_typeEEEZZNS1_27merge_sort_block_merge_implIS3_PlPS5_mZN2at6native12_GLOBAL__N_124unique_dim_cuda_templateImEESt5tupleIJNSA_6TensorESF_SF_EERKSF_lbbbEUlllE_EE10hipError_tT0_T1_T2_jT3_P12ihipStream_tbPNSt15iterator_traitsISL_E10value_typeEPNSR_ISM_E10value_typeEPSN_NS1_7vsmem_tEENKUlT_SL_SM_SN_E_clIS8_S8_S9_S9_EESK_S10_SL_SM_SN_EUlS10_E_NS1_11comp_targetILNS1_3genE0ELNS1_11target_archE4294967295ELNS1_3gpuE0ELNS1_3repE0EEENS1_48merge_mergepath_partition_config_static_selectorELNS0_4arch9wavefront6targetE1EEEvSM_.uses_vcc, 1
	.set _ZN7rocprim17ROCPRIM_400000_NS6detail17trampoline_kernelINS0_14default_configENS1_38merge_sort_block_merge_config_selectorIlNS0_10empty_typeEEEZZNS1_27merge_sort_block_merge_implIS3_PlPS5_mZN2at6native12_GLOBAL__N_124unique_dim_cuda_templateImEESt5tupleIJNSA_6TensorESF_SF_EERKSF_lbbbEUlllE_EE10hipError_tT0_T1_T2_jT3_P12ihipStream_tbPNSt15iterator_traitsISL_E10value_typeEPNSR_ISM_E10value_typeEPSN_NS1_7vsmem_tEENKUlT_SL_SM_SN_E_clIS8_S8_S9_S9_EESK_S10_SL_SM_SN_EUlS10_E_NS1_11comp_targetILNS1_3genE0ELNS1_11target_archE4294967295ELNS1_3gpuE0ELNS1_3repE0EEENS1_48merge_mergepath_partition_config_static_selectorELNS0_4arch9wavefront6targetE1EEEvSM_.uses_flat_scratch, 0
	.set _ZN7rocprim17ROCPRIM_400000_NS6detail17trampoline_kernelINS0_14default_configENS1_38merge_sort_block_merge_config_selectorIlNS0_10empty_typeEEEZZNS1_27merge_sort_block_merge_implIS3_PlPS5_mZN2at6native12_GLOBAL__N_124unique_dim_cuda_templateImEESt5tupleIJNSA_6TensorESF_SF_EERKSF_lbbbEUlllE_EE10hipError_tT0_T1_T2_jT3_P12ihipStream_tbPNSt15iterator_traitsISL_E10value_typeEPNSR_ISM_E10value_typeEPSN_NS1_7vsmem_tEENKUlT_SL_SM_SN_E_clIS8_S8_S9_S9_EESK_S10_SL_SM_SN_EUlS10_E_NS1_11comp_targetILNS1_3genE0ELNS1_11target_archE4294967295ELNS1_3gpuE0ELNS1_3repE0EEENS1_48merge_mergepath_partition_config_static_selectorELNS0_4arch9wavefront6targetE1EEEvSM_.has_dyn_sized_stack, 0
	.set _ZN7rocprim17ROCPRIM_400000_NS6detail17trampoline_kernelINS0_14default_configENS1_38merge_sort_block_merge_config_selectorIlNS0_10empty_typeEEEZZNS1_27merge_sort_block_merge_implIS3_PlPS5_mZN2at6native12_GLOBAL__N_124unique_dim_cuda_templateImEESt5tupleIJNSA_6TensorESF_SF_EERKSF_lbbbEUlllE_EE10hipError_tT0_T1_T2_jT3_P12ihipStream_tbPNSt15iterator_traitsISL_E10value_typeEPNSR_ISM_E10value_typeEPSN_NS1_7vsmem_tEENKUlT_SL_SM_SN_E_clIS8_S8_S9_S9_EESK_S10_SL_SM_SN_EUlS10_E_NS1_11comp_targetILNS1_3genE0ELNS1_11target_archE4294967295ELNS1_3gpuE0ELNS1_3repE0EEENS1_48merge_mergepath_partition_config_static_selectorELNS0_4arch9wavefront6targetE1EEEvSM_.has_recursion, 0
	.set _ZN7rocprim17ROCPRIM_400000_NS6detail17trampoline_kernelINS0_14default_configENS1_38merge_sort_block_merge_config_selectorIlNS0_10empty_typeEEEZZNS1_27merge_sort_block_merge_implIS3_PlPS5_mZN2at6native12_GLOBAL__N_124unique_dim_cuda_templateImEESt5tupleIJNSA_6TensorESF_SF_EERKSF_lbbbEUlllE_EE10hipError_tT0_T1_T2_jT3_P12ihipStream_tbPNSt15iterator_traitsISL_E10value_typeEPNSR_ISM_E10value_typeEPSN_NS1_7vsmem_tEENKUlT_SL_SM_SN_E_clIS8_S8_S9_S9_EESK_S10_SL_SM_SN_EUlS10_E_NS1_11comp_targetILNS1_3genE0ELNS1_11target_archE4294967295ELNS1_3gpuE0ELNS1_3repE0EEENS1_48merge_mergepath_partition_config_static_selectorELNS0_4arch9wavefront6targetE1EEEvSM_.has_indirect_call, 0
	.section	.AMDGPU.csdata,"",@progbits
; Kernel info:
; codeLenInByte = 772
; TotalNumSgprs: 38
; NumVgprs: 23
; NumAgprs: 0
; TotalNumVgprs: 23
; ScratchSize: 0
; MemoryBound: 0
; FloatMode: 240
; IeeeMode: 1
; LDSByteSize: 0 bytes/workgroup (compile time only)
; SGPRBlocks: 4
; VGPRBlocks: 2
; NumSGPRsForWavesPerEU: 38
; NumVGPRsForWavesPerEU: 23
; AccumOffset: 24
; Occupancy: 8
; WaveLimiterHint : 0
; COMPUTE_PGM_RSRC2:SCRATCH_EN: 0
; COMPUTE_PGM_RSRC2:USER_SGPR: 2
; COMPUTE_PGM_RSRC2:TRAP_HANDLER: 0
; COMPUTE_PGM_RSRC2:TGID_X_EN: 1
; COMPUTE_PGM_RSRC2:TGID_Y_EN: 0
; COMPUTE_PGM_RSRC2:TGID_Z_EN: 0
; COMPUTE_PGM_RSRC2:TIDIG_COMP_CNT: 0
; COMPUTE_PGM_RSRC3_GFX90A:ACCUM_OFFSET: 5
; COMPUTE_PGM_RSRC3_GFX90A:TG_SPLIT: 0
	.section	.text._ZN7rocprim17ROCPRIM_400000_NS6detail17trampoline_kernelINS0_14default_configENS1_38merge_sort_block_merge_config_selectorIlNS0_10empty_typeEEEZZNS1_27merge_sort_block_merge_implIS3_PlPS5_mZN2at6native12_GLOBAL__N_124unique_dim_cuda_templateImEESt5tupleIJNSA_6TensorESF_SF_EERKSF_lbbbEUlllE_EE10hipError_tT0_T1_T2_jT3_P12ihipStream_tbPNSt15iterator_traitsISL_E10value_typeEPNSR_ISM_E10value_typeEPSN_NS1_7vsmem_tEENKUlT_SL_SM_SN_E_clIS8_S8_S9_S9_EESK_S10_SL_SM_SN_EUlS10_E_NS1_11comp_targetILNS1_3genE10ELNS1_11target_archE1201ELNS1_3gpuE5ELNS1_3repE0EEENS1_48merge_mergepath_partition_config_static_selectorELNS0_4arch9wavefront6targetE1EEEvSM_,"axG",@progbits,_ZN7rocprim17ROCPRIM_400000_NS6detail17trampoline_kernelINS0_14default_configENS1_38merge_sort_block_merge_config_selectorIlNS0_10empty_typeEEEZZNS1_27merge_sort_block_merge_implIS3_PlPS5_mZN2at6native12_GLOBAL__N_124unique_dim_cuda_templateImEESt5tupleIJNSA_6TensorESF_SF_EERKSF_lbbbEUlllE_EE10hipError_tT0_T1_T2_jT3_P12ihipStream_tbPNSt15iterator_traitsISL_E10value_typeEPNSR_ISM_E10value_typeEPSN_NS1_7vsmem_tEENKUlT_SL_SM_SN_E_clIS8_S8_S9_S9_EESK_S10_SL_SM_SN_EUlS10_E_NS1_11comp_targetILNS1_3genE10ELNS1_11target_archE1201ELNS1_3gpuE5ELNS1_3repE0EEENS1_48merge_mergepath_partition_config_static_selectorELNS0_4arch9wavefront6targetE1EEEvSM_,comdat
	.globl	_ZN7rocprim17ROCPRIM_400000_NS6detail17trampoline_kernelINS0_14default_configENS1_38merge_sort_block_merge_config_selectorIlNS0_10empty_typeEEEZZNS1_27merge_sort_block_merge_implIS3_PlPS5_mZN2at6native12_GLOBAL__N_124unique_dim_cuda_templateImEESt5tupleIJNSA_6TensorESF_SF_EERKSF_lbbbEUlllE_EE10hipError_tT0_T1_T2_jT3_P12ihipStream_tbPNSt15iterator_traitsISL_E10value_typeEPNSR_ISM_E10value_typeEPSN_NS1_7vsmem_tEENKUlT_SL_SM_SN_E_clIS8_S8_S9_S9_EESK_S10_SL_SM_SN_EUlS10_E_NS1_11comp_targetILNS1_3genE10ELNS1_11target_archE1201ELNS1_3gpuE5ELNS1_3repE0EEENS1_48merge_mergepath_partition_config_static_selectorELNS0_4arch9wavefront6targetE1EEEvSM_ ; -- Begin function _ZN7rocprim17ROCPRIM_400000_NS6detail17trampoline_kernelINS0_14default_configENS1_38merge_sort_block_merge_config_selectorIlNS0_10empty_typeEEEZZNS1_27merge_sort_block_merge_implIS3_PlPS5_mZN2at6native12_GLOBAL__N_124unique_dim_cuda_templateImEESt5tupleIJNSA_6TensorESF_SF_EERKSF_lbbbEUlllE_EE10hipError_tT0_T1_T2_jT3_P12ihipStream_tbPNSt15iterator_traitsISL_E10value_typeEPNSR_ISM_E10value_typeEPSN_NS1_7vsmem_tEENKUlT_SL_SM_SN_E_clIS8_S8_S9_S9_EESK_S10_SL_SM_SN_EUlS10_E_NS1_11comp_targetILNS1_3genE10ELNS1_11target_archE1201ELNS1_3gpuE5ELNS1_3repE0EEENS1_48merge_mergepath_partition_config_static_selectorELNS0_4arch9wavefront6targetE1EEEvSM_
	.p2align	8
	.type	_ZN7rocprim17ROCPRIM_400000_NS6detail17trampoline_kernelINS0_14default_configENS1_38merge_sort_block_merge_config_selectorIlNS0_10empty_typeEEEZZNS1_27merge_sort_block_merge_implIS3_PlPS5_mZN2at6native12_GLOBAL__N_124unique_dim_cuda_templateImEESt5tupleIJNSA_6TensorESF_SF_EERKSF_lbbbEUlllE_EE10hipError_tT0_T1_T2_jT3_P12ihipStream_tbPNSt15iterator_traitsISL_E10value_typeEPNSR_ISM_E10value_typeEPSN_NS1_7vsmem_tEENKUlT_SL_SM_SN_E_clIS8_S8_S9_S9_EESK_S10_SL_SM_SN_EUlS10_E_NS1_11comp_targetILNS1_3genE10ELNS1_11target_archE1201ELNS1_3gpuE5ELNS1_3repE0EEENS1_48merge_mergepath_partition_config_static_selectorELNS0_4arch9wavefront6targetE1EEEvSM_,@function
_ZN7rocprim17ROCPRIM_400000_NS6detail17trampoline_kernelINS0_14default_configENS1_38merge_sort_block_merge_config_selectorIlNS0_10empty_typeEEEZZNS1_27merge_sort_block_merge_implIS3_PlPS5_mZN2at6native12_GLOBAL__N_124unique_dim_cuda_templateImEESt5tupleIJNSA_6TensorESF_SF_EERKSF_lbbbEUlllE_EE10hipError_tT0_T1_T2_jT3_P12ihipStream_tbPNSt15iterator_traitsISL_E10value_typeEPNSR_ISM_E10value_typeEPSN_NS1_7vsmem_tEENKUlT_SL_SM_SN_E_clIS8_S8_S9_S9_EESK_S10_SL_SM_SN_EUlS10_E_NS1_11comp_targetILNS1_3genE10ELNS1_11target_archE1201ELNS1_3gpuE5ELNS1_3repE0EEENS1_48merge_mergepath_partition_config_static_selectorELNS0_4arch9wavefront6targetE1EEEvSM_: ; @_ZN7rocprim17ROCPRIM_400000_NS6detail17trampoline_kernelINS0_14default_configENS1_38merge_sort_block_merge_config_selectorIlNS0_10empty_typeEEEZZNS1_27merge_sort_block_merge_implIS3_PlPS5_mZN2at6native12_GLOBAL__N_124unique_dim_cuda_templateImEESt5tupleIJNSA_6TensorESF_SF_EERKSF_lbbbEUlllE_EE10hipError_tT0_T1_T2_jT3_P12ihipStream_tbPNSt15iterator_traitsISL_E10value_typeEPNSR_ISM_E10value_typeEPSN_NS1_7vsmem_tEENKUlT_SL_SM_SN_E_clIS8_S8_S9_S9_EESK_S10_SL_SM_SN_EUlS10_E_NS1_11comp_targetILNS1_3genE10ELNS1_11target_archE1201ELNS1_3gpuE5ELNS1_3repE0EEENS1_48merge_mergepath_partition_config_static_selectorELNS0_4arch9wavefront6targetE1EEEvSM_
; %bb.0:
	.section	.rodata,"a",@progbits
	.p2align	6, 0x0
	.amdhsa_kernel _ZN7rocprim17ROCPRIM_400000_NS6detail17trampoline_kernelINS0_14default_configENS1_38merge_sort_block_merge_config_selectorIlNS0_10empty_typeEEEZZNS1_27merge_sort_block_merge_implIS3_PlPS5_mZN2at6native12_GLOBAL__N_124unique_dim_cuda_templateImEESt5tupleIJNSA_6TensorESF_SF_EERKSF_lbbbEUlllE_EE10hipError_tT0_T1_T2_jT3_P12ihipStream_tbPNSt15iterator_traitsISL_E10value_typeEPNSR_ISM_E10value_typeEPSN_NS1_7vsmem_tEENKUlT_SL_SM_SN_E_clIS8_S8_S9_S9_EESK_S10_SL_SM_SN_EUlS10_E_NS1_11comp_targetILNS1_3genE10ELNS1_11target_archE1201ELNS1_3gpuE5ELNS1_3repE0EEENS1_48merge_mergepath_partition_config_static_selectorELNS0_4arch9wavefront6targetE1EEEvSM_
		.amdhsa_group_segment_fixed_size 0
		.amdhsa_private_segment_fixed_size 0
		.amdhsa_kernarg_size 56
		.amdhsa_user_sgpr_count 2
		.amdhsa_user_sgpr_dispatch_ptr 0
		.amdhsa_user_sgpr_queue_ptr 0
		.amdhsa_user_sgpr_kernarg_segment_ptr 1
		.amdhsa_user_sgpr_dispatch_id 0
		.amdhsa_user_sgpr_kernarg_preload_length 0
		.amdhsa_user_sgpr_kernarg_preload_offset 0
		.amdhsa_user_sgpr_private_segment_size 0
		.amdhsa_uses_dynamic_stack 0
		.amdhsa_enable_private_segment 0
		.amdhsa_system_sgpr_workgroup_id_x 1
		.amdhsa_system_sgpr_workgroup_id_y 0
		.amdhsa_system_sgpr_workgroup_id_z 0
		.amdhsa_system_sgpr_workgroup_info 0
		.amdhsa_system_vgpr_workitem_id 0
		.amdhsa_next_free_vgpr 1
		.amdhsa_next_free_sgpr 0
		.amdhsa_accum_offset 4
		.amdhsa_reserve_vcc 0
		.amdhsa_float_round_mode_32 0
		.amdhsa_float_round_mode_16_64 0
		.amdhsa_float_denorm_mode_32 3
		.amdhsa_float_denorm_mode_16_64 3
		.amdhsa_dx10_clamp 1
		.amdhsa_ieee_mode 1
		.amdhsa_fp16_overflow 0
		.amdhsa_tg_split 0
		.amdhsa_exception_fp_ieee_invalid_op 0
		.amdhsa_exception_fp_denorm_src 0
		.amdhsa_exception_fp_ieee_div_zero 0
		.amdhsa_exception_fp_ieee_overflow 0
		.amdhsa_exception_fp_ieee_underflow 0
		.amdhsa_exception_fp_ieee_inexact 0
		.amdhsa_exception_int_div_zero 0
	.end_amdhsa_kernel
	.section	.text._ZN7rocprim17ROCPRIM_400000_NS6detail17trampoline_kernelINS0_14default_configENS1_38merge_sort_block_merge_config_selectorIlNS0_10empty_typeEEEZZNS1_27merge_sort_block_merge_implIS3_PlPS5_mZN2at6native12_GLOBAL__N_124unique_dim_cuda_templateImEESt5tupleIJNSA_6TensorESF_SF_EERKSF_lbbbEUlllE_EE10hipError_tT0_T1_T2_jT3_P12ihipStream_tbPNSt15iterator_traitsISL_E10value_typeEPNSR_ISM_E10value_typeEPSN_NS1_7vsmem_tEENKUlT_SL_SM_SN_E_clIS8_S8_S9_S9_EESK_S10_SL_SM_SN_EUlS10_E_NS1_11comp_targetILNS1_3genE10ELNS1_11target_archE1201ELNS1_3gpuE5ELNS1_3repE0EEENS1_48merge_mergepath_partition_config_static_selectorELNS0_4arch9wavefront6targetE1EEEvSM_,"axG",@progbits,_ZN7rocprim17ROCPRIM_400000_NS6detail17trampoline_kernelINS0_14default_configENS1_38merge_sort_block_merge_config_selectorIlNS0_10empty_typeEEEZZNS1_27merge_sort_block_merge_implIS3_PlPS5_mZN2at6native12_GLOBAL__N_124unique_dim_cuda_templateImEESt5tupleIJNSA_6TensorESF_SF_EERKSF_lbbbEUlllE_EE10hipError_tT0_T1_T2_jT3_P12ihipStream_tbPNSt15iterator_traitsISL_E10value_typeEPNSR_ISM_E10value_typeEPSN_NS1_7vsmem_tEENKUlT_SL_SM_SN_E_clIS8_S8_S9_S9_EESK_S10_SL_SM_SN_EUlS10_E_NS1_11comp_targetILNS1_3genE10ELNS1_11target_archE1201ELNS1_3gpuE5ELNS1_3repE0EEENS1_48merge_mergepath_partition_config_static_selectorELNS0_4arch9wavefront6targetE1EEEvSM_,comdat
.Lfunc_end1615:
	.size	_ZN7rocprim17ROCPRIM_400000_NS6detail17trampoline_kernelINS0_14default_configENS1_38merge_sort_block_merge_config_selectorIlNS0_10empty_typeEEEZZNS1_27merge_sort_block_merge_implIS3_PlPS5_mZN2at6native12_GLOBAL__N_124unique_dim_cuda_templateImEESt5tupleIJNSA_6TensorESF_SF_EERKSF_lbbbEUlllE_EE10hipError_tT0_T1_T2_jT3_P12ihipStream_tbPNSt15iterator_traitsISL_E10value_typeEPNSR_ISM_E10value_typeEPSN_NS1_7vsmem_tEENKUlT_SL_SM_SN_E_clIS8_S8_S9_S9_EESK_S10_SL_SM_SN_EUlS10_E_NS1_11comp_targetILNS1_3genE10ELNS1_11target_archE1201ELNS1_3gpuE5ELNS1_3repE0EEENS1_48merge_mergepath_partition_config_static_selectorELNS0_4arch9wavefront6targetE1EEEvSM_, .Lfunc_end1615-_ZN7rocprim17ROCPRIM_400000_NS6detail17trampoline_kernelINS0_14default_configENS1_38merge_sort_block_merge_config_selectorIlNS0_10empty_typeEEEZZNS1_27merge_sort_block_merge_implIS3_PlPS5_mZN2at6native12_GLOBAL__N_124unique_dim_cuda_templateImEESt5tupleIJNSA_6TensorESF_SF_EERKSF_lbbbEUlllE_EE10hipError_tT0_T1_T2_jT3_P12ihipStream_tbPNSt15iterator_traitsISL_E10value_typeEPNSR_ISM_E10value_typeEPSN_NS1_7vsmem_tEENKUlT_SL_SM_SN_E_clIS8_S8_S9_S9_EESK_S10_SL_SM_SN_EUlS10_E_NS1_11comp_targetILNS1_3genE10ELNS1_11target_archE1201ELNS1_3gpuE5ELNS1_3repE0EEENS1_48merge_mergepath_partition_config_static_selectorELNS0_4arch9wavefront6targetE1EEEvSM_
                                        ; -- End function
	.set _ZN7rocprim17ROCPRIM_400000_NS6detail17trampoline_kernelINS0_14default_configENS1_38merge_sort_block_merge_config_selectorIlNS0_10empty_typeEEEZZNS1_27merge_sort_block_merge_implIS3_PlPS5_mZN2at6native12_GLOBAL__N_124unique_dim_cuda_templateImEESt5tupleIJNSA_6TensorESF_SF_EERKSF_lbbbEUlllE_EE10hipError_tT0_T1_T2_jT3_P12ihipStream_tbPNSt15iterator_traitsISL_E10value_typeEPNSR_ISM_E10value_typeEPSN_NS1_7vsmem_tEENKUlT_SL_SM_SN_E_clIS8_S8_S9_S9_EESK_S10_SL_SM_SN_EUlS10_E_NS1_11comp_targetILNS1_3genE10ELNS1_11target_archE1201ELNS1_3gpuE5ELNS1_3repE0EEENS1_48merge_mergepath_partition_config_static_selectorELNS0_4arch9wavefront6targetE1EEEvSM_.num_vgpr, 0
	.set _ZN7rocprim17ROCPRIM_400000_NS6detail17trampoline_kernelINS0_14default_configENS1_38merge_sort_block_merge_config_selectorIlNS0_10empty_typeEEEZZNS1_27merge_sort_block_merge_implIS3_PlPS5_mZN2at6native12_GLOBAL__N_124unique_dim_cuda_templateImEESt5tupleIJNSA_6TensorESF_SF_EERKSF_lbbbEUlllE_EE10hipError_tT0_T1_T2_jT3_P12ihipStream_tbPNSt15iterator_traitsISL_E10value_typeEPNSR_ISM_E10value_typeEPSN_NS1_7vsmem_tEENKUlT_SL_SM_SN_E_clIS8_S8_S9_S9_EESK_S10_SL_SM_SN_EUlS10_E_NS1_11comp_targetILNS1_3genE10ELNS1_11target_archE1201ELNS1_3gpuE5ELNS1_3repE0EEENS1_48merge_mergepath_partition_config_static_selectorELNS0_4arch9wavefront6targetE1EEEvSM_.num_agpr, 0
	.set _ZN7rocprim17ROCPRIM_400000_NS6detail17trampoline_kernelINS0_14default_configENS1_38merge_sort_block_merge_config_selectorIlNS0_10empty_typeEEEZZNS1_27merge_sort_block_merge_implIS3_PlPS5_mZN2at6native12_GLOBAL__N_124unique_dim_cuda_templateImEESt5tupleIJNSA_6TensorESF_SF_EERKSF_lbbbEUlllE_EE10hipError_tT0_T1_T2_jT3_P12ihipStream_tbPNSt15iterator_traitsISL_E10value_typeEPNSR_ISM_E10value_typeEPSN_NS1_7vsmem_tEENKUlT_SL_SM_SN_E_clIS8_S8_S9_S9_EESK_S10_SL_SM_SN_EUlS10_E_NS1_11comp_targetILNS1_3genE10ELNS1_11target_archE1201ELNS1_3gpuE5ELNS1_3repE0EEENS1_48merge_mergepath_partition_config_static_selectorELNS0_4arch9wavefront6targetE1EEEvSM_.numbered_sgpr, 0
	.set _ZN7rocprim17ROCPRIM_400000_NS6detail17trampoline_kernelINS0_14default_configENS1_38merge_sort_block_merge_config_selectorIlNS0_10empty_typeEEEZZNS1_27merge_sort_block_merge_implIS3_PlPS5_mZN2at6native12_GLOBAL__N_124unique_dim_cuda_templateImEESt5tupleIJNSA_6TensorESF_SF_EERKSF_lbbbEUlllE_EE10hipError_tT0_T1_T2_jT3_P12ihipStream_tbPNSt15iterator_traitsISL_E10value_typeEPNSR_ISM_E10value_typeEPSN_NS1_7vsmem_tEENKUlT_SL_SM_SN_E_clIS8_S8_S9_S9_EESK_S10_SL_SM_SN_EUlS10_E_NS1_11comp_targetILNS1_3genE10ELNS1_11target_archE1201ELNS1_3gpuE5ELNS1_3repE0EEENS1_48merge_mergepath_partition_config_static_selectorELNS0_4arch9wavefront6targetE1EEEvSM_.num_named_barrier, 0
	.set _ZN7rocprim17ROCPRIM_400000_NS6detail17trampoline_kernelINS0_14default_configENS1_38merge_sort_block_merge_config_selectorIlNS0_10empty_typeEEEZZNS1_27merge_sort_block_merge_implIS3_PlPS5_mZN2at6native12_GLOBAL__N_124unique_dim_cuda_templateImEESt5tupleIJNSA_6TensorESF_SF_EERKSF_lbbbEUlllE_EE10hipError_tT0_T1_T2_jT3_P12ihipStream_tbPNSt15iterator_traitsISL_E10value_typeEPNSR_ISM_E10value_typeEPSN_NS1_7vsmem_tEENKUlT_SL_SM_SN_E_clIS8_S8_S9_S9_EESK_S10_SL_SM_SN_EUlS10_E_NS1_11comp_targetILNS1_3genE10ELNS1_11target_archE1201ELNS1_3gpuE5ELNS1_3repE0EEENS1_48merge_mergepath_partition_config_static_selectorELNS0_4arch9wavefront6targetE1EEEvSM_.private_seg_size, 0
	.set _ZN7rocprim17ROCPRIM_400000_NS6detail17trampoline_kernelINS0_14default_configENS1_38merge_sort_block_merge_config_selectorIlNS0_10empty_typeEEEZZNS1_27merge_sort_block_merge_implIS3_PlPS5_mZN2at6native12_GLOBAL__N_124unique_dim_cuda_templateImEESt5tupleIJNSA_6TensorESF_SF_EERKSF_lbbbEUlllE_EE10hipError_tT0_T1_T2_jT3_P12ihipStream_tbPNSt15iterator_traitsISL_E10value_typeEPNSR_ISM_E10value_typeEPSN_NS1_7vsmem_tEENKUlT_SL_SM_SN_E_clIS8_S8_S9_S9_EESK_S10_SL_SM_SN_EUlS10_E_NS1_11comp_targetILNS1_3genE10ELNS1_11target_archE1201ELNS1_3gpuE5ELNS1_3repE0EEENS1_48merge_mergepath_partition_config_static_selectorELNS0_4arch9wavefront6targetE1EEEvSM_.uses_vcc, 0
	.set _ZN7rocprim17ROCPRIM_400000_NS6detail17trampoline_kernelINS0_14default_configENS1_38merge_sort_block_merge_config_selectorIlNS0_10empty_typeEEEZZNS1_27merge_sort_block_merge_implIS3_PlPS5_mZN2at6native12_GLOBAL__N_124unique_dim_cuda_templateImEESt5tupleIJNSA_6TensorESF_SF_EERKSF_lbbbEUlllE_EE10hipError_tT0_T1_T2_jT3_P12ihipStream_tbPNSt15iterator_traitsISL_E10value_typeEPNSR_ISM_E10value_typeEPSN_NS1_7vsmem_tEENKUlT_SL_SM_SN_E_clIS8_S8_S9_S9_EESK_S10_SL_SM_SN_EUlS10_E_NS1_11comp_targetILNS1_3genE10ELNS1_11target_archE1201ELNS1_3gpuE5ELNS1_3repE0EEENS1_48merge_mergepath_partition_config_static_selectorELNS0_4arch9wavefront6targetE1EEEvSM_.uses_flat_scratch, 0
	.set _ZN7rocprim17ROCPRIM_400000_NS6detail17trampoline_kernelINS0_14default_configENS1_38merge_sort_block_merge_config_selectorIlNS0_10empty_typeEEEZZNS1_27merge_sort_block_merge_implIS3_PlPS5_mZN2at6native12_GLOBAL__N_124unique_dim_cuda_templateImEESt5tupleIJNSA_6TensorESF_SF_EERKSF_lbbbEUlllE_EE10hipError_tT0_T1_T2_jT3_P12ihipStream_tbPNSt15iterator_traitsISL_E10value_typeEPNSR_ISM_E10value_typeEPSN_NS1_7vsmem_tEENKUlT_SL_SM_SN_E_clIS8_S8_S9_S9_EESK_S10_SL_SM_SN_EUlS10_E_NS1_11comp_targetILNS1_3genE10ELNS1_11target_archE1201ELNS1_3gpuE5ELNS1_3repE0EEENS1_48merge_mergepath_partition_config_static_selectorELNS0_4arch9wavefront6targetE1EEEvSM_.has_dyn_sized_stack, 0
	.set _ZN7rocprim17ROCPRIM_400000_NS6detail17trampoline_kernelINS0_14default_configENS1_38merge_sort_block_merge_config_selectorIlNS0_10empty_typeEEEZZNS1_27merge_sort_block_merge_implIS3_PlPS5_mZN2at6native12_GLOBAL__N_124unique_dim_cuda_templateImEESt5tupleIJNSA_6TensorESF_SF_EERKSF_lbbbEUlllE_EE10hipError_tT0_T1_T2_jT3_P12ihipStream_tbPNSt15iterator_traitsISL_E10value_typeEPNSR_ISM_E10value_typeEPSN_NS1_7vsmem_tEENKUlT_SL_SM_SN_E_clIS8_S8_S9_S9_EESK_S10_SL_SM_SN_EUlS10_E_NS1_11comp_targetILNS1_3genE10ELNS1_11target_archE1201ELNS1_3gpuE5ELNS1_3repE0EEENS1_48merge_mergepath_partition_config_static_selectorELNS0_4arch9wavefront6targetE1EEEvSM_.has_recursion, 0
	.set _ZN7rocprim17ROCPRIM_400000_NS6detail17trampoline_kernelINS0_14default_configENS1_38merge_sort_block_merge_config_selectorIlNS0_10empty_typeEEEZZNS1_27merge_sort_block_merge_implIS3_PlPS5_mZN2at6native12_GLOBAL__N_124unique_dim_cuda_templateImEESt5tupleIJNSA_6TensorESF_SF_EERKSF_lbbbEUlllE_EE10hipError_tT0_T1_T2_jT3_P12ihipStream_tbPNSt15iterator_traitsISL_E10value_typeEPNSR_ISM_E10value_typeEPSN_NS1_7vsmem_tEENKUlT_SL_SM_SN_E_clIS8_S8_S9_S9_EESK_S10_SL_SM_SN_EUlS10_E_NS1_11comp_targetILNS1_3genE10ELNS1_11target_archE1201ELNS1_3gpuE5ELNS1_3repE0EEENS1_48merge_mergepath_partition_config_static_selectorELNS0_4arch9wavefront6targetE1EEEvSM_.has_indirect_call, 0
	.section	.AMDGPU.csdata,"",@progbits
; Kernel info:
; codeLenInByte = 0
; TotalNumSgprs: 6
; NumVgprs: 0
; NumAgprs: 0
; TotalNumVgprs: 0
; ScratchSize: 0
; MemoryBound: 0
; FloatMode: 240
; IeeeMode: 1
; LDSByteSize: 0 bytes/workgroup (compile time only)
; SGPRBlocks: 0
; VGPRBlocks: 0
; NumSGPRsForWavesPerEU: 6
; NumVGPRsForWavesPerEU: 1
; AccumOffset: 4
; Occupancy: 8
; WaveLimiterHint : 0
; COMPUTE_PGM_RSRC2:SCRATCH_EN: 0
; COMPUTE_PGM_RSRC2:USER_SGPR: 2
; COMPUTE_PGM_RSRC2:TRAP_HANDLER: 0
; COMPUTE_PGM_RSRC2:TGID_X_EN: 1
; COMPUTE_PGM_RSRC2:TGID_Y_EN: 0
; COMPUTE_PGM_RSRC2:TGID_Z_EN: 0
; COMPUTE_PGM_RSRC2:TIDIG_COMP_CNT: 0
; COMPUTE_PGM_RSRC3_GFX90A:ACCUM_OFFSET: 0
; COMPUTE_PGM_RSRC3_GFX90A:TG_SPLIT: 0
	.section	.text._ZN7rocprim17ROCPRIM_400000_NS6detail17trampoline_kernelINS0_14default_configENS1_38merge_sort_block_merge_config_selectorIlNS0_10empty_typeEEEZZNS1_27merge_sort_block_merge_implIS3_PlPS5_mZN2at6native12_GLOBAL__N_124unique_dim_cuda_templateImEESt5tupleIJNSA_6TensorESF_SF_EERKSF_lbbbEUlllE_EE10hipError_tT0_T1_T2_jT3_P12ihipStream_tbPNSt15iterator_traitsISL_E10value_typeEPNSR_ISM_E10value_typeEPSN_NS1_7vsmem_tEENKUlT_SL_SM_SN_E_clIS8_S8_S9_S9_EESK_S10_SL_SM_SN_EUlS10_E_NS1_11comp_targetILNS1_3genE5ELNS1_11target_archE942ELNS1_3gpuE9ELNS1_3repE0EEENS1_48merge_mergepath_partition_config_static_selectorELNS0_4arch9wavefront6targetE1EEEvSM_,"axG",@progbits,_ZN7rocprim17ROCPRIM_400000_NS6detail17trampoline_kernelINS0_14default_configENS1_38merge_sort_block_merge_config_selectorIlNS0_10empty_typeEEEZZNS1_27merge_sort_block_merge_implIS3_PlPS5_mZN2at6native12_GLOBAL__N_124unique_dim_cuda_templateImEESt5tupleIJNSA_6TensorESF_SF_EERKSF_lbbbEUlllE_EE10hipError_tT0_T1_T2_jT3_P12ihipStream_tbPNSt15iterator_traitsISL_E10value_typeEPNSR_ISM_E10value_typeEPSN_NS1_7vsmem_tEENKUlT_SL_SM_SN_E_clIS8_S8_S9_S9_EESK_S10_SL_SM_SN_EUlS10_E_NS1_11comp_targetILNS1_3genE5ELNS1_11target_archE942ELNS1_3gpuE9ELNS1_3repE0EEENS1_48merge_mergepath_partition_config_static_selectorELNS0_4arch9wavefront6targetE1EEEvSM_,comdat
	.globl	_ZN7rocprim17ROCPRIM_400000_NS6detail17trampoline_kernelINS0_14default_configENS1_38merge_sort_block_merge_config_selectorIlNS0_10empty_typeEEEZZNS1_27merge_sort_block_merge_implIS3_PlPS5_mZN2at6native12_GLOBAL__N_124unique_dim_cuda_templateImEESt5tupleIJNSA_6TensorESF_SF_EERKSF_lbbbEUlllE_EE10hipError_tT0_T1_T2_jT3_P12ihipStream_tbPNSt15iterator_traitsISL_E10value_typeEPNSR_ISM_E10value_typeEPSN_NS1_7vsmem_tEENKUlT_SL_SM_SN_E_clIS8_S8_S9_S9_EESK_S10_SL_SM_SN_EUlS10_E_NS1_11comp_targetILNS1_3genE5ELNS1_11target_archE942ELNS1_3gpuE9ELNS1_3repE0EEENS1_48merge_mergepath_partition_config_static_selectorELNS0_4arch9wavefront6targetE1EEEvSM_ ; -- Begin function _ZN7rocprim17ROCPRIM_400000_NS6detail17trampoline_kernelINS0_14default_configENS1_38merge_sort_block_merge_config_selectorIlNS0_10empty_typeEEEZZNS1_27merge_sort_block_merge_implIS3_PlPS5_mZN2at6native12_GLOBAL__N_124unique_dim_cuda_templateImEESt5tupleIJNSA_6TensorESF_SF_EERKSF_lbbbEUlllE_EE10hipError_tT0_T1_T2_jT3_P12ihipStream_tbPNSt15iterator_traitsISL_E10value_typeEPNSR_ISM_E10value_typeEPSN_NS1_7vsmem_tEENKUlT_SL_SM_SN_E_clIS8_S8_S9_S9_EESK_S10_SL_SM_SN_EUlS10_E_NS1_11comp_targetILNS1_3genE5ELNS1_11target_archE942ELNS1_3gpuE9ELNS1_3repE0EEENS1_48merge_mergepath_partition_config_static_selectorELNS0_4arch9wavefront6targetE1EEEvSM_
	.p2align	8
	.type	_ZN7rocprim17ROCPRIM_400000_NS6detail17trampoline_kernelINS0_14default_configENS1_38merge_sort_block_merge_config_selectorIlNS0_10empty_typeEEEZZNS1_27merge_sort_block_merge_implIS3_PlPS5_mZN2at6native12_GLOBAL__N_124unique_dim_cuda_templateImEESt5tupleIJNSA_6TensorESF_SF_EERKSF_lbbbEUlllE_EE10hipError_tT0_T1_T2_jT3_P12ihipStream_tbPNSt15iterator_traitsISL_E10value_typeEPNSR_ISM_E10value_typeEPSN_NS1_7vsmem_tEENKUlT_SL_SM_SN_E_clIS8_S8_S9_S9_EESK_S10_SL_SM_SN_EUlS10_E_NS1_11comp_targetILNS1_3genE5ELNS1_11target_archE942ELNS1_3gpuE9ELNS1_3repE0EEENS1_48merge_mergepath_partition_config_static_selectorELNS0_4arch9wavefront6targetE1EEEvSM_,@function
_ZN7rocprim17ROCPRIM_400000_NS6detail17trampoline_kernelINS0_14default_configENS1_38merge_sort_block_merge_config_selectorIlNS0_10empty_typeEEEZZNS1_27merge_sort_block_merge_implIS3_PlPS5_mZN2at6native12_GLOBAL__N_124unique_dim_cuda_templateImEESt5tupleIJNSA_6TensorESF_SF_EERKSF_lbbbEUlllE_EE10hipError_tT0_T1_T2_jT3_P12ihipStream_tbPNSt15iterator_traitsISL_E10value_typeEPNSR_ISM_E10value_typeEPSN_NS1_7vsmem_tEENKUlT_SL_SM_SN_E_clIS8_S8_S9_S9_EESK_S10_SL_SM_SN_EUlS10_E_NS1_11comp_targetILNS1_3genE5ELNS1_11target_archE942ELNS1_3gpuE9ELNS1_3repE0EEENS1_48merge_mergepath_partition_config_static_selectorELNS0_4arch9wavefront6targetE1EEEvSM_: ; @_ZN7rocprim17ROCPRIM_400000_NS6detail17trampoline_kernelINS0_14default_configENS1_38merge_sort_block_merge_config_selectorIlNS0_10empty_typeEEEZZNS1_27merge_sort_block_merge_implIS3_PlPS5_mZN2at6native12_GLOBAL__N_124unique_dim_cuda_templateImEESt5tupleIJNSA_6TensorESF_SF_EERKSF_lbbbEUlllE_EE10hipError_tT0_T1_T2_jT3_P12ihipStream_tbPNSt15iterator_traitsISL_E10value_typeEPNSR_ISM_E10value_typeEPSN_NS1_7vsmem_tEENKUlT_SL_SM_SN_E_clIS8_S8_S9_S9_EESK_S10_SL_SM_SN_EUlS10_E_NS1_11comp_targetILNS1_3genE5ELNS1_11target_archE942ELNS1_3gpuE9ELNS1_3repE0EEENS1_48merge_mergepath_partition_config_static_selectorELNS0_4arch9wavefront6targetE1EEEvSM_
; %bb.0:
	.section	.rodata,"a",@progbits
	.p2align	6, 0x0
	.amdhsa_kernel _ZN7rocprim17ROCPRIM_400000_NS6detail17trampoline_kernelINS0_14default_configENS1_38merge_sort_block_merge_config_selectorIlNS0_10empty_typeEEEZZNS1_27merge_sort_block_merge_implIS3_PlPS5_mZN2at6native12_GLOBAL__N_124unique_dim_cuda_templateImEESt5tupleIJNSA_6TensorESF_SF_EERKSF_lbbbEUlllE_EE10hipError_tT0_T1_T2_jT3_P12ihipStream_tbPNSt15iterator_traitsISL_E10value_typeEPNSR_ISM_E10value_typeEPSN_NS1_7vsmem_tEENKUlT_SL_SM_SN_E_clIS8_S8_S9_S9_EESK_S10_SL_SM_SN_EUlS10_E_NS1_11comp_targetILNS1_3genE5ELNS1_11target_archE942ELNS1_3gpuE9ELNS1_3repE0EEENS1_48merge_mergepath_partition_config_static_selectorELNS0_4arch9wavefront6targetE1EEEvSM_
		.amdhsa_group_segment_fixed_size 0
		.amdhsa_private_segment_fixed_size 0
		.amdhsa_kernarg_size 56
		.amdhsa_user_sgpr_count 2
		.amdhsa_user_sgpr_dispatch_ptr 0
		.amdhsa_user_sgpr_queue_ptr 0
		.amdhsa_user_sgpr_kernarg_segment_ptr 1
		.amdhsa_user_sgpr_dispatch_id 0
		.amdhsa_user_sgpr_kernarg_preload_length 0
		.amdhsa_user_sgpr_kernarg_preload_offset 0
		.amdhsa_user_sgpr_private_segment_size 0
		.amdhsa_uses_dynamic_stack 0
		.amdhsa_enable_private_segment 0
		.amdhsa_system_sgpr_workgroup_id_x 1
		.amdhsa_system_sgpr_workgroup_id_y 0
		.amdhsa_system_sgpr_workgroup_id_z 0
		.amdhsa_system_sgpr_workgroup_info 0
		.amdhsa_system_vgpr_workitem_id 0
		.amdhsa_next_free_vgpr 1
		.amdhsa_next_free_sgpr 0
		.amdhsa_accum_offset 4
		.amdhsa_reserve_vcc 0
		.amdhsa_float_round_mode_32 0
		.amdhsa_float_round_mode_16_64 0
		.amdhsa_float_denorm_mode_32 3
		.amdhsa_float_denorm_mode_16_64 3
		.amdhsa_dx10_clamp 1
		.amdhsa_ieee_mode 1
		.amdhsa_fp16_overflow 0
		.amdhsa_tg_split 0
		.amdhsa_exception_fp_ieee_invalid_op 0
		.amdhsa_exception_fp_denorm_src 0
		.amdhsa_exception_fp_ieee_div_zero 0
		.amdhsa_exception_fp_ieee_overflow 0
		.amdhsa_exception_fp_ieee_underflow 0
		.amdhsa_exception_fp_ieee_inexact 0
		.amdhsa_exception_int_div_zero 0
	.end_amdhsa_kernel
	.section	.text._ZN7rocprim17ROCPRIM_400000_NS6detail17trampoline_kernelINS0_14default_configENS1_38merge_sort_block_merge_config_selectorIlNS0_10empty_typeEEEZZNS1_27merge_sort_block_merge_implIS3_PlPS5_mZN2at6native12_GLOBAL__N_124unique_dim_cuda_templateImEESt5tupleIJNSA_6TensorESF_SF_EERKSF_lbbbEUlllE_EE10hipError_tT0_T1_T2_jT3_P12ihipStream_tbPNSt15iterator_traitsISL_E10value_typeEPNSR_ISM_E10value_typeEPSN_NS1_7vsmem_tEENKUlT_SL_SM_SN_E_clIS8_S8_S9_S9_EESK_S10_SL_SM_SN_EUlS10_E_NS1_11comp_targetILNS1_3genE5ELNS1_11target_archE942ELNS1_3gpuE9ELNS1_3repE0EEENS1_48merge_mergepath_partition_config_static_selectorELNS0_4arch9wavefront6targetE1EEEvSM_,"axG",@progbits,_ZN7rocprim17ROCPRIM_400000_NS6detail17trampoline_kernelINS0_14default_configENS1_38merge_sort_block_merge_config_selectorIlNS0_10empty_typeEEEZZNS1_27merge_sort_block_merge_implIS3_PlPS5_mZN2at6native12_GLOBAL__N_124unique_dim_cuda_templateImEESt5tupleIJNSA_6TensorESF_SF_EERKSF_lbbbEUlllE_EE10hipError_tT0_T1_T2_jT3_P12ihipStream_tbPNSt15iterator_traitsISL_E10value_typeEPNSR_ISM_E10value_typeEPSN_NS1_7vsmem_tEENKUlT_SL_SM_SN_E_clIS8_S8_S9_S9_EESK_S10_SL_SM_SN_EUlS10_E_NS1_11comp_targetILNS1_3genE5ELNS1_11target_archE942ELNS1_3gpuE9ELNS1_3repE0EEENS1_48merge_mergepath_partition_config_static_selectorELNS0_4arch9wavefront6targetE1EEEvSM_,comdat
.Lfunc_end1616:
	.size	_ZN7rocprim17ROCPRIM_400000_NS6detail17trampoline_kernelINS0_14default_configENS1_38merge_sort_block_merge_config_selectorIlNS0_10empty_typeEEEZZNS1_27merge_sort_block_merge_implIS3_PlPS5_mZN2at6native12_GLOBAL__N_124unique_dim_cuda_templateImEESt5tupleIJNSA_6TensorESF_SF_EERKSF_lbbbEUlllE_EE10hipError_tT0_T1_T2_jT3_P12ihipStream_tbPNSt15iterator_traitsISL_E10value_typeEPNSR_ISM_E10value_typeEPSN_NS1_7vsmem_tEENKUlT_SL_SM_SN_E_clIS8_S8_S9_S9_EESK_S10_SL_SM_SN_EUlS10_E_NS1_11comp_targetILNS1_3genE5ELNS1_11target_archE942ELNS1_3gpuE9ELNS1_3repE0EEENS1_48merge_mergepath_partition_config_static_selectorELNS0_4arch9wavefront6targetE1EEEvSM_, .Lfunc_end1616-_ZN7rocprim17ROCPRIM_400000_NS6detail17trampoline_kernelINS0_14default_configENS1_38merge_sort_block_merge_config_selectorIlNS0_10empty_typeEEEZZNS1_27merge_sort_block_merge_implIS3_PlPS5_mZN2at6native12_GLOBAL__N_124unique_dim_cuda_templateImEESt5tupleIJNSA_6TensorESF_SF_EERKSF_lbbbEUlllE_EE10hipError_tT0_T1_T2_jT3_P12ihipStream_tbPNSt15iterator_traitsISL_E10value_typeEPNSR_ISM_E10value_typeEPSN_NS1_7vsmem_tEENKUlT_SL_SM_SN_E_clIS8_S8_S9_S9_EESK_S10_SL_SM_SN_EUlS10_E_NS1_11comp_targetILNS1_3genE5ELNS1_11target_archE942ELNS1_3gpuE9ELNS1_3repE0EEENS1_48merge_mergepath_partition_config_static_selectorELNS0_4arch9wavefront6targetE1EEEvSM_
                                        ; -- End function
	.set _ZN7rocprim17ROCPRIM_400000_NS6detail17trampoline_kernelINS0_14default_configENS1_38merge_sort_block_merge_config_selectorIlNS0_10empty_typeEEEZZNS1_27merge_sort_block_merge_implIS3_PlPS5_mZN2at6native12_GLOBAL__N_124unique_dim_cuda_templateImEESt5tupleIJNSA_6TensorESF_SF_EERKSF_lbbbEUlllE_EE10hipError_tT0_T1_T2_jT3_P12ihipStream_tbPNSt15iterator_traitsISL_E10value_typeEPNSR_ISM_E10value_typeEPSN_NS1_7vsmem_tEENKUlT_SL_SM_SN_E_clIS8_S8_S9_S9_EESK_S10_SL_SM_SN_EUlS10_E_NS1_11comp_targetILNS1_3genE5ELNS1_11target_archE942ELNS1_3gpuE9ELNS1_3repE0EEENS1_48merge_mergepath_partition_config_static_selectorELNS0_4arch9wavefront6targetE1EEEvSM_.num_vgpr, 0
	.set _ZN7rocprim17ROCPRIM_400000_NS6detail17trampoline_kernelINS0_14default_configENS1_38merge_sort_block_merge_config_selectorIlNS0_10empty_typeEEEZZNS1_27merge_sort_block_merge_implIS3_PlPS5_mZN2at6native12_GLOBAL__N_124unique_dim_cuda_templateImEESt5tupleIJNSA_6TensorESF_SF_EERKSF_lbbbEUlllE_EE10hipError_tT0_T1_T2_jT3_P12ihipStream_tbPNSt15iterator_traitsISL_E10value_typeEPNSR_ISM_E10value_typeEPSN_NS1_7vsmem_tEENKUlT_SL_SM_SN_E_clIS8_S8_S9_S9_EESK_S10_SL_SM_SN_EUlS10_E_NS1_11comp_targetILNS1_3genE5ELNS1_11target_archE942ELNS1_3gpuE9ELNS1_3repE0EEENS1_48merge_mergepath_partition_config_static_selectorELNS0_4arch9wavefront6targetE1EEEvSM_.num_agpr, 0
	.set _ZN7rocprim17ROCPRIM_400000_NS6detail17trampoline_kernelINS0_14default_configENS1_38merge_sort_block_merge_config_selectorIlNS0_10empty_typeEEEZZNS1_27merge_sort_block_merge_implIS3_PlPS5_mZN2at6native12_GLOBAL__N_124unique_dim_cuda_templateImEESt5tupleIJNSA_6TensorESF_SF_EERKSF_lbbbEUlllE_EE10hipError_tT0_T1_T2_jT3_P12ihipStream_tbPNSt15iterator_traitsISL_E10value_typeEPNSR_ISM_E10value_typeEPSN_NS1_7vsmem_tEENKUlT_SL_SM_SN_E_clIS8_S8_S9_S9_EESK_S10_SL_SM_SN_EUlS10_E_NS1_11comp_targetILNS1_3genE5ELNS1_11target_archE942ELNS1_3gpuE9ELNS1_3repE0EEENS1_48merge_mergepath_partition_config_static_selectorELNS0_4arch9wavefront6targetE1EEEvSM_.numbered_sgpr, 0
	.set _ZN7rocprim17ROCPRIM_400000_NS6detail17trampoline_kernelINS0_14default_configENS1_38merge_sort_block_merge_config_selectorIlNS0_10empty_typeEEEZZNS1_27merge_sort_block_merge_implIS3_PlPS5_mZN2at6native12_GLOBAL__N_124unique_dim_cuda_templateImEESt5tupleIJNSA_6TensorESF_SF_EERKSF_lbbbEUlllE_EE10hipError_tT0_T1_T2_jT3_P12ihipStream_tbPNSt15iterator_traitsISL_E10value_typeEPNSR_ISM_E10value_typeEPSN_NS1_7vsmem_tEENKUlT_SL_SM_SN_E_clIS8_S8_S9_S9_EESK_S10_SL_SM_SN_EUlS10_E_NS1_11comp_targetILNS1_3genE5ELNS1_11target_archE942ELNS1_3gpuE9ELNS1_3repE0EEENS1_48merge_mergepath_partition_config_static_selectorELNS0_4arch9wavefront6targetE1EEEvSM_.num_named_barrier, 0
	.set _ZN7rocprim17ROCPRIM_400000_NS6detail17trampoline_kernelINS0_14default_configENS1_38merge_sort_block_merge_config_selectorIlNS0_10empty_typeEEEZZNS1_27merge_sort_block_merge_implIS3_PlPS5_mZN2at6native12_GLOBAL__N_124unique_dim_cuda_templateImEESt5tupleIJNSA_6TensorESF_SF_EERKSF_lbbbEUlllE_EE10hipError_tT0_T1_T2_jT3_P12ihipStream_tbPNSt15iterator_traitsISL_E10value_typeEPNSR_ISM_E10value_typeEPSN_NS1_7vsmem_tEENKUlT_SL_SM_SN_E_clIS8_S8_S9_S9_EESK_S10_SL_SM_SN_EUlS10_E_NS1_11comp_targetILNS1_3genE5ELNS1_11target_archE942ELNS1_3gpuE9ELNS1_3repE0EEENS1_48merge_mergepath_partition_config_static_selectorELNS0_4arch9wavefront6targetE1EEEvSM_.private_seg_size, 0
	.set _ZN7rocprim17ROCPRIM_400000_NS6detail17trampoline_kernelINS0_14default_configENS1_38merge_sort_block_merge_config_selectorIlNS0_10empty_typeEEEZZNS1_27merge_sort_block_merge_implIS3_PlPS5_mZN2at6native12_GLOBAL__N_124unique_dim_cuda_templateImEESt5tupleIJNSA_6TensorESF_SF_EERKSF_lbbbEUlllE_EE10hipError_tT0_T1_T2_jT3_P12ihipStream_tbPNSt15iterator_traitsISL_E10value_typeEPNSR_ISM_E10value_typeEPSN_NS1_7vsmem_tEENKUlT_SL_SM_SN_E_clIS8_S8_S9_S9_EESK_S10_SL_SM_SN_EUlS10_E_NS1_11comp_targetILNS1_3genE5ELNS1_11target_archE942ELNS1_3gpuE9ELNS1_3repE0EEENS1_48merge_mergepath_partition_config_static_selectorELNS0_4arch9wavefront6targetE1EEEvSM_.uses_vcc, 0
	.set _ZN7rocprim17ROCPRIM_400000_NS6detail17trampoline_kernelINS0_14default_configENS1_38merge_sort_block_merge_config_selectorIlNS0_10empty_typeEEEZZNS1_27merge_sort_block_merge_implIS3_PlPS5_mZN2at6native12_GLOBAL__N_124unique_dim_cuda_templateImEESt5tupleIJNSA_6TensorESF_SF_EERKSF_lbbbEUlllE_EE10hipError_tT0_T1_T2_jT3_P12ihipStream_tbPNSt15iterator_traitsISL_E10value_typeEPNSR_ISM_E10value_typeEPSN_NS1_7vsmem_tEENKUlT_SL_SM_SN_E_clIS8_S8_S9_S9_EESK_S10_SL_SM_SN_EUlS10_E_NS1_11comp_targetILNS1_3genE5ELNS1_11target_archE942ELNS1_3gpuE9ELNS1_3repE0EEENS1_48merge_mergepath_partition_config_static_selectorELNS0_4arch9wavefront6targetE1EEEvSM_.uses_flat_scratch, 0
	.set _ZN7rocprim17ROCPRIM_400000_NS6detail17trampoline_kernelINS0_14default_configENS1_38merge_sort_block_merge_config_selectorIlNS0_10empty_typeEEEZZNS1_27merge_sort_block_merge_implIS3_PlPS5_mZN2at6native12_GLOBAL__N_124unique_dim_cuda_templateImEESt5tupleIJNSA_6TensorESF_SF_EERKSF_lbbbEUlllE_EE10hipError_tT0_T1_T2_jT3_P12ihipStream_tbPNSt15iterator_traitsISL_E10value_typeEPNSR_ISM_E10value_typeEPSN_NS1_7vsmem_tEENKUlT_SL_SM_SN_E_clIS8_S8_S9_S9_EESK_S10_SL_SM_SN_EUlS10_E_NS1_11comp_targetILNS1_3genE5ELNS1_11target_archE942ELNS1_3gpuE9ELNS1_3repE0EEENS1_48merge_mergepath_partition_config_static_selectorELNS0_4arch9wavefront6targetE1EEEvSM_.has_dyn_sized_stack, 0
	.set _ZN7rocprim17ROCPRIM_400000_NS6detail17trampoline_kernelINS0_14default_configENS1_38merge_sort_block_merge_config_selectorIlNS0_10empty_typeEEEZZNS1_27merge_sort_block_merge_implIS3_PlPS5_mZN2at6native12_GLOBAL__N_124unique_dim_cuda_templateImEESt5tupleIJNSA_6TensorESF_SF_EERKSF_lbbbEUlllE_EE10hipError_tT0_T1_T2_jT3_P12ihipStream_tbPNSt15iterator_traitsISL_E10value_typeEPNSR_ISM_E10value_typeEPSN_NS1_7vsmem_tEENKUlT_SL_SM_SN_E_clIS8_S8_S9_S9_EESK_S10_SL_SM_SN_EUlS10_E_NS1_11comp_targetILNS1_3genE5ELNS1_11target_archE942ELNS1_3gpuE9ELNS1_3repE0EEENS1_48merge_mergepath_partition_config_static_selectorELNS0_4arch9wavefront6targetE1EEEvSM_.has_recursion, 0
	.set _ZN7rocprim17ROCPRIM_400000_NS6detail17trampoline_kernelINS0_14default_configENS1_38merge_sort_block_merge_config_selectorIlNS0_10empty_typeEEEZZNS1_27merge_sort_block_merge_implIS3_PlPS5_mZN2at6native12_GLOBAL__N_124unique_dim_cuda_templateImEESt5tupleIJNSA_6TensorESF_SF_EERKSF_lbbbEUlllE_EE10hipError_tT0_T1_T2_jT3_P12ihipStream_tbPNSt15iterator_traitsISL_E10value_typeEPNSR_ISM_E10value_typeEPSN_NS1_7vsmem_tEENKUlT_SL_SM_SN_E_clIS8_S8_S9_S9_EESK_S10_SL_SM_SN_EUlS10_E_NS1_11comp_targetILNS1_3genE5ELNS1_11target_archE942ELNS1_3gpuE9ELNS1_3repE0EEENS1_48merge_mergepath_partition_config_static_selectorELNS0_4arch9wavefront6targetE1EEEvSM_.has_indirect_call, 0
	.section	.AMDGPU.csdata,"",@progbits
; Kernel info:
; codeLenInByte = 0
; TotalNumSgprs: 6
; NumVgprs: 0
; NumAgprs: 0
; TotalNumVgprs: 0
; ScratchSize: 0
; MemoryBound: 0
; FloatMode: 240
; IeeeMode: 1
; LDSByteSize: 0 bytes/workgroup (compile time only)
; SGPRBlocks: 0
; VGPRBlocks: 0
; NumSGPRsForWavesPerEU: 6
; NumVGPRsForWavesPerEU: 1
; AccumOffset: 4
; Occupancy: 8
; WaveLimiterHint : 0
; COMPUTE_PGM_RSRC2:SCRATCH_EN: 0
; COMPUTE_PGM_RSRC2:USER_SGPR: 2
; COMPUTE_PGM_RSRC2:TRAP_HANDLER: 0
; COMPUTE_PGM_RSRC2:TGID_X_EN: 1
; COMPUTE_PGM_RSRC2:TGID_Y_EN: 0
; COMPUTE_PGM_RSRC2:TGID_Z_EN: 0
; COMPUTE_PGM_RSRC2:TIDIG_COMP_CNT: 0
; COMPUTE_PGM_RSRC3_GFX90A:ACCUM_OFFSET: 0
; COMPUTE_PGM_RSRC3_GFX90A:TG_SPLIT: 0
	.section	.text._ZN7rocprim17ROCPRIM_400000_NS6detail17trampoline_kernelINS0_14default_configENS1_38merge_sort_block_merge_config_selectorIlNS0_10empty_typeEEEZZNS1_27merge_sort_block_merge_implIS3_PlPS5_mZN2at6native12_GLOBAL__N_124unique_dim_cuda_templateImEESt5tupleIJNSA_6TensorESF_SF_EERKSF_lbbbEUlllE_EE10hipError_tT0_T1_T2_jT3_P12ihipStream_tbPNSt15iterator_traitsISL_E10value_typeEPNSR_ISM_E10value_typeEPSN_NS1_7vsmem_tEENKUlT_SL_SM_SN_E_clIS8_S8_S9_S9_EESK_S10_SL_SM_SN_EUlS10_E_NS1_11comp_targetILNS1_3genE4ELNS1_11target_archE910ELNS1_3gpuE8ELNS1_3repE0EEENS1_48merge_mergepath_partition_config_static_selectorELNS0_4arch9wavefront6targetE1EEEvSM_,"axG",@progbits,_ZN7rocprim17ROCPRIM_400000_NS6detail17trampoline_kernelINS0_14default_configENS1_38merge_sort_block_merge_config_selectorIlNS0_10empty_typeEEEZZNS1_27merge_sort_block_merge_implIS3_PlPS5_mZN2at6native12_GLOBAL__N_124unique_dim_cuda_templateImEESt5tupleIJNSA_6TensorESF_SF_EERKSF_lbbbEUlllE_EE10hipError_tT0_T1_T2_jT3_P12ihipStream_tbPNSt15iterator_traitsISL_E10value_typeEPNSR_ISM_E10value_typeEPSN_NS1_7vsmem_tEENKUlT_SL_SM_SN_E_clIS8_S8_S9_S9_EESK_S10_SL_SM_SN_EUlS10_E_NS1_11comp_targetILNS1_3genE4ELNS1_11target_archE910ELNS1_3gpuE8ELNS1_3repE0EEENS1_48merge_mergepath_partition_config_static_selectorELNS0_4arch9wavefront6targetE1EEEvSM_,comdat
	.globl	_ZN7rocprim17ROCPRIM_400000_NS6detail17trampoline_kernelINS0_14default_configENS1_38merge_sort_block_merge_config_selectorIlNS0_10empty_typeEEEZZNS1_27merge_sort_block_merge_implIS3_PlPS5_mZN2at6native12_GLOBAL__N_124unique_dim_cuda_templateImEESt5tupleIJNSA_6TensorESF_SF_EERKSF_lbbbEUlllE_EE10hipError_tT0_T1_T2_jT3_P12ihipStream_tbPNSt15iterator_traitsISL_E10value_typeEPNSR_ISM_E10value_typeEPSN_NS1_7vsmem_tEENKUlT_SL_SM_SN_E_clIS8_S8_S9_S9_EESK_S10_SL_SM_SN_EUlS10_E_NS1_11comp_targetILNS1_3genE4ELNS1_11target_archE910ELNS1_3gpuE8ELNS1_3repE0EEENS1_48merge_mergepath_partition_config_static_selectorELNS0_4arch9wavefront6targetE1EEEvSM_ ; -- Begin function _ZN7rocprim17ROCPRIM_400000_NS6detail17trampoline_kernelINS0_14default_configENS1_38merge_sort_block_merge_config_selectorIlNS0_10empty_typeEEEZZNS1_27merge_sort_block_merge_implIS3_PlPS5_mZN2at6native12_GLOBAL__N_124unique_dim_cuda_templateImEESt5tupleIJNSA_6TensorESF_SF_EERKSF_lbbbEUlllE_EE10hipError_tT0_T1_T2_jT3_P12ihipStream_tbPNSt15iterator_traitsISL_E10value_typeEPNSR_ISM_E10value_typeEPSN_NS1_7vsmem_tEENKUlT_SL_SM_SN_E_clIS8_S8_S9_S9_EESK_S10_SL_SM_SN_EUlS10_E_NS1_11comp_targetILNS1_3genE4ELNS1_11target_archE910ELNS1_3gpuE8ELNS1_3repE0EEENS1_48merge_mergepath_partition_config_static_selectorELNS0_4arch9wavefront6targetE1EEEvSM_
	.p2align	8
	.type	_ZN7rocprim17ROCPRIM_400000_NS6detail17trampoline_kernelINS0_14default_configENS1_38merge_sort_block_merge_config_selectorIlNS0_10empty_typeEEEZZNS1_27merge_sort_block_merge_implIS3_PlPS5_mZN2at6native12_GLOBAL__N_124unique_dim_cuda_templateImEESt5tupleIJNSA_6TensorESF_SF_EERKSF_lbbbEUlllE_EE10hipError_tT0_T1_T2_jT3_P12ihipStream_tbPNSt15iterator_traitsISL_E10value_typeEPNSR_ISM_E10value_typeEPSN_NS1_7vsmem_tEENKUlT_SL_SM_SN_E_clIS8_S8_S9_S9_EESK_S10_SL_SM_SN_EUlS10_E_NS1_11comp_targetILNS1_3genE4ELNS1_11target_archE910ELNS1_3gpuE8ELNS1_3repE0EEENS1_48merge_mergepath_partition_config_static_selectorELNS0_4arch9wavefront6targetE1EEEvSM_,@function
_ZN7rocprim17ROCPRIM_400000_NS6detail17trampoline_kernelINS0_14default_configENS1_38merge_sort_block_merge_config_selectorIlNS0_10empty_typeEEEZZNS1_27merge_sort_block_merge_implIS3_PlPS5_mZN2at6native12_GLOBAL__N_124unique_dim_cuda_templateImEESt5tupleIJNSA_6TensorESF_SF_EERKSF_lbbbEUlllE_EE10hipError_tT0_T1_T2_jT3_P12ihipStream_tbPNSt15iterator_traitsISL_E10value_typeEPNSR_ISM_E10value_typeEPSN_NS1_7vsmem_tEENKUlT_SL_SM_SN_E_clIS8_S8_S9_S9_EESK_S10_SL_SM_SN_EUlS10_E_NS1_11comp_targetILNS1_3genE4ELNS1_11target_archE910ELNS1_3gpuE8ELNS1_3repE0EEENS1_48merge_mergepath_partition_config_static_selectorELNS0_4arch9wavefront6targetE1EEEvSM_: ; @_ZN7rocprim17ROCPRIM_400000_NS6detail17trampoline_kernelINS0_14default_configENS1_38merge_sort_block_merge_config_selectorIlNS0_10empty_typeEEEZZNS1_27merge_sort_block_merge_implIS3_PlPS5_mZN2at6native12_GLOBAL__N_124unique_dim_cuda_templateImEESt5tupleIJNSA_6TensorESF_SF_EERKSF_lbbbEUlllE_EE10hipError_tT0_T1_T2_jT3_P12ihipStream_tbPNSt15iterator_traitsISL_E10value_typeEPNSR_ISM_E10value_typeEPSN_NS1_7vsmem_tEENKUlT_SL_SM_SN_E_clIS8_S8_S9_S9_EESK_S10_SL_SM_SN_EUlS10_E_NS1_11comp_targetILNS1_3genE4ELNS1_11target_archE910ELNS1_3gpuE8ELNS1_3repE0EEENS1_48merge_mergepath_partition_config_static_selectorELNS0_4arch9wavefront6targetE1EEEvSM_
; %bb.0:
	.section	.rodata,"a",@progbits
	.p2align	6, 0x0
	.amdhsa_kernel _ZN7rocprim17ROCPRIM_400000_NS6detail17trampoline_kernelINS0_14default_configENS1_38merge_sort_block_merge_config_selectorIlNS0_10empty_typeEEEZZNS1_27merge_sort_block_merge_implIS3_PlPS5_mZN2at6native12_GLOBAL__N_124unique_dim_cuda_templateImEESt5tupleIJNSA_6TensorESF_SF_EERKSF_lbbbEUlllE_EE10hipError_tT0_T1_T2_jT3_P12ihipStream_tbPNSt15iterator_traitsISL_E10value_typeEPNSR_ISM_E10value_typeEPSN_NS1_7vsmem_tEENKUlT_SL_SM_SN_E_clIS8_S8_S9_S9_EESK_S10_SL_SM_SN_EUlS10_E_NS1_11comp_targetILNS1_3genE4ELNS1_11target_archE910ELNS1_3gpuE8ELNS1_3repE0EEENS1_48merge_mergepath_partition_config_static_selectorELNS0_4arch9wavefront6targetE1EEEvSM_
		.amdhsa_group_segment_fixed_size 0
		.amdhsa_private_segment_fixed_size 0
		.amdhsa_kernarg_size 56
		.amdhsa_user_sgpr_count 2
		.amdhsa_user_sgpr_dispatch_ptr 0
		.amdhsa_user_sgpr_queue_ptr 0
		.amdhsa_user_sgpr_kernarg_segment_ptr 1
		.amdhsa_user_sgpr_dispatch_id 0
		.amdhsa_user_sgpr_kernarg_preload_length 0
		.amdhsa_user_sgpr_kernarg_preload_offset 0
		.amdhsa_user_sgpr_private_segment_size 0
		.amdhsa_uses_dynamic_stack 0
		.amdhsa_enable_private_segment 0
		.amdhsa_system_sgpr_workgroup_id_x 1
		.amdhsa_system_sgpr_workgroup_id_y 0
		.amdhsa_system_sgpr_workgroup_id_z 0
		.amdhsa_system_sgpr_workgroup_info 0
		.amdhsa_system_vgpr_workitem_id 0
		.amdhsa_next_free_vgpr 1
		.amdhsa_next_free_sgpr 0
		.amdhsa_accum_offset 4
		.amdhsa_reserve_vcc 0
		.amdhsa_float_round_mode_32 0
		.amdhsa_float_round_mode_16_64 0
		.amdhsa_float_denorm_mode_32 3
		.amdhsa_float_denorm_mode_16_64 3
		.amdhsa_dx10_clamp 1
		.amdhsa_ieee_mode 1
		.amdhsa_fp16_overflow 0
		.amdhsa_tg_split 0
		.amdhsa_exception_fp_ieee_invalid_op 0
		.amdhsa_exception_fp_denorm_src 0
		.amdhsa_exception_fp_ieee_div_zero 0
		.amdhsa_exception_fp_ieee_overflow 0
		.amdhsa_exception_fp_ieee_underflow 0
		.amdhsa_exception_fp_ieee_inexact 0
		.amdhsa_exception_int_div_zero 0
	.end_amdhsa_kernel
	.section	.text._ZN7rocprim17ROCPRIM_400000_NS6detail17trampoline_kernelINS0_14default_configENS1_38merge_sort_block_merge_config_selectorIlNS0_10empty_typeEEEZZNS1_27merge_sort_block_merge_implIS3_PlPS5_mZN2at6native12_GLOBAL__N_124unique_dim_cuda_templateImEESt5tupleIJNSA_6TensorESF_SF_EERKSF_lbbbEUlllE_EE10hipError_tT0_T1_T2_jT3_P12ihipStream_tbPNSt15iterator_traitsISL_E10value_typeEPNSR_ISM_E10value_typeEPSN_NS1_7vsmem_tEENKUlT_SL_SM_SN_E_clIS8_S8_S9_S9_EESK_S10_SL_SM_SN_EUlS10_E_NS1_11comp_targetILNS1_3genE4ELNS1_11target_archE910ELNS1_3gpuE8ELNS1_3repE0EEENS1_48merge_mergepath_partition_config_static_selectorELNS0_4arch9wavefront6targetE1EEEvSM_,"axG",@progbits,_ZN7rocprim17ROCPRIM_400000_NS6detail17trampoline_kernelINS0_14default_configENS1_38merge_sort_block_merge_config_selectorIlNS0_10empty_typeEEEZZNS1_27merge_sort_block_merge_implIS3_PlPS5_mZN2at6native12_GLOBAL__N_124unique_dim_cuda_templateImEESt5tupleIJNSA_6TensorESF_SF_EERKSF_lbbbEUlllE_EE10hipError_tT0_T1_T2_jT3_P12ihipStream_tbPNSt15iterator_traitsISL_E10value_typeEPNSR_ISM_E10value_typeEPSN_NS1_7vsmem_tEENKUlT_SL_SM_SN_E_clIS8_S8_S9_S9_EESK_S10_SL_SM_SN_EUlS10_E_NS1_11comp_targetILNS1_3genE4ELNS1_11target_archE910ELNS1_3gpuE8ELNS1_3repE0EEENS1_48merge_mergepath_partition_config_static_selectorELNS0_4arch9wavefront6targetE1EEEvSM_,comdat
.Lfunc_end1617:
	.size	_ZN7rocprim17ROCPRIM_400000_NS6detail17trampoline_kernelINS0_14default_configENS1_38merge_sort_block_merge_config_selectorIlNS0_10empty_typeEEEZZNS1_27merge_sort_block_merge_implIS3_PlPS5_mZN2at6native12_GLOBAL__N_124unique_dim_cuda_templateImEESt5tupleIJNSA_6TensorESF_SF_EERKSF_lbbbEUlllE_EE10hipError_tT0_T1_T2_jT3_P12ihipStream_tbPNSt15iterator_traitsISL_E10value_typeEPNSR_ISM_E10value_typeEPSN_NS1_7vsmem_tEENKUlT_SL_SM_SN_E_clIS8_S8_S9_S9_EESK_S10_SL_SM_SN_EUlS10_E_NS1_11comp_targetILNS1_3genE4ELNS1_11target_archE910ELNS1_3gpuE8ELNS1_3repE0EEENS1_48merge_mergepath_partition_config_static_selectorELNS0_4arch9wavefront6targetE1EEEvSM_, .Lfunc_end1617-_ZN7rocprim17ROCPRIM_400000_NS6detail17trampoline_kernelINS0_14default_configENS1_38merge_sort_block_merge_config_selectorIlNS0_10empty_typeEEEZZNS1_27merge_sort_block_merge_implIS3_PlPS5_mZN2at6native12_GLOBAL__N_124unique_dim_cuda_templateImEESt5tupleIJNSA_6TensorESF_SF_EERKSF_lbbbEUlllE_EE10hipError_tT0_T1_T2_jT3_P12ihipStream_tbPNSt15iterator_traitsISL_E10value_typeEPNSR_ISM_E10value_typeEPSN_NS1_7vsmem_tEENKUlT_SL_SM_SN_E_clIS8_S8_S9_S9_EESK_S10_SL_SM_SN_EUlS10_E_NS1_11comp_targetILNS1_3genE4ELNS1_11target_archE910ELNS1_3gpuE8ELNS1_3repE0EEENS1_48merge_mergepath_partition_config_static_selectorELNS0_4arch9wavefront6targetE1EEEvSM_
                                        ; -- End function
	.set _ZN7rocprim17ROCPRIM_400000_NS6detail17trampoline_kernelINS0_14default_configENS1_38merge_sort_block_merge_config_selectorIlNS0_10empty_typeEEEZZNS1_27merge_sort_block_merge_implIS3_PlPS5_mZN2at6native12_GLOBAL__N_124unique_dim_cuda_templateImEESt5tupleIJNSA_6TensorESF_SF_EERKSF_lbbbEUlllE_EE10hipError_tT0_T1_T2_jT3_P12ihipStream_tbPNSt15iterator_traitsISL_E10value_typeEPNSR_ISM_E10value_typeEPSN_NS1_7vsmem_tEENKUlT_SL_SM_SN_E_clIS8_S8_S9_S9_EESK_S10_SL_SM_SN_EUlS10_E_NS1_11comp_targetILNS1_3genE4ELNS1_11target_archE910ELNS1_3gpuE8ELNS1_3repE0EEENS1_48merge_mergepath_partition_config_static_selectorELNS0_4arch9wavefront6targetE1EEEvSM_.num_vgpr, 0
	.set _ZN7rocprim17ROCPRIM_400000_NS6detail17trampoline_kernelINS0_14default_configENS1_38merge_sort_block_merge_config_selectorIlNS0_10empty_typeEEEZZNS1_27merge_sort_block_merge_implIS3_PlPS5_mZN2at6native12_GLOBAL__N_124unique_dim_cuda_templateImEESt5tupleIJNSA_6TensorESF_SF_EERKSF_lbbbEUlllE_EE10hipError_tT0_T1_T2_jT3_P12ihipStream_tbPNSt15iterator_traitsISL_E10value_typeEPNSR_ISM_E10value_typeEPSN_NS1_7vsmem_tEENKUlT_SL_SM_SN_E_clIS8_S8_S9_S9_EESK_S10_SL_SM_SN_EUlS10_E_NS1_11comp_targetILNS1_3genE4ELNS1_11target_archE910ELNS1_3gpuE8ELNS1_3repE0EEENS1_48merge_mergepath_partition_config_static_selectorELNS0_4arch9wavefront6targetE1EEEvSM_.num_agpr, 0
	.set _ZN7rocprim17ROCPRIM_400000_NS6detail17trampoline_kernelINS0_14default_configENS1_38merge_sort_block_merge_config_selectorIlNS0_10empty_typeEEEZZNS1_27merge_sort_block_merge_implIS3_PlPS5_mZN2at6native12_GLOBAL__N_124unique_dim_cuda_templateImEESt5tupleIJNSA_6TensorESF_SF_EERKSF_lbbbEUlllE_EE10hipError_tT0_T1_T2_jT3_P12ihipStream_tbPNSt15iterator_traitsISL_E10value_typeEPNSR_ISM_E10value_typeEPSN_NS1_7vsmem_tEENKUlT_SL_SM_SN_E_clIS8_S8_S9_S9_EESK_S10_SL_SM_SN_EUlS10_E_NS1_11comp_targetILNS1_3genE4ELNS1_11target_archE910ELNS1_3gpuE8ELNS1_3repE0EEENS1_48merge_mergepath_partition_config_static_selectorELNS0_4arch9wavefront6targetE1EEEvSM_.numbered_sgpr, 0
	.set _ZN7rocprim17ROCPRIM_400000_NS6detail17trampoline_kernelINS0_14default_configENS1_38merge_sort_block_merge_config_selectorIlNS0_10empty_typeEEEZZNS1_27merge_sort_block_merge_implIS3_PlPS5_mZN2at6native12_GLOBAL__N_124unique_dim_cuda_templateImEESt5tupleIJNSA_6TensorESF_SF_EERKSF_lbbbEUlllE_EE10hipError_tT0_T1_T2_jT3_P12ihipStream_tbPNSt15iterator_traitsISL_E10value_typeEPNSR_ISM_E10value_typeEPSN_NS1_7vsmem_tEENKUlT_SL_SM_SN_E_clIS8_S8_S9_S9_EESK_S10_SL_SM_SN_EUlS10_E_NS1_11comp_targetILNS1_3genE4ELNS1_11target_archE910ELNS1_3gpuE8ELNS1_3repE0EEENS1_48merge_mergepath_partition_config_static_selectorELNS0_4arch9wavefront6targetE1EEEvSM_.num_named_barrier, 0
	.set _ZN7rocprim17ROCPRIM_400000_NS6detail17trampoline_kernelINS0_14default_configENS1_38merge_sort_block_merge_config_selectorIlNS0_10empty_typeEEEZZNS1_27merge_sort_block_merge_implIS3_PlPS5_mZN2at6native12_GLOBAL__N_124unique_dim_cuda_templateImEESt5tupleIJNSA_6TensorESF_SF_EERKSF_lbbbEUlllE_EE10hipError_tT0_T1_T2_jT3_P12ihipStream_tbPNSt15iterator_traitsISL_E10value_typeEPNSR_ISM_E10value_typeEPSN_NS1_7vsmem_tEENKUlT_SL_SM_SN_E_clIS8_S8_S9_S9_EESK_S10_SL_SM_SN_EUlS10_E_NS1_11comp_targetILNS1_3genE4ELNS1_11target_archE910ELNS1_3gpuE8ELNS1_3repE0EEENS1_48merge_mergepath_partition_config_static_selectorELNS0_4arch9wavefront6targetE1EEEvSM_.private_seg_size, 0
	.set _ZN7rocprim17ROCPRIM_400000_NS6detail17trampoline_kernelINS0_14default_configENS1_38merge_sort_block_merge_config_selectorIlNS0_10empty_typeEEEZZNS1_27merge_sort_block_merge_implIS3_PlPS5_mZN2at6native12_GLOBAL__N_124unique_dim_cuda_templateImEESt5tupleIJNSA_6TensorESF_SF_EERKSF_lbbbEUlllE_EE10hipError_tT0_T1_T2_jT3_P12ihipStream_tbPNSt15iterator_traitsISL_E10value_typeEPNSR_ISM_E10value_typeEPSN_NS1_7vsmem_tEENKUlT_SL_SM_SN_E_clIS8_S8_S9_S9_EESK_S10_SL_SM_SN_EUlS10_E_NS1_11comp_targetILNS1_3genE4ELNS1_11target_archE910ELNS1_3gpuE8ELNS1_3repE0EEENS1_48merge_mergepath_partition_config_static_selectorELNS0_4arch9wavefront6targetE1EEEvSM_.uses_vcc, 0
	.set _ZN7rocprim17ROCPRIM_400000_NS6detail17trampoline_kernelINS0_14default_configENS1_38merge_sort_block_merge_config_selectorIlNS0_10empty_typeEEEZZNS1_27merge_sort_block_merge_implIS3_PlPS5_mZN2at6native12_GLOBAL__N_124unique_dim_cuda_templateImEESt5tupleIJNSA_6TensorESF_SF_EERKSF_lbbbEUlllE_EE10hipError_tT0_T1_T2_jT3_P12ihipStream_tbPNSt15iterator_traitsISL_E10value_typeEPNSR_ISM_E10value_typeEPSN_NS1_7vsmem_tEENKUlT_SL_SM_SN_E_clIS8_S8_S9_S9_EESK_S10_SL_SM_SN_EUlS10_E_NS1_11comp_targetILNS1_3genE4ELNS1_11target_archE910ELNS1_3gpuE8ELNS1_3repE0EEENS1_48merge_mergepath_partition_config_static_selectorELNS0_4arch9wavefront6targetE1EEEvSM_.uses_flat_scratch, 0
	.set _ZN7rocprim17ROCPRIM_400000_NS6detail17trampoline_kernelINS0_14default_configENS1_38merge_sort_block_merge_config_selectorIlNS0_10empty_typeEEEZZNS1_27merge_sort_block_merge_implIS3_PlPS5_mZN2at6native12_GLOBAL__N_124unique_dim_cuda_templateImEESt5tupleIJNSA_6TensorESF_SF_EERKSF_lbbbEUlllE_EE10hipError_tT0_T1_T2_jT3_P12ihipStream_tbPNSt15iterator_traitsISL_E10value_typeEPNSR_ISM_E10value_typeEPSN_NS1_7vsmem_tEENKUlT_SL_SM_SN_E_clIS8_S8_S9_S9_EESK_S10_SL_SM_SN_EUlS10_E_NS1_11comp_targetILNS1_3genE4ELNS1_11target_archE910ELNS1_3gpuE8ELNS1_3repE0EEENS1_48merge_mergepath_partition_config_static_selectorELNS0_4arch9wavefront6targetE1EEEvSM_.has_dyn_sized_stack, 0
	.set _ZN7rocprim17ROCPRIM_400000_NS6detail17trampoline_kernelINS0_14default_configENS1_38merge_sort_block_merge_config_selectorIlNS0_10empty_typeEEEZZNS1_27merge_sort_block_merge_implIS3_PlPS5_mZN2at6native12_GLOBAL__N_124unique_dim_cuda_templateImEESt5tupleIJNSA_6TensorESF_SF_EERKSF_lbbbEUlllE_EE10hipError_tT0_T1_T2_jT3_P12ihipStream_tbPNSt15iterator_traitsISL_E10value_typeEPNSR_ISM_E10value_typeEPSN_NS1_7vsmem_tEENKUlT_SL_SM_SN_E_clIS8_S8_S9_S9_EESK_S10_SL_SM_SN_EUlS10_E_NS1_11comp_targetILNS1_3genE4ELNS1_11target_archE910ELNS1_3gpuE8ELNS1_3repE0EEENS1_48merge_mergepath_partition_config_static_selectorELNS0_4arch9wavefront6targetE1EEEvSM_.has_recursion, 0
	.set _ZN7rocprim17ROCPRIM_400000_NS6detail17trampoline_kernelINS0_14default_configENS1_38merge_sort_block_merge_config_selectorIlNS0_10empty_typeEEEZZNS1_27merge_sort_block_merge_implIS3_PlPS5_mZN2at6native12_GLOBAL__N_124unique_dim_cuda_templateImEESt5tupleIJNSA_6TensorESF_SF_EERKSF_lbbbEUlllE_EE10hipError_tT0_T1_T2_jT3_P12ihipStream_tbPNSt15iterator_traitsISL_E10value_typeEPNSR_ISM_E10value_typeEPSN_NS1_7vsmem_tEENKUlT_SL_SM_SN_E_clIS8_S8_S9_S9_EESK_S10_SL_SM_SN_EUlS10_E_NS1_11comp_targetILNS1_3genE4ELNS1_11target_archE910ELNS1_3gpuE8ELNS1_3repE0EEENS1_48merge_mergepath_partition_config_static_selectorELNS0_4arch9wavefront6targetE1EEEvSM_.has_indirect_call, 0
	.section	.AMDGPU.csdata,"",@progbits
; Kernel info:
; codeLenInByte = 0
; TotalNumSgprs: 6
; NumVgprs: 0
; NumAgprs: 0
; TotalNumVgprs: 0
; ScratchSize: 0
; MemoryBound: 0
; FloatMode: 240
; IeeeMode: 1
; LDSByteSize: 0 bytes/workgroup (compile time only)
; SGPRBlocks: 0
; VGPRBlocks: 0
; NumSGPRsForWavesPerEU: 6
; NumVGPRsForWavesPerEU: 1
; AccumOffset: 4
; Occupancy: 8
; WaveLimiterHint : 0
; COMPUTE_PGM_RSRC2:SCRATCH_EN: 0
; COMPUTE_PGM_RSRC2:USER_SGPR: 2
; COMPUTE_PGM_RSRC2:TRAP_HANDLER: 0
; COMPUTE_PGM_RSRC2:TGID_X_EN: 1
; COMPUTE_PGM_RSRC2:TGID_Y_EN: 0
; COMPUTE_PGM_RSRC2:TGID_Z_EN: 0
; COMPUTE_PGM_RSRC2:TIDIG_COMP_CNT: 0
; COMPUTE_PGM_RSRC3_GFX90A:ACCUM_OFFSET: 0
; COMPUTE_PGM_RSRC3_GFX90A:TG_SPLIT: 0
	.section	.text._ZN7rocprim17ROCPRIM_400000_NS6detail17trampoline_kernelINS0_14default_configENS1_38merge_sort_block_merge_config_selectorIlNS0_10empty_typeEEEZZNS1_27merge_sort_block_merge_implIS3_PlPS5_mZN2at6native12_GLOBAL__N_124unique_dim_cuda_templateImEESt5tupleIJNSA_6TensorESF_SF_EERKSF_lbbbEUlllE_EE10hipError_tT0_T1_T2_jT3_P12ihipStream_tbPNSt15iterator_traitsISL_E10value_typeEPNSR_ISM_E10value_typeEPSN_NS1_7vsmem_tEENKUlT_SL_SM_SN_E_clIS8_S8_S9_S9_EESK_S10_SL_SM_SN_EUlS10_E_NS1_11comp_targetILNS1_3genE3ELNS1_11target_archE908ELNS1_3gpuE7ELNS1_3repE0EEENS1_48merge_mergepath_partition_config_static_selectorELNS0_4arch9wavefront6targetE1EEEvSM_,"axG",@progbits,_ZN7rocprim17ROCPRIM_400000_NS6detail17trampoline_kernelINS0_14default_configENS1_38merge_sort_block_merge_config_selectorIlNS0_10empty_typeEEEZZNS1_27merge_sort_block_merge_implIS3_PlPS5_mZN2at6native12_GLOBAL__N_124unique_dim_cuda_templateImEESt5tupleIJNSA_6TensorESF_SF_EERKSF_lbbbEUlllE_EE10hipError_tT0_T1_T2_jT3_P12ihipStream_tbPNSt15iterator_traitsISL_E10value_typeEPNSR_ISM_E10value_typeEPSN_NS1_7vsmem_tEENKUlT_SL_SM_SN_E_clIS8_S8_S9_S9_EESK_S10_SL_SM_SN_EUlS10_E_NS1_11comp_targetILNS1_3genE3ELNS1_11target_archE908ELNS1_3gpuE7ELNS1_3repE0EEENS1_48merge_mergepath_partition_config_static_selectorELNS0_4arch9wavefront6targetE1EEEvSM_,comdat
	.globl	_ZN7rocprim17ROCPRIM_400000_NS6detail17trampoline_kernelINS0_14default_configENS1_38merge_sort_block_merge_config_selectorIlNS0_10empty_typeEEEZZNS1_27merge_sort_block_merge_implIS3_PlPS5_mZN2at6native12_GLOBAL__N_124unique_dim_cuda_templateImEESt5tupleIJNSA_6TensorESF_SF_EERKSF_lbbbEUlllE_EE10hipError_tT0_T1_T2_jT3_P12ihipStream_tbPNSt15iterator_traitsISL_E10value_typeEPNSR_ISM_E10value_typeEPSN_NS1_7vsmem_tEENKUlT_SL_SM_SN_E_clIS8_S8_S9_S9_EESK_S10_SL_SM_SN_EUlS10_E_NS1_11comp_targetILNS1_3genE3ELNS1_11target_archE908ELNS1_3gpuE7ELNS1_3repE0EEENS1_48merge_mergepath_partition_config_static_selectorELNS0_4arch9wavefront6targetE1EEEvSM_ ; -- Begin function _ZN7rocprim17ROCPRIM_400000_NS6detail17trampoline_kernelINS0_14default_configENS1_38merge_sort_block_merge_config_selectorIlNS0_10empty_typeEEEZZNS1_27merge_sort_block_merge_implIS3_PlPS5_mZN2at6native12_GLOBAL__N_124unique_dim_cuda_templateImEESt5tupleIJNSA_6TensorESF_SF_EERKSF_lbbbEUlllE_EE10hipError_tT0_T1_T2_jT3_P12ihipStream_tbPNSt15iterator_traitsISL_E10value_typeEPNSR_ISM_E10value_typeEPSN_NS1_7vsmem_tEENKUlT_SL_SM_SN_E_clIS8_S8_S9_S9_EESK_S10_SL_SM_SN_EUlS10_E_NS1_11comp_targetILNS1_3genE3ELNS1_11target_archE908ELNS1_3gpuE7ELNS1_3repE0EEENS1_48merge_mergepath_partition_config_static_selectorELNS0_4arch9wavefront6targetE1EEEvSM_
	.p2align	8
	.type	_ZN7rocprim17ROCPRIM_400000_NS6detail17trampoline_kernelINS0_14default_configENS1_38merge_sort_block_merge_config_selectorIlNS0_10empty_typeEEEZZNS1_27merge_sort_block_merge_implIS3_PlPS5_mZN2at6native12_GLOBAL__N_124unique_dim_cuda_templateImEESt5tupleIJNSA_6TensorESF_SF_EERKSF_lbbbEUlllE_EE10hipError_tT0_T1_T2_jT3_P12ihipStream_tbPNSt15iterator_traitsISL_E10value_typeEPNSR_ISM_E10value_typeEPSN_NS1_7vsmem_tEENKUlT_SL_SM_SN_E_clIS8_S8_S9_S9_EESK_S10_SL_SM_SN_EUlS10_E_NS1_11comp_targetILNS1_3genE3ELNS1_11target_archE908ELNS1_3gpuE7ELNS1_3repE0EEENS1_48merge_mergepath_partition_config_static_selectorELNS0_4arch9wavefront6targetE1EEEvSM_,@function
_ZN7rocprim17ROCPRIM_400000_NS6detail17trampoline_kernelINS0_14default_configENS1_38merge_sort_block_merge_config_selectorIlNS0_10empty_typeEEEZZNS1_27merge_sort_block_merge_implIS3_PlPS5_mZN2at6native12_GLOBAL__N_124unique_dim_cuda_templateImEESt5tupleIJNSA_6TensorESF_SF_EERKSF_lbbbEUlllE_EE10hipError_tT0_T1_T2_jT3_P12ihipStream_tbPNSt15iterator_traitsISL_E10value_typeEPNSR_ISM_E10value_typeEPSN_NS1_7vsmem_tEENKUlT_SL_SM_SN_E_clIS8_S8_S9_S9_EESK_S10_SL_SM_SN_EUlS10_E_NS1_11comp_targetILNS1_3genE3ELNS1_11target_archE908ELNS1_3gpuE7ELNS1_3repE0EEENS1_48merge_mergepath_partition_config_static_selectorELNS0_4arch9wavefront6targetE1EEEvSM_: ; @_ZN7rocprim17ROCPRIM_400000_NS6detail17trampoline_kernelINS0_14default_configENS1_38merge_sort_block_merge_config_selectorIlNS0_10empty_typeEEEZZNS1_27merge_sort_block_merge_implIS3_PlPS5_mZN2at6native12_GLOBAL__N_124unique_dim_cuda_templateImEESt5tupleIJNSA_6TensorESF_SF_EERKSF_lbbbEUlllE_EE10hipError_tT0_T1_T2_jT3_P12ihipStream_tbPNSt15iterator_traitsISL_E10value_typeEPNSR_ISM_E10value_typeEPSN_NS1_7vsmem_tEENKUlT_SL_SM_SN_E_clIS8_S8_S9_S9_EESK_S10_SL_SM_SN_EUlS10_E_NS1_11comp_targetILNS1_3genE3ELNS1_11target_archE908ELNS1_3gpuE7ELNS1_3repE0EEENS1_48merge_mergepath_partition_config_static_selectorELNS0_4arch9wavefront6targetE1EEEvSM_
; %bb.0:
	.section	.rodata,"a",@progbits
	.p2align	6, 0x0
	.amdhsa_kernel _ZN7rocprim17ROCPRIM_400000_NS6detail17trampoline_kernelINS0_14default_configENS1_38merge_sort_block_merge_config_selectorIlNS0_10empty_typeEEEZZNS1_27merge_sort_block_merge_implIS3_PlPS5_mZN2at6native12_GLOBAL__N_124unique_dim_cuda_templateImEESt5tupleIJNSA_6TensorESF_SF_EERKSF_lbbbEUlllE_EE10hipError_tT0_T1_T2_jT3_P12ihipStream_tbPNSt15iterator_traitsISL_E10value_typeEPNSR_ISM_E10value_typeEPSN_NS1_7vsmem_tEENKUlT_SL_SM_SN_E_clIS8_S8_S9_S9_EESK_S10_SL_SM_SN_EUlS10_E_NS1_11comp_targetILNS1_3genE3ELNS1_11target_archE908ELNS1_3gpuE7ELNS1_3repE0EEENS1_48merge_mergepath_partition_config_static_selectorELNS0_4arch9wavefront6targetE1EEEvSM_
		.amdhsa_group_segment_fixed_size 0
		.amdhsa_private_segment_fixed_size 0
		.amdhsa_kernarg_size 56
		.amdhsa_user_sgpr_count 2
		.amdhsa_user_sgpr_dispatch_ptr 0
		.amdhsa_user_sgpr_queue_ptr 0
		.amdhsa_user_sgpr_kernarg_segment_ptr 1
		.amdhsa_user_sgpr_dispatch_id 0
		.amdhsa_user_sgpr_kernarg_preload_length 0
		.amdhsa_user_sgpr_kernarg_preload_offset 0
		.amdhsa_user_sgpr_private_segment_size 0
		.amdhsa_uses_dynamic_stack 0
		.amdhsa_enable_private_segment 0
		.amdhsa_system_sgpr_workgroup_id_x 1
		.amdhsa_system_sgpr_workgroup_id_y 0
		.amdhsa_system_sgpr_workgroup_id_z 0
		.amdhsa_system_sgpr_workgroup_info 0
		.amdhsa_system_vgpr_workitem_id 0
		.amdhsa_next_free_vgpr 1
		.amdhsa_next_free_sgpr 0
		.amdhsa_accum_offset 4
		.amdhsa_reserve_vcc 0
		.amdhsa_float_round_mode_32 0
		.amdhsa_float_round_mode_16_64 0
		.amdhsa_float_denorm_mode_32 3
		.amdhsa_float_denorm_mode_16_64 3
		.amdhsa_dx10_clamp 1
		.amdhsa_ieee_mode 1
		.amdhsa_fp16_overflow 0
		.amdhsa_tg_split 0
		.amdhsa_exception_fp_ieee_invalid_op 0
		.amdhsa_exception_fp_denorm_src 0
		.amdhsa_exception_fp_ieee_div_zero 0
		.amdhsa_exception_fp_ieee_overflow 0
		.amdhsa_exception_fp_ieee_underflow 0
		.amdhsa_exception_fp_ieee_inexact 0
		.amdhsa_exception_int_div_zero 0
	.end_amdhsa_kernel
	.section	.text._ZN7rocprim17ROCPRIM_400000_NS6detail17trampoline_kernelINS0_14default_configENS1_38merge_sort_block_merge_config_selectorIlNS0_10empty_typeEEEZZNS1_27merge_sort_block_merge_implIS3_PlPS5_mZN2at6native12_GLOBAL__N_124unique_dim_cuda_templateImEESt5tupleIJNSA_6TensorESF_SF_EERKSF_lbbbEUlllE_EE10hipError_tT0_T1_T2_jT3_P12ihipStream_tbPNSt15iterator_traitsISL_E10value_typeEPNSR_ISM_E10value_typeEPSN_NS1_7vsmem_tEENKUlT_SL_SM_SN_E_clIS8_S8_S9_S9_EESK_S10_SL_SM_SN_EUlS10_E_NS1_11comp_targetILNS1_3genE3ELNS1_11target_archE908ELNS1_3gpuE7ELNS1_3repE0EEENS1_48merge_mergepath_partition_config_static_selectorELNS0_4arch9wavefront6targetE1EEEvSM_,"axG",@progbits,_ZN7rocprim17ROCPRIM_400000_NS6detail17trampoline_kernelINS0_14default_configENS1_38merge_sort_block_merge_config_selectorIlNS0_10empty_typeEEEZZNS1_27merge_sort_block_merge_implIS3_PlPS5_mZN2at6native12_GLOBAL__N_124unique_dim_cuda_templateImEESt5tupleIJNSA_6TensorESF_SF_EERKSF_lbbbEUlllE_EE10hipError_tT0_T1_T2_jT3_P12ihipStream_tbPNSt15iterator_traitsISL_E10value_typeEPNSR_ISM_E10value_typeEPSN_NS1_7vsmem_tEENKUlT_SL_SM_SN_E_clIS8_S8_S9_S9_EESK_S10_SL_SM_SN_EUlS10_E_NS1_11comp_targetILNS1_3genE3ELNS1_11target_archE908ELNS1_3gpuE7ELNS1_3repE0EEENS1_48merge_mergepath_partition_config_static_selectorELNS0_4arch9wavefront6targetE1EEEvSM_,comdat
.Lfunc_end1618:
	.size	_ZN7rocprim17ROCPRIM_400000_NS6detail17trampoline_kernelINS0_14default_configENS1_38merge_sort_block_merge_config_selectorIlNS0_10empty_typeEEEZZNS1_27merge_sort_block_merge_implIS3_PlPS5_mZN2at6native12_GLOBAL__N_124unique_dim_cuda_templateImEESt5tupleIJNSA_6TensorESF_SF_EERKSF_lbbbEUlllE_EE10hipError_tT0_T1_T2_jT3_P12ihipStream_tbPNSt15iterator_traitsISL_E10value_typeEPNSR_ISM_E10value_typeEPSN_NS1_7vsmem_tEENKUlT_SL_SM_SN_E_clIS8_S8_S9_S9_EESK_S10_SL_SM_SN_EUlS10_E_NS1_11comp_targetILNS1_3genE3ELNS1_11target_archE908ELNS1_3gpuE7ELNS1_3repE0EEENS1_48merge_mergepath_partition_config_static_selectorELNS0_4arch9wavefront6targetE1EEEvSM_, .Lfunc_end1618-_ZN7rocprim17ROCPRIM_400000_NS6detail17trampoline_kernelINS0_14default_configENS1_38merge_sort_block_merge_config_selectorIlNS0_10empty_typeEEEZZNS1_27merge_sort_block_merge_implIS3_PlPS5_mZN2at6native12_GLOBAL__N_124unique_dim_cuda_templateImEESt5tupleIJNSA_6TensorESF_SF_EERKSF_lbbbEUlllE_EE10hipError_tT0_T1_T2_jT3_P12ihipStream_tbPNSt15iterator_traitsISL_E10value_typeEPNSR_ISM_E10value_typeEPSN_NS1_7vsmem_tEENKUlT_SL_SM_SN_E_clIS8_S8_S9_S9_EESK_S10_SL_SM_SN_EUlS10_E_NS1_11comp_targetILNS1_3genE3ELNS1_11target_archE908ELNS1_3gpuE7ELNS1_3repE0EEENS1_48merge_mergepath_partition_config_static_selectorELNS0_4arch9wavefront6targetE1EEEvSM_
                                        ; -- End function
	.set _ZN7rocprim17ROCPRIM_400000_NS6detail17trampoline_kernelINS0_14default_configENS1_38merge_sort_block_merge_config_selectorIlNS0_10empty_typeEEEZZNS1_27merge_sort_block_merge_implIS3_PlPS5_mZN2at6native12_GLOBAL__N_124unique_dim_cuda_templateImEESt5tupleIJNSA_6TensorESF_SF_EERKSF_lbbbEUlllE_EE10hipError_tT0_T1_T2_jT3_P12ihipStream_tbPNSt15iterator_traitsISL_E10value_typeEPNSR_ISM_E10value_typeEPSN_NS1_7vsmem_tEENKUlT_SL_SM_SN_E_clIS8_S8_S9_S9_EESK_S10_SL_SM_SN_EUlS10_E_NS1_11comp_targetILNS1_3genE3ELNS1_11target_archE908ELNS1_3gpuE7ELNS1_3repE0EEENS1_48merge_mergepath_partition_config_static_selectorELNS0_4arch9wavefront6targetE1EEEvSM_.num_vgpr, 0
	.set _ZN7rocprim17ROCPRIM_400000_NS6detail17trampoline_kernelINS0_14default_configENS1_38merge_sort_block_merge_config_selectorIlNS0_10empty_typeEEEZZNS1_27merge_sort_block_merge_implIS3_PlPS5_mZN2at6native12_GLOBAL__N_124unique_dim_cuda_templateImEESt5tupleIJNSA_6TensorESF_SF_EERKSF_lbbbEUlllE_EE10hipError_tT0_T1_T2_jT3_P12ihipStream_tbPNSt15iterator_traitsISL_E10value_typeEPNSR_ISM_E10value_typeEPSN_NS1_7vsmem_tEENKUlT_SL_SM_SN_E_clIS8_S8_S9_S9_EESK_S10_SL_SM_SN_EUlS10_E_NS1_11comp_targetILNS1_3genE3ELNS1_11target_archE908ELNS1_3gpuE7ELNS1_3repE0EEENS1_48merge_mergepath_partition_config_static_selectorELNS0_4arch9wavefront6targetE1EEEvSM_.num_agpr, 0
	.set _ZN7rocprim17ROCPRIM_400000_NS6detail17trampoline_kernelINS0_14default_configENS1_38merge_sort_block_merge_config_selectorIlNS0_10empty_typeEEEZZNS1_27merge_sort_block_merge_implIS3_PlPS5_mZN2at6native12_GLOBAL__N_124unique_dim_cuda_templateImEESt5tupleIJNSA_6TensorESF_SF_EERKSF_lbbbEUlllE_EE10hipError_tT0_T1_T2_jT3_P12ihipStream_tbPNSt15iterator_traitsISL_E10value_typeEPNSR_ISM_E10value_typeEPSN_NS1_7vsmem_tEENKUlT_SL_SM_SN_E_clIS8_S8_S9_S9_EESK_S10_SL_SM_SN_EUlS10_E_NS1_11comp_targetILNS1_3genE3ELNS1_11target_archE908ELNS1_3gpuE7ELNS1_3repE0EEENS1_48merge_mergepath_partition_config_static_selectorELNS0_4arch9wavefront6targetE1EEEvSM_.numbered_sgpr, 0
	.set _ZN7rocprim17ROCPRIM_400000_NS6detail17trampoline_kernelINS0_14default_configENS1_38merge_sort_block_merge_config_selectorIlNS0_10empty_typeEEEZZNS1_27merge_sort_block_merge_implIS3_PlPS5_mZN2at6native12_GLOBAL__N_124unique_dim_cuda_templateImEESt5tupleIJNSA_6TensorESF_SF_EERKSF_lbbbEUlllE_EE10hipError_tT0_T1_T2_jT3_P12ihipStream_tbPNSt15iterator_traitsISL_E10value_typeEPNSR_ISM_E10value_typeEPSN_NS1_7vsmem_tEENKUlT_SL_SM_SN_E_clIS8_S8_S9_S9_EESK_S10_SL_SM_SN_EUlS10_E_NS1_11comp_targetILNS1_3genE3ELNS1_11target_archE908ELNS1_3gpuE7ELNS1_3repE0EEENS1_48merge_mergepath_partition_config_static_selectorELNS0_4arch9wavefront6targetE1EEEvSM_.num_named_barrier, 0
	.set _ZN7rocprim17ROCPRIM_400000_NS6detail17trampoline_kernelINS0_14default_configENS1_38merge_sort_block_merge_config_selectorIlNS0_10empty_typeEEEZZNS1_27merge_sort_block_merge_implIS3_PlPS5_mZN2at6native12_GLOBAL__N_124unique_dim_cuda_templateImEESt5tupleIJNSA_6TensorESF_SF_EERKSF_lbbbEUlllE_EE10hipError_tT0_T1_T2_jT3_P12ihipStream_tbPNSt15iterator_traitsISL_E10value_typeEPNSR_ISM_E10value_typeEPSN_NS1_7vsmem_tEENKUlT_SL_SM_SN_E_clIS8_S8_S9_S9_EESK_S10_SL_SM_SN_EUlS10_E_NS1_11comp_targetILNS1_3genE3ELNS1_11target_archE908ELNS1_3gpuE7ELNS1_3repE0EEENS1_48merge_mergepath_partition_config_static_selectorELNS0_4arch9wavefront6targetE1EEEvSM_.private_seg_size, 0
	.set _ZN7rocprim17ROCPRIM_400000_NS6detail17trampoline_kernelINS0_14default_configENS1_38merge_sort_block_merge_config_selectorIlNS0_10empty_typeEEEZZNS1_27merge_sort_block_merge_implIS3_PlPS5_mZN2at6native12_GLOBAL__N_124unique_dim_cuda_templateImEESt5tupleIJNSA_6TensorESF_SF_EERKSF_lbbbEUlllE_EE10hipError_tT0_T1_T2_jT3_P12ihipStream_tbPNSt15iterator_traitsISL_E10value_typeEPNSR_ISM_E10value_typeEPSN_NS1_7vsmem_tEENKUlT_SL_SM_SN_E_clIS8_S8_S9_S9_EESK_S10_SL_SM_SN_EUlS10_E_NS1_11comp_targetILNS1_3genE3ELNS1_11target_archE908ELNS1_3gpuE7ELNS1_3repE0EEENS1_48merge_mergepath_partition_config_static_selectorELNS0_4arch9wavefront6targetE1EEEvSM_.uses_vcc, 0
	.set _ZN7rocprim17ROCPRIM_400000_NS6detail17trampoline_kernelINS0_14default_configENS1_38merge_sort_block_merge_config_selectorIlNS0_10empty_typeEEEZZNS1_27merge_sort_block_merge_implIS3_PlPS5_mZN2at6native12_GLOBAL__N_124unique_dim_cuda_templateImEESt5tupleIJNSA_6TensorESF_SF_EERKSF_lbbbEUlllE_EE10hipError_tT0_T1_T2_jT3_P12ihipStream_tbPNSt15iterator_traitsISL_E10value_typeEPNSR_ISM_E10value_typeEPSN_NS1_7vsmem_tEENKUlT_SL_SM_SN_E_clIS8_S8_S9_S9_EESK_S10_SL_SM_SN_EUlS10_E_NS1_11comp_targetILNS1_3genE3ELNS1_11target_archE908ELNS1_3gpuE7ELNS1_3repE0EEENS1_48merge_mergepath_partition_config_static_selectorELNS0_4arch9wavefront6targetE1EEEvSM_.uses_flat_scratch, 0
	.set _ZN7rocprim17ROCPRIM_400000_NS6detail17trampoline_kernelINS0_14default_configENS1_38merge_sort_block_merge_config_selectorIlNS0_10empty_typeEEEZZNS1_27merge_sort_block_merge_implIS3_PlPS5_mZN2at6native12_GLOBAL__N_124unique_dim_cuda_templateImEESt5tupleIJNSA_6TensorESF_SF_EERKSF_lbbbEUlllE_EE10hipError_tT0_T1_T2_jT3_P12ihipStream_tbPNSt15iterator_traitsISL_E10value_typeEPNSR_ISM_E10value_typeEPSN_NS1_7vsmem_tEENKUlT_SL_SM_SN_E_clIS8_S8_S9_S9_EESK_S10_SL_SM_SN_EUlS10_E_NS1_11comp_targetILNS1_3genE3ELNS1_11target_archE908ELNS1_3gpuE7ELNS1_3repE0EEENS1_48merge_mergepath_partition_config_static_selectorELNS0_4arch9wavefront6targetE1EEEvSM_.has_dyn_sized_stack, 0
	.set _ZN7rocprim17ROCPRIM_400000_NS6detail17trampoline_kernelINS0_14default_configENS1_38merge_sort_block_merge_config_selectorIlNS0_10empty_typeEEEZZNS1_27merge_sort_block_merge_implIS3_PlPS5_mZN2at6native12_GLOBAL__N_124unique_dim_cuda_templateImEESt5tupleIJNSA_6TensorESF_SF_EERKSF_lbbbEUlllE_EE10hipError_tT0_T1_T2_jT3_P12ihipStream_tbPNSt15iterator_traitsISL_E10value_typeEPNSR_ISM_E10value_typeEPSN_NS1_7vsmem_tEENKUlT_SL_SM_SN_E_clIS8_S8_S9_S9_EESK_S10_SL_SM_SN_EUlS10_E_NS1_11comp_targetILNS1_3genE3ELNS1_11target_archE908ELNS1_3gpuE7ELNS1_3repE0EEENS1_48merge_mergepath_partition_config_static_selectorELNS0_4arch9wavefront6targetE1EEEvSM_.has_recursion, 0
	.set _ZN7rocprim17ROCPRIM_400000_NS6detail17trampoline_kernelINS0_14default_configENS1_38merge_sort_block_merge_config_selectorIlNS0_10empty_typeEEEZZNS1_27merge_sort_block_merge_implIS3_PlPS5_mZN2at6native12_GLOBAL__N_124unique_dim_cuda_templateImEESt5tupleIJNSA_6TensorESF_SF_EERKSF_lbbbEUlllE_EE10hipError_tT0_T1_T2_jT3_P12ihipStream_tbPNSt15iterator_traitsISL_E10value_typeEPNSR_ISM_E10value_typeEPSN_NS1_7vsmem_tEENKUlT_SL_SM_SN_E_clIS8_S8_S9_S9_EESK_S10_SL_SM_SN_EUlS10_E_NS1_11comp_targetILNS1_3genE3ELNS1_11target_archE908ELNS1_3gpuE7ELNS1_3repE0EEENS1_48merge_mergepath_partition_config_static_selectorELNS0_4arch9wavefront6targetE1EEEvSM_.has_indirect_call, 0
	.section	.AMDGPU.csdata,"",@progbits
; Kernel info:
; codeLenInByte = 0
; TotalNumSgprs: 6
; NumVgprs: 0
; NumAgprs: 0
; TotalNumVgprs: 0
; ScratchSize: 0
; MemoryBound: 0
; FloatMode: 240
; IeeeMode: 1
; LDSByteSize: 0 bytes/workgroup (compile time only)
; SGPRBlocks: 0
; VGPRBlocks: 0
; NumSGPRsForWavesPerEU: 6
; NumVGPRsForWavesPerEU: 1
; AccumOffset: 4
; Occupancy: 8
; WaveLimiterHint : 0
; COMPUTE_PGM_RSRC2:SCRATCH_EN: 0
; COMPUTE_PGM_RSRC2:USER_SGPR: 2
; COMPUTE_PGM_RSRC2:TRAP_HANDLER: 0
; COMPUTE_PGM_RSRC2:TGID_X_EN: 1
; COMPUTE_PGM_RSRC2:TGID_Y_EN: 0
; COMPUTE_PGM_RSRC2:TGID_Z_EN: 0
; COMPUTE_PGM_RSRC2:TIDIG_COMP_CNT: 0
; COMPUTE_PGM_RSRC3_GFX90A:ACCUM_OFFSET: 0
; COMPUTE_PGM_RSRC3_GFX90A:TG_SPLIT: 0
	.section	.text._ZN7rocprim17ROCPRIM_400000_NS6detail17trampoline_kernelINS0_14default_configENS1_38merge_sort_block_merge_config_selectorIlNS0_10empty_typeEEEZZNS1_27merge_sort_block_merge_implIS3_PlPS5_mZN2at6native12_GLOBAL__N_124unique_dim_cuda_templateImEESt5tupleIJNSA_6TensorESF_SF_EERKSF_lbbbEUlllE_EE10hipError_tT0_T1_T2_jT3_P12ihipStream_tbPNSt15iterator_traitsISL_E10value_typeEPNSR_ISM_E10value_typeEPSN_NS1_7vsmem_tEENKUlT_SL_SM_SN_E_clIS8_S8_S9_S9_EESK_S10_SL_SM_SN_EUlS10_E_NS1_11comp_targetILNS1_3genE2ELNS1_11target_archE906ELNS1_3gpuE6ELNS1_3repE0EEENS1_48merge_mergepath_partition_config_static_selectorELNS0_4arch9wavefront6targetE1EEEvSM_,"axG",@progbits,_ZN7rocprim17ROCPRIM_400000_NS6detail17trampoline_kernelINS0_14default_configENS1_38merge_sort_block_merge_config_selectorIlNS0_10empty_typeEEEZZNS1_27merge_sort_block_merge_implIS3_PlPS5_mZN2at6native12_GLOBAL__N_124unique_dim_cuda_templateImEESt5tupleIJNSA_6TensorESF_SF_EERKSF_lbbbEUlllE_EE10hipError_tT0_T1_T2_jT3_P12ihipStream_tbPNSt15iterator_traitsISL_E10value_typeEPNSR_ISM_E10value_typeEPSN_NS1_7vsmem_tEENKUlT_SL_SM_SN_E_clIS8_S8_S9_S9_EESK_S10_SL_SM_SN_EUlS10_E_NS1_11comp_targetILNS1_3genE2ELNS1_11target_archE906ELNS1_3gpuE6ELNS1_3repE0EEENS1_48merge_mergepath_partition_config_static_selectorELNS0_4arch9wavefront6targetE1EEEvSM_,comdat
	.globl	_ZN7rocprim17ROCPRIM_400000_NS6detail17trampoline_kernelINS0_14default_configENS1_38merge_sort_block_merge_config_selectorIlNS0_10empty_typeEEEZZNS1_27merge_sort_block_merge_implIS3_PlPS5_mZN2at6native12_GLOBAL__N_124unique_dim_cuda_templateImEESt5tupleIJNSA_6TensorESF_SF_EERKSF_lbbbEUlllE_EE10hipError_tT0_T1_T2_jT3_P12ihipStream_tbPNSt15iterator_traitsISL_E10value_typeEPNSR_ISM_E10value_typeEPSN_NS1_7vsmem_tEENKUlT_SL_SM_SN_E_clIS8_S8_S9_S9_EESK_S10_SL_SM_SN_EUlS10_E_NS1_11comp_targetILNS1_3genE2ELNS1_11target_archE906ELNS1_3gpuE6ELNS1_3repE0EEENS1_48merge_mergepath_partition_config_static_selectorELNS0_4arch9wavefront6targetE1EEEvSM_ ; -- Begin function _ZN7rocprim17ROCPRIM_400000_NS6detail17trampoline_kernelINS0_14default_configENS1_38merge_sort_block_merge_config_selectorIlNS0_10empty_typeEEEZZNS1_27merge_sort_block_merge_implIS3_PlPS5_mZN2at6native12_GLOBAL__N_124unique_dim_cuda_templateImEESt5tupleIJNSA_6TensorESF_SF_EERKSF_lbbbEUlllE_EE10hipError_tT0_T1_T2_jT3_P12ihipStream_tbPNSt15iterator_traitsISL_E10value_typeEPNSR_ISM_E10value_typeEPSN_NS1_7vsmem_tEENKUlT_SL_SM_SN_E_clIS8_S8_S9_S9_EESK_S10_SL_SM_SN_EUlS10_E_NS1_11comp_targetILNS1_3genE2ELNS1_11target_archE906ELNS1_3gpuE6ELNS1_3repE0EEENS1_48merge_mergepath_partition_config_static_selectorELNS0_4arch9wavefront6targetE1EEEvSM_
	.p2align	8
	.type	_ZN7rocprim17ROCPRIM_400000_NS6detail17trampoline_kernelINS0_14default_configENS1_38merge_sort_block_merge_config_selectorIlNS0_10empty_typeEEEZZNS1_27merge_sort_block_merge_implIS3_PlPS5_mZN2at6native12_GLOBAL__N_124unique_dim_cuda_templateImEESt5tupleIJNSA_6TensorESF_SF_EERKSF_lbbbEUlllE_EE10hipError_tT0_T1_T2_jT3_P12ihipStream_tbPNSt15iterator_traitsISL_E10value_typeEPNSR_ISM_E10value_typeEPSN_NS1_7vsmem_tEENKUlT_SL_SM_SN_E_clIS8_S8_S9_S9_EESK_S10_SL_SM_SN_EUlS10_E_NS1_11comp_targetILNS1_3genE2ELNS1_11target_archE906ELNS1_3gpuE6ELNS1_3repE0EEENS1_48merge_mergepath_partition_config_static_selectorELNS0_4arch9wavefront6targetE1EEEvSM_,@function
_ZN7rocprim17ROCPRIM_400000_NS6detail17trampoline_kernelINS0_14default_configENS1_38merge_sort_block_merge_config_selectorIlNS0_10empty_typeEEEZZNS1_27merge_sort_block_merge_implIS3_PlPS5_mZN2at6native12_GLOBAL__N_124unique_dim_cuda_templateImEESt5tupleIJNSA_6TensorESF_SF_EERKSF_lbbbEUlllE_EE10hipError_tT0_T1_T2_jT3_P12ihipStream_tbPNSt15iterator_traitsISL_E10value_typeEPNSR_ISM_E10value_typeEPSN_NS1_7vsmem_tEENKUlT_SL_SM_SN_E_clIS8_S8_S9_S9_EESK_S10_SL_SM_SN_EUlS10_E_NS1_11comp_targetILNS1_3genE2ELNS1_11target_archE906ELNS1_3gpuE6ELNS1_3repE0EEENS1_48merge_mergepath_partition_config_static_selectorELNS0_4arch9wavefront6targetE1EEEvSM_: ; @_ZN7rocprim17ROCPRIM_400000_NS6detail17trampoline_kernelINS0_14default_configENS1_38merge_sort_block_merge_config_selectorIlNS0_10empty_typeEEEZZNS1_27merge_sort_block_merge_implIS3_PlPS5_mZN2at6native12_GLOBAL__N_124unique_dim_cuda_templateImEESt5tupleIJNSA_6TensorESF_SF_EERKSF_lbbbEUlllE_EE10hipError_tT0_T1_T2_jT3_P12ihipStream_tbPNSt15iterator_traitsISL_E10value_typeEPNSR_ISM_E10value_typeEPSN_NS1_7vsmem_tEENKUlT_SL_SM_SN_E_clIS8_S8_S9_S9_EESK_S10_SL_SM_SN_EUlS10_E_NS1_11comp_targetILNS1_3genE2ELNS1_11target_archE906ELNS1_3gpuE6ELNS1_3repE0EEENS1_48merge_mergepath_partition_config_static_selectorELNS0_4arch9wavefront6targetE1EEEvSM_
; %bb.0:
	.section	.rodata,"a",@progbits
	.p2align	6, 0x0
	.amdhsa_kernel _ZN7rocprim17ROCPRIM_400000_NS6detail17trampoline_kernelINS0_14default_configENS1_38merge_sort_block_merge_config_selectorIlNS0_10empty_typeEEEZZNS1_27merge_sort_block_merge_implIS3_PlPS5_mZN2at6native12_GLOBAL__N_124unique_dim_cuda_templateImEESt5tupleIJNSA_6TensorESF_SF_EERKSF_lbbbEUlllE_EE10hipError_tT0_T1_T2_jT3_P12ihipStream_tbPNSt15iterator_traitsISL_E10value_typeEPNSR_ISM_E10value_typeEPSN_NS1_7vsmem_tEENKUlT_SL_SM_SN_E_clIS8_S8_S9_S9_EESK_S10_SL_SM_SN_EUlS10_E_NS1_11comp_targetILNS1_3genE2ELNS1_11target_archE906ELNS1_3gpuE6ELNS1_3repE0EEENS1_48merge_mergepath_partition_config_static_selectorELNS0_4arch9wavefront6targetE1EEEvSM_
		.amdhsa_group_segment_fixed_size 0
		.amdhsa_private_segment_fixed_size 0
		.amdhsa_kernarg_size 56
		.amdhsa_user_sgpr_count 2
		.amdhsa_user_sgpr_dispatch_ptr 0
		.amdhsa_user_sgpr_queue_ptr 0
		.amdhsa_user_sgpr_kernarg_segment_ptr 1
		.amdhsa_user_sgpr_dispatch_id 0
		.amdhsa_user_sgpr_kernarg_preload_length 0
		.amdhsa_user_sgpr_kernarg_preload_offset 0
		.amdhsa_user_sgpr_private_segment_size 0
		.amdhsa_uses_dynamic_stack 0
		.amdhsa_enable_private_segment 0
		.amdhsa_system_sgpr_workgroup_id_x 1
		.amdhsa_system_sgpr_workgroup_id_y 0
		.amdhsa_system_sgpr_workgroup_id_z 0
		.amdhsa_system_sgpr_workgroup_info 0
		.amdhsa_system_vgpr_workitem_id 0
		.amdhsa_next_free_vgpr 1
		.amdhsa_next_free_sgpr 0
		.amdhsa_accum_offset 4
		.amdhsa_reserve_vcc 0
		.amdhsa_float_round_mode_32 0
		.amdhsa_float_round_mode_16_64 0
		.amdhsa_float_denorm_mode_32 3
		.amdhsa_float_denorm_mode_16_64 3
		.amdhsa_dx10_clamp 1
		.amdhsa_ieee_mode 1
		.amdhsa_fp16_overflow 0
		.amdhsa_tg_split 0
		.amdhsa_exception_fp_ieee_invalid_op 0
		.amdhsa_exception_fp_denorm_src 0
		.amdhsa_exception_fp_ieee_div_zero 0
		.amdhsa_exception_fp_ieee_overflow 0
		.amdhsa_exception_fp_ieee_underflow 0
		.amdhsa_exception_fp_ieee_inexact 0
		.amdhsa_exception_int_div_zero 0
	.end_amdhsa_kernel
	.section	.text._ZN7rocprim17ROCPRIM_400000_NS6detail17trampoline_kernelINS0_14default_configENS1_38merge_sort_block_merge_config_selectorIlNS0_10empty_typeEEEZZNS1_27merge_sort_block_merge_implIS3_PlPS5_mZN2at6native12_GLOBAL__N_124unique_dim_cuda_templateImEESt5tupleIJNSA_6TensorESF_SF_EERKSF_lbbbEUlllE_EE10hipError_tT0_T1_T2_jT3_P12ihipStream_tbPNSt15iterator_traitsISL_E10value_typeEPNSR_ISM_E10value_typeEPSN_NS1_7vsmem_tEENKUlT_SL_SM_SN_E_clIS8_S8_S9_S9_EESK_S10_SL_SM_SN_EUlS10_E_NS1_11comp_targetILNS1_3genE2ELNS1_11target_archE906ELNS1_3gpuE6ELNS1_3repE0EEENS1_48merge_mergepath_partition_config_static_selectorELNS0_4arch9wavefront6targetE1EEEvSM_,"axG",@progbits,_ZN7rocprim17ROCPRIM_400000_NS6detail17trampoline_kernelINS0_14default_configENS1_38merge_sort_block_merge_config_selectorIlNS0_10empty_typeEEEZZNS1_27merge_sort_block_merge_implIS3_PlPS5_mZN2at6native12_GLOBAL__N_124unique_dim_cuda_templateImEESt5tupleIJNSA_6TensorESF_SF_EERKSF_lbbbEUlllE_EE10hipError_tT0_T1_T2_jT3_P12ihipStream_tbPNSt15iterator_traitsISL_E10value_typeEPNSR_ISM_E10value_typeEPSN_NS1_7vsmem_tEENKUlT_SL_SM_SN_E_clIS8_S8_S9_S9_EESK_S10_SL_SM_SN_EUlS10_E_NS1_11comp_targetILNS1_3genE2ELNS1_11target_archE906ELNS1_3gpuE6ELNS1_3repE0EEENS1_48merge_mergepath_partition_config_static_selectorELNS0_4arch9wavefront6targetE1EEEvSM_,comdat
.Lfunc_end1619:
	.size	_ZN7rocprim17ROCPRIM_400000_NS6detail17trampoline_kernelINS0_14default_configENS1_38merge_sort_block_merge_config_selectorIlNS0_10empty_typeEEEZZNS1_27merge_sort_block_merge_implIS3_PlPS5_mZN2at6native12_GLOBAL__N_124unique_dim_cuda_templateImEESt5tupleIJNSA_6TensorESF_SF_EERKSF_lbbbEUlllE_EE10hipError_tT0_T1_T2_jT3_P12ihipStream_tbPNSt15iterator_traitsISL_E10value_typeEPNSR_ISM_E10value_typeEPSN_NS1_7vsmem_tEENKUlT_SL_SM_SN_E_clIS8_S8_S9_S9_EESK_S10_SL_SM_SN_EUlS10_E_NS1_11comp_targetILNS1_3genE2ELNS1_11target_archE906ELNS1_3gpuE6ELNS1_3repE0EEENS1_48merge_mergepath_partition_config_static_selectorELNS0_4arch9wavefront6targetE1EEEvSM_, .Lfunc_end1619-_ZN7rocprim17ROCPRIM_400000_NS6detail17trampoline_kernelINS0_14default_configENS1_38merge_sort_block_merge_config_selectorIlNS0_10empty_typeEEEZZNS1_27merge_sort_block_merge_implIS3_PlPS5_mZN2at6native12_GLOBAL__N_124unique_dim_cuda_templateImEESt5tupleIJNSA_6TensorESF_SF_EERKSF_lbbbEUlllE_EE10hipError_tT0_T1_T2_jT3_P12ihipStream_tbPNSt15iterator_traitsISL_E10value_typeEPNSR_ISM_E10value_typeEPSN_NS1_7vsmem_tEENKUlT_SL_SM_SN_E_clIS8_S8_S9_S9_EESK_S10_SL_SM_SN_EUlS10_E_NS1_11comp_targetILNS1_3genE2ELNS1_11target_archE906ELNS1_3gpuE6ELNS1_3repE0EEENS1_48merge_mergepath_partition_config_static_selectorELNS0_4arch9wavefront6targetE1EEEvSM_
                                        ; -- End function
	.set _ZN7rocprim17ROCPRIM_400000_NS6detail17trampoline_kernelINS0_14default_configENS1_38merge_sort_block_merge_config_selectorIlNS0_10empty_typeEEEZZNS1_27merge_sort_block_merge_implIS3_PlPS5_mZN2at6native12_GLOBAL__N_124unique_dim_cuda_templateImEESt5tupleIJNSA_6TensorESF_SF_EERKSF_lbbbEUlllE_EE10hipError_tT0_T1_T2_jT3_P12ihipStream_tbPNSt15iterator_traitsISL_E10value_typeEPNSR_ISM_E10value_typeEPSN_NS1_7vsmem_tEENKUlT_SL_SM_SN_E_clIS8_S8_S9_S9_EESK_S10_SL_SM_SN_EUlS10_E_NS1_11comp_targetILNS1_3genE2ELNS1_11target_archE906ELNS1_3gpuE6ELNS1_3repE0EEENS1_48merge_mergepath_partition_config_static_selectorELNS0_4arch9wavefront6targetE1EEEvSM_.num_vgpr, 0
	.set _ZN7rocprim17ROCPRIM_400000_NS6detail17trampoline_kernelINS0_14default_configENS1_38merge_sort_block_merge_config_selectorIlNS0_10empty_typeEEEZZNS1_27merge_sort_block_merge_implIS3_PlPS5_mZN2at6native12_GLOBAL__N_124unique_dim_cuda_templateImEESt5tupleIJNSA_6TensorESF_SF_EERKSF_lbbbEUlllE_EE10hipError_tT0_T1_T2_jT3_P12ihipStream_tbPNSt15iterator_traitsISL_E10value_typeEPNSR_ISM_E10value_typeEPSN_NS1_7vsmem_tEENKUlT_SL_SM_SN_E_clIS8_S8_S9_S9_EESK_S10_SL_SM_SN_EUlS10_E_NS1_11comp_targetILNS1_3genE2ELNS1_11target_archE906ELNS1_3gpuE6ELNS1_3repE0EEENS1_48merge_mergepath_partition_config_static_selectorELNS0_4arch9wavefront6targetE1EEEvSM_.num_agpr, 0
	.set _ZN7rocprim17ROCPRIM_400000_NS6detail17trampoline_kernelINS0_14default_configENS1_38merge_sort_block_merge_config_selectorIlNS0_10empty_typeEEEZZNS1_27merge_sort_block_merge_implIS3_PlPS5_mZN2at6native12_GLOBAL__N_124unique_dim_cuda_templateImEESt5tupleIJNSA_6TensorESF_SF_EERKSF_lbbbEUlllE_EE10hipError_tT0_T1_T2_jT3_P12ihipStream_tbPNSt15iterator_traitsISL_E10value_typeEPNSR_ISM_E10value_typeEPSN_NS1_7vsmem_tEENKUlT_SL_SM_SN_E_clIS8_S8_S9_S9_EESK_S10_SL_SM_SN_EUlS10_E_NS1_11comp_targetILNS1_3genE2ELNS1_11target_archE906ELNS1_3gpuE6ELNS1_3repE0EEENS1_48merge_mergepath_partition_config_static_selectorELNS0_4arch9wavefront6targetE1EEEvSM_.numbered_sgpr, 0
	.set _ZN7rocprim17ROCPRIM_400000_NS6detail17trampoline_kernelINS0_14default_configENS1_38merge_sort_block_merge_config_selectorIlNS0_10empty_typeEEEZZNS1_27merge_sort_block_merge_implIS3_PlPS5_mZN2at6native12_GLOBAL__N_124unique_dim_cuda_templateImEESt5tupleIJNSA_6TensorESF_SF_EERKSF_lbbbEUlllE_EE10hipError_tT0_T1_T2_jT3_P12ihipStream_tbPNSt15iterator_traitsISL_E10value_typeEPNSR_ISM_E10value_typeEPSN_NS1_7vsmem_tEENKUlT_SL_SM_SN_E_clIS8_S8_S9_S9_EESK_S10_SL_SM_SN_EUlS10_E_NS1_11comp_targetILNS1_3genE2ELNS1_11target_archE906ELNS1_3gpuE6ELNS1_3repE0EEENS1_48merge_mergepath_partition_config_static_selectorELNS0_4arch9wavefront6targetE1EEEvSM_.num_named_barrier, 0
	.set _ZN7rocprim17ROCPRIM_400000_NS6detail17trampoline_kernelINS0_14default_configENS1_38merge_sort_block_merge_config_selectorIlNS0_10empty_typeEEEZZNS1_27merge_sort_block_merge_implIS3_PlPS5_mZN2at6native12_GLOBAL__N_124unique_dim_cuda_templateImEESt5tupleIJNSA_6TensorESF_SF_EERKSF_lbbbEUlllE_EE10hipError_tT0_T1_T2_jT3_P12ihipStream_tbPNSt15iterator_traitsISL_E10value_typeEPNSR_ISM_E10value_typeEPSN_NS1_7vsmem_tEENKUlT_SL_SM_SN_E_clIS8_S8_S9_S9_EESK_S10_SL_SM_SN_EUlS10_E_NS1_11comp_targetILNS1_3genE2ELNS1_11target_archE906ELNS1_3gpuE6ELNS1_3repE0EEENS1_48merge_mergepath_partition_config_static_selectorELNS0_4arch9wavefront6targetE1EEEvSM_.private_seg_size, 0
	.set _ZN7rocprim17ROCPRIM_400000_NS6detail17trampoline_kernelINS0_14default_configENS1_38merge_sort_block_merge_config_selectorIlNS0_10empty_typeEEEZZNS1_27merge_sort_block_merge_implIS3_PlPS5_mZN2at6native12_GLOBAL__N_124unique_dim_cuda_templateImEESt5tupleIJNSA_6TensorESF_SF_EERKSF_lbbbEUlllE_EE10hipError_tT0_T1_T2_jT3_P12ihipStream_tbPNSt15iterator_traitsISL_E10value_typeEPNSR_ISM_E10value_typeEPSN_NS1_7vsmem_tEENKUlT_SL_SM_SN_E_clIS8_S8_S9_S9_EESK_S10_SL_SM_SN_EUlS10_E_NS1_11comp_targetILNS1_3genE2ELNS1_11target_archE906ELNS1_3gpuE6ELNS1_3repE0EEENS1_48merge_mergepath_partition_config_static_selectorELNS0_4arch9wavefront6targetE1EEEvSM_.uses_vcc, 0
	.set _ZN7rocprim17ROCPRIM_400000_NS6detail17trampoline_kernelINS0_14default_configENS1_38merge_sort_block_merge_config_selectorIlNS0_10empty_typeEEEZZNS1_27merge_sort_block_merge_implIS3_PlPS5_mZN2at6native12_GLOBAL__N_124unique_dim_cuda_templateImEESt5tupleIJNSA_6TensorESF_SF_EERKSF_lbbbEUlllE_EE10hipError_tT0_T1_T2_jT3_P12ihipStream_tbPNSt15iterator_traitsISL_E10value_typeEPNSR_ISM_E10value_typeEPSN_NS1_7vsmem_tEENKUlT_SL_SM_SN_E_clIS8_S8_S9_S9_EESK_S10_SL_SM_SN_EUlS10_E_NS1_11comp_targetILNS1_3genE2ELNS1_11target_archE906ELNS1_3gpuE6ELNS1_3repE0EEENS1_48merge_mergepath_partition_config_static_selectorELNS0_4arch9wavefront6targetE1EEEvSM_.uses_flat_scratch, 0
	.set _ZN7rocprim17ROCPRIM_400000_NS6detail17trampoline_kernelINS0_14default_configENS1_38merge_sort_block_merge_config_selectorIlNS0_10empty_typeEEEZZNS1_27merge_sort_block_merge_implIS3_PlPS5_mZN2at6native12_GLOBAL__N_124unique_dim_cuda_templateImEESt5tupleIJNSA_6TensorESF_SF_EERKSF_lbbbEUlllE_EE10hipError_tT0_T1_T2_jT3_P12ihipStream_tbPNSt15iterator_traitsISL_E10value_typeEPNSR_ISM_E10value_typeEPSN_NS1_7vsmem_tEENKUlT_SL_SM_SN_E_clIS8_S8_S9_S9_EESK_S10_SL_SM_SN_EUlS10_E_NS1_11comp_targetILNS1_3genE2ELNS1_11target_archE906ELNS1_3gpuE6ELNS1_3repE0EEENS1_48merge_mergepath_partition_config_static_selectorELNS0_4arch9wavefront6targetE1EEEvSM_.has_dyn_sized_stack, 0
	.set _ZN7rocprim17ROCPRIM_400000_NS6detail17trampoline_kernelINS0_14default_configENS1_38merge_sort_block_merge_config_selectorIlNS0_10empty_typeEEEZZNS1_27merge_sort_block_merge_implIS3_PlPS5_mZN2at6native12_GLOBAL__N_124unique_dim_cuda_templateImEESt5tupleIJNSA_6TensorESF_SF_EERKSF_lbbbEUlllE_EE10hipError_tT0_T1_T2_jT3_P12ihipStream_tbPNSt15iterator_traitsISL_E10value_typeEPNSR_ISM_E10value_typeEPSN_NS1_7vsmem_tEENKUlT_SL_SM_SN_E_clIS8_S8_S9_S9_EESK_S10_SL_SM_SN_EUlS10_E_NS1_11comp_targetILNS1_3genE2ELNS1_11target_archE906ELNS1_3gpuE6ELNS1_3repE0EEENS1_48merge_mergepath_partition_config_static_selectorELNS0_4arch9wavefront6targetE1EEEvSM_.has_recursion, 0
	.set _ZN7rocprim17ROCPRIM_400000_NS6detail17trampoline_kernelINS0_14default_configENS1_38merge_sort_block_merge_config_selectorIlNS0_10empty_typeEEEZZNS1_27merge_sort_block_merge_implIS3_PlPS5_mZN2at6native12_GLOBAL__N_124unique_dim_cuda_templateImEESt5tupleIJNSA_6TensorESF_SF_EERKSF_lbbbEUlllE_EE10hipError_tT0_T1_T2_jT3_P12ihipStream_tbPNSt15iterator_traitsISL_E10value_typeEPNSR_ISM_E10value_typeEPSN_NS1_7vsmem_tEENKUlT_SL_SM_SN_E_clIS8_S8_S9_S9_EESK_S10_SL_SM_SN_EUlS10_E_NS1_11comp_targetILNS1_3genE2ELNS1_11target_archE906ELNS1_3gpuE6ELNS1_3repE0EEENS1_48merge_mergepath_partition_config_static_selectorELNS0_4arch9wavefront6targetE1EEEvSM_.has_indirect_call, 0
	.section	.AMDGPU.csdata,"",@progbits
; Kernel info:
; codeLenInByte = 0
; TotalNumSgprs: 6
; NumVgprs: 0
; NumAgprs: 0
; TotalNumVgprs: 0
; ScratchSize: 0
; MemoryBound: 0
; FloatMode: 240
; IeeeMode: 1
; LDSByteSize: 0 bytes/workgroup (compile time only)
; SGPRBlocks: 0
; VGPRBlocks: 0
; NumSGPRsForWavesPerEU: 6
; NumVGPRsForWavesPerEU: 1
; AccumOffset: 4
; Occupancy: 8
; WaveLimiterHint : 0
; COMPUTE_PGM_RSRC2:SCRATCH_EN: 0
; COMPUTE_PGM_RSRC2:USER_SGPR: 2
; COMPUTE_PGM_RSRC2:TRAP_HANDLER: 0
; COMPUTE_PGM_RSRC2:TGID_X_EN: 1
; COMPUTE_PGM_RSRC2:TGID_Y_EN: 0
; COMPUTE_PGM_RSRC2:TGID_Z_EN: 0
; COMPUTE_PGM_RSRC2:TIDIG_COMP_CNT: 0
; COMPUTE_PGM_RSRC3_GFX90A:ACCUM_OFFSET: 0
; COMPUTE_PGM_RSRC3_GFX90A:TG_SPLIT: 0
	.section	.text._ZN7rocprim17ROCPRIM_400000_NS6detail17trampoline_kernelINS0_14default_configENS1_38merge_sort_block_merge_config_selectorIlNS0_10empty_typeEEEZZNS1_27merge_sort_block_merge_implIS3_PlPS5_mZN2at6native12_GLOBAL__N_124unique_dim_cuda_templateImEESt5tupleIJNSA_6TensorESF_SF_EERKSF_lbbbEUlllE_EE10hipError_tT0_T1_T2_jT3_P12ihipStream_tbPNSt15iterator_traitsISL_E10value_typeEPNSR_ISM_E10value_typeEPSN_NS1_7vsmem_tEENKUlT_SL_SM_SN_E_clIS8_S8_S9_S9_EESK_S10_SL_SM_SN_EUlS10_E_NS1_11comp_targetILNS1_3genE9ELNS1_11target_archE1100ELNS1_3gpuE3ELNS1_3repE0EEENS1_48merge_mergepath_partition_config_static_selectorELNS0_4arch9wavefront6targetE1EEEvSM_,"axG",@progbits,_ZN7rocprim17ROCPRIM_400000_NS6detail17trampoline_kernelINS0_14default_configENS1_38merge_sort_block_merge_config_selectorIlNS0_10empty_typeEEEZZNS1_27merge_sort_block_merge_implIS3_PlPS5_mZN2at6native12_GLOBAL__N_124unique_dim_cuda_templateImEESt5tupleIJNSA_6TensorESF_SF_EERKSF_lbbbEUlllE_EE10hipError_tT0_T1_T2_jT3_P12ihipStream_tbPNSt15iterator_traitsISL_E10value_typeEPNSR_ISM_E10value_typeEPSN_NS1_7vsmem_tEENKUlT_SL_SM_SN_E_clIS8_S8_S9_S9_EESK_S10_SL_SM_SN_EUlS10_E_NS1_11comp_targetILNS1_3genE9ELNS1_11target_archE1100ELNS1_3gpuE3ELNS1_3repE0EEENS1_48merge_mergepath_partition_config_static_selectorELNS0_4arch9wavefront6targetE1EEEvSM_,comdat
	.globl	_ZN7rocprim17ROCPRIM_400000_NS6detail17trampoline_kernelINS0_14default_configENS1_38merge_sort_block_merge_config_selectorIlNS0_10empty_typeEEEZZNS1_27merge_sort_block_merge_implIS3_PlPS5_mZN2at6native12_GLOBAL__N_124unique_dim_cuda_templateImEESt5tupleIJNSA_6TensorESF_SF_EERKSF_lbbbEUlllE_EE10hipError_tT0_T1_T2_jT3_P12ihipStream_tbPNSt15iterator_traitsISL_E10value_typeEPNSR_ISM_E10value_typeEPSN_NS1_7vsmem_tEENKUlT_SL_SM_SN_E_clIS8_S8_S9_S9_EESK_S10_SL_SM_SN_EUlS10_E_NS1_11comp_targetILNS1_3genE9ELNS1_11target_archE1100ELNS1_3gpuE3ELNS1_3repE0EEENS1_48merge_mergepath_partition_config_static_selectorELNS0_4arch9wavefront6targetE1EEEvSM_ ; -- Begin function _ZN7rocprim17ROCPRIM_400000_NS6detail17trampoline_kernelINS0_14default_configENS1_38merge_sort_block_merge_config_selectorIlNS0_10empty_typeEEEZZNS1_27merge_sort_block_merge_implIS3_PlPS5_mZN2at6native12_GLOBAL__N_124unique_dim_cuda_templateImEESt5tupleIJNSA_6TensorESF_SF_EERKSF_lbbbEUlllE_EE10hipError_tT0_T1_T2_jT3_P12ihipStream_tbPNSt15iterator_traitsISL_E10value_typeEPNSR_ISM_E10value_typeEPSN_NS1_7vsmem_tEENKUlT_SL_SM_SN_E_clIS8_S8_S9_S9_EESK_S10_SL_SM_SN_EUlS10_E_NS1_11comp_targetILNS1_3genE9ELNS1_11target_archE1100ELNS1_3gpuE3ELNS1_3repE0EEENS1_48merge_mergepath_partition_config_static_selectorELNS0_4arch9wavefront6targetE1EEEvSM_
	.p2align	8
	.type	_ZN7rocprim17ROCPRIM_400000_NS6detail17trampoline_kernelINS0_14default_configENS1_38merge_sort_block_merge_config_selectorIlNS0_10empty_typeEEEZZNS1_27merge_sort_block_merge_implIS3_PlPS5_mZN2at6native12_GLOBAL__N_124unique_dim_cuda_templateImEESt5tupleIJNSA_6TensorESF_SF_EERKSF_lbbbEUlllE_EE10hipError_tT0_T1_T2_jT3_P12ihipStream_tbPNSt15iterator_traitsISL_E10value_typeEPNSR_ISM_E10value_typeEPSN_NS1_7vsmem_tEENKUlT_SL_SM_SN_E_clIS8_S8_S9_S9_EESK_S10_SL_SM_SN_EUlS10_E_NS1_11comp_targetILNS1_3genE9ELNS1_11target_archE1100ELNS1_3gpuE3ELNS1_3repE0EEENS1_48merge_mergepath_partition_config_static_selectorELNS0_4arch9wavefront6targetE1EEEvSM_,@function
_ZN7rocprim17ROCPRIM_400000_NS6detail17trampoline_kernelINS0_14default_configENS1_38merge_sort_block_merge_config_selectorIlNS0_10empty_typeEEEZZNS1_27merge_sort_block_merge_implIS3_PlPS5_mZN2at6native12_GLOBAL__N_124unique_dim_cuda_templateImEESt5tupleIJNSA_6TensorESF_SF_EERKSF_lbbbEUlllE_EE10hipError_tT0_T1_T2_jT3_P12ihipStream_tbPNSt15iterator_traitsISL_E10value_typeEPNSR_ISM_E10value_typeEPSN_NS1_7vsmem_tEENKUlT_SL_SM_SN_E_clIS8_S8_S9_S9_EESK_S10_SL_SM_SN_EUlS10_E_NS1_11comp_targetILNS1_3genE9ELNS1_11target_archE1100ELNS1_3gpuE3ELNS1_3repE0EEENS1_48merge_mergepath_partition_config_static_selectorELNS0_4arch9wavefront6targetE1EEEvSM_: ; @_ZN7rocprim17ROCPRIM_400000_NS6detail17trampoline_kernelINS0_14default_configENS1_38merge_sort_block_merge_config_selectorIlNS0_10empty_typeEEEZZNS1_27merge_sort_block_merge_implIS3_PlPS5_mZN2at6native12_GLOBAL__N_124unique_dim_cuda_templateImEESt5tupleIJNSA_6TensorESF_SF_EERKSF_lbbbEUlllE_EE10hipError_tT0_T1_T2_jT3_P12ihipStream_tbPNSt15iterator_traitsISL_E10value_typeEPNSR_ISM_E10value_typeEPSN_NS1_7vsmem_tEENKUlT_SL_SM_SN_E_clIS8_S8_S9_S9_EESK_S10_SL_SM_SN_EUlS10_E_NS1_11comp_targetILNS1_3genE9ELNS1_11target_archE1100ELNS1_3gpuE3ELNS1_3repE0EEENS1_48merge_mergepath_partition_config_static_selectorELNS0_4arch9wavefront6targetE1EEEvSM_
; %bb.0:
	.section	.rodata,"a",@progbits
	.p2align	6, 0x0
	.amdhsa_kernel _ZN7rocprim17ROCPRIM_400000_NS6detail17trampoline_kernelINS0_14default_configENS1_38merge_sort_block_merge_config_selectorIlNS0_10empty_typeEEEZZNS1_27merge_sort_block_merge_implIS3_PlPS5_mZN2at6native12_GLOBAL__N_124unique_dim_cuda_templateImEESt5tupleIJNSA_6TensorESF_SF_EERKSF_lbbbEUlllE_EE10hipError_tT0_T1_T2_jT3_P12ihipStream_tbPNSt15iterator_traitsISL_E10value_typeEPNSR_ISM_E10value_typeEPSN_NS1_7vsmem_tEENKUlT_SL_SM_SN_E_clIS8_S8_S9_S9_EESK_S10_SL_SM_SN_EUlS10_E_NS1_11comp_targetILNS1_3genE9ELNS1_11target_archE1100ELNS1_3gpuE3ELNS1_3repE0EEENS1_48merge_mergepath_partition_config_static_selectorELNS0_4arch9wavefront6targetE1EEEvSM_
		.amdhsa_group_segment_fixed_size 0
		.amdhsa_private_segment_fixed_size 0
		.amdhsa_kernarg_size 56
		.amdhsa_user_sgpr_count 2
		.amdhsa_user_sgpr_dispatch_ptr 0
		.amdhsa_user_sgpr_queue_ptr 0
		.amdhsa_user_sgpr_kernarg_segment_ptr 1
		.amdhsa_user_sgpr_dispatch_id 0
		.amdhsa_user_sgpr_kernarg_preload_length 0
		.amdhsa_user_sgpr_kernarg_preload_offset 0
		.amdhsa_user_sgpr_private_segment_size 0
		.amdhsa_uses_dynamic_stack 0
		.amdhsa_enable_private_segment 0
		.amdhsa_system_sgpr_workgroup_id_x 1
		.amdhsa_system_sgpr_workgroup_id_y 0
		.amdhsa_system_sgpr_workgroup_id_z 0
		.amdhsa_system_sgpr_workgroup_info 0
		.amdhsa_system_vgpr_workitem_id 0
		.amdhsa_next_free_vgpr 1
		.amdhsa_next_free_sgpr 0
		.amdhsa_accum_offset 4
		.amdhsa_reserve_vcc 0
		.amdhsa_float_round_mode_32 0
		.amdhsa_float_round_mode_16_64 0
		.amdhsa_float_denorm_mode_32 3
		.amdhsa_float_denorm_mode_16_64 3
		.amdhsa_dx10_clamp 1
		.amdhsa_ieee_mode 1
		.amdhsa_fp16_overflow 0
		.amdhsa_tg_split 0
		.amdhsa_exception_fp_ieee_invalid_op 0
		.amdhsa_exception_fp_denorm_src 0
		.amdhsa_exception_fp_ieee_div_zero 0
		.amdhsa_exception_fp_ieee_overflow 0
		.amdhsa_exception_fp_ieee_underflow 0
		.amdhsa_exception_fp_ieee_inexact 0
		.amdhsa_exception_int_div_zero 0
	.end_amdhsa_kernel
	.section	.text._ZN7rocprim17ROCPRIM_400000_NS6detail17trampoline_kernelINS0_14default_configENS1_38merge_sort_block_merge_config_selectorIlNS0_10empty_typeEEEZZNS1_27merge_sort_block_merge_implIS3_PlPS5_mZN2at6native12_GLOBAL__N_124unique_dim_cuda_templateImEESt5tupleIJNSA_6TensorESF_SF_EERKSF_lbbbEUlllE_EE10hipError_tT0_T1_T2_jT3_P12ihipStream_tbPNSt15iterator_traitsISL_E10value_typeEPNSR_ISM_E10value_typeEPSN_NS1_7vsmem_tEENKUlT_SL_SM_SN_E_clIS8_S8_S9_S9_EESK_S10_SL_SM_SN_EUlS10_E_NS1_11comp_targetILNS1_3genE9ELNS1_11target_archE1100ELNS1_3gpuE3ELNS1_3repE0EEENS1_48merge_mergepath_partition_config_static_selectorELNS0_4arch9wavefront6targetE1EEEvSM_,"axG",@progbits,_ZN7rocprim17ROCPRIM_400000_NS6detail17trampoline_kernelINS0_14default_configENS1_38merge_sort_block_merge_config_selectorIlNS0_10empty_typeEEEZZNS1_27merge_sort_block_merge_implIS3_PlPS5_mZN2at6native12_GLOBAL__N_124unique_dim_cuda_templateImEESt5tupleIJNSA_6TensorESF_SF_EERKSF_lbbbEUlllE_EE10hipError_tT0_T1_T2_jT3_P12ihipStream_tbPNSt15iterator_traitsISL_E10value_typeEPNSR_ISM_E10value_typeEPSN_NS1_7vsmem_tEENKUlT_SL_SM_SN_E_clIS8_S8_S9_S9_EESK_S10_SL_SM_SN_EUlS10_E_NS1_11comp_targetILNS1_3genE9ELNS1_11target_archE1100ELNS1_3gpuE3ELNS1_3repE0EEENS1_48merge_mergepath_partition_config_static_selectorELNS0_4arch9wavefront6targetE1EEEvSM_,comdat
.Lfunc_end1620:
	.size	_ZN7rocprim17ROCPRIM_400000_NS6detail17trampoline_kernelINS0_14default_configENS1_38merge_sort_block_merge_config_selectorIlNS0_10empty_typeEEEZZNS1_27merge_sort_block_merge_implIS3_PlPS5_mZN2at6native12_GLOBAL__N_124unique_dim_cuda_templateImEESt5tupleIJNSA_6TensorESF_SF_EERKSF_lbbbEUlllE_EE10hipError_tT0_T1_T2_jT3_P12ihipStream_tbPNSt15iterator_traitsISL_E10value_typeEPNSR_ISM_E10value_typeEPSN_NS1_7vsmem_tEENKUlT_SL_SM_SN_E_clIS8_S8_S9_S9_EESK_S10_SL_SM_SN_EUlS10_E_NS1_11comp_targetILNS1_3genE9ELNS1_11target_archE1100ELNS1_3gpuE3ELNS1_3repE0EEENS1_48merge_mergepath_partition_config_static_selectorELNS0_4arch9wavefront6targetE1EEEvSM_, .Lfunc_end1620-_ZN7rocprim17ROCPRIM_400000_NS6detail17trampoline_kernelINS0_14default_configENS1_38merge_sort_block_merge_config_selectorIlNS0_10empty_typeEEEZZNS1_27merge_sort_block_merge_implIS3_PlPS5_mZN2at6native12_GLOBAL__N_124unique_dim_cuda_templateImEESt5tupleIJNSA_6TensorESF_SF_EERKSF_lbbbEUlllE_EE10hipError_tT0_T1_T2_jT3_P12ihipStream_tbPNSt15iterator_traitsISL_E10value_typeEPNSR_ISM_E10value_typeEPSN_NS1_7vsmem_tEENKUlT_SL_SM_SN_E_clIS8_S8_S9_S9_EESK_S10_SL_SM_SN_EUlS10_E_NS1_11comp_targetILNS1_3genE9ELNS1_11target_archE1100ELNS1_3gpuE3ELNS1_3repE0EEENS1_48merge_mergepath_partition_config_static_selectorELNS0_4arch9wavefront6targetE1EEEvSM_
                                        ; -- End function
	.set _ZN7rocprim17ROCPRIM_400000_NS6detail17trampoline_kernelINS0_14default_configENS1_38merge_sort_block_merge_config_selectorIlNS0_10empty_typeEEEZZNS1_27merge_sort_block_merge_implIS3_PlPS5_mZN2at6native12_GLOBAL__N_124unique_dim_cuda_templateImEESt5tupleIJNSA_6TensorESF_SF_EERKSF_lbbbEUlllE_EE10hipError_tT0_T1_T2_jT3_P12ihipStream_tbPNSt15iterator_traitsISL_E10value_typeEPNSR_ISM_E10value_typeEPSN_NS1_7vsmem_tEENKUlT_SL_SM_SN_E_clIS8_S8_S9_S9_EESK_S10_SL_SM_SN_EUlS10_E_NS1_11comp_targetILNS1_3genE9ELNS1_11target_archE1100ELNS1_3gpuE3ELNS1_3repE0EEENS1_48merge_mergepath_partition_config_static_selectorELNS0_4arch9wavefront6targetE1EEEvSM_.num_vgpr, 0
	.set _ZN7rocprim17ROCPRIM_400000_NS6detail17trampoline_kernelINS0_14default_configENS1_38merge_sort_block_merge_config_selectorIlNS0_10empty_typeEEEZZNS1_27merge_sort_block_merge_implIS3_PlPS5_mZN2at6native12_GLOBAL__N_124unique_dim_cuda_templateImEESt5tupleIJNSA_6TensorESF_SF_EERKSF_lbbbEUlllE_EE10hipError_tT0_T1_T2_jT3_P12ihipStream_tbPNSt15iterator_traitsISL_E10value_typeEPNSR_ISM_E10value_typeEPSN_NS1_7vsmem_tEENKUlT_SL_SM_SN_E_clIS8_S8_S9_S9_EESK_S10_SL_SM_SN_EUlS10_E_NS1_11comp_targetILNS1_3genE9ELNS1_11target_archE1100ELNS1_3gpuE3ELNS1_3repE0EEENS1_48merge_mergepath_partition_config_static_selectorELNS0_4arch9wavefront6targetE1EEEvSM_.num_agpr, 0
	.set _ZN7rocprim17ROCPRIM_400000_NS6detail17trampoline_kernelINS0_14default_configENS1_38merge_sort_block_merge_config_selectorIlNS0_10empty_typeEEEZZNS1_27merge_sort_block_merge_implIS3_PlPS5_mZN2at6native12_GLOBAL__N_124unique_dim_cuda_templateImEESt5tupleIJNSA_6TensorESF_SF_EERKSF_lbbbEUlllE_EE10hipError_tT0_T1_T2_jT3_P12ihipStream_tbPNSt15iterator_traitsISL_E10value_typeEPNSR_ISM_E10value_typeEPSN_NS1_7vsmem_tEENKUlT_SL_SM_SN_E_clIS8_S8_S9_S9_EESK_S10_SL_SM_SN_EUlS10_E_NS1_11comp_targetILNS1_3genE9ELNS1_11target_archE1100ELNS1_3gpuE3ELNS1_3repE0EEENS1_48merge_mergepath_partition_config_static_selectorELNS0_4arch9wavefront6targetE1EEEvSM_.numbered_sgpr, 0
	.set _ZN7rocprim17ROCPRIM_400000_NS6detail17trampoline_kernelINS0_14default_configENS1_38merge_sort_block_merge_config_selectorIlNS0_10empty_typeEEEZZNS1_27merge_sort_block_merge_implIS3_PlPS5_mZN2at6native12_GLOBAL__N_124unique_dim_cuda_templateImEESt5tupleIJNSA_6TensorESF_SF_EERKSF_lbbbEUlllE_EE10hipError_tT0_T1_T2_jT3_P12ihipStream_tbPNSt15iterator_traitsISL_E10value_typeEPNSR_ISM_E10value_typeEPSN_NS1_7vsmem_tEENKUlT_SL_SM_SN_E_clIS8_S8_S9_S9_EESK_S10_SL_SM_SN_EUlS10_E_NS1_11comp_targetILNS1_3genE9ELNS1_11target_archE1100ELNS1_3gpuE3ELNS1_3repE0EEENS1_48merge_mergepath_partition_config_static_selectorELNS0_4arch9wavefront6targetE1EEEvSM_.num_named_barrier, 0
	.set _ZN7rocprim17ROCPRIM_400000_NS6detail17trampoline_kernelINS0_14default_configENS1_38merge_sort_block_merge_config_selectorIlNS0_10empty_typeEEEZZNS1_27merge_sort_block_merge_implIS3_PlPS5_mZN2at6native12_GLOBAL__N_124unique_dim_cuda_templateImEESt5tupleIJNSA_6TensorESF_SF_EERKSF_lbbbEUlllE_EE10hipError_tT0_T1_T2_jT3_P12ihipStream_tbPNSt15iterator_traitsISL_E10value_typeEPNSR_ISM_E10value_typeEPSN_NS1_7vsmem_tEENKUlT_SL_SM_SN_E_clIS8_S8_S9_S9_EESK_S10_SL_SM_SN_EUlS10_E_NS1_11comp_targetILNS1_3genE9ELNS1_11target_archE1100ELNS1_3gpuE3ELNS1_3repE0EEENS1_48merge_mergepath_partition_config_static_selectorELNS0_4arch9wavefront6targetE1EEEvSM_.private_seg_size, 0
	.set _ZN7rocprim17ROCPRIM_400000_NS6detail17trampoline_kernelINS0_14default_configENS1_38merge_sort_block_merge_config_selectorIlNS0_10empty_typeEEEZZNS1_27merge_sort_block_merge_implIS3_PlPS5_mZN2at6native12_GLOBAL__N_124unique_dim_cuda_templateImEESt5tupleIJNSA_6TensorESF_SF_EERKSF_lbbbEUlllE_EE10hipError_tT0_T1_T2_jT3_P12ihipStream_tbPNSt15iterator_traitsISL_E10value_typeEPNSR_ISM_E10value_typeEPSN_NS1_7vsmem_tEENKUlT_SL_SM_SN_E_clIS8_S8_S9_S9_EESK_S10_SL_SM_SN_EUlS10_E_NS1_11comp_targetILNS1_3genE9ELNS1_11target_archE1100ELNS1_3gpuE3ELNS1_3repE0EEENS1_48merge_mergepath_partition_config_static_selectorELNS0_4arch9wavefront6targetE1EEEvSM_.uses_vcc, 0
	.set _ZN7rocprim17ROCPRIM_400000_NS6detail17trampoline_kernelINS0_14default_configENS1_38merge_sort_block_merge_config_selectorIlNS0_10empty_typeEEEZZNS1_27merge_sort_block_merge_implIS3_PlPS5_mZN2at6native12_GLOBAL__N_124unique_dim_cuda_templateImEESt5tupleIJNSA_6TensorESF_SF_EERKSF_lbbbEUlllE_EE10hipError_tT0_T1_T2_jT3_P12ihipStream_tbPNSt15iterator_traitsISL_E10value_typeEPNSR_ISM_E10value_typeEPSN_NS1_7vsmem_tEENKUlT_SL_SM_SN_E_clIS8_S8_S9_S9_EESK_S10_SL_SM_SN_EUlS10_E_NS1_11comp_targetILNS1_3genE9ELNS1_11target_archE1100ELNS1_3gpuE3ELNS1_3repE0EEENS1_48merge_mergepath_partition_config_static_selectorELNS0_4arch9wavefront6targetE1EEEvSM_.uses_flat_scratch, 0
	.set _ZN7rocprim17ROCPRIM_400000_NS6detail17trampoline_kernelINS0_14default_configENS1_38merge_sort_block_merge_config_selectorIlNS0_10empty_typeEEEZZNS1_27merge_sort_block_merge_implIS3_PlPS5_mZN2at6native12_GLOBAL__N_124unique_dim_cuda_templateImEESt5tupleIJNSA_6TensorESF_SF_EERKSF_lbbbEUlllE_EE10hipError_tT0_T1_T2_jT3_P12ihipStream_tbPNSt15iterator_traitsISL_E10value_typeEPNSR_ISM_E10value_typeEPSN_NS1_7vsmem_tEENKUlT_SL_SM_SN_E_clIS8_S8_S9_S9_EESK_S10_SL_SM_SN_EUlS10_E_NS1_11comp_targetILNS1_3genE9ELNS1_11target_archE1100ELNS1_3gpuE3ELNS1_3repE0EEENS1_48merge_mergepath_partition_config_static_selectorELNS0_4arch9wavefront6targetE1EEEvSM_.has_dyn_sized_stack, 0
	.set _ZN7rocprim17ROCPRIM_400000_NS6detail17trampoline_kernelINS0_14default_configENS1_38merge_sort_block_merge_config_selectorIlNS0_10empty_typeEEEZZNS1_27merge_sort_block_merge_implIS3_PlPS5_mZN2at6native12_GLOBAL__N_124unique_dim_cuda_templateImEESt5tupleIJNSA_6TensorESF_SF_EERKSF_lbbbEUlllE_EE10hipError_tT0_T1_T2_jT3_P12ihipStream_tbPNSt15iterator_traitsISL_E10value_typeEPNSR_ISM_E10value_typeEPSN_NS1_7vsmem_tEENKUlT_SL_SM_SN_E_clIS8_S8_S9_S9_EESK_S10_SL_SM_SN_EUlS10_E_NS1_11comp_targetILNS1_3genE9ELNS1_11target_archE1100ELNS1_3gpuE3ELNS1_3repE0EEENS1_48merge_mergepath_partition_config_static_selectorELNS0_4arch9wavefront6targetE1EEEvSM_.has_recursion, 0
	.set _ZN7rocprim17ROCPRIM_400000_NS6detail17trampoline_kernelINS0_14default_configENS1_38merge_sort_block_merge_config_selectorIlNS0_10empty_typeEEEZZNS1_27merge_sort_block_merge_implIS3_PlPS5_mZN2at6native12_GLOBAL__N_124unique_dim_cuda_templateImEESt5tupleIJNSA_6TensorESF_SF_EERKSF_lbbbEUlllE_EE10hipError_tT0_T1_T2_jT3_P12ihipStream_tbPNSt15iterator_traitsISL_E10value_typeEPNSR_ISM_E10value_typeEPSN_NS1_7vsmem_tEENKUlT_SL_SM_SN_E_clIS8_S8_S9_S9_EESK_S10_SL_SM_SN_EUlS10_E_NS1_11comp_targetILNS1_3genE9ELNS1_11target_archE1100ELNS1_3gpuE3ELNS1_3repE0EEENS1_48merge_mergepath_partition_config_static_selectorELNS0_4arch9wavefront6targetE1EEEvSM_.has_indirect_call, 0
	.section	.AMDGPU.csdata,"",@progbits
; Kernel info:
; codeLenInByte = 0
; TotalNumSgprs: 6
; NumVgprs: 0
; NumAgprs: 0
; TotalNumVgprs: 0
; ScratchSize: 0
; MemoryBound: 0
; FloatMode: 240
; IeeeMode: 1
; LDSByteSize: 0 bytes/workgroup (compile time only)
; SGPRBlocks: 0
; VGPRBlocks: 0
; NumSGPRsForWavesPerEU: 6
; NumVGPRsForWavesPerEU: 1
; AccumOffset: 4
; Occupancy: 8
; WaveLimiterHint : 0
; COMPUTE_PGM_RSRC2:SCRATCH_EN: 0
; COMPUTE_PGM_RSRC2:USER_SGPR: 2
; COMPUTE_PGM_RSRC2:TRAP_HANDLER: 0
; COMPUTE_PGM_RSRC2:TGID_X_EN: 1
; COMPUTE_PGM_RSRC2:TGID_Y_EN: 0
; COMPUTE_PGM_RSRC2:TGID_Z_EN: 0
; COMPUTE_PGM_RSRC2:TIDIG_COMP_CNT: 0
; COMPUTE_PGM_RSRC3_GFX90A:ACCUM_OFFSET: 0
; COMPUTE_PGM_RSRC3_GFX90A:TG_SPLIT: 0
	.section	.text._ZN7rocprim17ROCPRIM_400000_NS6detail17trampoline_kernelINS0_14default_configENS1_38merge_sort_block_merge_config_selectorIlNS0_10empty_typeEEEZZNS1_27merge_sort_block_merge_implIS3_PlPS5_mZN2at6native12_GLOBAL__N_124unique_dim_cuda_templateImEESt5tupleIJNSA_6TensorESF_SF_EERKSF_lbbbEUlllE_EE10hipError_tT0_T1_T2_jT3_P12ihipStream_tbPNSt15iterator_traitsISL_E10value_typeEPNSR_ISM_E10value_typeEPSN_NS1_7vsmem_tEENKUlT_SL_SM_SN_E_clIS8_S8_S9_S9_EESK_S10_SL_SM_SN_EUlS10_E_NS1_11comp_targetILNS1_3genE8ELNS1_11target_archE1030ELNS1_3gpuE2ELNS1_3repE0EEENS1_48merge_mergepath_partition_config_static_selectorELNS0_4arch9wavefront6targetE1EEEvSM_,"axG",@progbits,_ZN7rocprim17ROCPRIM_400000_NS6detail17trampoline_kernelINS0_14default_configENS1_38merge_sort_block_merge_config_selectorIlNS0_10empty_typeEEEZZNS1_27merge_sort_block_merge_implIS3_PlPS5_mZN2at6native12_GLOBAL__N_124unique_dim_cuda_templateImEESt5tupleIJNSA_6TensorESF_SF_EERKSF_lbbbEUlllE_EE10hipError_tT0_T1_T2_jT3_P12ihipStream_tbPNSt15iterator_traitsISL_E10value_typeEPNSR_ISM_E10value_typeEPSN_NS1_7vsmem_tEENKUlT_SL_SM_SN_E_clIS8_S8_S9_S9_EESK_S10_SL_SM_SN_EUlS10_E_NS1_11comp_targetILNS1_3genE8ELNS1_11target_archE1030ELNS1_3gpuE2ELNS1_3repE0EEENS1_48merge_mergepath_partition_config_static_selectorELNS0_4arch9wavefront6targetE1EEEvSM_,comdat
	.globl	_ZN7rocprim17ROCPRIM_400000_NS6detail17trampoline_kernelINS0_14default_configENS1_38merge_sort_block_merge_config_selectorIlNS0_10empty_typeEEEZZNS1_27merge_sort_block_merge_implIS3_PlPS5_mZN2at6native12_GLOBAL__N_124unique_dim_cuda_templateImEESt5tupleIJNSA_6TensorESF_SF_EERKSF_lbbbEUlllE_EE10hipError_tT0_T1_T2_jT3_P12ihipStream_tbPNSt15iterator_traitsISL_E10value_typeEPNSR_ISM_E10value_typeEPSN_NS1_7vsmem_tEENKUlT_SL_SM_SN_E_clIS8_S8_S9_S9_EESK_S10_SL_SM_SN_EUlS10_E_NS1_11comp_targetILNS1_3genE8ELNS1_11target_archE1030ELNS1_3gpuE2ELNS1_3repE0EEENS1_48merge_mergepath_partition_config_static_selectorELNS0_4arch9wavefront6targetE1EEEvSM_ ; -- Begin function _ZN7rocprim17ROCPRIM_400000_NS6detail17trampoline_kernelINS0_14default_configENS1_38merge_sort_block_merge_config_selectorIlNS0_10empty_typeEEEZZNS1_27merge_sort_block_merge_implIS3_PlPS5_mZN2at6native12_GLOBAL__N_124unique_dim_cuda_templateImEESt5tupleIJNSA_6TensorESF_SF_EERKSF_lbbbEUlllE_EE10hipError_tT0_T1_T2_jT3_P12ihipStream_tbPNSt15iterator_traitsISL_E10value_typeEPNSR_ISM_E10value_typeEPSN_NS1_7vsmem_tEENKUlT_SL_SM_SN_E_clIS8_S8_S9_S9_EESK_S10_SL_SM_SN_EUlS10_E_NS1_11comp_targetILNS1_3genE8ELNS1_11target_archE1030ELNS1_3gpuE2ELNS1_3repE0EEENS1_48merge_mergepath_partition_config_static_selectorELNS0_4arch9wavefront6targetE1EEEvSM_
	.p2align	8
	.type	_ZN7rocprim17ROCPRIM_400000_NS6detail17trampoline_kernelINS0_14default_configENS1_38merge_sort_block_merge_config_selectorIlNS0_10empty_typeEEEZZNS1_27merge_sort_block_merge_implIS3_PlPS5_mZN2at6native12_GLOBAL__N_124unique_dim_cuda_templateImEESt5tupleIJNSA_6TensorESF_SF_EERKSF_lbbbEUlllE_EE10hipError_tT0_T1_T2_jT3_P12ihipStream_tbPNSt15iterator_traitsISL_E10value_typeEPNSR_ISM_E10value_typeEPSN_NS1_7vsmem_tEENKUlT_SL_SM_SN_E_clIS8_S8_S9_S9_EESK_S10_SL_SM_SN_EUlS10_E_NS1_11comp_targetILNS1_3genE8ELNS1_11target_archE1030ELNS1_3gpuE2ELNS1_3repE0EEENS1_48merge_mergepath_partition_config_static_selectorELNS0_4arch9wavefront6targetE1EEEvSM_,@function
_ZN7rocprim17ROCPRIM_400000_NS6detail17trampoline_kernelINS0_14default_configENS1_38merge_sort_block_merge_config_selectorIlNS0_10empty_typeEEEZZNS1_27merge_sort_block_merge_implIS3_PlPS5_mZN2at6native12_GLOBAL__N_124unique_dim_cuda_templateImEESt5tupleIJNSA_6TensorESF_SF_EERKSF_lbbbEUlllE_EE10hipError_tT0_T1_T2_jT3_P12ihipStream_tbPNSt15iterator_traitsISL_E10value_typeEPNSR_ISM_E10value_typeEPSN_NS1_7vsmem_tEENKUlT_SL_SM_SN_E_clIS8_S8_S9_S9_EESK_S10_SL_SM_SN_EUlS10_E_NS1_11comp_targetILNS1_3genE8ELNS1_11target_archE1030ELNS1_3gpuE2ELNS1_3repE0EEENS1_48merge_mergepath_partition_config_static_selectorELNS0_4arch9wavefront6targetE1EEEvSM_: ; @_ZN7rocprim17ROCPRIM_400000_NS6detail17trampoline_kernelINS0_14default_configENS1_38merge_sort_block_merge_config_selectorIlNS0_10empty_typeEEEZZNS1_27merge_sort_block_merge_implIS3_PlPS5_mZN2at6native12_GLOBAL__N_124unique_dim_cuda_templateImEESt5tupleIJNSA_6TensorESF_SF_EERKSF_lbbbEUlllE_EE10hipError_tT0_T1_T2_jT3_P12ihipStream_tbPNSt15iterator_traitsISL_E10value_typeEPNSR_ISM_E10value_typeEPSN_NS1_7vsmem_tEENKUlT_SL_SM_SN_E_clIS8_S8_S9_S9_EESK_S10_SL_SM_SN_EUlS10_E_NS1_11comp_targetILNS1_3genE8ELNS1_11target_archE1030ELNS1_3gpuE2ELNS1_3repE0EEENS1_48merge_mergepath_partition_config_static_selectorELNS0_4arch9wavefront6targetE1EEEvSM_
; %bb.0:
	.section	.rodata,"a",@progbits
	.p2align	6, 0x0
	.amdhsa_kernel _ZN7rocprim17ROCPRIM_400000_NS6detail17trampoline_kernelINS0_14default_configENS1_38merge_sort_block_merge_config_selectorIlNS0_10empty_typeEEEZZNS1_27merge_sort_block_merge_implIS3_PlPS5_mZN2at6native12_GLOBAL__N_124unique_dim_cuda_templateImEESt5tupleIJNSA_6TensorESF_SF_EERKSF_lbbbEUlllE_EE10hipError_tT0_T1_T2_jT3_P12ihipStream_tbPNSt15iterator_traitsISL_E10value_typeEPNSR_ISM_E10value_typeEPSN_NS1_7vsmem_tEENKUlT_SL_SM_SN_E_clIS8_S8_S9_S9_EESK_S10_SL_SM_SN_EUlS10_E_NS1_11comp_targetILNS1_3genE8ELNS1_11target_archE1030ELNS1_3gpuE2ELNS1_3repE0EEENS1_48merge_mergepath_partition_config_static_selectorELNS0_4arch9wavefront6targetE1EEEvSM_
		.amdhsa_group_segment_fixed_size 0
		.amdhsa_private_segment_fixed_size 0
		.amdhsa_kernarg_size 56
		.amdhsa_user_sgpr_count 2
		.amdhsa_user_sgpr_dispatch_ptr 0
		.amdhsa_user_sgpr_queue_ptr 0
		.amdhsa_user_sgpr_kernarg_segment_ptr 1
		.amdhsa_user_sgpr_dispatch_id 0
		.amdhsa_user_sgpr_kernarg_preload_length 0
		.amdhsa_user_sgpr_kernarg_preload_offset 0
		.amdhsa_user_sgpr_private_segment_size 0
		.amdhsa_uses_dynamic_stack 0
		.amdhsa_enable_private_segment 0
		.amdhsa_system_sgpr_workgroup_id_x 1
		.amdhsa_system_sgpr_workgroup_id_y 0
		.amdhsa_system_sgpr_workgroup_id_z 0
		.amdhsa_system_sgpr_workgroup_info 0
		.amdhsa_system_vgpr_workitem_id 0
		.amdhsa_next_free_vgpr 1
		.amdhsa_next_free_sgpr 0
		.amdhsa_accum_offset 4
		.amdhsa_reserve_vcc 0
		.amdhsa_float_round_mode_32 0
		.amdhsa_float_round_mode_16_64 0
		.amdhsa_float_denorm_mode_32 3
		.amdhsa_float_denorm_mode_16_64 3
		.amdhsa_dx10_clamp 1
		.amdhsa_ieee_mode 1
		.amdhsa_fp16_overflow 0
		.amdhsa_tg_split 0
		.amdhsa_exception_fp_ieee_invalid_op 0
		.amdhsa_exception_fp_denorm_src 0
		.amdhsa_exception_fp_ieee_div_zero 0
		.amdhsa_exception_fp_ieee_overflow 0
		.amdhsa_exception_fp_ieee_underflow 0
		.amdhsa_exception_fp_ieee_inexact 0
		.amdhsa_exception_int_div_zero 0
	.end_amdhsa_kernel
	.section	.text._ZN7rocprim17ROCPRIM_400000_NS6detail17trampoline_kernelINS0_14default_configENS1_38merge_sort_block_merge_config_selectorIlNS0_10empty_typeEEEZZNS1_27merge_sort_block_merge_implIS3_PlPS5_mZN2at6native12_GLOBAL__N_124unique_dim_cuda_templateImEESt5tupleIJNSA_6TensorESF_SF_EERKSF_lbbbEUlllE_EE10hipError_tT0_T1_T2_jT3_P12ihipStream_tbPNSt15iterator_traitsISL_E10value_typeEPNSR_ISM_E10value_typeEPSN_NS1_7vsmem_tEENKUlT_SL_SM_SN_E_clIS8_S8_S9_S9_EESK_S10_SL_SM_SN_EUlS10_E_NS1_11comp_targetILNS1_3genE8ELNS1_11target_archE1030ELNS1_3gpuE2ELNS1_3repE0EEENS1_48merge_mergepath_partition_config_static_selectorELNS0_4arch9wavefront6targetE1EEEvSM_,"axG",@progbits,_ZN7rocprim17ROCPRIM_400000_NS6detail17trampoline_kernelINS0_14default_configENS1_38merge_sort_block_merge_config_selectorIlNS0_10empty_typeEEEZZNS1_27merge_sort_block_merge_implIS3_PlPS5_mZN2at6native12_GLOBAL__N_124unique_dim_cuda_templateImEESt5tupleIJNSA_6TensorESF_SF_EERKSF_lbbbEUlllE_EE10hipError_tT0_T1_T2_jT3_P12ihipStream_tbPNSt15iterator_traitsISL_E10value_typeEPNSR_ISM_E10value_typeEPSN_NS1_7vsmem_tEENKUlT_SL_SM_SN_E_clIS8_S8_S9_S9_EESK_S10_SL_SM_SN_EUlS10_E_NS1_11comp_targetILNS1_3genE8ELNS1_11target_archE1030ELNS1_3gpuE2ELNS1_3repE0EEENS1_48merge_mergepath_partition_config_static_selectorELNS0_4arch9wavefront6targetE1EEEvSM_,comdat
.Lfunc_end1621:
	.size	_ZN7rocprim17ROCPRIM_400000_NS6detail17trampoline_kernelINS0_14default_configENS1_38merge_sort_block_merge_config_selectorIlNS0_10empty_typeEEEZZNS1_27merge_sort_block_merge_implIS3_PlPS5_mZN2at6native12_GLOBAL__N_124unique_dim_cuda_templateImEESt5tupleIJNSA_6TensorESF_SF_EERKSF_lbbbEUlllE_EE10hipError_tT0_T1_T2_jT3_P12ihipStream_tbPNSt15iterator_traitsISL_E10value_typeEPNSR_ISM_E10value_typeEPSN_NS1_7vsmem_tEENKUlT_SL_SM_SN_E_clIS8_S8_S9_S9_EESK_S10_SL_SM_SN_EUlS10_E_NS1_11comp_targetILNS1_3genE8ELNS1_11target_archE1030ELNS1_3gpuE2ELNS1_3repE0EEENS1_48merge_mergepath_partition_config_static_selectorELNS0_4arch9wavefront6targetE1EEEvSM_, .Lfunc_end1621-_ZN7rocprim17ROCPRIM_400000_NS6detail17trampoline_kernelINS0_14default_configENS1_38merge_sort_block_merge_config_selectorIlNS0_10empty_typeEEEZZNS1_27merge_sort_block_merge_implIS3_PlPS5_mZN2at6native12_GLOBAL__N_124unique_dim_cuda_templateImEESt5tupleIJNSA_6TensorESF_SF_EERKSF_lbbbEUlllE_EE10hipError_tT0_T1_T2_jT3_P12ihipStream_tbPNSt15iterator_traitsISL_E10value_typeEPNSR_ISM_E10value_typeEPSN_NS1_7vsmem_tEENKUlT_SL_SM_SN_E_clIS8_S8_S9_S9_EESK_S10_SL_SM_SN_EUlS10_E_NS1_11comp_targetILNS1_3genE8ELNS1_11target_archE1030ELNS1_3gpuE2ELNS1_3repE0EEENS1_48merge_mergepath_partition_config_static_selectorELNS0_4arch9wavefront6targetE1EEEvSM_
                                        ; -- End function
	.set _ZN7rocprim17ROCPRIM_400000_NS6detail17trampoline_kernelINS0_14default_configENS1_38merge_sort_block_merge_config_selectorIlNS0_10empty_typeEEEZZNS1_27merge_sort_block_merge_implIS3_PlPS5_mZN2at6native12_GLOBAL__N_124unique_dim_cuda_templateImEESt5tupleIJNSA_6TensorESF_SF_EERKSF_lbbbEUlllE_EE10hipError_tT0_T1_T2_jT3_P12ihipStream_tbPNSt15iterator_traitsISL_E10value_typeEPNSR_ISM_E10value_typeEPSN_NS1_7vsmem_tEENKUlT_SL_SM_SN_E_clIS8_S8_S9_S9_EESK_S10_SL_SM_SN_EUlS10_E_NS1_11comp_targetILNS1_3genE8ELNS1_11target_archE1030ELNS1_3gpuE2ELNS1_3repE0EEENS1_48merge_mergepath_partition_config_static_selectorELNS0_4arch9wavefront6targetE1EEEvSM_.num_vgpr, 0
	.set _ZN7rocprim17ROCPRIM_400000_NS6detail17trampoline_kernelINS0_14default_configENS1_38merge_sort_block_merge_config_selectorIlNS0_10empty_typeEEEZZNS1_27merge_sort_block_merge_implIS3_PlPS5_mZN2at6native12_GLOBAL__N_124unique_dim_cuda_templateImEESt5tupleIJNSA_6TensorESF_SF_EERKSF_lbbbEUlllE_EE10hipError_tT0_T1_T2_jT3_P12ihipStream_tbPNSt15iterator_traitsISL_E10value_typeEPNSR_ISM_E10value_typeEPSN_NS1_7vsmem_tEENKUlT_SL_SM_SN_E_clIS8_S8_S9_S9_EESK_S10_SL_SM_SN_EUlS10_E_NS1_11comp_targetILNS1_3genE8ELNS1_11target_archE1030ELNS1_3gpuE2ELNS1_3repE0EEENS1_48merge_mergepath_partition_config_static_selectorELNS0_4arch9wavefront6targetE1EEEvSM_.num_agpr, 0
	.set _ZN7rocprim17ROCPRIM_400000_NS6detail17trampoline_kernelINS0_14default_configENS1_38merge_sort_block_merge_config_selectorIlNS0_10empty_typeEEEZZNS1_27merge_sort_block_merge_implIS3_PlPS5_mZN2at6native12_GLOBAL__N_124unique_dim_cuda_templateImEESt5tupleIJNSA_6TensorESF_SF_EERKSF_lbbbEUlllE_EE10hipError_tT0_T1_T2_jT3_P12ihipStream_tbPNSt15iterator_traitsISL_E10value_typeEPNSR_ISM_E10value_typeEPSN_NS1_7vsmem_tEENKUlT_SL_SM_SN_E_clIS8_S8_S9_S9_EESK_S10_SL_SM_SN_EUlS10_E_NS1_11comp_targetILNS1_3genE8ELNS1_11target_archE1030ELNS1_3gpuE2ELNS1_3repE0EEENS1_48merge_mergepath_partition_config_static_selectorELNS0_4arch9wavefront6targetE1EEEvSM_.numbered_sgpr, 0
	.set _ZN7rocprim17ROCPRIM_400000_NS6detail17trampoline_kernelINS0_14default_configENS1_38merge_sort_block_merge_config_selectorIlNS0_10empty_typeEEEZZNS1_27merge_sort_block_merge_implIS3_PlPS5_mZN2at6native12_GLOBAL__N_124unique_dim_cuda_templateImEESt5tupleIJNSA_6TensorESF_SF_EERKSF_lbbbEUlllE_EE10hipError_tT0_T1_T2_jT3_P12ihipStream_tbPNSt15iterator_traitsISL_E10value_typeEPNSR_ISM_E10value_typeEPSN_NS1_7vsmem_tEENKUlT_SL_SM_SN_E_clIS8_S8_S9_S9_EESK_S10_SL_SM_SN_EUlS10_E_NS1_11comp_targetILNS1_3genE8ELNS1_11target_archE1030ELNS1_3gpuE2ELNS1_3repE0EEENS1_48merge_mergepath_partition_config_static_selectorELNS0_4arch9wavefront6targetE1EEEvSM_.num_named_barrier, 0
	.set _ZN7rocprim17ROCPRIM_400000_NS6detail17trampoline_kernelINS0_14default_configENS1_38merge_sort_block_merge_config_selectorIlNS0_10empty_typeEEEZZNS1_27merge_sort_block_merge_implIS3_PlPS5_mZN2at6native12_GLOBAL__N_124unique_dim_cuda_templateImEESt5tupleIJNSA_6TensorESF_SF_EERKSF_lbbbEUlllE_EE10hipError_tT0_T1_T2_jT3_P12ihipStream_tbPNSt15iterator_traitsISL_E10value_typeEPNSR_ISM_E10value_typeEPSN_NS1_7vsmem_tEENKUlT_SL_SM_SN_E_clIS8_S8_S9_S9_EESK_S10_SL_SM_SN_EUlS10_E_NS1_11comp_targetILNS1_3genE8ELNS1_11target_archE1030ELNS1_3gpuE2ELNS1_3repE0EEENS1_48merge_mergepath_partition_config_static_selectorELNS0_4arch9wavefront6targetE1EEEvSM_.private_seg_size, 0
	.set _ZN7rocprim17ROCPRIM_400000_NS6detail17trampoline_kernelINS0_14default_configENS1_38merge_sort_block_merge_config_selectorIlNS0_10empty_typeEEEZZNS1_27merge_sort_block_merge_implIS3_PlPS5_mZN2at6native12_GLOBAL__N_124unique_dim_cuda_templateImEESt5tupleIJNSA_6TensorESF_SF_EERKSF_lbbbEUlllE_EE10hipError_tT0_T1_T2_jT3_P12ihipStream_tbPNSt15iterator_traitsISL_E10value_typeEPNSR_ISM_E10value_typeEPSN_NS1_7vsmem_tEENKUlT_SL_SM_SN_E_clIS8_S8_S9_S9_EESK_S10_SL_SM_SN_EUlS10_E_NS1_11comp_targetILNS1_3genE8ELNS1_11target_archE1030ELNS1_3gpuE2ELNS1_3repE0EEENS1_48merge_mergepath_partition_config_static_selectorELNS0_4arch9wavefront6targetE1EEEvSM_.uses_vcc, 0
	.set _ZN7rocprim17ROCPRIM_400000_NS6detail17trampoline_kernelINS0_14default_configENS1_38merge_sort_block_merge_config_selectorIlNS0_10empty_typeEEEZZNS1_27merge_sort_block_merge_implIS3_PlPS5_mZN2at6native12_GLOBAL__N_124unique_dim_cuda_templateImEESt5tupleIJNSA_6TensorESF_SF_EERKSF_lbbbEUlllE_EE10hipError_tT0_T1_T2_jT3_P12ihipStream_tbPNSt15iterator_traitsISL_E10value_typeEPNSR_ISM_E10value_typeEPSN_NS1_7vsmem_tEENKUlT_SL_SM_SN_E_clIS8_S8_S9_S9_EESK_S10_SL_SM_SN_EUlS10_E_NS1_11comp_targetILNS1_3genE8ELNS1_11target_archE1030ELNS1_3gpuE2ELNS1_3repE0EEENS1_48merge_mergepath_partition_config_static_selectorELNS0_4arch9wavefront6targetE1EEEvSM_.uses_flat_scratch, 0
	.set _ZN7rocprim17ROCPRIM_400000_NS6detail17trampoline_kernelINS0_14default_configENS1_38merge_sort_block_merge_config_selectorIlNS0_10empty_typeEEEZZNS1_27merge_sort_block_merge_implIS3_PlPS5_mZN2at6native12_GLOBAL__N_124unique_dim_cuda_templateImEESt5tupleIJNSA_6TensorESF_SF_EERKSF_lbbbEUlllE_EE10hipError_tT0_T1_T2_jT3_P12ihipStream_tbPNSt15iterator_traitsISL_E10value_typeEPNSR_ISM_E10value_typeEPSN_NS1_7vsmem_tEENKUlT_SL_SM_SN_E_clIS8_S8_S9_S9_EESK_S10_SL_SM_SN_EUlS10_E_NS1_11comp_targetILNS1_3genE8ELNS1_11target_archE1030ELNS1_3gpuE2ELNS1_3repE0EEENS1_48merge_mergepath_partition_config_static_selectorELNS0_4arch9wavefront6targetE1EEEvSM_.has_dyn_sized_stack, 0
	.set _ZN7rocprim17ROCPRIM_400000_NS6detail17trampoline_kernelINS0_14default_configENS1_38merge_sort_block_merge_config_selectorIlNS0_10empty_typeEEEZZNS1_27merge_sort_block_merge_implIS3_PlPS5_mZN2at6native12_GLOBAL__N_124unique_dim_cuda_templateImEESt5tupleIJNSA_6TensorESF_SF_EERKSF_lbbbEUlllE_EE10hipError_tT0_T1_T2_jT3_P12ihipStream_tbPNSt15iterator_traitsISL_E10value_typeEPNSR_ISM_E10value_typeEPSN_NS1_7vsmem_tEENKUlT_SL_SM_SN_E_clIS8_S8_S9_S9_EESK_S10_SL_SM_SN_EUlS10_E_NS1_11comp_targetILNS1_3genE8ELNS1_11target_archE1030ELNS1_3gpuE2ELNS1_3repE0EEENS1_48merge_mergepath_partition_config_static_selectorELNS0_4arch9wavefront6targetE1EEEvSM_.has_recursion, 0
	.set _ZN7rocprim17ROCPRIM_400000_NS6detail17trampoline_kernelINS0_14default_configENS1_38merge_sort_block_merge_config_selectorIlNS0_10empty_typeEEEZZNS1_27merge_sort_block_merge_implIS3_PlPS5_mZN2at6native12_GLOBAL__N_124unique_dim_cuda_templateImEESt5tupleIJNSA_6TensorESF_SF_EERKSF_lbbbEUlllE_EE10hipError_tT0_T1_T2_jT3_P12ihipStream_tbPNSt15iterator_traitsISL_E10value_typeEPNSR_ISM_E10value_typeEPSN_NS1_7vsmem_tEENKUlT_SL_SM_SN_E_clIS8_S8_S9_S9_EESK_S10_SL_SM_SN_EUlS10_E_NS1_11comp_targetILNS1_3genE8ELNS1_11target_archE1030ELNS1_3gpuE2ELNS1_3repE0EEENS1_48merge_mergepath_partition_config_static_selectorELNS0_4arch9wavefront6targetE1EEEvSM_.has_indirect_call, 0
	.section	.AMDGPU.csdata,"",@progbits
; Kernel info:
; codeLenInByte = 0
; TotalNumSgprs: 6
; NumVgprs: 0
; NumAgprs: 0
; TotalNumVgprs: 0
; ScratchSize: 0
; MemoryBound: 0
; FloatMode: 240
; IeeeMode: 1
; LDSByteSize: 0 bytes/workgroup (compile time only)
; SGPRBlocks: 0
; VGPRBlocks: 0
; NumSGPRsForWavesPerEU: 6
; NumVGPRsForWavesPerEU: 1
; AccumOffset: 4
; Occupancy: 8
; WaveLimiterHint : 0
; COMPUTE_PGM_RSRC2:SCRATCH_EN: 0
; COMPUTE_PGM_RSRC2:USER_SGPR: 2
; COMPUTE_PGM_RSRC2:TRAP_HANDLER: 0
; COMPUTE_PGM_RSRC2:TGID_X_EN: 1
; COMPUTE_PGM_RSRC2:TGID_Y_EN: 0
; COMPUTE_PGM_RSRC2:TGID_Z_EN: 0
; COMPUTE_PGM_RSRC2:TIDIG_COMP_CNT: 0
; COMPUTE_PGM_RSRC3_GFX90A:ACCUM_OFFSET: 0
; COMPUTE_PGM_RSRC3_GFX90A:TG_SPLIT: 0
	.section	.text._ZN7rocprim17ROCPRIM_400000_NS6detail17trampoline_kernelINS0_14default_configENS1_38merge_sort_block_merge_config_selectorIlNS0_10empty_typeEEEZZNS1_27merge_sort_block_merge_implIS3_PlPS5_mZN2at6native12_GLOBAL__N_124unique_dim_cuda_templateImEESt5tupleIJNSA_6TensorESF_SF_EERKSF_lbbbEUlllE_EE10hipError_tT0_T1_T2_jT3_P12ihipStream_tbPNSt15iterator_traitsISL_E10value_typeEPNSR_ISM_E10value_typeEPSN_NS1_7vsmem_tEENKUlT_SL_SM_SN_E_clIS8_S8_S9_S9_EESK_S10_SL_SM_SN_EUlS10_E0_NS1_11comp_targetILNS1_3genE0ELNS1_11target_archE4294967295ELNS1_3gpuE0ELNS1_3repE0EEENS1_38merge_mergepath_config_static_selectorELNS0_4arch9wavefront6targetE1EEEvSM_,"axG",@progbits,_ZN7rocprim17ROCPRIM_400000_NS6detail17trampoline_kernelINS0_14default_configENS1_38merge_sort_block_merge_config_selectorIlNS0_10empty_typeEEEZZNS1_27merge_sort_block_merge_implIS3_PlPS5_mZN2at6native12_GLOBAL__N_124unique_dim_cuda_templateImEESt5tupleIJNSA_6TensorESF_SF_EERKSF_lbbbEUlllE_EE10hipError_tT0_T1_T2_jT3_P12ihipStream_tbPNSt15iterator_traitsISL_E10value_typeEPNSR_ISM_E10value_typeEPSN_NS1_7vsmem_tEENKUlT_SL_SM_SN_E_clIS8_S8_S9_S9_EESK_S10_SL_SM_SN_EUlS10_E0_NS1_11comp_targetILNS1_3genE0ELNS1_11target_archE4294967295ELNS1_3gpuE0ELNS1_3repE0EEENS1_38merge_mergepath_config_static_selectorELNS0_4arch9wavefront6targetE1EEEvSM_,comdat
	.globl	_ZN7rocprim17ROCPRIM_400000_NS6detail17trampoline_kernelINS0_14default_configENS1_38merge_sort_block_merge_config_selectorIlNS0_10empty_typeEEEZZNS1_27merge_sort_block_merge_implIS3_PlPS5_mZN2at6native12_GLOBAL__N_124unique_dim_cuda_templateImEESt5tupleIJNSA_6TensorESF_SF_EERKSF_lbbbEUlllE_EE10hipError_tT0_T1_T2_jT3_P12ihipStream_tbPNSt15iterator_traitsISL_E10value_typeEPNSR_ISM_E10value_typeEPSN_NS1_7vsmem_tEENKUlT_SL_SM_SN_E_clIS8_S8_S9_S9_EESK_S10_SL_SM_SN_EUlS10_E0_NS1_11comp_targetILNS1_3genE0ELNS1_11target_archE4294967295ELNS1_3gpuE0ELNS1_3repE0EEENS1_38merge_mergepath_config_static_selectorELNS0_4arch9wavefront6targetE1EEEvSM_ ; -- Begin function _ZN7rocprim17ROCPRIM_400000_NS6detail17trampoline_kernelINS0_14default_configENS1_38merge_sort_block_merge_config_selectorIlNS0_10empty_typeEEEZZNS1_27merge_sort_block_merge_implIS3_PlPS5_mZN2at6native12_GLOBAL__N_124unique_dim_cuda_templateImEESt5tupleIJNSA_6TensorESF_SF_EERKSF_lbbbEUlllE_EE10hipError_tT0_T1_T2_jT3_P12ihipStream_tbPNSt15iterator_traitsISL_E10value_typeEPNSR_ISM_E10value_typeEPSN_NS1_7vsmem_tEENKUlT_SL_SM_SN_E_clIS8_S8_S9_S9_EESK_S10_SL_SM_SN_EUlS10_E0_NS1_11comp_targetILNS1_3genE0ELNS1_11target_archE4294967295ELNS1_3gpuE0ELNS1_3repE0EEENS1_38merge_mergepath_config_static_selectorELNS0_4arch9wavefront6targetE1EEEvSM_
	.p2align	8
	.type	_ZN7rocprim17ROCPRIM_400000_NS6detail17trampoline_kernelINS0_14default_configENS1_38merge_sort_block_merge_config_selectorIlNS0_10empty_typeEEEZZNS1_27merge_sort_block_merge_implIS3_PlPS5_mZN2at6native12_GLOBAL__N_124unique_dim_cuda_templateImEESt5tupleIJNSA_6TensorESF_SF_EERKSF_lbbbEUlllE_EE10hipError_tT0_T1_T2_jT3_P12ihipStream_tbPNSt15iterator_traitsISL_E10value_typeEPNSR_ISM_E10value_typeEPSN_NS1_7vsmem_tEENKUlT_SL_SM_SN_E_clIS8_S8_S9_S9_EESK_S10_SL_SM_SN_EUlS10_E0_NS1_11comp_targetILNS1_3genE0ELNS1_11target_archE4294967295ELNS1_3gpuE0ELNS1_3repE0EEENS1_38merge_mergepath_config_static_selectorELNS0_4arch9wavefront6targetE1EEEvSM_,@function
_ZN7rocprim17ROCPRIM_400000_NS6detail17trampoline_kernelINS0_14default_configENS1_38merge_sort_block_merge_config_selectorIlNS0_10empty_typeEEEZZNS1_27merge_sort_block_merge_implIS3_PlPS5_mZN2at6native12_GLOBAL__N_124unique_dim_cuda_templateImEESt5tupleIJNSA_6TensorESF_SF_EERKSF_lbbbEUlllE_EE10hipError_tT0_T1_T2_jT3_P12ihipStream_tbPNSt15iterator_traitsISL_E10value_typeEPNSR_ISM_E10value_typeEPSN_NS1_7vsmem_tEENKUlT_SL_SM_SN_E_clIS8_S8_S9_S9_EESK_S10_SL_SM_SN_EUlS10_E0_NS1_11comp_targetILNS1_3genE0ELNS1_11target_archE4294967295ELNS1_3gpuE0ELNS1_3repE0EEENS1_38merge_mergepath_config_static_selectorELNS0_4arch9wavefront6targetE1EEEvSM_: ; @_ZN7rocprim17ROCPRIM_400000_NS6detail17trampoline_kernelINS0_14default_configENS1_38merge_sort_block_merge_config_selectorIlNS0_10empty_typeEEEZZNS1_27merge_sort_block_merge_implIS3_PlPS5_mZN2at6native12_GLOBAL__N_124unique_dim_cuda_templateImEESt5tupleIJNSA_6TensorESF_SF_EERKSF_lbbbEUlllE_EE10hipError_tT0_T1_T2_jT3_P12ihipStream_tbPNSt15iterator_traitsISL_E10value_typeEPNSR_ISM_E10value_typeEPSN_NS1_7vsmem_tEENKUlT_SL_SM_SN_E_clIS8_S8_S9_S9_EESK_S10_SL_SM_SN_EUlS10_E0_NS1_11comp_targetILNS1_3genE0ELNS1_11target_archE4294967295ELNS1_3gpuE0ELNS1_3repE0EEENS1_38merge_mergepath_config_static_selectorELNS0_4arch9wavefront6targetE1EEEvSM_
; %bb.0:
	s_load_dwordx2 s[22:23], s[0:1], 0x58
	s_load_dword s5, s[0:1], 0x38
	s_add_u32 s18, s0, 0x58
	s_addc_u32 s19, s1, 0
	s_waitcnt lgkmcnt(0)
	s_mul_i32 s4, s23, s4
	s_add_i32 s3, s4, s3
	s_mul_i32 s3, s3, s22
	s_add_i32 s20, s3, s2
	s_cmp_ge_u32 s20, s5
	s_cbranch_scc1 .LBB1622_138
; %bb.1:
	s_load_dwordx2 s[12:13], s[0:1], 0x50
	s_load_dwordx4 s[4:7], s[0:1], 0x8
	s_load_dwordx4 s[8:11], s[0:1], 0x28
	s_mov_b32 s21, 0
	s_lshl_b64 s[14:15], s[20:21], 3
	s_waitcnt lgkmcnt(0)
	s_add_u32 s16, s12, s14
	s_addc_u32 s17, s13, s15
	s_load_dwordx4 s[12:15], s[16:17], 0x0
	s_lshr_b64 s[16:17], s[10:11], 9
	s_and_b32 s3, s16, -2
	s_sub_i32 s33, 0, s3
	s_and_b32 s26, s20, s33
	s_mov_b32 s27, s21
	s_lshl_b64 s[24:25], s[26:27], 10
	s_lshl_b64 s[16:17], s[20:21], 10
	s_sub_u32 s3, s16, s24
	s_subb_u32 s23, s17, s25
	s_lshl_b64 s[26:27], s[26:27], 11
	s_add_u32 s26, s26, s10
	s_addc_u32 s27, s27, s11
	s_add_u32 s3, s26, s3
	s_addc_u32 s23, s27, s23
	s_waitcnt lgkmcnt(0)
	s_sub_u32 s28, s3, s14
	s_subb_u32 s15, s23, s15
	s_add_u32 s28, s28, 0x400
	s_addc_u32 s29, s15, 0
	v_mov_b64_e32 v[2:3], s[28:29]
	v_cmp_lt_u64_e32 vcc, s[8:9], v[2:3]
	s_and_b64 s[30:31], vcc, exec
	s_cselect_b32 s15, s8, s28
	s_or_b32 s28, s20, s33
	s_cmp_lg_u32 s28, -1
	s_cbranch_scc1 .LBB1622_3
; %bb.2:
	s_sub_u32 s24, s26, s24
	s_subb_u32 s25, s27, s25
	v_mov_b64_e32 v[2:3], s[24:25]
	v_cmp_lt_u64_e32 vcc, s[8:9], v[2:3]
	s_and_b64 s[14:15], vcc, exec
	s_cselect_b32 s14, s8, s24
	s_add_u32 s10, s24, s10
	s_addc_u32 s11, s25, s11
	v_mov_b64_e32 v[2:3], s[10:11]
	v_cmp_lt_u64_e32 vcc, s[8:9], v[2:3]
	s_and_b64 s[24:25], vcc, exec
	s_cselect_b32 s15, s8, s10
.LBB1622_3:
	s_lshr_b64 s[24:25], s[8:9], 10
	s_cmp_lg_u64 s[24:25], s[20:21]
	s_cselect_b64 s[10:11], -1, 0
	s_sub_u32 s26, s3, s12
	s_subb_u32 s27, s23, s13
	v_mov_b64_e32 v[2:3], s[26:27]
	v_cmp_lt_u64_e32 vcc, s[8:9], v[2:3]
	s_and_b64 s[28:29], vcc, exec
	s_cselect_b32 s26, s8, s26
	s_cselect_b32 s27, s9, s27
	s_sub_i32 s9, s14, s12
	s_sub_i32 s23, s15, s26
	s_lshl_b64 s[12:13], s[12:13], 3
	s_add_u32 s12, s4, s12
	s_addc_u32 s13, s5, s13
	s_lshl_b64 s[14:15], s[26:27], 3
	s_add_u32 s4, s4, s14
	s_addc_u32 s5, s5, s15
	s_cmp_lt_u32 s2, s22
	v_mov_b32_e32 v19, 0
	s_cselect_b32 s2, 12, 18
	global_load_dword v1, v19, s[18:19] offset:14
	s_add_u32 s2, s18, s2
	s_addc_u32 s3, s19, 0
	global_load_ushort v2, v19, s[2:3]
	s_cmp_eq_u64 s[24:25], s[20:21]
	v_lshlrev_b32_e32 v18, 3, v0
	s_waitcnt vmcnt(1)
	v_lshrrev_b32_e32 v3, 16, v1
	v_and_b32_e32 v1, 0xffff, v1
	v_mul_lo_u32 v1, v1, v3
	s_waitcnt vmcnt(0)
	v_mul_lo_u32 v1, v1, v2
	s_cbranch_scc1 .LBB1622_5
; %bb.4:
	v_subrev_co_u32_e32 v4, vcc, s9, v0
	v_mov_b32_e32 v5, v19
	v_lshl_add_u64 v[2:3], s[12:13], 0, v[18:19]
	v_lshl_add_u64 v[4:5], v[4:5], 3, s[4:5]
	v_add_u32_e32 v6, v1, v0
	v_cndmask_b32_e32 v3, v5, v3, vcc
	v_cndmask_b32_e32 v2, v4, v2, vcc
	v_mov_b32_e32 v7, v19
	v_subrev_co_u32_e32 v8, vcc, s9, v6
	v_mov_b32_e32 v9, v19
	v_lshl_add_u64 v[4:5], v[6:7], 3, s[12:13]
	v_lshl_add_u64 v[8:9], v[8:9], 3, s[4:5]
	v_cndmask_b32_e32 v4, v8, v4, vcc
	v_add_u32_e32 v8, v6, v1
	v_cndmask_b32_e32 v5, v9, v5, vcc
	v_mov_b32_e32 v9, v19
	v_subrev_co_u32_e32 v10, vcc, s9, v8
	v_mov_b32_e32 v11, v19
	v_lshl_add_u64 v[6:7], v[8:9], 3, s[12:13]
	v_lshl_add_u64 v[10:11], v[10:11], 3, s[4:5]
	v_cndmask_b32_e32 v6, v10, v6, vcc
	v_add_u32_e32 v10, v8, v1
	;; [unrolled: 8-line block ×5, first 2 shown]
	v_cndmask_b32_e32 v13, v17, v13, vcc
	v_mov_b32_e32 v17, v19
	v_subrev_co_u32_e32 v20, vcc, s9, v16
	v_mov_b32_e32 v21, v19
	v_lshl_add_u64 v[14:15], v[16:17], 3, s[12:13]
	v_lshl_add_u64 v[20:21], v[20:21], 3, s[4:5]
	v_add_u32_e32 v16, v16, v1
	v_cndmask_b32_e32 v15, v21, v15, vcc
	v_cndmask_b32_e32 v14, v20, v14, vcc
	v_lshl_add_u64 v[20:21], v[16:17], 3, s[12:13]
	v_subrev_co_u32_e32 v16, vcc, s9, v16
	v_lshl_add_u64 v[16:17], v[16:17], 3, s[4:5]
	s_nop 0
	v_cndmask_b32_e32 v17, v17, v21, vcc
	v_cndmask_b32_e32 v16, v16, v20, vcc
	global_load_dwordx2 v[2:3], v[2:3], off
	s_add_i32 s33, s9, s23
	global_load_dwordx2 v[4:5], v[4:5], off
	s_nop 0
	global_load_dwordx2 v[6:7], v[6:7], off
	s_nop 0
	global_load_dwordx2 v[8:9], v[8:9], off
	s_nop 0
	global_load_dwordx2 v[10:11], v[10:11], off
	s_nop 0
	global_load_dwordx2 v[12:13], v[12:13], off
	s_nop 0
	global_load_dwordx2 v[14:15], v[14:15], off
	s_nop 0
	global_load_dwordx2 v[16:17], v[16:17], off
	s_cbranch_execz .LBB1622_6
	s_branch .LBB1622_23
.LBB1622_5:
                                        ; implicit-def: $vgpr2_vgpr3_vgpr4_vgpr5_vgpr6_vgpr7_vgpr8_vgpr9_vgpr10_vgpr11_vgpr12_vgpr13_vgpr14_vgpr15_vgpr16_vgpr17
                                        ; implicit-def: $sgpr33
.LBB1622_6:
	s_add_i32 s33, s9, s23
	s_waitcnt vmcnt(7)
	v_mov_b32_e32 v2, 0
	v_cmp_gt_u32_e32 vcc, s33, v0
	v_mov_b32_e32 v3, v2
	s_waitcnt vmcnt(6)
	v_mov_b32_e32 v4, v2
	v_mov_b32_e32 v5, v2
	s_waitcnt vmcnt(5)
	v_mov_b32_e32 v6, v2
	;; [unrolled: 3-line block ×7, first 2 shown]
	v_mov_b32_e32 v17, v2
	s_and_saveexec_b64 s[2:3], vcc
	s_cbranch_execz .LBB1622_8
; %bb.7:
	v_mov_b32_e32 v19, v2
	v_subrev_co_u32_e32 v6, vcc, s9, v0
	v_mov_b32_e32 v7, v2
	v_lshl_add_u64 v[4:5], s[12:13], 0, v[18:19]
	v_lshl_add_u64 v[6:7], v[6:7], 3, s[4:5]
	v_cndmask_b32_e32 v5, v7, v5, vcc
	v_cndmask_b32_e32 v4, v6, v4, vcc
	global_load_dwordx2 v[20:21], v[4:5], off
	v_mov_b32_e32 v22, v2
	v_mov_b32_e32 v23, v2
	;; [unrolled: 1-line block ×14, first 2 shown]
	s_waitcnt vmcnt(0)
	v_mov_b64_e32 v[2:3], v[20:21]
	v_mov_b64_e32 v[4:5], v[22:23]
	;; [unrolled: 1-line block ×8, first 2 shown]
.LBB1622_8:
	s_or_b64 exec, exec, s[2:3]
	v_add_u32_e32 v20, v1, v0
	v_cmp_gt_u32_e32 vcc, s33, v20
	s_and_saveexec_b64 s[2:3], vcc
	s_cbranch_execz .LBB1622_10
; %bb.9:
	v_mov_b32_e32 v21, 0
	v_subrev_co_u32_e32 v22, vcc, s9, v20
	v_mov_b32_e32 v23, v21
	v_lshl_add_u64 v[4:5], v[20:21], 3, s[12:13]
	v_lshl_add_u64 v[22:23], v[22:23], 3, s[4:5]
	v_cndmask_b32_e32 v5, v23, v5, vcc
	v_cndmask_b32_e32 v4, v22, v4, vcc
	global_load_dwordx2 v[4:5], v[4:5], off
.LBB1622_10:
	s_or_b64 exec, exec, s[2:3]
	v_add_u32_e32 v20, v20, v1
	v_cmp_gt_u32_e32 vcc, s33, v20
	s_and_saveexec_b64 s[2:3], vcc
	s_cbranch_execz .LBB1622_12
; %bb.11:
	v_mov_b32_e32 v21, 0
	v_subrev_co_u32_e32 v22, vcc, s9, v20
	v_mov_b32_e32 v23, v21
	v_lshl_add_u64 v[6:7], v[20:21], 3, s[12:13]
	v_lshl_add_u64 v[22:23], v[22:23], 3, s[4:5]
	v_cndmask_b32_e32 v7, v23, v7, vcc
	v_cndmask_b32_e32 v6, v22, v6, vcc
	global_load_dwordx2 v[6:7], v[6:7], off
.LBB1622_12:
	;; [unrolled: 15-line block ×6, first 2 shown]
	s_or_b64 exec, exec, s[2:3]
	v_add_u32_e32 v20, v20, v1
	v_cmp_gt_u32_e32 vcc, s33, v20
	s_and_saveexec_b64 s[2:3], vcc
	s_cbranch_execz .LBB1622_22
; %bb.21:
	v_mov_b32_e32 v21, 0
	v_lshl_add_u64 v[16:17], v[20:21], 3, s[12:13]
	v_subrev_co_u32_e32 v20, vcc, s9, v20
	v_lshl_add_u64 v[20:21], v[20:21], 3, s[4:5]
	s_nop 0
	v_cndmask_b32_e32 v17, v21, v17, vcc
	v_cndmask_b32_e32 v16, v20, v16, vcc
	global_load_dwordx2 v[16:17], v[16:17], off
.LBB1622_22:
	s_or_b64 exec, exec, s[2:3]
.LBB1622_23:
	s_load_dwordx4 s[12:15], s[0:1], 0x40
	v_min_u32_e32 v1, s33, v18
	v_sub_u32_e64 v24, v1, s23 clamp
	v_min_u32_e32 v19, s9, v1
	v_cmp_lt_u32_e32 vcc, v24, v19
	s_waitcnt vmcnt(0)
	ds_write2st64_b64 v18, v[2:3], v[4:5] offset1:2
	ds_write2st64_b64 v18, v[6:7], v[8:9] offset0:4 offset1:6
	ds_write2st64_b64 v18, v[10:11], v[12:13] offset0:8 offset1:10
	;; [unrolled: 1-line block ×3, first 2 shown]
	s_waitcnt lgkmcnt(0)
	s_barrier
	s_and_saveexec_b64 s[18:19], vcc
	s_cbranch_execz .LBB1622_33
; %bb.24:
	v_lshlrev_b32_e32 v20, 3, v1
	v_cmp_gt_i64_e64 s[0:1], s[12:13], 0
	v_lshl_add_u32 v25, s9, 3, v20
	s_mov_b64 s[20:21], 0
	v_cndmask_b32_e64 v20, 0, 1, s[0:1]
	s_lshl_b64 s[22:23], s[12:13], 3
	v_cmp_ne_u32_e64 s[0:1], 1, v20
	s_branch .LBB1622_27
.LBB1622_25:                            ;   in Loop: Header=BB1622_27 Depth=1
	s_or_b64 exec, exec, s[26:27]
.LBB1622_26:                            ;   in Loop: Header=BB1622_27 Depth=1
	v_add_u32_e32 v20, 1, v26
	v_cndmask_b32_e64 v19, v19, v26, s[24:25]
	v_cndmask_b32_e64 v24, v20, v24, s[24:25]
	v_cmp_ge_u32_e32 vcc, v24, v19
	s_or_b64 s[20:21], vcc, s[20:21]
	s_andn2_b64 exec, exec, s[20:21]
	s_cbranch_execz .LBB1622_32
.LBB1622_27:                            ; =>This Loop Header: Depth=1
                                        ;     Child Loop BB1622_30 Depth 2
	v_add_u32_e32 v20, v19, v24
	v_lshrrev_b32_e32 v26, 1, v20
	s_and_b64 vcc, exec, s[0:1]
	s_mov_b64 s[24:25], 0
	s_cbranch_vccnz .LBB1622_26
; %bb.28:                               ;   in Loop: Header=BB1622_27 Depth=1
	v_not_b32_e32 v20, v26
	v_lshl_add_u32 v20, v20, 3, v25
	ds_read_b64 v[20:21], v20
	v_lshlrev_b32_e32 v27, 3, v26
	ds_read_b64 v[28:29], v27
	v_mov_b64_e32 v[22:23], s[14:15]
	s_mov_b64 s[26:27], 0
	s_waitcnt lgkmcnt(1)
	v_mul_lo_u32 v27, s22, v21
	v_mul_lo_u32 v30, s23, v20
	v_mad_u64_u32 v[20:21], s[2:3], s22, v20, v[22:23]
	v_add3_u32 v21, v30, v21, v27
	s_waitcnt lgkmcnt(0)
	v_mul_lo_u32 v27, s22, v29
	v_mul_lo_u32 v29, s23, v28
	v_mad_u64_u32 v[22:23], s[2:3], s22, v28, v[22:23]
	v_add3_u32 v23, v29, v23, v27
	s_mov_b64 s[30:31], s[12:13]
                                        ; implicit-def: $sgpr24_sgpr25
                                        ; implicit-def: $sgpr28_sgpr29
                                        ; implicit-def: $sgpr2_sgpr3
                                        ; implicit-def: $sgpr34_sgpr35
	s_branch .LBB1622_30
.LBB1622_29:                            ;   in Loop: Header=BB1622_30 Depth=2
	s_or_b64 exec, exec, s[38:39]
	s_and_b64 s[4:5], exec, s[28:29]
	s_or_b64 s[26:27], s[4:5], s[26:27]
	s_andn2_b64 s[4:5], s[34:35], exec
	s_and_b64 s[34:35], s[36:37], exec
	s_or_b64 s[34:35], s[4:5], s[34:35]
	s_andn2_b64 s[4:5], s[24:25], exec
	s_and_b64 s[24:25], s[2:3], exec
	s_or_b64 s[24:25], s[4:5], s[24:25]
	s_andn2_b64 exec, exec, s[26:27]
	s_cbranch_execz .LBB1622_25
.LBB1622_30:                            ;   Parent Loop BB1622_27 Depth=1
                                        ; =>  This Inner Loop Header: Depth=2
	global_load_dwordx2 v[28:29], v[20:21], off
	global_load_dwordx2 v[30:31], v[22:23], off
	s_andn2_b64 s[38:39], s[2:3], exec
	s_or_b64 s[28:29], s[28:29], exec
	s_waitcnt vmcnt(0)
	v_cmp_le_u64_e64 s[2:3], v[28:29], v[30:31]
	v_cmp_lt_u64_e32 vcc, v[28:29], v[30:31]
	s_and_b64 s[2:3], s[2:3], s[34:35]
	s_or_b64 s[36:37], vcc, s[2:3]
	s_and_b64 s[2:3], s[36:37], exec
	v_cmp_eq_u64_e64 s[4:5], v[28:29], v[30:31]
	s_or_b64 s[2:3], s[38:39], s[2:3]
	s_and_saveexec_b64 s[38:39], s[4:5]
	s_cbranch_execz .LBB1622_29
; %bb.31:                               ;   in Loop: Header=BB1622_30 Depth=2
	s_add_u32 s30, s30, -1
	s_addc_u32 s31, s31, -1
	s_cmp_eq_u64 s[30:31], 0
	s_cselect_b64 s[4:5], -1, 0
	s_andn2_b64 s[28:29], s[28:29], exec
	s_and_b64 s[4:5], s[4:5], exec
	v_lshl_add_u64 v[20:21], v[20:21], 0, 8
	v_lshl_add_u64 v[22:23], v[22:23], 0, 8
	s_andn2_b64 s[2:3], s[2:3], exec
	s_or_b64 s[28:29], s[28:29], s[4:5]
                                        ; implicit-def: $sgpr34_sgpr35
	s_branch .LBB1622_29
.LBB1622_32:
	s_or_b64 exec, exec, s[20:21]
.LBB1622_33:
	s_or_b64 exec, exec, s[18:19]
	v_sub_u32_e32 v1, v1, v24
	v_add_u32_e32 v20, s9, v1
	v_cmp_ge_u32_e32 vcc, s9, v24
	v_cmp_ge_u32_e64 s[0:1], s33, v20
	s_or_b64 s[0:1], vcc, s[0:1]
	s_and_saveexec_b64 s[4:5], s[0:1]
	s_cbranch_execz .LBB1622_124
; %bb.34:
	v_cmp_le_u32_e32 vcc, s9, v24
	v_cmp_gt_u32_e64 s[0:1], s9, v24
                                        ; implicit-def: $vgpr2_vgpr3
	s_and_saveexec_b64 s[2:3], s[0:1]
; %bb.35:
	v_lshlrev_b32_e32 v1, 3, v24
	ds_read_b64 v[2:3], v1
; %bb.36:
	s_or_b64 exec, exec, s[2:3]
	v_cmp_le_u32_e64 s[20:21], s33, v20
	v_cmp_gt_u32_e64 s[0:1], s33, v20
                                        ; implicit-def: $vgpr14_vgpr15
	s_and_saveexec_b64 s[2:3], s[0:1]
; %bb.37:
	v_lshlrev_b32_e32 v1, 3, v20
	ds_read_b64 v[14:15], v1
; %bb.38:
	s_or_b64 exec, exec, s[2:3]
	v_cmp_gt_i64_e64 s[18:19], s[12:13], 0
	s_nor_b64 s[0:1], vcc, s[20:21]
	s_and_saveexec_b64 s[22:23], s[0:1]
	s_cbranch_execz .LBB1622_47
; %bb.39:
	s_andn2_b64 vcc, exec, s[18:19]
	s_cbranch_vccnz .LBB1622_45
; %bb.40:
	s_waitcnt lgkmcnt(0)
	v_mul_lo_u32 v1, v15, s12
	v_mul_lo_u32 v6, v14, s13
	v_mad_u64_u32 v[4:5], s[0:1], v14, s12, 0
	v_add3_u32 v5, v5, v6, v1
	v_mul_lo_u32 v1, v3, s12
	v_mul_lo_u32 v8, v2, s13
	v_mad_u64_u32 v[6:7], s[0:1], v2, s12, 0
	v_add3_u32 v7, v7, v8, v1
	v_lshl_add_u64 v[4:5], v[4:5], 3, s[14:15]
	v_lshl_add_u64 v[6:7], v[6:7], 3, s[14:15]
	s_mov_b64 s[24:25], 0
	s_mov_b64 s[30:31], s[12:13]
                                        ; implicit-def: $sgpr26_sgpr27
                                        ; implicit-def: $sgpr28_sgpr29
                                        ; implicit-def: $sgpr0_sgpr1
                                        ; implicit-def: $sgpr34_sgpr35
	s_branch .LBB1622_42
.LBB1622_41:                            ;   in Loop: Header=BB1622_42 Depth=1
	s_or_b64 exec, exec, s[38:39]
	s_and_b64 s[2:3], exec, s[28:29]
	s_or_b64 s[24:25], s[2:3], s[24:25]
	s_andn2_b64 s[2:3], s[34:35], exec
	s_and_b64 s[34:35], s[36:37], exec
	s_or_b64 s[34:35], s[2:3], s[34:35]
	s_andn2_b64 s[2:3], s[26:27], exec
	s_and_b64 s[26:27], s[0:1], exec
	s_or_b64 s[26:27], s[2:3], s[26:27]
	s_andn2_b64 exec, exec, s[24:25]
	s_cbranch_execz .LBB1622_44
.LBB1622_42:                            ; =>This Inner Loop Header: Depth=1
	global_load_dwordx2 v[8:9], v[4:5], off
	global_load_dwordx2 v[10:11], v[6:7], off
	s_andn2_b64 s[38:39], s[0:1], exec
	s_or_b64 s[28:29], s[28:29], exec
	s_waitcnt vmcnt(0)
	v_cmp_le_u64_e64 s[0:1], v[8:9], v[10:11]
	v_cmp_lt_u64_e32 vcc, v[8:9], v[10:11]
	s_and_b64 s[0:1], s[0:1], s[34:35]
	s_or_b64 s[36:37], vcc, s[0:1]
	s_and_b64 s[0:1], s[36:37], exec
	v_cmp_eq_u64_e64 s[2:3], v[8:9], v[10:11]
	s_or_b64 s[0:1], s[38:39], s[0:1]
	s_and_saveexec_b64 s[38:39], s[2:3]
	s_cbranch_execz .LBB1622_41
; %bb.43:                               ;   in Loop: Header=BB1622_42 Depth=1
	s_add_u32 s30, s30, -1
	s_addc_u32 s31, s31, -1
	s_cmp_eq_u64 s[30:31], 0
	s_cselect_b64 s[2:3], -1, 0
	s_andn2_b64 s[28:29], s[28:29], exec
	s_and_b64 s[2:3], s[2:3], exec
	v_lshl_add_u64 v[4:5], v[4:5], 0, 8
	v_lshl_add_u64 v[6:7], v[6:7], 0, 8
	s_andn2_b64 s[0:1], s[0:1], exec
	s_or_b64 s[28:29], s[28:29], s[2:3]
                                        ; implicit-def: $sgpr34_sgpr35
	s_branch .LBB1622_41
.LBB1622_44:
	s_or_b64 exec, exec, s[24:25]
	s_xor_b64 s[0:1], s[26:27], -1
	s_branch .LBB1622_46
.LBB1622_45:
	s_mov_b64 s[0:1], -1
.LBB1622_46:
	s_andn2_b64 s[2:3], s[20:21], exec
	s_and_b64 s[0:1], s[0:1], exec
	s_or_b64 s[20:21], s[2:3], s[0:1]
.LBB1622_47:
	s_or_b64 exec, exec, s[22:23]
	v_mov_b32_e32 v4, s33
	v_mov_b32_e32 v5, s9
	v_cndmask_b32_e64 v1, v20, v24, s[20:21]
	v_cndmask_b32_e64 v4, v4, v5, s[20:21]
	v_add_u32_e32 v6, 1, v1
	v_add_u32_e32 v1, -1, v4
	v_min_u32_e32 v1, v6, v1
	v_lshlrev_b32_e32 v1, 3, v1
	ds_read_b64 v[4:5], v1
	v_cndmask_b32_e64 v8, v6, v20, s[20:21]
	v_cndmask_b32_e64 v9, v24, v6, s[20:21]
	v_cmp_gt_u32_e32 vcc, s33, v8
	s_mov_b64 s[24:25], -1
	s_waitcnt lgkmcnt(0)
	v_cndmask_b32_e64 v1, v5, v15, s[20:21]
	v_cndmask_b32_e64 v16, v4, v14, s[20:21]
	;; [unrolled: 1-line block ×4, first 2 shown]
	s_mov_b64 s[22:23], -1
	s_and_saveexec_b64 s[26:27], vcc
	s_cbranch_execz .LBB1622_58
; %bb.48:
	v_cmp_gt_u32_e32 vcc, s9, v9
	s_mov_b64 s[0:1], 0
	s_and_saveexec_b64 s[22:23], vcc
	s_cbranch_execz .LBB1622_57
; %bb.49:
	s_andn2_b64 vcc, exec, s[18:19]
	s_cbranch_vccnz .LBB1622_55
; %bb.50:
	v_mul_lo_u32 v6, v1, s12
	v_mul_lo_u32 v7, v16, s13
	v_mad_u64_u32 v[4:5], s[0:1], v16, s12, 0
	v_add3_u32 v5, v5, v7, v6
	v_mul_lo_u32 v10, v17, s12
	v_mul_lo_u32 v11, v19, s13
	v_mad_u64_u32 v[6:7], s[0:1], v19, s12, 0
	v_add3_u32 v7, v7, v11, v10
	v_lshl_add_u64 v[4:5], v[4:5], 3, s[14:15]
	v_lshl_add_u64 v[6:7], v[6:7], 3, s[14:15]
	s_mov_b64 s[28:29], 0
	s_mov_b64 s[36:37], s[12:13]
                                        ; implicit-def: $sgpr30_sgpr31
                                        ; implicit-def: $sgpr34_sgpr35
                                        ; implicit-def: $sgpr0_sgpr1
                                        ; implicit-def: $sgpr38_sgpr39
	s_branch .LBB1622_52
.LBB1622_51:                            ;   in Loop: Header=BB1622_52 Depth=1
	s_or_b64 exec, exec, s[42:43]
	s_and_b64 s[2:3], exec, s[34:35]
	s_or_b64 s[28:29], s[2:3], s[28:29]
	s_andn2_b64 s[2:3], s[38:39], exec
	s_and_b64 s[38:39], s[40:41], exec
	s_or_b64 s[38:39], s[2:3], s[38:39]
	s_andn2_b64 s[2:3], s[30:31], exec
	s_and_b64 s[30:31], s[0:1], exec
	s_or_b64 s[30:31], s[2:3], s[30:31]
	s_andn2_b64 exec, exec, s[28:29]
	s_cbranch_execz .LBB1622_54
.LBB1622_52:                            ; =>This Inner Loop Header: Depth=1
	global_load_dwordx2 v[10:11], v[4:5], off
	global_load_dwordx2 v[12:13], v[6:7], off
	s_andn2_b64 s[42:43], s[0:1], exec
	s_or_b64 s[34:35], s[34:35], exec
	s_waitcnt vmcnt(0)
	v_cmp_le_u64_e64 s[0:1], v[10:11], v[12:13]
	v_cmp_lt_u64_e32 vcc, v[10:11], v[12:13]
	s_and_b64 s[0:1], s[0:1], s[38:39]
	s_or_b64 s[40:41], vcc, s[0:1]
	s_and_b64 s[0:1], s[40:41], exec
	v_cmp_eq_u64_e64 s[2:3], v[10:11], v[12:13]
	s_or_b64 s[0:1], s[42:43], s[0:1]
	s_and_saveexec_b64 s[42:43], s[2:3]
	s_cbranch_execz .LBB1622_51
; %bb.53:                               ;   in Loop: Header=BB1622_52 Depth=1
	s_add_u32 s36, s36, -1
	s_addc_u32 s37, s37, -1
	s_cmp_eq_u64 s[36:37], 0
	s_cselect_b64 s[2:3], -1, 0
	s_andn2_b64 s[34:35], s[34:35], exec
	s_and_b64 s[2:3], s[2:3], exec
	v_lshl_add_u64 v[4:5], v[4:5], 0, 8
	v_lshl_add_u64 v[6:7], v[6:7], 0, 8
	s_andn2_b64 s[0:1], s[0:1], exec
	s_or_b64 s[34:35], s[34:35], s[2:3]
                                        ; implicit-def: $sgpr38_sgpr39
	s_branch .LBB1622_51
.LBB1622_54:
	s_or_b64 exec, exec, s[28:29]
	s_xor_b64 s[0:1], s[30:31], -1
	s_branch .LBB1622_56
.LBB1622_55:
	s_mov_b64 s[0:1], -1
.LBB1622_56:
	s_and_b64 s[0:1], s[0:1], exec
.LBB1622_57:
	s_or_b64 exec, exec, s[22:23]
	s_orn2_b64 s[22:23], s[0:1], exec
.LBB1622_58:
	s_or_b64 exec, exec, s[26:27]
	v_mov_b32_e32 v5, s33
	v_mov_b32_e32 v6, s9
	v_cndmask_b32_e64 v4, v8, v9, s[22:23]
	v_cndmask_b32_e64 v5, v5, v6, s[22:23]
	v_add_u32_e32 v6, 1, v4
	v_add_u32_e32 v4, -1, v5
	v_min_u32_e32 v4, v6, v4
	v_lshlrev_b32_e32 v4, 3, v4
	ds_read_b64 v[4:5], v4
	v_cndmask_b32_e64 v10, v6, v8, s[22:23]
	v_cndmask_b32_e64 v11, v9, v6, s[22:23]
	v_cmp_gt_u32_e32 vcc, s33, v10
	s_waitcnt lgkmcnt(0)
	v_cndmask_b32_e64 v20, v5, v1, s[22:23]
	v_cndmask_b32_e64 v21, v4, v16, s[22:23]
	;; [unrolled: 1-line block ×4, first 2 shown]
	s_and_saveexec_b64 s[26:27], vcc
	s_cbranch_execz .LBB1622_69
; %bb.59:
	v_cmp_gt_u32_e32 vcc, s9, v11
	s_mov_b64 s[0:1], 0
	s_and_saveexec_b64 s[24:25], vcc
	s_cbranch_execz .LBB1622_68
; %bb.60:
	s_andn2_b64 vcc, exec, s[18:19]
	s_cbranch_vccnz .LBB1622_66
; %bb.61:
	v_mul_lo_u32 v6, v20, s12
	v_mul_lo_u32 v7, v21, s13
	v_mad_u64_u32 v[4:5], s[0:1], v21, s12, 0
	v_add3_u32 v5, v5, v7, v6
	v_mul_lo_u32 v8, v22, s12
	v_mul_lo_u32 v9, v23, s13
	v_mad_u64_u32 v[6:7], s[0:1], v23, s12, 0
	v_add3_u32 v7, v7, v9, v8
	v_lshl_add_u64 v[4:5], v[4:5], 3, s[14:15]
	v_lshl_add_u64 v[6:7], v[6:7], 3, s[14:15]
	s_mov_b64 s[28:29], 0
	s_mov_b64 s[36:37], s[12:13]
                                        ; implicit-def: $sgpr30_sgpr31
                                        ; implicit-def: $sgpr34_sgpr35
                                        ; implicit-def: $sgpr0_sgpr1
                                        ; implicit-def: $sgpr38_sgpr39
	s_branch .LBB1622_63
.LBB1622_62:                            ;   in Loop: Header=BB1622_63 Depth=1
	s_or_b64 exec, exec, s[42:43]
	s_and_b64 s[2:3], exec, s[34:35]
	s_or_b64 s[28:29], s[2:3], s[28:29]
	s_andn2_b64 s[2:3], s[38:39], exec
	s_and_b64 s[38:39], s[40:41], exec
	s_or_b64 s[38:39], s[2:3], s[38:39]
	s_andn2_b64 s[2:3], s[30:31], exec
	s_and_b64 s[30:31], s[0:1], exec
	s_or_b64 s[30:31], s[2:3], s[30:31]
	s_andn2_b64 exec, exec, s[28:29]
	s_cbranch_execz .LBB1622_65
.LBB1622_63:                            ; =>This Inner Loop Header: Depth=1
	global_load_dwordx2 v[8:9], v[4:5], off
	global_load_dwordx2 v[12:13], v[6:7], off
	s_andn2_b64 s[42:43], s[0:1], exec
	s_or_b64 s[34:35], s[34:35], exec
	s_waitcnt vmcnt(0)
	v_cmp_le_u64_e64 s[0:1], v[8:9], v[12:13]
	v_cmp_lt_u64_e32 vcc, v[8:9], v[12:13]
	s_and_b64 s[0:1], s[0:1], s[38:39]
	s_or_b64 s[40:41], vcc, s[0:1]
	s_and_b64 s[0:1], s[40:41], exec
	v_cmp_eq_u64_e64 s[2:3], v[8:9], v[12:13]
	s_or_b64 s[0:1], s[42:43], s[0:1]
	s_and_saveexec_b64 s[42:43], s[2:3]
	s_cbranch_execz .LBB1622_62
; %bb.64:                               ;   in Loop: Header=BB1622_63 Depth=1
	s_add_u32 s36, s36, -1
	s_addc_u32 s37, s37, -1
	s_cmp_eq_u64 s[36:37], 0
	s_cselect_b64 s[2:3], -1, 0
	s_andn2_b64 s[34:35], s[34:35], exec
	s_and_b64 s[2:3], s[2:3], exec
	v_lshl_add_u64 v[4:5], v[4:5], 0, 8
	v_lshl_add_u64 v[6:7], v[6:7], 0, 8
	s_andn2_b64 s[0:1], s[0:1], exec
	s_or_b64 s[34:35], s[34:35], s[2:3]
                                        ; implicit-def: $sgpr38_sgpr39
	s_branch .LBB1622_62
.LBB1622_65:
	s_or_b64 exec, exec, s[28:29]
	s_xor_b64 s[0:1], s[30:31], -1
	s_branch .LBB1622_67
.LBB1622_66:
	s_mov_b64 s[0:1], -1
.LBB1622_67:
	s_and_b64 s[0:1], s[0:1], exec
.LBB1622_68:
	s_or_b64 exec, exec, s[24:25]
	s_orn2_b64 s[24:25], s[0:1], exec
.LBB1622_69:
	s_or_b64 exec, exec, s[26:27]
	v_mov_b32_e32 v5, s33
	v_mov_b32_e32 v6, s9
	v_cndmask_b32_e64 v4, v10, v11, s[24:25]
	v_cndmask_b32_e64 v5, v5, v6, s[24:25]
	v_add_u32_e32 v6, 1, v4
	v_add_u32_e32 v4, -1, v5
	v_min_u32_e32 v4, v6, v4
	v_lshlrev_b32_e32 v4, 3, v4
	ds_read_b64 v[4:5], v4
	v_cndmask_b32_e64 v12, v6, v10, s[24:25]
	v_cndmask_b32_e64 v13, v11, v6, s[24:25]
	v_cmp_gt_u32_e32 vcc, s33, v12
	s_mov_b64 s[28:29], -1
	s_waitcnt lgkmcnt(0)
	v_cndmask_b32_e64 v8, v5, v20, s[24:25]
	v_cndmask_b32_e64 v24, v4, v21, s[24:25]
	;; [unrolled: 1-line block ×4, first 2 shown]
	s_mov_b64 s[26:27], -1
	s_and_saveexec_b64 s[30:31], vcc
	s_cbranch_execz .LBB1622_80
; %bb.70:
	v_cmp_gt_u32_e32 vcc, s9, v13
	s_mov_b64 s[0:1], 0
	s_and_saveexec_b64 s[26:27], vcc
	s_cbranch_execz .LBB1622_79
; %bb.71:
	s_andn2_b64 vcc, exec, s[18:19]
	s_cbranch_vccnz .LBB1622_77
; %bb.72:
	v_mul_lo_u32 v6, v8, s12
	v_mul_lo_u32 v7, v24, s13
	v_mad_u64_u32 v[4:5], s[0:1], v24, s12, 0
	v_add3_u32 v5, v5, v7, v6
	v_mul_lo_u32 v10, v9, s12
	v_mul_lo_u32 v11, v25, s13
	v_mad_u64_u32 v[6:7], s[0:1], v25, s12, 0
	v_add3_u32 v7, v7, v11, v10
	v_lshl_add_u64 v[4:5], v[4:5], 3, s[14:15]
	v_lshl_add_u64 v[6:7], v[6:7], 3, s[14:15]
	s_mov_b64 s[34:35], 0
	s_mov_b64 s[40:41], s[12:13]
                                        ; implicit-def: $sgpr36_sgpr37
                                        ; implicit-def: $sgpr38_sgpr39
                                        ; implicit-def: $sgpr0_sgpr1
                                        ; implicit-def: $sgpr42_sgpr43
	s_branch .LBB1622_74
.LBB1622_73:                            ;   in Loop: Header=BB1622_74 Depth=1
	s_or_b64 exec, exec, s[46:47]
	s_and_b64 s[2:3], exec, s[38:39]
	s_or_b64 s[34:35], s[2:3], s[34:35]
	s_andn2_b64 s[2:3], s[42:43], exec
	s_and_b64 s[42:43], s[44:45], exec
	s_or_b64 s[42:43], s[2:3], s[42:43]
	s_andn2_b64 s[2:3], s[36:37], exec
	s_and_b64 s[36:37], s[0:1], exec
	s_or_b64 s[36:37], s[2:3], s[36:37]
	s_andn2_b64 exec, exec, s[34:35]
	s_cbranch_execz .LBB1622_76
.LBB1622_74:                            ; =>This Inner Loop Header: Depth=1
	global_load_dwordx2 v[10:11], v[4:5], off
	global_load_dwordx2 v[26:27], v[6:7], off
	s_andn2_b64 s[46:47], s[0:1], exec
	s_or_b64 s[38:39], s[38:39], exec
	s_waitcnt vmcnt(0)
	v_cmp_le_u64_e64 s[0:1], v[10:11], v[26:27]
	v_cmp_lt_u64_e32 vcc, v[10:11], v[26:27]
	s_and_b64 s[0:1], s[0:1], s[42:43]
	s_or_b64 s[44:45], vcc, s[0:1]
	s_and_b64 s[0:1], s[44:45], exec
	v_cmp_eq_u64_e64 s[2:3], v[10:11], v[26:27]
	s_or_b64 s[0:1], s[46:47], s[0:1]
	s_and_saveexec_b64 s[46:47], s[2:3]
	s_cbranch_execz .LBB1622_73
; %bb.75:                               ;   in Loop: Header=BB1622_74 Depth=1
	s_add_u32 s40, s40, -1
	s_addc_u32 s41, s41, -1
	s_cmp_eq_u64 s[40:41], 0
	s_cselect_b64 s[2:3], -1, 0
	s_andn2_b64 s[38:39], s[38:39], exec
	s_and_b64 s[2:3], s[2:3], exec
	v_lshl_add_u64 v[4:5], v[4:5], 0, 8
	v_lshl_add_u64 v[6:7], v[6:7], 0, 8
	s_andn2_b64 s[0:1], s[0:1], exec
	s_or_b64 s[38:39], s[38:39], s[2:3]
                                        ; implicit-def: $sgpr42_sgpr43
	s_branch .LBB1622_73
.LBB1622_76:
	s_or_b64 exec, exec, s[34:35]
	s_xor_b64 s[0:1], s[36:37], -1
	s_branch .LBB1622_78
.LBB1622_77:
	s_mov_b64 s[0:1], -1
.LBB1622_78:
	s_and_b64 s[0:1], s[0:1], exec
.LBB1622_79:
	s_or_b64 exec, exec, s[26:27]
	s_orn2_b64 s[26:27], s[0:1], exec
.LBB1622_80:
	s_or_b64 exec, exec, s[30:31]
	v_mov_b32_e32 v5, s33
	v_mov_b32_e32 v6, s9
	v_cndmask_b32_e64 v4, v12, v13, s[26:27]
	v_cndmask_b32_e64 v5, v5, v6, s[26:27]
	v_add_u32_e32 v6, 1, v4
	v_add_u32_e32 v4, -1, v5
	v_min_u32_e32 v4, v6, v4
	v_lshlrev_b32_e32 v4, 3, v4
	ds_read_b64 v[4:5], v4
	v_cndmask_b32_e64 v30, v6, v12, s[26:27]
	v_cndmask_b32_e64 v31, v13, v6, s[26:27]
	v_cmp_gt_u32_e32 vcc, s33, v30
	s_waitcnt lgkmcnt(0)
	v_cndmask_b32_e64 v10, v5, v8, s[26:27]
	v_cndmask_b32_e64 v26, v4, v24, s[26:27]
	;; [unrolled: 1-line block ×4, first 2 shown]
	s_and_saveexec_b64 s[30:31], vcc
	s_cbranch_execz .LBB1622_91
; %bb.81:
	v_cmp_gt_u32_e32 vcc, s9, v31
	s_mov_b64 s[0:1], 0
	s_and_saveexec_b64 s[28:29], vcc
	s_cbranch_execz .LBB1622_90
; %bb.82:
	s_andn2_b64 vcc, exec, s[18:19]
	s_cbranch_vccnz .LBB1622_88
; %bb.83:
	v_mul_lo_u32 v6, v10, s12
	v_mul_lo_u32 v7, v26, s13
	v_mad_u64_u32 v[4:5], s[0:1], v26, s12, 0
	v_add3_u32 v5, v5, v7, v6
	v_mul_lo_u32 v12, v11, s12
	v_mul_lo_u32 v13, v27, s13
	v_mad_u64_u32 v[6:7], s[0:1], v27, s12, 0
	v_add3_u32 v7, v7, v13, v12
	v_lshl_add_u64 v[4:5], v[4:5], 3, s[14:15]
	v_lshl_add_u64 v[6:7], v[6:7], 3, s[14:15]
	s_mov_b64 s[34:35], 0
	s_mov_b64 s[40:41], s[12:13]
                                        ; implicit-def: $sgpr36_sgpr37
                                        ; implicit-def: $sgpr38_sgpr39
                                        ; implicit-def: $sgpr0_sgpr1
                                        ; implicit-def: $sgpr42_sgpr43
	s_branch .LBB1622_85
.LBB1622_84:                            ;   in Loop: Header=BB1622_85 Depth=1
	s_or_b64 exec, exec, s[46:47]
	s_and_b64 s[2:3], exec, s[38:39]
	s_or_b64 s[34:35], s[2:3], s[34:35]
	s_andn2_b64 s[2:3], s[42:43], exec
	s_and_b64 s[42:43], s[44:45], exec
	s_or_b64 s[42:43], s[2:3], s[42:43]
	s_andn2_b64 s[2:3], s[36:37], exec
	s_and_b64 s[36:37], s[0:1], exec
	s_or_b64 s[36:37], s[2:3], s[36:37]
	s_andn2_b64 exec, exec, s[34:35]
	s_cbranch_execz .LBB1622_87
.LBB1622_85:                            ; =>This Inner Loop Header: Depth=1
	global_load_dwordx2 v[12:13], v[4:5], off
	global_load_dwordx2 v[28:29], v[6:7], off
	s_andn2_b64 s[46:47], s[0:1], exec
	s_or_b64 s[38:39], s[38:39], exec
	s_waitcnt vmcnt(0)
	v_cmp_le_u64_e64 s[0:1], v[12:13], v[28:29]
	v_cmp_lt_u64_e32 vcc, v[12:13], v[28:29]
	s_and_b64 s[0:1], s[0:1], s[42:43]
	s_or_b64 s[44:45], vcc, s[0:1]
	s_and_b64 s[0:1], s[44:45], exec
	v_cmp_eq_u64_e64 s[2:3], v[12:13], v[28:29]
	s_or_b64 s[0:1], s[46:47], s[0:1]
	s_and_saveexec_b64 s[46:47], s[2:3]
	s_cbranch_execz .LBB1622_84
; %bb.86:                               ;   in Loop: Header=BB1622_85 Depth=1
	s_add_u32 s40, s40, -1
	s_addc_u32 s41, s41, -1
	s_cmp_eq_u64 s[40:41], 0
	s_cselect_b64 s[2:3], -1, 0
	s_andn2_b64 s[38:39], s[38:39], exec
	s_and_b64 s[2:3], s[2:3], exec
	v_lshl_add_u64 v[4:5], v[4:5], 0, 8
	v_lshl_add_u64 v[6:7], v[6:7], 0, 8
	s_andn2_b64 s[0:1], s[0:1], exec
	s_or_b64 s[38:39], s[38:39], s[2:3]
                                        ; implicit-def: $sgpr42_sgpr43
	s_branch .LBB1622_84
.LBB1622_87:
	s_or_b64 exec, exec, s[34:35]
	s_xor_b64 s[0:1], s[36:37], -1
	s_branch .LBB1622_89
.LBB1622_88:
	s_mov_b64 s[0:1], -1
.LBB1622_89:
	s_and_b64 s[0:1], s[0:1], exec
.LBB1622_90:
	s_or_b64 exec, exec, s[28:29]
	s_orn2_b64 s[28:29], s[0:1], exec
.LBB1622_91:
	s_or_b64 exec, exec, s[30:31]
	v_mov_b32_e32 v5, s33
	v_mov_b32_e32 v6, s9
	v_cndmask_b32_e64 v4, v30, v31, s[28:29]
	v_cndmask_b32_e64 v5, v5, v6, s[28:29]
	v_add_u32_e32 v6, 1, v4
	v_add_u32_e32 v4, -1, v5
	v_min_u32_e32 v4, v6, v4
	v_lshlrev_b32_e32 v4, 3, v4
	ds_read_b64 v[4:5], v4
	v_cndmask_b32_e64 v32, v6, v30, s[28:29]
	v_cndmask_b32_e64 v36, v31, v6, s[28:29]
	v_cmp_gt_u32_e32 vcc, s33, v32
	s_mov_b64 s[30:31], -1
	s_waitcnt lgkmcnt(0)
	v_cndmask_b32_e64 v12, v5, v10, s[28:29]
	v_cndmask_b32_e64 v28, v4, v26, s[28:29]
	;; [unrolled: 1-line block ×4, first 2 shown]
	s_mov_b64 s[34:35], -1
	s_and_saveexec_b64 s[36:37], vcc
	s_cbranch_execz .LBB1622_102
; %bb.92:
	v_cmp_gt_u32_e32 vcc, s9, v36
	s_mov_b64 s[0:1], 0
	s_and_saveexec_b64 s[34:35], vcc
	s_cbranch_execz .LBB1622_101
; %bb.93:
	s_andn2_b64 vcc, exec, s[18:19]
	s_cbranch_vccnz .LBB1622_99
; %bb.94:
	v_mul_lo_u32 v6, v12, s12
	v_mul_lo_u32 v7, v28, s13
	v_mad_u64_u32 v[4:5], s[0:1], v28, s12, 0
	v_add3_u32 v5, v5, v7, v6
	v_mul_lo_u32 v30, v13, s12
	v_mul_lo_u32 v31, v29, s13
	v_mad_u64_u32 v[6:7], s[0:1], v29, s12, 0
	v_add3_u32 v7, v7, v31, v30
	v_lshl_add_u64 v[4:5], v[4:5], 3, s[14:15]
	v_lshl_add_u64 v[6:7], v[6:7], 3, s[14:15]
	s_mov_b64 s[38:39], 0
	s_mov_b64 s[44:45], s[12:13]
                                        ; implicit-def: $sgpr40_sgpr41
                                        ; implicit-def: $sgpr42_sgpr43
                                        ; implicit-def: $sgpr0_sgpr1
                                        ; implicit-def: $sgpr46_sgpr47
	s_branch .LBB1622_96
.LBB1622_95:                            ;   in Loop: Header=BB1622_96 Depth=1
	s_or_b64 exec, exec, s[50:51]
	s_and_b64 s[2:3], exec, s[42:43]
	s_or_b64 s[38:39], s[2:3], s[38:39]
	s_andn2_b64 s[2:3], s[46:47], exec
	s_and_b64 s[46:47], s[48:49], exec
	s_or_b64 s[46:47], s[2:3], s[46:47]
	s_andn2_b64 s[2:3], s[40:41], exec
	s_and_b64 s[40:41], s[0:1], exec
	s_or_b64 s[40:41], s[2:3], s[40:41]
	s_andn2_b64 exec, exec, s[38:39]
	s_cbranch_execz .LBB1622_98
.LBB1622_96:                            ; =>This Inner Loop Header: Depth=1
	global_load_dwordx2 v[30:31], v[4:5], off
	global_load_dwordx2 v[34:35], v[6:7], off
	s_andn2_b64 s[50:51], s[0:1], exec
	s_or_b64 s[42:43], s[42:43], exec
	s_waitcnt vmcnt(0)
	v_cmp_le_u64_e64 s[0:1], v[30:31], v[34:35]
	v_cmp_lt_u64_e32 vcc, v[30:31], v[34:35]
	s_and_b64 s[0:1], s[0:1], s[46:47]
	s_or_b64 s[48:49], vcc, s[0:1]
	s_and_b64 s[0:1], s[48:49], exec
	v_cmp_eq_u64_e64 s[2:3], v[30:31], v[34:35]
	s_or_b64 s[0:1], s[50:51], s[0:1]
	s_and_saveexec_b64 s[50:51], s[2:3]
	s_cbranch_execz .LBB1622_95
; %bb.97:                               ;   in Loop: Header=BB1622_96 Depth=1
	s_add_u32 s44, s44, -1
	s_addc_u32 s45, s45, -1
	s_cmp_eq_u64 s[44:45], 0
	s_cselect_b64 s[2:3], -1, 0
	s_andn2_b64 s[42:43], s[42:43], exec
	s_and_b64 s[2:3], s[2:3], exec
	v_lshl_add_u64 v[4:5], v[4:5], 0, 8
	v_lshl_add_u64 v[6:7], v[6:7], 0, 8
	s_andn2_b64 s[0:1], s[0:1], exec
	s_or_b64 s[42:43], s[42:43], s[2:3]
                                        ; implicit-def: $sgpr46_sgpr47
	s_branch .LBB1622_95
.LBB1622_98:
	s_or_b64 exec, exec, s[38:39]
	s_xor_b64 s[0:1], s[40:41], -1
	s_branch .LBB1622_100
.LBB1622_99:
	s_mov_b64 s[0:1], -1
.LBB1622_100:
	s_and_b64 s[0:1], s[0:1], exec
.LBB1622_101:
	s_or_b64 exec, exec, s[34:35]
	s_orn2_b64 s[34:35], s[0:1], exec
.LBB1622_102:
	s_or_b64 exec, exec, s[36:37]
	v_mov_b32_e32 v5, s33
	v_mov_b32_e32 v6, s9
	v_cndmask_b32_e64 v4, v32, v36, s[34:35]
	v_cndmask_b32_e64 v5, v5, v6, s[34:35]
	v_add_u32_e32 v6, 1, v4
	v_add_u32_e32 v4, -1, v5
	v_min_u32_e32 v4, v6, v4
	v_lshlrev_b32_e32 v4, 3, v4
	ds_read_b64 v[4:5], v4
	v_cndmask_b32_e64 v33, v6, v32, s[34:35]
	v_cndmask_b32_e64 v32, v36, v6, s[34:35]
	v_cmp_gt_u32_e32 vcc, s33, v33
	s_waitcnt lgkmcnt(0)
	v_cndmask_b32_e64 v30, v5, v12, s[34:35]
	v_cndmask_b32_e64 v31, v4, v28, s[34:35]
	v_cndmask_b32_e64 v34, v13, v5, s[34:35]
	v_cndmask_b32_e64 v35, v29, v4, s[34:35]
	s_and_saveexec_b64 s[36:37], vcc
	s_cbranch_execz .LBB1622_113
; %bb.103:
	v_cmp_gt_u32_e32 vcc, s9, v32
	s_mov_b64 s[0:1], 0
	s_and_saveexec_b64 s[30:31], vcc
	s_cbranch_execz .LBB1622_112
; %bb.104:
	s_andn2_b64 vcc, exec, s[18:19]
	s_cbranch_vccnz .LBB1622_110
; %bb.105:
	v_mul_lo_u32 v6, v30, s12
	v_mul_lo_u32 v7, v31, s13
	v_mad_u64_u32 v[4:5], s[0:1], v31, s12, 0
	v_add3_u32 v5, v5, v7, v6
	v_mul_lo_u32 v36, v34, s12
	v_mul_lo_u32 v37, v35, s13
	v_mad_u64_u32 v[6:7], s[0:1], v35, s12, 0
	v_add3_u32 v7, v7, v37, v36
	v_lshl_add_u64 v[4:5], v[4:5], 3, s[14:15]
	v_lshl_add_u64 v[6:7], v[6:7], 3, s[14:15]
	s_mov_b64 s[38:39], 0
	s_mov_b64 s[44:45], s[12:13]
                                        ; implicit-def: $sgpr40_sgpr41
                                        ; implicit-def: $sgpr42_sgpr43
                                        ; implicit-def: $sgpr0_sgpr1
                                        ; implicit-def: $sgpr46_sgpr47
	s_branch .LBB1622_107
.LBB1622_106:                           ;   in Loop: Header=BB1622_107 Depth=1
	s_or_b64 exec, exec, s[50:51]
	s_and_b64 s[2:3], exec, s[42:43]
	s_or_b64 s[38:39], s[2:3], s[38:39]
	s_andn2_b64 s[2:3], s[46:47], exec
	s_and_b64 s[46:47], s[48:49], exec
	s_or_b64 s[46:47], s[2:3], s[46:47]
	s_andn2_b64 s[2:3], s[40:41], exec
	s_and_b64 s[40:41], s[0:1], exec
	s_or_b64 s[40:41], s[2:3], s[40:41]
	s_andn2_b64 exec, exec, s[38:39]
	s_cbranch_execz .LBB1622_109
.LBB1622_107:                           ; =>This Inner Loop Header: Depth=1
	global_load_dwordx2 v[36:37], v[4:5], off
	global_load_dwordx2 v[38:39], v[6:7], off
	s_andn2_b64 s[50:51], s[0:1], exec
	s_or_b64 s[42:43], s[42:43], exec
	s_waitcnt vmcnt(0)
	v_cmp_le_u64_e64 s[0:1], v[36:37], v[38:39]
	v_cmp_lt_u64_e32 vcc, v[36:37], v[38:39]
	s_and_b64 s[0:1], s[0:1], s[46:47]
	s_or_b64 s[48:49], vcc, s[0:1]
	s_and_b64 s[0:1], s[48:49], exec
	v_cmp_eq_u64_e64 s[2:3], v[36:37], v[38:39]
	s_or_b64 s[0:1], s[50:51], s[0:1]
	s_and_saveexec_b64 s[50:51], s[2:3]
	s_cbranch_execz .LBB1622_106
; %bb.108:                              ;   in Loop: Header=BB1622_107 Depth=1
	s_add_u32 s44, s44, -1
	s_addc_u32 s45, s45, -1
	s_cmp_eq_u64 s[44:45], 0
	s_cselect_b64 s[2:3], -1, 0
	s_andn2_b64 s[42:43], s[42:43], exec
	s_and_b64 s[2:3], s[2:3], exec
	v_lshl_add_u64 v[4:5], v[4:5], 0, 8
	v_lshl_add_u64 v[6:7], v[6:7], 0, 8
	s_andn2_b64 s[0:1], s[0:1], exec
	s_or_b64 s[42:43], s[42:43], s[2:3]
                                        ; implicit-def: $sgpr46_sgpr47
	s_branch .LBB1622_106
.LBB1622_109:
	s_or_b64 exec, exec, s[38:39]
	s_xor_b64 s[0:1], s[40:41], -1
	s_branch .LBB1622_111
.LBB1622_110:
	s_mov_b64 s[0:1], -1
.LBB1622_111:
	s_and_b64 s[0:1], s[0:1], exec
.LBB1622_112:
	s_or_b64 exec, exec, s[30:31]
	s_orn2_b64 s[30:31], s[0:1], exec
.LBB1622_113:
	s_or_b64 exec, exec, s[36:37]
	v_cndmask_b32_e64 v5, v1, v17, s[22:23]
	v_cndmask_b32_e64 v4, v16, v19, s[22:23]
	v_mov_b32_e32 v16, s33
	v_mov_b32_e32 v17, s9
	v_cndmask_b32_e64 v1, v33, v32, s[30:31]
	v_cndmask_b32_e64 v16, v16, v17, s[30:31]
	v_add_u32_e32 v1, 1, v1
	v_add_u32_e32 v16, -1, v16
	v_min_u32_e32 v16, v1, v16
	v_lshlrev_b32_e32 v16, 3, v16
	v_cndmask_b32_e64 v7, v20, v22, s[24:25]
	v_cndmask_b32_e64 v6, v21, v23, s[24:25]
	ds_read_b64 v[20:21], v16
	v_cndmask_b32_e64 v19, v1, v33, s[30:31]
	v_cndmask_b32_e64 v13, v12, v13, s[34:35]
	;; [unrolled: 1-line block ×11, first 2 shown]
	s_waitcnt lgkmcnt(0)
	v_cndmask_b32_e64 v17, v34, v21, s[30:31]
	v_cndmask_b32_e64 v16, v35, v20, s[30:31]
	v_cmp_gt_u32_e32 vcc, s33, v19
	s_and_saveexec_b64 s[20:21], vcc
	s_cbranch_execz .LBB1622_123
; %bb.114:
	v_cndmask_b32_e64 v1, v32, v1, s[30:31]
	v_cndmask_b32_e64 v21, v21, v30, s[30:31]
	;; [unrolled: 1-line block ×3, first 2 shown]
	v_cmp_gt_u32_e32 vcc, s9, v1
	s_and_saveexec_b64 s[22:23], vcc
	s_cbranch_execz .LBB1622_122
; %bb.115:
	s_andn2_b64 vcc, exec, s[18:19]
	s_cbranch_vccnz .LBB1622_121
; %bb.116:
	v_mul_lo_u32 v1, v21, s12
	v_mul_lo_u32 v19, v20, s13
	v_mad_u64_u32 v[22:23], s[0:1], v20, s12, 0
	v_add3_u32 v23, v23, v19, v1
	v_mul_lo_u32 v1, v17, s12
	v_mul_lo_u32 v19, v16, s13
	v_mad_u64_u32 v[24:25], s[0:1], v16, s12, 0
	v_add3_u32 v25, v25, v19, v1
	v_lshl_add_u64 v[22:23], v[22:23], 3, s[14:15]
	v_lshl_add_u64 v[24:25], v[24:25], 3, s[14:15]
	s_mov_b64 s[14:15], 0
                                        ; implicit-def: $sgpr18_sgpr19
                                        ; implicit-def: $sgpr24_sgpr25
                                        ; implicit-def: $sgpr0_sgpr1
                                        ; implicit-def: $sgpr26_sgpr27
	s_branch .LBB1622_118
.LBB1622_117:                           ;   in Loop: Header=BB1622_118 Depth=1
	s_or_b64 exec, exec, s[30:31]
	s_and_b64 s[2:3], exec, s[24:25]
	s_or_b64 s[14:15], s[2:3], s[14:15]
	s_andn2_b64 s[2:3], s[26:27], exec
	s_and_b64 s[26:27], s[28:29], exec
	s_or_b64 s[26:27], s[2:3], s[26:27]
	s_andn2_b64 s[2:3], s[18:19], exec
	s_and_b64 s[18:19], s[0:1], exec
	s_or_b64 s[18:19], s[2:3], s[18:19]
	s_andn2_b64 exec, exec, s[14:15]
	s_cbranch_execz .LBB1622_120
.LBB1622_118:                           ; =>This Inner Loop Header: Depth=1
	global_load_dwordx2 v[26:27], v[22:23], off
	global_load_dwordx2 v[28:29], v[24:25], off
	s_andn2_b64 s[30:31], s[0:1], exec
	s_or_b64 s[24:25], s[24:25], exec
	s_waitcnt vmcnt(0)
	v_cmp_le_u64_e64 s[0:1], v[26:27], v[28:29]
	v_cmp_lt_u64_e32 vcc, v[26:27], v[28:29]
	s_and_b64 s[0:1], s[0:1], s[26:27]
	s_or_b64 s[28:29], vcc, s[0:1]
	s_and_b64 s[0:1], s[28:29], exec
	v_cmp_eq_u64_e64 s[2:3], v[26:27], v[28:29]
	s_or_b64 s[0:1], s[30:31], s[0:1]
	s_and_saveexec_b64 s[30:31], s[2:3]
	s_cbranch_execz .LBB1622_117
; %bb.119:                              ;   in Loop: Header=BB1622_118 Depth=1
	s_add_u32 s12, s12, -1
	s_addc_u32 s13, s13, -1
	s_cmp_eq_u64 s[12:13], 0
	s_cselect_b64 s[2:3], -1, 0
	s_andn2_b64 s[24:25], s[24:25], exec
	s_and_b64 s[2:3], s[2:3], exec
	v_lshl_add_u64 v[22:23], v[22:23], 0, 8
	v_lshl_add_u64 v[24:25], v[24:25], 0, 8
	s_andn2_b64 s[0:1], s[0:1], exec
	s_or_b64 s[24:25], s[24:25], s[2:3]
                                        ; implicit-def: $sgpr26_sgpr27
	s_branch .LBB1622_117
.LBB1622_120:
	s_or_b64 exec, exec, s[14:15]
	v_cndmask_b32_e64 v17, v17, v21, s[18:19]
	v_cndmask_b32_e64 v16, v16, v20, s[18:19]
.LBB1622_121:
	v_mov_b64_e32 v[20:21], v[16:17]
.LBB1622_122:
	s_or_b64 exec, exec, s[22:23]
	v_mov_b64_e32 v[16:17], v[20:21]
.LBB1622_123:
	s_or_b64 exec, exec, s[20:21]
.LBB1622_124:
	s_or_b64 exec, exec, s[4:5]
	v_lshrrev_b32_e32 v1, 2, v0
	v_lshlrev_b32_e32 v19, 3, v18
	v_lshl_add_u32 v19, v1, 3, v19
	v_and_b32_e32 v1, 24, v1
	v_or_b32_e32 v23, 0x80, v0
	v_add_u32_e32 v24, v1, v18
	v_lshrrev_b32_e32 v1, 2, v23
	v_and_b32_e32 v1, 56, v1
	v_or_b32_e32 v22, 0x100, v0
	s_barrier
	s_barrier
	ds_write2_b64 v19, v[2:3], v[4:5] offset1:1
	ds_write2_b64 v19, v[6:7], v[8:9] offset0:2 offset1:3
	ds_write2_b64 v19, v[10:11], v[12:13] offset0:4 offset1:5
	;; [unrolled: 1-line block ×3, first 2 shown]
	v_add_u32_e32 v4, v1, v18
	v_lshrrev_b32_e32 v1, 2, v22
	v_and_b32_e32 v1, 0x58, v1
	v_or_b32_e32 v21, 0x180, v0
	v_add_u32_e32 v5, v1, v18
	v_lshrrev_b32_e32 v1, 2, v21
	v_and_b32_e32 v1, 0x78, v1
	v_or_b32_e32 v20, 0x200, v0
	;; [unrolled: 4-line block ×4, first 2 shown]
	v_add_u32_e32 v25, v1, v18
	v_lshrrev_b32_e32 v1, 2, v16
	v_and_b32_e32 v1, 0xd8, v1
	s_lshl_b64 s[0:1], s[16:17], 3
	v_add_u32_e32 v26, v1, v18
	v_or_b32_e32 v1, 0x380, v0
	s_add_u32 s0, s6, s0
	v_lshrrev_b32_e32 v2, 2, v1
	s_addc_u32 s1, s7, s1
	v_and_b32_e32 v2, 0xf8, v2
	v_mov_b32_e32 v19, 0
	v_add_u32_e32 v27, v2, v18
	v_lshl_add_u64 v[2:3], s[0:1], 0, v[18:19]
	s_and_b64 vcc, exec, s[10:11]
	s_waitcnt lgkmcnt(0)
	s_cbranch_vccz .LBB1622_126
; %bb.125:
	s_barrier
	ds_read_b64 v[8:9], v24
	ds_read_b64 v[10:11], v4 offset:1024
	ds_read_b64 v[12:13], v5 offset:2048
	;; [unrolled: 1-line block ×7, first 2 shown]
	s_waitcnt lgkmcnt(7)
	global_store_dwordx2 v[2:3], v[8:9], off
	s_waitcnt lgkmcnt(6)
	global_store_dwordx2 v[2:3], v[10:11], off offset:1024
	s_waitcnt lgkmcnt(5)
	global_store_dwordx2 v[2:3], v[12:13], off offset:2048
	;; [unrolled: 2-line block ×3, first 2 shown]
	v_add_co_u32_e32 v8, vcc, 0x1000, v2
	s_nop 1
	v_addc_co_u32_e32 v9, vcc, 0, v3, vcc
	s_waitcnt lgkmcnt(3)
	global_store_dwordx2 v[8:9], v[28:29], off
	s_waitcnt lgkmcnt(2)
	global_store_dwordx2 v[8:9], v[30:31], off offset:1024
	s_waitcnt lgkmcnt(1)
	global_store_dwordx2 v[8:9], v[32:33], off offset:2048
	s_mov_b64 s[0:1], -1
	s_cbranch_execz .LBB1622_127
	s_branch .LBB1622_136
.LBB1622_126:
	s_mov_b64 s[0:1], 0
                                        ; implicit-def: $vgpr18_vgpr19
.LBB1622_127:
	s_barrier
	s_waitcnt lgkmcnt(0)
	ds_read_b64 v[14:15], v4 offset:1024
	ds_read_b64 v[12:13], v5 offset:2048
	;; [unrolled: 1-line block ×7, first 2 shown]
	s_sub_i32 s2, s8, s16
	v_cmp_gt_u32_e32 vcc, s2, v0
	s_and_saveexec_b64 s[0:1], vcc
	s_cbranch_execnz .LBB1622_139
; %bb.128:
	s_or_b64 exec, exec, s[0:1]
	v_cmp_gt_u32_e32 vcc, s2, v23
	s_and_saveexec_b64 s[0:1], vcc
	s_cbranch_execnz .LBB1622_140
.LBB1622_129:
	s_or_b64 exec, exec, s[0:1]
	v_cmp_gt_u32_e32 vcc, s2, v22
	s_and_saveexec_b64 s[0:1], vcc
	s_cbranch_execnz .LBB1622_141
.LBB1622_130:
	s_or_b64 exec, exec, s[0:1]
	v_cmp_gt_u32_e32 vcc, s2, v21
	s_and_saveexec_b64 s[0:1], vcc
	s_cbranch_execnz .LBB1622_142
.LBB1622_131:
	s_or_b64 exec, exec, s[0:1]
	v_cmp_gt_u32_e32 vcc, s2, v20
	s_and_saveexec_b64 s[0:1], vcc
	s_cbranch_execnz .LBB1622_143
.LBB1622_132:
	s_or_b64 exec, exec, s[0:1]
	v_cmp_gt_u32_e32 vcc, s2, v17
	s_and_saveexec_b64 s[0:1], vcc
	s_cbranch_execnz .LBB1622_144
.LBB1622_133:
	s_or_b64 exec, exec, s[0:1]
	v_cmp_gt_u32_e32 vcc, s2, v16
	s_and_saveexec_b64 s[0:1], vcc
	s_cbranch_execz .LBB1622_135
.LBB1622_134:
	s_waitcnt lgkmcnt(2)
	v_add_co_u32_e32 v6, vcc, 0x1000, v2
	s_nop 1
	v_addc_co_u32_e32 v7, vcc, 0, v3, vcc
	s_waitcnt lgkmcnt(1)
	global_store_dwordx2 v[6:7], v[4:5], off offset:2048
.LBB1622_135:
	s_or_b64 exec, exec, s[0:1]
	v_cmp_gt_u32_e64 s[0:1], s2, v1
.LBB1622_136:
	s_and_saveexec_b64 s[2:3], s[0:1]
	s_cbranch_execz .LBB1622_138
; %bb.137:
	v_add_co_u32_e32 v0, vcc, 0x1000, v2
	s_nop 1
	v_addc_co_u32_e32 v1, vcc, 0, v3, vcc
	s_waitcnt lgkmcnt(0)
	global_store_dwordx2 v[0:1], v[18:19], off offset:3072
.LBB1622_138:
	s_endpgm
.LBB1622_139:
	ds_read_b64 v[24:25], v24
	s_waitcnt lgkmcnt(0)
	global_store_dwordx2 v[2:3], v[24:25], off
	s_or_b64 exec, exec, s[0:1]
	v_cmp_gt_u32_e32 vcc, s2, v23
	s_and_saveexec_b64 s[0:1], vcc
	s_cbranch_execz .LBB1622_129
.LBB1622_140:
	s_waitcnt lgkmcnt(6)
	global_store_dwordx2 v[2:3], v[14:15], off offset:1024
	s_or_b64 exec, exec, s[0:1]
	v_cmp_gt_u32_e32 vcc, s2, v22
	s_and_saveexec_b64 s[0:1], vcc
	s_cbranch_execz .LBB1622_130
.LBB1622_141:
	s_waitcnt lgkmcnt(5)
	global_store_dwordx2 v[2:3], v[12:13], off offset:2048
	s_or_b64 exec, exec, s[0:1]
	v_cmp_gt_u32_e32 vcc, s2, v21
	s_and_saveexec_b64 s[0:1], vcc
	s_cbranch_execz .LBB1622_131
.LBB1622_142:
	s_waitcnt lgkmcnt(4)
	global_store_dwordx2 v[2:3], v[10:11], off offset:3072
	s_or_b64 exec, exec, s[0:1]
	v_cmp_gt_u32_e32 vcc, s2, v20
	s_and_saveexec_b64 s[0:1], vcc
	s_cbranch_execz .LBB1622_132
.LBB1622_143:
	s_waitcnt lgkmcnt(4)
	v_add_co_u32_e32 v10, vcc, 0x1000, v2
	s_nop 1
	v_addc_co_u32_e32 v11, vcc, 0, v3, vcc
	s_waitcnt lgkmcnt(3)
	global_store_dwordx2 v[10:11], v[8:9], off
	s_or_b64 exec, exec, s[0:1]
	v_cmp_gt_u32_e32 vcc, s2, v17
	s_and_saveexec_b64 s[0:1], vcc
	s_cbranch_execz .LBB1622_133
.LBB1622_144:
	s_waitcnt lgkmcnt(3)
	v_add_co_u32_e32 v8, vcc, 0x1000, v2
	s_nop 1
	v_addc_co_u32_e32 v9, vcc, 0, v3, vcc
	s_waitcnt lgkmcnt(2)
	global_store_dwordx2 v[8:9], v[6:7], off offset:1024
	s_or_b64 exec, exec, s[0:1]
	v_cmp_gt_u32_e32 vcc, s2, v16
	s_and_saveexec_b64 s[0:1], vcc
	s_cbranch_execnz .LBB1622_134
	s_branch .LBB1622_135
	.section	.rodata,"a",@progbits
	.p2align	6, 0x0
	.amdhsa_kernel _ZN7rocprim17ROCPRIM_400000_NS6detail17trampoline_kernelINS0_14default_configENS1_38merge_sort_block_merge_config_selectorIlNS0_10empty_typeEEEZZNS1_27merge_sort_block_merge_implIS3_PlPS5_mZN2at6native12_GLOBAL__N_124unique_dim_cuda_templateImEESt5tupleIJNSA_6TensorESF_SF_EERKSF_lbbbEUlllE_EE10hipError_tT0_T1_T2_jT3_P12ihipStream_tbPNSt15iterator_traitsISL_E10value_typeEPNSR_ISM_E10value_typeEPSN_NS1_7vsmem_tEENKUlT_SL_SM_SN_E_clIS8_S8_S9_S9_EESK_S10_SL_SM_SN_EUlS10_E0_NS1_11comp_targetILNS1_3genE0ELNS1_11target_archE4294967295ELNS1_3gpuE0ELNS1_3repE0EEENS1_38merge_mergepath_config_static_selectorELNS0_4arch9wavefront6targetE1EEEvSM_
		.amdhsa_group_segment_fixed_size 8448
		.amdhsa_private_segment_fixed_size 0
		.amdhsa_kernarg_size 344
		.amdhsa_user_sgpr_count 2
		.amdhsa_user_sgpr_dispatch_ptr 0
		.amdhsa_user_sgpr_queue_ptr 0
		.amdhsa_user_sgpr_kernarg_segment_ptr 1
		.amdhsa_user_sgpr_dispatch_id 0
		.amdhsa_user_sgpr_kernarg_preload_length 0
		.amdhsa_user_sgpr_kernarg_preload_offset 0
		.amdhsa_user_sgpr_private_segment_size 0
		.amdhsa_uses_dynamic_stack 0
		.amdhsa_enable_private_segment 0
		.amdhsa_system_sgpr_workgroup_id_x 1
		.amdhsa_system_sgpr_workgroup_id_y 1
		.amdhsa_system_sgpr_workgroup_id_z 1
		.amdhsa_system_sgpr_workgroup_info 0
		.amdhsa_system_vgpr_workitem_id 0
		.amdhsa_next_free_vgpr 40
		.amdhsa_next_free_sgpr 52
		.amdhsa_accum_offset 40
		.amdhsa_reserve_vcc 1
		.amdhsa_float_round_mode_32 0
		.amdhsa_float_round_mode_16_64 0
		.amdhsa_float_denorm_mode_32 3
		.amdhsa_float_denorm_mode_16_64 3
		.amdhsa_dx10_clamp 1
		.amdhsa_ieee_mode 1
		.amdhsa_fp16_overflow 0
		.amdhsa_tg_split 0
		.amdhsa_exception_fp_ieee_invalid_op 0
		.amdhsa_exception_fp_denorm_src 0
		.amdhsa_exception_fp_ieee_div_zero 0
		.amdhsa_exception_fp_ieee_overflow 0
		.amdhsa_exception_fp_ieee_underflow 0
		.amdhsa_exception_fp_ieee_inexact 0
		.amdhsa_exception_int_div_zero 0
	.end_amdhsa_kernel
	.section	.text._ZN7rocprim17ROCPRIM_400000_NS6detail17trampoline_kernelINS0_14default_configENS1_38merge_sort_block_merge_config_selectorIlNS0_10empty_typeEEEZZNS1_27merge_sort_block_merge_implIS3_PlPS5_mZN2at6native12_GLOBAL__N_124unique_dim_cuda_templateImEESt5tupleIJNSA_6TensorESF_SF_EERKSF_lbbbEUlllE_EE10hipError_tT0_T1_T2_jT3_P12ihipStream_tbPNSt15iterator_traitsISL_E10value_typeEPNSR_ISM_E10value_typeEPSN_NS1_7vsmem_tEENKUlT_SL_SM_SN_E_clIS8_S8_S9_S9_EESK_S10_SL_SM_SN_EUlS10_E0_NS1_11comp_targetILNS1_3genE0ELNS1_11target_archE4294967295ELNS1_3gpuE0ELNS1_3repE0EEENS1_38merge_mergepath_config_static_selectorELNS0_4arch9wavefront6targetE1EEEvSM_,"axG",@progbits,_ZN7rocprim17ROCPRIM_400000_NS6detail17trampoline_kernelINS0_14default_configENS1_38merge_sort_block_merge_config_selectorIlNS0_10empty_typeEEEZZNS1_27merge_sort_block_merge_implIS3_PlPS5_mZN2at6native12_GLOBAL__N_124unique_dim_cuda_templateImEESt5tupleIJNSA_6TensorESF_SF_EERKSF_lbbbEUlllE_EE10hipError_tT0_T1_T2_jT3_P12ihipStream_tbPNSt15iterator_traitsISL_E10value_typeEPNSR_ISM_E10value_typeEPSN_NS1_7vsmem_tEENKUlT_SL_SM_SN_E_clIS8_S8_S9_S9_EESK_S10_SL_SM_SN_EUlS10_E0_NS1_11comp_targetILNS1_3genE0ELNS1_11target_archE4294967295ELNS1_3gpuE0ELNS1_3repE0EEENS1_38merge_mergepath_config_static_selectorELNS0_4arch9wavefront6targetE1EEEvSM_,comdat
.Lfunc_end1622:
	.size	_ZN7rocprim17ROCPRIM_400000_NS6detail17trampoline_kernelINS0_14default_configENS1_38merge_sort_block_merge_config_selectorIlNS0_10empty_typeEEEZZNS1_27merge_sort_block_merge_implIS3_PlPS5_mZN2at6native12_GLOBAL__N_124unique_dim_cuda_templateImEESt5tupleIJNSA_6TensorESF_SF_EERKSF_lbbbEUlllE_EE10hipError_tT0_T1_T2_jT3_P12ihipStream_tbPNSt15iterator_traitsISL_E10value_typeEPNSR_ISM_E10value_typeEPSN_NS1_7vsmem_tEENKUlT_SL_SM_SN_E_clIS8_S8_S9_S9_EESK_S10_SL_SM_SN_EUlS10_E0_NS1_11comp_targetILNS1_3genE0ELNS1_11target_archE4294967295ELNS1_3gpuE0ELNS1_3repE0EEENS1_38merge_mergepath_config_static_selectorELNS0_4arch9wavefront6targetE1EEEvSM_, .Lfunc_end1622-_ZN7rocprim17ROCPRIM_400000_NS6detail17trampoline_kernelINS0_14default_configENS1_38merge_sort_block_merge_config_selectorIlNS0_10empty_typeEEEZZNS1_27merge_sort_block_merge_implIS3_PlPS5_mZN2at6native12_GLOBAL__N_124unique_dim_cuda_templateImEESt5tupleIJNSA_6TensorESF_SF_EERKSF_lbbbEUlllE_EE10hipError_tT0_T1_T2_jT3_P12ihipStream_tbPNSt15iterator_traitsISL_E10value_typeEPNSR_ISM_E10value_typeEPSN_NS1_7vsmem_tEENKUlT_SL_SM_SN_E_clIS8_S8_S9_S9_EESK_S10_SL_SM_SN_EUlS10_E0_NS1_11comp_targetILNS1_3genE0ELNS1_11target_archE4294967295ELNS1_3gpuE0ELNS1_3repE0EEENS1_38merge_mergepath_config_static_selectorELNS0_4arch9wavefront6targetE1EEEvSM_
                                        ; -- End function
	.set _ZN7rocprim17ROCPRIM_400000_NS6detail17trampoline_kernelINS0_14default_configENS1_38merge_sort_block_merge_config_selectorIlNS0_10empty_typeEEEZZNS1_27merge_sort_block_merge_implIS3_PlPS5_mZN2at6native12_GLOBAL__N_124unique_dim_cuda_templateImEESt5tupleIJNSA_6TensorESF_SF_EERKSF_lbbbEUlllE_EE10hipError_tT0_T1_T2_jT3_P12ihipStream_tbPNSt15iterator_traitsISL_E10value_typeEPNSR_ISM_E10value_typeEPSN_NS1_7vsmem_tEENKUlT_SL_SM_SN_E_clIS8_S8_S9_S9_EESK_S10_SL_SM_SN_EUlS10_E0_NS1_11comp_targetILNS1_3genE0ELNS1_11target_archE4294967295ELNS1_3gpuE0ELNS1_3repE0EEENS1_38merge_mergepath_config_static_selectorELNS0_4arch9wavefront6targetE1EEEvSM_.num_vgpr, 40
	.set _ZN7rocprim17ROCPRIM_400000_NS6detail17trampoline_kernelINS0_14default_configENS1_38merge_sort_block_merge_config_selectorIlNS0_10empty_typeEEEZZNS1_27merge_sort_block_merge_implIS3_PlPS5_mZN2at6native12_GLOBAL__N_124unique_dim_cuda_templateImEESt5tupleIJNSA_6TensorESF_SF_EERKSF_lbbbEUlllE_EE10hipError_tT0_T1_T2_jT3_P12ihipStream_tbPNSt15iterator_traitsISL_E10value_typeEPNSR_ISM_E10value_typeEPSN_NS1_7vsmem_tEENKUlT_SL_SM_SN_E_clIS8_S8_S9_S9_EESK_S10_SL_SM_SN_EUlS10_E0_NS1_11comp_targetILNS1_3genE0ELNS1_11target_archE4294967295ELNS1_3gpuE0ELNS1_3repE0EEENS1_38merge_mergepath_config_static_selectorELNS0_4arch9wavefront6targetE1EEEvSM_.num_agpr, 0
	.set _ZN7rocprim17ROCPRIM_400000_NS6detail17trampoline_kernelINS0_14default_configENS1_38merge_sort_block_merge_config_selectorIlNS0_10empty_typeEEEZZNS1_27merge_sort_block_merge_implIS3_PlPS5_mZN2at6native12_GLOBAL__N_124unique_dim_cuda_templateImEESt5tupleIJNSA_6TensorESF_SF_EERKSF_lbbbEUlllE_EE10hipError_tT0_T1_T2_jT3_P12ihipStream_tbPNSt15iterator_traitsISL_E10value_typeEPNSR_ISM_E10value_typeEPSN_NS1_7vsmem_tEENKUlT_SL_SM_SN_E_clIS8_S8_S9_S9_EESK_S10_SL_SM_SN_EUlS10_E0_NS1_11comp_targetILNS1_3genE0ELNS1_11target_archE4294967295ELNS1_3gpuE0ELNS1_3repE0EEENS1_38merge_mergepath_config_static_selectorELNS0_4arch9wavefront6targetE1EEEvSM_.numbered_sgpr, 52
	.set _ZN7rocprim17ROCPRIM_400000_NS6detail17trampoline_kernelINS0_14default_configENS1_38merge_sort_block_merge_config_selectorIlNS0_10empty_typeEEEZZNS1_27merge_sort_block_merge_implIS3_PlPS5_mZN2at6native12_GLOBAL__N_124unique_dim_cuda_templateImEESt5tupleIJNSA_6TensorESF_SF_EERKSF_lbbbEUlllE_EE10hipError_tT0_T1_T2_jT3_P12ihipStream_tbPNSt15iterator_traitsISL_E10value_typeEPNSR_ISM_E10value_typeEPSN_NS1_7vsmem_tEENKUlT_SL_SM_SN_E_clIS8_S8_S9_S9_EESK_S10_SL_SM_SN_EUlS10_E0_NS1_11comp_targetILNS1_3genE0ELNS1_11target_archE4294967295ELNS1_3gpuE0ELNS1_3repE0EEENS1_38merge_mergepath_config_static_selectorELNS0_4arch9wavefront6targetE1EEEvSM_.num_named_barrier, 0
	.set _ZN7rocprim17ROCPRIM_400000_NS6detail17trampoline_kernelINS0_14default_configENS1_38merge_sort_block_merge_config_selectorIlNS0_10empty_typeEEEZZNS1_27merge_sort_block_merge_implIS3_PlPS5_mZN2at6native12_GLOBAL__N_124unique_dim_cuda_templateImEESt5tupleIJNSA_6TensorESF_SF_EERKSF_lbbbEUlllE_EE10hipError_tT0_T1_T2_jT3_P12ihipStream_tbPNSt15iterator_traitsISL_E10value_typeEPNSR_ISM_E10value_typeEPSN_NS1_7vsmem_tEENKUlT_SL_SM_SN_E_clIS8_S8_S9_S9_EESK_S10_SL_SM_SN_EUlS10_E0_NS1_11comp_targetILNS1_3genE0ELNS1_11target_archE4294967295ELNS1_3gpuE0ELNS1_3repE0EEENS1_38merge_mergepath_config_static_selectorELNS0_4arch9wavefront6targetE1EEEvSM_.private_seg_size, 0
	.set _ZN7rocprim17ROCPRIM_400000_NS6detail17trampoline_kernelINS0_14default_configENS1_38merge_sort_block_merge_config_selectorIlNS0_10empty_typeEEEZZNS1_27merge_sort_block_merge_implIS3_PlPS5_mZN2at6native12_GLOBAL__N_124unique_dim_cuda_templateImEESt5tupleIJNSA_6TensorESF_SF_EERKSF_lbbbEUlllE_EE10hipError_tT0_T1_T2_jT3_P12ihipStream_tbPNSt15iterator_traitsISL_E10value_typeEPNSR_ISM_E10value_typeEPSN_NS1_7vsmem_tEENKUlT_SL_SM_SN_E_clIS8_S8_S9_S9_EESK_S10_SL_SM_SN_EUlS10_E0_NS1_11comp_targetILNS1_3genE0ELNS1_11target_archE4294967295ELNS1_3gpuE0ELNS1_3repE0EEENS1_38merge_mergepath_config_static_selectorELNS0_4arch9wavefront6targetE1EEEvSM_.uses_vcc, 1
	.set _ZN7rocprim17ROCPRIM_400000_NS6detail17trampoline_kernelINS0_14default_configENS1_38merge_sort_block_merge_config_selectorIlNS0_10empty_typeEEEZZNS1_27merge_sort_block_merge_implIS3_PlPS5_mZN2at6native12_GLOBAL__N_124unique_dim_cuda_templateImEESt5tupleIJNSA_6TensorESF_SF_EERKSF_lbbbEUlllE_EE10hipError_tT0_T1_T2_jT3_P12ihipStream_tbPNSt15iterator_traitsISL_E10value_typeEPNSR_ISM_E10value_typeEPSN_NS1_7vsmem_tEENKUlT_SL_SM_SN_E_clIS8_S8_S9_S9_EESK_S10_SL_SM_SN_EUlS10_E0_NS1_11comp_targetILNS1_3genE0ELNS1_11target_archE4294967295ELNS1_3gpuE0ELNS1_3repE0EEENS1_38merge_mergepath_config_static_selectorELNS0_4arch9wavefront6targetE1EEEvSM_.uses_flat_scratch, 0
	.set _ZN7rocprim17ROCPRIM_400000_NS6detail17trampoline_kernelINS0_14default_configENS1_38merge_sort_block_merge_config_selectorIlNS0_10empty_typeEEEZZNS1_27merge_sort_block_merge_implIS3_PlPS5_mZN2at6native12_GLOBAL__N_124unique_dim_cuda_templateImEESt5tupleIJNSA_6TensorESF_SF_EERKSF_lbbbEUlllE_EE10hipError_tT0_T1_T2_jT3_P12ihipStream_tbPNSt15iterator_traitsISL_E10value_typeEPNSR_ISM_E10value_typeEPSN_NS1_7vsmem_tEENKUlT_SL_SM_SN_E_clIS8_S8_S9_S9_EESK_S10_SL_SM_SN_EUlS10_E0_NS1_11comp_targetILNS1_3genE0ELNS1_11target_archE4294967295ELNS1_3gpuE0ELNS1_3repE0EEENS1_38merge_mergepath_config_static_selectorELNS0_4arch9wavefront6targetE1EEEvSM_.has_dyn_sized_stack, 0
	.set _ZN7rocprim17ROCPRIM_400000_NS6detail17trampoline_kernelINS0_14default_configENS1_38merge_sort_block_merge_config_selectorIlNS0_10empty_typeEEEZZNS1_27merge_sort_block_merge_implIS3_PlPS5_mZN2at6native12_GLOBAL__N_124unique_dim_cuda_templateImEESt5tupleIJNSA_6TensorESF_SF_EERKSF_lbbbEUlllE_EE10hipError_tT0_T1_T2_jT3_P12ihipStream_tbPNSt15iterator_traitsISL_E10value_typeEPNSR_ISM_E10value_typeEPSN_NS1_7vsmem_tEENKUlT_SL_SM_SN_E_clIS8_S8_S9_S9_EESK_S10_SL_SM_SN_EUlS10_E0_NS1_11comp_targetILNS1_3genE0ELNS1_11target_archE4294967295ELNS1_3gpuE0ELNS1_3repE0EEENS1_38merge_mergepath_config_static_selectorELNS0_4arch9wavefront6targetE1EEEvSM_.has_recursion, 0
	.set _ZN7rocprim17ROCPRIM_400000_NS6detail17trampoline_kernelINS0_14default_configENS1_38merge_sort_block_merge_config_selectorIlNS0_10empty_typeEEEZZNS1_27merge_sort_block_merge_implIS3_PlPS5_mZN2at6native12_GLOBAL__N_124unique_dim_cuda_templateImEESt5tupleIJNSA_6TensorESF_SF_EERKSF_lbbbEUlllE_EE10hipError_tT0_T1_T2_jT3_P12ihipStream_tbPNSt15iterator_traitsISL_E10value_typeEPNSR_ISM_E10value_typeEPSN_NS1_7vsmem_tEENKUlT_SL_SM_SN_E_clIS8_S8_S9_S9_EESK_S10_SL_SM_SN_EUlS10_E0_NS1_11comp_targetILNS1_3genE0ELNS1_11target_archE4294967295ELNS1_3gpuE0ELNS1_3repE0EEENS1_38merge_mergepath_config_static_selectorELNS0_4arch9wavefront6targetE1EEEvSM_.has_indirect_call, 0
	.section	.AMDGPU.csdata,"",@progbits
; Kernel info:
; codeLenInByte = 6496
; TotalNumSgprs: 58
; NumVgprs: 40
; NumAgprs: 0
; TotalNumVgprs: 40
; ScratchSize: 0
; MemoryBound: 0
; FloatMode: 240
; IeeeMode: 1
; LDSByteSize: 8448 bytes/workgroup (compile time only)
; SGPRBlocks: 7
; VGPRBlocks: 4
; NumSGPRsForWavesPerEU: 58
; NumVGPRsForWavesPerEU: 40
; AccumOffset: 40
; Occupancy: 8
; WaveLimiterHint : 1
; COMPUTE_PGM_RSRC2:SCRATCH_EN: 0
; COMPUTE_PGM_RSRC2:USER_SGPR: 2
; COMPUTE_PGM_RSRC2:TRAP_HANDLER: 0
; COMPUTE_PGM_RSRC2:TGID_X_EN: 1
; COMPUTE_PGM_RSRC2:TGID_Y_EN: 1
; COMPUTE_PGM_RSRC2:TGID_Z_EN: 1
; COMPUTE_PGM_RSRC2:TIDIG_COMP_CNT: 0
; COMPUTE_PGM_RSRC3_GFX90A:ACCUM_OFFSET: 9
; COMPUTE_PGM_RSRC3_GFX90A:TG_SPLIT: 0
	.section	.text._ZN7rocprim17ROCPRIM_400000_NS6detail17trampoline_kernelINS0_14default_configENS1_38merge_sort_block_merge_config_selectorIlNS0_10empty_typeEEEZZNS1_27merge_sort_block_merge_implIS3_PlPS5_mZN2at6native12_GLOBAL__N_124unique_dim_cuda_templateImEESt5tupleIJNSA_6TensorESF_SF_EERKSF_lbbbEUlllE_EE10hipError_tT0_T1_T2_jT3_P12ihipStream_tbPNSt15iterator_traitsISL_E10value_typeEPNSR_ISM_E10value_typeEPSN_NS1_7vsmem_tEENKUlT_SL_SM_SN_E_clIS8_S8_S9_S9_EESK_S10_SL_SM_SN_EUlS10_E0_NS1_11comp_targetILNS1_3genE10ELNS1_11target_archE1201ELNS1_3gpuE5ELNS1_3repE0EEENS1_38merge_mergepath_config_static_selectorELNS0_4arch9wavefront6targetE1EEEvSM_,"axG",@progbits,_ZN7rocprim17ROCPRIM_400000_NS6detail17trampoline_kernelINS0_14default_configENS1_38merge_sort_block_merge_config_selectorIlNS0_10empty_typeEEEZZNS1_27merge_sort_block_merge_implIS3_PlPS5_mZN2at6native12_GLOBAL__N_124unique_dim_cuda_templateImEESt5tupleIJNSA_6TensorESF_SF_EERKSF_lbbbEUlllE_EE10hipError_tT0_T1_T2_jT3_P12ihipStream_tbPNSt15iterator_traitsISL_E10value_typeEPNSR_ISM_E10value_typeEPSN_NS1_7vsmem_tEENKUlT_SL_SM_SN_E_clIS8_S8_S9_S9_EESK_S10_SL_SM_SN_EUlS10_E0_NS1_11comp_targetILNS1_3genE10ELNS1_11target_archE1201ELNS1_3gpuE5ELNS1_3repE0EEENS1_38merge_mergepath_config_static_selectorELNS0_4arch9wavefront6targetE1EEEvSM_,comdat
	.globl	_ZN7rocprim17ROCPRIM_400000_NS6detail17trampoline_kernelINS0_14default_configENS1_38merge_sort_block_merge_config_selectorIlNS0_10empty_typeEEEZZNS1_27merge_sort_block_merge_implIS3_PlPS5_mZN2at6native12_GLOBAL__N_124unique_dim_cuda_templateImEESt5tupleIJNSA_6TensorESF_SF_EERKSF_lbbbEUlllE_EE10hipError_tT0_T1_T2_jT3_P12ihipStream_tbPNSt15iterator_traitsISL_E10value_typeEPNSR_ISM_E10value_typeEPSN_NS1_7vsmem_tEENKUlT_SL_SM_SN_E_clIS8_S8_S9_S9_EESK_S10_SL_SM_SN_EUlS10_E0_NS1_11comp_targetILNS1_3genE10ELNS1_11target_archE1201ELNS1_3gpuE5ELNS1_3repE0EEENS1_38merge_mergepath_config_static_selectorELNS0_4arch9wavefront6targetE1EEEvSM_ ; -- Begin function _ZN7rocprim17ROCPRIM_400000_NS6detail17trampoline_kernelINS0_14default_configENS1_38merge_sort_block_merge_config_selectorIlNS0_10empty_typeEEEZZNS1_27merge_sort_block_merge_implIS3_PlPS5_mZN2at6native12_GLOBAL__N_124unique_dim_cuda_templateImEESt5tupleIJNSA_6TensorESF_SF_EERKSF_lbbbEUlllE_EE10hipError_tT0_T1_T2_jT3_P12ihipStream_tbPNSt15iterator_traitsISL_E10value_typeEPNSR_ISM_E10value_typeEPSN_NS1_7vsmem_tEENKUlT_SL_SM_SN_E_clIS8_S8_S9_S9_EESK_S10_SL_SM_SN_EUlS10_E0_NS1_11comp_targetILNS1_3genE10ELNS1_11target_archE1201ELNS1_3gpuE5ELNS1_3repE0EEENS1_38merge_mergepath_config_static_selectorELNS0_4arch9wavefront6targetE1EEEvSM_
	.p2align	8
	.type	_ZN7rocprim17ROCPRIM_400000_NS6detail17trampoline_kernelINS0_14default_configENS1_38merge_sort_block_merge_config_selectorIlNS0_10empty_typeEEEZZNS1_27merge_sort_block_merge_implIS3_PlPS5_mZN2at6native12_GLOBAL__N_124unique_dim_cuda_templateImEESt5tupleIJNSA_6TensorESF_SF_EERKSF_lbbbEUlllE_EE10hipError_tT0_T1_T2_jT3_P12ihipStream_tbPNSt15iterator_traitsISL_E10value_typeEPNSR_ISM_E10value_typeEPSN_NS1_7vsmem_tEENKUlT_SL_SM_SN_E_clIS8_S8_S9_S9_EESK_S10_SL_SM_SN_EUlS10_E0_NS1_11comp_targetILNS1_3genE10ELNS1_11target_archE1201ELNS1_3gpuE5ELNS1_3repE0EEENS1_38merge_mergepath_config_static_selectorELNS0_4arch9wavefront6targetE1EEEvSM_,@function
_ZN7rocprim17ROCPRIM_400000_NS6detail17trampoline_kernelINS0_14default_configENS1_38merge_sort_block_merge_config_selectorIlNS0_10empty_typeEEEZZNS1_27merge_sort_block_merge_implIS3_PlPS5_mZN2at6native12_GLOBAL__N_124unique_dim_cuda_templateImEESt5tupleIJNSA_6TensorESF_SF_EERKSF_lbbbEUlllE_EE10hipError_tT0_T1_T2_jT3_P12ihipStream_tbPNSt15iterator_traitsISL_E10value_typeEPNSR_ISM_E10value_typeEPSN_NS1_7vsmem_tEENKUlT_SL_SM_SN_E_clIS8_S8_S9_S9_EESK_S10_SL_SM_SN_EUlS10_E0_NS1_11comp_targetILNS1_3genE10ELNS1_11target_archE1201ELNS1_3gpuE5ELNS1_3repE0EEENS1_38merge_mergepath_config_static_selectorELNS0_4arch9wavefront6targetE1EEEvSM_: ; @_ZN7rocprim17ROCPRIM_400000_NS6detail17trampoline_kernelINS0_14default_configENS1_38merge_sort_block_merge_config_selectorIlNS0_10empty_typeEEEZZNS1_27merge_sort_block_merge_implIS3_PlPS5_mZN2at6native12_GLOBAL__N_124unique_dim_cuda_templateImEESt5tupleIJNSA_6TensorESF_SF_EERKSF_lbbbEUlllE_EE10hipError_tT0_T1_T2_jT3_P12ihipStream_tbPNSt15iterator_traitsISL_E10value_typeEPNSR_ISM_E10value_typeEPSN_NS1_7vsmem_tEENKUlT_SL_SM_SN_E_clIS8_S8_S9_S9_EESK_S10_SL_SM_SN_EUlS10_E0_NS1_11comp_targetILNS1_3genE10ELNS1_11target_archE1201ELNS1_3gpuE5ELNS1_3repE0EEENS1_38merge_mergepath_config_static_selectorELNS0_4arch9wavefront6targetE1EEEvSM_
; %bb.0:
	.section	.rodata,"a",@progbits
	.p2align	6, 0x0
	.amdhsa_kernel _ZN7rocprim17ROCPRIM_400000_NS6detail17trampoline_kernelINS0_14default_configENS1_38merge_sort_block_merge_config_selectorIlNS0_10empty_typeEEEZZNS1_27merge_sort_block_merge_implIS3_PlPS5_mZN2at6native12_GLOBAL__N_124unique_dim_cuda_templateImEESt5tupleIJNSA_6TensorESF_SF_EERKSF_lbbbEUlllE_EE10hipError_tT0_T1_T2_jT3_P12ihipStream_tbPNSt15iterator_traitsISL_E10value_typeEPNSR_ISM_E10value_typeEPSN_NS1_7vsmem_tEENKUlT_SL_SM_SN_E_clIS8_S8_S9_S9_EESK_S10_SL_SM_SN_EUlS10_E0_NS1_11comp_targetILNS1_3genE10ELNS1_11target_archE1201ELNS1_3gpuE5ELNS1_3repE0EEENS1_38merge_mergepath_config_static_selectorELNS0_4arch9wavefront6targetE1EEEvSM_
		.amdhsa_group_segment_fixed_size 0
		.amdhsa_private_segment_fixed_size 0
		.amdhsa_kernarg_size 88
		.amdhsa_user_sgpr_count 2
		.amdhsa_user_sgpr_dispatch_ptr 0
		.amdhsa_user_sgpr_queue_ptr 0
		.amdhsa_user_sgpr_kernarg_segment_ptr 1
		.amdhsa_user_sgpr_dispatch_id 0
		.amdhsa_user_sgpr_kernarg_preload_length 0
		.amdhsa_user_sgpr_kernarg_preload_offset 0
		.amdhsa_user_sgpr_private_segment_size 0
		.amdhsa_uses_dynamic_stack 0
		.amdhsa_enable_private_segment 0
		.amdhsa_system_sgpr_workgroup_id_x 1
		.amdhsa_system_sgpr_workgroup_id_y 0
		.amdhsa_system_sgpr_workgroup_id_z 0
		.amdhsa_system_sgpr_workgroup_info 0
		.amdhsa_system_vgpr_workitem_id 0
		.amdhsa_next_free_vgpr 1
		.amdhsa_next_free_sgpr 0
		.amdhsa_accum_offset 4
		.amdhsa_reserve_vcc 0
		.amdhsa_float_round_mode_32 0
		.amdhsa_float_round_mode_16_64 0
		.amdhsa_float_denorm_mode_32 3
		.amdhsa_float_denorm_mode_16_64 3
		.amdhsa_dx10_clamp 1
		.amdhsa_ieee_mode 1
		.amdhsa_fp16_overflow 0
		.amdhsa_tg_split 0
		.amdhsa_exception_fp_ieee_invalid_op 0
		.amdhsa_exception_fp_denorm_src 0
		.amdhsa_exception_fp_ieee_div_zero 0
		.amdhsa_exception_fp_ieee_overflow 0
		.amdhsa_exception_fp_ieee_underflow 0
		.amdhsa_exception_fp_ieee_inexact 0
		.amdhsa_exception_int_div_zero 0
	.end_amdhsa_kernel
	.section	.text._ZN7rocprim17ROCPRIM_400000_NS6detail17trampoline_kernelINS0_14default_configENS1_38merge_sort_block_merge_config_selectorIlNS0_10empty_typeEEEZZNS1_27merge_sort_block_merge_implIS3_PlPS5_mZN2at6native12_GLOBAL__N_124unique_dim_cuda_templateImEESt5tupleIJNSA_6TensorESF_SF_EERKSF_lbbbEUlllE_EE10hipError_tT0_T1_T2_jT3_P12ihipStream_tbPNSt15iterator_traitsISL_E10value_typeEPNSR_ISM_E10value_typeEPSN_NS1_7vsmem_tEENKUlT_SL_SM_SN_E_clIS8_S8_S9_S9_EESK_S10_SL_SM_SN_EUlS10_E0_NS1_11comp_targetILNS1_3genE10ELNS1_11target_archE1201ELNS1_3gpuE5ELNS1_3repE0EEENS1_38merge_mergepath_config_static_selectorELNS0_4arch9wavefront6targetE1EEEvSM_,"axG",@progbits,_ZN7rocprim17ROCPRIM_400000_NS6detail17trampoline_kernelINS0_14default_configENS1_38merge_sort_block_merge_config_selectorIlNS0_10empty_typeEEEZZNS1_27merge_sort_block_merge_implIS3_PlPS5_mZN2at6native12_GLOBAL__N_124unique_dim_cuda_templateImEESt5tupleIJNSA_6TensorESF_SF_EERKSF_lbbbEUlllE_EE10hipError_tT0_T1_T2_jT3_P12ihipStream_tbPNSt15iterator_traitsISL_E10value_typeEPNSR_ISM_E10value_typeEPSN_NS1_7vsmem_tEENKUlT_SL_SM_SN_E_clIS8_S8_S9_S9_EESK_S10_SL_SM_SN_EUlS10_E0_NS1_11comp_targetILNS1_3genE10ELNS1_11target_archE1201ELNS1_3gpuE5ELNS1_3repE0EEENS1_38merge_mergepath_config_static_selectorELNS0_4arch9wavefront6targetE1EEEvSM_,comdat
.Lfunc_end1623:
	.size	_ZN7rocprim17ROCPRIM_400000_NS6detail17trampoline_kernelINS0_14default_configENS1_38merge_sort_block_merge_config_selectorIlNS0_10empty_typeEEEZZNS1_27merge_sort_block_merge_implIS3_PlPS5_mZN2at6native12_GLOBAL__N_124unique_dim_cuda_templateImEESt5tupleIJNSA_6TensorESF_SF_EERKSF_lbbbEUlllE_EE10hipError_tT0_T1_T2_jT3_P12ihipStream_tbPNSt15iterator_traitsISL_E10value_typeEPNSR_ISM_E10value_typeEPSN_NS1_7vsmem_tEENKUlT_SL_SM_SN_E_clIS8_S8_S9_S9_EESK_S10_SL_SM_SN_EUlS10_E0_NS1_11comp_targetILNS1_3genE10ELNS1_11target_archE1201ELNS1_3gpuE5ELNS1_3repE0EEENS1_38merge_mergepath_config_static_selectorELNS0_4arch9wavefront6targetE1EEEvSM_, .Lfunc_end1623-_ZN7rocprim17ROCPRIM_400000_NS6detail17trampoline_kernelINS0_14default_configENS1_38merge_sort_block_merge_config_selectorIlNS0_10empty_typeEEEZZNS1_27merge_sort_block_merge_implIS3_PlPS5_mZN2at6native12_GLOBAL__N_124unique_dim_cuda_templateImEESt5tupleIJNSA_6TensorESF_SF_EERKSF_lbbbEUlllE_EE10hipError_tT0_T1_T2_jT3_P12ihipStream_tbPNSt15iterator_traitsISL_E10value_typeEPNSR_ISM_E10value_typeEPSN_NS1_7vsmem_tEENKUlT_SL_SM_SN_E_clIS8_S8_S9_S9_EESK_S10_SL_SM_SN_EUlS10_E0_NS1_11comp_targetILNS1_3genE10ELNS1_11target_archE1201ELNS1_3gpuE5ELNS1_3repE0EEENS1_38merge_mergepath_config_static_selectorELNS0_4arch9wavefront6targetE1EEEvSM_
                                        ; -- End function
	.set _ZN7rocprim17ROCPRIM_400000_NS6detail17trampoline_kernelINS0_14default_configENS1_38merge_sort_block_merge_config_selectorIlNS0_10empty_typeEEEZZNS1_27merge_sort_block_merge_implIS3_PlPS5_mZN2at6native12_GLOBAL__N_124unique_dim_cuda_templateImEESt5tupleIJNSA_6TensorESF_SF_EERKSF_lbbbEUlllE_EE10hipError_tT0_T1_T2_jT3_P12ihipStream_tbPNSt15iterator_traitsISL_E10value_typeEPNSR_ISM_E10value_typeEPSN_NS1_7vsmem_tEENKUlT_SL_SM_SN_E_clIS8_S8_S9_S9_EESK_S10_SL_SM_SN_EUlS10_E0_NS1_11comp_targetILNS1_3genE10ELNS1_11target_archE1201ELNS1_3gpuE5ELNS1_3repE0EEENS1_38merge_mergepath_config_static_selectorELNS0_4arch9wavefront6targetE1EEEvSM_.num_vgpr, 0
	.set _ZN7rocprim17ROCPRIM_400000_NS6detail17trampoline_kernelINS0_14default_configENS1_38merge_sort_block_merge_config_selectorIlNS0_10empty_typeEEEZZNS1_27merge_sort_block_merge_implIS3_PlPS5_mZN2at6native12_GLOBAL__N_124unique_dim_cuda_templateImEESt5tupleIJNSA_6TensorESF_SF_EERKSF_lbbbEUlllE_EE10hipError_tT0_T1_T2_jT3_P12ihipStream_tbPNSt15iterator_traitsISL_E10value_typeEPNSR_ISM_E10value_typeEPSN_NS1_7vsmem_tEENKUlT_SL_SM_SN_E_clIS8_S8_S9_S9_EESK_S10_SL_SM_SN_EUlS10_E0_NS1_11comp_targetILNS1_3genE10ELNS1_11target_archE1201ELNS1_3gpuE5ELNS1_3repE0EEENS1_38merge_mergepath_config_static_selectorELNS0_4arch9wavefront6targetE1EEEvSM_.num_agpr, 0
	.set _ZN7rocprim17ROCPRIM_400000_NS6detail17trampoline_kernelINS0_14default_configENS1_38merge_sort_block_merge_config_selectorIlNS0_10empty_typeEEEZZNS1_27merge_sort_block_merge_implIS3_PlPS5_mZN2at6native12_GLOBAL__N_124unique_dim_cuda_templateImEESt5tupleIJNSA_6TensorESF_SF_EERKSF_lbbbEUlllE_EE10hipError_tT0_T1_T2_jT3_P12ihipStream_tbPNSt15iterator_traitsISL_E10value_typeEPNSR_ISM_E10value_typeEPSN_NS1_7vsmem_tEENKUlT_SL_SM_SN_E_clIS8_S8_S9_S9_EESK_S10_SL_SM_SN_EUlS10_E0_NS1_11comp_targetILNS1_3genE10ELNS1_11target_archE1201ELNS1_3gpuE5ELNS1_3repE0EEENS1_38merge_mergepath_config_static_selectorELNS0_4arch9wavefront6targetE1EEEvSM_.numbered_sgpr, 0
	.set _ZN7rocprim17ROCPRIM_400000_NS6detail17trampoline_kernelINS0_14default_configENS1_38merge_sort_block_merge_config_selectorIlNS0_10empty_typeEEEZZNS1_27merge_sort_block_merge_implIS3_PlPS5_mZN2at6native12_GLOBAL__N_124unique_dim_cuda_templateImEESt5tupleIJNSA_6TensorESF_SF_EERKSF_lbbbEUlllE_EE10hipError_tT0_T1_T2_jT3_P12ihipStream_tbPNSt15iterator_traitsISL_E10value_typeEPNSR_ISM_E10value_typeEPSN_NS1_7vsmem_tEENKUlT_SL_SM_SN_E_clIS8_S8_S9_S9_EESK_S10_SL_SM_SN_EUlS10_E0_NS1_11comp_targetILNS1_3genE10ELNS1_11target_archE1201ELNS1_3gpuE5ELNS1_3repE0EEENS1_38merge_mergepath_config_static_selectorELNS0_4arch9wavefront6targetE1EEEvSM_.num_named_barrier, 0
	.set _ZN7rocprim17ROCPRIM_400000_NS6detail17trampoline_kernelINS0_14default_configENS1_38merge_sort_block_merge_config_selectorIlNS0_10empty_typeEEEZZNS1_27merge_sort_block_merge_implIS3_PlPS5_mZN2at6native12_GLOBAL__N_124unique_dim_cuda_templateImEESt5tupleIJNSA_6TensorESF_SF_EERKSF_lbbbEUlllE_EE10hipError_tT0_T1_T2_jT3_P12ihipStream_tbPNSt15iterator_traitsISL_E10value_typeEPNSR_ISM_E10value_typeEPSN_NS1_7vsmem_tEENKUlT_SL_SM_SN_E_clIS8_S8_S9_S9_EESK_S10_SL_SM_SN_EUlS10_E0_NS1_11comp_targetILNS1_3genE10ELNS1_11target_archE1201ELNS1_3gpuE5ELNS1_3repE0EEENS1_38merge_mergepath_config_static_selectorELNS0_4arch9wavefront6targetE1EEEvSM_.private_seg_size, 0
	.set _ZN7rocprim17ROCPRIM_400000_NS6detail17trampoline_kernelINS0_14default_configENS1_38merge_sort_block_merge_config_selectorIlNS0_10empty_typeEEEZZNS1_27merge_sort_block_merge_implIS3_PlPS5_mZN2at6native12_GLOBAL__N_124unique_dim_cuda_templateImEESt5tupleIJNSA_6TensorESF_SF_EERKSF_lbbbEUlllE_EE10hipError_tT0_T1_T2_jT3_P12ihipStream_tbPNSt15iterator_traitsISL_E10value_typeEPNSR_ISM_E10value_typeEPSN_NS1_7vsmem_tEENKUlT_SL_SM_SN_E_clIS8_S8_S9_S9_EESK_S10_SL_SM_SN_EUlS10_E0_NS1_11comp_targetILNS1_3genE10ELNS1_11target_archE1201ELNS1_3gpuE5ELNS1_3repE0EEENS1_38merge_mergepath_config_static_selectorELNS0_4arch9wavefront6targetE1EEEvSM_.uses_vcc, 0
	.set _ZN7rocprim17ROCPRIM_400000_NS6detail17trampoline_kernelINS0_14default_configENS1_38merge_sort_block_merge_config_selectorIlNS0_10empty_typeEEEZZNS1_27merge_sort_block_merge_implIS3_PlPS5_mZN2at6native12_GLOBAL__N_124unique_dim_cuda_templateImEESt5tupleIJNSA_6TensorESF_SF_EERKSF_lbbbEUlllE_EE10hipError_tT0_T1_T2_jT3_P12ihipStream_tbPNSt15iterator_traitsISL_E10value_typeEPNSR_ISM_E10value_typeEPSN_NS1_7vsmem_tEENKUlT_SL_SM_SN_E_clIS8_S8_S9_S9_EESK_S10_SL_SM_SN_EUlS10_E0_NS1_11comp_targetILNS1_3genE10ELNS1_11target_archE1201ELNS1_3gpuE5ELNS1_3repE0EEENS1_38merge_mergepath_config_static_selectorELNS0_4arch9wavefront6targetE1EEEvSM_.uses_flat_scratch, 0
	.set _ZN7rocprim17ROCPRIM_400000_NS6detail17trampoline_kernelINS0_14default_configENS1_38merge_sort_block_merge_config_selectorIlNS0_10empty_typeEEEZZNS1_27merge_sort_block_merge_implIS3_PlPS5_mZN2at6native12_GLOBAL__N_124unique_dim_cuda_templateImEESt5tupleIJNSA_6TensorESF_SF_EERKSF_lbbbEUlllE_EE10hipError_tT0_T1_T2_jT3_P12ihipStream_tbPNSt15iterator_traitsISL_E10value_typeEPNSR_ISM_E10value_typeEPSN_NS1_7vsmem_tEENKUlT_SL_SM_SN_E_clIS8_S8_S9_S9_EESK_S10_SL_SM_SN_EUlS10_E0_NS1_11comp_targetILNS1_3genE10ELNS1_11target_archE1201ELNS1_3gpuE5ELNS1_3repE0EEENS1_38merge_mergepath_config_static_selectorELNS0_4arch9wavefront6targetE1EEEvSM_.has_dyn_sized_stack, 0
	.set _ZN7rocprim17ROCPRIM_400000_NS6detail17trampoline_kernelINS0_14default_configENS1_38merge_sort_block_merge_config_selectorIlNS0_10empty_typeEEEZZNS1_27merge_sort_block_merge_implIS3_PlPS5_mZN2at6native12_GLOBAL__N_124unique_dim_cuda_templateImEESt5tupleIJNSA_6TensorESF_SF_EERKSF_lbbbEUlllE_EE10hipError_tT0_T1_T2_jT3_P12ihipStream_tbPNSt15iterator_traitsISL_E10value_typeEPNSR_ISM_E10value_typeEPSN_NS1_7vsmem_tEENKUlT_SL_SM_SN_E_clIS8_S8_S9_S9_EESK_S10_SL_SM_SN_EUlS10_E0_NS1_11comp_targetILNS1_3genE10ELNS1_11target_archE1201ELNS1_3gpuE5ELNS1_3repE0EEENS1_38merge_mergepath_config_static_selectorELNS0_4arch9wavefront6targetE1EEEvSM_.has_recursion, 0
	.set _ZN7rocprim17ROCPRIM_400000_NS6detail17trampoline_kernelINS0_14default_configENS1_38merge_sort_block_merge_config_selectorIlNS0_10empty_typeEEEZZNS1_27merge_sort_block_merge_implIS3_PlPS5_mZN2at6native12_GLOBAL__N_124unique_dim_cuda_templateImEESt5tupleIJNSA_6TensorESF_SF_EERKSF_lbbbEUlllE_EE10hipError_tT0_T1_T2_jT3_P12ihipStream_tbPNSt15iterator_traitsISL_E10value_typeEPNSR_ISM_E10value_typeEPSN_NS1_7vsmem_tEENKUlT_SL_SM_SN_E_clIS8_S8_S9_S9_EESK_S10_SL_SM_SN_EUlS10_E0_NS1_11comp_targetILNS1_3genE10ELNS1_11target_archE1201ELNS1_3gpuE5ELNS1_3repE0EEENS1_38merge_mergepath_config_static_selectorELNS0_4arch9wavefront6targetE1EEEvSM_.has_indirect_call, 0
	.section	.AMDGPU.csdata,"",@progbits
; Kernel info:
; codeLenInByte = 0
; TotalNumSgprs: 6
; NumVgprs: 0
; NumAgprs: 0
; TotalNumVgprs: 0
; ScratchSize: 0
; MemoryBound: 0
; FloatMode: 240
; IeeeMode: 1
; LDSByteSize: 0 bytes/workgroup (compile time only)
; SGPRBlocks: 0
; VGPRBlocks: 0
; NumSGPRsForWavesPerEU: 6
; NumVGPRsForWavesPerEU: 1
; AccumOffset: 4
; Occupancy: 8
; WaveLimiterHint : 0
; COMPUTE_PGM_RSRC2:SCRATCH_EN: 0
; COMPUTE_PGM_RSRC2:USER_SGPR: 2
; COMPUTE_PGM_RSRC2:TRAP_HANDLER: 0
; COMPUTE_PGM_RSRC2:TGID_X_EN: 1
; COMPUTE_PGM_RSRC2:TGID_Y_EN: 0
; COMPUTE_PGM_RSRC2:TGID_Z_EN: 0
; COMPUTE_PGM_RSRC2:TIDIG_COMP_CNT: 0
; COMPUTE_PGM_RSRC3_GFX90A:ACCUM_OFFSET: 0
; COMPUTE_PGM_RSRC3_GFX90A:TG_SPLIT: 0
	.section	.text._ZN7rocprim17ROCPRIM_400000_NS6detail17trampoline_kernelINS0_14default_configENS1_38merge_sort_block_merge_config_selectorIlNS0_10empty_typeEEEZZNS1_27merge_sort_block_merge_implIS3_PlPS5_mZN2at6native12_GLOBAL__N_124unique_dim_cuda_templateImEESt5tupleIJNSA_6TensorESF_SF_EERKSF_lbbbEUlllE_EE10hipError_tT0_T1_T2_jT3_P12ihipStream_tbPNSt15iterator_traitsISL_E10value_typeEPNSR_ISM_E10value_typeEPSN_NS1_7vsmem_tEENKUlT_SL_SM_SN_E_clIS8_S8_S9_S9_EESK_S10_SL_SM_SN_EUlS10_E0_NS1_11comp_targetILNS1_3genE5ELNS1_11target_archE942ELNS1_3gpuE9ELNS1_3repE0EEENS1_38merge_mergepath_config_static_selectorELNS0_4arch9wavefront6targetE1EEEvSM_,"axG",@progbits,_ZN7rocprim17ROCPRIM_400000_NS6detail17trampoline_kernelINS0_14default_configENS1_38merge_sort_block_merge_config_selectorIlNS0_10empty_typeEEEZZNS1_27merge_sort_block_merge_implIS3_PlPS5_mZN2at6native12_GLOBAL__N_124unique_dim_cuda_templateImEESt5tupleIJNSA_6TensorESF_SF_EERKSF_lbbbEUlllE_EE10hipError_tT0_T1_T2_jT3_P12ihipStream_tbPNSt15iterator_traitsISL_E10value_typeEPNSR_ISM_E10value_typeEPSN_NS1_7vsmem_tEENKUlT_SL_SM_SN_E_clIS8_S8_S9_S9_EESK_S10_SL_SM_SN_EUlS10_E0_NS1_11comp_targetILNS1_3genE5ELNS1_11target_archE942ELNS1_3gpuE9ELNS1_3repE0EEENS1_38merge_mergepath_config_static_selectorELNS0_4arch9wavefront6targetE1EEEvSM_,comdat
	.globl	_ZN7rocprim17ROCPRIM_400000_NS6detail17trampoline_kernelINS0_14default_configENS1_38merge_sort_block_merge_config_selectorIlNS0_10empty_typeEEEZZNS1_27merge_sort_block_merge_implIS3_PlPS5_mZN2at6native12_GLOBAL__N_124unique_dim_cuda_templateImEESt5tupleIJNSA_6TensorESF_SF_EERKSF_lbbbEUlllE_EE10hipError_tT0_T1_T2_jT3_P12ihipStream_tbPNSt15iterator_traitsISL_E10value_typeEPNSR_ISM_E10value_typeEPSN_NS1_7vsmem_tEENKUlT_SL_SM_SN_E_clIS8_S8_S9_S9_EESK_S10_SL_SM_SN_EUlS10_E0_NS1_11comp_targetILNS1_3genE5ELNS1_11target_archE942ELNS1_3gpuE9ELNS1_3repE0EEENS1_38merge_mergepath_config_static_selectorELNS0_4arch9wavefront6targetE1EEEvSM_ ; -- Begin function _ZN7rocprim17ROCPRIM_400000_NS6detail17trampoline_kernelINS0_14default_configENS1_38merge_sort_block_merge_config_selectorIlNS0_10empty_typeEEEZZNS1_27merge_sort_block_merge_implIS3_PlPS5_mZN2at6native12_GLOBAL__N_124unique_dim_cuda_templateImEESt5tupleIJNSA_6TensorESF_SF_EERKSF_lbbbEUlllE_EE10hipError_tT0_T1_T2_jT3_P12ihipStream_tbPNSt15iterator_traitsISL_E10value_typeEPNSR_ISM_E10value_typeEPSN_NS1_7vsmem_tEENKUlT_SL_SM_SN_E_clIS8_S8_S9_S9_EESK_S10_SL_SM_SN_EUlS10_E0_NS1_11comp_targetILNS1_3genE5ELNS1_11target_archE942ELNS1_3gpuE9ELNS1_3repE0EEENS1_38merge_mergepath_config_static_selectorELNS0_4arch9wavefront6targetE1EEEvSM_
	.p2align	8
	.type	_ZN7rocprim17ROCPRIM_400000_NS6detail17trampoline_kernelINS0_14default_configENS1_38merge_sort_block_merge_config_selectorIlNS0_10empty_typeEEEZZNS1_27merge_sort_block_merge_implIS3_PlPS5_mZN2at6native12_GLOBAL__N_124unique_dim_cuda_templateImEESt5tupleIJNSA_6TensorESF_SF_EERKSF_lbbbEUlllE_EE10hipError_tT0_T1_T2_jT3_P12ihipStream_tbPNSt15iterator_traitsISL_E10value_typeEPNSR_ISM_E10value_typeEPSN_NS1_7vsmem_tEENKUlT_SL_SM_SN_E_clIS8_S8_S9_S9_EESK_S10_SL_SM_SN_EUlS10_E0_NS1_11comp_targetILNS1_3genE5ELNS1_11target_archE942ELNS1_3gpuE9ELNS1_3repE0EEENS1_38merge_mergepath_config_static_selectorELNS0_4arch9wavefront6targetE1EEEvSM_,@function
_ZN7rocprim17ROCPRIM_400000_NS6detail17trampoline_kernelINS0_14default_configENS1_38merge_sort_block_merge_config_selectorIlNS0_10empty_typeEEEZZNS1_27merge_sort_block_merge_implIS3_PlPS5_mZN2at6native12_GLOBAL__N_124unique_dim_cuda_templateImEESt5tupleIJNSA_6TensorESF_SF_EERKSF_lbbbEUlllE_EE10hipError_tT0_T1_T2_jT3_P12ihipStream_tbPNSt15iterator_traitsISL_E10value_typeEPNSR_ISM_E10value_typeEPSN_NS1_7vsmem_tEENKUlT_SL_SM_SN_E_clIS8_S8_S9_S9_EESK_S10_SL_SM_SN_EUlS10_E0_NS1_11comp_targetILNS1_3genE5ELNS1_11target_archE942ELNS1_3gpuE9ELNS1_3repE0EEENS1_38merge_mergepath_config_static_selectorELNS0_4arch9wavefront6targetE1EEEvSM_: ; @_ZN7rocprim17ROCPRIM_400000_NS6detail17trampoline_kernelINS0_14default_configENS1_38merge_sort_block_merge_config_selectorIlNS0_10empty_typeEEEZZNS1_27merge_sort_block_merge_implIS3_PlPS5_mZN2at6native12_GLOBAL__N_124unique_dim_cuda_templateImEESt5tupleIJNSA_6TensorESF_SF_EERKSF_lbbbEUlllE_EE10hipError_tT0_T1_T2_jT3_P12ihipStream_tbPNSt15iterator_traitsISL_E10value_typeEPNSR_ISM_E10value_typeEPSN_NS1_7vsmem_tEENKUlT_SL_SM_SN_E_clIS8_S8_S9_S9_EESK_S10_SL_SM_SN_EUlS10_E0_NS1_11comp_targetILNS1_3genE5ELNS1_11target_archE942ELNS1_3gpuE9ELNS1_3repE0EEENS1_38merge_mergepath_config_static_selectorELNS0_4arch9wavefront6targetE1EEEvSM_
; %bb.0:
	.section	.rodata,"a",@progbits
	.p2align	6, 0x0
	.amdhsa_kernel _ZN7rocprim17ROCPRIM_400000_NS6detail17trampoline_kernelINS0_14default_configENS1_38merge_sort_block_merge_config_selectorIlNS0_10empty_typeEEEZZNS1_27merge_sort_block_merge_implIS3_PlPS5_mZN2at6native12_GLOBAL__N_124unique_dim_cuda_templateImEESt5tupleIJNSA_6TensorESF_SF_EERKSF_lbbbEUlllE_EE10hipError_tT0_T1_T2_jT3_P12ihipStream_tbPNSt15iterator_traitsISL_E10value_typeEPNSR_ISM_E10value_typeEPSN_NS1_7vsmem_tEENKUlT_SL_SM_SN_E_clIS8_S8_S9_S9_EESK_S10_SL_SM_SN_EUlS10_E0_NS1_11comp_targetILNS1_3genE5ELNS1_11target_archE942ELNS1_3gpuE9ELNS1_3repE0EEENS1_38merge_mergepath_config_static_selectorELNS0_4arch9wavefront6targetE1EEEvSM_
		.amdhsa_group_segment_fixed_size 0
		.amdhsa_private_segment_fixed_size 0
		.amdhsa_kernarg_size 88
		.amdhsa_user_sgpr_count 2
		.amdhsa_user_sgpr_dispatch_ptr 0
		.amdhsa_user_sgpr_queue_ptr 0
		.amdhsa_user_sgpr_kernarg_segment_ptr 1
		.amdhsa_user_sgpr_dispatch_id 0
		.amdhsa_user_sgpr_kernarg_preload_length 0
		.amdhsa_user_sgpr_kernarg_preload_offset 0
		.amdhsa_user_sgpr_private_segment_size 0
		.amdhsa_uses_dynamic_stack 0
		.amdhsa_enable_private_segment 0
		.amdhsa_system_sgpr_workgroup_id_x 1
		.amdhsa_system_sgpr_workgroup_id_y 0
		.amdhsa_system_sgpr_workgroup_id_z 0
		.amdhsa_system_sgpr_workgroup_info 0
		.amdhsa_system_vgpr_workitem_id 0
		.amdhsa_next_free_vgpr 1
		.amdhsa_next_free_sgpr 0
		.amdhsa_accum_offset 4
		.amdhsa_reserve_vcc 0
		.amdhsa_float_round_mode_32 0
		.amdhsa_float_round_mode_16_64 0
		.amdhsa_float_denorm_mode_32 3
		.amdhsa_float_denorm_mode_16_64 3
		.amdhsa_dx10_clamp 1
		.amdhsa_ieee_mode 1
		.amdhsa_fp16_overflow 0
		.amdhsa_tg_split 0
		.amdhsa_exception_fp_ieee_invalid_op 0
		.amdhsa_exception_fp_denorm_src 0
		.amdhsa_exception_fp_ieee_div_zero 0
		.amdhsa_exception_fp_ieee_overflow 0
		.amdhsa_exception_fp_ieee_underflow 0
		.amdhsa_exception_fp_ieee_inexact 0
		.amdhsa_exception_int_div_zero 0
	.end_amdhsa_kernel
	.section	.text._ZN7rocprim17ROCPRIM_400000_NS6detail17trampoline_kernelINS0_14default_configENS1_38merge_sort_block_merge_config_selectorIlNS0_10empty_typeEEEZZNS1_27merge_sort_block_merge_implIS3_PlPS5_mZN2at6native12_GLOBAL__N_124unique_dim_cuda_templateImEESt5tupleIJNSA_6TensorESF_SF_EERKSF_lbbbEUlllE_EE10hipError_tT0_T1_T2_jT3_P12ihipStream_tbPNSt15iterator_traitsISL_E10value_typeEPNSR_ISM_E10value_typeEPSN_NS1_7vsmem_tEENKUlT_SL_SM_SN_E_clIS8_S8_S9_S9_EESK_S10_SL_SM_SN_EUlS10_E0_NS1_11comp_targetILNS1_3genE5ELNS1_11target_archE942ELNS1_3gpuE9ELNS1_3repE0EEENS1_38merge_mergepath_config_static_selectorELNS0_4arch9wavefront6targetE1EEEvSM_,"axG",@progbits,_ZN7rocprim17ROCPRIM_400000_NS6detail17trampoline_kernelINS0_14default_configENS1_38merge_sort_block_merge_config_selectorIlNS0_10empty_typeEEEZZNS1_27merge_sort_block_merge_implIS3_PlPS5_mZN2at6native12_GLOBAL__N_124unique_dim_cuda_templateImEESt5tupleIJNSA_6TensorESF_SF_EERKSF_lbbbEUlllE_EE10hipError_tT0_T1_T2_jT3_P12ihipStream_tbPNSt15iterator_traitsISL_E10value_typeEPNSR_ISM_E10value_typeEPSN_NS1_7vsmem_tEENKUlT_SL_SM_SN_E_clIS8_S8_S9_S9_EESK_S10_SL_SM_SN_EUlS10_E0_NS1_11comp_targetILNS1_3genE5ELNS1_11target_archE942ELNS1_3gpuE9ELNS1_3repE0EEENS1_38merge_mergepath_config_static_selectorELNS0_4arch9wavefront6targetE1EEEvSM_,comdat
.Lfunc_end1624:
	.size	_ZN7rocprim17ROCPRIM_400000_NS6detail17trampoline_kernelINS0_14default_configENS1_38merge_sort_block_merge_config_selectorIlNS0_10empty_typeEEEZZNS1_27merge_sort_block_merge_implIS3_PlPS5_mZN2at6native12_GLOBAL__N_124unique_dim_cuda_templateImEESt5tupleIJNSA_6TensorESF_SF_EERKSF_lbbbEUlllE_EE10hipError_tT0_T1_T2_jT3_P12ihipStream_tbPNSt15iterator_traitsISL_E10value_typeEPNSR_ISM_E10value_typeEPSN_NS1_7vsmem_tEENKUlT_SL_SM_SN_E_clIS8_S8_S9_S9_EESK_S10_SL_SM_SN_EUlS10_E0_NS1_11comp_targetILNS1_3genE5ELNS1_11target_archE942ELNS1_3gpuE9ELNS1_3repE0EEENS1_38merge_mergepath_config_static_selectorELNS0_4arch9wavefront6targetE1EEEvSM_, .Lfunc_end1624-_ZN7rocprim17ROCPRIM_400000_NS6detail17trampoline_kernelINS0_14default_configENS1_38merge_sort_block_merge_config_selectorIlNS0_10empty_typeEEEZZNS1_27merge_sort_block_merge_implIS3_PlPS5_mZN2at6native12_GLOBAL__N_124unique_dim_cuda_templateImEESt5tupleIJNSA_6TensorESF_SF_EERKSF_lbbbEUlllE_EE10hipError_tT0_T1_T2_jT3_P12ihipStream_tbPNSt15iterator_traitsISL_E10value_typeEPNSR_ISM_E10value_typeEPSN_NS1_7vsmem_tEENKUlT_SL_SM_SN_E_clIS8_S8_S9_S9_EESK_S10_SL_SM_SN_EUlS10_E0_NS1_11comp_targetILNS1_3genE5ELNS1_11target_archE942ELNS1_3gpuE9ELNS1_3repE0EEENS1_38merge_mergepath_config_static_selectorELNS0_4arch9wavefront6targetE1EEEvSM_
                                        ; -- End function
	.set _ZN7rocprim17ROCPRIM_400000_NS6detail17trampoline_kernelINS0_14default_configENS1_38merge_sort_block_merge_config_selectorIlNS0_10empty_typeEEEZZNS1_27merge_sort_block_merge_implIS3_PlPS5_mZN2at6native12_GLOBAL__N_124unique_dim_cuda_templateImEESt5tupleIJNSA_6TensorESF_SF_EERKSF_lbbbEUlllE_EE10hipError_tT0_T1_T2_jT3_P12ihipStream_tbPNSt15iterator_traitsISL_E10value_typeEPNSR_ISM_E10value_typeEPSN_NS1_7vsmem_tEENKUlT_SL_SM_SN_E_clIS8_S8_S9_S9_EESK_S10_SL_SM_SN_EUlS10_E0_NS1_11comp_targetILNS1_3genE5ELNS1_11target_archE942ELNS1_3gpuE9ELNS1_3repE0EEENS1_38merge_mergepath_config_static_selectorELNS0_4arch9wavefront6targetE1EEEvSM_.num_vgpr, 0
	.set _ZN7rocprim17ROCPRIM_400000_NS6detail17trampoline_kernelINS0_14default_configENS1_38merge_sort_block_merge_config_selectorIlNS0_10empty_typeEEEZZNS1_27merge_sort_block_merge_implIS3_PlPS5_mZN2at6native12_GLOBAL__N_124unique_dim_cuda_templateImEESt5tupleIJNSA_6TensorESF_SF_EERKSF_lbbbEUlllE_EE10hipError_tT0_T1_T2_jT3_P12ihipStream_tbPNSt15iterator_traitsISL_E10value_typeEPNSR_ISM_E10value_typeEPSN_NS1_7vsmem_tEENKUlT_SL_SM_SN_E_clIS8_S8_S9_S9_EESK_S10_SL_SM_SN_EUlS10_E0_NS1_11comp_targetILNS1_3genE5ELNS1_11target_archE942ELNS1_3gpuE9ELNS1_3repE0EEENS1_38merge_mergepath_config_static_selectorELNS0_4arch9wavefront6targetE1EEEvSM_.num_agpr, 0
	.set _ZN7rocprim17ROCPRIM_400000_NS6detail17trampoline_kernelINS0_14default_configENS1_38merge_sort_block_merge_config_selectorIlNS0_10empty_typeEEEZZNS1_27merge_sort_block_merge_implIS3_PlPS5_mZN2at6native12_GLOBAL__N_124unique_dim_cuda_templateImEESt5tupleIJNSA_6TensorESF_SF_EERKSF_lbbbEUlllE_EE10hipError_tT0_T1_T2_jT3_P12ihipStream_tbPNSt15iterator_traitsISL_E10value_typeEPNSR_ISM_E10value_typeEPSN_NS1_7vsmem_tEENKUlT_SL_SM_SN_E_clIS8_S8_S9_S9_EESK_S10_SL_SM_SN_EUlS10_E0_NS1_11comp_targetILNS1_3genE5ELNS1_11target_archE942ELNS1_3gpuE9ELNS1_3repE0EEENS1_38merge_mergepath_config_static_selectorELNS0_4arch9wavefront6targetE1EEEvSM_.numbered_sgpr, 0
	.set _ZN7rocprim17ROCPRIM_400000_NS6detail17trampoline_kernelINS0_14default_configENS1_38merge_sort_block_merge_config_selectorIlNS0_10empty_typeEEEZZNS1_27merge_sort_block_merge_implIS3_PlPS5_mZN2at6native12_GLOBAL__N_124unique_dim_cuda_templateImEESt5tupleIJNSA_6TensorESF_SF_EERKSF_lbbbEUlllE_EE10hipError_tT0_T1_T2_jT3_P12ihipStream_tbPNSt15iterator_traitsISL_E10value_typeEPNSR_ISM_E10value_typeEPSN_NS1_7vsmem_tEENKUlT_SL_SM_SN_E_clIS8_S8_S9_S9_EESK_S10_SL_SM_SN_EUlS10_E0_NS1_11comp_targetILNS1_3genE5ELNS1_11target_archE942ELNS1_3gpuE9ELNS1_3repE0EEENS1_38merge_mergepath_config_static_selectorELNS0_4arch9wavefront6targetE1EEEvSM_.num_named_barrier, 0
	.set _ZN7rocprim17ROCPRIM_400000_NS6detail17trampoline_kernelINS0_14default_configENS1_38merge_sort_block_merge_config_selectorIlNS0_10empty_typeEEEZZNS1_27merge_sort_block_merge_implIS3_PlPS5_mZN2at6native12_GLOBAL__N_124unique_dim_cuda_templateImEESt5tupleIJNSA_6TensorESF_SF_EERKSF_lbbbEUlllE_EE10hipError_tT0_T1_T2_jT3_P12ihipStream_tbPNSt15iterator_traitsISL_E10value_typeEPNSR_ISM_E10value_typeEPSN_NS1_7vsmem_tEENKUlT_SL_SM_SN_E_clIS8_S8_S9_S9_EESK_S10_SL_SM_SN_EUlS10_E0_NS1_11comp_targetILNS1_3genE5ELNS1_11target_archE942ELNS1_3gpuE9ELNS1_3repE0EEENS1_38merge_mergepath_config_static_selectorELNS0_4arch9wavefront6targetE1EEEvSM_.private_seg_size, 0
	.set _ZN7rocprim17ROCPRIM_400000_NS6detail17trampoline_kernelINS0_14default_configENS1_38merge_sort_block_merge_config_selectorIlNS0_10empty_typeEEEZZNS1_27merge_sort_block_merge_implIS3_PlPS5_mZN2at6native12_GLOBAL__N_124unique_dim_cuda_templateImEESt5tupleIJNSA_6TensorESF_SF_EERKSF_lbbbEUlllE_EE10hipError_tT0_T1_T2_jT3_P12ihipStream_tbPNSt15iterator_traitsISL_E10value_typeEPNSR_ISM_E10value_typeEPSN_NS1_7vsmem_tEENKUlT_SL_SM_SN_E_clIS8_S8_S9_S9_EESK_S10_SL_SM_SN_EUlS10_E0_NS1_11comp_targetILNS1_3genE5ELNS1_11target_archE942ELNS1_3gpuE9ELNS1_3repE0EEENS1_38merge_mergepath_config_static_selectorELNS0_4arch9wavefront6targetE1EEEvSM_.uses_vcc, 0
	.set _ZN7rocprim17ROCPRIM_400000_NS6detail17trampoline_kernelINS0_14default_configENS1_38merge_sort_block_merge_config_selectorIlNS0_10empty_typeEEEZZNS1_27merge_sort_block_merge_implIS3_PlPS5_mZN2at6native12_GLOBAL__N_124unique_dim_cuda_templateImEESt5tupleIJNSA_6TensorESF_SF_EERKSF_lbbbEUlllE_EE10hipError_tT0_T1_T2_jT3_P12ihipStream_tbPNSt15iterator_traitsISL_E10value_typeEPNSR_ISM_E10value_typeEPSN_NS1_7vsmem_tEENKUlT_SL_SM_SN_E_clIS8_S8_S9_S9_EESK_S10_SL_SM_SN_EUlS10_E0_NS1_11comp_targetILNS1_3genE5ELNS1_11target_archE942ELNS1_3gpuE9ELNS1_3repE0EEENS1_38merge_mergepath_config_static_selectorELNS0_4arch9wavefront6targetE1EEEvSM_.uses_flat_scratch, 0
	.set _ZN7rocprim17ROCPRIM_400000_NS6detail17trampoline_kernelINS0_14default_configENS1_38merge_sort_block_merge_config_selectorIlNS0_10empty_typeEEEZZNS1_27merge_sort_block_merge_implIS3_PlPS5_mZN2at6native12_GLOBAL__N_124unique_dim_cuda_templateImEESt5tupleIJNSA_6TensorESF_SF_EERKSF_lbbbEUlllE_EE10hipError_tT0_T1_T2_jT3_P12ihipStream_tbPNSt15iterator_traitsISL_E10value_typeEPNSR_ISM_E10value_typeEPSN_NS1_7vsmem_tEENKUlT_SL_SM_SN_E_clIS8_S8_S9_S9_EESK_S10_SL_SM_SN_EUlS10_E0_NS1_11comp_targetILNS1_3genE5ELNS1_11target_archE942ELNS1_3gpuE9ELNS1_3repE0EEENS1_38merge_mergepath_config_static_selectorELNS0_4arch9wavefront6targetE1EEEvSM_.has_dyn_sized_stack, 0
	.set _ZN7rocprim17ROCPRIM_400000_NS6detail17trampoline_kernelINS0_14default_configENS1_38merge_sort_block_merge_config_selectorIlNS0_10empty_typeEEEZZNS1_27merge_sort_block_merge_implIS3_PlPS5_mZN2at6native12_GLOBAL__N_124unique_dim_cuda_templateImEESt5tupleIJNSA_6TensorESF_SF_EERKSF_lbbbEUlllE_EE10hipError_tT0_T1_T2_jT3_P12ihipStream_tbPNSt15iterator_traitsISL_E10value_typeEPNSR_ISM_E10value_typeEPSN_NS1_7vsmem_tEENKUlT_SL_SM_SN_E_clIS8_S8_S9_S9_EESK_S10_SL_SM_SN_EUlS10_E0_NS1_11comp_targetILNS1_3genE5ELNS1_11target_archE942ELNS1_3gpuE9ELNS1_3repE0EEENS1_38merge_mergepath_config_static_selectorELNS0_4arch9wavefront6targetE1EEEvSM_.has_recursion, 0
	.set _ZN7rocprim17ROCPRIM_400000_NS6detail17trampoline_kernelINS0_14default_configENS1_38merge_sort_block_merge_config_selectorIlNS0_10empty_typeEEEZZNS1_27merge_sort_block_merge_implIS3_PlPS5_mZN2at6native12_GLOBAL__N_124unique_dim_cuda_templateImEESt5tupleIJNSA_6TensorESF_SF_EERKSF_lbbbEUlllE_EE10hipError_tT0_T1_T2_jT3_P12ihipStream_tbPNSt15iterator_traitsISL_E10value_typeEPNSR_ISM_E10value_typeEPSN_NS1_7vsmem_tEENKUlT_SL_SM_SN_E_clIS8_S8_S9_S9_EESK_S10_SL_SM_SN_EUlS10_E0_NS1_11comp_targetILNS1_3genE5ELNS1_11target_archE942ELNS1_3gpuE9ELNS1_3repE0EEENS1_38merge_mergepath_config_static_selectorELNS0_4arch9wavefront6targetE1EEEvSM_.has_indirect_call, 0
	.section	.AMDGPU.csdata,"",@progbits
; Kernel info:
; codeLenInByte = 0
; TotalNumSgprs: 6
; NumVgprs: 0
; NumAgprs: 0
; TotalNumVgprs: 0
; ScratchSize: 0
; MemoryBound: 0
; FloatMode: 240
; IeeeMode: 1
; LDSByteSize: 0 bytes/workgroup (compile time only)
; SGPRBlocks: 0
; VGPRBlocks: 0
; NumSGPRsForWavesPerEU: 6
; NumVGPRsForWavesPerEU: 1
; AccumOffset: 4
; Occupancy: 8
; WaveLimiterHint : 0
; COMPUTE_PGM_RSRC2:SCRATCH_EN: 0
; COMPUTE_PGM_RSRC2:USER_SGPR: 2
; COMPUTE_PGM_RSRC2:TRAP_HANDLER: 0
; COMPUTE_PGM_RSRC2:TGID_X_EN: 1
; COMPUTE_PGM_RSRC2:TGID_Y_EN: 0
; COMPUTE_PGM_RSRC2:TGID_Z_EN: 0
; COMPUTE_PGM_RSRC2:TIDIG_COMP_CNT: 0
; COMPUTE_PGM_RSRC3_GFX90A:ACCUM_OFFSET: 0
; COMPUTE_PGM_RSRC3_GFX90A:TG_SPLIT: 0
	.section	.text._ZN7rocprim17ROCPRIM_400000_NS6detail17trampoline_kernelINS0_14default_configENS1_38merge_sort_block_merge_config_selectorIlNS0_10empty_typeEEEZZNS1_27merge_sort_block_merge_implIS3_PlPS5_mZN2at6native12_GLOBAL__N_124unique_dim_cuda_templateImEESt5tupleIJNSA_6TensorESF_SF_EERKSF_lbbbEUlllE_EE10hipError_tT0_T1_T2_jT3_P12ihipStream_tbPNSt15iterator_traitsISL_E10value_typeEPNSR_ISM_E10value_typeEPSN_NS1_7vsmem_tEENKUlT_SL_SM_SN_E_clIS8_S8_S9_S9_EESK_S10_SL_SM_SN_EUlS10_E0_NS1_11comp_targetILNS1_3genE4ELNS1_11target_archE910ELNS1_3gpuE8ELNS1_3repE0EEENS1_38merge_mergepath_config_static_selectorELNS0_4arch9wavefront6targetE1EEEvSM_,"axG",@progbits,_ZN7rocprim17ROCPRIM_400000_NS6detail17trampoline_kernelINS0_14default_configENS1_38merge_sort_block_merge_config_selectorIlNS0_10empty_typeEEEZZNS1_27merge_sort_block_merge_implIS3_PlPS5_mZN2at6native12_GLOBAL__N_124unique_dim_cuda_templateImEESt5tupleIJNSA_6TensorESF_SF_EERKSF_lbbbEUlllE_EE10hipError_tT0_T1_T2_jT3_P12ihipStream_tbPNSt15iterator_traitsISL_E10value_typeEPNSR_ISM_E10value_typeEPSN_NS1_7vsmem_tEENKUlT_SL_SM_SN_E_clIS8_S8_S9_S9_EESK_S10_SL_SM_SN_EUlS10_E0_NS1_11comp_targetILNS1_3genE4ELNS1_11target_archE910ELNS1_3gpuE8ELNS1_3repE0EEENS1_38merge_mergepath_config_static_selectorELNS0_4arch9wavefront6targetE1EEEvSM_,comdat
	.globl	_ZN7rocprim17ROCPRIM_400000_NS6detail17trampoline_kernelINS0_14default_configENS1_38merge_sort_block_merge_config_selectorIlNS0_10empty_typeEEEZZNS1_27merge_sort_block_merge_implIS3_PlPS5_mZN2at6native12_GLOBAL__N_124unique_dim_cuda_templateImEESt5tupleIJNSA_6TensorESF_SF_EERKSF_lbbbEUlllE_EE10hipError_tT0_T1_T2_jT3_P12ihipStream_tbPNSt15iterator_traitsISL_E10value_typeEPNSR_ISM_E10value_typeEPSN_NS1_7vsmem_tEENKUlT_SL_SM_SN_E_clIS8_S8_S9_S9_EESK_S10_SL_SM_SN_EUlS10_E0_NS1_11comp_targetILNS1_3genE4ELNS1_11target_archE910ELNS1_3gpuE8ELNS1_3repE0EEENS1_38merge_mergepath_config_static_selectorELNS0_4arch9wavefront6targetE1EEEvSM_ ; -- Begin function _ZN7rocprim17ROCPRIM_400000_NS6detail17trampoline_kernelINS0_14default_configENS1_38merge_sort_block_merge_config_selectorIlNS0_10empty_typeEEEZZNS1_27merge_sort_block_merge_implIS3_PlPS5_mZN2at6native12_GLOBAL__N_124unique_dim_cuda_templateImEESt5tupleIJNSA_6TensorESF_SF_EERKSF_lbbbEUlllE_EE10hipError_tT0_T1_T2_jT3_P12ihipStream_tbPNSt15iterator_traitsISL_E10value_typeEPNSR_ISM_E10value_typeEPSN_NS1_7vsmem_tEENKUlT_SL_SM_SN_E_clIS8_S8_S9_S9_EESK_S10_SL_SM_SN_EUlS10_E0_NS1_11comp_targetILNS1_3genE4ELNS1_11target_archE910ELNS1_3gpuE8ELNS1_3repE0EEENS1_38merge_mergepath_config_static_selectorELNS0_4arch9wavefront6targetE1EEEvSM_
	.p2align	8
	.type	_ZN7rocprim17ROCPRIM_400000_NS6detail17trampoline_kernelINS0_14default_configENS1_38merge_sort_block_merge_config_selectorIlNS0_10empty_typeEEEZZNS1_27merge_sort_block_merge_implIS3_PlPS5_mZN2at6native12_GLOBAL__N_124unique_dim_cuda_templateImEESt5tupleIJNSA_6TensorESF_SF_EERKSF_lbbbEUlllE_EE10hipError_tT0_T1_T2_jT3_P12ihipStream_tbPNSt15iterator_traitsISL_E10value_typeEPNSR_ISM_E10value_typeEPSN_NS1_7vsmem_tEENKUlT_SL_SM_SN_E_clIS8_S8_S9_S9_EESK_S10_SL_SM_SN_EUlS10_E0_NS1_11comp_targetILNS1_3genE4ELNS1_11target_archE910ELNS1_3gpuE8ELNS1_3repE0EEENS1_38merge_mergepath_config_static_selectorELNS0_4arch9wavefront6targetE1EEEvSM_,@function
_ZN7rocprim17ROCPRIM_400000_NS6detail17trampoline_kernelINS0_14default_configENS1_38merge_sort_block_merge_config_selectorIlNS0_10empty_typeEEEZZNS1_27merge_sort_block_merge_implIS3_PlPS5_mZN2at6native12_GLOBAL__N_124unique_dim_cuda_templateImEESt5tupleIJNSA_6TensorESF_SF_EERKSF_lbbbEUlllE_EE10hipError_tT0_T1_T2_jT3_P12ihipStream_tbPNSt15iterator_traitsISL_E10value_typeEPNSR_ISM_E10value_typeEPSN_NS1_7vsmem_tEENKUlT_SL_SM_SN_E_clIS8_S8_S9_S9_EESK_S10_SL_SM_SN_EUlS10_E0_NS1_11comp_targetILNS1_3genE4ELNS1_11target_archE910ELNS1_3gpuE8ELNS1_3repE0EEENS1_38merge_mergepath_config_static_selectorELNS0_4arch9wavefront6targetE1EEEvSM_: ; @_ZN7rocprim17ROCPRIM_400000_NS6detail17trampoline_kernelINS0_14default_configENS1_38merge_sort_block_merge_config_selectorIlNS0_10empty_typeEEEZZNS1_27merge_sort_block_merge_implIS3_PlPS5_mZN2at6native12_GLOBAL__N_124unique_dim_cuda_templateImEESt5tupleIJNSA_6TensorESF_SF_EERKSF_lbbbEUlllE_EE10hipError_tT0_T1_T2_jT3_P12ihipStream_tbPNSt15iterator_traitsISL_E10value_typeEPNSR_ISM_E10value_typeEPSN_NS1_7vsmem_tEENKUlT_SL_SM_SN_E_clIS8_S8_S9_S9_EESK_S10_SL_SM_SN_EUlS10_E0_NS1_11comp_targetILNS1_3genE4ELNS1_11target_archE910ELNS1_3gpuE8ELNS1_3repE0EEENS1_38merge_mergepath_config_static_selectorELNS0_4arch9wavefront6targetE1EEEvSM_
; %bb.0:
	.section	.rodata,"a",@progbits
	.p2align	6, 0x0
	.amdhsa_kernel _ZN7rocprim17ROCPRIM_400000_NS6detail17trampoline_kernelINS0_14default_configENS1_38merge_sort_block_merge_config_selectorIlNS0_10empty_typeEEEZZNS1_27merge_sort_block_merge_implIS3_PlPS5_mZN2at6native12_GLOBAL__N_124unique_dim_cuda_templateImEESt5tupleIJNSA_6TensorESF_SF_EERKSF_lbbbEUlllE_EE10hipError_tT0_T1_T2_jT3_P12ihipStream_tbPNSt15iterator_traitsISL_E10value_typeEPNSR_ISM_E10value_typeEPSN_NS1_7vsmem_tEENKUlT_SL_SM_SN_E_clIS8_S8_S9_S9_EESK_S10_SL_SM_SN_EUlS10_E0_NS1_11comp_targetILNS1_3genE4ELNS1_11target_archE910ELNS1_3gpuE8ELNS1_3repE0EEENS1_38merge_mergepath_config_static_selectorELNS0_4arch9wavefront6targetE1EEEvSM_
		.amdhsa_group_segment_fixed_size 0
		.amdhsa_private_segment_fixed_size 0
		.amdhsa_kernarg_size 88
		.amdhsa_user_sgpr_count 2
		.amdhsa_user_sgpr_dispatch_ptr 0
		.amdhsa_user_sgpr_queue_ptr 0
		.amdhsa_user_sgpr_kernarg_segment_ptr 1
		.amdhsa_user_sgpr_dispatch_id 0
		.amdhsa_user_sgpr_kernarg_preload_length 0
		.amdhsa_user_sgpr_kernarg_preload_offset 0
		.amdhsa_user_sgpr_private_segment_size 0
		.amdhsa_uses_dynamic_stack 0
		.amdhsa_enable_private_segment 0
		.amdhsa_system_sgpr_workgroup_id_x 1
		.amdhsa_system_sgpr_workgroup_id_y 0
		.amdhsa_system_sgpr_workgroup_id_z 0
		.amdhsa_system_sgpr_workgroup_info 0
		.amdhsa_system_vgpr_workitem_id 0
		.amdhsa_next_free_vgpr 1
		.amdhsa_next_free_sgpr 0
		.amdhsa_accum_offset 4
		.amdhsa_reserve_vcc 0
		.amdhsa_float_round_mode_32 0
		.amdhsa_float_round_mode_16_64 0
		.amdhsa_float_denorm_mode_32 3
		.amdhsa_float_denorm_mode_16_64 3
		.amdhsa_dx10_clamp 1
		.amdhsa_ieee_mode 1
		.amdhsa_fp16_overflow 0
		.amdhsa_tg_split 0
		.amdhsa_exception_fp_ieee_invalid_op 0
		.amdhsa_exception_fp_denorm_src 0
		.amdhsa_exception_fp_ieee_div_zero 0
		.amdhsa_exception_fp_ieee_overflow 0
		.amdhsa_exception_fp_ieee_underflow 0
		.amdhsa_exception_fp_ieee_inexact 0
		.amdhsa_exception_int_div_zero 0
	.end_amdhsa_kernel
	.section	.text._ZN7rocprim17ROCPRIM_400000_NS6detail17trampoline_kernelINS0_14default_configENS1_38merge_sort_block_merge_config_selectorIlNS0_10empty_typeEEEZZNS1_27merge_sort_block_merge_implIS3_PlPS5_mZN2at6native12_GLOBAL__N_124unique_dim_cuda_templateImEESt5tupleIJNSA_6TensorESF_SF_EERKSF_lbbbEUlllE_EE10hipError_tT0_T1_T2_jT3_P12ihipStream_tbPNSt15iterator_traitsISL_E10value_typeEPNSR_ISM_E10value_typeEPSN_NS1_7vsmem_tEENKUlT_SL_SM_SN_E_clIS8_S8_S9_S9_EESK_S10_SL_SM_SN_EUlS10_E0_NS1_11comp_targetILNS1_3genE4ELNS1_11target_archE910ELNS1_3gpuE8ELNS1_3repE0EEENS1_38merge_mergepath_config_static_selectorELNS0_4arch9wavefront6targetE1EEEvSM_,"axG",@progbits,_ZN7rocprim17ROCPRIM_400000_NS6detail17trampoline_kernelINS0_14default_configENS1_38merge_sort_block_merge_config_selectorIlNS0_10empty_typeEEEZZNS1_27merge_sort_block_merge_implIS3_PlPS5_mZN2at6native12_GLOBAL__N_124unique_dim_cuda_templateImEESt5tupleIJNSA_6TensorESF_SF_EERKSF_lbbbEUlllE_EE10hipError_tT0_T1_T2_jT3_P12ihipStream_tbPNSt15iterator_traitsISL_E10value_typeEPNSR_ISM_E10value_typeEPSN_NS1_7vsmem_tEENKUlT_SL_SM_SN_E_clIS8_S8_S9_S9_EESK_S10_SL_SM_SN_EUlS10_E0_NS1_11comp_targetILNS1_3genE4ELNS1_11target_archE910ELNS1_3gpuE8ELNS1_3repE0EEENS1_38merge_mergepath_config_static_selectorELNS0_4arch9wavefront6targetE1EEEvSM_,comdat
.Lfunc_end1625:
	.size	_ZN7rocprim17ROCPRIM_400000_NS6detail17trampoline_kernelINS0_14default_configENS1_38merge_sort_block_merge_config_selectorIlNS0_10empty_typeEEEZZNS1_27merge_sort_block_merge_implIS3_PlPS5_mZN2at6native12_GLOBAL__N_124unique_dim_cuda_templateImEESt5tupleIJNSA_6TensorESF_SF_EERKSF_lbbbEUlllE_EE10hipError_tT0_T1_T2_jT3_P12ihipStream_tbPNSt15iterator_traitsISL_E10value_typeEPNSR_ISM_E10value_typeEPSN_NS1_7vsmem_tEENKUlT_SL_SM_SN_E_clIS8_S8_S9_S9_EESK_S10_SL_SM_SN_EUlS10_E0_NS1_11comp_targetILNS1_3genE4ELNS1_11target_archE910ELNS1_3gpuE8ELNS1_3repE0EEENS1_38merge_mergepath_config_static_selectorELNS0_4arch9wavefront6targetE1EEEvSM_, .Lfunc_end1625-_ZN7rocprim17ROCPRIM_400000_NS6detail17trampoline_kernelINS0_14default_configENS1_38merge_sort_block_merge_config_selectorIlNS0_10empty_typeEEEZZNS1_27merge_sort_block_merge_implIS3_PlPS5_mZN2at6native12_GLOBAL__N_124unique_dim_cuda_templateImEESt5tupleIJNSA_6TensorESF_SF_EERKSF_lbbbEUlllE_EE10hipError_tT0_T1_T2_jT3_P12ihipStream_tbPNSt15iterator_traitsISL_E10value_typeEPNSR_ISM_E10value_typeEPSN_NS1_7vsmem_tEENKUlT_SL_SM_SN_E_clIS8_S8_S9_S9_EESK_S10_SL_SM_SN_EUlS10_E0_NS1_11comp_targetILNS1_3genE4ELNS1_11target_archE910ELNS1_3gpuE8ELNS1_3repE0EEENS1_38merge_mergepath_config_static_selectorELNS0_4arch9wavefront6targetE1EEEvSM_
                                        ; -- End function
	.set _ZN7rocprim17ROCPRIM_400000_NS6detail17trampoline_kernelINS0_14default_configENS1_38merge_sort_block_merge_config_selectorIlNS0_10empty_typeEEEZZNS1_27merge_sort_block_merge_implIS3_PlPS5_mZN2at6native12_GLOBAL__N_124unique_dim_cuda_templateImEESt5tupleIJNSA_6TensorESF_SF_EERKSF_lbbbEUlllE_EE10hipError_tT0_T1_T2_jT3_P12ihipStream_tbPNSt15iterator_traitsISL_E10value_typeEPNSR_ISM_E10value_typeEPSN_NS1_7vsmem_tEENKUlT_SL_SM_SN_E_clIS8_S8_S9_S9_EESK_S10_SL_SM_SN_EUlS10_E0_NS1_11comp_targetILNS1_3genE4ELNS1_11target_archE910ELNS1_3gpuE8ELNS1_3repE0EEENS1_38merge_mergepath_config_static_selectorELNS0_4arch9wavefront6targetE1EEEvSM_.num_vgpr, 0
	.set _ZN7rocprim17ROCPRIM_400000_NS6detail17trampoline_kernelINS0_14default_configENS1_38merge_sort_block_merge_config_selectorIlNS0_10empty_typeEEEZZNS1_27merge_sort_block_merge_implIS3_PlPS5_mZN2at6native12_GLOBAL__N_124unique_dim_cuda_templateImEESt5tupleIJNSA_6TensorESF_SF_EERKSF_lbbbEUlllE_EE10hipError_tT0_T1_T2_jT3_P12ihipStream_tbPNSt15iterator_traitsISL_E10value_typeEPNSR_ISM_E10value_typeEPSN_NS1_7vsmem_tEENKUlT_SL_SM_SN_E_clIS8_S8_S9_S9_EESK_S10_SL_SM_SN_EUlS10_E0_NS1_11comp_targetILNS1_3genE4ELNS1_11target_archE910ELNS1_3gpuE8ELNS1_3repE0EEENS1_38merge_mergepath_config_static_selectorELNS0_4arch9wavefront6targetE1EEEvSM_.num_agpr, 0
	.set _ZN7rocprim17ROCPRIM_400000_NS6detail17trampoline_kernelINS0_14default_configENS1_38merge_sort_block_merge_config_selectorIlNS0_10empty_typeEEEZZNS1_27merge_sort_block_merge_implIS3_PlPS5_mZN2at6native12_GLOBAL__N_124unique_dim_cuda_templateImEESt5tupleIJNSA_6TensorESF_SF_EERKSF_lbbbEUlllE_EE10hipError_tT0_T1_T2_jT3_P12ihipStream_tbPNSt15iterator_traitsISL_E10value_typeEPNSR_ISM_E10value_typeEPSN_NS1_7vsmem_tEENKUlT_SL_SM_SN_E_clIS8_S8_S9_S9_EESK_S10_SL_SM_SN_EUlS10_E0_NS1_11comp_targetILNS1_3genE4ELNS1_11target_archE910ELNS1_3gpuE8ELNS1_3repE0EEENS1_38merge_mergepath_config_static_selectorELNS0_4arch9wavefront6targetE1EEEvSM_.numbered_sgpr, 0
	.set _ZN7rocprim17ROCPRIM_400000_NS6detail17trampoline_kernelINS0_14default_configENS1_38merge_sort_block_merge_config_selectorIlNS0_10empty_typeEEEZZNS1_27merge_sort_block_merge_implIS3_PlPS5_mZN2at6native12_GLOBAL__N_124unique_dim_cuda_templateImEESt5tupleIJNSA_6TensorESF_SF_EERKSF_lbbbEUlllE_EE10hipError_tT0_T1_T2_jT3_P12ihipStream_tbPNSt15iterator_traitsISL_E10value_typeEPNSR_ISM_E10value_typeEPSN_NS1_7vsmem_tEENKUlT_SL_SM_SN_E_clIS8_S8_S9_S9_EESK_S10_SL_SM_SN_EUlS10_E0_NS1_11comp_targetILNS1_3genE4ELNS1_11target_archE910ELNS1_3gpuE8ELNS1_3repE0EEENS1_38merge_mergepath_config_static_selectorELNS0_4arch9wavefront6targetE1EEEvSM_.num_named_barrier, 0
	.set _ZN7rocprim17ROCPRIM_400000_NS6detail17trampoline_kernelINS0_14default_configENS1_38merge_sort_block_merge_config_selectorIlNS0_10empty_typeEEEZZNS1_27merge_sort_block_merge_implIS3_PlPS5_mZN2at6native12_GLOBAL__N_124unique_dim_cuda_templateImEESt5tupleIJNSA_6TensorESF_SF_EERKSF_lbbbEUlllE_EE10hipError_tT0_T1_T2_jT3_P12ihipStream_tbPNSt15iterator_traitsISL_E10value_typeEPNSR_ISM_E10value_typeEPSN_NS1_7vsmem_tEENKUlT_SL_SM_SN_E_clIS8_S8_S9_S9_EESK_S10_SL_SM_SN_EUlS10_E0_NS1_11comp_targetILNS1_3genE4ELNS1_11target_archE910ELNS1_3gpuE8ELNS1_3repE0EEENS1_38merge_mergepath_config_static_selectorELNS0_4arch9wavefront6targetE1EEEvSM_.private_seg_size, 0
	.set _ZN7rocprim17ROCPRIM_400000_NS6detail17trampoline_kernelINS0_14default_configENS1_38merge_sort_block_merge_config_selectorIlNS0_10empty_typeEEEZZNS1_27merge_sort_block_merge_implIS3_PlPS5_mZN2at6native12_GLOBAL__N_124unique_dim_cuda_templateImEESt5tupleIJNSA_6TensorESF_SF_EERKSF_lbbbEUlllE_EE10hipError_tT0_T1_T2_jT3_P12ihipStream_tbPNSt15iterator_traitsISL_E10value_typeEPNSR_ISM_E10value_typeEPSN_NS1_7vsmem_tEENKUlT_SL_SM_SN_E_clIS8_S8_S9_S9_EESK_S10_SL_SM_SN_EUlS10_E0_NS1_11comp_targetILNS1_3genE4ELNS1_11target_archE910ELNS1_3gpuE8ELNS1_3repE0EEENS1_38merge_mergepath_config_static_selectorELNS0_4arch9wavefront6targetE1EEEvSM_.uses_vcc, 0
	.set _ZN7rocprim17ROCPRIM_400000_NS6detail17trampoline_kernelINS0_14default_configENS1_38merge_sort_block_merge_config_selectorIlNS0_10empty_typeEEEZZNS1_27merge_sort_block_merge_implIS3_PlPS5_mZN2at6native12_GLOBAL__N_124unique_dim_cuda_templateImEESt5tupleIJNSA_6TensorESF_SF_EERKSF_lbbbEUlllE_EE10hipError_tT0_T1_T2_jT3_P12ihipStream_tbPNSt15iterator_traitsISL_E10value_typeEPNSR_ISM_E10value_typeEPSN_NS1_7vsmem_tEENKUlT_SL_SM_SN_E_clIS8_S8_S9_S9_EESK_S10_SL_SM_SN_EUlS10_E0_NS1_11comp_targetILNS1_3genE4ELNS1_11target_archE910ELNS1_3gpuE8ELNS1_3repE0EEENS1_38merge_mergepath_config_static_selectorELNS0_4arch9wavefront6targetE1EEEvSM_.uses_flat_scratch, 0
	.set _ZN7rocprim17ROCPRIM_400000_NS6detail17trampoline_kernelINS0_14default_configENS1_38merge_sort_block_merge_config_selectorIlNS0_10empty_typeEEEZZNS1_27merge_sort_block_merge_implIS3_PlPS5_mZN2at6native12_GLOBAL__N_124unique_dim_cuda_templateImEESt5tupleIJNSA_6TensorESF_SF_EERKSF_lbbbEUlllE_EE10hipError_tT0_T1_T2_jT3_P12ihipStream_tbPNSt15iterator_traitsISL_E10value_typeEPNSR_ISM_E10value_typeEPSN_NS1_7vsmem_tEENKUlT_SL_SM_SN_E_clIS8_S8_S9_S9_EESK_S10_SL_SM_SN_EUlS10_E0_NS1_11comp_targetILNS1_3genE4ELNS1_11target_archE910ELNS1_3gpuE8ELNS1_3repE0EEENS1_38merge_mergepath_config_static_selectorELNS0_4arch9wavefront6targetE1EEEvSM_.has_dyn_sized_stack, 0
	.set _ZN7rocprim17ROCPRIM_400000_NS6detail17trampoline_kernelINS0_14default_configENS1_38merge_sort_block_merge_config_selectorIlNS0_10empty_typeEEEZZNS1_27merge_sort_block_merge_implIS3_PlPS5_mZN2at6native12_GLOBAL__N_124unique_dim_cuda_templateImEESt5tupleIJNSA_6TensorESF_SF_EERKSF_lbbbEUlllE_EE10hipError_tT0_T1_T2_jT3_P12ihipStream_tbPNSt15iterator_traitsISL_E10value_typeEPNSR_ISM_E10value_typeEPSN_NS1_7vsmem_tEENKUlT_SL_SM_SN_E_clIS8_S8_S9_S9_EESK_S10_SL_SM_SN_EUlS10_E0_NS1_11comp_targetILNS1_3genE4ELNS1_11target_archE910ELNS1_3gpuE8ELNS1_3repE0EEENS1_38merge_mergepath_config_static_selectorELNS0_4arch9wavefront6targetE1EEEvSM_.has_recursion, 0
	.set _ZN7rocprim17ROCPRIM_400000_NS6detail17trampoline_kernelINS0_14default_configENS1_38merge_sort_block_merge_config_selectorIlNS0_10empty_typeEEEZZNS1_27merge_sort_block_merge_implIS3_PlPS5_mZN2at6native12_GLOBAL__N_124unique_dim_cuda_templateImEESt5tupleIJNSA_6TensorESF_SF_EERKSF_lbbbEUlllE_EE10hipError_tT0_T1_T2_jT3_P12ihipStream_tbPNSt15iterator_traitsISL_E10value_typeEPNSR_ISM_E10value_typeEPSN_NS1_7vsmem_tEENKUlT_SL_SM_SN_E_clIS8_S8_S9_S9_EESK_S10_SL_SM_SN_EUlS10_E0_NS1_11comp_targetILNS1_3genE4ELNS1_11target_archE910ELNS1_3gpuE8ELNS1_3repE0EEENS1_38merge_mergepath_config_static_selectorELNS0_4arch9wavefront6targetE1EEEvSM_.has_indirect_call, 0
	.section	.AMDGPU.csdata,"",@progbits
; Kernel info:
; codeLenInByte = 0
; TotalNumSgprs: 6
; NumVgprs: 0
; NumAgprs: 0
; TotalNumVgprs: 0
; ScratchSize: 0
; MemoryBound: 0
; FloatMode: 240
; IeeeMode: 1
; LDSByteSize: 0 bytes/workgroup (compile time only)
; SGPRBlocks: 0
; VGPRBlocks: 0
; NumSGPRsForWavesPerEU: 6
; NumVGPRsForWavesPerEU: 1
; AccumOffset: 4
; Occupancy: 8
; WaveLimiterHint : 0
; COMPUTE_PGM_RSRC2:SCRATCH_EN: 0
; COMPUTE_PGM_RSRC2:USER_SGPR: 2
; COMPUTE_PGM_RSRC2:TRAP_HANDLER: 0
; COMPUTE_PGM_RSRC2:TGID_X_EN: 1
; COMPUTE_PGM_RSRC2:TGID_Y_EN: 0
; COMPUTE_PGM_RSRC2:TGID_Z_EN: 0
; COMPUTE_PGM_RSRC2:TIDIG_COMP_CNT: 0
; COMPUTE_PGM_RSRC3_GFX90A:ACCUM_OFFSET: 0
; COMPUTE_PGM_RSRC3_GFX90A:TG_SPLIT: 0
	.section	.text._ZN7rocprim17ROCPRIM_400000_NS6detail17trampoline_kernelINS0_14default_configENS1_38merge_sort_block_merge_config_selectorIlNS0_10empty_typeEEEZZNS1_27merge_sort_block_merge_implIS3_PlPS5_mZN2at6native12_GLOBAL__N_124unique_dim_cuda_templateImEESt5tupleIJNSA_6TensorESF_SF_EERKSF_lbbbEUlllE_EE10hipError_tT0_T1_T2_jT3_P12ihipStream_tbPNSt15iterator_traitsISL_E10value_typeEPNSR_ISM_E10value_typeEPSN_NS1_7vsmem_tEENKUlT_SL_SM_SN_E_clIS8_S8_S9_S9_EESK_S10_SL_SM_SN_EUlS10_E0_NS1_11comp_targetILNS1_3genE3ELNS1_11target_archE908ELNS1_3gpuE7ELNS1_3repE0EEENS1_38merge_mergepath_config_static_selectorELNS0_4arch9wavefront6targetE1EEEvSM_,"axG",@progbits,_ZN7rocprim17ROCPRIM_400000_NS6detail17trampoline_kernelINS0_14default_configENS1_38merge_sort_block_merge_config_selectorIlNS0_10empty_typeEEEZZNS1_27merge_sort_block_merge_implIS3_PlPS5_mZN2at6native12_GLOBAL__N_124unique_dim_cuda_templateImEESt5tupleIJNSA_6TensorESF_SF_EERKSF_lbbbEUlllE_EE10hipError_tT0_T1_T2_jT3_P12ihipStream_tbPNSt15iterator_traitsISL_E10value_typeEPNSR_ISM_E10value_typeEPSN_NS1_7vsmem_tEENKUlT_SL_SM_SN_E_clIS8_S8_S9_S9_EESK_S10_SL_SM_SN_EUlS10_E0_NS1_11comp_targetILNS1_3genE3ELNS1_11target_archE908ELNS1_3gpuE7ELNS1_3repE0EEENS1_38merge_mergepath_config_static_selectorELNS0_4arch9wavefront6targetE1EEEvSM_,comdat
	.globl	_ZN7rocprim17ROCPRIM_400000_NS6detail17trampoline_kernelINS0_14default_configENS1_38merge_sort_block_merge_config_selectorIlNS0_10empty_typeEEEZZNS1_27merge_sort_block_merge_implIS3_PlPS5_mZN2at6native12_GLOBAL__N_124unique_dim_cuda_templateImEESt5tupleIJNSA_6TensorESF_SF_EERKSF_lbbbEUlllE_EE10hipError_tT0_T1_T2_jT3_P12ihipStream_tbPNSt15iterator_traitsISL_E10value_typeEPNSR_ISM_E10value_typeEPSN_NS1_7vsmem_tEENKUlT_SL_SM_SN_E_clIS8_S8_S9_S9_EESK_S10_SL_SM_SN_EUlS10_E0_NS1_11comp_targetILNS1_3genE3ELNS1_11target_archE908ELNS1_3gpuE7ELNS1_3repE0EEENS1_38merge_mergepath_config_static_selectorELNS0_4arch9wavefront6targetE1EEEvSM_ ; -- Begin function _ZN7rocprim17ROCPRIM_400000_NS6detail17trampoline_kernelINS0_14default_configENS1_38merge_sort_block_merge_config_selectorIlNS0_10empty_typeEEEZZNS1_27merge_sort_block_merge_implIS3_PlPS5_mZN2at6native12_GLOBAL__N_124unique_dim_cuda_templateImEESt5tupleIJNSA_6TensorESF_SF_EERKSF_lbbbEUlllE_EE10hipError_tT0_T1_T2_jT3_P12ihipStream_tbPNSt15iterator_traitsISL_E10value_typeEPNSR_ISM_E10value_typeEPSN_NS1_7vsmem_tEENKUlT_SL_SM_SN_E_clIS8_S8_S9_S9_EESK_S10_SL_SM_SN_EUlS10_E0_NS1_11comp_targetILNS1_3genE3ELNS1_11target_archE908ELNS1_3gpuE7ELNS1_3repE0EEENS1_38merge_mergepath_config_static_selectorELNS0_4arch9wavefront6targetE1EEEvSM_
	.p2align	8
	.type	_ZN7rocprim17ROCPRIM_400000_NS6detail17trampoline_kernelINS0_14default_configENS1_38merge_sort_block_merge_config_selectorIlNS0_10empty_typeEEEZZNS1_27merge_sort_block_merge_implIS3_PlPS5_mZN2at6native12_GLOBAL__N_124unique_dim_cuda_templateImEESt5tupleIJNSA_6TensorESF_SF_EERKSF_lbbbEUlllE_EE10hipError_tT0_T1_T2_jT3_P12ihipStream_tbPNSt15iterator_traitsISL_E10value_typeEPNSR_ISM_E10value_typeEPSN_NS1_7vsmem_tEENKUlT_SL_SM_SN_E_clIS8_S8_S9_S9_EESK_S10_SL_SM_SN_EUlS10_E0_NS1_11comp_targetILNS1_3genE3ELNS1_11target_archE908ELNS1_3gpuE7ELNS1_3repE0EEENS1_38merge_mergepath_config_static_selectorELNS0_4arch9wavefront6targetE1EEEvSM_,@function
_ZN7rocprim17ROCPRIM_400000_NS6detail17trampoline_kernelINS0_14default_configENS1_38merge_sort_block_merge_config_selectorIlNS0_10empty_typeEEEZZNS1_27merge_sort_block_merge_implIS3_PlPS5_mZN2at6native12_GLOBAL__N_124unique_dim_cuda_templateImEESt5tupleIJNSA_6TensorESF_SF_EERKSF_lbbbEUlllE_EE10hipError_tT0_T1_T2_jT3_P12ihipStream_tbPNSt15iterator_traitsISL_E10value_typeEPNSR_ISM_E10value_typeEPSN_NS1_7vsmem_tEENKUlT_SL_SM_SN_E_clIS8_S8_S9_S9_EESK_S10_SL_SM_SN_EUlS10_E0_NS1_11comp_targetILNS1_3genE3ELNS1_11target_archE908ELNS1_3gpuE7ELNS1_3repE0EEENS1_38merge_mergepath_config_static_selectorELNS0_4arch9wavefront6targetE1EEEvSM_: ; @_ZN7rocprim17ROCPRIM_400000_NS6detail17trampoline_kernelINS0_14default_configENS1_38merge_sort_block_merge_config_selectorIlNS0_10empty_typeEEEZZNS1_27merge_sort_block_merge_implIS3_PlPS5_mZN2at6native12_GLOBAL__N_124unique_dim_cuda_templateImEESt5tupleIJNSA_6TensorESF_SF_EERKSF_lbbbEUlllE_EE10hipError_tT0_T1_T2_jT3_P12ihipStream_tbPNSt15iterator_traitsISL_E10value_typeEPNSR_ISM_E10value_typeEPSN_NS1_7vsmem_tEENKUlT_SL_SM_SN_E_clIS8_S8_S9_S9_EESK_S10_SL_SM_SN_EUlS10_E0_NS1_11comp_targetILNS1_3genE3ELNS1_11target_archE908ELNS1_3gpuE7ELNS1_3repE0EEENS1_38merge_mergepath_config_static_selectorELNS0_4arch9wavefront6targetE1EEEvSM_
; %bb.0:
	.section	.rodata,"a",@progbits
	.p2align	6, 0x0
	.amdhsa_kernel _ZN7rocprim17ROCPRIM_400000_NS6detail17trampoline_kernelINS0_14default_configENS1_38merge_sort_block_merge_config_selectorIlNS0_10empty_typeEEEZZNS1_27merge_sort_block_merge_implIS3_PlPS5_mZN2at6native12_GLOBAL__N_124unique_dim_cuda_templateImEESt5tupleIJNSA_6TensorESF_SF_EERKSF_lbbbEUlllE_EE10hipError_tT0_T1_T2_jT3_P12ihipStream_tbPNSt15iterator_traitsISL_E10value_typeEPNSR_ISM_E10value_typeEPSN_NS1_7vsmem_tEENKUlT_SL_SM_SN_E_clIS8_S8_S9_S9_EESK_S10_SL_SM_SN_EUlS10_E0_NS1_11comp_targetILNS1_3genE3ELNS1_11target_archE908ELNS1_3gpuE7ELNS1_3repE0EEENS1_38merge_mergepath_config_static_selectorELNS0_4arch9wavefront6targetE1EEEvSM_
		.amdhsa_group_segment_fixed_size 0
		.amdhsa_private_segment_fixed_size 0
		.amdhsa_kernarg_size 88
		.amdhsa_user_sgpr_count 2
		.amdhsa_user_sgpr_dispatch_ptr 0
		.amdhsa_user_sgpr_queue_ptr 0
		.amdhsa_user_sgpr_kernarg_segment_ptr 1
		.amdhsa_user_sgpr_dispatch_id 0
		.amdhsa_user_sgpr_kernarg_preload_length 0
		.amdhsa_user_sgpr_kernarg_preload_offset 0
		.amdhsa_user_sgpr_private_segment_size 0
		.amdhsa_uses_dynamic_stack 0
		.amdhsa_enable_private_segment 0
		.amdhsa_system_sgpr_workgroup_id_x 1
		.amdhsa_system_sgpr_workgroup_id_y 0
		.amdhsa_system_sgpr_workgroup_id_z 0
		.amdhsa_system_sgpr_workgroup_info 0
		.amdhsa_system_vgpr_workitem_id 0
		.amdhsa_next_free_vgpr 1
		.amdhsa_next_free_sgpr 0
		.amdhsa_accum_offset 4
		.amdhsa_reserve_vcc 0
		.amdhsa_float_round_mode_32 0
		.amdhsa_float_round_mode_16_64 0
		.amdhsa_float_denorm_mode_32 3
		.amdhsa_float_denorm_mode_16_64 3
		.amdhsa_dx10_clamp 1
		.amdhsa_ieee_mode 1
		.amdhsa_fp16_overflow 0
		.amdhsa_tg_split 0
		.amdhsa_exception_fp_ieee_invalid_op 0
		.amdhsa_exception_fp_denorm_src 0
		.amdhsa_exception_fp_ieee_div_zero 0
		.amdhsa_exception_fp_ieee_overflow 0
		.amdhsa_exception_fp_ieee_underflow 0
		.amdhsa_exception_fp_ieee_inexact 0
		.amdhsa_exception_int_div_zero 0
	.end_amdhsa_kernel
	.section	.text._ZN7rocprim17ROCPRIM_400000_NS6detail17trampoline_kernelINS0_14default_configENS1_38merge_sort_block_merge_config_selectorIlNS0_10empty_typeEEEZZNS1_27merge_sort_block_merge_implIS3_PlPS5_mZN2at6native12_GLOBAL__N_124unique_dim_cuda_templateImEESt5tupleIJNSA_6TensorESF_SF_EERKSF_lbbbEUlllE_EE10hipError_tT0_T1_T2_jT3_P12ihipStream_tbPNSt15iterator_traitsISL_E10value_typeEPNSR_ISM_E10value_typeEPSN_NS1_7vsmem_tEENKUlT_SL_SM_SN_E_clIS8_S8_S9_S9_EESK_S10_SL_SM_SN_EUlS10_E0_NS1_11comp_targetILNS1_3genE3ELNS1_11target_archE908ELNS1_3gpuE7ELNS1_3repE0EEENS1_38merge_mergepath_config_static_selectorELNS0_4arch9wavefront6targetE1EEEvSM_,"axG",@progbits,_ZN7rocprim17ROCPRIM_400000_NS6detail17trampoline_kernelINS0_14default_configENS1_38merge_sort_block_merge_config_selectorIlNS0_10empty_typeEEEZZNS1_27merge_sort_block_merge_implIS3_PlPS5_mZN2at6native12_GLOBAL__N_124unique_dim_cuda_templateImEESt5tupleIJNSA_6TensorESF_SF_EERKSF_lbbbEUlllE_EE10hipError_tT0_T1_T2_jT3_P12ihipStream_tbPNSt15iterator_traitsISL_E10value_typeEPNSR_ISM_E10value_typeEPSN_NS1_7vsmem_tEENKUlT_SL_SM_SN_E_clIS8_S8_S9_S9_EESK_S10_SL_SM_SN_EUlS10_E0_NS1_11comp_targetILNS1_3genE3ELNS1_11target_archE908ELNS1_3gpuE7ELNS1_3repE0EEENS1_38merge_mergepath_config_static_selectorELNS0_4arch9wavefront6targetE1EEEvSM_,comdat
.Lfunc_end1626:
	.size	_ZN7rocprim17ROCPRIM_400000_NS6detail17trampoline_kernelINS0_14default_configENS1_38merge_sort_block_merge_config_selectorIlNS0_10empty_typeEEEZZNS1_27merge_sort_block_merge_implIS3_PlPS5_mZN2at6native12_GLOBAL__N_124unique_dim_cuda_templateImEESt5tupleIJNSA_6TensorESF_SF_EERKSF_lbbbEUlllE_EE10hipError_tT0_T1_T2_jT3_P12ihipStream_tbPNSt15iterator_traitsISL_E10value_typeEPNSR_ISM_E10value_typeEPSN_NS1_7vsmem_tEENKUlT_SL_SM_SN_E_clIS8_S8_S9_S9_EESK_S10_SL_SM_SN_EUlS10_E0_NS1_11comp_targetILNS1_3genE3ELNS1_11target_archE908ELNS1_3gpuE7ELNS1_3repE0EEENS1_38merge_mergepath_config_static_selectorELNS0_4arch9wavefront6targetE1EEEvSM_, .Lfunc_end1626-_ZN7rocprim17ROCPRIM_400000_NS6detail17trampoline_kernelINS0_14default_configENS1_38merge_sort_block_merge_config_selectorIlNS0_10empty_typeEEEZZNS1_27merge_sort_block_merge_implIS3_PlPS5_mZN2at6native12_GLOBAL__N_124unique_dim_cuda_templateImEESt5tupleIJNSA_6TensorESF_SF_EERKSF_lbbbEUlllE_EE10hipError_tT0_T1_T2_jT3_P12ihipStream_tbPNSt15iterator_traitsISL_E10value_typeEPNSR_ISM_E10value_typeEPSN_NS1_7vsmem_tEENKUlT_SL_SM_SN_E_clIS8_S8_S9_S9_EESK_S10_SL_SM_SN_EUlS10_E0_NS1_11comp_targetILNS1_3genE3ELNS1_11target_archE908ELNS1_3gpuE7ELNS1_3repE0EEENS1_38merge_mergepath_config_static_selectorELNS0_4arch9wavefront6targetE1EEEvSM_
                                        ; -- End function
	.set _ZN7rocprim17ROCPRIM_400000_NS6detail17trampoline_kernelINS0_14default_configENS1_38merge_sort_block_merge_config_selectorIlNS0_10empty_typeEEEZZNS1_27merge_sort_block_merge_implIS3_PlPS5_mZN2at6native12_GLOBAL__N_124unique_dim_cuda_templateImEESt5tupleIJNSA_6TensorESF_SF_EERKSF_lbbbEUlllE_EE10hipError_tT0_T1_T2_jT3_P12ihipStream_tbPNSt15iterator_traitsISL_E10value_typeEPNSR_ISM_E10value_typeEPSN_NS1_7vsmem_tEENKUlT_SL_SM_SN_E_clIS8_S8_S9_S9_EESK_S10_SL_SM_SN_EUlS10_E0_NS1_11comp_targetILNS1_3genE3ELNS1_11target_archE908ELNS1_3gpuE7ELNS1_3repE0EEENS1_38merge_mergepath_config_static_selectorELNS0_4arch9wavefront6targetE1EEEvSM_.num_vgpr, 0
	.set _ZN7rocprim17ROCPRIM_400000_NS6detail17trampoline_kernelINS0_14default_configENS1_38merge_sort_block_merge_config_selectorIlNS0_10empty_typeEEEZZNS1_27merge_sort_block_merge_implIS3_PlPS5_mZN2at6native12_GLOBAL__N_124unique_dim_cuda_templateImEESt5tupleIJNSA_6TensorESF_SF_EERKSF_lbbbEUlllE_EE10hipError_tT0_T1_T2_jT3_P12ihipStream_tbPNSt15iterator_traitsISL_E10value_typeEPNSR_ISM_E10value_typeEPSN_NS1_7vsmem_tEENKUlT_SL_SM_SN_E_clIS8_S8_S9_S9_EESK_S10_SL_SM_SN_EUlS10_E0_NS1_11comp_targetILNS1_3genE3ELNS1_11target_archE908ELNS1_3gpuE7ELNS1_3repE0EEENS1_38merge_mergepath_config_static_selectorELNS0_4arch9wavefront6targetE1EEEvSM_.num_agpr, 0
	.set _ZN7rocprim17ROCPRIM_400000_NS6detail17trampoline_kernelINS0_14default_configENS1_38merge_sort_block_merge_config_selectorIlNS0_10empty_typeEEEZZNS1_27merge_sort_block_merge_implIS3_PlPS5_mZN2at6native12_GLOBAL__N_124unique_dim_cuda_templateImEESt5tupleIJNSA_6TensorESF_SF_EERKSF_lbbbEUlllE_EE10hipError_tT0_T1_T2_jT3_P12ihipStream_tbPNSt15iterator_traitsISL_E10value_typeEPNSR_ISM_E10value_typeEPSN_NS1_7vsmem_tEENKUlT_SL_SM_SN_E_clIS8_S8_S9_S9_EESK_S10_SL_SM_SN_EUlS10_E0_NS1_11comp_targetILNS1_3genE3ELNS1_11target_archE908ELNS1_3gpuE7ELNS1_3repE0EEENS1_38merge_mergepath_config_static_selectorELNS0_4arch9wavefront6targetE1EEEvSM_.numbered_sgpr, 0
	.set _ZN7rocprim17ROCPRIM_400000_NS6detail17trampoline_kernelINS0_14default_configENS1_38merge_sort_block_merge_config_selectorIlNS0_10empty_typeEEEZZNS1_27merge_sort_block_merge_implIS3_PlPS5_mZN2at6native12_GLOBAL__N_124unique_dim_cuda_templateImEESt5tupleIJNSA_6TensorESF_SF_EERKSF_lbbbEUlllE_EE10hipError_tT0_T1_T2_jT3_P12ihipStream_tbPNSt15iterator_traitsISL_E10value_typeEPNSR_ISM_E10value_typeEPSN_NS1_7vsmem_tEENKUlT_SL_SM_SN_E_clIS8_S8_S9_S9_EESK_S10_SL_SM_SN_EUlS10_E0_NS1_11comp_targetILNS1_3genE3ELNS1_11target_archE908ELNS1_3gpuE7ELNS1_3repE0EEENS1_38merge_mergepath_config_static_selectorELNS0_4arch9wavefront6targetE1EEEvSM_.num_named_barrier, 0
	.set _ZN7rocprim17ROCPRIM_400000_NS6detail17trampoline_kernelINS0_14default_configENS1_38merge_sort_block_merge_config_selectorIlNS0_10empty_typeEEEZZNS1_27merge_sort_block_merge_implIS3_PlPS5_mZN2at6native12_GLOBAL__N_124unique_dim_cuda_templateImEESt5tupleIJNSA_6TensorESF_SF_EERKSF_lbbbEUlllE_EE10hipError_tT0_T1_T2_jT3_P12ihipStream_tbPNSt15iterator_traitsISL_E10value_typeEPNSR_ISM_E10value_typeEPSN_NS1_7vsmem_tEENKUlT_SL_SM_SN_E_clIS8_S8_S9_S9_EESK_S10_SL_SM_SN_EUlS10_E0_NS1_11comp_targetILNS1_3genE3ELNS1_11target_archE908ELNS1_3gpuE7ELNS1_3repE0EEENS1_38merge_mergepath_config_static_selectorELNS0_4arch9wavefront6targetE1EEEvSM_.private_seg_size, 0
	.set _ZN7rocprim17ROCPRIM_400000_NS6detail17trampoline_kernelINS0_14default_configENS1_38merge_sort_block_merge_config_selectorIlNS0_10empty_typeEEEZZNS1_27merge_sort_block_merge_implIS3_PlPS5_mZN2at6native12_GLOBAL__N_124unique_dim_cuda_templateImEESt5tupleIJNSA_6TensorESF_SF_EERKSF_lbbbEUlllE_EE10hipError_tT0_T1_T2_jT3_P12ihipStream_tbPNSt15iterator_traitsISL_E10value_typeEPNSR_ISM_E10value_typeEPSN_NS1_7vsmem_tEENKUlT_SL_SM_SN_E_clIS8_S8_S9_S9_EESK_S10_SL_SM_SN_EUlS10_E0_NS1_11comp_targetILNS1_3genE3ELNS1_11target_archE908ELNS1_3gpuE7ELNS1_3repE0EEENS1_38merge_mergepath_config_static_selectorELNS0_4arch9wavefront6targetE1EEEvSM_.uses_vcc, 0
	.set _ZN7rocprim17ROCPRIM_400000_NS6detail17trampoline_kernelINS0_14default_configENS1_38merge_sort_block_merge_config_selectorIlNS0_10empty_typeEEEZZNS1_27merge_sort_block_merge_implIS3_PlPS5_mZN2at6native12_GLOBAL__N_124unique_dim_cuda_templateImEESt5tupleIJNSA_6TensorESF_SF_EERKSF_lbbbEUlllE_EE10hipError_tT0_T1_T2_jT3_P12ihipStream_tbPNSt15iterator_traitsISL_E10value_typeEPNSR_ISM_E10value_typeEPSN_NS1_7vsmem_tEENKUlT_SL_SM_SN_E_clIS8_S8_S9_S9_EESK_S10_SL_SM_SN_EUlS10_E0_NS1_11comp_targetILNS1_3genE3ELNS1_11target_archE908ELNS1_3gpuE7ELNS1_3repE0EEENS1_38merge_mergepath_config_static_selectorELNS0_4arch9wavefront6targetE1EEEvSM_.uses_flat_scratch, 0
	.set _ZN7rocprim17ROCPRIM_400000_NS6detail17trampoline_kernelINS0_14default_configENS1_38merge_sort_block_merge_config_selectorIlNS0_10empty_typeEEEZZNS1_27merge_sort_block_merge_implIS3_PlPS5_mZN2at6native12_GLOBAL__N_124unique_dim_cuda_templateImEESt5tupleIJNSA_6TensorESF_SF_EERKSF_lbbbEUlllE_EE10hipError_tT0_T1_T2_jT3_P12ihipStream_tbPNSt15iterator_traitsISL_E10value_typeEPNSR_ISM_E10value_typeEPSN_NS1_7vsmem_tEENKUlT_SL_SM_SN_E_clIS8_S8_S9_S9_EESK_S10_SL_SM_SN_EUlS10_E0_NS1_11comp_targetILNS1_3genE3ELNS1_11target_archE908ELNS1_3gpuE7ELNS1_3repE0EEENS1_38merge_mergepath_config_static_selectorELNS0_4arch9wavefront6targetE1EEEvSM_.has_dyn_sized_stack, 0
	.set _ZN7rocprim17ROCPRIM_400000_NS6detail17trampoline_kernelINS0_14default_configENS1_38merge_sort_block_merge_config_selectorIlNS0_10empty_typeEEEZZNS1_27merge_sort_block_merge_implIS3_PlPS5_mZN2at6native12_GLOBAL__N_124unique_dim_cuda_templateImEESt5tupleIJNSA_6TensorESF_SF_EERKSF_lbbbEUlllE_EE10hipError_tT0_T1_T2_jT3_P12ihipStream_tbPNSt15iterator_traitsISL_E10value_typeEPNSR_ISM_E10value_typeEPSN_NS1_7vsmem_tEENKUlT_SL_SM_SN_E_clIS8_S8_S9_S9_EESK_S10_SL_SM_SN_EUlS10_E0_NS1_11comp_targetILNS1_3genE3ELNS1_11target_archE908ELNS1_3gpuE7ELNS1_3repE0EEENS1_38merge_mergepath_config_static_selectorELNS0_4arch9wavefront6targetE1EEEvSM_.has_recursion, 0
	.set _ZN7rocprim17ROCPRIM_400000_NS6detail17trampoline_kernelINS0_14default_configENS1_38merge_sort_block_merge_config_selectorIlNS0_10empty_typeEEEZZNS1_27merge_sort_block_merge_implIS3_PlPS5_mZN2at6native12_GLOBAL__N_124unique_dim_cuda_templateImEESt5tupleIJNSA_6TensorESF_SF_EERKSF_lbbbEUlllE_EE10hipError_tT0_T1_T2_jT3_P12ihipStream_tbPNSt15iterator_traitsISL_E10value_typeEPNSR_ISM_E10value_typeEPSN_NS1_7vsmem_tEENKUlT_SL_SM_SN_E_clIS8_S8_S9_S9_EESK_S10_SL_SM_SN_EUlS10_E0_NS1_11comp_targetILNS1_3genE3ELNS1_11target_archE908ELNS1_3gpuE7ELNS1_3repE0EEENS1_38merge_mergepath_config_static_selectorELNS0_4arch9wavefront6targetE1EEEvSM_.has_indirect_call, 0
	.section	.AMDGPU.csdata,"",@progbits
; Kernel info:
; codeLenInByte = 0
; TotalNumSgprs: 6
; NumVgprs: 0
; NumAgprs: 0
; TotalNumVgprs: 0
; ScratchSize: 0
; MemoryBound: 0
; FloatMode: 240
; IeeeMode: 1
; LDSByteSize: 0 bytes/workgroup (compile time only)
; SGPRBlocks: 0
; VGPRBlocks: 0
; NumSGPRsForWavesPerEU: 6
; NumVGPRsForWavesPerEU: 1
; AccumOffset: 4
; Occupancy: 8
; WaveLimiterHint : 0
; COMPUTE_PGM_RSRC2:SCRATCH_EN: 0
; COMPUTE_PGM_RSRC2:USER_SGPR: 2
; COMPUTE_PGM_RSRC2:TRAP_HANDLER: 0
; COMPUTE_PGM_RSRC2:TGID_X_EN: 1
; COMPUTE_PGM_RSRC2:TGID_Y_EN: 0
; COMPUTE_PGM_RSRC2:TGID_Z_EN: 0
; COMPUTE_PGM_RSRC2:TIDIG_COMP_CNT: 0
; COMPUTE_PGM_RSRC3_GFX90A:ACCUM_OFFSET: 0
; COMPUTE_PGM_RSRC3_GFX90A:TG_SPLIT: 0
	.section	.text._ZN7rocprim17ROCPRIM_400000_NS6detail17trampoline_kernelINS0_14default_configENS1_38merge_sort_block_merge_config_selectorIlNS0_10empty_typeEEEZZNS1_27merge_sort_block_merge_implIS3_PlPS5_mZN2at6native12_GLOBAL__N_124unique_dim_cuda_templateImEESt5tupleIJNSA_6TensorESF_SF_EERKSF_lbbbEUlllE_EE10hipError_tT0_T1_T2_jT3_P12ihipStream_tbPNSt15iterator_traitsISL_E10value_typeEPNSR_ISM_E10value_typeEPSN_NS1_7vsmem_tEENKUlT_SL_SM_SN_E_clIS8_S8_S9_S9_EESK_S10_SL_SM_SN_EUlS10_E0_NS1_11comp_targetILNS1_3genE2ELNS1_11target_archE906ELNS1_3gpuE6ELNS1_3repE0EEENS1_38merge_mergepath_config_static_selectorELNS0_4arch9wavefront6targetE1EEEvSM_,"axG",@progbits,_ZN7rocprim17ROCPRIM_400000_NS6detail17trampoline_kernelINS0_14default_configENS1_38merge_sort_block_merge_config_selectorIlNS0_10empty_typeEEEZZNS1_27merge_sort_block_merge_implIS3_PlPS5_mZN2at6native12_GLOBAL__N_124unique_dim_cuda_templateImEESt5tupleIJNSA_6TensorESF_SF_EERKSF_lbbbEUlllE_EE10hipError_tT0_T1_T2_jT3_P12ihipStream_tbPNSt15iterator_traitsISL_E10value_typeEPNSR_ISM_E10value_typeEPSN_NS1_7vsmem_tEENKUlT_SL_SM_SN_E_clIS8_S8_S9_S9_EESK_S10_SL_SM_SN_EUlS10_E0_NS1_11comp_targetILNS1_3genE2ELNS1_11target_archE906ELNS1_3gpuE6ELNS1_3repE0EEENS1_38merge_mergepath_config_static_selectorELNS0_4arch9wavefront6targetE1EEEvSM_,comdat
	.globl	_ZN7rocprim17ROCPRIM_400000_NS6detail17trampoline_kernelINS0_14default_configENS1_38merge_sort_block_merge_config_selectorIlNS0_10empty_typeEEEZZNS1_27merge_sort_block_merge_implIS3_PlPS5_mZN2at6native12_GLOBAL__N_124unique_dim_cuda_templateImEESt5tupleIJNSA_6TensorESF_SF_EERKSF_lbbbEUlllE_EE10hipError_tT0_T1_T2_jT3_P12ihipStream_tbPNSt15iterator_traitsISL_E10value_typeEPNSR_ISM_E10value_typeEPSN_NS1_7vsmem_tEENKUlT_SL_SM_SN_E_clIS8_S8_S9_S9_EESK_S10_SL_SM_SN_EUlS10_E0_NS1_11comp_targetILNS1_3genE2ELNS1_11target_archE906ELNS1_3gpuE6ELNS1_3repE0EEENS1_38merge_mergepath_config_static_selectorELNS0_4arch9wavefront6targetE1EEEvSM_ ; -- Begin function _ZN7rocprim17ROCPRIM_400000_NS6detail17trampoline_kernelINS0_14default_configENS1_38merge_sort_block_merge_config_selectorIlNS0_10empty_typeEEEZZNS1_27merge_sort_block_merge_implIS3_PlPS5_mZN2at6native12_GLOBAL__N_124unique_dim_cuda_templateImEESt5tupleIJNSA_6TensorESF_SF_EERKSF_lbbbEUlllE_EE10hipError_tT0_T1_T2_jT3_P12ihipStream_tbPNSt15iterator_traitsISL_E10value_typeEPNSR_ISM_E10value_typeEPSN_NS1_7vsmem_tEENKUlT_SL_SM_SN_E_clIS8_S8_S9_S9_EESK_S10_SL_SM_SN_EUlS10_E0_NS1_11comp_targetILNS1_3genE2ELNS1_11target_archE906ELNS1_3gpuE6ELNS1_3repE0EEENS1_38merge_mergepath_config_static_selectorELNS0_4arch9wavefront6targetE1EEEvSM_
	.p2align	8
	.type	_ZN7rocprim17ROCPRIM_400000_NS6detail17trampoline_kernelINS0_14default_configENS1_38merge_sort_block_merge_config_selectorIlNS0_10empty_typeEEEZZNS1_27merge_sort_block_merge_implIS3_PlPS5_mZN2at6native12_GLOBAL__N_124unique_dim_cuda_templateImEESt5tupleIJNSA_6TensorESF_SF_EERKSF_lbbbEUlllE_EE10hipError_tT0_T1_T2_jT3_P12ihipStream_tbPNSt15iterator_traitsISL_E10value_typeEPNSR_ISM_E10value_typeEPSN_NS1_7vsmem_tEENKUlT_SL_SM_SN_E_clIS8_S8_S9_S9_EESK_S10_SL_SM_SN_EUlS10_E0_NS1_11comp_targetILNS1_3genE2ELNS1_11target_archE906ELNS1_3gpuE6ELNS1_3repE0EEENS1_38merge_mergepath_config_static_selectorELNS0_4arch9wavefront6targetE1EEEvSM_,@function
_ZN7rocprim17ROCPRIM_400000_NS6detail17trampoline_kernelINS0_14default_configENS1_38merge_sort_block_merge_config_selectorIlNS0_10empty_typeEEEZZNS1_27merge_sort_block_merge_implIS3_PlPS5_mZN2at6native12_GLOBAL__N_124unique_dim_cuda_templateImEESt5tupleIJNSA_6TensorESF_SF_EERKSF_lbbbEUlllE_EE10hipError_tT0_T1_T2_jT3_P12ihipStream_tbPNSt15iterator_traitsISL_E10value_typeEPNSR_ISM_E10value_typeEPSN_NS1_7vsmem_tEENKUlT_SL_SM_SN_E_clIS8_S8_S9_S9_EESK_S10_SL_SM_SN_EUlS10_E0_NS1_11comp_targetILNS1_3genE2ELNS1_11target_archE906ELNS1_3gpuE6ELNS1_3repE0EEENS1_38merge_mergepath_config_static_selectorELNS0_4arch9wavefront6targetE1EEEvSM_: ; @_ZN7rocprim17ROCPRIM_400000_NS6detail17trampoline_kernelINS0_14default_configENS1_38merge_sort_block_merge_config_selectorIlNS0_10empty_typeEEEZZNS1_27merge_sort_block_merge_implIS3_PlPS5_mZN2at6native12_GLOBAL__N_124unique_dim_cuda_templateImEESt5tupleIJNSA_6TensorESF_SF_EERKSF_lbbbEUlllE_EE10hipError_tT0_T1_T2_jT3_P12ihipStream_tbPNSt15iterator_traitsISL_E10value_typeEPNSR_ISM_E10value_typeEPSN_NS1_7vsmem_tEENKUlT_SL_SM_SN_E_clIS8_S8_S9_S9_EESK_S10_SL_SM_SN_EUlS10_E0_NS1_11comp_targetILNS1_3genE2ELNS1_11target_archE906ELNS1_3gpuE6ELNS1_3repE0EEENS1_38merge_mergepath_config_static_selectorELNS0_4arch9wavefront6targetE1EEEvSM_
; %bb.0:
	.section	.rodata,"a",@progbits
	.p2align	6, 0x0
	.amdhsa_kernel _ZN7rocprim17ROCPRIM_400000_NS6detail17trampoline_kernelINS0_14default_configENS1_38merge_sort_block_merge_config_selectorIlNS0_10empty_typeEEEZZNS1_27merge_sort_block_merge_implIS3_PlPS5_mZN2at6native12_GLOBAL__N_124unique_dim_cuda_templateImEESt5tupleIJNSA_6TensorESF_SF_EERKSF_lbbbEUlllE_EE10hipError_tT0_T1_T2_jT3_P12ihipStream_tbPNSt15iterator_traitsISL_E10value_typeEPNSR_ISM_E10value_typeEPSN_NS1_7vsmem_tEENKUlT_SL_SM_SN_E_clIS8_S8_S9_S9_EESK_S10_SL_SM_SN_EUlS10_E0_NS1_11comp_targetILNS1_3genE2ELNS1_11target_archE906ELNS1_3gpuE6ELNS1_3repE0EEENS1_38merge_mergepath_config_static_selectorELNS0_4arch9wavefront6targetE1EEEvSM_
		.amdhsa_group_segment_fixed_size 0
		.amdhsa_private_segment_fixed_size 0
		.amdhsa_kernarg_size 88
		.amdhsa_user_sgpr_count 2
		.amdhsa_user_sgpr_dispatch_ptr 0
		.amdhsa_user_sgpr_queue_ptr 0
		.amdhsa_user_sgpr_kernarg_segment_ptr 1
		.amdhsa_user_sgpr_dispatch_id 0
		.amdhsa_user_sgpr_kernarg_preload_length 0
		.amdhsa_user_sgpr_kernarg_preload_offset 0
		.amdhsa_user_sgpr_private_segment_size 0
		.amdhsa_uses_dynamic_stack 0
		.amdhsa_enable_private_segment 0
		.amdhsa_system_sgpr_workgroup_id_x 1
		.amdhsa_system_sgpr_workgroup_id_y 0
		.amdhsa_system_sgpr_workgroup_id_z 0
		.amdhsa_system_sgpr_workgroup_info 0
		.amdhsa_system_vgpr_workitem_id 0
		.amdhsa_next_free_vgpr 1
		.amdhsa_next_free_sgpr 0
		.amdhsa_accum_offset 4
		.amdhsa_reserve_vcc 0
		.amdhsa_float_round_mode_32 0
		.amdhsa_float_round_mode_16_64 0
		.amdhsa_float_denorm_mode_32 3
		.amdhsa_float_denorm_mode_16_64 3
		.amdhsa_dx10_clamp 1
		.amdhsa_ieee_mode 1
		.amdhsa_fp16_overflow 0
		.amdhsa_tg_split 0
		.amdhsa_exception_fp_ieee_invalid_op 0
		.amdhsa_exception_fp_denorm_src 0
		.amdhsa_exception_fp_ieee_div_zero 0
		.amdhsa_exception_fp_ieee_overflow 0
		.amdhsa_exception_fp_ieee_underflow 0
		.amdhsa_exception_fp_ieee_inexact 0
		.amdhsa_exception_int_div_zero 0
	.end_amdhsa_kernel
	.section	.text._ZN7rocprim17ROCPRIM_400000_NS6detail17trampoline_kernelINS0_14default_configENS1_38merge_sort_block_merge_config_selectorIlNS0_10empty_typeEEEZZNS1_27merge_sort_block_merge_implIS3_PlPS5_mZN2at6native12_GLOBAL__N_124unique_dim_cuda_templateImEESt5tupleIJNSA_6TensorESF_SF_EERKSF_lbbbEUlllE_EE10hipError_tT0_T1_T2_jT3_P12ihipStream_tbPNSt15iterator_traitsISL_E10value_typeEPNSR_ISM_E10value_typeEPSN_NS1_7vsmem_tEENKUlT_SL_SM_SN_E_clIS8_S8_S9_S9_EESK_S10_SL_SM_SN_EUlS10_E0_NS1_11comp_targetILNS1_3genE2ELNS1_11target_archE906ELNS1_3gpuE6ELNS1_3repE0EEENS1_38merge_mergepath_config_static_selectorELNS0_4arch9wavefront6targetE1EEEvSM_,"axG",@progbits,_ZN7rocprim17ROCPRIM_400000_NS6detail17trampoline_kernelINS0_14default_configENS1_38merge_sort_block_merge_config_selectorIlNS0_10empty_typeEEEZZNS1_27merge_sort_block_merge_implIS3_PlPS5_mZN2at6native12_GLOBAL__N_124unique_dim_cuda_templateImEESt5tupleIJNSA_6TensorESF_SF_EERKSF_lbbbEUlllE_EE10hipError_tT0_T1_T2_jT3_P12ihipStream_tbPNSt15iterator_traitsISL_E10value_typeEPNSR_ISM_E10value_typeEPSN_NS1_7vsmem_tEENKUlT_SL_SM_SN_E_clIS8_S8_S9_S9_EESK_S10_SL_SM_SN_EUlS10_E0_NS1_11comp_targetILNS1_3genE2ELNS1_11target_archE906ELNS1_3gpuE6ELNS1_3repE0EEENS1_38merge_mergepath_config_static_selectorELNS0_4arch9wavefront6targetE1EEEvSM_,comdat
.Lfunc_end1627:
	.size	_ZN7rocprim17ROCPRIM_400000_NS6detail17trampoline_kernelINS0_14default_configENS1_38merge_sort_block_merge_config_selectorIlNS0_10empty_typeEEEZZNS1_27merge_sort_block_merge_implIS3_PlPS5_mZN2at6native12_GLOBAL__N_124unique_dim_cuda_templateImEESt5tupleIJNSA_6TensorESF_SF_EERKSF_lbbbEUlllE_EE10hipError_tT0_T1_T2_jT3_P12ihipStream_tbPNSt15iterator_traitsISL_E10value_typeEPNSR_ISM_E10value_typeEPSN_NS1_7vsmem_tEENKUlT_SL_SM_SN_E_clIS8_S8_S9_S9_EESK_S10_SL_SM_SN_EUlS10_E0_NS1_11comp_targetILNS1_3genE2ELNS1_11target_archE906ELNS1_3gpuE6ELNS1_3repE0EEENS1_38merge_mergepath_config_static_selectorELNS0_4arch9wavefront6targetE1EEEvSM_, .Lfunc_end1627-_ZN7rocprim17ROCPRIM_400000_NS6detail17trampoline_kernelINS0_14default_configENS1_38merge_sort_block_merge_config_selectorIlNS0_10empty_typeEEEZZNS1_27merge_sort_block_merge_implIS3_PlPS5_mZN2at6native12_GLOBAL__N_124unique_dim_cuda_templateImEESt5tupleIJNSA_6TensorESF_SF_EERKSF_lbbbEUlllE_EE10hipError_tT0_T1_T2_jT3_P12ihipStream_tbPNSt15iterator_traitsISL_E10value_typeEPNSR_ISM_E10value_typeEPSN_NS1_7vsmem_tEENKUlT_SL_SM_SN_E_clIS8_S8_S9_S9_EESK_S10_SL_SM_SN_EUlS10_E0_NS1_11comp_targetILNS1_3genE2ELNS1_11target_archE906ELNS1_3gpuE6ELNS1_3repE0EEENS1_38merge_mergepath_config_static_selectorELNS0_4arch9wavefront6targetE1EEEvSM_
                                        ; -- End function
	.set _ZN7rocprim17ROCPRIM_400000_NS6detail17trampoline_kernelINS0_14default_configENS1_38merge_sort_block_merge_config_selectorIlNS0_10empty_typeEEEZZNS1_27merge_sort_block_merge_implIS3_PlPS5_mZN2at6native12_GLOBAL__N_124unique_dim_cuda_templateImEESt5tupleIJNSA_6TensorESF_SF_EERKSF_lbbbEUlllE_EE10hipError_tT0_T1_T2_jT3_P12ihipStream_tbPNSt15iterator_traitsISL_E10value_typeEPNSR_ISM_E10value_typeEPSN_NS1_7vsmem_tEENKUlT_SL_SM_SN_E_clIS8_S8_S9_S9_EESK_S10_SL_SM_SN_EUlS10_E0_NS1_11comp_targetILNS1_3genE2ELNS1_11target_archE906ELNS1_3gpuE6ELNS1_3repE0EEENS1_38merge_mergepath_config_static_selectorELNS0_4arch9wavefront6targetE1EEEvSM_.num_vgpr, 0
	.set _ZN7rocprim17ROCPRIM_400000_NS6detail17trampoline_kernelINS0_14default_configENS1_38merge_sort_block_merge_config_selectorIlNS0_10empty_typeEEEZZNS1_27merge_sort_block_merge_implIS3_PlPS5_mZN2at6native12_GLOBAL__N_124unique_dim_cuda_templateImEESt5tupleIJNSA_6TensorESF_SF_EERKSF_lbbbEUlllE_EE10hipError_tT0_T1_T2_jT3_P12ihipStream_tbPNSt15iterator_traitsISL_E10value_typeEPNSR_ISM_E10value_typeEPSN_NS1_7vsmem_tEENKUlT_SL_SM_SN_E_clIS8_S8_S9_S9_EESK_S10_SL_SM_SN_EUlS10_E0_NS1_11comp_targetILNS1_3genE2ELNS1_11target_archE906ELNS1_3gpuE6ELNS1_3repE0EEENS1_38merge_mergepath_config_static_selectorELNS0_4arch9wavefront6targetE1EEEvSM_.num_agpr, 0
	.set _ZN7rocprim17ROCPRIM_400000_NS6detail17trampoline_kernelINS0_14default_configENS1_38merge_sort_block_merge_config_selectorIlNS0_10empty_typeEEEZZNS1_27merge_sort_block_merge_implIS3_PlPS5_mZN2at6native12_GLOBAL__N_124unique_dim_cuda_templateImEESt5tupleIJNSA_6TensorESF_SF_EERKSF_lbbbEUlllE_EE10hipError_tT0_T1_T2_jT3_P12ihipStream_tbPNSt15iterator_traitsISL_E10value_typeEPNSR_ISM_E10value_typeEPSN_NS1_7vsmem_tEENKUlT_SL_SM_SN_E_clIS8_S8_S9_S9_EESK_S10_SL_SM_SN_EUlS10_E0_NS1_11comp_targetILNS1_3genE2ELNS1_11target_archE906ELNS1_3gpuE6ELNS1_3repE0EEENS1_38merge_mergepath_config_static_selectorELNS0_4arch9wavefront6targetE1EEEvSM_.numbered_sgpr, 0
	.set _ZN7rocprim17ROCPRIM_400000_NS6detail17trampoline_kernelINS0_14default_configENS1_38merge_sort_block_merge_config_selectorIlNS0_10empty_typeEEEZZNS1_27merge_sort_block_merge_implIS3_PlPS5_mZN2at6native12_GLOBAL__N_124unique_dim_cuda_templateImEESt5tupleIJNSA_6TensorESF_SF_EERKSF_lbbbEUlllE_EE10hipError_tT0_T1_T2_jT3_P12ihipStream_tbPNSt15iterator_traitsISL_E10value_typeEPNSR_ISM_E10value_typeEPSN_NS1_7vsmem_tEENKUlT_SL_SM_SN_E_clIS8_S8_S9_S9_EESK_S10_SL_SM_SN_EUlS10_E0_NS1_11comp_targetILNS1_3genE2ELNS1_11target_archE906ELNS1_3gpuE6ELNS1_3repE0EEENS1_38merge_mergepath_config_static_selectorELNS0_4arch9wavefront6targetE1EEEvSM_.num_named_barrier, 0
	.set _ZN7rocprim17ROCPRIM_400000_NS6detail17trampoline_kernelINS0_14default_configENS1_38merge_sort_block_merge_config_selectorIlNS0_10empty_typeEEEZZNS1_27merge_sort_block_merge_implIS3_PlPS5_mZN2at6native12_GLOBAL__N_124unique_dim_cuda_templateImEESt5tupleIJNSA_6TensorESF_SF_EERKSF_lbbbEUlllE_EE10hipError_tT0_T1_T2_jT3_P12ihipStream_tbPNSt15iterator_traitsISL_E10value_typeEPNSR_ISM_E10value_typeEPSN_NS1_7vsmem_tEENKUlT_SL_SM_SN_E_clIS8_S8_S9_S9_EESK_S10_SL_SM_SN_EUlS10_E0_NS1_11comp_targetILNS1_3genE2ELNS1_11target_archE906ELNS1_3gpuE6ELNS1_3repE0EEENS1_38merge_mergepath_config_static_selectorELNS0_4arch9wavefront6targetE1EEEvSM_.private_seg_size, 0
	.set _ZN7rocprim17ROCPRIM_400000_NS6detail17trampoline_kernelINS0_14default_configENS1_38merge_sort_block_merge_config_selectorIlNS0_10empty_typeEEEZZNS1_27merge_sort_block_merge_implIS3_PlPS5_mZN2at6native12_GLOBAL__N_124unique_dim_cuda_templateImEESt5tupleIJNSA_6TensorESF_SF_EERKSF_lbbbEUlllE_EE10hipError_tT0_T1_T2_jT3_P12ihipStream_tbPNSt15iterator_traitsISL_E10value_typeEPNSR_ISM_E10value_typeEPSN_NS1_7vsmem_tEENKUlT_SL_SM_SN_E_clIS8_S8_S9_S9_EESK_S10_SL_SM_SN_EUlS10_E0_NS1_11comp_targetILNS1_3genE2ELNS1_11target_archE906ELNS1_3gpuE6ELNS1_3repE0EEENS1_38merge_mergepath_config_static_selectorELNS0_4arch9wavefront6targetE1EEEvSM_.uses_vcc, 0
	.set _ZN7rocprim17ROCPRIM_400000_NS6detail17trampoline_kernelINS0_14default_configENS1_38merge_sort_block_merge_config_selectorIlNS0_10empty_typeEEEZZNS1_27merge_sort_block_merge_implIS3_PlPS5_mZN2at6native12_GLOBAL__N_124unique_dim_cuda_templateImEESt5tupleIJNSA_6TensorESF_SF_EERKSF_lbbbEUlllE_EE10hipError_tT0_T1_T2_jT3_P12ihipStream_tbPNSt15iterator_traitsISL_E10value_typeEPNSR_ISM_E10value_typeEPSN_NS1_7vsmem_tEENKUlT_SL_SM_SN_E_clIS8_S8_S9_S9_EESK_S10_SL_SM_SN_EUlS10_E0_NS1_11comp_targetILNS1_3genE2ELNS1_11target_archE906ELNS1_3gpuE6ELNS1_3repE0EEENS1_38merge_mergepath_config_static_selectorELNS0_4arch9wavefront6targetE1EEEvSM_.uses_flat_scratch, 0
	.set _ZN7rocprim17ROCPRIM_400000_NS6detail17trampoline_kernelINS0_14default_configENS1_38merge_sort_block_merge_config_selectorIlNS0_10empty_typeEEEZZNS1_27merge_sort_block_merge_implIS3_PlPS5_mZN2at6native12_GLOBAL__N_124unique_dim_cuda_templateImEESt5tupleIJNSA_6TensorESF_SF_EERKSF_lbbbEUlllE_EE10hipError_tT0_T1_T2_jT3_P12ihipStream_tbPNSt15iterator_traitsISL_E10value_typeEPNSR_ISM_E10value_typeEPSN_NS1_7vsmem_tEENKUlT_SL_SM_SN_E_clIS8_S8_S9_S9_EESK_S10_SL_SM_SN_EUlS10_E0_NS1_11comp_targetILNS1_3genE2ELNS1_11target_archE906ELNS1_3gpuE6ELNS1_3repE0EEENS1_38merge_mergepath_config_static_selectorELNS0_4arch9wavefront6targetE1EEEvSM_.has_dyn_sized_stack, 0
	.set _ZN7rocprim17ROCPRIM_400000_NS6detail17trampoline_kernelINS0_14default_configENS1_38merge_sort_block_merge_config_selectorIlNS0_10empty_typeEEEZZNS1_27merge_sort_block_merge_implIS3_PlPS5_mZN2at6native12_GLOBAL__N_124unique_dim_cuda_templateImEESt5tupleIJNSA_6TensorESF_SF_EERKSF_lbbbEUlllE_EE10hipError_tT0_T1_T2_jT3_P12ihipStream_tbPNSt15iterator_traitsISL_E10value_typeEPNSR_ISM_E10value_typeEPSN_NS1_7vsmem_tEENKUlT_SL_SM_SN_E_clIS8_S8_S9_S9_EESK_S10_SL_SM_SN_EUlS10_E0_NS1_11comp_targetILNS1_3genE2ELNS1_11target_archE906ELNS1_3gpuE6ELNS1_3repE0EEENS1_38merge_mergepath_config_static_selectorELNS0_4arch9wavefront6targetE1EEEvSM_.has_recursion, 0
	.set _ZN7rocprim17ROCPRIM_400000_NS6detail17trampoline_kernelINS0_14default_configENS1_38merge_sort_block_merge_config_selectorIlNS0_10empty_typeEEEZZNS1_27merge_sort_block_merge_implIS3_PlPS5_mZN2at6native12_GLOBAL__N_124unique_dim_cuda_templateImEESt5tupleIJNSA_6TensorESF_SF_EERKSF_lbbbEUlllE_EE10hipError_tT0_T1_T2_jT3_P12ihipStream_tbPNSt15iterator_traitsISL_E10value_typeEPNSR_ISM_E10value_typeEPSN_NS1_7vsmem_tEENKUlT_SL_SM_SN_E_clIS8_S8_S9_S9_EESK_S10_SL_SM_SN_EUlS10_E0_NS1_11comp_targetILNS1_3genE2ELNS1_11target_archE906ELNS1_3gpuE6ELNS1_3repE0EEENS1_38merge_mergepath_config_static_selectorELNS0_4arch9wavefront6targetE1EEEvSM_.has_indirect_call, 0
	.section	.AMDGPU.csdata,"",@progbits
; Kernel info:
; codeLenInByte = 0
; TotalNumSgprs: 6
; NumVgprs: 0
; NumAgprs: 0
; TotalNumVgprs: 0
; ScratchSize: 0
; MemoryBound: 0
; FloatMode: 240
; IeeeMode: 1
; LDSByteSize: 0 bytes/workgroup (compile time only)
; SGPRBlocks: 0
; VGPRBlocks: 0
; NumSGPRsForWavesPerEU: 6
; NumVGPRsForWavesPerEU: 1
; AccumOffset: 4
; Occupancy: 8
; WaveLimiterHint : 0
; COMPUTE_PGM_RSRC2:SCRATCH_EN: 0
; COMPUTE_PGM_RSRC2:USER_SGPR: 2
; COMPUTE_PGM_RSRC2:TRAP_HANDLER: 0
; COMPUTE_PGM_RSRC2:TGID_X_EN: 1
; COMPUTE_PGM_RSRC2:TGID_Y_EN: 0
; COMPUTE_PGM_RSRC2:TGID_Z_EN: 0
; COMPUTE_PGM_RSRC2:TIDIG_COMP_CNT: 0
; COMPUTE_PGM_RSRC3_GFX90A:ACCUM_OFFSET: 0
; COMPUTE_PGM_RSRC3_GFX90A:TG_SPLIT: 0
	.section	.text._ZN7rocprim17ROCPRIM_400000_NS6detail17trampoline_kernelINS0_14default_configENS1_38merge_sort_block_merge_config_selectorIlNS0_10empty_typeEEEZZNS1_27merge_sort_block_merge_implIS3_PlPS5_mZN2at6native12_GLOBAL__N_124unique_dim_cuda_templateImEESt5tupleIJNSA_6TensorESF_SF_EERKSF_lbbbEUlllE_EE10hipError_tT0_T1_T2_jT3_P12ihipStream_tbPNSt15iterator_traitsISL_E10value_typeEPNSR_ISM_E10value_typeEPSN_NS1_7vsmem_tEENKUlT_SL_SM_SN_E_clIS8_S8_S9_S9_EESK_S10_SL_SM_SN_EUlS10_E0_NS1_11comp_targetILNS1_3genE9ELNS1_11target_archE1100ELNS1_3gpuE3ELNS1_3repE0EEENS1_38merge_mergepath_config_static_selectorELNS0_4arch9wavefront6targetE1EEEvSM_,"axG",@progbits,_ZN7rocprim17ROCPRIM_400000_NS6detail17trampoline_kernelINS0_14default_configENS1_38merge_sort_block_merge_config_selectorIlNS0_10empty_typeEEEZZNS1_27merge_sort_block_merge_implIS3_PlPS5_mZN2at6native12_GLOBAL__N_124unique_dim_cuda_templateImEESt5tupleIJNSA_6TensorESF_SF_EERKSF_lbbbEUlllE_EE10hipError_tT0_T1_T2_jT3_P12ihipStream_tbPNSt15iterator_traitsISL_E10value_typeEPNSR_ISM_E10value_typeEPSN_NS1_7vsmem_tEENKUlT_SL_SM_SN_E_clIS8_S8_S9_S9_EESK_S10_SL_SM_SN_EUlS10_E0_NS1_11comp_targetILNS1_3genE9ELNS1_11target_archE1100ELNS1_3gpuE3ELNS1_3repE0EEENS1_38merge_mergepath_config_static_selectorELNS0_4arch9wavefront6targetE1EEEvSM_,comdat
	.globl	_ZN7rocprim17ROCPRIM_400000_NS6detail17trampoline_kernelINS0_14default_configENS1_38merge_sort_block_merge_config_selectorIlNS0_10empty_typeEEEZZNS1_27merge_sort_block_merge_implIS3_PlPS5_mZN2at6native12_GLOBAL__N_124unique_dim_cuda_templateImEESt5tupleIJNSA_6TensorESF_SF_EERKSF_lbbbEUlllE_EE10hipError_tT0_T1_T2_jT3_P12ihipStream_tbPNSt15iterator_traitsISL_E10value_typeEPNSR_ISM_E10value_typeEPSN_NS1_7vsmem_tEENKUlT_SL_SM_SN_E_clIS8_S8_S9_S9_EESK_S10_SL_SM_SN_EUlS10_E0_NS1_11comp_targetILNS1_3genE9ELNS1_11target_archE1100ELNS1_3gpuE3ELNS1_3repE0EEENS1_38merge_mergepath_config_static_selectorELNS0_4arch9wavefront6targetE1EEEvSM_ ; -- Begin function _ZN7rocprim17ROCPRIM_400000_NS6detail17trampoline_kernelINS0_14default_configENS1_38merge_sort_block_merge_config_selectorIlNS0_10empty_typeEEEZZNS1_27merge_sort_block_merge_implIS3_PlPS5_mZN2at6native12_GLOBAL__N_124unique_dim_cuda_templateImEESt5tupleIJNSA_6TensorESF_SF_EERKSF_lbbbEUlllE_EE10hipError_tT0_T1_T2_jT3_P12ihipStream_tbPNSt15iterator_traitsISL_E10value_typeEPNSR_ISM_E10value_typeEPSN_NS1_7vsmem_tEENKUlT_SL_SM_SN_E_clIS8_S8_S9_S9_EESK_S10_SL_SM_SN_EUlS10_E0_NS1_11comp_targetILNS1_3genE9ELNS1_11target_archE1100ELNS1_3gpuE3ELNS1_3repE0EEENS1_38merge_mergepath_config_static_selectorELNS0_4arch9wavefront6targetE1EEEvSM_
	.p2align	8
	.type	_ZN7rocprim17ROCPRIM_400000_NS6detail17trampoline_kernelINS0_14default_configENS1_38merge_sort_block_merge_config_selectorIlNS0_10empty_typeEEEZZNS1_27merge_sort_block_merge_implIS3_PlPS5_mZN2at6native12_GLOBAL__N_124unique_dim_cuda_templateImEESt5tupleIJNSA_6TensorESF_SF_EERKSF_lbbbEUlllE_EE10hipError_tT0_T1_T2_jT3_P12ihipStream_tbPNSt15iterator_traitsISL_E10value_typeEPNSR_ISM_E10value_typeEPSN_NS1_7vsmem_tEENKUlT_SL_SM_SN_E_clIS8_S8_S9_S9_EESK_S10_SL_SM_SN_EUlS10_E0_NS1_11comp_targetILNS1_3genE9ELNS1_11target_archE1100ELNS1_3gpuE3ELNS1_3repE0EEENS1_38merge_mergepath_config_static_selectorELNS0_4arch9wavefront6targetE1EEEvSM_,@function
_ZN7rocprim17ROCPRIM_400000_NS6detail17trampoline_kernelINS0_14default_configENS1_38merge_sort_block_merge_config_selectorIlNS0_10empty_typeEEEZZNS1_27merge_sort_block_merge_implIS3_PlPS5_mZN2at6native12_GLOBAL__N_124unique_dim_cuda_templateImEESt5tupleIJNSA_6TensorESF_SF_EERKSF_lbbbEUlllE_EE10hipError_tT0_T1_T2_jT3_P12ihipStream_tbPNSt15iterator_traitsISL_E10value_typeEPNSR_ISM_E10value_typeEPSN_NS1_7vsmem_tEENKUlT_SL_SM_SN_E_clIS8_S8_S9_S9_EESK_S10_SL_SM_SN_EUlS10_E0_NS1_11comp_targetILNS1_3genE9ELNS1_11target_archE1100ELNS1_3gpuE3ELNS1_3repE0EEENS1_38merge_mergepath_config_static_selectorELNS0_4arch9wavefront6targetE1EEEvSM_: ; @_ZN7rocprim17ROCPRIM_400000_NS6detail17trampoline_kernelINS0_14default_configENS1_38merge_sort_block_merge_config_selectorIlNS0_10empty_typeEEEZZNS1_27merge_sort_block_merge_implIS3_PlPS5_mZN2at6native12_GLOBAL__N_124unique_dim_cuda_templateImEESt5tupleIJNSA_6TensorESF_SF_EERKSF_lbbbEUlllE_EE10hipError_tT0_T1_T2_jT3_P12ihipStream_tbPNSt15iterator_traitsISL_E10value_typeEPNSR_ISM_E10value_typeEPSN_NS1_7vsmem_tEENKUlT_SL_SM_SN_E_clIS8_S8_S9_S9_EESK_S10_SL_SM_SN_EUlS10_E0_NS1_11comp_targetILNS1_3genE9ELNS1_11target_archE1100ELNS1_3gpuE3ELNS1_3repE0EEENS1_38merge_mergepath_config_static_selectorELNS0_4arch9wavefront6targetE1EEEvSM_
; %bb.0:
	.section	.rodata,"a",@progbits
	.p2align	6, 0x0
	.amdhsa_kernel _ZN7rocprim17ROCPRIM_400000_NS6detail17trampoline_kernelINS0_14default_configENS1_38merge_sort_block_merge_config_selectorIlNS0_10empty_typeEEEZZNS1_27merge_sort_block_merge_implIS3_PlPS5_mZN2at6native12_GLOBAL__N_124unique_dim_cuda_templateImEESt5tupleIJNSA_6TensorESF_SF_EERKSF_lbbbEUlllE_EE10hipError_tT0_T1_T2_jT3_P12ihipStream_tbPNSt15iterator_traitsISL_E10value_typeEPNSR_ISM_E10value_typeEPSN_NS1_7vsmem_tEENKUlT_SL_SM_SN_E_clIS8_S8_S9_S9_EESK_S10_SL_SM_SN_EUlS10_E0_NS1_11comp_targetILNS1_3genE9ELNS1_11target_archE1100ELNS1_3gpuE3ELNS1_3repE0EEENS1_38merge_mergepath_config_static_selectorELNS0_4arch9wavefront6targetE1EEEvSM_
		.amdhsa_group_segment_fixed_size 0
		.amdhsa_private_segment_fixed_size 0
		.amdhsa_kernarg_size 88
		.amdhsa_user_sgpr_count 2
		.amdhsa_user_sgpr_dispatch_ptr 0
		.amdhsa_user_sgpr_queue_ptr 0
		.amdhsa_user_sgpr_kernarg_segment_ptr 1
		.amdhsa_user_sgpr_dispatch_id 0
		.amdhsa_user_sgpr_kernarg_preload_length 0
		.amdhsa_user_sgpr_kernarg_preload_offset 0
		.amdhsa_user_sgpr_private_segment_size 0
		.amdhsa_uses_dynamic_stack 0
		.amdhsa_enable_private_segment 0
		.amdhsa_system_sgpr_workgroup_id_x 1
		.amdhsa_system_sgpr_workgroup_id_y 0
		.amdhsa_system_sgpr_workgroup_id_z 0
		.amdhsa_system_sgpr_workgroup_info 0
		.amdhsa_system_vgpr_workitem_id 0
		.amdhsa_next_free_vgpr 1
		.amdhsa_next_free_sgpr 0
		.amdhsa_accum_offset 4
		.amdhsa_reserve_vcc 0
		.amdhsa_float_round_mode_32 0
		.amdhsa_float_round_mode_16_64 0
		.amdhsa_float_denorm_mode_32 3
		.amdhsa_float_denorm_mode_16_64 3
		.amdhsa_dx10_clamp 1
		.amdhsa_ieee_mode 1
		.amdhsa_fp16_overflow 0
		.amdhsa_tg_split 0
		.amdhsa_exception_fp_ieee_invalid_op 0
		.amdhsa_exception_fp_denorm_src 0
		.amdhsa_exception_fp_ieee_div_zero 0
		.amdhsa_exception_fp_ieee_overflow 0
		.amdhsa_exception_fp_ieee_underflow 0
		.amdhsa_exception_fp_ieee_inexact 0
		.amdhsa_exception_int_div_zero 0
	.end_amdhsa_kernel
	.section	.text._ZN7rocprim17ROCPRIM_400000_NS6detail17trampoline_kernelINS0_14default_configENS1_38merge_sort_block_merge_config_selectorIlNS0_10empty_typeEEEZZNS1_27merge_sort_block_merge_implIS3_PlPS5_mZN2at6native12_GLOBAL__N_124unique_dim_cuda_templateImEESt5tupleIJNSA_6TensorESF_SF_EERKSF_lbbbEUlllE_EE10hipError_tT0_T1_T2_jT3_P12ihipStream_tbPNSt15iterator_traitsISL_E10value_typeEPNSR_ISM_E10value_typeEPSN_NS1_7vsmem_tEENKUlT_SL_SM_SN_E_clIS8_S8_S9_S9_EESK_S10_SL_SM_SN_EUlS10_E0_NS1_11comp_targetILNS1_3genE9ELNS1_11target_archE1100ELNS1_3gpuE3ELNS1_3repE0EEENS1_38merge_mergepath_config_static_selectorELNS0_4arch9wavefront6targetE1EEEvSM_,"axG",@progbits,_ZN7rocprim17ROCPRIM_400000_NS6detail17trampoline_kernelINS0_14default_configENS1_38merge_sort_block_merge_config_selectorIlNS0_10empty_typeEEEZZNS1_27merge_sort_block_merge_implIS3_PlPS5_mZN2at6native12_GLOBAL__N_124unique_dim_cuda_templateImEESt5tupleIJNSA_6TensorESF_SF_EERKSF_lbbbEUlllE_EE10hipError_tT0_T1_T2_jT3_P12ihipStream_tbPNSt15iterator_traitsISL_E10value_typeEPNSR_ISM_E10value_typeEPSN_NS1_7vsmem_tEENKUlT_SL_SM_SN_E_clIS8_S8_S9_S9_EESK_S10_SL_SM_SN_EUlS10_E0_NS1_11comp_targetILNS1_3genE9ELNS1_11target_archE1100ELNS1_3gpuE3ELNS1_3repE0EEENS1_38merge_mergepath_config_static_selectorELNS0_4arch9wavefront6targetE1EEEvSM_,comdat
.Lfunc_end1628:
	.size	_ZN7rocprim17ROCPRIM_400000_NS6detail17trampoline_kernelINS0_14default_configENS1_38merge_sort_block_merge_config_selectorIlNS0_10empty_typeEEEZZNS1_27merge_sort_block_merge_implIS3_PlPS5_mZN2at6native12_GLOBAL__N_124unique_dim_cuda_templateImEESt5tupleIJNSA_6TensorESF_SF_EERKSF_lbbbEUlllE_EE10hipError_tT0_T1_T2_jT3_P12ihipStream_tbPNSt15iterator_traitsISL_E10value_typeEPNSR_ISM_E10value_typeEPSN_NS1_7vsmem_tEENKUlT_SL_SM_SN_E_clIS8_S8_S9_S9_EESK_S10_SL_SM_SN_EUlS10_E0_NS1_11comp_targetILNS1_3genE9ELNS1_11target_archE1100ELNS1_3gpuE3ELNS1_3repE0EEENS1_38merge_mergepath_config_static_selectorELNS0_4arch9wavefront6targetE1EEEvSM_, .Lfunc_end1628-_ZN7rocprim17ROCPRIM_400000_NS6detail17trampoline_kernelINS0_14default_configENS1_38merge_sort_block_merge_config_selectorIlNS0_10empty_typeEEEZZNS1_27merge_sort_block_merge_implIS3_PlPS5_mZN2at6native12_GLOBAL__N_124unique_dim_cuda_templateImEESt5tupleIJNSA_6TensorESF_SF_EERKSF_lbbbEUlllE_EE10hipError_tT0_T1_T2_jT3_P12ihipStream_tbPNSt15iterator_traitsISL_E10value_typeEPNSR_ISM_E10value_typeEPSN_NS1_7vsmem_tEENKUlT_SL_SM_SN_E_clIS8_S8_S9_S9_EESK_S10_SL_SM_SN_EUlS10_E0_NS1_11comp_targetILNS1_3genE9ELNS1_11target_archE1100ELNS1_3gpuE3ELNS1_3repE0EEENS1_38merge_mergepath_config_static_selectorELNS0_4arch9wavefront6targetE1EEEvSM_
                                        ; -- End function
	.set _ZN7rocprim17ROCPRIM_400000_NS6detail17trampoline_kernelINS0_14default_configENS1_38merge_sort_block_merge_config_selectorIlNS0_10empty_typeEEEZZNS1_27merge_sort_block_merge_implIS3_PlPS5_mZN2at6native12_GLOBAL__N_124unique_dim_cuda_templateImEESt5tupleIJNSA_6TensorESF_SF_EERKSF_lbbbEUlllE_EE10hipError_tT0_T1_T2_jT3_P12ihipStream_tbPNSt15iterator_traitsISL_E10value_typeEPNSR_ISM_E10value_typeEPSN_NS1_7vsmem_tEENKUlT_SL_SM_SN_E_clIS8_S8_S9_S9_EESK_S10_SL_SM_SN_EUlS10_E0_NS1_11comp_targetILNS1_3genE9ELNS1_11target_archE1100ELNS1_3gpuE3ELNS1_3repE0EEENS1_38merge_mergepath_config_static_selectorELNS0_4arch9wavefront6targetE1EEEvSM_.num_vgpr, 0
	.set _ZN7rocprim17ROCPRIM_400000_NS6detail17trampoline_kernelINS0_14default_configENS1_38merge_sort_block_merge_config_selectorIlNS0_10empty_typeEEEZZNS1_27merge_sort_block_merge_implIS3_PlPS5_mZN2at6native12_GLOBAL__N_124unique_dim_cuda_templateImEESt5tupleIJNSA_6TensorESF_SF_EERKSF_lbbbEUlllE_EE10hipError_tT0_T1_T2_jT3_P12ihipStream_tbPNSt15iterator_traitsISL_E10value_typeEPNSR_ISM_E10value_typeEPSN_NS1_7vsmem_tEENKUlT_SL_SM_SN_E_clIS8_S8_S9_S9_EESK_S10_SL_SM_SN_EUlS10_E0_NS1_11comp_targetILNS1_3genE9ELNS1_11target_archE1100ELNS1_3gpuE3ELNS1_3repE0EEENS1_38merge_mergepath_config_static_selectorELNS0_4arch9wavefront6targetE1EEEvSM_.num_agpr, 0
	.set _ZN7rocprim17ROCPRIM_400000_NS6detail17trampoline_kernelINS0_14default_configENS1_38merge_sort_block_merge_config_selectorIlNS0_10empty_typeEEEZZNS1_27merge_sort_block_merge_implIS3_PlPS5_mZN2at6native12_GLOBAL__N_124unique_dim_cuda_templateImEESt5tupleIJNSA_6TensorESF_SF_EERKSF_lbbbEUlllE_EE10hipError_tT0_T1_T2_jT3_P12ihipStream_tbPNSt15iterator_traitsISL_E10value_typeEPNSR_ISM_E10value_typeEPSN_NS1_7vsmem_tEENKUlT_SL_SM_SN_E_clIS8_S8_S9_S9_EESK_S10_SL_SM_SN_EUlS10_E0_NS1_11comp_targetILNS1_3genE9ELNS1_11target_archE1100ELNS1_3gpuE3ELNS1_3repE0EEENS1_38merge_mergepath_config_static_selectorELNS0_4arch9wavefront6targetE1EEEvSM_.numbered_sgpr, 0
	.set _ZN7rocprim17ROCPRIM_400000_NS6detail17trampoline_kernelINS0_14default_configENS1_38merge_sort_block_merge_config_selectorIlNS0_10empty_typeEEEZZNS1_27merge_sort_block_merge_implIS3_PlPS5_mZN2at6native12_GLOBAL__N_124unique_dim_cuda_templateImEESt5tupleIJNSA_6TensorESF_SF_EERKSF_lbbbEUlllE_EE10hipError_tT0_T1_T2_jT3_P12ihipStream_tbPNSt15iterator_traitsISL_E10value_typeEPNSR_ISM_E10value_typeEPSN_NS1_7vsmem_tEENKUlT_SL_SM_SN_E_clIS8_S8_S9_S9_EESK_S10_SL_SM_SN_EUlS10_E0_NS1_11comp_targetILNS1_3genE9ELNS1_11target_archE1100ELNS1_3gpuE3ELNS1_3repE0EEENS1_38merge_mergepath_config_static_selectorELNS0_4arch9wavefront6targetE1EEEvSM_.num_named_barrier, 0
	.set _ZN7rocprim17ROCPRIM_400000_NS6detail17trampoline_kernelINS0_14default_configENS1_38merge_sort_block_merge_config_selectorIlNS0_10empty_typeEEEZZNS1_27merge_sort_block_merge_implIS3_PlPS5_mZN2at6native12_GLOBAL__N_124unique_dim_cuda_templateImEESt5tupleIJNSA_6TensorESF_SF_EERKSF_lbbbEUlllE_EE10hipError_tT0_T1_T2_jT3_P12ihipStream_tbPNSt15iterator_traitsISL_E10value_typeEPNSR_ISM_E10value_typeEPSN_NS1_7vsmem_tEENKUlT_SL_SM_SN_E_clIS8_S8_S9_S9_EESK_S10_SL_SM_SN_EUlS10_E0_NS1_11comp_targetILNS1_3genE9ELNS1_11target_archE1100ELNS1_3gpuE3ELNS1_3repE0EEENS1_38merge_mergepath_config_static_selectorELNS0_4arch9wavefront6targetE1EEEvSM_.private_seg_size, 0
	.set _ZN7rocprim17ROCPRIM_400000_NS6detail17trampoline_kernelINS0_14default_configENS1_38merge_sort_block_merge_config_selectorIlNS0_10empty_typeEEEZZNS1_27merge_sort_block_merge_implIS3_PlPS5_mZN2at6native12_GLOBAL__N_124unique_dim_cuda_templateImEESt5tupleIJNSA_6TensorESF_SF_EERKSF_lbbbEUlllE_EE10hipError_tT0_T1_T2_jT3_P12ihipStream_tbPNSt15iterator_traitsISL_E10value_typeEPNSR_ISM_E10value_typeEPSN_NS1_7vsmem_tEENKUlT_SL_SM_SN_E_clIS8_S8_S9_S9_EESK_S10_SL_SM_SN_EUlS10_E0_NS1_11comp_targetILNS1_3genE9ELNS1_11target_archE1100ELNS1_3gpuE3ELNS1_3repE0EEENS1_38merge_mergepath_config_static_selectorELNS0_4arch9wavefront6targetE1EEEvSM_.uses_vcc, 0
	.set _ZN7rocprim17ROCPRIM_400000_NS6detail17trampoline_kernelINS0_14default_configENS1_38merge_sort_block_merge_config_selectorIlNS0_10empty_typeEEEZZNS1_27merge_sort_block_merge_implIS3_PlPS5_mZN2at6native12_GLOBAL__N_124unique_dim_cuda_templateImEESt5tupleIJNSA_6TensorESF_SF_EERKSF_lbbbEUlllE_EE10hipError_tT0_T1_T2_jT3_P12ihipStream_tbPNSt15iterator_traitsISL_E10value_typeEPNSR_ISM_E10value_typeEPSN_NS1_7vsmem_tEENKUlT_SL_SM_SN_E_clIS8_S8_S9_S9_EESK_S10_SL_SM_SN_EUlS10_E0_NS1_11comp_targetILNS1_3genE9ELNS1_11target_archE1100ELNS1_3gpuE3ELNS1_3repE0EEENS1_38merge_mergepath_config_static_selectorELNS0_4arch9wavefront6targetE1EEEvSM_.uses_flat_scratch, 0
	.set _ZN7rocprim17ROCPRIM_400000_NS6detail17trampoline_kernelINS0_14default_configENS1_38merge_sort_block_merge_config_selectorIlNS0_10empty_typeEEEZZNS1_27merge_sort_block_merge_implIS3_PlPS5_mZN2at6native12_GLOBAL__N_124unique_dim_cuda_templateImEESt5tupleIJNSA_6TensorESF_SF_EERKSF_lbbbEUlllE_EE10hipError_tT0_T1_T2_jT3_P12ihipStream_tbPNSt15iterator_traitsISL_E10value_typeEPNSR_ISM_E10value_typeEPSN_NS1_7vsmem_tEENKUlT_SL_SM_SN_E_clIS8_S8_S9_S9_EESK_S10_SL_SM_SN_EUlS10_E0_NS1_11comp_targetILNS1_3genE9ELNS1_11target_archE1100ELNS1_3gpuE3ELNS1_3repE0EEENS1_38merge_mergepath_config_static_selectorELNS0_4arch9wavefront6targetE1EEEvSM_.has_dyn_sized_stack, 0
	.set _ZN7rocprim17ROCPRIM_400000_NS6detail17trampoline_kernelINS0_14default_configENS1_38merge_sort_block_merge_config_selectorIlNS0_10empty_typeEEEZZNS1_27merge_sort_block_merge_implIS3_PlPS5_mZN2at6native12_GLOBAL__N_124unique_dim_cuda_templateImEESt5tupleIJNSA_6TensorESF_SF_EERKSF_lbbbEUlllE_EE10hipError_tT0_T1_T2_jT3_P12ihipStream_tbPNSt15iterator_traitsISL_E10value_typeEPNSR_ISM_E10value_typeEPSN_NS1_7vsmem_tEENKUlT_SL_SM_SN_E_clIS8_S8_S9_S9_EESK_S10_SL_SM_SN_EUlS10_E0_NS1_11comp_targetILNS1_3genE9ELNS1_11target_archE1100ELNS1_3gpuE3ELNS1_3repE0EEENS1_38merge_mergepath_config_static_selectorELNS0_4arch9wavefront6targetE1EEEvSM_.has_recursion, 0
	.set _ZN7rocprim17ROCPRIM_400000_NS6detail17trampoline_kernelINS0_14default_configENS1_38merge_sort_block_merge_config_selectorIlNS0_10empty_typeEEEZZNS1_27merge_sort_block_merge_implIS3_PlPS5_mZN2at6native12_GLOBAL__N_124unique_dim_cuda_templateImEESt5tupleIJNSA_6TensorESF_SF_EERKSF_lbbbEUlllE_EE10hipError_tT0_T1_T2_jT3_P12ihipStream_tbPNSt15iterator_traitsISL_E10value_typeEPNSR_ISM_E10value_typeEPSN_NS1_7vsmem_tEENKUlT_SL_SM_SN_E_clIS8_S8_S9_S9_EESK_S10_SL_SM_SN_EUlS10_E0_NS1_11comp_targetILNS1_3genE9ELNS1_11target_archE1100ELNS1_3gpuE3ELNS1_3repE0EEENS1_38merge_mergepath_config_static_selectorELNS0_4arch9wavefront6targetE1EEEvSM_.has_indirect_call, 0
	.section	.AMDGPU.csdata,"",@progbits
; Kernel info:
; codeLenInByte = 0
; TotalNumSgprs: 6
; NumVgprs: 0
; NumAgprs: 0
; TotalNumVgprs: 0
; ScratchSize: 0
; MemoryBound: 0
; FloatMode: 240
; IeeeMode: 1
; LDSByteSize: 0 bytes/workgroup (compile time only)
; SGPRBlocks: 0
; VGPRBlocks: 0
; NumSGPRsForWavesPerEU: 6
; NumVGPRsForWavesPerEU: 1
; AccumOffset: 4
; Occupancy: 8
; WaveLimiterHint : 0
; COMPUTE_PGM_RSRC2:SCRATCH_EN: 0
; COMPUTE_PGM_RSRC2:USER_SGPR: 2
; COMPUTE_PGM_RSRC2:TRAP_HANDLER: 0
; COMPUTE_PGM_RSRC2:TGID_X_EN: 1
; COMPUTE_PGM_RSRC2:TGID_Y_EN: 0
; COMPUTE_PGM_RSRC2:TGID_Z_EN: 0
; COMPUTE_PGM_RSRC2:TIDIG_COMP_CNT: 0
; COMPUTE_PGM_RSRC3_GFX90A:ACCUM_OFFSET: 0
; COMPUTE_PGM_RSRC3_GFX90A:TG_SPLIT: 0
	.section	.text._ZN7rocprim17ROCPRIM_400000_NS6detail17trampoline_kernelINS0_14default_configENS1_38merge_sort_block_merge_config_selectorIlNS0_10empty_typeEEEZZNS1_27merge_sort_block_merge_implIS3_PlPS5_mZN2at6native12_GLOBAL__N_124unique_dim_cuda_templateImEESt5tupleIJNSA_6TensorESF_SF_EERKSF_lbbbEUlllE_EE10hipError_tT0_T1_T2_jT3_P12ihipStream_tbPNSt15iterator_traitsISL_E10value_typeEPNSR_ISM_E10value_typeEPSN_NS1_7vsmem_tEENKUlT_SL_SM_SN_E_clIS8_S8_S9_S9_EESK_S10_SL_SM_SN_EUlS10_E0_NS1_11comp_targetILNS1_3genE8ELNS1_11target_archE1030ELNS1_3gpuE2ELNS1_3repE0EEENS1_38merge_mergepath_config_static_selectorELNS0_4arch9wavefront6targetE1EEEvSM_,"axG",@progbits,_ZN7rocprim17ROCPRIM_400000_NS6detail17trampoline_kernelINS0_14default_configENS1_38merge_sort_block_merge_config_selectorIlNS0_10empty_typeEEEZZNS1_27merge_sort_block_merge_implIS3_PlPS5_mZN2at6native12_GLOBAL__N_124unique_dim_cuda_templateImEESt5tupleIJNSA_6TensorESF_SF_EERKSF_lbbbEUlllE_EE10hipError_tT0_T1_T2_jT3_P12ihipStream_tbPNSt15iterator_traitsISL_E10value_typeEPNSR_ISM_E10value_typeEPSN_NS1_7vsmem_tEENKUlT_SL_SM_SN_E_clIS8_S8_S9_S9_EESK_S10_SL_SM_SN_EUlS10_E0_NS1_11comp_targetILNS1_3genE8ELNS1_11target_archE1030ELNS1_3gpuE2ELNS1_3repE0EEENS1_38merge_mergepath_config_static_selectorELNS0_4arch9wavefront6targetE1EEEvSM_,comdat
	.globl	_ZN7rocprim17ROCPRIM_400000_NS6detail17trampoline_kernelINS0_14default_configENS1_38merge_sort_block_merge_config_selectorIlNS0_10empty_typeEEEZZNS1_27merge_sort_block_merge_implIS3_PlPS5_mZN2at6native12_GLOBAL__N_124unique_dim_cuda_templateImEESt5tupleIJNSA_6TensorESF_SF_EERKSF_lbbbEUlllE_EE10hipError_tT0_T1_T2_jT3_P12ihipStream_tbPNSt15iterator_traitsISL_E10value_typeEPNSR_ISM_E10value_typeEPSN_NS1_7vsmem_tEENKUlT_SL_SM_SN_E_clIS8_S8_S9_S9_EESK_S10_SL_SM_SN_EUlS10_E0_NS1_11comp_targetILNS1_3genE8ELNS1_11target_archE1030ELNS1_3gpuE2ELNS1_3repE0EEENS1_38merge_mergepath_config_static_selectorELNS0_4arch9wavefront6targetE1EEEvSM_ ; -- Begin function _ZN7rocprim17ROCPRIM_400000_NS6detail17trampoline_kernelINS0_14default_configENS1_38merge_sort_block_merge_config_selectorIlNS0_10empty_typeEEEZZNS1_27merge_sort_block_merge_implIS3_PlPS5_mZN2at6native12_GLOBAL__N_124unique_dim_cuda_templateImEESt5tupleIJNSA_6TensorESF_SF_EERKSF_lbbbEUlllE_EE10hipError_tT0_T1_T2_jT3_P12ihipStream_tbPNSt15iterator_traitsISL_E10value_typeEPNSR_ISM_E10value_typeEPSN_NS1_7vsmem_tEENKUlT_SL_SM_SN_E_clIS8_S8_S9_S9_EESK_S10_SL_SM_SN_EUlS10_E0_NS1_11comp_targetILNS1_3genE8ELNS1_11target_archE1030ELNS1_3gpuE2ELNS1_3repE0EEENS1_38merge_mergepath_config_static_selectorELNS0_4arch9wavefront6targetE1EEEvSM_
	.p2align	8
	.type	_ZN7rocprim17ROCPRIM_400000_NS6detail17trampoline_kernelINS0_14default_configENS1_38merge_sort_block_merge_config_selectorIlNS0_10empty_typeEEEZZNS1_27merge_sort_block_merge_implIS3_PlPS5_mZN2at6native12_GLOBAL__N_124unique_dim_cuda_templateImEESt5tupleIJNSA_6TensorESF_SF_EERKSF_lbbbEUlllE_EE10hipError_tT0_T1_T2_jT3_P12ihipStream_tbPNSt15iterator_traitsISL_E10value_typeEPNSR_ISM_E10value_typeEPSN_NS1_7vsmem_tEENKUlT_SL_SM_SN_E_clIS8_S8_S9_S9_EESK_S10_SL_SM_SN_EUlS10_E0_NS1_11comp_targetILNS1_3genE8ELNS1_11target_archE1030ELNS1_3gpuE2ELNS1_3repE0EEENS1_38merge_mergepath_config_static_selectorELNS0_4arch9wavefront6targetE1EEEvSM_,@function
_ZN7rocprim17ROCPRIM_400000_NS6detail17trampoline_kernelINS0_14default_configENS1_38merge_sort_block_merge_config_selectorIlNS0_10empty_typeEEEZZNS1_27merge_sort_block_merge_implIS3_PlPS5_mZN2at6native12_GLOBAL__N_124unique_dim_cuda_templateImEESt5tupleIJNSA_6TensorESF_SF_EERKSF_lbbbEUlllE_EE10hipError_tT0_T1_T2_jT3_P12ihipStream_tbPNSt15iterator_traitsISL_E10value_typeEPNSR_ISM_E10value_typeEPSN_NS1_7vsmem_tEENKUlT_SL_SM_SN_E_clIS8_S8_S9_S9_EESK_S10_SL_SM_SN_EUlS10_E0_NS1_11comp_targetILNS1_3genE8ELNS1_11target_archE1030ELNS1_3gpuE2ELNS1_3repE0EEENS1_38merge_mergepath_config_static_selectorELNS0_4arch9wavefront6targetE1EEEvSM_: ; @_ZN7rocprim17ROCPRIM_400000_NS6detail17trampoline_kernelINS0_14default_configENS1_38merge_sort_block_merge_config_selectorIlNS0_10empty_typeEEEZZNS1_27merge_sort_block_merge_implIS3_PlPS5_mZN2at6native12_GLOBAL__N_124unique_dim_cuda_templateImEESt5tupleIJNSA_6TensorESF_SF_EERKSF_lbbbEUlllE_EE10hipError_tT0_T1_T2_jT3_P12ihipStream_tbPNSt15iterator_traitsISL_E10value_typeEPNSR_ISM_E10value_typeEPSN_NS1_7vsmem_tEENKUlT_SL_SM_SN_E_clIS8_S8_S9_S9_EESK_S10_SL_SM_SN_EUlS10_E0_NS1_11comp_targetILNS1_3genE8ELNS1_11target_archE1030ELNS1_3gpuE2ELNS1_3repE0EEENS1_38merge_mergepath_config_static_selectorELNS0_4arch9wavefront6targetE1EEEvSM_
; %bb.0:
	.section	.rodata,"a",@progbits
	.p2align	6, 0x0
	.amdhsa_kernel _ZN7rocprim17ROCPRIM_400000_NS6detail17trampoline_kernelINS0_14default_configENS1_38merge_sort_block_merge_config_selectorIlNS0_10empty_typeEEEZZNS1_27merge_sort_block_merge_implIS3_PlPS5_mZN2at6native12_GLOBAL__N_124unique_dim_cuda_templateImEESt5tupleIJNSA_6TensorESF_SF_EERKSF_lbbbEUlllE_EE10hipError_tT0_T1_T2_jT3_P12ihipStream_tbPNSt15iterator_traitsISL_E10value_typeEPNSR_ISM_E10value_typeEPSN_NS1_7vsmem_tEENKUlT_SL_SM_SN_E_clIS8_S8_S9_S9_EESK_S10_SL_SM_SN_EUlS10_E0_NS1_11comp_targetILNS1_3genE8ELNS1_11target_archE1030ELNS1_3gpuE2ELNS1_3repE0EEENS1_38merge_mergepath_config_static_selectorELNS0_4arch9wavefront6targetE1EEEvSM_
		.amdhsa_group_segment_fixed_size 0
		.amdhsa_private_segment_fixed_size 0
		.amdhsa_kernarg_size 88
		.amdhsa_user_sgpr_count 2
		.amdhsa_user_sgpr_dispatch_ptr 0
		.amdhsa_user_sgpr_queue_ptr 0
		.amdhsa_user_sgpr_kernarg_segment_ptr 1
		.amdhsa_user_sgpr_dispatch_id 0
		.amdhsa_user_sgpr_kernarg_preload_length 0
		.amdhsa_user_sgpr_kernarg_preload_offset 0
		.amdhsa_user_sgpr_private_segment_size 0
		.amdhsa_uses_dynamic_stack 0
		.amdhsa_enable_private_segment 0
		.amdhsa_system_sgpr_workgroup_id_x 1
		.amdhsa_system_sgpr_workgroup_id_y 0
		.amdhsa_system_sgpr_workgroup_id_z 0
		.amdhsa_system_sgpr_workgroup_info 0
		.amdhsa_system_vgpr_workitem_id 0
		.amdhsa_next_free_vgpr 1
		.amdhsa_next_free_sgpr 0
		.amdhsa_accum_offset 4
		.amdhsa_reserve_vcc 0
		.amdhsa_float_round_mode_32 0
		.amdhsa_float_round_mode_16_64 0
		.amdhsa_float_denorm_mode_32 3
		.amdhsa_float_denorm_mode_16_64 3
		.amdhsa_dx10_clamp 1
		.amdhsa_ieee_mode 1
		.amdhsa_fp16_overflow 0
		.amdhsa_tg_split 0
		.amdhsa_exception_fp_ieee_invalid_op 0
		.amdhsa_exception_fp_denorm_src 0
		.amdhsa_exception_fp_ieee_div_zero 0
		.amdhsa_exception_fp_ieee_overflow 0
		.amdhsa_exception_fp_ieee_underflow 0
		.amdhsa_exception_fp_ieee_inexact 0
		.amdhsa_exception_int_div_zero 0
	.end_amdhsa_kernel
	.section	.text._ZN7rocprim17ROCPRIM_400000_NS6detail17trampoline_kernelINS0_14default_configENS1_38merge_sort_block_merge_config_selectorIlNS0_10empty_typeEEEZZNS1_27merge_sort_block_merge_implIS3_PlPS5_mZN2at6native12_GLOBAL__N_124unique_dim_cuda_templateImEESt5tupleIJNSA_6TensorESF_SF_EERKSF_lbbbEUlllE_EE10hipError_tT0_T1_T2_jT3_P12ihipStream_tbPNSt15iterator_traitsISL_E10value_typeEPNSR_ISM_E10value_typeEPSN_NS1_7vsmem_tEENKUlT_SL_SM_SN_E_clIS8_S8_S9_S9_EESK_S10_SL_SM_SN_EUlS10_E0_NS1_11comp_targetILNS1_3genE8ELNS1_11target_archE1030ELNS1_3gpuE2ELNS1_3repE0EEENS1_38merge_mergepath_config_static_selectorELNS0_4arch9wavefront6targetE1EEEvSM_,"axG",@progbits,_ZN7rocprim17ROCPRIM_400000_NS6detail17trampoline_kernelINS0_14default_configENS1_38merge_sort_block_merge_config_selectorIlNS0_10empty_typeEEEZZNS1_27merge_sort_block_merge_implIS3_PlPS5_mZN2at6native12_GLOBAL__N_124unique_dim_cuda_templateImEESt5tupleIJNSA_6TensorESF_SF_EERKSF_lbbbEUlllE_EE10hipError_tT0_T1_T2_jT3_P12ihipStream_tbPNSt15iterator_traitsISL_E10value_typeEPNSR_ISM_E10value_typeEPSN_NS1_7vsmem_tEENKUlT_SL_SM_SN_E_clIS8_S8_S9_S9_EESK_S10_SL_SM_SN_EUlS10_E0_NS1_11comp_targetILNS1_3genE8ELNS1_11target_archE1030ELNS1_3gpuE2ELNS1_3repE0EEENS1_38merge_mergepath_config_static_selectorELNS0_4arch9wavefront6targetE1EEEvSM_,comdat
.Lfunc_end1629:
	.size	_ZN7rocprim17ROCPRIM_400000_NS6detail17trampoline_kernelINS0_14default_configENS1_38merge_sort_block_merge_config_selectorIlNS0_10empty_typeEEEZZNS1_27merge_sort_block_merge_implIS3_PlPS5_mZN2at6native12_GLOBAL__N_124unique_dim_cuda_templateImEESt5tupleIJNSA_6TensorESF_SF_EERKSF_lbbbEUlllE_EE10hipError_tT0_T1_T2_jT3_P12ihipStream_tbPNSt15iterator_traitsISL_E10value_typeEPNSR_ISM_E10value_typeEPSN_NS1_7vsmem_tEENKUlT_SL_SM_SN_E_clIS8_S8_S9_S9_EESK_S10_SL_SM_SN_EUlS10_E0_NS1_11comp_targetILNS1_3genE8ELNS1_11target_archE1030ELNS1_3gpuE2ELNS1_3repE0EEENS1_38merge_mergepath_config_static_selectorELNS0_4arch9wavefront6targetE1EEEvSM_, .Lfunc_end1629-_ZN7rocprim17ROCPRIM_400000_NS6detail17trampoline_kernelINS0_14default_configENS1_38merge_sort_block_merge_config_selectorIlNS0_10empty_typeEEEZZNS1_27merge_sort_block_merge_implIS3_PlPS5_mZN2at6native12_GLOBAL__N_124unique_dim_cuda_templateImEESt5tupleIJNSA_6TensorESF_SF_EERKSF_lbbbEUlllE_EE10hipError_tT0_T1_T2_jT3_P12ihipStream_tbPNSt15iterator_traitsISL_E10value_typeEPNSR_ISM_E10value_typeEPSN_NS1_7vsmem_tEENKUlT_SL_SM_SN_E_clIS8_S8_S9_S9_EESK_S10_SL_SM_SN_EUlS10_E0_NS1_11comp_targetILNS1_3genE8ELNS1_11target_archE1030ELNS1_3gpuE2ELNS1_3repE0EEENS1_38merge_mergepath_config_static_selectorELNS0_4arch9wavefront6targetE1EEEvSM_
                                        ; -- End function
	.set _ZN7rocprim17ROCPRIM_400000_NS6detail17trampoline_kernelINS0_14default_configENS1_38merge_sort_block_merge_config_selectorIlNS0_10empty_typeEEEZZNS1_27merge_sort_block_merge_implIS3_PlPS5_mZN2at6native12_GLOBAL__N_124unique_dim_cuda_templateImEESt5tupleIJNSA_6TensorESF_SF_EERKSF_lbbbEUlllE_EE10hipError_tT0_T1_T2_jT3_P12ihipStream_tbPNSt15iterator_traitsISL_E10value_typeEPNSR_ISM_E10value_typeEPSN_NS1_7vsmem_tEENKUlT_SL_SM_SN_E_clIS8_S8_S9_S9_EESK_S10_SL_SM_SN_EUlS10_E0_NS1_11comp_targetILNS1_3genE8ELNS1_11target_archE1030ELNS1_3gpuE2ELNS1_3repE0EEENS1_38merge_mergepath_config_static_selectorELNS0_4arch9wavefront6targetE1EEEvSM_.num_vgpr, 0
	.set _ZN7rocprim17ROCPRIM_400000_NS6detail17trampoline_kernelINS0_14default_configENS1_38merge_sort_block_merge_config_selectorIlNS0_10empty_typeEEEZZNS1_27merge_sort_block_merge_implIS3_PlPS5_mZN2at6native12_GLOBAL__N_124unique_dim_cuda_templateImEESt5tupleIJNSA_6TensorESF_SF_EERKSF_lbbbEUlllE_EE10hipError_tT0_T1_T2_jT3_P12ihipStream_tbPNSt15iterator_traitsISL_E10value_typeEPNSR_ISM_E10value_typeEPSN_NS1_7vsmem_tEENKUlT_SL_SM_SN_E_clIS8_S8_S9_S9_EESK_S10_SL_SM_SN_EUlS10_E0_NS1_11comp_targetILNS1_3genE8ELNS1_11target_archE1030ELNS1_3gpuE2ELNS1_3repE0EEENS1_38merge_mergepath_config_static_selectorELNS0_4arch9wavefront6targetE1EEEvSM_.num_agpr, 0
	.set _ZN7rocprim17ROCPRIM_400000_NS6detail17trampoline_kernelINS0_14default_configENS1_38merge_sort_block_merge_config_selectorIlNS0_10empty_typeEEEZZNS1_27merge_sort_block_merge_implIS3_PlPS5_mZN2at6native12_GLOBAL__N_124unique_dim_cuda_templateImEESt5tupleIJNSA_6TensorESF_SF_EERKSF_lbbbEUlllE_EE10hipError_tT0_T1_T2_jT3_P12ihipStream_tbPNSt15iterator_traitsISL_E10value_typeEPNSR_ISM_E10value_typeEPSN_NS1_7vsmem_tEENKUlT_SL_SM_SN_E_clIS8_S8_S9_S9_EESK_S10_SL_SM_SN_EUlS10_E0_NS1_11comp_targetILNS1_3genE8ELNS1_11target_archE1030ELNS1_3gpuE2ELNS1_3repE0EEENS1_38merge_mergepath_config_static_selectorELNS0_4arch9wavefront6targetE1EEEvSM_.numbered_sgpr, 0
	.set _ZN7rocprim17ROCPRIM_400000_NS6detail17trampoline_kernelINS0_14default_configENS1_38merge_sort_block_merge_config_selectorIlNS0_10empty_typeEEEZZNS1_27merge_sort_block_merge_implIS3_PlPS5_mZN2at6native12_GLOBAL__N_124unique_dim_cuda_templateImEESt5tupleIJNSA_6TensorESF_SF_EERKSF_lbbbEUlllE_EE10hipError_tT0_T1_T2_jT3_P12ihipStream_tbPNSt15iterator_traitsISL_E10value_typeEPNSR_ISM_E10value_typeEPSN_NS1_7vsmem_tEENKUlT_SL_SM_SN_E_clIS8_S8_S9_S9_EESK_S10_SL_SM_SN_EUlS10_E0_NS1_11comp_targetILNS1_3genE8ELNS1_11target_archE1030ELNS1_3gpuE2ELNS1_3repE0EEENS1_38merge_mergepath_config_static_selectorELNS0_4arch9wavefront6targetE1EEEvSM_.num_named_barrier, 0
	.set _ZN7rocprim17ROCPRIM_400000_NS6detail17trampoline_kernelINS0_14default_configENS1_38merge_sort_block_merge_config_selectorIlNS0_10empty_typeEEEZZNS1_27merge_sort_block_merge_implIS3_PlPS5_mZN2at6native12_GLOBAL__N_124unique_dim_cuda_templateImEESt5tupleIJNSA_6TensorESF_SF_EERKSF_lbbbEUlllE_EE10hipError_tT0_T1_T2_jT3_P12ihipStream_tbPNSt15iterator_traitsISL_E10value_typeEPNSR_ISM_E10value_typeEPSN_NS1_7vsmem_tEENKUlT_SL_SM_SN_E_clIS8_S8_S9_S9_EESK_S10_SL_SM_SN_EUlS10_E0_NS1_11comp_targetILNS1_3genE8ELNS1_11target_archE1030ELNS1_3gpuE2ELNS1_3repE0EEENS1_38merge_mergepath_config_static_selectorELNS0_4arch9wavefront6targetE1EEEvSM_.private_seg_size, 0
	.set _ZN7rocprim17ROCPRIM_400000_NS6detail17trampoline_kernelINS0_14default_configENS1_38merge_sort_block_merge_config_selectorIlNS0_10empty_typeEEEZZNS1_27merge_sort_block_merge_implIS3_PlPS5_mZN2at6native12_GLOBAL__N_124unique_dim_cuda_templateImEESt5tupleIJNSA_6TensorESF_SF_EERKSF_lbbbEUlllE_EE10hipError_tT0_T1_T2_jT3_P12ihipStream_tbPNSt15iterator_traitsISL_E10value_typeEPNSR_ISM_E10value_typeEPSN_NS1_7vsmem_tEENKUlT_SL_SM_SN_E_clIS8_S8_S9_S9_EESK_S10_SL_SM_SN_EUlS10_E0_NS1_11comp_targetILNS1_3genE8ELNS1_11target_archE1030ELNS1_3gpuE2ELNS1_3repE0EEENS1_38merge_mergepath_config_static_selectorELNS0_4arch9wavefront6targetE1EEEvSM_.uses_vcc, 0
	.set _ZN7rocprim17ROCPRIM_400000_NS6detail17trampoline_kernelINS0_14default_configENS1_38merge_sort_block_merge_config_selectorIlNS0_10empty_typeEEEZZNS1_27merge_sort_block_merge_implIS3_PlPS5_mZN2at6native12_GLOBAL__N_124unique_dim_cuda_templateImEESt5tupleIJNSA_6TensorESF_SF_EERKSF_lbbbEUlllE_EE10hipError_tT0_T1_T2_jT3_P12ihipStream_tbPNSt15iterator_traitsISL_E10value_typeEPNSR_ISM_E10value_typeEPSN_NS1_7vsmem_tEENKUlT_SL_SM_SN_E_clIS8_S8_S9_S9_EESK_S10_SL_SM_SN_EUlS10_E0_NS1_11comp_targetILNS1_3genE8ELNS1_11target_archE1030ELNS1_3gpuE2ELNS1_3repE0EEENS1_38merge_mergepath_config_static_selectorELNS0_4arch9wavefront6targetE1EEEvSM_.uses_flat_scratch, 0
	.set _ZN7rocprim17ROCPRIM_400000_NS6detail17trampoline_kernelINS0_14default_configENS1_38merge_sort_block_merge_config_selectorIlNS0_10empty_typeEEEZZNS1_27merge_sort_block_merge_implIS3_PlPS5_mZN2at6native12_GLOBAL__N_124unique_dim_cuda_templateImEESt5tupleIJNSA_6TensorESF_SF_EERKSF_lbbbEUlllE_EE10hipError_tT0_T1_T2_jT3_P12ihipStream_tbPNSt15iterator_traitsISL_E10value_typeEPNSR_ISM_E10value_typeEPSN_NS1_7vsmem_tEENKUlT_SL_SM_SN_E_clIS8_S8_S9_S9_EESK_S10_SL_SM_SN_EUlS10_E0_NS1_11comp_targetILNS1_3genE8ELNS1_11target_archE1030ELNS1_3gpuE2ELNS1_3repE0EEENS1_38merge_mergepath_config_static_selectorELNS0_4arch9wavefront6targetE1EEEvSM_.has_dyn_sized_stack, 0
	.set _ZN7rocprim17ROCPRIM_400000_NS6detail17trampoline_kernelINS0_14default_configENS1_38merge_sort_block_merge_config_selectorIlNS0_10empty_typeEEEZZNS1_27merge_sort_block_merge_implIS3_PlPS5_mZN2at6native12_GLOBAL__N_124unique_dim_cuda_templateImEESt5tupleIJNSA_6TensorESF_SF_EERKSF_lbbbEUlllE_EE10hipError_tT0_T1_T2_jT3_P12ihipStream_tbPNSt15iterator_traitsISL_E10value_typeEPNSR_ISM_E10value_typeEPSN_NS1_7vsmem_tEENKUlT_SL_SM_SN_E_clIS8_S8_S9_S9_EESK_S10_SL_SM_SN_EUlS10_E0_NS1_11comp_targetILNS1_3genE8ELNS1_11target_archE1030ELNS1_3gpuE2ELNS1_3repE0EEENS1_38merge_mergepath_config_static_selectorELNS0_4arch9wavefront6targetE1EEEvSM_.has_recursion, 0
	.set _ZN7rocprim17ROCPRIM_400000_NS6detail17trampoline_kernelINS0_14default_configENS1_38merge_sort_block_merge_config_selectorIlNS0_10empty_typeEEEZZNS1_27merge_sort_block_merge_implIS3_PlPS5_mZN2at6native12_GLOBAL__N_124unique_dim_cuda_templateImEESt5tupleIJNSA_6TensorESF_SF_EERKSF_lbbbEUlllE_EE10hipError_tT0_T1_T2_jT3_P12ihipStream_tbPNSt15iterator_traitsISL_E10value_typeEPNSR_ISM_E10value_typeEPSN_NS1_7vsmem_tEENKUlT_SL_SM_SN_E_clIS8_S8_S9_S9_EESK_S10_SL_SM_SN_EUlS10_E0_NS1_11comp_targetILNS1_3genE8ELNS1_11target_archE1030ELNS1_3gpuE2ELNS1_3repE0EEENS1_38merge_mergepath_config_static_selectorELNS0_4arch9wavefront6targetE1EEEvSM_.has_indirect_call, 0
	.section	.AMDGPU.csdata,"",@progbits
; Kernel info:
; codeLenInByte = 0
; TotalNumSgprs: 6
; NumVgprs: 0
; NumAgprs: 0
; TotalNumVgprs: 0
; ScratchSize: 0
; MemoryBound: 0
; FloatMode: 240
; IeeeMode: 1
; LDSByteSize: 0 bytes/workgroup (compile time only)
; SGPRBlocks: 0
; VGPRBlocks: 0
; NumSGPRsForWavesPerEU: 6
; NumVGPRsForWavesPerEU: 1
; AccumOffset: 4
; Occupancy: 8
; WaveLimiterHint : 0
; COMPUTE_PGM_RSRC2:SCRATCH_EN: 0
; COMPUTE_PGM_RSRC2:USER_SGPR: 2
; COMPUTE_PGM_RSRC2:TRAP_HANDLER: 0
; COMPUTE_PGM_RSRC2:TGID_X_EN: 1
; COMPUTE_PGM_RSRC2:TGID_Y_EN: 0
; COMPUTE_PGM_RSRC2:TGID_Z_EN: 0
; COMPUTE_PGM_RSRC2:TIDIG_COMP_CNT: 0
; COMPUTE_PGM_RSRC3_GFX90A:ACCUM_OFFSET: 0
; COMPUTE_PGM_RSRC3_GFX90A:TG_SPLIT: 0
	.section	.text._ZN7rocprim17ROCPRIM_400000_NS6detail17trampoline_kernelINS0_14default_configENS1_38merge_sort_block_merge_config_selectorIlNS0_10empty_typeEEEZZNS1_27merge_sort_block_merge_implIS3_PlPS5_mZN2at6native12_GLOBAL__N_124unique_dim_cuda_templateImEESt5tupleIJNSA_6TensorESF_SF_EERKSF_lbbbEUlllE_EE10hipError_tT0_T1_T2_jT3_P12ihipStream_tbPNSt15iterator_traitsISL_E10value_typeEPNSR_ISM_E10value_typeEPSN_NS1_7vsmem_tEENKUlT_SL_SM_SN_E_clIS8_S8_S9_S9_EESK_S10_SL_SM_SN_EUlS10_E1_NS1_11comp_targetILNS1_3genE0ELNS1_11target_archE4294967295ELNS1_3gpuE0ELNS1_3repE0EEENS1_36merge_oddeven_config_static_selectorELNS0_4arch9wavefront6targetE1EEEvSM_,"axG",@progbits,_ZN7rocprim17ROCPRIM_400000_NS6detail17trampoline_kernelINS0_14default_configENS1_38merge_sort_block_merge_config_selectorIlNS0_10empty_typeEEEZZNS1_27merge_sort_block_merge_implIS3_PlPS5_mZN2at6native12_GLOBAL__N_124unique_dim_cuda_templateImEESt5tupleIJNSA_6TensorESF_SF_EERKSF_lbbbEUlllE_EE10hipError_tT0_T1_T2_jT3_P12ihipStream_tbPNSt15iterator_traitsISL_E10value_typeEPNSR_ISM_E10value_typeEPSN_NS1_7vsmem_tEENKUlT_SL_SM_SN_E_clIS8_S8_S9_S9_EESK_S10_SL_SM_SN_EUlS10_E1_NS1_11comp_targetILNS1_3genE0ELNS1_11target_archE4294967295ELNS1_3gpuE0ELNS1_3repE0EEENS1_36merge_oddeven_config_static_selectorELNS0_4arch9wavefront6targetE1EEEvSM_,comdat
	.globl	_ZN7rocprim17ROCPRIM_400000_NS6detail17trampoline_kernelINS0_14default_configENS1_38merge_sort_block_merge_config_selectorIlNS0_10empty_typeEEEZZNS1_27merge_sort_block_merge_implIS3_PlPS5_mZN2at6native12_GLOBAL__N_124unique_dim_cuda_templateImEESt5tupleIJNSA_6TensorESF_SF_EERKSF_lbbbEUlllE_EE10hipError_tT0_T1_T2_jT3_P12ihipStream_tbPNSt15iterator_traitsISL_E10value_typeEPNSR_ISM_E10value_typeEPSN_NS1_7vsmem_tEENKUlT_SL_SM_SN_E_clIS8_S8_S9_S9_EESK_S10_SL_SM_SN_EUlS10_E1_NS1_11comp_targetILNS1_3genE0ELNS1_11target_archE4294967295ELNS1_3gpuE0ELNS1_3repE0EEENS1_36merge_oddeven_config_static_selectorELNS0_4arch9wavefront6targetE1EEEvSM_ ; -- Begin function _ZN7rocprim17ROCPRIM_400000_NS6detail17trampoline_kernelINS0_14default_configENS1_38merge_sort_block_merge_config_selectorIlNS0_10empty_typeEEEZZNS1_27merge_sort_block_merge_implIS3_PlPS5_mZN2at6native12_GLOBAL__N_124unique_dim_cuda_templateImEESt5tupleIJNSA_6TensorESF_SF_EERKSF_lbbbEUlllE_EE10hipError_tT0_T1_T2_jT3_P12ihipStream_tbPNSt15iterator_traitsISL_E10value_typeEPNSR_ISM_E10value_typeEPSN_NS1_7vsmem_tEENKUlT_SL_SM_SN_E_clIS8_S8_S9_S9_EESK_S10_SL_SM_SN_EUlS10_E1_NS1_11comp_targetILNS1_3genE0ELNS1_11target_archE4294967295ELNS1_3gpuE0ELNS1_3repE0EEENS1_36merge_oddeven_config_static_selectorELNS0_4arch9wavefront6targetE1EEEvSM_
	.p2align	8
	.type	_ZN7rocprim17ROCPRIM_400000_NS6detail17trampoline_kernelINS0_14default_configENS1_38merge_sort_block_merge_config_selectorIlNS0_10empty_typeEEEZZNS1_27merge_sort_block_merge_implIS3_PlPS5_mZN2at6native12_GLOBAL__N_124unique_dim_cuda_templateImEESt5tupleIJNSA_6TensorESF_SF_EERKSF_lbbbEUlllE_EE10hipError_tT0_T1_T2_jT3_P12ihipStream_tbPNSt15iterator_traitsISL_E10value_typeEPNSR_ISM_E10value_typeEPSN_NS1_7vsmem_tEENKUlT_SL_SM_SN_E_clIS8_S8_S9_S9_EESK_S10_SL_SM_SN_EUlS10_E1_NS1_11comp_targetILNS1_3genE0ELNS1_11target_archE4294967295ELNS1_3gpuE0ELNS1_3repE0EEENS1_36merge_oddeven_config_static_selectorELNS0_4arch9wavefront6targetE1EEEvSM_,@function
_ZN7rocprim17ROCPRIM_400000_NS6detail17trampoline_kernelINS0_14default_configENS1_38merge_sort_block_merge_config_selectorIlNS0_10empty_typeEEEZZNS1_27merge_sort_block_merge_implIS3_PlPS5_mZN2at6native12_GLOBAL__N_124unique_dim_cuda_templateImEESt5tupleIJNSA_6TensorESF_SF_EERKSF_lbbbEUlllE_EE10hipError_tT0_T1_T2_jT3_P12ihipStream_tbPNSt15iterator_traitsISL_E10value_typeEPNSR_ISM_E10value_typeEPSN_NS1_7vsmem_tEENKUlT_SL_SM_SN_E_clIS8_S8_S9_S9_EESK_S10_SL_SM_SN_EUlS10_E1_NS1_11comp_targetILNS1_3genE0ELNS1_11target_archE4294967295ELNS1_3gpuE0ELNS1_3repE0EEENS1_36merge_oddeven_config_static_selectorELNS0_4arch9wavefront6targetE1EEEvSM_: ; @_ZN7rocprim17ROCPRIM_400000_NS6detail17trampoline_kernelINS0_14default_configENS1_38merge_sort_block_merge_config_selectorIlNS0_10empty_typeEEEZZNS1_27merge_sort_block_merge_implIS3_PlPS5_mZN2at6native12_GLOBAL__N_124unique_dim_cuda_templateImEESt5tupleIJNSA_6TensorESF_SF_EERKSF_lbbbEUlllE_EE10hipError_tT0_T1_T2_jT3_P12ihipStream_tbPNSt15iterator_traitsISL_E10value_typeEPNSR_ISM_E10value_typeEPSN_NS1_7vsmem_tEENKUlT_SL_SM_SN_E_clIS8_S8_S9_S9_EESK_S10_SL_SM_SN_EUlS10_E1_NS1_11comp_targetILNS1_3genE0ELNS1_11target_archE4294967295ELNS1_3gpuE0ELNS1_3repE0EEENS1_36merge_oddeven_config_static_selectorELNS0_4arch9wavefront6targetE1EEEvSM_
; %bb.0:
	s_load_dword s22, s[0:1], 0x20
	s_waitcnt lgkmcnt(0)
	s_lshr_b32 s3, s22, 8
	s_cmp_lg_u32 s2, s3
	s_cselect_b64 s[12:13], -1, 0
	s_cmp_eq_u32 s2, s3
	s_cselect_b64 s[6:7], -1, 0
	s_lshl_b32 s20, s2, 8
	s_sub_i32 s3, s22, s20
	v_cmp_gt_u32_e64 s[4:5], s3, v0
	s_or_b64 s[8:9], s[12:13], s[4:5]
	s_and_saveexec_b64 s[10:11], s[8:9]
	s_cbranch_execz .LBB1630_54
; %bb.1:
	s_load_dwordx4 s[8:11], s[0:1], 0x0
	s_load_dword s23, s[0:1], 0x28
	s_mov_b32 s21, 0
	s_lshl_b64 s[14:15], s[20:21], 3
	v_lshlrev_b32_e32 v1, 3, v0
	s_waitcnt lgkmcnt(0)
	s_add_u32 s14, s8, s14
	s_addc_u32 s15, s9, s15
	global_load_dwordx2 v[2:3], v1, s[14:15]
	s_lshr_b32 s3, s23, 8
	s_sub_i32 s14, 0, s3
	s_and_b32 s2, s2, s14
	s_and_b32 s3, s2, s3
	s_cmp_lg_u32 s3, 0
	s_cselect_b64 s[16:17], -1, 0
	s_lshl_b32 s21, s2, 8
	s_sub_i32 s2, 0, s23
	s_cmp_eq_u32 s3, 0
	s_cselect_b32 s33, s23, s2
	s_add_i32 s33, s33, s21
	s_cmp_lt_u32 s33, s22
	s_cbranch_scc1 .LBB1630_3
; %bb.2:
	v_add_u32_e32 v4, s20, v0
	v_cmp_gt_u32_e32 vcc, s22, v4
	s_or_b64 s[12:13], vcc, s[12:13]
	s_and_b64 s[18:19], s[12:13], exec
	s_cbranch_execz .LBB1630_4
	s_branch .LBB1630_52
.LBB1630_3:
	s_mov_b64 s[18:19], 0
                                        ; implicit-def: $vgpr4
.LBB1630_4:
	s_load_dwordx4 s[12:15], s[0:1], 0x30
	s_min_u32 s44, s33, s22
	s_add_i32 s0, s44, s23
	s_min_u32 s45, s0, s22
	s_min_u32 s0, s21, s44
	v_add_u32_e32 v0, s20, v0
	s_add_i32 s21, s21, s44
	v_subrev_u32_e32 v0, s21, v0
	v_add_u32_e32 v14, s0, v0
	s_waitcnt lgkmcnt(0)
	v_cmp_gt_i64_e64 s[20:21], s[12:13], 0
	s_and_b64 vcc, exec, s[6:7]
	s_cbranch_vccz .LBB1630_26
; %bb.5:
                                        ; implicit-def: $vgpr4
	s_and_saveexec_b64 s[22:23], s[4:5]
	s_cbranch_execz .LBB1630_29
; %bb.6:
	s_cmp_ge_u32 s33, s45
	v_mov_b32_e32 v15, s44
	s_cbranch_scc1 .LBB1630_28
; %bb.7:
	s_waitcnt vmcnt(0)
	v_mul_lo_u32 v0, v3, s12
	v_mul_lo_u32 v1, v2, s13
	v_mad_u64_u32 v[4:5], s[0:1], v2, s12, 0
	v_cndmask_b32_e64 v6, 0, 1, s[16:17]
	v_add3_u32 v5, v5, v1, v0
	v_cmp_ne_u32_e64 s[0:1], 1, v6
	v_cndmask_b32_e64 v6, 0, 1, s[20:21]
	v_mov_b64_e32 v[0:1], s[14:15]
	v_lshl_add_u64 v[4:5], v[4:5], 3, s[14:15]
	s_lshl_b64 s[26:27], s[12:13], 3
	s_mov_b64 s[24:25], 0
	v_mov_b32_e32 v16, s45
	v_mov_b32_e32 v15, s44
	v_mov_b32_e32 v7, 0
	v_cmp_ne_u32_e64 s[2:3], 1, v6
	s_branch .LBB1630_10
.LBB1630_8:                             ;   in Loop: Header=BB1630_10 Depth=1
	s_or_b64 exec, exec, s[30:31]
.LBB1630_9:                             ;   in Loop: Header=BB1630_10 Depth=1
	s_waitcnt vmcnt(0)
	v_add_u32_e32 v8, 1, v6
	v_cndmask_b32_e64 v16, v6, v16, s[28:29]
	v_cndmask_b32_e64 v15, v15, v8, s[28:29]
	v_cmp_ge_u32_e32 vcc, v15, v16
	s_or_b64 s[24:25], vcc, s[24:25]
	s_andn2_b64 exec, exec, s[24:25]
	s_cbranch_execz .LBB1630_27
.LBB1630_10:                            ; =>This Loop Header: Depth=1
                                        ;     Child Loop BB1630_14 Depth 2
                                        ;     Child Loop BB1630_23 Depth 2
	v_add_u32_e32 v6, v15, v16
	v_lshrrev_b32_e32 v6, 1, v6
	v_lshl_add_u64 v[8:9], v[6:7], 3, s[8:9]
	global_load_dwordx2 v[8:9], v[8:9], off
	s_and_b64 vcc, exec, s[0:1]
	s_mov_b64 s[4:5], -1
                                        ; implicit-def: $sgpr28_sgpr29
	s_cbranch_vccnz .LBB1630_19
; %bb.11:                               ;   in Loop: Header=BB1630_10 Depth=1
	s_and_b64 vcc, exec, s[2:3]
	s_cbranch_vccnz .LBB1630_17
; %bb.12:                               ;   in Loop: Header=BB1630_10 Depth=1
	s_waitcnt vmcnt(0)
	v_mad_u64_u32 v[10:11], s[4:5], s26, v8, v[0:1]
	v_mul_lo_u32 v12, s26, v9
	v_mul_lo_u32 v13, s27, v8
	v_add3_u32 v11, v13, v11, v12
	s_mov_b64 s[28:29], 0
	s_mov_b64 s[36:37], s[12:13]
	v_mov_b64_e32 v[12:13], v[4:5]
                                        ; implicit-def: $sgpr30_sgpr31
                                        ; implicit-def: $sgpr34_sgpr35
                                        ; implicit-def: $sgpr4_sgpr5
                                        ; implicit-def: $sgpr38_sgpr39
	s_branch .LBB1630_14
.LBB1630_13:                            ;   in Loop: Header=BB1630_14 Depth=2
	s_or_b64 exec, exec, s[42:43]
	s_and_b64 s[6:7], exec, s[34:35]
	s_or_b64 s[28:29], s[6:7], s[28:29]
	s_andn2_b64 s[6:7], s[38:39], exec
	s_and_b64 s[38:39], s[40:41], exec
	s_or_b64 s[38:39], s[6:7], s[38:39]
	s_andn2_b64 s[6:7], s[30:31], exec
	s_and_b64 s[30:31], s[4:5], exec
	s_or_b64 s[30:31], s[6:7], s[30:31]
	s_andn2_b64 exec, exec, s[28:29]
	s_cbranch_execz .LBB1630_16
.LBB1630_14:                            ;   Parent Loop BB1630_10 Depth=1
                                        ; =>  This Inner Loop Header: Depth=2
	global_load_dwordx2 v[18:19], v[12:13], off
	global_load_dwordx2 v[20:21], v[10:11], off
	s_andn2_b64 s[42:43], s[4:5], exec
	s_or_b64 s[34:35], s[34:35], exec
	s_waitcnt vmcnt(0)
	v_cmp_le_u64_e64 s[4:5], v[18:19], v[20:21]
	v_cmp_lt_u64_e32 vcc, v[18:19], v[20:21]
	s_and_b64 s[4:5], s[4:5], s[38:39]
	s_or_b64 s[40:41], vcc, s[4:5]
	s_and_b64 s[4:5], s[40:41], exec
	v_cmp_eq_u64_e64 s[6:7], v[18:19], v[20:21]
	s_or_b64 s[4:5], s[42:43], s[4:5]
	s_and_saveexec_b64 s[42:43], s[6:7]
	s_cbranch_execz .LBB1630_13
; %bb.15:                               ;   in Loop: Header=BB1630_14 Depth=2
	s_add_u32 s36, s36, -1
	s_addc_u32 s37, s37, -1
	s_cmp_eq_u64 s[36:37], 0
	s_cselect_b64 s[6:7], -1, 0
	s_andn2_b64 s[34:35], s[34:35], exec
	s_and_b64 s[6:7], s[6:7], exec
	v_lshl_add_u64 v[12:13], v[12:13], 0, 8
	v_lshl_add_u64 v[10:11], v[10:11], 0, 8
	s_andn2_b64 s[4:5], s[4:5], exec
	s_or_b64 s[34:35], s[34:35], s[6:7]
                                        ; implicit-def: $sgpr38_sgpr39
	s_branch .LBB1630_13
.LBB1630_16:                            ;   in Loop: Header=BB1630_10 Depth=1
	s_or_b64 exec, exec, s[28:29]
	s_xor_b64 s[28:29], s[30:31], -1
	s_branch .LBB1630_18
.LBB1630_17:                            ;   in Loop: Header=BB1630_10 Depth=1
	s_mov_b64 s[28:29], -1
.LBB1630_18:                            ;   in Loop: Header=BB1630_10 Depth=1
	s_mov_b64 s[4:5], 0
.LBB1630_19:                            ;   in Loop: Header=BB1630_10 Depth=1
	s_andn2_b64 vcc, exec, s[4:5]
	s_cbranch_vccnz .LBB1630_9
; %bb.20:                               ;   in Loop: Header=BB1630_10 Depth=1
	s_and_b64 vcc, exec, s[2:3]
	s_cbranch_vccnz .LBB1630_25
; %bb.21:                               ;   in Loop: Header=BB1630_10 Depth=1
	s_waitcnt vmcnt(0)
	v_mad_u64_u32 v[10:11], s[4:5], s26, v8, v[0:1]
	v_mul_lo_u32 v9, s26, v9
	v_mul_lo_u32 v8, s27, v8
	v_add3_u32 v11, v8, v11, v9
	s_mov_b64 s[30:31], 0
	s_mov_b64 s[36:37], s[12:13]
	v_mov_b64_e32 v[8:9], v[4:5]
                                        ; implicit-def: $sgpr28_sgpr29
                                        ; implicit-def: $sgpr34_sgpr35
                                        ; implicit-def: $sgpr4_sgpr5
                                        ; implicit-def: $sgpr38_sgpr39
	s_branch .LBB1630_23
.LBB1630_22:                            ;   in Loop: Header=BB1630_23 Depth=2
	s_or_b64 exec, exec, s[42:43]
	s_and_b64 s[6:7], exec, s[34:35]
	s_or_b64 s[30:31], s[6:7], s[30:31]
	s_andn2_b64 s[6:7], s[38:39], exec
	s_and_b64 s[38:39], s[40:41], exec
	s_or_b64 s[38:39], s[6:7], s[38:39]
	s_andn2_b64 s[6:7], s[28:29], exec
	s_and_b64 s[28:29], s[4:5], exec
	s_or_b64 s[28:29], s[6:7], s[28:29]
	s_andn2_b64 exec, exec, s[30:31]
	s_cbranch_execz .LBB1630_8
.LBB1630_23:                            ;   Parent Loop BB1630_10 Depth=1
                                        ; =>  This Inner Loop Header: Depth=2
	global_load_dwordx2 v[12:13], v[10:11], off
	global_load_dwordx2 v[18:19], v[8:9], off
	s_andn2_b64 s[42:43], s[4:5], exec
	s_or_b64 s[34:35], s[34:35], exec
	s_waitcnt vmcnt(0)
	v_cmp_le_u64_e64 s[4:5], v[12:13], v[18:19]
	v_cmp_lt_u64_e32 vcc, v[12:13], v[18:19]
	s_and_b64 s[4:5], s[4:5], s[38:39]
	s_or_b64 s[40:41], vcc, s[4:5]
	s_and_b64 s[4:5], s[40:41], exec
	v_cmp_eq_u64_e64 s[6:7], v[12:13], v[18:19]
	s_or_b64 s[4:5], s[42:43], s[4:5]
	s_and_saveexec_b64 s[42:43], s[6:7]
	s_cbranch_execz .LBB1630_22
; %bb.24:                               ;   in Loop: Header=BB1630_23 Depth=2
	s_add_u32 s36, s36, -1
	s_addc_u32 s37, s37, -1
	s_cmp_eq_u64 s[36:37], 0
	s_cselect_b64 s[6:7], -1, 0
	s_andn2_b64 s[34:35], s[34:35], exec
	s_and_b64 s[6:7], s[6:7], exec
	v_lshl_add_u64 v[10:11], v[10:11], 0, 8
	v_lshl_add_u64 v[8:9], v[8:9], 0, 8
	s_andn2_b64 s[4:5], s[4:5], exec
	s_or_b64 s[34:35], s[34:35], s[6:7]
                                        ; implicit-def: $sgpr38_sgpr39
	s_branch .LBB1630_22
.LBB1630_25:                            ;   in Loop: Header=BB1630_10 Depth=1
	s_mov_b64 s[28:29], 0
	s_branch .LBB1630_9
.LBB1630_26:
                                        ; implicit-def: $vgpr4
	s_cbranch_execnz .LBB1630_30
	s_branch .LBB1630_52
.LBB1630_27:
	s_or_b64 exec, exec, s[24:25]
.LBB1630_28:
	v_add_u32_e32 v4, v15, v14
	s_or_b64 s[18:19], s[18:19], exec
.LBB1630_29:
	s_or_b64 exec, exec, s[22:23]
	s_branch .LBB1630_52
.LBB1630_30:
	s_cmp_ge_u32 s33, s45
	v_mov_b32_e32 v15, s44
	s_cbranch_scc1 .LBB1630_51
; %bb.31:
	s_waitcnt vmcnt(0)
	v_mul_lo_u32 v0, v3, s12
	v_mul_lo_u32 v1, v2, s13
	v_mad_u64_u32 v[4:5], s[0:1], v2, s12, 0
	v_cndmask_b32_e64 v6, 0, 1, s[16:17]
	v_add3_u32 v5, v5, v1, v0
	v_cmp_ne_u32_e64 s[0:1], 1, v6
	v_cndmask_b32_e64 v6, 0, 1, s[20:21]
	v_mov_b64_e32 v[0:1], s[14:15]
	v_lshl_add_u64 v[4:5], v[4:5], 3, s[14:15]
	s_lshl_b64 s[18:19], s[12:13], 3
	s_mov_b64 s[14:15], 0
	v_mov_b32_e32 v16, s45
	v_mov_b32_e32 v15, s44
	;; [unrolled: 1-line block ×3, first 2 shown]
	v_cmp_ne_u32_e64 s[2:3], 1, v6
	s_branch .LBB1630_34
.LBB1630_32:                            ;   in Loop: Header=BB1630_34 Depth=1
	s_or_b64 exec, exec, s[20:21]
.LBB1630_33:                            ;   in Loop: Header=BB1630_34 Depth=1
	s_waitcnt vmcnt(0)
	v_add_u32_e32 v8, 1, v6
	v_cndmask_b32_e64 v16, v6, v16, s[16:17]
	v_cndmask_b32_e64 v15, v15, v8, s[16:17]
	v_cmp_ge_u32_e32 vcc, v15, v16
	s_or_b64 s[14:15], vcc, s[14:15]
	s_andn2_b64 exec, exec, s[14:15]
	s_cbranch_execz .LBB1630_50
.LBB1630_34:                            ; =>This Loop Header: Depth=1
                                        ;     Child Loop BB1630_38 Depth 2
                                        ;     Child Loop BB1630_47 Depth 2
	v_add_u32_e32 v6, v15, v16
	v_lshrrev_b32_e32 v6, 1, v6
	v_lshl_add_u64 v[8:9], v[6:7], 3, s[8:9]
	global_load_dwordx2 v[8:9], v[8:9], off
	s_and_b64 vcc, exec, s[0:1]
	s_mov_b64 s[4:5], -1
                                        ; implicit-def: $sgpr16_sgpr17
	s_cbranch_vccnz .LBB1630_43
; %bb.35:                               ;   in Loop: Header=BB1630_34 Depth=1
	s_and_b64 vcc, exec, s[2:3]
	s_cbranch_vccnz .LBB1630_41
; %bb.36:                               ;   in Loop: Header=BB1630_34 Depth=1
	s_waitcnt vmcnt(0)
	v_mad_u64_u32 v[10:11], s[4:5], s18, v8, v[0:1]
	v_mul_lo_u32 v12, s18, v9
	v_mul_lo_u32 v13, s19, v8
	v_add3_u32 v11, v13, v11, v12
	s_mov_b64 s[16:17], 0
	s_mov_b64 s[24:25], s[12:13]
	v_mov_b64_e32 v[12:13], v[4:5]
                                        ; implicit-def: $sgpr20_sgpr21
                                        ; implicit-def: $sgpr22_sgpr23
                                        ; implicit-def: $sgpr4_sgpr5
                                        ; implicit-def: $sgpr26_sgpr27
	s_branch .LBB1630_38
.LBB1630_37:                            ;   in Loop: Header=BB1630_38 Depth=2
	s_or_b64 exec, exec, s[30:31]
	s_and_b64 s[6:7], exec, s[22:23]
	s_or_b64 s[16:17], s[6:7], s[16:17]
	s_andn2_b64 s[6:7], s[26:27], exec
	s_and_b64 s[26:27], s[28:29], exec
	s_or_b64 s[26:27], s[6:7], s[26:27]
	s_andn2_b64 s[6:7], s[20:21], exec
	s_and_b64 s[20:21], s[4:5], exec
	s_or_b64 s[20:21], s[6:7], s[20:21]
	s_andn2_b64 exec, exec, s[16:17]
	s_cbranch_execz .LBB1630_40
.LBB1630_38:                            ;   Parent Loop BB1630_34 Depth=1
                                        ; =>  This Inner Loop Header: Depth=2
	global_load_dwordx2 v[18:19], v[12:13], off
	global_load_dwordx2 v[20:21], v[10:11], off
	s_andn2_b64 s[30:31], s[4:5], exec
	s_or_b64 s[22:23], s[22:23], exec
	s_waitcnt vmcnt(0)
	v_cmp_le_u64_e64 s[4:5], v[18:19], v[20:21]
	v_cmp_lt_u64_e32 vcc, v[18:19], v[20:21]
	s_and_b64 s[4:5], s[4:5], s[26:27]
	s_or_b64 s[28:29], vcc, s[4:5]
	s_and_b64 s[4:5], s[28:29], exec
	v_cmp_eq_u64_e64 s[6:7], v[18:19], v[20:21]
	s_or_b64 s[4:5], s[30:31], s[4:5]
	s_and_saveexec_b64 s[30:31], s[6:7]
	s_cbranch_execz .LBB1630_37
; %bb.39:                               ;   in Loop: Header=BB1630_38 Depth=2
	s_add_u32 s24, s24, -1
	s_addc_u32 s25, s25, -1
	s_cmp_eq_u64 s[24:25], 0
	s_cselect_b64 s[6:7], -1, 0
	s_andn2_b64 s[22:23], s[22:23], exec
	s_and_b64 s[6:7], s[6:7], exec
	v_lshl_add_u64 v[12:13], v[12:13], 0, 8
	v_lshl_add_u64 v[10:11], v[10:11], 0, 8
	s_andn2_b64 s[4:5], s[4:5], exec
	s_or_b64 s[22:23], s[22:23], s[6:7]
                                        ; implicit-def: $sgpr26_sgpr27
	s_branch .LBB1630_37
.LBB1630_40:                            ;   in Loop: Header=BB1630_34 Depth=1
	s_or_b64 exec, exec, s[16:17]
	s_xor_b64 s[16:17], s[20:21], -1
	s_branch .LBB1630_42
.LBB1630_41:                            ;   in Loop: Header=BB1630_34 Depth=1
	s_mov_b64 s[16:17], -1
.LBB1630_42:                            ;   in Loop: Header=BB1630_34 Depth=1
	s_mov_b64 s[4:5], 0
.LBB1630_43:                            ;   in Loop: Header=BB1630_34 Depth=1
	s_andn2_b64 vcc, exec, s[4:5]
	s_cbranch_vccnz .LBB1630_33
; %bb.44:                               ;   in Loop: Header=BB1630_34 Depth=1
	s_and_b64 vcc, exec, s[2:3]
	s_cbranch_vccnz .LBB1630_49
; %bb.45:                               ;   in Loop: Header=BB1630_34 Depth=1
	s_waitcnt vmcnt(0)
	v_mad_u64_u32 v[10:11], s[4:5], s18, v8, v[0:1]
	v_mul_lo_u32 v9, s18, v9
	v_mul_lo_u32 v8, s19, v8
	v_add3_u32 v11, v8, v11, v9
	s_mov_b64 s[20:21], 0
	s_mov_b64 s[24:25], s[12:13]
	v_mov_b64_e32 v[8:9], v[4:5]
                                        ; implicit-def: $sgpr16_sgpr17
                                        ; implicit-def: $sgpr22_sgpr23
                                        ; implicit-def: $sgpr4_sgpr5
                                        ; implicit-def: $sgpr26_sgpr27
	s_branch .LBB1630_47
.LBB1630_46:                            ;   in Loop: Header=BB1630_47 Depth=2
	s_or_b64 exec, exec, s[30:31]
	s_and_b64 s[6:7], exec, s[22:23]
	s_or_b64 s[20:21], s[6:7], s[20:21]
	s_andn2_b64 s[6:7], s[26:27], exec
	s_and_b64 s[26:27], s[28:29], exec
	s_or_b64 s[26:27], s[6:7], s[26:27]
	s_andn2_b64 s[6:7], s[16:17], exec
	s_and_b64 s[16:17], s[4:5], exec
	s_or_b64 s[16:17], s[6:7], s[16:17]
	s_andn2_b64 exec, exec, s[20:21]
	s_cbranch_execz .LBB1630_32
.LBB1630_47:                            ;   Parent Loop BB1630_34 Depth=1
                                        ; =>  This Inner Loop Header: Depth=2
	global_load_dwordx2 v[12:13], v[10:11], off
	global_load_dwordx2 v[18:19], v[8:9], off
	s_andn2_b64 s[30:31], s[4:5], exec
	s_or_b64 s[22:23], s[22:23], exec
	s_waitcnt vmcnt(0)
	v_cmp_le_u64_e64 s[4:5], v[12:13], v[18:19]
	v_cmp_lt_u64_e32 vcc, v[12:13], v[18:19]
	s_and_b64 s[4:5], s[4:5], s[26:27]
	s_or_b64 s[28:29], vcc, s[4:5]
	s_and_b64 s[4:5], s[28:29], exec
	v_cmp_eq_u64_e64 s[6:7], v[12:13], v[18:19]
	s_or_b64 s[4:5], s[30:31], s[4:5]
	s_and_saveexec_b64 s[30:31], s[6:7]
	s_cbranch_execz .LBB1630_46
; %bb.48:                               ;   in Loop: Header=BB1630_47 Depth=2
	s_add_u32 s24, s24, -1
	s_addc_u32 s25, s25, -1
	s_cmp_eq_u64 s[24:25], 0
	s_cselect_b64 s[6:7], -1, 0
	s_andn2_b64 s[22:23], s[22:23], exec
	s_and_b64 s[6:7], s[6:7], exec
	v_lshl_add_u64 v[10:11], v[10:11], 0, 8
	v_lshl_add_u64 v[8:9], v[8:9], 0, 8
	s_andn2_b64 s[4:5], s[4:5], exec
	s_or_b64 s[22:23], s[22:23], s[6:7]
                                        ; implicit-def: $sgpr26_sgpr27
	s_branch .LBB1630_46
.LBB1630_49:                            ;   in Loop: Header=BB1630_34 Depth=1
	s_mov_b64 s[16:17], 0
	s_branch .LBB1630_33
.LBB1630_50:
	s_or_b64 exec, exec, s[14:15]
.LBB1630_51:
	v_add_u32_e32 v4, v15, v14
	s_mov_b64 s[18:19], -1
.LBB1630_52:
	s_and_b64 exec, exec, s[18:19]
	s_cbranch_execz .LBB1630_54
; %bb.53:
	v_mov_b32_e32 v0, s10
	v_mov_b32_e32 v1, s11
	;; [unrolled: 1-line block ×3, first 2 shown]
	v_lshl_add_u64 v[0:1], v[4:5], 3, v[0:1]
	s_waitcnt vmcnt(0)
	global_store_dwordx2 v[0:1], v[2:3], off
.LBB1630_54:
	s_endpgm
	.section	.rodata,"a",@progbits
	.p2align	6, 0x0
	.amdhsa_kernel _ZN7rocprim17ROCPRIM_400000_NS6detail17trampoline_kernelINS0_14default_configENS1_38merge_sort_block_merge_config_selectorIlNS0_10empty_typeEEEZZNS1_27merge_sort_block_merge_implIS3_PlPS5_mZN2at6native12_GLOBAL__N_124unique_dim_cuda_templateImEESt5tupleIJNSA_6TensorESF_SF_EERKSF_lbbbEUlllE_EE10hipError_tT0_T1_T2_jT3_P12ihipStream_tbPNSt15iterator_traitsISL_E10value_typeEPNSR_ISM_E10value_typeEPSN_NS1_7vsmem_tEENKUlT_SL_SM_SN_E_clIS8_S8_S9_S9_EESK_S10_SL_SM_SN_EUlS10_E1_NS1_11comp_targetILNS1_3genE0ELNS1_11target_archE4294967295ELNS1_3gpuE0ELNS1_3repE0EEENS1_36merge_oddeven_config_static_selectorELNS0_4arch9wavefront6targetE1EEEvSM_
		.amdhsa_group_segment_fixed_size 0
		.amdhsa_private_segment_fixed_size 0
		.amdhsa_kernarg_size 64
		.amdhsa_user_sgpr_count 2
		.amdhsa_user_sgpr_dispatch_ptr 0
		.amdhsa_user_sgpr_queue_ptr 0
		.amdhsa_user_sgpr_kernarg_segment_ptr 1
		.amdhsa_user_sgpr_dispatch_id 0
		.amdhsa_user_sgpr_kernarg_preload_length 0
		.amdhsa_user_sgpr_kernarg_preload_offset 0
		.amdhsa_user_sgpr_private_segment_size 0
		.amdhsa_uses_dynamic_stack 0
		.amdhsa_enable_private_segment 0
		.amdhsa_system_sgpr_workgroup_id_x 1
		.amdhsa_system_sgpr_workgroup_id_y 0
		.amdhsa_system_sgpr_workgroup_id_z 0
		.amdhsa_system_sgpr_workgroup_info 0
		.amdhsa_system_vgpr_workitem_id 0
		.amdhsa_next_free_vgpr 22
		.amdhsa_next_free_sgpr 46
		.amdhsa_accum_offset 24
		.amdhsa_reserve_vcc 1
		.amdhsa_float_round_mode_32 0
		.amdhsa_float_round_mode_16_64 0
		.amdhsa_float_denorm_mode_32 3
		.amdhsa_float_denorm_mode_16_64 3
		.amdhsa_dx10_clamp 1
		.amdhsa_ieee_mode 1
		.amdhsa_fp16_overflow 0
		.amdhsa_tg_split 0
		.amdhsa_exception_fp_ieee_invalid_op 0
		.amdhsa_exception_fp_denorm_src 0
		.amdhsa_exception_fp_ieee_div_zero 0
		.amdhsa_exception_fp_ieee_overflow 0
		.amdhsa_exception_fp_ieee_underflow 0
		.amdhsa_exception_fp_ieee_inexact 0
		.amdhsa_exception_int_div_zero 0
	.end_amdhsa_kernel
	.section	.text._ZN7rocprim17ROCPRIM_400000_NS6detail17trampoline_kernelINS0_14default_configENS1_38merge_sort_block_merge_config_selectorIlNS0_10empty_typeEEEZZNS1_27merge_sort_block_merge_implIS3_PlPS5_mZN2at6native12_GLOBAL__N_124unique_dim_cuda_templateImEESt5tupleIJNSA_6TensorESF_SF_EERKSF_lbbbEUlllE_EE10hipError_tT0_T1_T2_jT3_P12ihipStream_tbPNSt15iterator_traitsISL_E10value_typeEPNSR_ISM_E10value_typeEPSN_NS1_7vsmem_tEENKUlT_SL_SM_SN_E_clIS8_S8_S9_S9_EESK_S10_SL_SM_SN_EUlS10_E1_NS1_11comp_targetILNS1_3genE0ELNS1_11target_archE4294967295ELNS1_3gpuE0ELNS1_3repE0EEENS1_36merge_oddeven_config_static_selectorELNS0_4arch9wavefront6targetE1EEEvSM_,"axG",@progbits,_ZN7rocprim17ROCPRIM_400000_NS6detail17trampoline_kernelINS0_14default_configENS1_38merge_sort_block_merge_config_selectorIlNS0_10empty_typeEEEZZNS1_27merge_sort_block_merge_implIS3_PlPS5_mZN2at6native12_GLOBAL__N_124unique_dim_cuda_templateImEESt5tupleIJNSA_6TensorESF_SF_EERKSF_lbbbEUlllE_EE10hipError_tT0_T1_T2_jT3_P12ihipStream_tbPNSt15iterator_traitsISL_E10value_typeEPNSR_ISM_E10value_typeEPSN_NS1_7vsmem_tEENKUlT_SL_SM_SN_E_clIS8_S8_S9_S9_EESK_S10_SL_SM_SN_EUlS10_E1_NS1_11comp_targetILNS1_3genE0ELNS1_11target_archE4294967295ELNS1_3gpuE0ELNS1_3repE0EEENS1_36merge_oddeven_config_static_selectorELNS0_4arch9wavefront6targetE1EEEvSM_,comdat
.Lfunc_end1630:
	.size	_ZN7rocprim17ROCPRIM_400000_NS6detail17trampoline_kernelINS0_14default_configENS1_38merge_sort_block_merge_config_selectorIlNS0_10empty_typeEEEZZNS1_27merge_sort_block_merge_implIS3_PlPS5_mZN2at6native12_GLOBAL__N_124unique_dim_cuda_templateImEESt5tupleIJNSA_6TensorESF_SF_EERKSF_lbbbEUlllE_EE10hipError_tT0_T1_T2_jT3_P12ihipStream_tbPNSt15iterator_traitsISL_E10value_typeEPNSR_ISM_E10value_typeEPSN_NS1_7vsmem_tEENKUlT_SL_SM_SN_E_clIS8_S8_S9_S9_EESK_S10_SL_SM_SN_EUlS10_E1_NS1_11comp_targetILNS1_3genE0ELNS1_11target_archE4294967295ELNS1_3gpuE0ELNS1_3repE0EEENS1_36merge_oddeven_config_static_selectorELNS0_4arch9wavefront6targetE1EEEvSM_, .Lfunc_end1630-_ZN7rocprim17ROCPRIM_400000_NS6detail17trampoline_kernelINS0_14default_configENS1_38merge_sort_block_merge_config_selectorIlNS0_10empty_typeEEEZZNS1_27merge_sort_block_merge_implIS3_PlPS5_mZN2at6native12_GLOBAL__N_124unique_dim_cuda_templateImEESt5tupleIJNSA_6TensorESF_SF_EERKSF_lbbbEUlllE_EE10hipError_tT0_T1_T2_jT3_P12ihipStream_tbPNSt15iterator_traitsISL_E10value_typeEPNSR_ISM_E10value_typeEPSN_NS1_7vsmem_tEENKUlT_SL_SM_SN_E_clIS8_S8_S9_S9_EESK_S10_SL_SM_SN_EUlS10_E1_NS1_11comp_targetILNS1_3genE0ELNS1_11target_archE4294967295ELNS1_3gpuE0ELNS1_3repE0EEENS1_36merge_oddeven_config_static_selectorELNS0_4arch9wavefront6targetE1EEEvSM_
                                        ; -- End function
	.set _ZN7rocprim17ROCPRIM_400000_NS6detail17trampoline_kernelINS0_14default_configENS1_38merge_sort_block_merge_config_selectorIlNS0_10empty_typeEEEZZNS1_27merge_sort_block_merge_implIS3_PlPS5_mZN2at6native12_GLOBAL__N_124unique_dim_cuda_templateImEESt5tupleIJNSA_6TensorESF_SF_EERKSF_lbbbEUlllE_EE10hipError_tT0_T1_T2_jT3_P12ihipStream_tbPNSt15iterator_traitsISL_E10value_typeEPNSR_ISM_E10value_typeEPSN_NS1_7vsmem_tEENKUlT_SL_SM_SN_E_clIS8_S8_S9_S9_EESK_S10_SL_SM_SN_EUlS10_E1_NS1_11comp_targetILNS1_3genE0ELNS1_11target_archE4294967295ELNS1_3gpuE0ELNS1_3repE0EEENS1_36merge_oddeven_config_static_selectorELNS0_4arch9wavefront6targetE1EEEvSM_.num_vgpr, 22
	.set _ZN7rocprim17ROCPRIM_400000_NS6detail17trampoline_kernelINS0_14default_configENS1_38merge_sort_block_merge_config_selectorIlNS0_10empty_typeEEEZZNS1_27merge_sort_block_merge_implIS3_PlPS5_mZN2at6native12_GLOBAL__N_124unique_dim_cuda_templateImEESt5tupleIJNSA_6TensorESF_SF_EERKSF_lbbbEUlllE_EE10hipError_tT0_T1_T2_jT3_P12ihipStream_tbPNSt15iterator_traitsISL_E10value_typeEPNSR_ISM_E10value_typeEPSN_NS1_7vsmem_tEENKUlT_SL_SM_SN_E_clIS8_S8_S9_S9_EESK_S10_SL_SM_SN_EUlS10_E1_NS1_11comp_targetILNS1_3genE0ELNS1_11target_archE4294967295ELNS1_3gpuE0ELNS1_3repE0EEENS1_36merge_oddeven_config_static_selectorELNS0_4arch9wavefront6targetE1EEEvSM_.num_agpr, 0
	.set _ZN7rocprim17ROCPRIM_400000_NS6detail17trampoline_kernelINS0_14default_configENS1_38merge_sort_block_merge_config_selectorIlNS0_10empty_typeEEEZZNS1_27merge_sort_block_merge_implIS3_PlPS5_mZN2at6native12_GLOBAL__N_124unique_dim_cuda_templateImEESt5tupleIJNSA_6TensorESF_SF_EERKSF_lbbbEUlllE_EE10hipError_tT0_T1_T2_jT3_P12ihipStream_tbPNSt15iterator_traitsISL_E10value_typeEPNSR_ISM_E10value_typeEPSN_NS1_7vsmem_tEENKUlT_SL_SM_SN_E_clIS8_S8_S9_S9_EESK_S10_SL_SM_SN_EUlS10_E1_NS1_11comp_targetILNS1_3genE0ELNS1_11target_archE4294967295ELNS1_3gpuE0ELNS1_3repE0EEENS1_36merge_oddeven_config_static_selectorELNS0_4arch9wavefront6targetE1EEEvSM_.numbered_sgpr, 46
	.set _ZN7rocprim17ROCPRIM_400000_NS6detail17trampoline_kernelINS0_14default_configENS1_38merge_sort_block_merge_config_selectorIlNS0_10empty_typeEEEZZNS1_27merge_sort_block_merge_implIS3_PlPS5_mZN2at6native12_GLOBAL__N_124unique_dim_cuda_templateImEESt5tupleIJNSA_6TensorESF_SF_EERKSF_lbbbEUlllE_EE10hipError_tT0_T1_T2_jT3_P12ihipStream_tbPNSt15iterator_traitsISL_E10value_typeEPNSR_ISM_E10value_typeEPSN_NS1_7vsmem_tEENKUlT_SL_SM_SN_E_clIS8_S8_S9_S9_EESK_S10_SL_SM_SN_EUlS10_E1_NS1_11comp_targetILNS1_3genE0ELNS1_11target_archE4294967295ELNS1_3gpuE0ELNS1_3repE0EEENS1_36merge_oddeven_config_static_selectorELNS0_4arch9wavefront6targetE1EEEvSM_.num_named_barrier, 0
	.set _ZN7rocprim17ROCPRIM_400000_NS6detail17trampoline_kernelINS0_14default_configENS1_38merge_sort_block_merge_config_selectorIlNS0_10empty_typeEEEZZNS1_27merge_sort_block_merge_implIS3_PlPS5_mZN2at6native12_GLOBAL__N_124unique_dim_cuda_templateImEESt5tupleIJNSA_6TensorESF_SF_EERKSF_lbbbEUlllE_EE10hipError_tT0_T1_T2_jT3_P12ihipStream_tbPNSt15iterator_traitsISL_E10value_typeEPNSR_ISM_E10value_typeEPSN_NS1_7vsmem_tEENKUlT_SL_SM_SN_E_clIS8_S8_S9_S9_EESK_S10_SL_SM_SN_EUlS10_E1_NS1_11comp_targetILNS1_3genE0ELNS1_11target_archE4294967295ELNS1_3gpuE0ELNS1_3repE0EEENS1_36merge_oddeven_config_static_selectorELNS0_4arch9wavefront6targetE1EEEvSM_.private_seg_size, 0
	.set _ZN7rocprim17ROCPRIM_400000_NS6detail17trampoline_kernelINS0_14default_configENS1_38merge_sort_block_merge_config_selectorIlNS0_10empty_typeEEEZZNS1_27merge_sort_block_merge_implIS3_PlPS5_mZN2at6native12_GLOBAL__N_124unique_dim_cuda_templateImEESt5tupleIJNSA_6TensorESF_SF_EERKSF_lbbbEUlllE_EE10hipError_tT0_T1_T2_jT3_P12ihipStream_tbPNSt15iterator_traitsISL_E10value_typeEPNSR_ISM_E10value_typeEPSN_NS1_7vsmem_tEENKUlT_SL_SM_SN_E_clIS8_S8_S9_S9_EESK_S10_SL_SM_SN_EUlS10_E1_NS1_11comp_targetILNS1_3genE0ELNS1_11target_archE4294967295ELNS1_3gpuE0ELNS1_3repE0EEENS1_36merge_oddeven_config_static_selectorELNS0_4arch9wavefront6targetE1EEEvSM_.uses_vcc, 1
	.set _ZN7rocprim17ROCPRIM_400000_NS6detail17trampoline_kernelINS0_14default_configENS1_38merge_sort_block_merge_config_selectorIlNS0_10empty_typeEEEZZNS1_27merge_sort_block_merge_implIS3_PlPS5_mZN2at6native12_GLOBAL__N_124unique_dim_cuda_templateImEESt5tupleIJNSA_6TensorESF_SF_EERKSF_lbbbEUlllE_EE10hipError_tT0_T1_T2_jT3_P12ihipStream_tbPNSt15iterator_traitsISL_E10value_typeEPNSR_ISM_E10value_typeEPSN_NS1_7vsmem_tEENKUlT_SL_SM_SN_E_clIS8_S8_S9_S9_EESK_S10_SL_SM_SN_EUlS10_E1_NS1_11comp_targetILNS1_3genE0ELNS1_11target_archE4294967295ELNS1_3gpuE0ELNS1_3repE0EEENS1_36merge_oddeven_config_static_selectorELNS0_4arch9wavefront6targetE1EEEvSM_.uses_flat_scratch, 0
	.set _ZN7rocprim17ROCPRIM_400000_NS6detail17trampoline_kernelINS0_14default_configENS1_38merge_sort_block_merge_config_selectorIlNS0_10empty_typeEEEZZNS1_27merge_sort_block_merge_implIS3_PlPS5_mZN2at6native12_GLOBAL__N_124unique_dim_cuda_templateImEESt5tupleIJNSA_6TensorESF_SF_EERKSF_lbbbEUlllE_EE10hipError_tT0_T1_T2_jT3_P12ihipStream_tbPNSt15iterator_traitsISL_E10value_typeEPNSR_ISM_E10value_typeEPSN_NS1_7vsmem_tEENKUlT_SL_SM_SN_E_clIS8_S8_S9_S9_EESK_S10_SL_SM_SN_EUlS10_E1_NS1_11comp_targetILNS1_3genE0ELNS1_11target_archE4294967295ELNS1_3gpuE0ELNS1_3repE0EEENS1_36merge_oddeven_config_static_selectorELNS0_4arch9wavefront6targetE1EEEvSM_.has_dyn_sized_stack, 0
	.set _ZN7rocprim17ROCPRIM_400000_NS6detail17trampoline_kernelINS0_14default_configENS1_38merge_sort_block_merge_config_selectorIlNS0_10empty_typeEEEZZNS1_27merge_sort_block_merge_implIS3_PlPS5_mZN2at6native12_GLOBAL__N_124unique_dim_cuda_templateImEESt5tupleIJNSA_6TensorESF_SF_EERKSF_lbbbEUlllE_EE10hipError_tT0_T1_T2_jT3_P12ihipStream_tbPNSt15iterator_traitsISL_E10value_typeEPNSR_ISM_E10value_typeEPSN_NS1_7vsmem_tEENKUlT_SL_SM_SN_E_clIS8_S8_S9_S9_EESK_S10_SL_SM_SN_EUlS10_E1_NS1_11comp_targetILNS1_3genE0ELNS1_11target_archE4294967295ELNS1_3gpuE0ELNS1_3repE0EEENS1_36merge_oddeven_config_static_selectorELNS0_4arch9wavefront6targetE1EEEvSM_.has_recursion, 0
	.set _ZN7rocprim17ROCPRIM_400000_NS6detail17trampoline_kernelINS0_14default_configENS1_38merge_sort_block_merge_config_selectorIlNS0_10empty_typeEEEZZNS1_27merge_sort_block_merge_implIS3_PlPS5_mZN2at6native12_GLOBAL__N_124unique_dim_cuda_templateImEESt5tupleIJNSA_6TensorESF_SF_EERKSF_lbbbEUlllE_EE10hipError_tT0_T1_T2_jT3_P12ihipStream_tbPNSt15iterator_traitsISL_E10value_typeEPNSR_ISM_E10value_typeEPSN_NS1_7vsmem_tEENKUlT_SL_SM_SN_E_clIS8_S8_S9_S9_EESK_S10_SL_SM_SN_EUlS10_E1_NS1_11comp_targetILNS1_3genE0ELNS1_11target_archE4294967295ELNS1_3gpuE0ELNS1_3repE0EEENS1_36merge_oddeven_config_static_selectorELNS0_4arch9wavefront6targetE1EEEvSM_.has_indirect_call, 0
	.section	.AMDGPU.csdata,"",@progbits
; Kernel info:
; codeLenInByte = 1716
; TotalNumSgprs: 52
; NumVgprs: 22
; NumAgprs: 0
; TotalNumVgprs: 22
; ScratchSize: 0
; MemoryBound: 0
; FloatMode: 240
; IeeeMode: 1
; LDSByteSize: 0 bytes/workgroup (compile time only)
; SGPRBlocks: 6
; VGPRBlocks: 2
; NumSGPRsForWavesPerEU: 52
; NumVGPRsForWavesPerEU: 22
; AccumOffset: 24
; Occupancy: 8
; WaveLimiterHint : 0
; COMPUTE_PGM_RSRC2:SCRATCH_EN: 0
; COMPUTE_PGM_RSRC2:USER_SGPR: 2
; COMPUTE_PGM_RSRC2:TRAP_HANDLER: 0
; COMPUTE_PGM_RSRC2:TGID_X_EN: 1
; COMPUTE_PGM_RSRC2:TGID_Y_EN: 0
; COMPUTE_PGM_RSRC2:TGID_Z_EN: 0
; COMPUTE_PGM_RSRC2:TIDIG_COMP_CNT: 0
; COMPUTE_PGM_RSRC3_GFX90A:ACCUM_OFFSET: 5
; COMPUTE_PGM_RSRC3_GFX90A:TG_SPLIT: 0
	.section	.text._ZN7rocprim17ROCPRIM_400000_NS6detail17trampoline_kernelINS0_14default_configENS1_38merge_sort_block_merge_config_selectorIlNS0_10empty_typeEEEZZNS1_27merge_sort_block_merge_implIS3_PlPS5_mZN2at6native12_GLOBAL__N_124unique_dim_cuda_templateImEESt5tupleIJNSA_6TensorESF_SF_EERKSF_lbbbEUlllE_EE10hipError_tT0_T1_T2_jT3_P12ihipStream_tbPNSt15iterator_traitsISL_E10value_typeEPNSR_ISM_E10value_typeEPSN_NS1_7vsmem_tEENKUlT_SL_SM_SN_E_clIS8_S8_S9_S9_EESK_S10_SL_SM_SN_EUlS10_E1_NS1_11comp_targetILNS1_3genE10ELNS1_11target_archE1201ELNS1_3gpuE5ELNS1_3repE0EEENS1_36merge_oddeven_config_static_selectorELNS0_4arch9wavefront6targetE1EEEvSM_,"axG",@progbits,_ZN7rocprim17ROCPRIM_400000_NS6detail17trampoline_kernelINS0_14default_configENS1_38merge_sort_block_merge_config_selectorIlNS0_10empty_typeEEEZZNS1_27merge_sort_block_merge_implIS3_PlPS5_mZN2at6native12_GLOBAL__N_124unique_dim_cuda_templateImEESt5tupleIJNSA_6TensorESF_SF_EERKSF_lbbbEUlllE_EE10hipError_tT0_T1_T2_jT3_P12ihipStream_tbPNSt15iterator_traitsISL_E10value_typeEPNSR_ISM_E10value_typeEPSN_NS1_7vsmem_tEENKUlT_SL_SM_SN_E_clIS8_S8_S9_S9_EESK_S10_SL_SM_SN_EUlS10_E1_NS1_11comp_targetILNS1_3genE10ELNS1_11target_archE1201ELNS1_3gpuE5ELNS1_3repE0EEENS1_36merge_oddeven_config_static_selectorELNS0_4arch9wavefront6targetE1EEEvSM_,comdat
	.globl	_ZN7rocprim17ROCPRIM_400000_NS6detail17trampoline_kernelINS0_14default_configENS1_38merge_sort_block_merge_config_selectorIlNS0_10empty_typeEEEZZNS1_27merge_sort_block_merge_implIS3_PlPS5_mZN2at6native12_GLOBAL__N_124unique_dim_cuda_templateImEESt5tupleIJNSA_6TensorESF_SF_EERKSF_lbbbEUlllE_EE10hipError_tT0_T1_T2_jT3_P12ihipStream_tbPNSt15iterator_traitsISL_E10value_typeEPNSR_ISM_E10value_typeEPSN_NS1_7vsmem_tEENKUlT_SL_SM_SN_E_clIS8_S8_S9_S9_EESK_S10_SL_SM_SN_EUlS10_E1_NS1_11comp_targetILNS1_3genE10ELNS1_11target_archE1201ELNS1_3gpuE5ELNS1_3repE0EEENS1_36merge_oddeven_config_static_selectorELNS0_4arch9wavefront6targetE1EEEvSM_ ; -- Begin function _ZN7rocprim17ROCPRIM_400000_NS6detail17trampoline_kernelINS0_14default_configENS1_38merge_sort_block_merge_config_selectorIlNS0_10empty_typeEEEZZNS1_27merge_sort_block_merge_implIS3_PlPS5_mZN2at6native12_GLOBAL__N_124unique_dim_cuda_templateImEESt5tupleIJNSA_6TensorESF_SF_EERKSF_lbbbEUlllE_EE10hipError_tT0_T1_T2_jT3_P12ihipStream_tbPNSt15iterator_traitsISL_E10value_typeEPNSR_ISM_E10value_typeEPSN_NS1_7vsmem_tEENKUlT_SL_SM_SN_E_clIS8_S8_S9_S9_EESK_S10_SL_SM_SN_EUlS10_E1_NS1_11comp_targetILNS1_3genE10ELNS1_11target_archE1201ELNS1_3gpuE5ELNS1_3repE0EEENS1_36merge_oddeven_config_static_selectorELNS0_4arch9wavefront6targetE1EEEvSM_
	.p2align	8
	.type	_ZN7rocprim17ROCPRIM_400000_NS6detail17trampoline_kernelINS0_14default_configENS1_38merge_sort_block_merge_config_selectorIlNS0_10empty_typeEEEZZNS1_27merge_sort_block_merge_implIS3_PlPS5_mZN2at6native12_GLOBAL__N_124unique_dim_cuda_templateImEESt5tupleIJNSA_6TensorESF_SF_EERKSF_lbbbEUlllE_EE10hipError_tT0_T1_T2_jT3_P12ihipStream_tbPNSt15iterator_traitsISL_E10value_typeEPNSR_ISM_E10value_typeEPSN_NS1_7vsmem_tEENKUlT_SL_SM_SN_E_clIS8_S8_S9_S9_EESK_S10_SL_SM_SN_EUlS10_E1_NS1_11comp_targetILNS1_3genE10ELNS1_11target_archE1201ELNS1_3gpuE5ELNS1_3repE0EEENS1_36merge_oddeven_config_static_selectorELNS0_4arch9wavefront6targetE1EEEvSM_,@function
_ZN7rocprim17ROCPRIM_400000_NS6detail17trampoline_kernelINS0_14default_configENS1_38merge_sort_block_merge_config_selectorIlNS0_10empty_typeEEEZZNS1_27merge_sort_block_merge_implIS3_PlPS5_mZN2at6native12_GLOBAL__N_124unique_dim_cuda_templateImEESt5tupleIJNSA_6TensorESF_SF_EERKSF_lbbbEUlllE_EE10hipError_tT0_T1_T2_jT3_P12ihipStream_tbPNSt15iterator_traitsISL_E10value_typeEPNSR_ISM_E10value_typeEPSN_NS1_7vsmem_tEENKUlT_SL_SM_SN_E_clIS8_S8_S9_S9_EESK_S10_SL_SM_SN_EUlS10_E1_NS1_11comp_targetILNS1_3genE10ELNS1_11target_archE1201ELNS1_3gpuE5ELNS1_3repE0EEENS1_36merge_oddeven_config_static_selectorELNS0_4arch9wavefront6targetE1EEEvSM_: ; @_ZN7rocprim17ROCPRIM_400000_NS6detail17trampoline_kernelINS0_14default_configENS1_38merge_sort_block_merge_config_selectorIlNS0_10empty_typeEEEZZNS1_27merge_sort_block_merge_implIS3_PlPS5_mZN2at6native12_GLOBAL__N_124unique_dim_cuda_templateImEESt5tupleIJNSA_6TensorESF_SF_EERKSF_lbbbEUlllE_EE10hipError_tT0_T1_T2_jT3_P12ihipStream_tbPNSt15iterator_traitsISL_E10value_typeEPNSR_ISM_E10value_typeEPSN_NS1_7vsmem_tEENKUlT_SL_SM_SN_E_clIS8_S8_S9_S9_EESK_S10_SL_SM_SN_EUlS10_E1_NS1_11comp_targetILNS1_3genE10ELNS1_11target_archE1201ELNS1_3gpuE5ELNS1_3repE0EEENS1_36merge_oddeven_config_static_selectorELNS0_4arch9wavefront6targetE1EEEvSM_
; %bb.0:
	.section	.rodata,"a",@progbits
	.p2align	6, 0x0
	.amdhsa_kernel _ZN7rocprim17ROCPRIM_400000_NS6detail17trampoline_kernelINS0_14default_configENS1_38merge_sort_block_merge_config_selectorIlNS0_10empty_typeEEEZZNS1_27merge_sort_block_merge_implIS3_PlPS5_mZN2at6native12_GLOBAL__N_124unique_dim_cuda_templateImEESt5tupleIJNSA_6TensorESF_SF_EERKSF_lbbbEUlllE_EE10hipError_tT0_T1_T2_jT3_P12ihipStream_tbPNSt15iterator_traitsISL_E10value_typeEPNSR_ISM_E10value_typeEPSN_NS1_7vsmem_tEENKUlT_SL_SM_SN_E_clIS8_S8_S9_S9_EESK_S10_SL_SM_SN_EUlS10_E1_NS1_11comp_targetILNS1_3genE10ELNS1_11target_archE1201ELNS1_3gpuE5ELNS1_3repE0EEENS1_36merge_oddeven_config_static_selectorELNS0_4arch9wavefront6targetE1EEEvSM_
		.amdhsa_group_segment_fixed_size 0
		.amdhsa_private_segment_fixed_size 0
		.amdhsa_kernarg_size 64
		.amdhsa_user_sgpr_count 2
		.amdhsa_user_sgpr_dispatch_ptr 0
		.amdhsa_user_sgpr_queue_ptr 0
		.amdhsa_user_sgpr_kernarg_segment_ptr 1
		.amdhsa_user_sgpr_dispatch_id 0
		.amdhsa_user_sgpr_kernarg_preload_length 0
		.amdhsa_user_sgpr_kernarg_preload_offset 0
		.amdhsa_user_sgpr_private_segment_size 0
		.amdhsa_uses_dynamic_stack 0
		.amdhsa_enable_private_segment 0
		.amdhsa_system_sgpr_workgroup_id_x 1
		.amdhsa_system_sgpr_workgroup_id_y 0
		.amdhsa_system_sgpr_workgroup_id_z 0
		.amdhsa_system_sgpr_workgroup_info 0
		.amdhsa_system_vgpr_workitem_id 0
		.amdhsa_next_free_vgpr 1
		.amdhsa_next_free_sgpr 0
		.amdhsa_accum_offset 4
		.amdhsa_reserve_vcc 0
		.amdhsa_float_round_mode_32 0
		.amdhsa_float_round_mode_16_64 0
		.amdhsa_float_denorm_mode_32 3
		.amdhsa_float_denorm_mode_16_64 3
		.amdhsa_dx10_clamp 1
		.amdhsa_ieee_mode 1
		.amdhsa_fp16_overflow 0
		.amdhsa_tg_split 0
		.amdhsa_exception_fp_ieee_invalid_op 0
		.amdhsa_exception_fp_denorm_src 0
		.amdhsa_exception_fp_ieee_div_zero 0
		.amdhsa_exception_fp_ieee_overflow 0
		.amdhsa_exception_fp_ieee_underflow 0
		.amdhsa_exception_fp_ieee_inexact 0
		.amdhsa_exception_int_div_zero 0
	.end_amdhsa_kernel
	.section	.text._ZN7rocprim17ROCPRIM_400000_NS6detail17trampoline_kernelINS0_14default_configENS1_38merge_sort_block_merge_config_selectorIlNS0_10empty_typeEEEZZNS1_27merge_sort_block_merge_implIS3_PlPS5_mZN2at6native12_GLOBAL__N_124unique_dim_cuda_templateImEESt5tupleIJNSA_6TensorESF_SF_EERKSF_lbbbEUlllE_EE10hipError_tT0_T1_T2_jT3_P12ihipStream_tbPNSt15iterator_traitsISL_E10value_typeEPNSR_ISM_E10value_typeEPSN_NS1_7vsmem_tEENKUlT_SL_SM_SN_E_clIS8_S8_S9_S9_EESK_S10_SL_SM_SN_EUlS10_E1_NS1_11comp_targetILNS1_3genE10ELNS1_11target_archE1201ELNS1_3gpuE5ELNS1_3repE0EEENS1_36merge_oddeven_config_static_selectorELNS0_4arch9wavefront6targetE1EEEvSM_,"axG",@progbits,_ZN7rocprim17ROCPRIM_400000_NS6detail17trampoline_kernelINS0_14default_configENS1_38merge_sort_block_merge_config_selectorIlNS0_10empty_typeEEEZZNS1_27merge_sort_block_merge_implIS3_PlPS5_mZN2at6native12_GLOBAL__N_124unique_dim_cuda_templateImEESt5tupleIJNSA_6TensorESF_SF_EERKSF_lbbbEUlllE_EE10hipError_tT0_T1_T2_jT3_P12ihipStream_tbPNSt15iterator_traitsISL_E10value_typeEPNSR_ISM_E10value_typeEPSN_NS1_7vsmem_tEENKUlT_SL_SM_SN_E_clIS8_S8_S9_S9_EESK_S10_SL_SM_SN_EUlS10_E1_NS1_11comp_targetILNS1_3genE10ELNS1_11target_archE1201ELNS1_3gpuE5ELNS1_3repE0EEENS1_36merge_oddeven_config_static_selectorELNS0_4arch9wavefront6targetE1EEEvSM_,comdat
.Lfunc_end1631:
	.size	_ZN7rocprim17ROCPRIM_400000_NS6detail17trampoline_kernelINS0_14default_configENS1_38merge_sort_block_merge_config_selectorIlNS0_10empty_typeEEEZZNS1_27merge_sort_block_merge_implIS3_PlPS5_mZN2at6native12_GLOBAL__N_124unique_dim_cuda_templateImEESt5tupleIJNSA_6TensorESF_SF_EERKSF_lbbbEUlllE_EE10hipError_tT0_T1_T2_jT3_P12ihipStream_tbPNSt15iterator_traitsISL_E10value_typeEPNSR_ISM_E10value_typeEPSN_NS1_7vsmem_tEENKUlT_SL_SM_SN_E_clIS8_S8_S9_S9_EESK_S10_SL_SM_SN_EUlS10_E1_NS1_11comp_targetILNS1_3genE10ELNS1_11target_archE1201ELNS1_3gpuE5ELNS1_3repE0EEENS1_36merge_oddeven_config_static_selectorELNS0_4arch9wavefront6targetE1EEEvSM_, .Lfunc_end1631-_ZN7rocprim17ROCPRIM_400000_NS6detail17trampoline_kernelINS0_14default_configENS1_38merge_sort_block_merge_config_selectorIlNS0_10empty_typeEEEZZNS1_27merge_sort_block_merge_implIS3_PlPS5_mZN2at6native12_GLOBAL__N_124unique_dim_cuda_templateImEESt5tupleIJNSA_6TensorESF_SF_EERKSF_lbbbEUlllE_EE10hipError_tT0_T1_T2_jT3_P12ihipStream_tbPNSt15iterator_traitsISL_E10value_typeEPNSR_ISM_E10value_typeEPSN_NS1_7vsmem_tEENKUlT_SL_SM_SN_E_clIS8_S8_S9_S9_EESK_S10_SL_SM_SN_EUlS10_E1_NS1_11comp_targetILNS1_3genE10ELNS1_11target_archE1201ELNS1_3gpuE5ELNS1_3repE0EEENS1_36merge_oddeven_config_static_selectorELNS0_4arch9wavefront6targetE1EEEvSM_
                                        ; -- End function
	.set _ZN7rocprim17ROCPRIM_400000_NS6detail17trampoline_kernelINS0_14default_configENS1_38merge_sort_block_merge_config_selectorIlNS0_10empty_typeEEEZZNS1_27merge_sort_block_merge_implIS3_PlPS5_mZN2at6native12_GLOBAL__N_124unique_dim_cuda_templateImEESt5tupleIJNSA_6TensorESF_SF_EERKSF_lbbbEUlllE_EE10hipError_tT0_T1_T2_jT3_P12ihipStream_tbPNSt15iterator_traitsISL_E10value_typeEPNSR_ISM_E10value_typeEPSN_NS1_7vsmem_tEENKUlT_SL_SM_SN_E_clIS8_S8_S9_S9_EESK_S10_SL_SM_SN_EUlS10_E1_NS1_11comp_targetILNS1_3genE10ELNS1_11target_archE1201ELNS1_3gpuE5ELNS1_3repE0EEENS1_36merge_oddeven_config_static_selectorELNS0_4arch9wavefront6targetE1EEEvSM_.num_vgpr, 0
	.set _ZN7rocprim17ROCPRIM_400000_NS6detail17trampoline_kernelINS0_14default_configENS1_38merge_sort_block_merge_config_selectorIlNS0_10empty_typeEEEZZNS1_27merge_sort_block_merge_implIS3_PlPS5_mZN2at6native12_GLOBAL__N_124unique_dim_cuda_templateImEESt5tupleIJNSA_6TensorESF_SF_EERKSF_lbbbEUlllE_EE10hipError_tT0_T1_T2_jT3_P12ihipStream_tbPNSt15iterator_traitsISL_E10value_typeEPNSR_ISM_E10value_typeEPSN_NS1_7vsmem_tEENKUlT_SL_SM_SN_E_clIS8_S8_S9_S9_EESK_S10_SL_SM_SN_EUlS10_E1_NS1_11comp_targetILNS1_3genE10ELNS1_11target_archE1201ELNS1_3gpuE5ELNS1_3repE0EEENS1_36merge_oddeven_config_static_selectorELNS0_4arch9wavefront6targetE1EEEvSM_.num_agpr, 0
	.set _ZN7rocprim17ROCPRIM_400000_NS6detail17trampoline_kernelINS0_14default_configENS1_38merge_sort_block_merge_config_selectorIlNS0_10empty_typeEEEZZNS1_27merge_sort_block_merge_implIS3_PlPS5_mZN2at6native12_GLOBAL__N_124unique_dim_cuda_templateImEESt5tupleIJNSA_6TensorESF_SF_EERKSF_lbbbEUlllE_EE10hipError_tT0_T1_T2_jT3_P12ihipStream_tbPNSt15iterator_traitsISL_E10value_typeEPNSR_ISM_E10value_typeEPSN_NS1_7vsmem_tEENKUlT_SL_SM_SN_E_clIS8_S8_S9_S9_EESK_S10_SL_SM_SN_EUlS10_E1_NS1_11comp_targetILNS1_3genE10ELNS1_11target_archE1201ELNS1_3gpuE5ELNS1_3repE0EEENS1_36merge_oddeven_config_static_selectorELNS0_4arch9wavefront6targetE1EEEvSM_.numbered_sgpr, 0
	.set _ZN7rocprim17ROCPRIM_400000_NS6detail17trampoline_kernelINS0_14default_configENS1_38merge_sort_block_merge_config_selectorIlNS0_10empty_typeEEEZZNS1_27merge_sort_block_merge_implIS3_PlPS5_mZN2at6native12_GLOBAL__N_124unique_dim_cuda_templateImEESt5tupleIJNSA_6TensorESF_SF_EERKSF_lbbbEUlllE_EE10hipError_tT0_T1_T2_jT3_P12ihipStream_tbPNSt15iterator_traitsISL_E10value_typeEPNSR_ISM_E10value_typeEPSN_NS1_7vsmem_tEENKUlT_SL_SM_SN_E_clIS8_S8_S9_S9_EESK_S10_SL_SM_SN_EUlS10_E1_NS1_11comp_targetILNS1_3genE10ELNS1_11target_archE1201ELNS1_3gpuE5ELNS1_3repE0EEENS1_36merge_oddeven_config_static_selectorELNS0_4arch9wavefront6targetE1EEEvSM_.num_named_barrier, 0
	.set _ZN7rocprim17ROCPRIM_400000_NS6detail17trampoline_kernelINS0_14default_configENS1_38merge_sort_block_merge_config_selectorIlNS0_10empty_typeEEEZZNS1_27merge_sort_block_merge_implIS3_PlPS5_mZN2at6native12_GLOBAL__N_124unique_dim_cuda_templateImEESt5tupleIJNSA_6TensorESF_SF_EERKSF_lbbbEUlllE_EE10hipError_tT0_T1_T2_jT3_P12ihipStream_tbPNSt15iterator_traitsISL_E10value_typeEPNSR_ISM_E10value_typeEPSN_NS1_7vsmem_tEENKUlT_SL_SM_SN_E_clIS8_S8_S9_S9_EESK_S10_SL_SM_SN_EUlS10_E1_NS1_11comp_targetILNS1_3genE10ELNS1_11target_archE1201ELNS1_3gpuE5ELNS1_3repE0EEENS1_36merge_oddeven_config_static_selectorELNS0_4arch9wavefront6targetE1EEEvSM_.private_seg_size, 0
	.set _ZN7rocprim17ROCPRIM_400000_NS6detail17trampoline_kernelINS0_14default_configENS1_38merge_sort_block_merge_config_selectorIlNS0_10empty_typeEEEZZNS1_27merge_sort_block_merge_implIS3_PlPS5_mZN2at6native12_GLOBAL__N_124unique_dim_cuda_templateImEESt5tupleIJNSA_6TensorESF_SF_EERKSF_lbbbEUlllE_EE10hipError_tT0_T1_T2_jT3_P12ihipStream_tbPNSt15iterator_traitsISL_E10value_typeEPNSR_ISM_E10value_typeEPSN_NS1_7vsmem_tEENKUlT_SL_SM_SN_E_clIS8_S8_S9_S9_EESK_S10_SL_SM_SN_EUlS10_E1_NS1_11comp_targetILNS1_3genE10ELNS1_11target_archE1201ELNS1_3gpuE5ELNS1_3repE0EEENS1_36merge_oddeven_config_static_selectorELNS0_4arch9wavefront6targetE1EEEvSM_.uses_vcc, 0
	.set _ZN7rocprim17ROCPRIM_400000_NS6detail17trampoline_kernelINS0_14default_configENS1_38merge_sort_block_merge_config_selectorIlNS0_10empty_typeEEEZZNS1_27merge_sort_block_merge_implIS3_PlPS5_mZN2at6native12_GLOBAL__N_124unique_dim_cuda_templateImEESt5tupleIJNSA_6TensorESF_SF_EERKSF_lbbbEUlllE_EE10hipError_tT0_T1_T2_jT3_P12ihipStream_tbPNSt15iterator_traitsISL_E10value_typeEPNSR_ISM_E10value_typeEPSN_NS1_7vsmem_tEENKUlT_SL_SM_SN_E_clIS8_S8_S9_S9_EESK_S10_SL_SM_SN_EUlS10_E1_NS1_11comp_targetILNS1_3genE10ELNS1_11target_archE1201ELNS1_3gpuE5ELNS1_3repE0EEENS1_36merge_oddeven_config_static_selectorELNS0_4arch9wavefront6targetE1EEEvSM_.uses_flat_scratch, 0
	.set _ZN7rocprim17ROCPRIM_400000_NS6detail17trampoline_kernelINS0_14default_configENS1_38merge_sort_block_merge_config_selectorIlNS0_10empty_typeEEEZZNS1_27merge_sort_block_merge_implIS3_PlPS5_mZN2at6native12_GLOBAL__N_124unique_dim_cuda_templateImEESt5tupleIJNSA_6TensorESF_SF_EERKSF_lbbbEUlllE_EE10hipError_tT0_T1_T2_jT3_P12ihipStream_tbPNSt15iterator_traitsISL_E10value_typeEPNSR_ISM_E10value_typeEPSN_NS1_7vsmem_tEENKUlT_SL_SM_SN_E_clIS8_S8_S9_S9_EESK_S10_SL_SM_SN_EUlS10_E1_NS1_11comp_targetILNS1_3genE10ELNS1_11target_archE1201ELNS1_3gpuE5ELNS1_3repE0EEENS1_36merge_oddeven_config_static_selectorELNS0_4arch9wavefront6targetE1EEEvSM_.has_dyn_sized_stack, 0
	.set _ZN7rocprim17ROCPRIM_400000_NS6detail17trampoline_kernelINS0_14default_configENS1_38merge_sort_block_merge_config_selectorIlNS0_10empty_typeEEEZZNS1_27merge_sort_block_merge_implIS3_PlPS5_mZN2at6native12_GLOBAL__N_124unique_dim_cuda_templateImEESt5tupleIJNSA_6TensorESF_SF_EERKSF_lbbbEUlllE_EE10hipError_tT0_T1_T2_jT3_P12ihipStream_tbPNSt15iterator_traitsISL_E10value_typeEPNSR_ISM_E10value_typeEPSN_NS1_7vsmem_tEENKUlT_SL_SM_SN_E_clIS8_S8_S9_S9_EESK_S10_SL_SM_SN_EUlS10_E1_NS1_11comp_targetILNS1_3genE10ELNS1_11target_archE1201ELNS1_3gpuE5ELNS1_3repE0EEENS1_36merge_oddeven_config_static_selectorELNS0_4arch9wavefront6targetE1EEEvSM_.has_recursion, 0
	.set _ZN7rocprim17ROCPRIM_400000_NS6detail17trampoline_kernelINS0_14default_configENS1_38merge_sort_block_merge_config_selectorIlNS0_10empty_typeEEEZZNS1_27merge_sort_block_merge_implIS3_PlPS5_mZN2at6native12_GLOBAL__N_124unique_dim_cuda_templateImEESt5tupleIJNSA_6TensorESF_SF_EERKSF_lbbbEUlllE_EE10hipError_tT0_T1_T2_jT3_P12ihipStream_tbPNSt15iterator_traitsISL_E10value_typeEPNSR_ISM_E10value_typeEPSN_NS1_7vsmem_tEENKUlT_SL_SM_SN_E_clIS8_S8_S9_S9_EESK_S10_SL_SM_SN_EUlS10_E1_NS1_11comp_targetILNS1_3genE10ELNS1_11target_archE1201ELNS1_3gpuE5ELNS1_3repE0EEENS1_36merge_oddeven_config_static_selectorELNS0_4arch9wavefront6targetE1EEEvSM_.has_indirect_call, 0
	.section	.AMDGPU.csdata,"",@progbits
; Kernel info:
; codeLenInByte = 0
; TotalNumSgprs: 6
; NumVgprs: 0
; NumAgprs: 0
; TotalNumVgprs: 0
; ScratchSize: 0
; MemoryBound: 0
; FloatMode: 240
; IeeeMode: 1
; LDSByteSize: 0 bytes/workgroup (compile time only)
; SGPRBlocks: 0
; VGPRBlocks: 0
; NumSGPRsForWavesPerEU: 6
; NumVGPRsForWavesPerEU: 1
; AccumOffset: 4
; Occupancy: 8
; WaveLimiterHint : 0
; COMPUTE_PGM_RSRC2:SCRATCH_EN: 0
; COMPUTE_PGM_RSRC2:USER_SGPR: 2
; COMPUTE_PGM_RSRC2:TRAP_HANDLER: 0
; COMPUTE_PGM_RSRC2:TGID_X_EN: 1
; COMPUTE_PGM_RSRC2:TGID_Y_EN: 0
; COMPUTE_PGM_RSRC2:TGID_Z_EN: 0
; COMPUTE_PGM_RSRC2:TIDIG_COMP_CNT: 0
; COMPUTE_PGM_RSRC3_GFX90A:ACCUM_OFFSET: 0
; COMPUTE_PGM_RSRC3_GFX90A:TG_SPLIT: 0
	.section	.text._ZN7rocprim17ROCPRIM_400000_NS6detail17trampoline_kernelINS0_14default_configENS1_38merge_sort_block_merge_config_selectorIlNS0_10empty_typeEEEZZNS1_27merge_sort_block_merge_implIS3_PlPS5_mZN2at6native12_GLOBAL__N_124unique_dim_cuda_templateImEESt5tupleIJNSA_6TensorESF_SF_EERKSF_lbbbEUlllE_EE10hipError_tT0_T1_T2_jT3_P12ihipStream_tbPNSt15iterator_traitsISL_E10value_typeEPNSR_ISM_E10value_typeEPSN_NS1_7vsmem_tEENKUlT_SL_SM_SN_E_clIS8_S8_S9_S9_EESK_S10_SL_SM_SN_EUlS10_E1_NS1_11comp_targetILNS1_3genE5ELNS1_11target_archE942ELNS1_3gpuE9ELNS1_3repE0EEENS1_36merge_oddeven_config_static_selectorELNS0_4arch9wavefront6targetE1EEEvSM_,"axG",@progbits,_ZN7rocprim17ROCPRIM_400000_NS6detail17trampoline_kernelINS0_14default_configENS1_38merge_sort_block_merge_config_selectorIlNS0_10empty_typeEEEZZNS1_27merge_sort_block_merge_implIS3_PlPS5_mZN2at6native12_GLOBAL__N_124unique_dim_cuda_templateImEESt5tupleIJNSA_6TensorESF_SF_EERKSF_lbbbEUlllE_EE10hipError_tT0_T1_T2_jT3_P12ihipStream_tbPNSt15iterator_traitsISL_E10value_typeEPNSR_ISM_E10value_typeEPSN_NS1_7vsmem_tEENKUlT_SL_SM_SN_E_clIS8_S8_S9_S9_EESK_S10_SL_SM_SN_EUlS10_E1_NS1_11comp_targetILNS1_3genE5ELNS1_11target_archE942ELNS1_3gpuE9ELNS1_3repE0EEENS1_36merge_oddeven_config_static_selectorELNS0_4arch9wavefront6targetE1EEEvSM_,comdat
	.globl	_ZN7rocprim17ROCPRIM_400000_NS6detail17trampoline_kernelINS0_14default_configENS1_38merge_sort_block_merge_config_selectorIlNS0_10empty_typeEEEZZNS1_27merge_sort_block_merge_implIS3_PlPS5_mZN2at6native12_GLOBAL__N_124unique_dim_cuda_templateImEESt5tupleIJNSA_6TensorESF_SF_EERKSF_lbbbEUlllE_EE10hipError_tT0_T1_T2_jT3_P12ihipStream_tbPNSt15iterator_traitsISL_E10value_typeEPNSR_ISM_E10value_typeEPSN_NS1_7vsmem_tEENKUlT_SL_SM_SN_E_clIS8_S8_S9_S9_EESK_S10_SL_SM_SN_EUlS10_E1_NS1_11comp_targetILNS1_3genE5ELNS1_11target_archE942ELNS1_3gpuE9ELNS1_3repE0EEENS1_36merge_oddeven_config_static_selectorELNS0_4arch9wavefront6targetE1EEEvSM_ ; -- Begin function _ZN7rocprim17ROCPRIM_400000_NS6detail17trampoline_kernelINS0_14default_configENS1_38merge_sort_block_merge_config_selectorIlNS0_10empty_typeEEEZZNS1_27merge_sort_block_merge_implIS3_PlPS5_mZN2at6native12_GLOBAL__N_124unique_dim_cuda_templateImEESt5tupleIJNSA_6TensorESF_SF_EERKSF_lbbbEUlllE_EE10hipError_tT0_T1_T2_jT3_P12ihipStream_tbPNSt15iterator_traitsISL_E10value_typeEPNSR_ISM_E10value_typeEPSN_NS1_7vsmem_tEENKUlT_SL_SM_SN_E_clIS8_S8_S9_S9_EESK_S10_SL_SM_SN_EUlS10_E1_NS1_11comp_targetILNS1_3genE5ELNS1_11target_archE942ELNS1_3gpuE9ELNS1_3repE0EEENS1_36merge_oddeven_config_static_selectorELNS0_4arch9wavefront6targetE1EEEvSM_
	.p2align	8
	.type	_ZN7rocprim17ROCPRIM_400000_NS6detail17trampoline_kernelINS0_14default_configENS1_38merge_sort_block_merge_config_selectorIlNS0_10empty_typeEEEZZNS1_27merge_sort_block_merge_implIS3_PlPS5_mZN2at6native12_GLOBAL__N_124unique_dim_cuda_templateImEESt5tupleIJNSA_6TensorESF_SF_EERKSF_lbbbEUlllE_EE10hipError_tT0_T1_T2_jT3_P12ihipStream_tbPNSt15iterator_traitsISL_E10value_typeEPNSR_ISM_E10value_typeEPSN_NS1_7vsmem_tEENKUlT_SL_SM_SN_E_clIS8_S8_S9_S9_EESK_S10_SL_SM_SN_EUlS10_E1_NS1_11comp_targetILNS1_3genE5ELNS1_11target_archE942ELNS1_3gpuE9ELNS1_3repE0EEENS1_36merge_oddeven_config_static_selectorELNS0_4arch9wavefront6targetE1EEEvSM_,@function
_ZN7rocprim17ROCPRIM_400000_NS6detail17trampoline_kernelINS0_14default_configENS1_38merge_sort_block_merge_config_selectorIlNS0_10empty_typeEEEZZNS1_27merge_sort_block_merge_implIS3_PlPS5_mZN2at6native12_GLOBAL__N_124unique_dim_cuda_templateImEESt5tupleIJNSA_6TensorESF_SF_EERKSF_lbbbEUlllE_EE10hipError_tT0_T1_T2_jT3_P12ihipStream_tbPNSt15iterator_traitsISL_E10value_typeEPNSR_ISM_E10value_typeEPSN_NS1_7vsmem_tEENKUlT_SL_SM_SN_E_clIS8_S8_S9_S9_EESK_S10_SL_SM_SN_EUlS10_E1_NS1_11comp_targetILNS1_3genE5ELNS1_11target_archE942ELNS1_3gpuE9ELNS1_3repE0EEENS1_36merge_oddeven_config_static_selectorELNS0_4arch9wavefront6targetE1EEEvSM_: ; @_ZN7rocprim17ROCPRIM_400000_NS6detail17trampoline_kernelINS0_14default_configENS1_38merge_sort_block_merge_config_selectorIlNS0_10empty_typeEEEZZNS1_27merge_sort_block_merge_implIS3_PlPS5_mZN2at6native12_GLOBAL__N_124unique_dim_cuda_templateImEESt5tupleIJNSA_6TensorESF_SF_EERKSF_lbbbEUlllE_EE10hipError_tT0_T1_T2_jT3_P12ihipStream_tbPNSt15iterator_traitsISL_E10value_typeEPNSR_ISM_E10value_typeEPSN_NS1_7vsmem_tEENKUlT_SL_SM_SN_E_clIS8_S8_S9_S9_EESK_S10_SL_SM_SN_EUlS10_E1_NS1_11comp_targetILNS1_3genE5ELNS1_11target_archE942ELNS1_3gpuE9ELNS1_3repE0EEENS1_36merge_oddeven_config_static_selectorELNS0_4arch9wavefront6targetE1EEEvSM_
; %bb.0:
	.section	.rodata,"a",@progbits
	.p2align	6, 0x0
	.amdhsa_kernel _ZN7rocprim17ROCPRIM_400000_NS6detail17trampoline_kernelINS0_14default_configENS1_38merge_sort_block_merge_config_selectorIlNS0_10empty_typeEEEZZNS1_27merge_sort_block_merge_implIS3_PlPS5_mZN2at6native12_GLOBAL__N_124unique_dim_cuda_templateImEESt5tupleIJNSA_6TensorESF_SF_EERKSF_lbbbEUlllE_EE10hipError_tT0_T1_T2_jT3_P12ihipStream_tbPNSt15iterator_traitsISL_E10value_typeEPNSR_ISM_E10value_typeEPSN_NS1_7vsmem_tEENKUlT_SL_SM_SN_E_clIS8_S8_S9_S9_EESK_S10_SL_SM_SN_EUlS10_E1_NS1_11comp_targetILNS1_3genE5ELNS1_11target_archE942ELNS1_3gpuE9ELNS1_3repE0EEENS1_36merge_oddeven_config_static_selectorELNS0_4arch9wavefront6targetE1EEEvSM_
		.amdhsa_group_segment_fixed_size 0
		.amdhsa_private_segment_fixed_size 0
		.amdhsa_kernarg_size 64
		.amdhsa_user_sgpr_count 2
		.amdhsa_user_sgpr_dispatch_ptr 0
		.amdhsa_user_sgpr_queue_ptr 0
		.amdhsa_user_sgpr_kernarg_segment_ptr 1
		.amdhsa_user_sgpr_dispatch_id 0
		.amdhsa_user_sgpr_kernarg_preload_length 0
		.amdhsa_user_sgpr_kernarg_preload_offset 0
		.amdhsa_user_sgpr_private_segment_size 0
		.amdhsa_uses_dynamic_stack 0
		.amdhsa_enable_private_segment 0
		.amdhsa_system_sgpr_workgroup_id_x 1
		.amdhsa_system_sgpr_workgroup_id_y 0
		.amdhsa_system_sgpr_workgroup_id_z 0
		.amdhsa_system_sgpr_workgroup_info 0
		.amdhsa_system_vgpr_workitem_id 0
		.amdhsa_next_free_vgpr 1
		.amdhsa_next_free_sgpr 0
		.amdhsa_accum_offset 4
		.amdhsa_reserve_vcc 0
		.amdhsa_float_round_mode_32 0
		.amdhsa_float_round_mode_16_64 0
		.amdhsa_float_denorm_mode_32 3
		.amdhsa_float_denorm_mode_16_64 3
		.amdhsa_dx10_clamp 1
		.amdhsa_ieee_mode 1
		.amdhsa_fp16_overflow 0
		.amdhsa_tg_split 0
		.amdhsa_exception_fp_ieee_invalid_op 0
		.amdhsa_exception_fp_denorm_src 0
		.amdhsa_exception_fp_ieee_div_zero 0
		.amdhsa_exception_fp_ieee_overflow 0
		.amdhsa_exception_fp_ieee_underflow 0
		.amdhsa_exception_fp_ieee_inexact 0
		.amdhsa_exception_int_div_zero 0
	.end_amdhsa_kernel
	.section	.text._ZN7rocprim17ROCPRIM_400000_NS6detail17trampoline_kernelINS0_14default_configENS1_38merge_sort_block_merge_config_selectorIlNS0_10empty_typeEEEZZNS1_27merge_sort_block_merge_implIS3_PlPS5_mZN2at6native12_GLOBAL__N_124unique_dim_cuda_templateImEESt5tupleIJNSA_6TensorESF_SF_EERKSF_lbbbEUlllE_EE10hipError_tT0_T1_T2_jT3_P12ihipStream_tbPNSt15iterator_traitsISL_E10value_typeEPNSR_ISM_E10value_typeEPSN_NS1_7vsmem_tEENKUlT_SL_SM_SN_E_clIS8_S8_S9_S9_EESK_S10_SL_SM_SN_EUlS10_E1_NS1_11comp_targetILNS1_3genE5ELNS1_11target_archE942ELNS1_3gpuE9ELNS1_3repE0EEENS1_36merge_oddeven_config_static_selectorELNS0_4arch9wavefront6targetE1EEEvSM_,"axG",@progbits,_ZN7rocprim17ROCPRIM_400000_NS6detail17trampoline_kernelINS0_14default_configENS1_38merge_sort_block_merge_config_selectorIlNS0_10empty_typeEEEZZNS1_27merge_sort_block_merge_implIS3_PlPS5_mZN2at6native12_GLOBAL__N_124unique_dim_cuda_templateImEESt5tupleIJNSA_6TensorESF_SF_EERKSF_lbbbEUlllE_EE10hipError_tT0_T1_T2_jT3_P12ihipStream_tbPNSt15iterator_traitsISL_E10value_typeEPNSR_ISM_E10value_typeEPSN_NS1_7vsmem_tEENKUlT_SL_SM_SN_E_clIS8_S8_S9_S9_EESK_S10_SL_SM_SN_EUlS10_E1_NS1_11comp_targetILNS1_3genE5ELNS1_11target_archE942ELNS1_3gpuE9ELNS1_3repE0EEENS1_36merge_oddeven_config_static_selectorELNS0_4arch9wavefront6targetE1EEEvSM_,comdat
.Lfunc_end1632:
	.size	_ZN7rocprim17ROCPRIM_400000_NS6detail17trampoline_kernelINS0_14default_configENS1_38merge_sort_block_merge_config_selectorIlNS0_10empty_typeEEEZZNS1_27merge_sort_block_merge_implIS3_PlPS5_mZN2at6native12_GLOBAL__N_124unique_dim_cuda_templateImEESt5tupleIJNSA_6TensorESF_SF_EERKSF_lbbbEUlllE_EE10hipError_tT0_T1_T2_jT3_P12ihipStream_tbPNSt15iterator_traitsISL_E10value_typeEPNSR_ISM_E10value_typeEPSN_NS1_7vsmem_tEENKUlT_SL_SM_SN_E_clIS8_S8_S9_S9_EESK_S10_SL_SM_SN_EUlS10_E1_NS1_11comp_targetILNS1_3genE5ELNS1_11target_archE942ELNS1_3gpuE9ELNS1_3repE0EEENS1_36merge_oddeven_config_static_selectorELNS0_4arch9wavefront6targetE1EEEvSM_, .Lfunc_end1632-_ZN7rocprim17ROCPRIM_400000_NS6detail17trampoline_kernelINS0_14default_configENS1_38merge_sort_block_merge_config_selectorIlNS0_10empty_typeEEEZZNS1_27merge_sort_block_merge_implIS3_PlPS5_mZN2at6native12_GLOBAL__N_124unique_dim_cuda_templateImEESt5tupleIJNSA_6TensorESF_SF_EERKSF_lbbbEUlllE_EE10hipError_tT0_T1_T2_jT3_P12ihipStream_tbPNSt15iterator_traitsISL_E10value_typeEPNSR_ISM_E10value_typeEPSN_NS1_7vsmem_tEENKUlT_SL_SM_SN_E_clIS8_S8_S9_S9_EESK_S10_SL_SM_SN_EUlS10_E1_NS1_11comp_targetILNS1_3genE5ELNS1_11target_archE942ELNS1_3gpuE9ELNS1_3repE0EEENS1_36merge_oddeven_config_static_selectorELNS0_4arch9wavefront6targetE1EEEvSM_
                                        ; -- End function
	.set _ZN7rocprim17ROCPRIM_400000_NS6detail17trampoline_kernelINS0_14default_configENS1_38merge_sort_block_merge_config_selectorIlNS0_10empty_typeEEEZZNS1_27merge_sort_block_merge_implIS3_PlPS5_mZN2at6native12_GLOBAL__N_124unique_dim_cuda_templateImEESt5tupleIJNSA_6TensorESF_SF_EERKSF_lbbbEUlllE_EE10hipError_tT0_T1_T2_jT3_P12ihipStream_tbPNSt15iterator_traitsISL_E10value_typeEPNSR_ISM_E10value_typeEPSN_NS1_7vsmem_tEENKUlT_SL_SM_SN_E_clIS8_S8_S9_S9_EESK_S10_SL_SM_SN_EUlS10_E1_NS1_11comp_targetILNS1_3genE5ELNS1_11target_archE942ELNS1_3gpuE9ELNS1_3repE0EEENS1_36merge_oddeven_config_static_selectorELNS0_4arch9wavefront6targetE1EEEvSM_.num_vgpr, 0
	.set _ZN7rocprim17ROCPRIM_400000_NS6detail17trampoline_kernelINS0_14default_configENS1_38merge_sort_block_merge_config_selectorIlNS0_10empty_typeEEEZZNS1_27merge_sort_block_merge_implIS3_PlPS5_mZN2at6native12_GLOBAL__N_124unique_dim_cuda_templateImEESt5tupleIJNSA_6TensorESF_SF_EERKSF_lbbbEUlllE_EE10hipError_tT0_T1_T2_jT3_P12ihipStream_tbPNSt15iterator_traitsISL_E10value_typeEPNSR_ISM_E10value_typeEPSN_NS1_7vsmem_tEENKUlT_SL_SM_SN_E_clIS8_S8_S9_S9_EESK_S10_SL_SM_SN_EUlS10_E1_NS1_11comp_targetILNS1_3genE5ELNS1_11target_archE942ELNS1_3gpuE9ELNS1_3repE0EEENS1_36merge_oddeven_config_static_selectorELNS0_4arch9wavefront6targetE1EEEvSM_.num_agpr, 0
	.set _ZN7rocprim17ROCPRIM_400000_NS6detail17trampoline_kernelINS0_14default_configENS1_38merge_sort_block_merge_config_selectorIlNS0_10empty_typeEEEZZNS1_27merge_sort_block_merge_implIS3_PlPS5_mZN2at6native12_GLOBAL__N_124unique_dim_cuda_templateImEESt5tupleIJNSA_6TensorESF_SF_EERKSF_lbbbEUlllE_EE10hipError_tT0_T1_T2_jT3_P12ihipStream_tbPNSt15iterator_traitsISL_E10value_typeEPNSR_ISM_E10value_typeEPSN_NS1_7vsmem_tEENKUlT_SL_SM_SN_E_clIS8_S8_S9_S9_EESK_S10_SL_SM_SN_EUlS10_E1_NS1_11comp_targetILNS1_3genE5ELNS1_11target_archE942ELNS1_3gpuE9ELNS1_3repE0EEENS1_36merge_oddeven_config_static_selectorELNS0_4arch9wavefront6targetE1EEEvSM_.numbered_sgpr, 0
	.set _ZN7rocprim17ROCPRIM_400000_NS6detail17trampoline_kernelINS0_14default_configENS1_38merge_sort_block_merge_config_selectorIlNS0_10empty_typeEEEZZNS1_27merge_sort_block_merge_implIS3_PlPS5_mZN2at6native12_GLOBAL__N_124unique_dim_cuda_templateImEESt5tupleIJNSA_6TensorESF_SF_EERKSF_lbbbEUlllE_EE10hipError_tT0_T1_T2_jT3_P12ihipStream_tbPNSt15iterator_traitsISL_E10value_typeEPNSR_ISM_E10value_typeEPSN_NS1_7vsmem_tEENKUlT_SL_SM_SN_E_clIS8_S8_S9_S9_EESK_S10_SL_SM_SN_EUlS10_E1_NS1_11comp_targetILNS1_3genE5ELNS1_11target_archE942ELNS1_3gpuE9ELNS1_3repE0EEENS1_36merge_oddeven_config_static_selectorELNS0_4arch9wavefront6targetE1EEEvSM_.num_named_barrier, 0
	.set _ZN7rocprim17ROCPRIM_400000_NS6detail17trampoline_kernelINS0_14default_configENS1_38merge_sort_block_merge_config_selectorIlNS0_10empty_typeEEEZZNS1_27merge_sort_block_merge_implIS3_PlPS5_mZN2at6native12_GLOBAL__N_124unique_dim_cuda_templateImEESt5tupleIJNSA_6TensorESF_SF_EERKSF_lbbbEUlllE_EE10hipError_tT0_T1_T2_jT3_P12ihipStream_tbPNSt15iterator_traitsISL_E10value_typeEPNSR_ISM_E10value_typeEPSN_NS1_7vsmem_tEENKUlT_SL_SM_SN_E_clIS8_S8_S9_S9_EESK_S10_SL_SM_SN_EUlS10_E1_NS1_11comp_targetILNS1_3genE5ELNS1_11target_archE942ELNS1_3gpuE9ELNS1_3repE0EEENS1_36merge_oddeven_config_static_selectorELNS0_4arch9wavefront6targetE1EEEvSM_.private_seg_size, 0
	.set _ZN7rocprim17ROCPRIM_400000_NS6detail17trampoline_kernelINS0_14default_configENS1_38merge_sort_block_merge_config_selectorIlNS0_10empty_typeEEEZZNS1_27merge_sort_block_merge_implIS3_PlPS5_mZN2at6native12_GLOBAL__N_124unique_dim_cuda_templateImEESt5tupleIJNSA_6TensorESF_SF_EERKSF_lbbbEUlllE_EE10hipError_tT0_T1_T2_jT3_P12ihipStream_tbPNSt15iterator_traitsISL_E10value_typeEPNSR_ISM_E10value_typeEPSN_NS1_7vsmem_tEENKUlT_SL_SM_SN_E_clIS8_S8_S9_S9_EESK_S10_SL_SM_SN_EUlS10_E1_NS1_11comp_targetILNS1_3genE5ELNS1_11target_archE942ELNS1_3gpuE9ELNS1_3repE0EEENS1_36merge_oddeven_config_static_selectorELNS0_4arch9wavefront6targetE1EEEvSM_.uses_vcc, 0
	.set _ZN7rocprim17ROCPRIM_400000_NS6detail17trampoline_kernelINS0_14default_configENS1_38merge_sort_block_merge_config_selectorIlNS0_10empty_typeEEEZZNS1_27merge_sort_block_merge_implIS3_PlPS5_mZN2at6native12_GLOBAL__N_124unique_dim_cuda_templateImEESt5tupleIJNSA_6TensorESF_SF_EERKSF_lbbbEUlllE_EE10hipError_tT0_T1_T2_jT3_P12ihipStream_tbPNSt15iterator_traitsISL_E10value_typeEPNSR_ISM_E10value_typeEPSN_NS1_7vsmem_tEENKUlT_SL_SM_SN_E_clIS8_S8_S9_S9_EESK_S10_SL_SM_SN_EUlS10_E1_NS1_11comp_targetILNS1_3genE5ELNS1_11target_archE942ELNS1_3gpuE9ELNS1_3repE0EEENS1_36merge_oddeven_config_static_selectorELNS0_4arch9wavefront6targetE1EEEvSM_.uses_flat_scratch, 0
	.set _ZN7rocprim17ROCPRIM_400000_NS6detail17trampoline_kernelINS0_14default_configENS1_38merge_sort_block_merge_config_selectorIlNS0_10empty_typeEEEZZNS1_27merge_sort_block_merge_implIS3_PlPS5_mZN2at6native12_GLOBAL__N_124unique_dim_cuda_templateImEESt5tupleIJNSA_6TensorESF_SF_EERKSF_lbbbEUlllE_EE10hipError_tT0_T1_T2_jT3_P12ihipStream_tbPNSt15iterator_traitsISL_E10value_typeEPNSR_ISM_E10value_typeEPSN_NS1_7vsmem_tEENKUlT_SL_SM_SN_E_clIS8_S8_S9_S9_EESK_S10_SL_SM_SN_EUlS10_E1_NS1_11comp_targetILNS1_3genE5ELNS1_11target_archE942ELNS1_3gpuE9ELNS1_3repE0EEENS1_36merge_oddeven_config_static_selectorELNS0_4arch9wavefront6targetE1EEEvSM_.has_dyn_sized_stack, 0
	.set _ZN7rocprim17ROCPRIM_400000_NS6detail17trampoline_kernelINS0_14default_configENS1_38merge_sort_block_merge_config_selectorIlNS0_10empty_typeEEEZZNS1_27merge_sort_block_merge_implIS3_PlPS5_mZN2at6native12_GLOBAL__N_124unique_dim_cuda_templateImEESt5tupleIJNSA_6TensorESF_SF_EERKSF_lbbbEUlllE_EE10hipError_tT0_T1_T2_jT3_P12ihipStream_tbPNSt15iterator_traitsISL_E10value_typeEPNSR_ISM_E10value_typeEPSN_NS1_7vsmem_tEENKUlT_SL_SM_SN_E_clIS8_S8_S9_S9_EESK_S10_SL_SM_SN_EUlS10_E1_NS1_11comp_targetILNS1_3genE5ELNS1_11target_archE942ELNS1_3gpuE9ELNS1_3repE0EEENS1_36merge_oddeven_config_static_selectorELNS0_4arch9wavefront6targetE1EEEvSM_.has_recursion, 0
	.set _ZN7rocprim17ROCPRIM_400000_NS6detail17trampoline_kernelINS0_14default_configENS1_38merge_sort_block_merge_config_selectorIlNS0_10empty_typeEEEZZNS1_27merge_sort_block_merge_implIS3_PlPS5_mZN2at6native12_GLOBAL__N_124unique_dim_cuda_templateImEESt5tupleIJNSA_6TensorESF_SF_EERKSF_lbbbEUlllE_EE10hipError_tT0_T1_T2_jT3_P12ihipStream_tbPNSt15iterator_traitsISL_E10value_typeEPNSR_ISM_E10value_typeEPSN_NS1_7vsmem_tEENKUlT_SL_SM_SN_E_clIS8_S8_S9_S9_EESK_S10_SL_SM_SN_EUlS10_E1_NS1_11comp_targetILNS1_3genE5ELNS1_11target_archE942ELNS1_3gpuE9ELNS1_3repE0EEENS1_36merge_oddeven_config_static_selectorELNS0_4arch9wavefront6targetE1EEEvSM_.has_indirect_call, 0
	.section	.AMDGPU.csdata,"",@progbits
; Kernel info:
; codeLenInByte = 0
; TotalNumSgprs: 6
; NumVgprs: 0
; NumAgprs: 0
; TotalNumVgprs: 0
; ScratchSize: 0
; MemoryBound: 0
; FloatMode: 240
; IeeeMode: 1
; LDSByteSize: 0 bytes/workgroup (compile time only)
; SGPRBlocks: 0
; VGPRBlocks: 0
; NumSGPRsForWavesPerEU: 6
; NumVGPRsForWavesPerEU: 1
; AccumOffset: 4
; Occupancy: 8
; WaveLimiterHint : 0
; COMPUTE_PGM_RSRC2:SCRATCH_EN: 0
; COMPUTE_PGM_RSRC2:USER_SGPR: 2
; COMPUTE_PGM_RSRC2:TRAP_HANDLER: 0
; COMPUTE_PGM_RSRC2:TGID_X_EN: 1
; COMPUTE_PGM_RSRC2:TGID_Y_EN: 0
; COMPUTE_PGM_RSRC2:TGID_Z_EN: 0
; COMPUTE_PGM_RSRC2:TIDIG_COMP_CNT: 0
; COMPUTE_PGM_RSRC3_GFX90A:ACCUM_OFFSET: 0
; COMPUTE_PGM_RSRC3_GFX90A:TG_SPLIT: 0
	.section	.text._ZN7rocprim17ROCPRIM_400000_NS6detail17trampoline_kernelINS0_14default_configENS1_38merge_sort_block_merge_config_selectorIlNS0_10empty_typeEEEZZNS1_27merge_sort_block_merge_implIS3_PlPS5_mZN2at6native12_GLOBAL__N_124unique_dim_cuda_templateImEESt5tupleIJNSA_6TensorESF_SF_EERKSF_lbbbEUlllE_EE10hipError_tT0_T1_T2_jT3_P12ihipStream_tbPNSt15iterator_traitsISL_E10value_typeEPNSR_ISM_E10value_typeEPSN_NS1_7vsmem_tEENKUlT_SL_SM_SN_E_clIS8_S8_S9_S9_EESK_S10_SL_SM_SN_EUlS10_E1_NS1_11comp_targetILNS1_3genE4ELNS1_11target_archE910ELNS1_3gpuE8ELNS1_3repE0EEENS1_36merge_oddeven_config_static_selectorELNS0_4arch9wavefront6targetE1EEEvSM_,"axG",@progbits,_ZN7rocprim17ROCPRIM_400000_NS6detail17trampoline_kernelINS0_14default_configENS1_38merge_sort_block_merge_config_selectorIlNS0_10empty_typeEEEZZNS1_27merge_sort_block_merge_implIS3_PlPS5_mZN2at6native12_GLOBAL__N_124unique_dim_cuda_templateImEESt5tupleIJNSA_6TensorESF_SF_EERKSF_lbbbEUlllE_EE10hipError_tT0_T1_T2_jT3_P12ihipStream_tbPNSt15iterator_traitsISL_E10value_typeEPNSR_ISM_E10value_typeEPSN_NS1_7vsmem_tEENKUlT_SL_SM_SN_E_clIS8_S8_S9_S9_EESK_S10_SL_SM_SN_EUlS10_E1_NS1_11comp_targetILNS1_3genE4ELNS1_11target_archE910ELNS1_3gpuE8ELNS1_3repE0EEENS1_36merge_oddeven_config_static_selectorELNS0_4arch9wavefront6targetE1EEEvSM_,comdat
	.globl	_ZN7rocprim17ROCPRIM_400000_NS6detail17trampoline_kernelINS0_14default_configENS1_38merge_sort_block_merge_config_selectorIlNS0_10empty_typeEEEZZNS1_27merge_sort_block_merge_implIS3_PlPS5_mZN2at6native12_GLOBAL__N_124unique_dim_cuda_templateImEESt5tupleIJNSA_6TensorESF_SF_EERKSF_lbbbEUlllE_EE10hipError_tT0_T1_T2_jT3_P12ihipStream_tbPNSt15iterator_traitsISL_E10value_typeEPNSR_ISM_E10value_typeEPSN_NS1_7vsmem_tEENKUlT_SL_SM_SN_E_clIS8_S8_S9_S9_EESK_S10_SL_SM_SN_EUlS10_E1_NS1_11comp_targetILNS1_3genE4ELNS1_11target_archE910ELNS1_3gpuE8ELNS1_3repE0EEENS1_36merge_oddeven_config_static_selectorELNS0_4arch9wavefront6targetE1EEEvSM_ ; -- Begin function _ZN7rocprim17ROCPRIM_400000_NS6detail17trampoline_kernelINS0_14default_configENS1_38merge_sort_block_merge_config_selectorIlNS0_10empty_typeEEEZZNS1_27merge_sort_block_merge_implIS3_PlPS5_mZN2at6native12_GLOBAL__N_124unique_dim_cuda_templateImEESt5tupleIJNSA_6TensorESF_SF_EERKSF_lbbbEUlllE_EE10hipError_tT0_T1_T2_jT3_P12ihipStream_tbPNSt15iterator_traitsISL_E10value_typeEPNSR_ISM_E10value_typeEPSN_NS1_7vsmem_tEENKUlT_SL_SM_SN_E_clIS8_S8_S9_S9_EESK_S10_SL_SM_SN_EUlS10_E1_NS1_11comp_targetILNS1_3genE4ELNS1_11target_archE910ELNS1_3gpuE8ELNS1_3repE0EEENS1_36merge_oddeven_config_static_selectorELNS0_4arch9wavefront6targetE1EEEvSM_
	.p2align	8
	.type	_ZN7rocprim17ROCPRIM_400000_NS6detail17trampoline_kernelINS0_14default_configENS1_38merge_sort_block_merge_config_selectorIlNS0_10empty_typeEEEZZNS1_27merge_sort_block_merge_implIS3_PlPS5_mZN2at6native12_GLOBAL__N_124unique_dim_cuda_templateImEESt5tupleIJNSA_6TensorESF_SF_EERKSF_lbbbEUlllE_EE10hipError_tT0_T1_T2_jT3_P12ihipStream_tbPNSt15iterator_traitsISL_E10value_typeEPNSR_ISM_E10value_typeEPSN_NS1_7vsmem_tEENKUlT_SL_SM_SN_E_clIS8_S8_S9_S9_EESK_S10_SL_SM_SN_EUlS10_E1_NS1_11comp_targetILNS1_3genE4ELNS1_11target_archE910ELNS1_3gpuE8ELNS1_3repE0EEENS1_36merge_oddeven_config_static_selectorELNS0_4arch9wavefront6targetE1EEEvSM_,@function
_ZN7rocprim17ROCPRIM_400000_NS6detail17trampoline_kernelINS0_14default_configENS1_38merge_sort_block_merge_config_selectorIlNS0_10empty_typeEEEZZNS1_27merge_sort_block_merge_implIS3_PlPS5_mZN2at6native12_GLOBAL__N_124unique_dim_cuda_templateImEESt5tupleIJNSA_6TensorESF_SF_EERKSF_lbbbEUlllE_EE10hipError_tT0_T1_T2_jT3_P12ihipStream_tbPNSt15iterator_traitsISL_E10value_typeEPNSR_ISM_E10value_typeEPSN_NS1_7vsmem_tEENKUlT_SL_SM_SN_E_clIS8_S8_S9_S9_EESK_S10_SL_SM_SN_EUlS10_E1_NS1_11comp_targetILNS1_3genE4ELNS1_11target_archE910ELNS1_3gpuE8ELNS1_3repE0EEENS1_36merge_oddeven_config_static_selectorELNS0_4arch9wavefront6targetE1EEEvSM_: ; @_ZN7rocprim17ROCPRIM_400000_NS6detail17trampoline_kernelINS0_14default_configENS1_38merge_sort_block_merge_config_selectorIlNS0_10empty_typeEEEZZNS1_27merge_sort_block_merge_implIS3_PlPS5_mZN2at6native12_GLOBAL__N_124unique_dim_cuda_templateImEESt5tupleIJNSA_6TensorESF_SF_EERKSF_lbbbEUlllE_EE10hipError_tT0_T1_T2_jT3_P12ihipStream_tbPNSt15iterator_traitsISL_E10value_typeEPNSR_ISM_E10value_typeEPSN_NS1_7vsmem_tEENKUlT_SL_SM_SN_E_clIS8_S8_S9_S9_EESK_S10_SL_SM_SN_EUlS10_E1_NS1_11comp_targetILNS1_3genE4ELNS1_11target_archE910ELNS1_3gpuE8ELNS1_3repE0EEENS1_36merge_oddeven_config_static_selectorELNS0_4arch9wavefront6targetE1EEEvSM_
; %bb.0:
	.section	.rodata,"a",@progbits
	.p2align	6, 0x0
	.amdhsa_kernel _ZN7rocprim17ROCPRIM_400000_NS6detail17trampoline_kernelINS0_14default_configENS1_38merge_sort_block_merge_config_selectorIlNS0_10empty_typeEEEZZNS1_27merge_sort_block_merge_implIS3_PlPS5_mZN2at6native12_GLOBAL__N_124unique_dim_cuda_templateImEESt5tupleIJNSA_6TensorESF_SF_EERKSF_lbbbEUlllE_EE10hipError_tT0_T1_T2_jT3_P12ihipStream_tbPNSt15iterator_traitsISL_E10value_typeEPNSR_ISM_E10value_typeEPSN_NS1_7vsmem_tEENKUlT_SL_SM_SN_E_clIS8_S8_S9_S9_EESK_S10_SL_SM_SN_EUlS10_E1_NS1_11comp_targetILNS1_3genE4ELNS1_11target_archE910ELNS1_3gpuE8ELNS1_3repE0EEENS1_36merge_oddeven_config_static_selectorELNS0_4arch9wavefront6targetE1EEEvSM_
		.amdhsa_group_segment_fixed_size 0
		.amdhsa_private_segment_fixed_size 0
		.amdhsa_kernarg_size 64
		.amdhsa_user_sgpr_count 2
		.amdhsa_user_sgpr_dispatch_ptr 0
		.amdhsa_user_sgpr_queue_ptr 0
		.amdhsa_user_sgpr_kernarg_segment_ptr 1
		.amdhsa_user_sgpr_dispatch_id 0
		.amdhsa_user_sgpr_kernarg_preload_length 0
		.amdhsa_user_sgpr_kernarg_preload_offset 0
		.amdhsa_user_sgpr_private_segment_size 0
		.amdhsa_uses_dynamic_stack 0
		.amdhsa_enable_private_segment 0
		.amdhsa_system_sgpr_workgroup_id_x 1
		.amdhsa_system_sgpr_workgroup_id_y 0
		.amdhsa_system_sgpr_workgroup_id_z 0
		.amdhsa_system_sgpr_workgroup_info 0
		.amdhsa_system_vgpr_workitem_id 0
		.amdhsa_next_free_vgpr 1
		.amdhsa_next_free_sgpr 0
		.amdhsa_accum_offset 4
		.amdhsa_reserve_vcc 0
		.amdhsa_float_round_mode_32 0
		.amdhsa_float_round_mode_16_64 0
		.amdhsa_float_denorm_mode_32 3
		.amdhsa_float_denorm_mode_16_64 3
		.amdhsa_dx10_clamp 1
		.amdhsa_ieee_mode 1
		.amdhsa_fp16_overflow 0
		.amdhsa_tg_split 0
		.amdhsa_exception_fp_ieee_invalid_op 0
		.amdhsa_exception_fp_denorm_src 0
		.amdhsa_exception_fp_ieee_div_zero 0
		.amdhsa_exception_fp_ieee_overflow 0
		.amdhsa_exception_fp_ieee_underflow 0
		.amdhsa_exception_fp_ieee_inexact 0
		.amdhsa_exception_int_div_zero 0
	.end_amdhsa_kernel
	.section	.text._ZN7rocprim17ROCPRIM_400000_NS6detail17trampoline_kernelINS0_14default_configENS1_38merge_sort_block_merge_config_selectorIlNS0_10empty_typeEEEZZNS1_27merge_sort_block_merge_implIS3_PlPS5_mZN2at6native12_GLOBAL__N_124unique_dim_cuda_templateImEESt5tupleIJNSA_6TensorESF_SF_EERKSF_lbbbEUlllE_EE10hipError_tT0_T1_T2_jT3_P12ihipStream_tbPNSt15iterator_traitsISL_E10value_typeEPNSR_ISM_E10value_typeEPSN_NS1_7vsmem_tEENKUlT_SL_SM_SN_E_clIS8_S8_S9_S9_EESK_S10_SL_SM_SN_EUlS10_E1_NS1_11comp_targetILNS1_3genE4ELNS1_11target_archE910ELNS1_3gpuE8ELNS1_3repE0EEENS1_36merge_oddeven_config_static_selectorELNS0_4arch9wavefront6targetE1EEEvSM_,"axG",@progbits,_ZN7rocprim17ROCPRIM_400000_NS6detail17trampoline_kernelINS0_14default_configENS1_38merge_sort_block_merge_config_selectorIlNS0_10empty_typeEEEZZNS1_27merge_sort_block_merge_implIS3_PlPS5_mZN2at6native12_GLOBAL__N_124unique_dim_cuda_templateImEESt5tupleIJNSA_6TensorESF_SF_EERKSF_lbbbEUlllE_EE10hipError_tT0_T1_T2_jT3_P12ihipStream_tbPNSt15iterator_traitsISL_E10value_typeEPNSR_ISM_E10value_typeEPSN_NS1_7vsmem_tEENKUlT_SL_SM_SN_E_clIS8_S8_S9_S9_EESK_S10_SL_SM_SN_EUlS10_E1_NS1_11comp_targetILNS1_3genE4ELNS1_11target_archE910ELNS1_3gpuE8ELNS1_3repE0EEENS1_36merge_oddeven_config_static_selectorELNS0_4arch9wavefront6targetE1EEEvSM_,comdat
.Lfunc_end1633:
	.size	_ZN7rocprim17ROCPRIM_400000_NS6detail17trampoline_kernelINS0_14default_configENS1_38merge_sort_block_merge_config_selectorIlNS0_10empty_typeEEEZZNS1_27merge_sort_block_merge_implIS3_PlPS5_mZN2at6native12_GLOBAL__N_124unique_dim_cuda_templateImEESt5tupleIJNSA_6TensorESF_SF_EERKSF_lbbbEUlllE_EE10hipError_tT0_T1_T2_jT3_P12ihipStream_tbPNSt15iterator_traitsISL_E10value_typeEPNSR_ISM_E10value_typeEPSN_NS1_7vsmem_tEENKUlT_SL_SM_SN_E_clIS8_S8_S9_S9_EESK_S10_SL_SM_SN_EUlS10_E1_NS1_11comp_targetILNS1_3genE4ELNS1_11target_archE910ELNS1_3gpuE8ELNS1_3repE0EEENS1_36merge_oddeven_config_static_selectorELNS0_4arch9wavefront6targetE1EEEvSM_, .Lfunc_end1633-_ZN7rocprim17ROCPRIM_400000_NS6detail17trampoline_kernelINS0_14default_configENS1_38merge_sort_block_merge_config_selectorIlNS0_10empty_typeEEEZZNS1_27merge_sort_block_merge_implIS3_PlPS5_mZN2at6native12_GLOBAL__N_124unique_dim_cuda_templateImEESt5tupleIJNSA_6TensorESF_SF_EERKSF_lbbbEUlllE_EE10hipError_tT0_T1_T2_jT3_P12ihipStream_tbPNSt15iterator_traitsISL_E10value_typeEPNSR_ISM_E10value_typeEPSN_NS1_7vsmem_tEENKUlT_SL_SM_SN_E_clIS8_S8_S9_S9_EESK_S10_SL_SM_SN_EUlS10_E1_NS1_11comp_targetILNS1_3genE4ELNS1_11target_archE910ELNS1_3gpuE8ELNS1_3repE0EEENS1_36merge_oddeven_config_static_selectorELNS0_4arch9wavefront6targetE1EEEvSM_
                                        ; -- End function
	.set _ZN7rocprim17ROCPRIM_400000_NS6detail17trampoline_kernelINS0_14default_configENS1_38merge_sort_block_merge_config_selectorIlNS0_10empty_typeEEEZZNS1_27merge_sort_block_merge_implIS3_PlPS5_mZN2at6native12_GLOBAL__N_124unique_dim_cuda_templateImEESt5tupleIJNSA_6TensorESF_SF_EERKSF_lbbbEUlllE_EE10hipError_tT0_T1_T2_jT3_P12ihipStream_tbPNSt15iterator_traitsISL_E10value_typeEPNSR_ISM_E10value_typeEPSN_NS1_7vsmem_tEENKUlT_SL_SM_SN_E_clIS8_S8_S9_S9_EESK_S10_SL_SM_SN_EUlS10_E1_NS1_11comp_targetILNS1_3genE4ELNS1_11target_archE910ELNS1_3gpuE8ELNS1_3repE0EEENS1_36merge_oddeven_config_static_selectorELNS0_4arch9wavefront6targetE1EEEvSM_.num_vgpr, 0
	.set _ZN7rocprim17ROCPRIM_400000_NS6detail17trampoline_kernelINS0_14default_configENS1_38merge_sort_block_merge_config_selectorIlNS0_10empty_typeEEEZZNS1_27merge_sort_block_merge_implIS3_PlPS5_mZN2at6native12_GLOBAL__N_124unique_dim_cuda_templateImEESt5tupleIJNSA_6TensorESF_SF_EERKSF_lbbbEUlllE_EE10hipError_tT0_T1_T2_jT3_P12ihipStream_tbPNSt15iterator_traitsISL_E10value_typeEPNSR_ISM_E10value_typeEPSN_NS1_7vsmem_tEENKUlT_SL_SM_SN_E_clIS8_S8_S9_S9_EESK_S10_SL_SM_SN_EUlS10_E1_NS1_11comp_targetILNS1_3genE4ELNS1_11target_archE910ELNS1_3gpuE8ELNS1_3repE0EEENS1_36merge_oddeven_config_static_selectorELNS0_4arch9wavefront6targetE1EEEvSM_.num_agpr, 0
	.set _ZN7rocprim17ROCPRIM_400000_NS6detail17trampoline_kernelINS0_14default_configENS1_38merge_sort_block_merge_config_selectorIlNS0_10empty_typeEEEZZNS1_27merge_sort_block_merge_implIS3_PlPS5_mZN2at6native12_GLOBAL__N_124unique_dim_cuda_templateImEESt5tupleIJNSA_6TensorESF_SF_EERKSF_lbbbEUlllE_EE10hipError_tT0_T1_T2_jT3_P12ihipStream_tbPNSt15iterator_traitsISL_E10value_typeEPNSR_ISM_E10value_typeEPSN_NS1_7vsmem_tEENKUlT_SL_SM_SN_E_clIS8_S8_S9_S9_EESK_S10_SL_SM_SN_EUlS10_E1_NS1_11comp_targetILNS1_3genE4ELNS1_11target_archE910ELNS1_3gpuE8ELNS1_3repE0EEENS1_36merge_oddeven_config_static_selectorELNS0_4arch9wavefront6targetE1EEEvSM_.numbered_sgpr, 0
	.set _ZN7rocprim17ROCPRIM_400000_NS6detail17trampoline_kernelINS0_14default_configENS1_38merge_sort_block_merge_config_selectorIlNS0_10empty_typeEEEZZNS1_27merge_sort_block_merge_implIS3_PlPS5_mZN2at6native12_GLOBAL__N_124unique_dim_cuda_templateImEESt5tupleIJNSA_6TensorESF_SF_EERKSF_lbbbEUlllE_EE10hipError_tT0_T1_T2_jT3_P12ihipStream_tbPNSt15iterator_traitsISL_E10value_typeEPNSR_ISM_E10value_typeEPSN_NS1_7vsmem_tEENKUlT_SL_SM_SN_E_clIS8_S8_S9_S9_EESK_S10_SL_SM_SN_EUlS10_E1_NS1_11comp_targetILNS1_3genE4ELNS1_11target_archE910ELNS1_3gpuE8ELNS1_3repE0EEENS1_36merge_oddeven_config_static_selectorELNS0_4arch9wavefront6targetE1EEEvSM_.num_named_barrier, 0
	.set _ZN7rocprim17ROCPRIM_400000_NS6detail17trampoline_kernelINS0_14default_configENS1_38merge_sort_block_merge_config_selectorIlNS0_10empty_typeEEEZZNS1_27merge_sort_block_merge_implIS3_PlPS5_mZN2at6native12_GLOBAL__N_124unique_dim_cuda_templateImEESt5tupleIJNSA_6TensorESF_SF_EERKSF_lbbbEUlllE_EE10hipError_tT0_T1_T2_jT3_P12ihipStream_tbPNSt15iterator_traitsISL_E10value_typeEPNSR_ISM_E10value_typeEPSN_NS1_7vsmem_tEENKUlT_SL_SM_SN_E_clIS8_S8_S9_S9_EESK_S10_SL_SM_SN_EUlS10_E1_NS1_11comp_targetILNS1_3genE4ELNS1_11target_archE910ELNS1_3gpuE8ELNS1_3repE0EEENS1_36merge_oddeven_config_static_selectorELNS0_4arch9wavefront6targetE1EEEvSM_.private_seg_size, 0
	.set _ZN7rocprim17ROCPRIM_400000_NS6detail17trampoline_kernelINS0_14default_configENS1_38merge_sort_block_merge_config_selectorIlNS0_10empty_typeEEEZZNS1_27merge_sort_block_merge_implIS3_PlPS5_mZN2at6native12_GLOBAL__N_124unique_dim_cuda_templateImEESt5tupleIJNSA_6TensorESF_SF_EERKSF_lbbbEUlllE_EE10hipError_tT0_T1_T2_jT3_P12ihipStream_tbPNSt15iterator_traitsISL_E10value_typeEPNSR_ISM_E10value_typeEPSN_NS1_7vsmem_tEENKUlT_SL_SM_SN_E_clIS8_S8_S9_S9_EESK_S10_SL_SM_SN_EUlS10_E1_NS1_11comp_targetILNS1_3genE4ELNS1_11target_archE910ELNS1_3gpuE8ELNS1_3repE0EEENS1_36merge_oddeven_config_static_selectorELNS0_4arch9wavefront6targetE1EEEvSM_.uses_vcc, 0
	.set _ZN7rocprim17ROCPRIM_400000_NS6detail17trampoline_kernelINS0_14default_configENS1_38merge_sort_block_merge_config_selectorIlNS0_10empty_typeEEEZZNS1_27merge_sort_block_merge_implIS3_PlPS5_mZN2at6native12_GLOBAL__N_124unique_dim_cuda_templateImEESt5tupleIJNSA_6TensorESF_SF_EERKSF_lbbbEUlllE_EE10hipError_tT0_T1_T2_jT3_P12ihipStream_tbPNSt15iterator_traitsISL_E10value_typeEPNSR_ISM_E10value_typeEPSN_NS1_7vsmem_tEENKUlT_SL_SM_SN_E_clIS8_S8_S9_S9_EESK_S10_SL_SM_SN_EUlS10_E1_NS1_11comp_targetILNS1_3genE4ELNS1_11target_archE910ELNS1_3gpuE8ELNS1_3repE0EEENS1_36merge_oddeven_config_static_selectorELNS0_4arch9wavefront6targetE1EEEvSM_.uses_flat_scratch, 0
	.set _ZN7rocprim17ROCPRIM_400000_NS6detail17trampoline_kernelINS0_14default_configENS1_38merge_sort_block_merge_config_selectorIlNS0_10empty_typeEEEZZNS1_27merge_sort_block_merge_implIS3_PlPS5_mZN2at6native12_GLOBAL__N_124unique_dim_cuda_templateImEESt5tupleIJNSA_6TensorESF_SF_EERKSF_lbbbEUlllE_EE10hipError_tT0_T1_T2_jT3_P12ihipStream_tbPNSt15iterator_traitsISL_E10value_typeEPNSR_ISM_E10value_typeEPSN_NS1_7vsmem_tEENKUlT_SL_SM_SN_E_clIS8_S8_S9_S9_EESK_S10_SL_SM_SN_EUlS10_E1_NS1_11comp_targetILNS1_3genE4ELNS1_11target_archE910ELNS1_3gpuE8ELNS1_3repE0EEENS1_36merge_oddeven_config_static_selectorELNS0_4arch9wavefront6targetE1EEEvSM_.has_dyn_sized_stack, 0
	.set _ZN7rocprim17ROCPRIM_400000_NS6detail17trampoline_kernelINS0_14default_configENS1_38merge_sort_block_merge_config_selectorIlNS0_10empty_typeEEEZZNS1_27merge_sort_block_merge_implIS3_PlPS5_mZN2at6native12_GLOBAL__N_124unique_dim_cuda_templateImEESt5tupleIJNSA_6TensorESF_SF_EERKSF_lbbbEUlllE_EE10hipError_tT0_T1_T2_jT3_P12ihipStream_tbPNSt15iterator_traitsISL_E10value_typeEPNSR_ISM_E10value_typeEPSN_NS1_7vsmem_tEENKUlT_SL_SM_SN_E_clIS8_S8_S9_S9_EESK_S10_SL_SM_SN_EUlS10_E1_NS1_11comp_targetILNS1_3genE4ELNS1_11target_archE910ELNS1_3gpuE8ELNS1_3repE0EEENS1_36merge_oddeven_config_static_selectorELNS0_4arch9wavefront6targetE1EEEvSM_.has_recursion, 0
	.set _ZN7rocprim17ROCPRIM_400000_NS6detail17trampoline_kernelINS0_14default_configENS1_38merge_sort_block_merge_config_selectorIlNS0_10empty_typeEEEZZNS1_27merge_sort_block_merge_implIS3_PlPS5_mZN2at6native12_GLOBAL__N_124unique_dim_cuda_templateImEESt5tupleIJNSA_6TensorESF_SF_EERKSF_lbbbEUlllE_EE10hipError_tT0_T1_T2_jT3_P12ihipStream_tbPNSt15iterator_traitsISL_E10value_typeEPNSR_ISM_E10value_typeEPSN_NS1_7vsmem_tEENKUlT_SL_SM_SN_E_clIS8_S8_S9_S9_EESK_S10_SL_SM_SN_EUlS10_E1_NS1_11comp_targetILNS1_3genE4ELNS1_11target_archE910ELNS1_3gpuE8ELNS1_3repE0EEENS1_36merge_oddeven_config_static_selectorELNS0_4arch9wavefront6targetE1EEEvSM_.has_indirect_call, 0
	.section	.AMDGPU.csdata,"",@progbits
; Kernel info:
; codeLenInByte = 0
; TotalNumSgprs: 6
; NumVgprs: 0
; NumAgprs: 0
; TotalNumVgprs: 0
; ScratchSize: 0
; MemoryBound: 0
; FloatMode: 240
; IeeeMode: 1
; LDSByteSize: 0 bytes/workgroup (compile time only)
; SGPRBlocks: 0
; VGPRBlocks: 0
; NumSGPRsForWavesPerEU: 6
; NumVGPRsForWavesPerEU: 1
; AccumOffset: 4
; Occupancy: 8
; WaveLimiterHint : 0
; COMPUTE_PGM_RSRC2:SCRATCH_EN: 0
; COMPUTE_PGM_RSRC2:USER_SGPR: 2
; COMPUTE_PGM_RSRC2:TRAP_HANDLER: 0
; COMPUTE_PGM_RSRC2:TGID_X_EN: 1
; COMPUTE_PGM_RSRC2:TGID_Y_EN: 0
; COMPUTE_PGM_RSRC2:TGID_Z_EN: 0
; COMPUTE_PGM_RSRC2:TIDIG_COMP_CNT: 0
; COMPUTE_PGM_RSRC3_GFX90A:ACCUM_OFFSET: 0
; COMPUTE_PGM_RSRC3_GFX90A:TG_SPLIT: 0
	.section	.text._ZN7rocprim17ROCPRIM_400000_NS6detail17trampoline_kernelINS0_14default_configENS1_38merge_sort_block_merge_config_selectorIlNS0_10empty_typeEEEZZNS1_27merge_sort_block_merge_implIS3_PlPS5_mZN2at6native12_GLOBAL__N_124unique_dim_cuda_templateImEESt5tupleIJNSA_6TensorESF_SF_EERKSF_lbbbEUlllE_EE10hipError_tT0_T1_T2_jT3_P12ihipStream_tbPNSt15iterator_traitsISL_E10value_typeEPNSR_ISM_E10value_typeEPSN_NS1_7vsmem_tEENKUlT_SL_SM_SN_E_clIS8_S8_S9_S9_EESK_S10_SL_SM_SN_EUlS10_E1_NS1_11comp_targetILNS1_3genE3ELNS1_11target_archE908ELNS1_3gpuE7ELNS1_3repE0EEENS1_36merge_oddeven_config_static_selectorELNS0_4arch9wavefront6targetE1EEEvSM_,"axG",@progbits,_ZN7rocprim17ROCPRIM_400000_NS6detail17trampoline_kernelINS0_14default_configENS1_38merge_sort_block_merge_config_selectorIlNS0_10empty_typeEEEZZNS1_27merge_sort_block_merge_implIS3_PlPS5_mZN2at6native12_GLOBAL__N_124unique_dim_cuda_templateImEESt5tupleIJNSA_6TensorESF_SF_EERKSF_lbbbEUlllE_EE10hipError_tT0_T1_T2_jT3_P12ihipStream_tbPNSt15iterator_traitsISL_E10value_typeEPNSR_ISM_E10value_typeEPSN_NS1_7vsmem_tEENKUlT_SL_SM_SN_E_clIS8_S8_S9_S9_EESK_S10_SL_SM_SN_EUlS10_E1_NS1_11comp_targetILNS1_3genE3ELNS1_11target_archE908ELNS1_3gpuE7ELNS1_3repE0EEENS1_36merge_oddeven_config_static_selectorELNS0_4arch9wavefront6targetE1EEEvSM_,comdat
	.globl	_ZN7rocprim17ROCPRIM_400000_NS6detail17trampoline_kernelINS0_14default_configENS1_38merge_sort_block_merge_config_selectorIlNS0_10empty_typeEEEZZNS1_27merge_sort_block_merge_implIS3_PlPS5_mZN2at6native12_GLOBAL__N_124unique_dim_cuda_templateImEESt5tupleIJNSA_6TensorESF_SF_EERKSF_lbbbEUlllE_EE10hipError_tT0_T1_T2_jT3_P12ihipStream_tbPNSt15iterator_traitsISL_E10value_typeEPNSR_ISM_E10value_typeEPSN_NS1_7vsmem_tEENKUlT_SL_SM_SN_E_clIS8_S8_S9_S9_EESK_S10_SL_SM_SN_EUlS10_E1_NS1_11comp_targetILNS1_3genE3ELNS1_11target_archE908ELNS1_3gpuE7ELNS1_3repE0EEENS1_36merge_oddeven_config_static_selectorELNS0_4arch9wavefront6targetE1EEEvSM_ ; -- Begin function _ZN7rocprim17ROCPRIM_400000_NS6detail17trampoline_kernelINS0_14default_configENS1_38merge_sort_block_merge_config_selectorIlNS0_10empty_typeEEEZZNS1_27merge_sort_block_merge_implIS3_PlPS5_mZN2at6native12_GLOBAL__N_124unique_dim_cuda_templateImEESt5tupleIJNSA_6TensorESF_SF_EERKSF_lbbbEUlllE_EE10hipError_tT0_T1_T2_jT3_P12ihipStream_tbPNSt15iterator_traitsISL_E10value_typeEPNSR_ISM_E10value_typeEPSN_NS1_7vsmem_tEENKUlT_SL_SM_SN_E_clIS8_S8_S9_S9_EESK_S10_SL_SM_SN_EUlS10_E1_NS1_11comp_targetILNS1_3genE3ELNS1_11target_archE908ELNS1_3gpuE7ELNS1_3repE0EEENS1_36merge_oddeven_config_static_selectorELNS0_4arch9wavefront6targetE1EEEvSM_
	.p2align	8
	.type	_ZN7rocprim17ROCPRIM_400000_NS6detail17trampoline_kernelINS0_14default_configENS1_38merge_sort_block_merge_config_selectorIlNS0_10empty_typeEEEZZNS1_27merge_sort_block_merge_implIS3_PlPS5_mZN2at6native12_GLOBAL__N_124unique_dim_cuda_templateImEESt5tupleIJNSA_6TensorESF_SF_EERKSF_lbbbEUlllE_EE10hipError_tT0_T1_T2_jT3_P12ihipStream_tbPNSt15iterator_traitsISL_E10value_typeEPNSR_ISM_E10value_typeEPSN_NS1_7vsmem_tEENKUlT_SL_SM_SN_E_clIS8_S8_S9_S9_EESK_S10_SL_SM_SN_EUlS10_E1_NS1_11comp_targetILNS1_3genE3ELNS1_11target_archE908ELNS1_3gpuE7ELNS1_3repE0EEENS1_36merge_oddeven_config_static_selectorELNS0_4arch9wavefront6targetE1EEEvSM_,@function
_ZN7rocprim17ROCPRIM_400000_NS6detail17trampoline_kernelINS0_14default_configENS1_38merge_sort_block_merge_config_selectorIlNS0_10empty_typeEEEZZNS1_27merge_sort_block_merge_implIS3_PlPS5_mZN2at6native12_GLOBAL__N_124unique_dim_cuda_templateImEESt5tupleIJNSA_6TensorESF_SF_EERKSF_lbbbEUlllE_EE10hipError_tT0_T1_T2_jT3_P12ihipStream_tbPNSt15iterator_traitsISL_E10value_typeEPNSR_ISM_E10value_typeEPSN_NS1_7vsmem_tEENKUlT_SL_SM_SN_E_clIS8_S8_S9_S9_EESK_S10_SL_SM_SN_EUlS10_E1_NS1_11comp_targetILNS1_3genE3ELNS1_11target_archE908ELNS1_3gpuE7ELNS1_3repE0EEENS1_36merge_oddeven_config_static_selectorELNS0_4arch9wavefront6targetE1EEEvSM_: ; @_ZN7rocprim17ROCPRIM_400000_NS6detail17trampoline_kernelINS0_14default_configENS1_38merge_sort_block_merge_config_selectorIlNS0_10empty_typeEEEZZNS1_27merge_sort_block_merge_implIS3_PlPS5_mZN2at6native12_GLOBAL__N_124unique_dim_cuda_templateImEESt5tupleIJNSA_6TensorESF_SF_EERKSF_lbbbEUlllE_EE10hipError_tT0_T1_T2_jT3_P12ihipStream_tbPNSt15iterator_traitsISL_E10value_typeEPNSR_ISM_E10value_typeEPSN_NS1_7vsmem_tEENKUlT_SL_SM_SN_E_clIS8_S8_S9_S9_EESK_S10_SL_SM_SN_EUlS10_E1_NS1_11comp_targetILNS1_3genE3ELNS1_11target_archE908ELNS1_3gpuE7ELNS1_3repE0EEENS1_36merge_oddeven_config_static_selectorELNS0_4arch9wavefront6targetE1EEEvSM_
; %bb.0:
	.section	.rodata,"a",@progbits
	.p2align	6, 0x0
	.amdhsa_kernel _ZN7rocprim17ROCPRIM_400000_NS6detail17trampoline_kernelINS0_14default_configENS1_38merge_sort_block_merge_config_selectorIlNS0_10empty_typeEEEZZNS1_27merge_sort_block_merge_implIS3_PlPS5_mZN2at6native12_GLOBAL__N_124unique_dim_cuda_templateImEESt5tupleIJNSA_6TensorESF_SF_EERKSF_lbbbEUlllE_EE10hipError_tT0_T1_T2_jT3_P12ihipStream_tbPNSt15iterator_traitsISL_E10value_typeEPNSR_ISM_E10value_typeEPSN_NS1_7vsmem_tEENKUlT_SL_SM_SN_E_clIS8_S8_S9_S9_EESK_S10_SL_SM_SN_EUlS10_E1_NS1_11comp_targetILNS1_3genE3ELNS1_11target_archE908ELNS1_3gpuE7ELNS1_3repE0EEENS1_36merge_oddeven_config_static_selectorELNS0_4arch9wavefront6targetE1EEEvSM_
		.amdhsa_group_segment_fixed_size 0
		.amdhsa_private_segment_fixed_size 0
		.amdhsa_kernarg_size 64
		.amdhsa_user_sgpr_count 2
		.amdhsa_user_sgpr_dispatch_ptr 0
		.amdhsa_user_sgpr_queue_ptr 0
		.amdhsa_user_sgpr_kernarg_segment_ptr 1
		.amdhsa_user_sgpr_dispatch_id 0
		.amdhsa_user_sgpr_kernarg_preload_length 0
		.amdhsa_user_sgpr_kernarg_preload_offset 0
		.amdhsa_user_sgpr_private_segment_size 0
		.amdhsa_uses_dynamic_stack 0
		.amdhsa_enable_private_segment 0
		.amdhsa_system_sgpr_workgroup_id_x 1
		.amdhsa_system_sgpr_workgroup_id_y 0
		.amdhsa_system_sgpr_workgroup_id_z 0
		.amdhsa_system_sgpr_workgroup_info 0
		.amdhsa_system_vgpr_workitem_id 0
		.amdhsa_next_free_vgpr 1
		.amdhsa_next_free_sgpr 0
		.amdhsa_accum_offset 4
		.amdhsa_reserve_vcc 0
		.amdhsa_float_round_mode_32 0
		.amdhsa_float_round_mode_16_64 0
		.amdhsa_float_denorm_mode_32 3
		.amdhsa_float_denorm_mode_16_64 3
		.amdhsa_dx10_clamp 1
		.amdhsa_ieee_mode 1
		.amdhsa_fp16_overflow 0
		.amdhsa_tg_split 0
		.amdhsa_exception_fp_ieee_invalid_op 0
		.amdhsa_exception_fp_denorm_src 0
		.amdhsa_exception_fp_ieee_div_zero 0
		.amdhsa_exception_fp_ieee_overflow 0
		.amdhsa_exception_fp_ieee_underflow 0
		.amdhsa_exception_fp_ieee_inexact 0
		.amdhsa_exception_int_div_zero 0
	.end_amdhsa_kernel
	.section	.text._ZN7rocprim17ROCPRIM_400000_NS6detail17trampoline_kernelINS0_14default_configENS1_38merge_sort_block_merge_config_selectorIlNS0_10empty_typeEEEZZNS1_27merge_sort_block_merge_implIS3_PlPS5_mZN2at6native12_GLOBAL__N_124unique_dim_cuda_templateImEESt5tupleIJNSA_6TensorESF_SF_EERKSF_lbbbEUlllE_EE10hipError_tT0_T1_T2_jT3_P12ihipStream_tbPNSt15iterator_traitsISL_E10value_typeEPNSR_ISM_E10value_typeEPSN_NS1_7vsmem_tEENKUlT_SL_SM_SN_E_clIS8_S8_S9_S9_EESK_S10_SL_SM_SN_EUlS10_E1_NS1_11comp_targetILNS1_3genE3ELNS1_11target_archE908ELNS1_3gpuE7ELNS1_3repE0EEENS1_36merge_oddeven_config_static_selectorELNS0_4arch9wavefront6targetE1EEEvSM_,"axG",@progbits,_ZN7rocprim17ROCPRIM_400000_NS6detail17trampoline_kernelINS0_14default_configENS1_38merge_sort_block_merge_config_selectorIlNS0_10empty_typeEEEZZNS1_27merge_sort_block_merge_implIS3_PlPS5_mZN2at6native12_GLOBAL__N_124unique_dim_cuda_templateImEESt5tupleIJNSA_6TensorESF_SF_EERKSF_lbbbEUlllE_EE10hipError_tT0_T1_T2_jT3_P12ihipStream_tbPNSt15iterator_traitsISL_E10value_typeEPNSR_ISM_E10value_typeEPSN_NS1_7vsmem_tEENKUlT_SL_SM_SN_E_clIS8_S8_S9_S9_EESK_S10_SL_SM_SN_EUlS10_E1_NS1_11comp_targetILNS1_3genE3ELNS1_11target_archE908ELNS1_3gpuE7ELNS1_3repE0EEENS1_36merge_oddeven_config_static_selectorELNS0_4arch9wavefront6targetE1EEEvSM_,comdat
.Lfunc_end1634:
	.size	_ZN7rocprim17ROCPRIM_400000_NS6detail17trampoline_kernelINS0_14default_configENS1_38merge_sort_block_merge_config_selectorIlNS0_10empty_typeEEEZZNS1_27merge_sort_block_merge_implIS3_PlPS5_mZN2at6native12_GLOBAL__N_124unique_dim_cuda_templateImEESt5tupleIJNSA_6TensorESF_SF_EERKSF_lbbbEUlllE_EE10hipError_tT0_T1_T2_jT3_P12ihipStream_tbPNSt15iterator_traitsISL_E10value_typeEPNSR_ISM_E10value_typeEPSN_NS1_7vsmem_tEENKUlT_SL_SM_SN_E_clIS8_S8_S9_S9_EESK_S10_SL_SM_SN_EUlS10_E1_NS1_11comp_targetILNS1_3genE3ELNS1_11target_archE908ELNS1_3gpuE7ELNS1_3repE0EEENS1_36merge_oddeven_config_static_selectorELNS0_4arch9wavefront6targetE1EEEvSM_, .Lfunc_end1634-_ZN7rocprim17ROCPRIM_400000_NS6detail17trampoline_kernelINS0_14default_configENS1_38merge_sort_block_merge_config_selectorIlNS0_10empty_typeEEEZZNS1_27merge_sort_block_merge_implIS3_PlPS5_mZN2at6native12_GLOBAL__N_124unique_dim_cuda_templateImEESt5tupleIJNSA_6TensorESF_SF_EERKSF_lbbbEUlllE_EE10hipError_tT0_T1_T2_jT3_P12ihipStream_tbPNSt15iterator_traitsISL_E10value_typeEPNSR_ISM_E10value_typeEPSN_NS1_7vsmem_tEENKUlT_SL_SM_SN_E_clIS8_S8_S9_S9_EESK_S10_SL_SM_SN_EUlS10_E1_NS1_11comp_targetILNS1_3genE3ELNS1_11target_archE908ELNS1_3gpuE7ELNS1_3repE0EEENS1_36merge_oddeven_config_static_selectorELNS0_4arch9wavefront6targetE1EEEvSM_
                                        ; -- End function
	.set _ZN7rocprim17ROCPRIM_400000_NS6detail17trampoline_kernelINS0_14default_configENS1_38merge_sort_block_merge_config_selectorIlNS0_10empty_typeEEEZZNS1_27merge_sort_block_merge_implIS3_PlPS5_mZN2at6native12_GLOBAL__N_124unique_dim_cuda_templateImEESt5tupleIJNSA_6TensorESF_SF_EERKSF_lbbbEUlllE_EE10hipError_tT0_T1_T2_jT3_P12ihipStream_tbPNSt15iterator_traitsISL_E10value_typeEPNSR_ISM_E10value_typeEPSN_NS1_7vsmem_tEENKUlT_SL_SM_SN_E_clIS8_S8_S9_S9_EESK_S10_SL_SM_SN_EUlS10_E1_NS1_11comp_targetILNS1_3genE3ELNS1_11target_archE908ELNS1_3gpuE7ELNS1_3repE0EEENS1_36merge_oddeven_config_static_selectorELNS0_4arch9wavefront6targetE1EEEvSM_.num_vgpr, 0
	.set _ZN7rocprim17ROCPRIM_400000_NS6detail17trampoline_kernelINS0_14default_configENS1_38merge_sort_block_merge_config_selectorIlNS0_10empty_typeEEEZZNS1_27merge_sort_block_merge_implIS3_PlPS5_mZN2at6native12_GLOBAL__N_124unique_dim_cuda_templateImEESt5tupleIJNSA_6TensorESF_SF_EERKSF_lbbbEUlllE_EE10hipError_tT0_T1_T2_jT3_P12ihipStream_tbPNSt15iterator_traitsISL_E10value_typeEPNSR_ISM_E10value_typeEPSN_NS1_7vsmem_tEENKUlT_SL_SM_SN_E_clIS8_S8_S9_S9_EESK_S10_SL_SM_SN_EUlS10_E1_NS1_11comp_targetILNS1_3genE3ELNS1_11target_archE908ELNS1_3gpuE7ELNS1_3repE0EEENS1_36merge_oddeven_config_static_selectorELNS0_4arch9wavefront6targetE1EEEvSM_.num_agpr, 0
	.set _ZN7rocprim17ROCPRIM_400000_NS6detail17trampoline_kernelINS0_14default_configENS1_38merge_sort_block_merge_config_selectorIlNS0_10empty_typeEEEZZNS1_27merge_sort_block_merge_implIS3_PlPS5_mZN2at6native12_GLOBAL__N_124unique_dim_cuda_templateImEESt5tupleIJNSA_6TensorESF_SF_EERKSF_lbbbEUlllE_EE10hipError_tT0_T1_T2_jT3_P12ihipStream_tbPNSt15iterator_traitsISL_E10value_typeEPNSR_ISM_E10value_typeEPSN_NS1_7vsmem_tEENKUlT_SL_SM_SN_E_clIS8_S8_S9_S9_EESK_S10_SL_SM_SN_EUlS10_E1_NS1_11comp_targetILNS1_3genE3ELNS1_11target_archE908ELNS1_3gpuE7ELNS1_3repE0EEENS1_36merge_oddeven_config_static_selectorELNS0_4arch9wavefront6targetE1EEEvSM_.numbered_sgpr, 0
	.set _ZN7rocprim17ROCPRIM_400000_NS6detail17trampoline_kernelINS0_14default_configENS1_38merge_sort_block_merge_config_selectorIlNS0_10empty_typeEEEZZNS1_27merge_sort_block_merge_implIS3_PlPS5_mZN2at6native12_GLOBAL__N_124unique_dim_cuda_templateImEESt5tupleIJNSA_6TensorESF_SF_EERKSF_lbbbEUlllE_EE10hipError_tT0_T1_T2_jT3_P12ihipStream_tbPNSt15iterator_traitsISL_E10value_typeEPNSR_ISM_E10value_typeEPSN_NS1_7vsmem_tEENKUlT_SL_SM_SN_E_clIS8_S8_S9_S9_EESK_S10_SL_SM_SN_EUlS10_E1_NS1_11comp_targetILNS1_3genE3ELNS1_11target_archE908ELNS1_3gpuE7ELNS1_3repE0EEENS1_36merge_oddeven_config_static_selectorELNS0_4arch9wavefront6targetE1EEEvSM_.num_named_barrier, 0
	.set _ZN7rocprim17ROCPRIM_400000_NS6detail17trampoline_kernelINS0_14default_configENS1_38merge_sort_block_merge_config_selectorIlNS0_10empty_typeEEEZZNS1_27merge_sort_block_merge_implIS3_PlPS5_mZN2at6native12_GLOBAL__N_124unique_dim_cuda_templateImEESt5tupleIJNSA_6TensorESF_SF_EERKSF_lbbbEUlllE_EE10hipError_tT0_T1_T2_jT3_P12ihipStream_tbPNSt15iterator_traitsISL_E10value_typeEPNSR_ISM_E10value_typeEPSN_NS1_7vsmem_tEENKUlT_SL_SM_SN_E_clIS8_S8_S9_S9_EESK_S10_SL_SM_SN_EUlS10_E1_NS1_11comp_targetILNS1_3genE3ELNS1_11target_archE908ELNS1_3gpuE7ELNS1_3repE0EEENS1_36merge_oddeven_config_static_selectorELNS0_4arch9wavefront6targetE1EEEvSM_.private_seg_size, 0
	.set _ZN7rocprim17ROCPRIM_400000_NS6detail17trampoline_kernelINS0_14default_configENS1_38merge_sort_block_merge_config_selectorIlNS0_10empty_typeEEEZZNS1_27merge_sort_block_merge_implIS3_PlPS5_mZN2at6native12_GLOBAL__N_124unique_dim_cuda_templateImEESt5tupleIJNSA_6TensorESF_SF_EERKSF_lbbbEUlllE_EE10hipError_tT0_T1_T2_jT3_P12ihipStream_tbPNSt15iterator_traitsISL_E10value_typeEPNSR_ISM_E10value_typeEPSN_NS1_7vsmem_tEENKUlT_SL_SM_SN_E_clIS8_S8_S9_S9_EESK_S10_SL_SM_SN_EUlS10_E1_NS1_11comp_targetILNS1_3genE3ELNS1_11target_archE908ELNS1_3gpuE7ELNS1_3repE0EEENS1_36merge_oddeven_config_static_selectorELNS0_4arch9wavefront6targetE1EEEvSM_.uses_vcc, 0
	.set _ZN7rocprim17ROCPRIM_400000_NS6detail17trampoline_kernelINS0_14default_configENS1_38merge_sort_block_merge_config_selectorIlNS0_10empty_typeEEEZZNS1_27merge_sort_block_merge_implIS3_PlPS5_mZN2at6native12_GLOBAL__N_124unique_dim_cuda_templateImEESt5tupleIJNSA_6TensorESF_SF_EERKSF_lbbbEUlllE_EE10hipError_tT0_T1_T2_jT3_P12ihipStream_tbPNSt15iterator_traitsISL_E10value_typeEPNSR_ISM_E10value_typeEPSN_NS1_7vsmem_tEENKUlT_SL_SM_SN_E_clIS8_S8_S9_S9_EESK_S10_SL_SM_SN_EUlS10_E1_NS1_11comp_targetILNS1_3genE3ELNS1_11target_archE908ELNS1_3gpuE7ELNS1_3repE0EEENS1_36merge_oddeven_config_static_selectorELNS0_4arch9wavefront6targetE1EEEvSM_.uses_flat_scratch, 0
	.set _ZN7rocprim17ROCPRIM_400000_NS6detail17trampoline_kernelINS0_14default_configENS1_38merge_sort_block_merge_config_selectorIlNS0_10empty_typeEEEZZNS1_27merge_sort_block_merge_implIS3_PlPS5_mZN2at6native12_GLOBAL__N_124unique_dim_cuda_templateImEESt5tupleIJNSA_6TensorESF_SF_EERKSF_lbbbEUlllE_EE10hipError_tT0_T1_T2_jT3_P12ihipStream_tbPNSt15iterator_traitsISL_E10value_typeEPNSR_ISM_E10value_typeEPSN_NS1_7vsmem_tEENKUlT_SL_SM_SN_E_clIS8_S8_S9_S9_EESK_S10_SL_SM_SN_EUlS10_E1_NS1_11comp_targetILNS1_3genE3ELNS1_11target_archE908ELNS1_3gpuE7ELNS1_3repE0EEENS1_36merge_oddeven_config_static_selectorELNS0_4arch9wavefront6targetE1EEEvSM_.has_dyn_sized_stack, 0
	.set _ZN7rocprim17ROCPRIM_400000_NS6detail17trampoline_kernelINS0_14default_configENS1_38merge_sort_block_merge_config_selectorIlNS0_10empty_typeEEEZZNS1_27merge_sort_block_merge_implIS3_PlPS5_mZN2at6native12_GLOBAL__N_124unique_dim_cuda_templateImEESt5tupleIJNSA_6TensorESF_SF_EERKSF_lbbbEUlllE_EE10hipError_tT0_T1_T2_jT3_P12ihipStream_tbPNSt15iterator_traitsISL_E10value_typeEPNSR_ISM_E10value_typeEPSN_NS1_7vsmem_tEENKUlT_SL_SM_SN_E_clIS8_S8_S9_S9_EESK_S10_SL_SM_SN_EUlS10_E1_NS1_11comp_targetILNS1_3genE3ELNS1_11target_archE908ELNS1_3gpuE7ELNS1_3repE0EEENS1_36merge_oddeven_config_static_selectorELNS0_4arch9wavefront6targetE1EEEvSM_.has_recursion, 0
	.set _ZN7rocprim17ROCPRIM_400000_NS6detail17trampoline_kernelINS0_14default_configENS1_38merge_sort_block_merge_config_selectorIlNS0_10empty_typeEEEZZNS1_27merge_sort_block_merge_implIS3_PlPS5_mZN2at6native12_GLOBAL__N_124unique_dim_cuda_templateImEESt5tupleIJNSA_6TensorESF_SF_EERKSF_lbbbEUlllE_EE10hipError_tT0_T1_T2_jT3_P12ihipStream_tbPNSt15iterator_traitsISL_E10value_typeEPNSR_ISM_E10value_typeEPSN_NS1_7vsmem_tEENKUlT_SL_SM_SN_E_clIS8_S8_S9_S9_EESK_S10_SL_SM_SN_EUlS10_E1_NS1_11comp_targetILNS1_3genE3ELNS1_11target_archE908ELNS1_3gpuE7ELNS1_3repE0EEENS1_36merge_oddeven_config_static_selectorELNS0_4arch9wavefront6targetE1EEEvSM_.has_indirect_call, 0
	.section	.AMDGPU.csdata,"",@progbits
; Kernel info:
; codeLenInByte = 0
; TotalNumSgprs: 6
; NumVgprs: 0
; NumAgprs: 0
; TotalNumVgprs: 0
; ScratchSize: 0
; MemoryBound: 0
; FloatMode: 240
; IeeeMode: 1
; LDSByteSize: 0 bytes/workgroup (compile time only)
; SGPRBlocks: 0
; VGPRBlocks: 0
; NumSGPRsForWavesPerEU: 6
; NumVGPRsForWavesPerEU: 1
; AccumOffset: 4
; Occupancy: 8
; WaveLimiterHint : 0
; COMPUTE_PGM_RSRC2:SCRATCH_EN: 0
; COMPUTE_PGM_RSRC2:USER_SGPR: 2
; COMPUTE_PGM_RSRC2:TRAP_HANDLER: 0
; COMPUTE_PGM_RSRC2:TGID_X_EN: 1
; COMPUTE_PGM_RSRC2:TGID_Y_EN: 0
; COMPUTE_PGM_RSRC2:TGID_Z_EN: 0
; COMPUTE_PGM_RSRC2:TIDIG_COMP_CNT: 0
; COMPUTE_PGM_RSRC3_GFX90A:ACCUM_OFFSET: 0
; COMPUTE_PGM_RSRC3_GFX90A:TG_SPLIT: 0
	.section	.text._ZN7rocprim17ROCPRIM_400000_NS6detail17trampoline_kernelINS0_14default_configENS1_38merge_sort_block_merge_config_selectorIlNS0_10empty_typeEEEZZNS1_27merge_sort_block_merge_implIS3_PlPS5_mZN2at6native12_GLOBAL__N_124unique_dim_cuda_templateImEESt5tupleIJNSA_6TensorESF_SF_EERKSF_lbbbEUlllE_EE10hipError_tT0_T1_T2_jT3_P12ihipStream_tbPNSt15iterator_traitsISL_E10value_typeEPNSR_ISM_E10value_typeEPSN_NS1_7vsmem_tEENKUlT_SL_SM_SN_E_clIS8_S8_S9_S9_EESK_S10_SL_SM_SN_EUlS10_E1_NS1_11comp_targetILNS1_3genE2ELNS1_11target_archE906ELNS1_3gpuE6ELNS1_3repE0EEENS1_36merge_oddeven_config_static_selectorELNS0_4arch9wavefront6targetE1EEEvSM_,"axG",@progbits,_ZN7rocprim17ROCPRIM_400000_NS6detail17trampoline_kernelINS0_14default_configENS1_38merge_sort_block_merge_config_selectorIlNS0_10empty_typeEEEZZNS1_27merge_sort_block_merge_implIS3_PlPS5_mZN2at6native12_GLOBAL__N_124unique_dim_cuda_templateImEESt5tupleIJNSA_6TensorESF_SF_EERKSF_lbbbEUlllE_EE10hipError_tT0_T1_T2_jT3_P12ihipStream_tbPNSt15iterator_traitsISL_E10value_typeEPNSR_ISM_E10value_typeEPSN_NS1_7vsmem_tEENKUlT_SL_SM_SN_E_clIS8_S8_S9_S9_EESK_S10_SL_SM_SN_EUlS10_E1_NS1_11comp_targetILNS1_3genE2ELNS1_11target_archE906ELNS1_3gpuE6ELNS1_3repE0EEENS1_36merge_oddeven_config_static_selectorELNS0_4arch9wavefront6targetE1EEEvSM_,comdat
	.globl	_ZN7rocprim17ROCPRIM_400000_NS6detail17trampoline_kernelINS0_14default_configENS1_38merge_sort_block_merge_config_selectorIlNS0_10empty_typeEEEZZNS1_27merge_sort_block_merge_implIS3_PlPS5_mZN2at6native12_GLOBAL__N_124unique_dim_cuda_templateImEESt5tupleIJNSA_6TensorESF_SF_EERKSF_lbbbEUlllE_EE10hipError_tT0_T1_T2_jT3_P12ihipStream_tbPNSt15iterator_traitsISL_E10value_typeEPNSR_ISM_E10value_typeEPSN_NS1_7vsmem_tEENKUlT_SL_SM_SN_E_clIS8_S8_S9_S9_EESK_S10_SL_SM_SN_EUlS10_E1_NS1_11comp_targetILNS1_3genE2ELNS1_11target_archE906ELNS1_3gpuE6ELNS1_3repE0EEENS1_36merge_oddeven_config_static_selectorELNS0_4arch9wavefront6targetE1EEEvSM_ ; -- Begin function _ZN7rocprim17ROCPRIM_400000_NS6detail17trampoline_kernelINS0_14default_configENS1_38merge_sort_block_merge_config_selectorIlNS0_10empty_typeEEEZZNS1_27merge_sort_block_merge_implIS3_PlPS5_mZN2at6native12_GLOBAL__N_124unique_dim_cuda_templateImEESt5tupleIJNSA_6TensorESF_SF_EERKSF_lbbbEUlllE_EE10hipError_tT0_T1_T2_jT3_P12ihipStream_tbPNSt15iterator_traitsISL_E10value_typeEPNSR_ISM_E10value_typeEPSN_NS1_7vsmem_tEENKUlT_SL_SM_SN_E_clIS8_S8_S9_S9_EESK_S10_SL_SM_SN_EUlS10_E1_NS1_11comp_targetILNS1_3genE2ELNS1_11target_archE906ELNS1_3gpuE6ELNS1_3repE0EEENS1_36merge_oddeven_config_static_selectorELNS0_4arch9wavefront6targetE1EEEvSM_
	.p2align	8
	.type	_ZN7rocprim17ROCPRIM_400000_NS6detail17trampoline_kernelINS0_14default_configENS1_38merge_sort_block_merge_config_selectorIlNS0_10empty_typeEEEZZNS1_27merge_sort_block_merge_implIS3_PlPS5_mZN2at6native12_GLOBAL__N_124unique_dim_cuda_templateImEESt5tupleIJNSA_6TensorESF_SF_EERKSF_lbbbEUlllE_EE10hipError_tT0_T1_T2_jT3_P12ihipStream_tbPNSt15iterator_traitsISL_E10value_typeEPNSR_ISM_E10value_typeEPSN_NS1_7vsmem_tEENKUlT_SL_SM_SN_E_clIS8_S8_S9_S9_EESK_S10_SL_SM_SN_EUlS10_E1_NS1_11comp_targetILNS1_3genE2ELNS1_11target_archE906ELNS1_3gpuE6ELNS1_3repE0EEENS1_36merge_oddeven_config_static_selectorELNS0_4arch9wavefront6targetE1EEEvSM_,@function
_ZN7rocprim17ROCPRIM_400000_NS6detail17trampoline_kernelINS0_14default_configENS1_38merge_sort_block_merge_config_selectorIlNS0_10empty_typeEEEZZNS1_27merge_sort_block_merge_implIS3_PlPS5_mZN2at6native12_GLOBAL__N_124unique_dim_cuda_templateImEESt5tupleIJNSA_6TensorESF_SF_EERKSF_lbbbEUlllE_EE10hipError_tT0_T1_T2_jT3_P12ihipStream_tbPNSt15iterator_traitsISL_E10value_typeEPNSR_ISM_E10value_typeEPSN_NS1_7vsmem_tEENKUlT_SL_SM_SN_E_clIS8_S8_S9_S9_EESK_S10_SL_SM_SN_EUlS10_E1_NS1_11comp_targetILNS1_3genE2ELNS1_11target_archE906ELNS1_3gpuE6ELNS1_3repE0EEENS1_36merge_oddeven_config_static_selectorELNS0_4arch9wavefront6targetE1EEEvSM_: ; @_ZN7rocprim17ROCPRIM_400000_NS6detail17trampoline_kernelINS0_14default_configENS1_38merge_sort_block_merge_config_selectorIlNS0_10empty_typeEEEZZNS1_27merge_sort_block_merge_implIS3_PlPS5_mZN2at6native12_GLOBAL__N_124unique_dim_cuda_templateImEESt5tupleIJNSA_6TensorESF_SF_EERKSF_lbbbEUlllE_EE10hipError_tT0_T1_T2_jT3_P12ihipStream_tbPNSt15iterator_traitsISL_E10value_typeEPNSR_ISM_E10value_typeEPSN_NS1_7vsmem_tEENKUlT_SL_SM_SN_E_clIS8_S8_S9_S9_EESK_S10_SL_SM_SN_EUlS10_E1_NS1_11comp_targetILNS1_3genE2ELNS1_11target_archE906ELNS1_3gpuE6ELNS1_3repE0EEENS1_36merge_oddeven_config_static_selectorELNS0_4arch9wavefront6targetE1EEEvSM_
; %bb.0:
	.section	.rodata,"a",@progbits
	.p2align	6, 0x0
	.amdhsa_kernel _ZN7rocprim17ROCPRIM_400000_NS6detail17trampoline_kernelINS0_14default_configENS1_38merge_sort_block_merge_config_selectorIlNS0_10empty_typeEEEZZNS1_27merge_sort_block_merge_implIS3_PlPS5_mZN2at6native12_GLOBAL__N_124unique_dim_cuda_templateImEESt5tupleIJNSA_6TensorESF_SF_EERKSF_lbbbEUlllE_EE10hipError_tT0_T1_T2_jT3_P12ihipStream_tbPNSt15iterator_traitsISL_E10value_typeEPNSR_ISM_E10value_typeEPSN_NS1_7vsmem_tEENKUlT_SL_SM_SN_E_clIS8_S8_S9_S9_EESK_S10_SL_SM_SN_EUlS10_E1_NS1_11comp_targetILNS1_3genE2ELNS1_11target_archE906ELNS1_3gpuE6ELNS1_3repE0EEENS1_36merge_oddeven_config_static_selectorELNS0_4arch9wavefront6targetE1EEEvSM_
		.amdhsa_group_segment_fixed_size 0
		.amdhsa_private_segment_fixed_size 0
		.amdhsa_kernarg_size 64
		.amdhsa_user_sgpr_count 2
		.amdhsa_user_sgpr_dispatch_ptr 0
		.amdhsa_user_sgpr_queue_ptr 0
		.amdhsa_user_sgpr_kernarg_segment_ptr 1
		.amdhsa_user_sgpr_dispatch_id 0
		.amdhsa_user_sgpr_kernarg_preload_length 0
		.amdhsa_user_sgpr_kernarg_preload_offset 0
		.amdhsa_user_sgpr_private_segment_size 0
		.amdhsa_uses_dynamic_stack 0
		.amdhsa_enable_private_segment 0
		.amdhsa_system_sgpr_workgroup_id_x 1
		.amdhsa_system_sgpr_workgroup_id_y 0
		.amdhsa_system_sgpr_workgroup_id_z 0
		.amdhsa_system_sgpr_workgroup_info 0
		.amdhsa_system_vgpr_workitem_id 0
		.amdhsa_next_free_vgpr 1
		.amdhsa_next_free_sgpr 0
		.amdhsa_accum_offset 4
		.amdhsa_reserve_vcc 0
		.amdhsa_float_round_mode_32 0
		.amdhsa_float_round_mode_16_64 0
		.amdhsa_float_denorm_mode_32 3
		.amdhsa_float_denorm_mode_16_64 3
		.amdhsa_dx10_clamp 1
		.amdhsa_ieee_mode 1
		.amdhsa_fp16_overflow 0
		.amdhsa_tg_split 0
		.amdhsa_exception_fp_ieee_invalid_op 0
		.amdhsa_exception_fp_denorm_src 0
		.amdhsa_exception_fp_ieee_div_zero 0
		.amdhsa_exception_fp_ieee_overflow 0
		.amdhsa_exception_fp_ieee_underflow 0
		.amdhsa_exception_fp_ieee_inexact 0
		.amdhsa_exception_int_div_zero 0
	.end_amdhsa_kernel
	.section	.text._ZN7rocprim17ROCPRIM_400000_NS6detail17trampoline_kernelINS0_14default_configENS1_38merge_sort_block_merge_config_selectorIlNS0_10empty_typeEEEZZNS1_27merge_sort_block_merge_implIS3_PlPS5_mZN2at6native12_GLOBAL__N_124unique_dim_cuda_templateImEESt5tupleIJNSA_6TensorESF_SF_EERKSF_lbbbEUlllE_EE10hipError_tT0_T1_T2_jT3_P12ihipStream_tbPNSt15iterator_traitsISL_E10value_typeEPNSR_ISM_E10value_typeEPSN_NS1_7vsmem_tEENKUlT_SL_SM_SN_E_clIS8_S8_S9_S9_EESK_S10_SL_SM_SN_EUlS10_E1_NS1_11comp_targetILNS1_3genE2ELNS1_11target_archE906ELNS1_3gpuE6ELNS1_3repE0EEENS1_36merge_oddeven_config_static_selectorELNS0_4arch9wavefront6targetE1EEEvSM_,"axG",@progbits,_ZN7rocprim17ROCPRIM_400000_NS6detail17trampoline_kernelINS0_14default_configENS1_38merge_sort_block_merge_config_selectorIlNS0_10empty_typeEEEZZNS1_27merge_sort_block_merge_implIS3_PlPS5_mZN2at6native12_GLOBAL__N_124unique_dim_cuda_templateImEESt5tupleIJNSA_6TensorESF_SF_EERKSF_lbbbEUlllE_EE10hipError_tT0_T1_T2_jT3_P12ihipStream_tbPNSt15iterator_traitsISL_E10value_typeEPNSR_ISM_E10value_typeEPSN_NS1_7vsmem_tEENKUlT_SL_SM_SN_E_clIS8_S8_S9_S9_EESK_S10_SL_SM_SN_EUlS10_E1_NS1_11comp_targetILNS1_3genE2ELNS1_11target_archE906ELNS1_3gpuE6ELNS1_3repE0EEENS1_36merge_oddeven_config_static_selectorELNS0_4arch9wavefront6targetE1EEEvSM_,comdat
.Lfunc_end1635:
	.size	_ZN7rocprim17ROCPRIM_400000_NS6detail17trampoline_kernelINS0_14default_configENS1_38merge_sort_block_merge_config_selectorIlNS0_10empty_typeEEEZZNS1_27merge_sort_block_merge_implIS3_PlPS5_mZN2at6native12_GLOBAL__N_124unique_dim_cuda_templateImEESt5tupleIJNSA_6TensorESF_SF_EERKSF_lbbbEUlllE_EE10hipError_tT0_T1_T2_jT3_P12ihipStream_tbPNSt15iterator_traitsISL_E10value_typeEPNSR_ISM_E10value_typeEPSN_NS1_7vsmem_tEENKUlT_SL_SM_SN_E_clIS8_S8_S9_S9_EESK_S10_SL_SM_SN_EUlS10_E1_NS1_11comp_targetILNS1_3genE2ELNS1_11target_archE906ELNS1_3gpuE6ELNS1_3repE0EEENS1_36merge_oddeven_config_static_selectorELNS0_4arch9wavefront6targetE1EEEvSM_, .Lfunc_end1635-_ZN7rocprim17ROCPRIM_400000_NS6detail17trampoline_kernelINS0_14default_configENS1_38merge_sort_block_merge_config_selectorIlNS0_10empty_typeEEEZZNS1_27merge_sort_block_merge_implIS3_PlPS5_mZN2at6native12_GLOBAL__N_124unique_dim_cuda_templateImEESt5tupleIJNSA_6TensorESF_SF_EERKSF_lbbbEUlllE_EE10hipError_tT0_T1_T2_jT3_P12ihipStream_tbPNSt15iterator_traitsISL_E10value_typeEPNSR_ISM_E10value_typeEPSN_NS1_7vsmem_tEENKUlT_SL_SM_SN_E_clIS8_S8_S9_S9_EESK_S10_SL_SM_SN_EUlS10_E1_NS1_11comp_targetILNS1_3genE2ELNS1_11target_archE906ELNS1_3gpuE6ELNS1_3repE0EEENS1_36merge_oddeven_config_static_selectorELNS0_4arch9wavefront6targetE1EEEvSM_
                                        ; -- End function
	.set _ZN7rocprim17ROCPRIM_400000_NS6detail17trampoline_kernelINS0_14default_configENS1_38merge_sort_block_merge_config_selectorIlNS0_10empty_typeEEEZZNS1_27merge_sort_block_merge_implIS3_PlPS5_mZN2at6native12_GLOBAL__N_124unique_dim_cuda_templateImEESt5tupleIJNSA_6TensorESF_SF_EERKSF_lbbbEUlllE_EE10hipError_tT0_T1_T2_jT3_P12ihipStream_tbPNSt15iterator_traitsISL_E10value_typeEPNSR_ISM_E10value_typeEPSN_NS1_7vsmem_tEENKUlT_SL_SM_SN_E_clIS8_S8_S9_S9_EESK_S10_SL_SM_SN_EUlS10_E1_NS1_11comp_targetILNS1_3genE2ELNS1_11target_archE906ELNS1_3gpuE6ELNS1_3repE0EEENS1_36merge_oddeven_config_static_selectorELNS0_4arch9wavefront6targetE1EEEvSM_.num_vgpr, 0
	.set _ZN7rocprim17ROCPRIM_400000_NS6detail17trampoline_kernelINS0_14default_configENS1_38merge_sort_block_merge_config_selectorIlNS0_10empty_typeEEEZZNS1_27merge_sort_block_merge_implIS3_PlPS5_mZN2at6native12_GLOBAL__N_124unique_dim_cuda_templateImEESt5tupleIJNSA_6TensorESF_SF_EERKSF_lbbbEUlllE_EE10hipError_tT0_T1_T2_jT3_P12ihipStream_tbPNSt15iterator_traitsISL_E10value_typeEPNSR_ISM_E10value_typeEPSN_NS1_7vsmem_tEENKUlT_SL_SM_SN_E_clIS8_S8_S9_S9_EESK_S10_SL_SM_SN_EUlS10_E1_NS1_11comp_targetILNS1_3genE2ELNS1_11target_archE906ELNS1_3gpuE6ELNS1_3repE0EEENS1_36merge_oddeven_config_static_selectorELNS0_4arch9wavefront6targetE1EEEvSM_.num_agpr, 0
	.set _ZN7rocprim17ROCPRIM_400000_NS6detail17trampoline_kernelINS0_14default_configENS1_38merge_sort_block_merge_config_selectorIlNS0_10empty_typeEEEZZNS1_27merge_sort_block_merge_implIS3_PlPS5_mZN2at6native12_GLOBAL__N_124unique_dim_cuda_templateImEESt5tupleIJNSA_6TensorESF_SF_EERKSF_lbbbEUlllE_EE10hipError_tT0_T1_T2_jT3_P12ihipStream_tbPNSt15iterator_traitsISL_E10value_typeEPNSR_ISM_E10value_typeEPSN_NS1_7vsmem_tEENKUlT_SL_SM_SN_E_clIS8_S8_S9_S9_EESK_S10_SL_SM_SN_EUlS10_E1_NS1_11comp_targetILNS1_3genE2ELNS1_11target_archE906ELNS1_3gpuE6ELNS1_3repE0EEENS1_36merge_oddeven_config_static_selectorELNS0_4arch9wavefront6targetE1EEEvSM_.numbered_sgpr, 0
	.set _ZN7rocprim17ROCPRIM_400000_NS6detail17trampoline_kernelINS0_14default_configENS1_38merge_sort_block_merge_config_selectorIlNS0_10empty_typeEEEZZNS1_27merge_sort_block_merge_implIS3_PlPS5_mZN2at6native12_GLOBAL__N_124unique_dim_cuda_templateImEESt5tupleIJNSA_6TensorESF_SF_EERKSF_lbbbEUlllE_EE10hipError_tT0_T1_T2_jT3_P12ihipStream_tbPNSt15iterator_traitsISL_E10value_typeEPNSR_ISM_E10value_typeEPSN_NS1_7vsmem_tEENKUlT_SL_SM_SN_E_clIS8_S8_S9_S9_EESK_S10_SL_SM_SN_EUlS10_E1_NS1_11comp_targetILNS1_3genE2ELNS1_11target_archE906ELNS1_3gpuE6ELNS1_3repE0EEENS1_36merge_oddeven_config_static_selectorELNS0_4arch9wavefront6targetE1EEEvSM_.num_named_barrier, 0
	.set _ZN7rocprim17ROCPRIM_400000_NS6detail17trampoline_kernelINS0_14default_configENS1_38merge_sort_block_merge_config_selectorIlNS0_10empty_typeEEEZZNS1_27merge_sort_block_merge_implIS3_PlPS5_mZN2at6native12_GLOBAL__N_124unique_dim_cuda_templateImEESt5tupleIJNSA_6TensorESF_SF_EERKSF_lbbbEUlllE_EE10hipError_tT0_T1_T2_jT3_P12ihipStream_tbPNSt15iterator_traitsISL_E10value_typeEPNSR_ISM_E10value_typeEPSN_NS1_7vsmem_tEENKUlT_SL_SM_SN_E_clIS8_S8_S9_S9_EESK_S10_SL_SM_SN_EUlS10_E1_NS1_11comp_targetILNS1_3genE2ELNS1_11target_archE906ELNS1_3gpuE6ELNS1_3repE0EEENS1_36merge_oddeven_config_static_selectorELNS0_4arch9wavefront6targetE1EEEvSM_.private_seg_size, 0
	.set _ZN7rocprim17ROCPRIM_400000_NS6detail17trampoline_kernelINS0_14default_configENS1_38merge_sort_block_merge_config_selectorIlNS0_10empty_typeEEEZZNS1_27merge_sort_block_merge_implIS3_PlPS5_mZN2at6native12_GLOBAL__N_124unique_dim_cuda_templateImEESt5tupleIJNSA_6TensorESF_SF_EERKSF_lbbbEUlllE_EE10hipError_tT0_T1_T2_jT3_P12ihipStream_tbPNSt15iterator_traitsISL_E10value_typeEPNSR_ISM_E10value_typeEPSN_NS1_7vsmem_tEENKUlT_SL_SM_SN_E_clIS8_S8_S9_S9_EESK_S10_SL_SM_SN_EUlS10_E1_NS1_11comp_targetILNS1_3genE2ELNS1_11target_archE906ELNS1_3gpuE6ELNS1_3repE0EEENS1_36merge_oddeven_config_static_selectorELNS0_4arch9wavefront6targetE1EEEvSM_.uses_vcc, 0
	.set _ZN7rocprim17ROCPRIM_400000_NS6detail17trampoline_kernelINS0_14default_configENS1_38merge_sort_block_merge_config_selectorIlNS0_10empty_typeEEEZZNS1_27merge_sort_block_merge_implIS3_PlPS5_mZN2at6native12_GLOBAL__N_124unique_dim_cuda_templateImEESt5tupleIJNSA_6TensorESF_SF_EERKSF_lbbbEUlllE_EE10hipError_tT0_T1_T2_jT3_P12ihipStream_tbPNSt15iterator_traitsISL_E10value_typeEPNSR_ISM_E10value_typeEPSN_NS1_7vsmem_tEENKUlT_SL_SM_SN_E_clIS8_S8_S9_S9_EESK_S10_SL_SM_SN_EUlS10_E1_NS1_11comp_targetILNS1_3genE2ELNS1_11target_archE906ELNS1_3gpuE6ELNS1_3repE0EEENS1_36merge_oddeven_config_static_selectorELNS0_4arch9wavefront6targetE1EEEvSM_.uses_flat_scratch, 0
	.set _ZN7rocprim17ROCPRIM_400000_NS6detail17trampoline_kernelINS0_14default_configENS1_38merge_sort_block_merge_config_selectorIlNS0_10empty_typeEEEZZNS1_27merge_sort_block_merge_implIS3_PlPS5_mZN2at6native12_GLOBAL__N_124unique_dim_cuda_templateImEESt5tupleIJNSA_6TensorESF_SF_EERKSF_lbbbEUlllE_EE10hipError_tT0_T1_T2_jT3_P12ihipStream_tbPNSt15iterator_traitsISL_E10value_typeEPNSR_ISM_E10value_typeEPSN_NS1_7vsmem_tEENKUlT_SL_SM_SN_E_clIS8_S8_S9_S9_EESK_S10_SL_SM_SN_EUlS10_E1_NS1_11comp_targetILNS1_3genE2ELNS1_11target_archE906ELNS1_3gpuE6ELNS1_3repE0EEENS1_36merge_oddeven_config_static_selectorELNS0_4arch9wavefront6targetE1EEEvSM_.has_dyn_sized_stack, 0
	.set _ZN7rocprim17ROCPRIM_400000_NS6detail17trampoline_kernelINS0_14default_configENS1_38merge_sort_block_merge_config_selectorIlNS0_10empty_typeEEEZZNS1_27merge_sort_block_merge_implIS3_PlPS5_mZN2at6native12_GLOBAL__N_124unique_dim_cuda_templateImEESt5tupleIJNSA_6TensorESF_SF_EERKSF_lbbbEUlllE_EE10hipError_tT0_T1_T2_jT3_P12ihipStream_tbPNSt15iterator_traitsISL_E10value_typeEPNSR_ISM_E10value_typeEPSN_NS1_7vsmem_tEENKUlT_SL_SM_SN_E_clIS8_S8_S9_S9_EESK_S10_SL_SM_SN_EUlS10_E1_NS1_11comp_targetILNS1_3genE2ELNS1_11target_archE906ELNS1_3gpuE6ELNS1_3repE0EEENS1_36merge_oddeven_config_static_selectorELNS0_4arch9wavefront6targetE1EEEvSM_.has_recursion, 0
	.set _ZN7rocprim17ROCPRIM_400000_NS6detail17trampoline_kernelINS0_14default_configENS1_38merge_sort_block_merge_config_selectorIlNS0_10empty_typeEEEZZNS1_27merge_sort_block_merge_implIS3_PlPS5_mZN2at6native12_GLOBAL__N_124unique_dim_cuda_templateImEESt5tupleIJNSA_6TensorESF_SF_EERKSF_lbbbEUlllE_EE10hipError_tT0_T1_T2_jT3_P12ihipStream_tbPNSt15iterator_traitsISL_E10value_typeEPNSR_ISM_E10value_typeEPSN_NS1_7vsmem_tEENKUlT_SL_SM_SN_E_clIS8_S8_S9_S9_EESK_S10_SL_SM_SN_EUlS10_E1_NS1_11comp_targetILNS1_3genE2ELNS1_11target_archE906ELNS1_3gpuE6ELNS1_3repE0EEENS1_36merge_oddeven_config_static_selectorELNS0_4arch9wavefront6targetE1EEEvSM_.has_indirect_call, 0
	.section	.AMDGPU.csdata,"",@progbits
; Kernel info:
; codeLenInByte = 0
; TotalNumSgprs: 6
; NumVgprs: 0
; NumAgprs: 0
; TotalNumVgprs: 0
; ScratchSize: 0
; MemoryBound: 0
; FloatMode: 240
; IeeeMode: 1
; LDSByteSize: 0 bytes/workgroup (compile time only)
; SGPRBlocks: 0
; VGPRBlocks: 0
; NumSGPRsForWavesPerEU: 6
; NumVGPRsForWavesPerEU: 1
; AccumOffset: 4
; Occupancy: 8
; WaveLimiterHint : 0
; COMPUTE_PGM_RSRC2:SCRATCH_EN: 0
; COMPUTE_PGM_RSRC2:USER_SGPR: 2
; COMPUTE_PGM_RSRC2:TRAP_HANDLER: 0
; COMPUTE_PGM_RSRC2:TGID_X_EN: 1
; COMPUTE_PGM_RSRC2:TGID_Y_EN: 0
; COMPUTE_PGM_RSRC2:TGID_Z_EN: 0
; COMPUTE_PGM_RSRC2:TIDIG_COMP_CNT: 0
; COMPUTE_PGM_RSRC3_GFX90A:ACCUM_OFFSET: 0
; COMPUTE_PGM_RSRC3_GFX90A:TG_SPLIT: 0
	.section	.text._ZN7rocprim17ROCPRIM_400000_NS6detail17trampoline_kernelINS0_14default_configENS1_38merge_sort_block_merge_config_selectorIlNS0_10empty_typeEEEZZNS1_27merge_sort_block_merge_implIS3_PlPS5_mZN2at6native12_GLOBAL__N_124unique_dim_cuda_templateImEESt5tupleIJNSA_6TensorESF_SF_EERKSF_lbbbEUlllE_EE10hipError_tT0_T1_T2_jT3_P12ihipStream_tbPNSt15iterator_traitsISL_E10value_typeEPNSR_ISM_E10value_typeEPSN_NS1_7vsmem_tEENKUlT_SL_SM_SN_E_clIS8_S8_S9_S9_EESK_S10_SL_SM_SN_EUlS10_E1_NS1_11comp_targetILNS1_3genE9ELNS1_11target_archE1100ELNS1_3gpuE3ELNS1_3repE0EEENS1_36merge_oddeven_config_static_selectorELNS0_4arch9wavefront6targetE1EEEvSM_,"axG",@progbits,_ZN7rocprim17ROCPRIM_400000_NS6detail17trampoline_kernelINS0_14default_configENS1_38merge_sort_block_merge_config_selectorIlNS0_10empty_typeEEEZZNS1_27merge_sort_block_merge_implIS3_PlPS5_mZN2at6native12_GLOBAL__N_124unique_dim_cuda_templateImEESt5tupleIJNSA_6TensorESF_SF_EERKSF_lbbbEUlllE_EE10hipError_tT0_T1_T2_jT3_P12ihipStream_tbPNSt15iterator_traitsISL_E10value_typeEPNSR_ISM_E10value_typeEPSN_NS1_7vsmem_tEENKUlT_SL_SM_SN_E_clIS8_S8_S9_S9_EESK_S10_SL_SM_SN_EUlS10_E1_NS1_11comp_targetILNS1_3genE9ELNS1_11target_archE1100ELNS1_3gpuE3ELNS1_3repE0EEENS1_36merge_oddeven_config_static_selectorELNS0_4arch9wavefront6targetE1EEEvSM_,comdat
	.globl	_ZN7rocprim17ROCPRIM_400000_NS6detail17trampoline_kernelINS0_14default_configENS1_38merge_sort_block_merge_config_selectorIlNS0_10empty_typeEEEZZNS1_27merge_sort_block_merge_implIS3_PlPS5_mZN2at6native12_GLOBAL__N_124unique_dim_cuda_templateImEESt5tupleIJNSA_6TensorESF_SF_EERKSF_lbbbEUlllE_EE10hipError_tT0_T1_T2_jT3_P12ihipStream_tbPNSt15iterator_traitsISL_E10value_typeEPNSR_ISM_E10value_typeEPSN_NS1_7vsmem_tEENKUlT_SL_SM_SN_E_clIS8_S8_S9_S9_EESK_S10_SL_SM_SN_EUlS10_E1_NS1_11comp_targetILNS1_3genE9ELNS1_11target_archE1100ELNS1_3gpuE3ELNS1_3repE0EEENS1_36merge_oddeven_config_static_selectorELNS0_4arch9wavefront6targetE1EEEvSM_ ; -- Begin function _ZN7rocprim17ROCPRIM_400000_NS6detail17trampoline_kernelINS0_14default_configENS1_38merge_sort_block_merge_config_selectorIlNS0_10empty_typeEEEZZNS1_27merge_sort_block_merge_implIS3_PlPS5_mZN2at6native12_GLOBAL__N_124unique_dim_cuda_templateImEESt5tupleIJNSA_6TensorESF_SF_EERKSF_lbbbEUlllE_EE10hipError_tT0_T1_T2_jT3_P12ihipStream_tbPNSt15iterator_traitsISL_E10value_typeEPNSR_ISM_E10value_typeEPSN_NS1_7vsmem_tEENKUlT_SL_SM_SN_E_clIS8_S8_S9_S9_EESK_S10_SL_SM_SN_EUlS10_E1_NS1_11comp_targetILNS1_3genE9ELNS1_11target_archE1100ELNS1_3gpuE3ELNS1_3repE0EEENS1_36merge_oddeven_config_static_selectorELNS0_4arch9wavefront6targetE1EEEvSM_
	.p2align	8
	.type	_ZN7rocprim17ROCPRIM_400000_NS6detail17trampoline_kernelINS0_14default_configENS1_38merge_sort_block_merge_config_selectorIlNS0_10empty_typeEEEZZNS1_27merge_sort_block_merge_implIS3_PlPS5_mZN2at6native12_GLOBAL__N_124unique_dim_cuda_templateImEESt5tupleIJNSA_6TensorESF_SF_EERKSF_lbbbEUlllE_EE10hipError_tT0_T1_T2_jT3_P12ihipStream_tbPNSt15iterator_traitsISL_E10value_typeEPNSR_ISM_E10value_typeEPSN_NS1_7vsmem_tEENKUlT_SL_SM_SN_E_clIS8_S8_S9_S9_EESK_S10_SL_SM_SN_EUlS10_E1_NS1_11comp_targetILNS1_3genE9ELNS1_11target_archE1100ELNS1_3gpuE3ELNS1_3repE0EEENS1_36merge_oddeven_config_static_selectorELNS0_4arch9wavefront6targetE1EEEvSM_,@function
_ZN7rocprim17ROCPRIM_400000_NS6detail17trampoline_kernelINS0_14default_configENS1_38merge_sort_block_merge_config_selectorIlNS0_10empty_typeEEEZZNS1_27merge_sort_block_merge_implIS3_PlPS5_mZN2at6native12_GLOBAL__N_124unique_dim_cuda_templateImEESt5tupleIJNSA_6TensorESF_SF_EERKSF_lbbbEUlllE_EE10hipError_tT0_T1_T2_jT3_P12ihipStream_tbPNSt15iterator_traitsISL_E10value_typeEPNSR_ISM_E10value_typeEPSN_NS1_7vsmem_tEENKUlT_SL_SM_SN_E_clIS8_S8_S9_S9_EESK_S10_SL_SM_SN_EUlS10_E1_NS1_11comp_targetILNS1_3genE9ELNS1_11target_archE1100ELNS1_3gpuE3ELNS1_3repE0EEENS1_36merge_oddeven_config_static_selectorELNS0_4arch9wavefront6targetE1EEEvSM_: ; @_ZN7rocprim17ROCPRIM_400000_NS6detail17trampoline_kernelINS0_14default_configENS1_38merge_sort_block_merge_config_selectorIlNS0_10empty_typeEEEZZNS1_27merge_sort_block_merge_implIS3_PlPS5_mZN2at6native12_GLOBAL__N_124unique_dim_cuda_templateImEESt5tupleIJNSA_6TensorESF_SF_EERKSF_lbbbEUlllE_EE10hipError_tT0_T1_T2_jT3_P12ihipStream_tbPNSt15iterator_traitsISL_E10value_typeEPNSR_ISM_E10value_typeEPSN_NS1_7vsmem_tEENKUlT_SL_SM_SN_E_clIS8_S8_S9_S9_EESK_S10_SL_SM_SN_EUlS10_E1_NS1_11comp_targetILNS1_3genE9ELNS1_11target_archE1100ELNS1_3gpuE3ELNS1_3repE0EEENS1_36merge_oddeven_config_static_selectorELNS0_4arch9wavefront6targetE1EEEvSM_
; %bb.0:
	.section	.rodata,"a",@progbits
	.p2align	6, 0x0
	.amdhsa_kernel _ZN7rocprim17ROCPRIM_400000_NS6detail17trampoline_kernelINS0_14default_configENS1_38merge_sort_block_merge_config_selectorIlNS0_10empty_typeEEEZZNS1_27merge_sort_block_merge_implIS3_PlPS5_mZN2at6native12_GLOBAL__N_124unique_dim_cuda_templateImEESt5tupleIJNSA_6TensorESF_SF_EERKSF_lbbbEUlllE_EE10hipError_tT0_T1_T2_jT3_P12ihipStream_tbPNSt15iterator_traitsISL_E10value_typeEPNSR_ISM_E10value_typeEPSN_NS1_7vsmem_tEENKUlT_SL_SM_SN_E_clIS8_S8_S9_S9_EESK_S10_SL_SM_SN_EUlS10_E1_NS1_11comp_targetILNS1_3genE9ELNS1_11target_archE1100ELNS1_3gpuE3ELNS1_3repE0EEENS1_36merge_oddeven_config_static_selectorELNS0_4arch9wavefront6targetE1EEEvSM_
		.amdhsa_group_segment_fixed_size 0
		.amdhsa_private_segment_fixed_size 0
		.amdhsa_kernarg_size 64
		.amdhsa_user_sgpr_count 2
		.amdhsa_user_sgpr_dispatch_ptr 0
		.amdhsa_user_sgpr_queue_ptr 0
		.amdhsa_user_sgpr_kernarg_segment_ptr 1
		.amdhsa_user_sgpr_dispatch_id 0
		.amdhsa_user_sgpr_kernarg_preload_length 0
		.amdhsa_user_sgpr_kernarg_preload_offset 0
		.amdhsa_user_sgpr_private_segment_size 0
		.amdhsa_uses_dynamic_stack 0
		.amdhsa_enable_private_segment 0
		.amdhsa_system_sgpr_workgroup_id_x 1
		.amdhsa_system_sgpr_workgroup_id_y 0
		.amdhsa_system_sgpr_workgroup_id_z 0
		.amdhsa_system_sgpr_workgroup_info 0
		.amdhsa_system_vgpr_workitem_id 0
		.amdhsa_next_free_vgpr 1
		.amdhsa_next_free_sgpr 0
		.amdhsa_accum_offset 4
		.amdhsa_reserve_vcc 0
		.amdhsa_float_round_mode_32 0
		.amdhsa_float_round_mode_16_64 0
		.amdhsa_float_denorm_mode_32 3
		.amdhsa_float_denorm_mode_16_64 3
		.amdhsa_dx10_clamp 1
		.amdhsa_ieee_mode 1
		.amdhsa_fp16_overflow 0
		.amdhsa_tg_split 0
		.amdhsa_exception_fp_ieee_invalid_op 0
		.amdhsa_exception_fp_denorm_src 0
		.amdhsa_exception_fp_ieee_div_zero 0
		.amdhsa_exception_fp_ieee_overflow 0
		.amdhsa_exception_fp_ieee_underflow 0
		.amdhsa_exception_fp_ieee_inexact 0
		.amdhsa_exception_int_div_zero 0
	.end_amdhsa_kernel
	.section	.text._ZN7rocprim17ROCPRIM_400000_NS6detail17trampoline_kernelINS0_14default_configENS1_38merge_sort_block_merge_config_selectorIlNS0_10empty_typeEEEZZNS1_27merge_sort_block_merge_implIS3_PlPS5_mZN2at6native12_GLOBAL__N_124unique_dim_cuda_templateImEESt5tupleIJNSA_6TensorESF_SF_EERKSF_lbbbEUlllE_EE10hipError_tT0_T1_T2_jT3_P12ihipStream_tbPNSt15iterator_traitsISL_E10value_typeEPNSR_ISM_E10value_typeEPSN_NS1_7vsmem_tEENKUlT_SL_SM_SN_E_clIS8_S8_S9_S9_EESK_S10_SL_SM_SN_EUlS10_E1_NS1_11comp_targetILNS1_3genE9ELNS1_11target_archE1100ELNS1_3gpuE3ELNS1_3repE0EEENS1_36merge_oddeven_config_static_selectorELNS0_4arch9wavefront6targetE1EEEvSM_,"axG",@progbits,_ZN7rocprim17ROCPRIM_400000_NS6detail17trampoline_kernelINS0_14default_configENS1_38merge_sort_block_merge_config_selectorIlNS0_10empty_typeEEEZZNS1_27merge_sort_block_merge_implIS3_PlPS5_mZN2at6native12_GLOBAL__N_124unique_dim_cuda_templateImEESt5tupleIJNSA_6TensorESF_SF_EERKSF_lbbbEUlllE_EE10hipError_tT0_T1_T2_jT3_P12ihipStream_tbPNSt15iterator_traitsISL_E10value_typeEPNSR_ISM_E10value_typeEPSN_NS1_7vsmem_tEENKUlT_SL_SM_SN_E_clIS8_S8_S9_S9_EESK_S10_SL_SM_SN_EUlS10_E1_NS1_11comp_targetILNS1_3genE9ELNS1_11target_archE1100ELNS1_3gpuE3ELNS1_3repE0EEENS1_36merge_oddeven_config_static_selectorELNS0_4arch9wavefront6targetE1EEEvSM_,comdat
.Lfunc_end1636:
	.size	_ZN7rocprim17ROCPRIM_400000_NS6detail17trampoline_kernelINS0_14default_configENS1_38merge_sort_block_merge_config_selectorIlNS0_10empty_typeEEEZZNS1_27merge_sort_block_merge_implIS3_PlPS5_mZN2at6native12_GLOBAL__N_124unique_dim_cuda_templateImEESt5tupleIJNSA_6TensorESF_SF_EERKSF_lbbbEUlllE_EE10hipError_tT0_T1_T2_jT3_P12ihipStream_tbPNSt15iterator_traitsISL_E10value_typeEPNSR_ISM_E10value_typeEPSN_NS1_7vsmem_tEENKUlT_SL_SM_SN_E_clIS8_S8_S9_S9_EESK_S10_SL_SM_SN_EUlS10_E1_NS1_11comp_targetILNS1_3genE9ELNS1_11target_archE1100ELNS1_3gpuE3ELNS1_3repE0EEENS1_36merge_oddeven_config_static_selectorELNS0_4arch9wavefront6targetE1EEEvSM_, .Lfunc_end1636-_ZN7rocprim17ROCPRIM_400000_NS6detail17trampoline_kernelINS0_14default_configENS1_38merge_sort_block_merge_config_selectorIlNS0_10empty_typeEEEZZNS1_27merge_sort_block_merge_implIS3_PlPS5_mZN2at6native12_GLOBAL__N_124unique_dim_cuda_templateImEESt5tupleIJNSA_6TensorESF_SF_EERKSF_lbbbEUlllE_EE10hipError_tT0_T1_T2_jT3_P12ihipStream_tbPNSt15iterator_traitsISL_E10value_typeEPNSR_ISM_E10value_typeEPSN_NS1_7vsmem_tEENKUlT_SL_SM_SN_E_clIS8_S8_S9_S9_EESK_S10_SL_SM_SN_EUlS10_E1_NS1_11comp_targetILNS1_3genE9ELNS1_11target_archE1100ELNS1_3gpuE3ELNS1_3repE0EEENS1_36merge_oddeven_config_static_selectorELNS0_4arch9wavefront6targetE1EEEvSM_
                                        ; -- End function
	.set _ZN7rocprim17ROCPRIM_400000_NS6detail17trampoline_kernelINS0_14default_configENS1_38merge_sort_block_merge_config_selectorIlNS0_10empty_typeEEEZZNS1_27merge_sort_block_merge_implIS3_PlPS5_mZN2at6native12_GLOBAL__N_124unique_dim_cuda_templateImEESt5tupleIJNSA_6TensorESF_SF_EERKSF_lbbbEUlllE_EE10hipError_tT0_T1_T2_jT3_P12ihipStream_tbPNSt15iterator_traitsISL_E10value_typeEPNSR_ISM_E10value_typeEPSN_NS1_7vsmem_tEENKUlT_SL_SM_SN_E_clIS8_S8_S9_S9_EESK_S10_SL_SM_SN_EUlS10_E1_NS1_11comp_targetILNS1_3genE9ELNS1_11target_archE1100ELNS1_3gpuE3ELNS1_3repE0EEENS1_36merge_oddeven_config_static_selectorELNS0_4arch9wavefront6targetE1EEEvSM_.num_vgpr, 0
	.set _ZN7rocprim17ROCPRIM_400000_NS6detail17trampoline_kernelINS0_14default_configENS1_38merge_sort_block_merge_config_selectorIlNS0_10empty_typeEEEZZNS1_27merge_sort_block_merge_implIS3_PlPS5_mZN2at6native12_GLOBAL__N_124unique_dim_cuda_templateImEESt5tupleIJNSA_6TensorESF_SF_EERKSF_lbbbEUlllE_EE10hipError_tT0_T1_T2_jT3_P12ihipStream_tbPNSt15iterator_traitsISL_E10value_typeEPNSR_ISM_E10value_typeEPSN_NS1_7vsmem_tEENKUlT_SL_SM_SN_E_clIS8_S8_S9_S9_EESK_S10_SL_SM_SN_EUlS10_E1_NS1_11comp_targetILNS1_3genE9ELNS1_11target_archE1100ELNS1_3gpuE3ELNS1_3repE0EEENS1_36merge_oddeven_config_static_selectorELNS0_4arch9wavefront6targetE1EEEvSM_.num_agpr, 0
	.set _ZN7rocprim17ROCPRIM_400000_NS6detail17trampoline_kernelINS0_14default_configENS1_38merge_sort_block_merge_config_selectorIlNS0_10empty_typeEEEZZNS1_27merge_sort_block_merge_implIS3_PlPS5_mZN2at6native12_GLOBAL__N_124unique_dim_cuda_templateImEESt5tupleIJNSA_6TensorESF_SF_EERKSF_lbbbEUlllE_EE10hipError_tT0_T1_T2_jT3_P12ihipStream_tbPNSt15iterator_traitsISL_E10value_typeEPNSR_ISM_E10value_typeEPSN_NS1_7vsmem_tEENKUlT_SL_SM_SN_E_clIS8_S8_S9_S9_EESK_S10_SL_SM_SN_EUlS10_E1_NS1_11comp_targetILNS1_3genE9ELNS1_11target_archE1100ELNS1_3gpuE3ELNS1_3repE0EEENS1_36merge_oddeven_config_static_selectorELNS0_4arch9wavefront6targetE1EEEvSM_.numbered_sgpr, 0
	.set _ZN7rocprim17ROCPRIM_400000_NS6detail17trampoline_kernelINS0_14default_configENS1_38merge_sort_block_merge_config_selectorIlNS0_10empty_typeEEEZZNS1_27merge_sort_block_merge_implIS3_PlPS5_mZN2at6native12_GLOBAL__N_124unique_dim_cuda_templateImEESt5tupleIJNSA_6TensorESF_SF_EERKSF_lbbbEUlllE_EE10hipError_tT0_T1_T2_jT3_P12ihipStream_tbPNSt15iterator_traitsISL_E10value_typeEPNSR_ISM_E10value_typeEPSN_NS1_7vsmem_tEENKUlT_SL_SM_SN_E_clIS8_S8_S9_S9_EESK_S10_SL_SM_SN_EUlS10_E1_NS1_11comp_targetILNS1_3genE9ELNS1_11target_archE1100ELNS1_3gpuE3ELNS1_3repE0EEENS1_36merge_oddeven_config_static_selectorELNS0_4arch9wavefront6targetE1EEEvSM_.num_named_barrier, 0
	.set _ZN7rocprim17ROCPRIM_400000_NS6detail17trampoline_kernelINS0_14default_configENS1_38merge_sort_block_merge_config_selectorIlNS0_10empty_typeEEEZZNS1_27merge_sort_block_merge_implIS3_PlPS5_mZN2at6native12_GLOBAL__N_124unique_dim_cuda_templateImEESt5tupleIJNSA_6TensorESF_SF_EERKSF_lbbbEUlllE_EE10hipError_tT0_T1_T2_jT3_P12ihipStream_tbPNSt15iterator_traitsISL_E10value_typeEPNSR_ISM_E10value_typeEPSN_NS1_7vsmem_tEENKUlT_SL_SM_SN_E_clIS8_S8_S9_S9_EESK_S10_SL_SM_SN_EUlS10_E1_NS1_11comp_targetILNS1_3genE9ELNS1_11target_archE1100ELNS1_3gpuE3ELNS1_3repE0EEENS1_36merge_oddeven_config_static_selectorELNS0_4arch9wavefront6targetE1EEEvSM_.private_seg_size, 0
	.set _ZN7rocprim17ROCPRIM_400000_NS6detail17trampoline_kernelINS0_14default_configENS1_38merge_sort_block_merge_config_selectorIlNS0_10empty_typeEEEZZNS1_27merge_sort_block_merge_implIS3_PlPS5_mZN2at6native12_GLOBAL__N_124unique_dim_cuda_templateImEESt5tupleIJNSA_6TensorESF_SF_EERKSF_lbbbEUlllE_EE10hipError_tT0_T1_T2_jT3_P12ihipStream_tbPNSt15iterator_traitsISL_E10value_typeEPNSR_ISM_E10value_typeEPSN_NS1_7vsmem_tEENKUlT_SL_SM_SN_E_clIS8_S8_S9_S9_EESK_S10_SL_SM_SN_EUlS10_E1_NS1_11comp_targetILNS1_3genE9ELNS1_11target_archE1100ELNS1_3gpuE3ELNS1_3repE0EEENS1_36merge_oddeven_config_static_selectorELNS0_4arch9wavefront6targetE1EEEvSM_.uses_vcc, 0
	.set _ZN7rocprim17ROCPRIM_400000_NS6detail17trampoline_kernelINS0_14default_configENS1_38merge_sort_block_merge_config_selectorIlNS0_10empty_typeEEEZZNS1_27merge_sort_block_merge_implIS3_PlPS5_mZN2at6native12_GLOBAL__N_124unique_dim_cuda_templateImEESt5tupleIJNSA_6TensorESF_SF_EERKSF_lbbbEUlllE_EE10hipError_tT0_T1_T2_jT3_P12ihipStream_tbPNSt15iterator_traitsISL_E10value_typeEPNSR_ISM_E10value_typeEPSN_NS1_7vsmem_tEENKUlT_SL_SM_SN_E_clIS8_S8_S9_S9_EESK_S10_SL_SM_SN_EUlS10_E1_NS1_11comp_targetILNS1_3genE9ELNS1_11target_archE1100ELNS1_3gpuE3ELNS1_3repE0EEENS1_36merge_oddeven_config_static_selectorELNS0_4arch9wavefront6targetE1EEEvSM_.uses_flat_scratch, 0
	.set _ZN7rocprim17ROCPRIM_400000_NS6detail17trampoline_kernelINS0_14default_configENS1_38merge_sort_block_merge_config_selectorIlNS0_10empty_typeEEEZZNS1_27merge_sort_block_merge_implIS3_PlPS5_mZN2at6native12_GLOBAL__N_124unique_dim_cuda_templateImEESt5tupleIJNSA_6TensorESF_SF_EERKSF_lbbbEUlllE_EE10hipError_tT0_T1_T2_jT3_P12ihipStream_tbPNSt15iterator_traitsISL_E10value_typeEPNSR_ISM_E10value_typeEPSN_NS1_7vsmem_tEENKUlT_SL_SM_SN_E_clIS8_S8_S9_S9_EESK_S10_SL_SM_SN_EUlS10_E1_NS1_11comp_targetILNS1_3genE9ELNS1_11target_archE1100ELNS1_3gpuE3ELNS1_3repE0EEENS1_36merge_oddeven_config_static_selectorELNS0_4arch9wavefront6targetE1EEEvSM_.has_dyn_sized_stack, 0
	.set _ZN7rocprim17ROCPRIM_400000_NS6detail17trampoline_kernelINS0_14default_configENS1_38merge_sort_block_merge_config_selectorIlNS0_10empty_typeEEEZZNS1_27merge_sort_block_merge_implIS3_PlPS5_mZN2at6native12_GLOBAL__N_124unique_dim_cuda_templateImEESt5tupleIJNSA_6TensorESF_SF_EERKSF_lbbbEUlllE_EE10hipError_tT0_T1_T2_jT3_P12ihipStream_tbPNSt15iterator_traitsISL_E10value_typeEPNSR_ISM_E10value_typeEPSN_NS1_7vsmem_tEENKUlT_SL_SM_SN_E_clIS8_S8_S9_S9_EESK_S10_SL_SM_SN_EUlS10_E1_NS1_11comp_targetILNS1_3genE9ELNS1_11target_archE1100ELNS1_3gpuE3ELNS1_3repE0EEENS1_36merge_oddeven_config_static_selectorELNS0_4arch9wavefront6targetE1EEEvSM_.has_recursion, 0
	.set _ZN7rocprim17ROCPRIM_400000_NS6detail17trampoline_kernelINS0_14default_configENS1_38merge_sort_block_merge_config_selectorIlNS0_10empty_typeEEEZZNS1_27merge_sort_block_merge_implIS3_PlPS5_mZN2at6native12_GLOBAL__N_124unique_dim_cuda_templateImEESt5tupleIJNSA_6TensorESF_SF_EERKSF_lbbbEUlllE_EE10hipError_tT0_T1_T2_jT3_P12ihipStream_tbPNSt15iterator_traitsISL_E10value_typeEPNSR_ISM_E10value_typeEPSN_NS1_7vsmem_tEENKUlT_SL_SM_SN_E_clIS8_S8_S9_S9_EESK_S10_SL_SM_SN_EUlS10_E1_NS1_11comp_targetILNS1_3genE9ELNS1_11target_archE1100ELNS1_3gpuE3ELNS1_3repE0EEENS1_36merge_oddeven_config_static_selectorELNS0_4arch9wavefront6targetE1EEEvSM_.has_indirect_call, 0
	.section	.AMDGPU.csdata,"",@progbits
; Kernel info:
; codeLenInByte = 0
; TotalNumSgprs: 6
; NumVgprs: 0
; NumAgprs: 0
; TotalNumVgprs: 0
; ScratchSize: 0
; MemoryBound: 0
; FloatMode: 240
; IeeeMode: 1
; LDSByteSize: 0 bytes/workgroup (compile time only)
; SGPRBlocks: 0
; VGPRBlocks: 0
; NumSGPRsForWavesPerEU: 6
; NumVGPRsForWavesPerEU: 1
; AccumOffset: 4
; Occupancy: 8
; WaveLimiterHint : 0
; COMPUTE_PGM_RSRC2:SCRATCH_EN: 0
; COMPUTE_PGM_RSRC2:USER_SGPR: 2
; COMPUTE_PGM_RSRC2:TRAP_HANDLER: 0
; COMPUTE_PGM_RSRC2:TGID_X_EN: 1
; COMPUTE_PGM_RSRC2:TGID_Y_EN: 0
; COMPUTE_PGM_RSRC2:TGID_Z_EN: 0
; COMPUTE_PGM_RSRC2:TIDIG_COMP_CNT: 0
; COMPUTE_PGM_RSRC3_GFX90A:ACCUM_OFFSET: 0
; COMPUTE_PGM_RSRC3_GFX90A:TG_SPLIT: 0
	.section	.text._ZN7rocprim17ROCPRIM_400000_NS6detail17trampoline_kernelINS0_14default_configENS1_38merge_sort_block_merge_config_selectorIlNS0_10empty_typeEEEZZNS1_27merge_sort_block_merge_implIS3_PlPS5_mZN2at6native12_GLOBAL__N_124unique_dim_cuda_templateImEESt5tupleIJNSA_6TensorESF_SF_EERKSF_lbbbEUlllE_EE10hipError_tT0_T1_T2_jT3_P12ihipStream_tbPNSt15iterator_traitsISL_E10value_typeEPNSR_ISM_E10value_typeEPSN_NS1_7vsmem_tEENKUlT_SL_SM_SN_E_clIS8_S8_S9_S9_EESK_S10_SL_SM_SN_EUlS10_E1_NS1_11comp_targetILNS1_3genE8ELNS1_11target_archE1030ELNS1_3gpuE2ELNS1_3repE0EEENS1_36merge_oddeven_config_static_selectorELNS0_4arch9wavefront6targetE1EEEvSM_,"axG",@progbits,_ZN7rocprim17ROCPRIM_400000_NS6detail17trampoline_kernelINS0_14default_configENS1_38merge_sort_block_merge_config_selectorIlNS0_10empty_typeEEEZZNS1_27merge_sort_block_merge_implIS3_PlPS5_mZN2at6native12_GLOBAL__N_124unique_dim_cuda_templateImEESt5tupleIJNSA_6TensorESF_SF_EERKSF_lbbbEUlllE_EE10hipError_tT0_T1_T2_jT3_P12ihipStream_tbPNSt15iterator_traitsISL_E10value_typeEPNSR_ISM_E10value_typeEPSN_NS1_7vsmem_tEENKUlT_SL_SM_SN_E_clIS8_S8_S9_S9_EESK_S10_SL_SM_SN_EUlS10_E1_NS1_11comp_targetILNS1_3genE8ELNS1_11target_archE1030ELNS1_3gpuE2ELNS1_3repE0EEENS1_36merge_oddeven_config_static_selectorELNS0_4arch9wavefront6targetE1EEEvSM_,comdat
	.globl	_ZN7rocprim17ROCPRIM_400000_NS6detail17trampoline_kernelINS0_14default_configENS1_38merge_sort_block_merge_config_selectorIlNS0_10empty_typeEEEZZNS1_27merge_sort_block_merge_implIS3_PlPS5_mZN2at6native12_GLOBAL__N_124unique_dim_cuda_templateImEESt5tupleIJNSA_6TensorESF_SF_EERKSF_lbbbEUlllE_EE10hipError_tT0_T1_T2_jT3_P12ihipStream_tbPNSt15iterator_traitsISL_E10value_typeEPNSR_ISM_E10value_typeEPSN_NS1_7vsmem_tEENKUlT_SL_SM_SN_E_clIS8_S8_S9_S9_EESK_S10_SL_SM_SN_EUlS10_E1_NS1_11comp_targetILNS1_3genE8ELNS1_11target_archE1030ELNS1_3gpuE2ELNS1_3repE0EEENS1_36merge_oddeven_config_static_selectorELNS0_4arch9wavefront6targetE1EEEvSM_ ; -- Begin function _ZN7rocprim17ROCPRIM_400000_NS6detail17trampoline_kernelINS0_14default_configENS1_38merge_sort_block_merge_config_selectorIlNS0_10empty_typeEEEZZNS1_27merge_sort_block_merge_implIS3_PlPS5_mZN2at6native12_GLOBAL__N_124unique_dim_cuda_templateImEESt5tupleIJNSA_6TensorESF_SF_EERKSF_lbbbEUlllE_EE10hipError_tT0_T1_T2_jT3_P12ihipStream_tbPNSt15iterator_traitsISL_E10value_typeEPNSR_ISM_E10value_typeEPSN_NS1_7vsmem_tEENKUlT_SL_SM_SN_E_clIS8_S8_S9_S9_EESK_S10_SL_SM_SN_EUlS10_E1_NS1_11comp_targetILNS1_3genE8ELNS1_11target_archE1030ELNS1_3gpuE2ELNS1_3repE0EEENS1_36merge_oddeven_config_static_selectorELNS0_4arch9wavefront6targetE1EEEvSM_
	.p2align	8
	.type	_ZN7rocprim17ROCPRIM_400000_NS6detail17trampoline_kernelINS0_14default_configENS1_38merge_sort_block_merge_config_selectorIlNS0_10empty_typeEEEZZNS1_27merge_sort_block_merge_implIS3_PlPS5_mZN2at6native12_GLOBAL__N_124unique_dim_cuda_templateImEESt5tupleIJNSA_6TensorESF_SF_EERKSF_lbbbEUlllE_EE10hipError_tT0_T1_T2_jT3_P12ihipStream_tbPNSt15iterator_traitsISL_E10value_typeEPNSR_ISM_E10value_typeEPSN_NS1_7vsmem_tEENKUlT_SL_SM_SN_E_clIS8_S8_S9_S9_EESK_S10_SL_SM_SN_EUlS10_E1_NS1_11comp_targetILNS1_3genE8ELNS1_11target_archE1030ELNS1_3gpuE2ELNS1_3repE0EEENS1_36merge_oddeven_config_static_selectorELNS0_4arch9wavefront6targetE1EEEvSM_,@function
_ZN7rocprim17ROCPRIM_400000_NS6detail17trampoline_kernelINS0_14default_configENS1_38merge_sort_block_merge_config_selectorIlNS0_10empty_typeEEEZZNS1_27merge_sort_block_merge_implIS3_PlPS5_mZN2at6native12_GLOBAL__N_124unique_dim_cuda_templateImEESt5tupleIJNSA_6TensorESF_SF_EERKSF_lbbbEUlllE_EE10hipError_tT0_T1_T2_jT3_P12ihipStream_tbPNSt15iterator_traitsISL_E10value_typeEPNSR_ISM_E10value_typeEPSN_NS1_7vsmem_tEENKUlT_SL_SM_SN_E_clIS8_S8_S9_S9_EESK_S10_SL_SM_SN_EUlS10_E1_NS1_11comp_targetILNS1_3genE8ELNS1_11target_archE1030ELNS1_3gpuE2ELNS1_3repE0EEENS1_36merge_oddeven_config_static_selectorELNS0_4arch9wavefront6targetE1EEEvSM_: ; @_ZN7rocprim17ROCPRIM_400000_NS6detail17trampoline_kernelINS0_14default_configENS1_38merge_sort_block_merge_config_selectorIlNS0_10empty_typeEEEZZNS1_27merge_sort_block_merge_implIS3_PlPS5_mZN2at6native12_GLOBAL__N_124unique_dim_cuda_templateImEESt5tupleIJNSA_6TensorESF_SF_EERKSF_lbbbEUlllE_EE10hipError_tT0_T1_T2_jT3_P12ihipStream_tbPNSt15iterator_traitsISL_E10value_typeEPNSR_ISM_E10value_typeEPSN_NS1_7vsmem_tEENKUlT_SL_SM_SN_E_clIS8_S8_S9_S9_EESK_S10_SL_SM_SN_EUlS10_E1_NS1_11comp_targetILNS1_3genE8ELNS1_11target_archE1030ELNS1_3gpuE2ELNS1_3repE0EEENS1_36merge_oddeven_config_static_selectorELNS0_4arch9wavefront6targetE1EEEvSM_
; %bb.0:
	.section	.rodata,"a",@progbits
	.p2align	6, 0x0
	.amdhsa_kernel _ZN7rocprim17ROCPRIM_400000_NS6detail17trampoline_kernelINS0_14default_configENS1_38merge_sort_block_merge_config_selectorIlNS0_10empty_typeEEEZZNS1_27merge_sort_block_merge_implIS3_PlPS5_mZN2at6native12_GLOBAL__N_124unique_dim_cuda_templateImEESt5tupleIJNSA_6TensorESF_SF_EERKSF_lbbbEUlllE_EE10hipError_tT0_T1_T2_jT3_P12ihipStream_tbPNSt15iterator_traitsISL_E10value_typeEPNSR_ISM_E10value_typeEPSN_NS1_7vsmem_tEENKUlT_SL_SM_SN_E_clIS8_S8_S9_S9_EESK_S10_SL_SM_SN_EUlS10_E1_NS1_11comp_targetILNS1_3genE8ELNS1_11target_archE1030ELNS1_3gpuE2ELNS1_3repE0EEENS1_36merge_oddeven_config_static_selectorELNS0_4arch9wavefront6targetE1EEEvSM_
		.amdhsa_group_segment_fixed_size 0
		.amdhsa_private_segment_fixed_size 0
		.amdhsa_kernarg_size 64
		.amdhsa_user_sgpr_count 2
		.amdhsa_user_sgpr_dispatch_ptr 0
		.amdhsa_user_sgpr_queue_ptr 0
		.amdhsa_user_sgpr_kernarg_segment_ptr 1
		.amdhsa_user_sgpr_dispatch_id 0
		.amdhsa_user_sgpr_kernarg_preload_length 0
		.amdhsa_user_sgpr_kernarg_preload_offset 0
		.amdhsa_user_sgpr_private_segment_size 0
		.amdhsa_uses_dynamic_stack 0
		.amdhsa_enable_private_segment 0
		.amdhsa_system_sgpr_workgroup_id_x 1
		.amdhsa_system_sgpr_workgroup_id_y 0
		.amdhsa_system_sgpr_workgroup_id_z 0
		.amdhsa_system_sgpr_workgroup_info 0
		.amdhsa_system_vgpr_workitem_id 0
		.amdhsa_next_free_vgpr 1
		.amdhsa_next_free_sgpr 0
		.amdhsa_accum_offset 4
		.amdhsa_reserve_vcc 0
		.amdhsa_float_round_mode_32 0
		.amdhsa_float_round_mode_16_64 0
		.amdhsa_float_denorm_mode_32 3
		.amdhsa_float_denorm_mode_16_64 3
		.amdhsa_dx10_clamp 1
		.amdhsa_ieee_mode 1
		.amdhsa_fp16_overflow 0
		.amdhsa_tg_split 0
		.amdhsa_exception_fp_ieee_invalid_op 0
		.amdhsa_exception_fp_denorm_src 0
		.amdhsa_exception_fp_ieee_div_zero 0
		.amdhsa_exception_fp_ieee_overflow 0
		.amdhsa_exception_fp_ieee_underflow 0
		.amdhsa_exception_fp_ieee_inexact 0
		.amdhsa_exception_int_div_zero 0
	.end_amdhsa_kernel
	.section	.text._ZN7rocprim17ROCPRIM_400000_NS6detail17trampoline_kernelINS0_14default_configENS1_38merge_sort_block_merge_config_selectorIlNS0_10empty_typeEEEZZNS1_27merge_sort_block_merge_implIS3_PlPS5_mZN2at6native12_GLOBAL__N_124unique_dim_cuda_templateImEESt5tupleIJNSA_6TensorESF_SF_EERKSF_lbbbEUlllE_EE10hipError_tT0_T1_T2_jT3_P12ihipStream_tbPNSt15iterator_traitsISL_E10value_typeEPNSR_ISM_E10value_typeEPSN_NS1_7vsmem_tEENKUlT_SL_SM_SN_E_clIS8_S8_S9_S9_EESK_S10_SL_SM_SN_EUlS10_E1_NS1_11comp_targetILNS1_3genE8ELNS1_11target_archE1030ELNS1_3gpuE2ELNS1_3repE0EEENS1_36merge_oddeven_config_static_selectorELNS0_4arch9wavefront6targetE1EEEvSM_,"axG",@progbits,_ZN7rocprim17ROCPRIM_400000_NS6detail17trampoline_kernelINS0_14default_configENS1_38merge_sort_block_merge_config_selectorIlNS0_10empty_typeEEEZZNS1_27merge_sort_block_merge_implIS3_PlPS5_mZN2at6native12_GLOBAL__N_124unique_dim_cuda_templateImEESt5tupleIJNSA_6TensorESF_SF_EERKSF_lbbbEUlllE_EE10hipError_tT0_T1_T2_jT3_P12ihipStream_tbPNSt15iterator_traitsISL_E10value_typeEPNSR_ISM_E10value_typeEPSN_NS1_7vsmem_tEENKUlT_SL_SM_SN_E_clIS8_S8_S9_S9_EESK_S10_SL_SM_SN_EUlS10_E1_NS1_11comp_targetILNS1_3genE8ELNS1_11target_archE1030ELNS1_3gpuE2ELNS1_3repE0EEENS1_36merge_oddeven_config_static_selectorELNS0_4arch9wavefront6targetE1EEEvSM_,comdat
.Lfunc_end1637:
	.size	_ZN7rocprim17ROCPRIM_400000_NS6detail17trampoline_kernelINS0_14default_configENS1_38merge_sort_block_merge_config_selectorIlNS0_10empty_typeEEEZZNS1_27merge_sort_block_merge_implIS3_PlPS5_mZN2at6native12_GLOBAL__N_124unique_dim_cuda_templateImEESt5tupleIJNSA_6TensorESF_SF_EERKSF_lbbbEUlllE_EE10hipError_tT0_T1_T2_jT3_P12ihipStream_tbPNSt15iterator_traitsISL_E10value_typeEPNSR_ISM_E10value_typeEPSN_NS1_7vsmem_tEENKUlT_SL_SM_SN_E_clIS8_S8_S9_S9_EESK_S10_SL_SM_SN_EUlS10_E1_NS1_11comp_targetILNS1_3genE8ELNS1_11target_archE1030ELNS1_3gpuE2ELNS1_3repE0EEENS1_36merge_oddeven_config_static_selectorELNS0_4arch9wavefront6targetE1EEEvSM_, .Lfunc_end1637-_ZN7rocprim17ROCPRIM_400000_NS6detail17trampoline_kernelINS0_14default_configENS1_38merge_sort_block_merge_config_selectorIlNS0_10empty_typeEEEZZNS1_27merge_sort_block_merge_implIS3_PlPS5_mZN2at6native12_GLOBAL__N_124unique_dim_cuda_templateImEESt5tupleIJNSA_6TensorESF_SF_EERKSF_lbbbEUlllE_EE10hipError_tT0_T1_T2_jT3_P12ihipStream_tbPNSt15iterator_traitsISL_E10value_typeEPNSR_ISM_E10value_typeEPSN_NS1_7vsmem_tEENKUlT_SL_SM_SN_E_clIS8_S8_S9_S9_EESK_S10_SL_SM_SN_EUlS10_E1_NS1_11comp_targetILNS1_3genE8ELNS1_11target_archE1030ELNS1_3gpuE2ELNS1_3repE0EEENS1_36merge_oddeven_config_static_selectorELNS0_4arch9wavefront6targetE1EEEvSM_
                                        ; -- End function
	.set _ZN7rocprim17ROCPRIM_400000_NS6detail17trampoline_kernelINS0_14default_configENS1_38merge_sort_block_merge_config_selectorIlNS0_10empty_typeEEEZZNS1_27merge_sort_block_merge_implIS3_PlPS5_mZN2at6native12_GLOBAL__N_124unique_dim_cuda_templateImEESt5tupleIJNSA_6TensorESF_SF_EERKSF_lbbbEUlllE_EE10hipError_tT0_T1_T2_jT3_P12ihipStream_tbPNSt15iterator_traitsISL_E10value_typeEPNSR_ISM_E10value_typeEPSN_NS1_7vsmem_tEENKUlT_SL_SM_SN_E_clIS8_S8_S9_S9_EESK_S10_SL_SM_SN_EUlS10_E1_NS1_11comp_targetILNS1_3genE8ELNS1_11target_archE1030ELNS1_3gpuE2ELNS1_3repE0EEENS1_36merge_oddeven_config_static_selectorELNS0_4arch9wavefront6targetE1EEEvSM_.num_vgpr, 0
	.set _ZN7rocprim17ROCPRIM_400000_NS6detail17trampoline_kernelINS0_14default_configENS1_38merge_sort_block_merge_config_selectorIlNS0_10empty_typeEEEZZNS1_27merge_sort_block_merge_implIS3_PlPS5_mZN2at6native12_GLOBAL__N_124unique_dim_cuda_templateImEESt5tupleIJNSA_6TensorESF_SF_EERKSF_lbbbEUlllE_EE10hipError_tT0_T1_T2_jT3_P12ihipStream_tbPNSt15iterator_traitsISL_E10value_typeEPNSR_ISM_E10value_typeEPSN_NS1_7vsmem_tEENKUlT_SL_SM_SN_E_clIS8_S8_S9_S9_EESK_S10_SL_SM_SN_EUlS10_E1_NS1_11comp_targetILNS1_3genE8ELNS1_11target_archE1030ELNS1_3gpuE2ELNS1_3repE0EEENS1_36merge_oddeven_config_static_selectorELNS0_4arch9wavefront6targetE1EEEvSM_.num_agpr, 0
	.set _ZN7rocprim17ROCPRIM_400000_NS6detail17trampoline_kernelINS0_14default_configENS1_38merge_sort_block_merge_config_selectorIlNS0_10empty_typeEEEZZNS1_27merge_sort_block_merge_implIS3_PlPS5_mZN2at6native12_GLOBAL__N_124unique_dim_cuda_templateImEESt5tupleIJNSA_6TensorESF_SF_EERKSF_lbbbEUlllE_EE10hipError_tT0_T1_T2_jT3_P12ihipStream_tbPNSt15iterator_traitsISL_E10value_typeEPNSR_ISM_E10value_typeEPSN_NS1_7vsmem_tEENKUlT_SL_SM_SN_E_clIS8_S8_S9_S9_EESK_S10_SL_SM_SN_EUlS10_E1_NS1_11comp_targetILNS1_3genE8ELNS1_11target_archE1030ELNS1_3gpuE2ELNS1_3repE0EEENS1_36merge_oddeven_config_static_selectorELNS0_4arch9wavefront6targetE1EEEvSM_.numbered_sgpr, 0
	.set _ZN7rocprim17ROCPRIM_400000_NS6detail17trampoline_kernelINS0_14default_configENS1_38merge_sort_block_merge_config_selectorIlNS0_10empty_typeEEEZZNS1_27merge_sort_block_merge_implIS3_PlPS5_mZN2at6native12_GLOBAL__N_124unique_dim_cuda_templateImEESt5tupleIJNSA_6TensorESF_SF_EERKSF_lbbbEUlllE_EE10hipError_tT0_T1_T2_jT3_P12ihipStream_tbPNSt15iterator_traitsISL_E10value_typeEPNSR_ISM_E10value_typeEPSN_NS1_7vsmem_tEENKUlT_SL_SM_SN_E_clIS8_S8_S9_S9_EESK_S10_SL_SM_SN_EUlS10_E1_NS1_11comp_targetILNS1_3genE8ELNS1_11target_archE1030ELNS1_3gpuE2ELNS1_3repE0EEENS1_36merge_oddeven_config_static_selectorELNS0_4arch9wavefront6targetE1EEEvSM_.num_named_barrier, 0
	.set _ZN7rocprim17ROCPRIM_400000_NS6detail17trampoline_kernelINS0_14default_configENS1_38merge_sort_block_merge_config_selectorIlNS0_10empty_typeEEEZZNS1_27merge_sort_block_merge_implIS3_PlPS5_mZN2at6native12_GLOBAL__N_124unique_dim_cuda_templateImEESt5tupleIJNSA_6TensorESF_SF_EERKSF_lbbbEUlllE_EE10hipError_tT0_T1_T2_jT3_P12ihipStream_tbPNSt15iterator_traitsISL_E10value_typeEPNSR_ISM_E10value_typeEPSN_NS1_7vsmem_tEENKUlT_SL_SM_SN_E_clIS8_S8_S9_S9_EESK_S10_SL_SM_SN_EUlS10_E1_NS1_11comp_targetILNS1_3genE8ELNS1_11target_archE1030ELNS1_3gpuE2ELNS1_3repE0EEENS1_36merge_oddeven_config_static_selectorELNS0_4arch9wavefront6targetE1EEEvSM_.private_seg_size, 0
	.set _ZN7rocprim17ROCPRIM_400000_NS6detail17trampoline_kernelINS0_14default_configENS1_38merge_sort_block_merge_config_selectorIlNS0_10empty_typeEEEZZNS1_27merge_sort_block_merge_implIS3_PlPS5_mZN2at6native12_GLOBAL__N_124unique_dim_cuda_templateImEESt5tupleIJNSA_6TensorESF_SF_EERKSF_lbbbEUlllE_EE10hipError_tT0_T1_T2_jT3_P12ihipStream_tbPNSt15iterator_traitsISL_E10value_typeEPNSR_ISM_E10value_typeEPSN_NS1_7vsmem_tEENKUlT_SL_SM_SN_E_clIS8_S8_S9_S9_EESK_S10_SL_SM_SN_EUlS10_E1_NS1_11comp_targetILNS1_3genE8ELNS1_11target_archE1030ELNS1_3gpuE2ELNS1_3repE0EEENS1_36merge_oddeven_config_static_selectorELNS0_4arch9wavefront6targetE1EEEvSM_.uses_vcc, 0
	.set _ZN7rocprim17ROCPRIM_400000_NS6detail17trampoline_kernelINS0_14default_configENS1_38merge_sort_block_merge_config_selectorIlNS0_10empty_typeEEEZZNS1_27merge_sort_block_merge_implIS3_PlPS5_mZN2at6native12_GLOBAL__N_124unique_dim_cuda_templateImEESt5tupleIJNSA_6TensorESF_SF_EERKSF_lbbbEUlllE_EE10hipError_tT0_T1_T2_jT3_P12ihipStream_tbPNSt15iterator_traitsISL_E10value_typeEPNSR_ISM_E10value_typeEPSN_NS1_7vsmem_tEENKUlT_SL_SM_SN_E_clIS8_S8_S9_S9_EESK_S10_SL_SM_SN_EUlS10_E1_NS1_11comp_targetILNS1_3genE8ELNS1_11target_archE1030ELNS1_3gpuE2ELNS1_3repE0EEENS1_36merge_oddeven_config_static_selectorELNS0_4arch9wavefront6targetE1EEEvSM_.uses_flat_scratch, 0
	.set _ZN7rocprim17ROCPRIM_400000_NS6detail17trampoline_kernelINS0_14default_configENS1_38merge_sort_block_merge_config_selectorIlNS0_10empty_typeEEEZZNS1_27merge_sort_block_merge_implIS3_PlPS5_mZN2at6native12_GLOBAL__N_124unique_dim_cuda_templateImEESt5tupleIJNSA_6TensorESF_SF_EERKSF_lbbbEUlllE_EE10hipError_tT0_T1_T2_jT3_P12ihipStream_tbPNSt15iterator_traitsISL_E10value_typeEPNSR_ISM_E10value_typeEPSN_NS1_7vsmem_tEENKUlT_SL_SM_SN_E_clIS8_S8_S9_S9_EESK_S10_SL_SM_SN_EUlS10_E1_NS1_11comp_targetILNS1_3genE8ELNS1_11target_archE1030ELNS1_3gpuE2ELNS1_3repE0EEENS1_36merge_oddeven_config_static_selectorELNS0_4arch9wavefront6targetE1EEEvSM_.has_dyn_sized_stack, 0
	.set _ZN7rocprim17ROCPRIM_400000_NS6detail17trampoline_kernelINS0_14default_configENS1_38merge_sort_block_merge_config_selectorIlNS0_10empty_typeEEEZZNS1_27merge_sort_block_merge_implIS3_PlPS5_mZN2at6native12_GLOBAL__N_124unique_dim_cuda_templateImEESt5tupleIJNSA_6TensorESF_SF_EERKSF_lbbbEUlllE_EE10hipError_tT0_T1_T2_jT3_P12ihipStream_tbPNSt15iterator_traitsISL_E10value_typeEPNSR_ISM_E10value_typeEPSN_NS1_7vsmem_tEENKUlT_SL_SM_SN_E_clIS8_S8_S9_S9_EESK_S10_SL_SM_SN_EUlS10_E1_NS1_11comp_targetILNS1_3genE8ELNS1_11target_archE1030ELNS1_3gpuE2ELNS1_3repE0EEENS1_36merge_oddeven_config_static_selectorELNS0_4arch9wavefront6targetE1EEEvSM_.has_recursion, 0
	.set _ZN7rocprim17ROCPRIM_400000_NS6detail17trampoline_kernelINS0_14default_configENS1_38merge_sort_block_merge_config_selectorIlNS0_10empty_typeEEEZZNS1_27merge_sort_block_merge_implIS3_PlPS5_mZN2at6native12_GLOBAL__N_124unique_dim_cuda_templateImEESt5tupleIJNSA_6TensorESF_SF_EERKSF_lbbbEUlllE_EE10hipError_tT0_T1_T2_jT3_P12ihipStream_tbPNSt15iterator_traitsISL_E10value_typeEPNSR_ISM_E10value_typeEPSN_NS1_7vsmem_tEENKUlT_SL_SM_SN_E_clIS8_S8_S9_S9_EESK_S10_SL_SM_SN_EUlS10_E1_NS1_11comp_targetILNS1_3genE8ELNS1_11target_archE1030ELNS1_3gpuE2ELNS1_3repE0EEENS1_36merge_oddeven_config_static_selectorELNS0_4arch9wavefront6targetE1EEEvSM_.has_indirect_call, 0
	.section	.AMDGPU.csdata,"",@progbits
; Kernel info:
; codeLenInByte = 0
; TotalNumSgprs: 6
; NumVgprs: 0
; NumAgprs: 0
; TotalNumVgprs: 0
; ScratchSize: 0
; MemoryBound: 0
; FloatMode: 240
; IeeeMode: 1
; LDSByteSize: 0 bytes/workgroup (compile time only)
; SGPRBlocks: 0
; VGPRBlocks: 0
; NumSGPRsForWavesPerEU: 6
; NumVGPRsForWavesPerEU: 1
; AccumOffset: 4
; Occupancy: 8
; WaveLimiterHint : 0
; COMPUTE_PGM_RSRC2:SCRATCH_EN: 0
; COMPUTE_PGM_RSRC2:USER_SGPR: 2
; COMPUTE_PGM_RSRC2:TRAP_HANDLER: 0
; COMPUTE_PGM_RSRC2:TGID_X_EN: 1
; COMPUTE_PGM_RSRC2:TGID_Y_EN: 0
; COMPUTE_PGM_RSRC2:TGID_Z_EN: 0
; COMPUTE_PGM_RSRC2:TIDIG_COMP_CNT: 0
; COMPUTE_PGM_RSRC3_GFX90A:ACCUM_OFFSET: 0
; COMPUTE_PGM_RSRC3_GFX90A:TG_SPLIT: 0
	.section	.text._ZN7rocprim17ROCPRIM_400000_NS6detail17trampoline_kernelINS0_14default_configENS1_35adjacent_difference_config_selectorILb0ElEEZNS1_24adjacent_difference_implIS3_Lb0ELb0EPlS7_ZN2at6native12_GLOBAL__N_124unique_dim_cuda_templateImEESt5tupleIJNS8_6TensorESD_SD_EERKSD_lbbbEUlllE1_EE10hipError_tPvRmT2_T3_mT4_P12ihipStream_tbEUlT_E_NS1_11comp_targetILNS1_3genE0ELNS1_11target_archE4294967295ELNS1_3gpuE0ELNS1_3repE0EEENS1_30default_config_static_selectorELNS0_4arch9wavefront6targetE1EEEvT1_,"axG",@progbits,_ZN7rocprim17ROCPRIM_400000_NS6detail17trampoline_kernelINS0_14default_configENS1_35adjacent_difference_config_selectorILb0ElEEZNS1_24adjacent_difference_implIS3_Lb0ELb0EPlS7_ZN2at6native12_GLOBAL__N_124unique_dim_cuda_templateImEESt5tupleIJNS8_6TensorESD_SD_EERKSD_lbbbEUlllE1_EE10hipError_tPvRmT2_T3_mT4_P12ihipStream_tbEUlT_E_NS1_11comp_targetILNS1_3genE0ELNS1_11target_archE4294967295ELNS1_3gpuE0ELNS1_3repE0EEENS1_30default_config_static_selectorELNS0_4arch9wavefront6targetE1EEEvT1_,comdat
	.globl	_ZN7rocprim17ROCPRIM_400000_NS6detail17trampoline_kernelINS0_14default_configENS1_35adjacent_difference_config_selectorILb0ElEEZNS1_24adjacent_difference_implIS3_Lb0ELb0EPlS7_ZN2at6native12_GLOBAL__N_124unique_dim_cuda_templateImEESt5tupleIJNS8_6TensorESD_SD_EERKSD_lbbbEUlllE1_EE10hipError_tPvRmT2_T3_mT4_P12ihipStream_tbEUlT_E_NS1_11comp_targetILNS1_3genE0ELNS1_11target_archE4294967295ELNS1_3gpuE0ELNS1_3repE0EEENS1_30default_config_static_selectorELNS0_4arch9wavefront6targetE1EEEvT1_ ; -- Begin function _ZN7rocprim17ROCPRIM_400000_NS6detail17trampoline_kernelINS0_14default_configENS1_35adjacent_difference_config_selectorILb0ElEEZNS1_24adjacent_difference_implIS3_Lb0ELb0EPlS7_ZN2at6native12_GLOBAL__N_124unique_dim_cuda_templateImEESt5tupleIJNS8_6TensorESD_SD_EERKSD_lbbbEUlllE1_EE10hipError_tPvRmT2_T3_mT4_P12ihipStream_tbEUlT_E_NS1_11comp_targetILNS1_3genE0ELNS1_11target_archE4294967295ELNS1_3gpuE0ELNS1_3repE0EEENS1_30default_config_static_selectorELNS0_4arch9wavefront6targetE1EEEvT1_
	.p2align	8
	.type	_ZN7rocprim17ROCPRIM_400000_NS6detail17trampoline_kernelINS0_14default_configENS1_35adjacent_difference_config_selectorILb0ElEEZNS1_24adjacent_difference_implIS3_Lb0ELb0EPlS7_ZN2at6native12_GLOBAL__N_124unique_dim_cuda_templateImEESt5tupleIJNS8_6TensorESD_SD_EERKSD_lbbbEUlllE1_EE10hipError_tPvRmT2_T3_mT4_P12ihipStream_tbEUlT_E_NS1_11comp_targetILNS1_3genE0ELNS1_11target_archE4294967295ELNS1_3gpuE0ELNS1_3repE0EEENS1_30default_config_static_selectorELNS0_4arch9wavefront6targetE1EEEvT1_,@function
_ZN7rocprim17ROCPRIM_400000_NS6detail17trampoline_kernelINS0_14default_configENS1_35adjacent_difference_config_selectorILb0ElEEZNS1_24adjacent_difference_implIS3_Lb0ELb0EPlS7_ZN2at6native12_GLOBAL__N_124unique_dim_cuda_templateImEESt5tupleIJNS8_6TensorESD_SD_EERKSD_lbbbEUlllE1_EE10hipError_tPvRmT2_T3_mT4_P12ihipStream_tbEUlT_E_NS1_11comp_targetILNS1_3genE0ELNS1_11target_archE4294967295ELNS1_3gpuE0ELNS1_3repE0EEENS1_30default_config_static_selectorELNS0_4arch9wavefront6targetE1EEEvT1_: ; @_ZN7rocprim17ROCPRIM_400000_NS6detail17trampoline_kernelINS0_14default_configENS1_35adjacent_difference_config_selectorILb0ElEEZNS1_24adjacent_difference_implIS3_Lb0ELb0EPlS7_ZN2at6native12_GLOBAL__N_124unique_dim_cuda_templateImEESt5tupleIJNS8_6TensorESD_SD_EERKSD_lbbbEUlllE1_EE10hipError_tPvRmT2_T3_mT4_P12ihipStream_tbEUlT_E_NS1_11comp_targetILNS1_3genE0ELNS1_11target_archE4294967295ELNS1_3gpuE0ELNS1_3repE0EEENS1_30default_config_static_selectorELNS0_4arch9wavefront6targetE1EEEvT1_
; %bb.0:
	s_load_dwordx8 s[4:11], s[0:1], 0x0
	s_load_dwordx4 s[12:15], s[0:1], 0x20
	s_load_dwordx2 s[16:17], s[0:1], 0x38
	s_mov_b32 s19, 0
	s_mov_b64 s[20:21], -1
	s_waitcnt lgkmcnt(0)
	s_lshl_b64 s[6:7], s[6:7], 3
	s_add_u32 s22, s4, s6
	s_addc_u32 s23, s5, s7
	s_lshl_b32 s4, s2, 7
	s_lshr_b64 s[0:1], s[10:11], 7
	s_and_b32 s18, s10, 0x7f
	s_cmp_lg_u64 s[18:19], 0
	s_cselect_b64 s[18:19], -1, 0
	v_cndmask_b32_e64 v1, 0, 1, s[18:19]
	s_nop 0
	v_readfirstlane_b32 s3, v1
	s_add_u32 s18, s0, s3
	s_addc_u32 s19, s1, 0
	s_add_u32 s2, s16, s2
	s_addc_u32 s3, s17, 0
	s_add_u32 s16, s18, -1
	s_addc_u32 s17, s19, -1
	v_mov_b64_e32 v[2:3], s[16:17]
	v_cmp_ge_u64_e64 s[0:1], s[2:3], v[2:3]
	s_and_b64 vcc, exec, s[0:1]
                                        ; implicit-def: $vgpr1
	s_cbranch_vccz .LBB1638_4
; %bb.1:
	s_lshl_b32 s5, s16, 7
	s_sub_i32 s5, s10, s5
	v_cmp_gt_u32_e32 vcc, s5, v0
                                        ; implicit-def: $vgpr2_vgpr3
	s_and_saveexec_b64 s[20:21], vcc
	s_cbranch_execz .LBB1638_3
; %bb.2:
	s_mov_b32 s5, 0
	s_lshl_b64 s[24:25], s[4:5], 3
	s_add_u32 s24, s22, s24
	s_addc_u32 s25, s23, s25
	v_lshlrev_b32_e32 v1, 3, v0
	global_load_dwordx2 v[2:3], v1, s[24:25]
.LBB1638_3:
	s_or_b64 exec, exec, s[20:21]
	v_lshlrev_b32_e32 v1, 3, v0
	s_mov_b64 s[20:21], 0
	s_waitcnt vmcnt(0)
	ds_write_b64 v1, v[2:3]
	s_waitcnt lgkmcnt(0)
	s_barrier
.LBB1638_4:
	s_and_b64 vcc, exec, s[20:21]
	s_cbranch_vccz .LBB1638_6
; %bb.5:
	s_mov_b32 s5, 0
	s_lshl_b64 s[20:21], s[4:5], 3
	s_add_u32 s20, s22, s20
	s_addc_u32 s21, s23, s21
	v_lshlrev_b32_e32 v1, 3, v0
	global_load_dwordx2 v[2:3], v1, s[20:21]
	s_waitcnt vmcnt(0)
	ds_write_b64 v1, v[2:3]
	s_waitcnt lgkmcnt(0)
	s_barrier
.LBB1638_6:
	ds_read_b64 v[2:3], v1
	s_cmp_eq_u64 s[2:3], 0
	s_waitcnt lgkmcnt(0)
	s_barrier
	s_cbranch_scc1 .LBB1638_15
; %bb.7:
	s_mov_b32 s5, 0
	s_lshl_b64 s[20:21], s[4:5], 3
	s_add_u32 s5, s22, s20
	s_addc_u32 s11, s23, s21
	s_add_u32 s20, s5, -8
	s_addc_u32 s21, s11, -1
	s_load_dwordx2 s[20:21], s[20:21], 0x0
	s_cmp_eq_u64 s[2:3], s[16:17]
	s_cbranch_scc1 .LBB1638_16
; %bb.8:
	v_lshlrev_b32_e32 v1, 3, v0
	v_cmp_ne_u32_e32 vcc, 0, v0
	s_waitcnt lgkmcnt(0)
	v_mov_b64_e32 v[6:7], s[20:21]
	ds_write_b64 v1, v[2:3]
	s_waitcnt lgkmcnt(0)
	s_barrier
	s_and_saveexec_b64 s[22:23], vcc
; %bb.9:
	v_add_u32_e32 v1, -8, v1
	ds_read_b64 v[6:7], v1
; %bb.10:
	s_or_b64 exec, exec, s[22:23]
	v_cmp_lt_i64_e64 s[22:23], s[12:13], 1
	s_and_b64 vcc, exec, s[22:23]
	s_cbranch_vccnz .LBB1638_18
; %bb.11:
	v_mul_lo_u32 v1, v3, s12
	v_mul_lo_u32 v8, v2, s13
	v_mad_u64_u32 v[4:5], s[22:23], v2, s12, 0
	v_add3_u32 v5, v5, v8, v1
	s_waitcnt lgkmcnt(0)
	v_mul_lo_u32 v1, v7, s12
	v_mul_lo_u32 v8, v6, s13
	v_mad_u64_u32 v[6:7], s[22:23], v6, s12, 0
	v_add3_u32 v7, v7, v8, v1
	v_lshl_add_u64 v[4:5], v[4:5], 3, s[14:15]
	v_lshl_add_u64 v[6:7], v[6:7], 3, s[14:15]
	s_mov_b64 s[22:23], 0
	s_mov_b64 s[24:25], s[12:13]
                                        ; implicit-def: $sgpr26_sgpr27
	s_branch .LBB1638_13
.LBB1638_12:                            ;   in Loop: Header=BB1638_13 Depth=1
	s_or_b64 exec, exec, s[28:29]
	s_and_b64 s[28:29], exec, s[26:27]
	s_or_b64 s[22:23], s[28:29], s[22:23]
	s_andn2_b64 exec, exec, s[22:23]
	s_cbranch_execz .LBB1638_17
.LBB1638_13:                            ; =>This Inner Loop Header: Depth=1
	global_load_dwordx2 v[10:11], v[4:5], off
	global_load_dwordx2 v[12:13], v[6:7], off
	v_mov_b64_e32 v[8:9], 1
	s_or_b64 s[26:27], s[26:27], exec
	s_waitcnt vmcnt(0)
	v_cmp_eq_u64_e32 vcc, v[10:11], v[12:13]
	s_and_saveexec_b64 s[28:29], vcc
	s_cbranch_execz .LBB1638_12
; %bb.14:                               ;   in Loop: Header=BB1638_13 Depth=1
	s_add_u32 s24, s24, -1
	s_addc_u32 s25, s25, -1
	s_cmp_eq_u64 s[24:25], 0
	s_cselect_b64 s[30:31], -1, 0
	s_andn2_b64 s[26:27], s[26:27], exec
	s_and_b64 s[30:31], s[30:31], exec
	v_lshl_add_u64 v[4:5], v[4:5], 0, 8
	v_lshl_add_u64 v[6:7], v[6:7], 0, 8
	v_mov_b64_e32 v[8:9], 0
	s_or_b64 s[26:27], s[26:27], s[30:31]
	s_branch .LBB1638_12
.LBB1638_15:
                                        ; implicit-def: $vgpr8_vgpr9
	s_branch .LBB1638_31
.LBB1638_16:
                                        ; implicit-def: $vgpr8_vgpr9
	s_cbranch_execnz .LBB1638_19
	s_branch .LBB1638_30
.LBB1638_17:
	s_or_b64 exec, exec, s[22:23]
	s_branch .LBB1638_30
.LBB1638_18:
	v_mov_b64_e32 v[8:9], 0
	s_branch .LBB1638_30
.LBB1638_19:
	v_lshlrev_b32_e32 v1, 3, v0
	v_cmp_ne_u32_e32 vcc, 0, v0
	s_waitcnt lgkmcnt(0)
	v_mov_b64_e32 v[6:7], s[20:21]
	ds_write_b64 v1, v[2:3]
	s_waitcnt lgkmcnt(0)
	s_barrier
	s_and_saveexec_b64 s[20:21], vcc
; %bb.20:
	v_add_u32_e32 v1, -8, v1
	ds_read_b64 v[6:7], v1
; %bb.21:
	s_or_b64 exec, exec, s[20:21]
	s_lshl_b32 s2, s2, 7
	s_sub_i32 s2, s10, s2
	v_cmp_gt_u32_e32 vcc, s2, v0
	v_mov_b64_e32 v[8:9], v[2:3]
	s_and_saveexec_b64 s[2:3], vcc
	s_cbranch_execz .LBB1638_29
; %bb.22:
	v_cmp_lt_i64_e64 s[20:21], s[12:13], 1
	s_and_b64 vcc, exec, s[20:21]
	s_cbranch_vccnz .LBB1638_28
; %bb.23:
	v_mul_lo_u32 v1, v3, s12
	v_mul_lo_u32 v8, v2, s13
	v_mad_u64_u32 v[4:5], s[20:21], v2, s12, 0
	v_add3_u32 v5, v5, v8, v1
	s_waitcnt lgkmcnt(0)
	v_mul_lo_u32 v1, v7, s12
	v_mul_lo_u32 v8, v6, s13
	v_mad_u64_u32 v[6:7], s[20:21], v6, s12, 0
	v_add3_u32 v7, v7, v8, v1
	v_lshl_add_u64 v[4:5], v[4:5], 3, s[14:15]
	v_lshl_add_u64 v[6:7], v[6:7], 3, s[14:15]
	s_mov_b64 s[20:21], 0
	s_mov_b64 s[22:23], s[12:13]
                                        ; implicit-def: $sgpr24_sgpr25
	s_branch .LBB1638_25
.LBB1638_24:                            ;   in Loop: Header=BB1638_25 Depth=1
	s_or_b64 exec, exec, s[26:27]
	s_and_b64 s[26:27], exec, s[24:25]
	s_or_b64 s[20:21], s[26:27], s[20:21]
	s_andn2_b64 exec, exec, s[20:21]
	s_cbranch_execz .LBB1638_27
.LBB1638_25:                            ; =>This Inner Loop Header: Depth=1
	global_load_dwordx2 v[10:11], v[4:5], off
	global_load_dwordx2 v[12:13], v[6:7], off
	v_mov_b64_e32 v[8:9], 1
	s_or_b64 s[24:25], s[24:25], exec
	s_waitcnt vmcnt(0)
	v_cmp_eq_u64_e32 vcc, v[10:11], v[12:13]
	s_and_saveexec_b64 s[26:27], vcc
	s_cbranch_execz .LBB1638_24
; %bb.26:                               ;   in Loop: Header=BB1638_25 Depth=1
	s_add_u32 s22, s22, -1
	s_addc_u32 s23, s23, -1
	s_cmp_eq_u64 s[22:23], 0
	s_cselect_b64 s[28:29], -1, 0
	s_andn2_b64 s[24:25], s[24:25], exec
	s_and_b64 s[28:29], s[28:29], exec
	v_lshl_add_u64 v[4:5], v[4:5], 0, 8
	v_lshl_add_u64 v[6:7], v[6:7], 0, 8
	v_mov_b64_e32 v[8:9], 0
	s_or_b64 s[24:25], s[24:25], s[28:29]
	s_branch .LBB1638_24
.LBB1638_27:
	s_or_b64 exec, exec, s[20:21]
	s_branch .LBB1638_29
.LBB1638_28:
	v_mov_b64_e32 v[8:9], 0
.LBB1638_29:
	s_or_b64 exec, exec, s[2:3]
.LBB1638_30:
	s_cbranch_execnz .LBB1638_51
.LBB1638_31:
	s_cmp_eq_u64 s[18:19], 1
	v_cmp_ne_u32_e32 vcc, 0, v0
	s_cbranch_scc1 .LBB1638_38
; %bb.32:
	v_lshlrev_b32_e32 v1, 3, v0
	v_mov_b64_e32 v[8:9], v[2:3]
	ds_write_b64 v1, v[2:3]
	s_waitcnt lgkmcnt(0)
	s_barrier
	s_and_saveexec_b64 s[2:3], vcc
	s_cbranch_execz .LBB1638_41
; %bb.33:
	v_cmp_lt_i64_e64 s[18:19], s[12:13], 1
	s_and_b64 vcc, exec, s[18:19]
	s_cbranch_vccnz .LBB1638_40
; %bb.34:
	v_add_u32_e32 v1, -8, v1
	ds_read_b64 v[6:7], v1
	v_mul_lo_u32 v1, v3, s12
	v_mul_lo_u32 v8, v2, s13
	v_mad_u64_u32 v[4:5], s[18:19], v2, s12, 0
	v_add3_u32 v5, v5, v8, v1
	s_waitcnt lgkmcnt(0)
	v_mul_lo_u32 v1, s13, v6
	v_mul_lo_u32 v8, s12, v7
	v_mad_u64_u32 v[6:7], s[18:19], s12, v6, 0
	v_add3_u32 v7, v7, v8, v1
	v_lshl_add_u64 v[4:5], v[4:5], 3, s[14:15]
	v_lshl_add_u64 v[6:7], v[6:7], 3, s[14:15]
	s_mov_b64 s[18:19], 0
	s_mov_b64 s[20:21], s[12:13]
                                        ; implicit-def: $sgpr22_sgpr23
	s_branch .LBB1638_36
.LBB1638_35:                            ;   in Loop: Header=BB1638_36 Depth=1
	s_or_b64 exec, exec, s[24:25]
	s_and_b64 s[24:25], exec, s[22:23]
	s_or_b64 s[18:19], s[24:25], s[18:19]
	s_andn2_b64 exec, exec, s[18:19]
	s_cbranch_execz .LBB1638_39
.LBB1638_36:                            ; =>This Inner Loop Header: Depth=1
	global_load_dwordx2 v[10:11], v[4:5], off
	global_load_dwordx2 v[12:13], v[6:7], off
	v_mov_b64_e32 v[8:9], 1
	s_or_b64 s[22:23], s[22:23], exec
	s_waitcnt vmcnt(0)
	v_cmp_eq_u64_e32 vcc, v[10:11], v[12:13]
	s_and_saveexec_b64 s[24:25], vcc
	s_cbranch_execz .LBB1638_35
; %bb.37:                               ;   in Loop: Header=BB1638_36 Depth=1
	s_add_u32 s20, s20, -1
	s_addc_u32 s21, s21, -1
	s_cmp_eq_u64 s[20:21], 0
	s_cselect_b64 s[26:27], -1, 0
	s_andn2_b64 s[22:23], s[22:23], exec
	s_and_b64 s[26:27], s[26:27], exec
	v_lshl_add_u64 v[4:5], v[4:5], 0, 8
	v_lshl_add_u64 v[6:7], v[6:7], 0, 8
	v_mov_b64_e32 v[8:9], 0
	s_or_b64 s[22:23], s[22:23], s[26:27]
	s_branch .LBB1638_35
.LBB1638_38:
                                        ; implicit-def: $vgpr8_vgpr9
	s_branch .LBB1638_42
.LBB1638_39:
	s_or_b64 exec, exec, s[18:19]
	s_branch .LBB1638_41
.LBB1638_40:
	v_mov_b64_e32 v[8:9], 0
.LBB1638_41:
	s_or_b64 exec, exec, s[2:3]
	s_cbranch_execnz .LBB1638_51
.LBB1638_42:
	v_cmp_ne_u32_e32 vcc, 0, v0
	v_cmp_gt_u32_e64 s[2:3], s10, v0
	v_lshlrev_b32_e32 v1, 3, v0
	s_and_b64 s[18:19], vcc, s[2:3]
	ds_write_b64 v1, v[2:3]
	s_waitcnt lgkmcnt(0)
	s_barrier
	s_and_saveexec_b64 s[2:3], s[18:19]
	s_cbranch_execz .LBB1638_50
; %bb.43:
	v_cmp_lt_i64_e64 s[18:19], s[12:13], 1
	s_and_b64 vcc, exec, s[18:19]
	s_cbranch_vccnz .LBB1638_49
; %bb.44:
	v_add_u32_e32 v1, -8, v1
	ds_read_b64 v[6:7], v1
	v_mul_lo_u32 v1, v3, s12
	v_mul_lo_u32 v4, v2, s13
	v_mad_u64_u32 v[2:3], s[18:19], v2, s12, 0
	v_add3_u32 v3, v3, v4, v1
	v_lshl_add_u64 v[4:5], v[2:3], 3, s[14:15]
	s_waitcnt lgkmcnt(0)
	v_mul_lo_u32 v1, s13, v6
	v_mul_lo_u32 v7, s12, v7
	v_mad_u64_u32 v[2:3], s[18:19], s12, v6, 0
	v_add3_u32 v3, v3, v7, v1
	v_lshl_add_u64 v[6:7], v[2:3], 3, s[14:15]
	s_mov_b64 s[14:15], 0
                                        ; implicit-def: $sgpr18_sgpr19
	s_branch .LBB1638_46
.LBB1638_45:                            ;   in Loop: Header=BB1638_46 Depth=1
	s_or_b64 exec, exec, s[20:21]
	s_and_b64 s[20:21], exec, s[18:19]
	s_or_b64 s[14:15], s[20:21], s[14:15]
	s_andn2_b64 exec, exec, s[14:15]
	s_cbranch_execz .LBB1638_48
.LBB1638_46:                            ; =>This Inner Loop Header: Depth=1
	global_load_dwordx2 v[8:9], v[4:5], off
	global_load_dwordx2 v[10:11], v[6:7], off
	v_mov_b64_e32 v[2:3], 1
	s_or_b64 s[18:19], s[18:19], exec
	s_waitcnt vmcnt(0)
	v_cmp_eq_u64_e32 vcc, v[8:9], v[10:11]
	s_and_saveexec_b64 s[20:21], vcc
	s_cbranch_execz .LBB1638_45
; %bb.47:                               ;   in Loop: Header=BB1638_46 Depth=1
	s_add_u32 s12, s12, -1
	s_addc_u32 s13, s13, -1
	s_cmp_eq_u64 s[12:13], 0
	s_cselect_b64 s[22:23], -1, 0
	s_andn2_b64 s[18:19], s[18:19], exec
	s_and_b64 s[22:23], s[22:23], exec
	v_lshl_add_u64 v[4:5], v[4:5], 0, 8
	v_lshl_add_u64 v[6:7], v[6:7], 0, 8
	v_mov_b64_e32 v[2:3], 0
	s_or_b64 s[18:19], s[18:19], s[22:23]
	s_branch .LBB1638_45
.LBB1638_48:
	s_or_b64 exec, exec, s[14:15]
	s_branch .LBB1638_50
.LBB1638_49:
	v_mov_b64_e32 v[2:3], 0
.LBB1638_50:
	s_or_b64 exec, exec, s[2:3]
	v_mov_b64_e32 v[8:9], v[2:3]
.LBB1638_51:
	s_add_u32 s6, s8, s6
	s_addc_u32 s7, s9, s7
	s_mov_b64 s[2:3], -1
	s_and_b64 vcc, exec, s[0:1]
	s_waitcnt lgkmcnt(0)
	s_barrier
	s_cbranch_vccnz .LBB1638_54
; %bb.52:
	s_andn2_b64 vcc, exec, s[2:3]
	s_cbranch_vccz .LBB1638_57
.LBB1638_53:
	s_endpgm
.LBB1638_54:
	s_lshl_b32 s0, s16, 7
	s_sub_i32 s0, s10, s0
	v_lshlrev_b32_e32 v1, 3, v0
	v_cmp_gt_u32_e32 vcc, s0, v0
	ds_write_b64 v1, v[8:9]
	s_waitcnt lgkmcnt(0)
	s_barrier
	s_and_saveexec_b64 s[0:1], vcc
	s_cbranch_execz .LBB1638_56
; %bb.55:
	ds_read_b64 v[2:3], v1
	s_mov_b32 s5, 0
	s_lshl_b64 s[2:3], s[4:5], 3
	s_add_u32 s2, s6, s2
	s_addc_u32 s3, s7, s3
	s_waitcnt lgkmcnt(0)
	global_store_dwordx2 v1, v[2:3], s[2:3]
.LBB1638_56:
	s_or_b64 exec, exec, s[0:1]
	s_cbranch_execnz .LBB1638_53
.LBB1638_57:
	v_lshlrev_b32_e32 v2, 3, v0
	ds_write_b64 v2, v[8:9]
	s_waitcnt lgkmcnt(0)
	s_barrier
	ds_read_b64 v[0:1], v2
	s_mov_b32 s5, 0
	s_lshl_b64 s[0:1], s[4:5], 3
	s_add_u32 s0, s6, s0
	s_addc_u32 s1, s7, s1
	s_waitcnt lgkmcnt(0)
	global_store_dwordx2 v2, v[0:1], s[0:1]
	s_endpgm
	.section	.rodata,"a",@progbits
	.p2align	6, 0x0
	.amdhsa_kernel _ZN7rocprim17ROCPRIM_400000_NS6detail17trampoline_kernelINS0_14default_configENS1_35adjacent_difference_config_selectorILb0ElEEZNS1_24adjacent_difference_implIS3_Lb0ELb0EPlS7_ZN2at6native12_GLOBAL__N_124unique_dim_cuda_templateImEESt5tupleIJNS8_6TensorESD_SD_EERKSD_lbbbEUlllE1_EE10hipError_tPvRmT2_T3_mT4_P12ihipStream_tbEUlT_E_NS1_11comp_targetILNS1_3genE0ELNS1_11target_archE4294967295ELNS1_3gpuE0ELNS1_3repE0EEENS1_30default_config_static_selectorELNS0_4arch9wavefront6targetE1EEEvT1_
		.amdhsa_group_segment_fixed_size 2048
		.amdhsa_private_segment_fixed_size 0
		.amdhsa_kernarg_size 64
		.amdhsa_user_sgpr_count 2
		.amdhsa_user_sgpr_dispatch_ptr 0
		.amdhsa_user_sgpr_queue_ptr 0
		.amdhsa_user_sgpr_kernarg_segment_ptr 1
		.amdhsa_user_sgpr_dispatch_id 0
		.amdhsa_user_sgpr_kernarg_preload_length 0
		.amdhsa_user_sgpr_kernarg_preload_offset 0
		.amdhsa_user_sgpr_private_segment_size 0
		.amdhsa_uses_dynamic_stack 0
		.amdhsa_enable_private_segment 0
		.amdhsa_system_sgpr_workgroup_id_x 1
		.amdhsa_system_sgpr_workgroup_id_y 0
		.amdhsa_system_sgpr_workgroup_id_z 0
		.amdhsa_system_sgpr_workgroup_info 0
		.amdhsa_system_vgpr_workitem_id 0
		.amdhsa_next_free_vgpr 14
		.amdhsa_next_free_sgpr 32
		.amdhsa_accum_offset 16
		.amdhsa_reserve_vcc 1
		.amdhsa_float_round_mode_32 0
		.amdhsa_float_round_mode_16_64 0
		.amdhsa_float_denorm_mode_32 3
		.amdhsa_float_denorm_mode_16_64 3
		.amdhsa_dx10_clamp 1
		.amdhsa_ieee_mode 1
		.amdhsa_fp16_overflow 0
		.amdhsa_tg_split 0
		.amdhsa_exception_fp_ieee_invalid_op 0
		.amdhsa_exception_fp_denorm_src 0
		.amdhsa_exception_fp_ieee_div_zero 0
		.amdhsa_exception_fp_ieee_overflow 0
		.amdhsa_exception_fp_ieee_underflow 0
		.amdhsa_exception_fp_ieee_inexact 0
		.amdhsa_exception_int_div_zero 0
	.end_amdhsa_kernel
	.section	.text._ZN7rocprim17ROCPRIM_400000_NS6detail17trampoline_kernelINS0_14default_configENS1_35adjacent_difference_config_selectorILb0ElEEZNS1_24adjacent_difference_implIS3_Lb0ELb0EPlS7_ZN2at6native12_GLOBAL__N_124unique_dim_cuda_templateImEESt5tupleIJNS8_6TensorESD_SD_EERKSD_lbbbEUlllE1_EE10hipError_tPvRmT2_T3_mT4_P12ihipStream_tbEUlT_E_NS1_11comp_targetILNS1_3genE0ELNS1_11target_archE4294967295ELNS1_3gpuE0ELNS1_3repE0EEENS1_30default_config_static_selectorELNS0_4arch9wavefront6targetE1EEEvT1_,"axG",@progbits,_ZN7rocprim17ROCPRIM_400000_NS6detail17trampoline_kernelINS0_14default_configENS1_35adjacent_difference_config_selectorILb0ElEEZNS1_24adjacent_difference_implIS3_Lb0ELb0EPlS7_ZN2at6native12_GLOBAL__N_124unique_dim_cuda_templateImEESt5tupleIJNS8_6TensorESD_SD_EERKSD_lbbbEUlllE1_EE10hipError_tPvRmT2_T3_mT4_P12ihipStream_tbEUlT_E_NS1_11comp_targetILNS1_3genE0ELNS1_11target_archE4294967295ELNS1_3gpuE0ELNS1_3repE0EEENS1_30default_config_static_selectorELNS0_4arch9wavefront6targetE1EEEvT1_,comdat
.Lfunc_end1638:
	.size	_ZN7rocprim17ROCPRIM_400000_NS6detail17trampoline_kernelINS0_14default_configENS1_35adjacent_difference_config_selectorILb0ElEEZNS1_24adjacent_difference_implIS3_Lb0ELb0EPlS7_ZN2at6native12_GLOBAL__N_124unique_dim_cuda_templateImEESt5tupleIJNS8_6TensorESD_SD_EERKSD_lbbbEUlllE1_EE10hipError_tPvRmT2_T3_mT4_P12ihipStream_tbEUlT_E_NS1_11comp_targetILNS1_3genE0ELNS1_11target_archE4294967295ELNS1_3gpuE0ELNS1_3repE0EEENS1_30default_config_static_selectorELNS0_4arch9wavefront6targetE1EEEvT1_, .Lfunc_end1638-_ZN7rocprim17ROCPRIM_400000_NS6detail17trampoline_kernelINS0_14default_configENS1_35adjacent_difference_config_selectorILb0ElEEZNS1_24adjacent_difference_implIS3_Lb0ELb0EPlS7_ZN2at6native12_GLOBAL__N_124unique_dim_cuda_templateImEESt5tupleIJNS8_6TensorESD_SD_EERKSD_lbbbEUlllE1_EE10hipError_tPvRmT2_T3_mT4_P12ihipStream_tbEUlT_E_NS1_11comp_targetILNS1_3genE0ELNS1_11target_archE4294967295ELNS1_3gpuE0ELNS1_3repE0EEENS1_30default_config_static_selectorELNS0_4arch9wavefront6targetE1EEEvT1_
                                        ; -- End function
	.set _ZN7rocprim17ROCPRIM_400000_NS6detail17trampoline_kernelINS0_14default_configENS1_35adjacent_difference_config_selectorILb0ElEEZNS1_24adjacent_difference_implIS3_Lb0ELb0EPlS7_ZN2at6native12_GLOBAL__N_124unique_dim_cuda_templateImEESt5tupleIJNS8_6TensorESD_SD_EERKSD_lbbbEUlllE1_EE10hipError_tPvRmT2_T3_mT4_P12ihipStream_tbEUlT_E_NS1_11comp_targetILNS1_3genE0ELNS1_11target_archE4294967295ELNS1_3gpuE0ELNS1_3repE0EEENS1_30default_config_static_selectorELNS0_4arch9wavefront6targetE1EEEvT1_.num_vgpr, 14
	.set _ZN7rocprim17ROCPRIM_400000_NS6detail17trampoline_kernelINS0_14default_configENS1_35adjacent_difference_config_selectorILb0ElEEZNS1_24adjacent_difference_implIS3_Lb0ELb0EPlS7_ZN2at6native12_GLOBAL__N_124unique_dim_cuda_templateImEESt5tupleIJNS8_6TensorESD_SD_EERKSD_lbbbEUlllE1_EE10hipError_tPvRmT2_T3_mT4_P12ihipStream_tbEUlT_E_NS1_11comp_targetILNS1_3genE0ELNS1_11target_archE4294967295ELNS1_3gpuE0ELNS1_3repE0EEENS1_30default_config_static_selectorELNS0_4arch9wavefront6targetE1EEEvT1_.num_agpr, 0
	.set _ZN7rocprim17ROCPRIM_400000_NS6detail17trampoline_kernelINS0_14default_configENS1_35adjacent_difference_config_selectorILb0ElEEZNS1_24adjacent_difference_implIS3_Lb0ELb0EPlS7_ZN2at6native12_GLOBAL__N_124unique_dim_cuda_templateImEESt5tupleIJNS8_6TensorESD_SD_EERKSD_lbbbEUlllE1_EE10hipError_tPvRmT2_T3_mT4_P12ihipStream_tbEUlT_E_NS1_11comp_targetILNS1_3genE0ELNS1_11target_archE4294967295ELNS1_3gpuE0ELNS1_3repE0EEENS1_30default_config_static_selectorELNS0_4arch9wavefront6targetE1EEEvT1_.numbered_sgpr, 32
	.set _ZN7rocprim17ROCPRIM_400000_NS6detail17trampoline_kernelINS0_14default_configENS1_35adjacent_difference_config_selectorILb0ElEEZNS1_24adjacent_difference_implIS3_Lb0ELb0EPlS7_ZN2at6native12_GLOBAL__N_124unique_dim_cuda_templateImEESt5tupleIJNS8_6TensorESD_SD_EERKSD_lbbbEUlllE1_EE10hipError_tPvRmT2_T3_mT4_P12ihipStream_tbEUlT_E_NS1_11comp_targetILNS1_3genE0ELNS1_11target_archE4294967295ELNS1_3gpuE0ELNS1_3repE0EEENS1_30default_config_static_selectorELNS0_4arch9wavefront6targetE1EEEvT1_.num_named_barrier, 0
	.set _ZN7rocprim17ROCPRIM_400000_NS6detail17trampoline_kernelINS0_14default_configENS1_35adjacent_difference_config_selectorILb0ElEEZNS1_24adjacent_difference_implIS3_Lb0ELb0EPlS7_ZN2at6native12_GLOBAL__N_124unique_dim_cuda_templateImEESt5tupleIJNS8_6TensorESD_SD_EERKSD_lbbbEUlllE1_EE10hipError_tPvRmT2_T3_mT4_P12ihipStream_tbEUlT_E_NS1_11comp_targetILNS1_3genE0ELNS1_11target_archE4294967295ELNS1_3gpuE0ELNS1_3repE0EEENS1_30default_config_static_selectorELNS0_4arch9wavefront6targetE1EEEvT1_.private_seg_size, 0
	.set _ZN7rocprim17ROCPRIM_400000_NS6detail17trampoline_kernelINS0_14default_configENS1_35adjacent_difference_config_selectorILb0ElEEZNS1_24adjacent_difference_implIS3_Lb0ELb0EPlS7_ZN2at6native12_GLOBAL__N_124unique_dim_cuda_templateImEESt5tupleIJNS8_6TensorESD_SD_EERKSD_lbbbEUlllE1_EE10hipError_tPvRmT2_T3_mT4_P12ihipStream_tbEUlT_E_NS1_11comp_targetILNS1_3genE0ELNS1_11target_archE4294967295ELNS1_3gpuE0ELNS1_3repE0EEENS1_30default_config_static_selectorELNS0_4arch9wavefront6targetE1EEEvT1_.uses_vcc, 1
	.set _ZN7rocprim17ROCPRIM_400000_NS6detail17trampoline_kernelINS0_14default_configENS1_35adjacent_difference_config_selectorILb0ElEEZNS1_24adjacent_difference_implIS3_Lb0ELb0EPlS7_ZN2at6native12_GLOBAL__N_124unique_dim_cuda_templateImEESt5tupleIJNS8_6TensorESD_SD_EERKSD_lbbbEUlllE1_EE10hipError_tPvRmT2_T3_mT4_P12ihipStream_tbEUlT_E_NS1_11comp_targetILNS1_3genE0ELNS1_11target_archE4294967295ELNS1_3gpuE0ELNS1_3repE0EEENS1_30default_config_static_selectorELNS0_4arch9wavefront6targetE1EEEvT1_.uses_flat_scratch, 0
	.set _ZN7rocprim17ROCPRIM_400000_NS6detail17trampoline_kernelINS0_14default_configENS1_35adjacent_difference_config_selectorILb0ElEEZNS1_24adjacent_difference_implIS3_Lb0ELb0EPlS7_ZN2at6native12_GLOBAL__N_124unique_dim_cuda_templateImEESt5tupleIJNS8_6TensorESD_SD_EERKSD_lbbbEUlllE1_EE10hipError_tPvRmT2_T3_mT4_P12ihipStream_tbEUlT_E_NS1_11comp_targetILNS1_3genE0ELNS1_11target_archE4294967295ELNS1_3gpuE0ELNS1_3repE0EEENS1_30default_config_static_selectorELNS0_4arch9wavefront6targetE1EEEvT1_.has_dyn_sized_stack, 0
	.set _ZN7rocprim17ROCPRIM_400000_NS6detail17trampoline_kernelINS0_14default_configENS1_35adjacent_difference_config_selectorILb0ElEEZNS1_24adjacent_difference_implIS3_Lb0ELb0EPlS7_ZN2at6native12_GLOBAL__N_124unique_dim_cuda_templateImEESt5tupleIJNS8_6TensorESD_SD_EERKSD_lbbbEUlllE1_EE10hipError_tPvRmT2_T3_mT4_P12ihipStream_tbEUlT_E_NS1_11comp_targetILNS1_3genE0ELNS1_11target_archE4294967295ELNS1_3gpuE0ELNS1_3repE0EEENS1_30default_config_static_selectorELNS0_4arch9wavefront6targetE1EEEvT1_.has_recursion, 0
	.set _ZN7rocprim17ROCPRIM_400000_NS6detail17trampoline_kernelINS0_14default_configENS1_35adjacent_difference_config_selectorILb0ElEEZNS1_24adjacent_difference_implIS3_Lb0ELb0EPlS7_ZN2at6native12_GLOBAL__N_124unique_dim_cuda_templateImEESt5tupleIJNS8_6TensorESD_SD_EERKSD_lbbbEUlllE1_EE10hipError_tPvRmT2_T3_mT4_P12ihipStream_tbEUlT_E_NS1_11comp_targetILNS1_3genE0ELNS1_11target_archE4294967295ELNS1_3gpuE0ELNS1_3repE0EEENS1_30default_config_static_selectorELNS0_4arch9wavefront6targetE1EEEvT1_.has_indirect_call, 0
	.section	.AMDGPU.csdata,"",@progbits
; Kernel info:
; codeLenInByte = 1740
; TotalNumSgprs: 38
; NumVgprs: 14
; NumAgprs: 0
; TotalNumVgprs: 14
; ScratchSize: 0
; MemoryBound: 0
; FloatMode: 240
; IeeeMode: 1
; LDSByteSize: 2048 bytes/workgroup (compile time only)
; SGPRBlocks: 4
; VGPRBlocks: 1
; NumSGPRsForWavesPerEU: 38
; NumVGPRsForWavesPerEU: 14
; AccumOffset: 16
; Occupancy: 8
; WaveLimiterHint : 0
; COMPUTE_PGM_RSRC2:SCRATCH_EN: 0
; COMPUTE_PGM_RSRC2:USER_SGPR: 2
; COMPUTE_PGM_RSRC2:TRAP_HANDLER: 0
; COMPUTE_PGM_RSRC2:TGID_X_EN: 1
; COMPUTE_PGM_RSRC2:TGID_Y_EN: 0
; COMPUTE_PGM_RSRC2:TGID_Z_EN: 0
; COMPUTE_PGM_RSRC2:TIDIG_COMP_CNT: 0
; COMPUTE_PGM_RSRC3_GFX90A:ACCUM_OFFSET: 3
; COMPUTE_PGM_RSRC3_GFX90A:TG_SPLIT: 0
	.section	.text._ZN7rocprim17ROCPRIM_400000_NS6detail17trampoline_kernelINS0_14default_configENS1_35adjacent_difference_config_selectorILb0ElEEZNS1_24adjacent_difference_implIS3_Lb0ELb0EPlS7_ZN2at6native12_GLOBAL__N_124unique_dim_cuda_templateImEESt5tupleIJNS8_6TensorESD_SD_EERKSD_lbbbEUlllE1_EE10hipError_tPvRmT2_T3_mT4_P12ihipStream_tbEUlT_E_NS1_11comp_targetILNS1_3genE10ELNS1_11target_archE1201ELNS1_3gpuE5ELNS1_3repE0EEENS1_30default_config_static_selectorELNS0_4arch9wavefront6targetE1EEEvT1_,"axG",@progbits,_ZN7rocprim17ROCPRIM_400000_NS6detail17trampoline_kernelINS0_14default_configENS1_35adjacent_difference_config_selectorILb0ElEEZNS1_24adjacent_difference_implIS3_Lb0ELb0EPlS7_ZN2at6native12_GLOBAL__N_124unique_dim_cuda_templateImEESt5tupleIJNS8_6TensorESD_SD_EERKSD_lbbbEUlllE1_EE10hipError_tPvRmT2_T3_mT4_P12ihipStream_tbEUlT_E_NS1_11comp_targetILNS1_3genE10ELNS1_11target_archE1201ELNS1_3gpuE5ELNS1_3repE0EEENS1_30default_config_static_selectorELNS0_4arch9wavefront6targetE1EEEvT1_,comdat
	.globl	_ZN7rocprim17ROCPRIM_400000_NS6detail17trampoline_kernelINS0_14default_configENS1_35adjacent_difference_config_selectorILb0ElEEZNS1_24adjacent_difference_implIS3_Lb0ELb0EPlS7_ZN2at6native12_GLOBAL__N_124unique_dim_cuda_templateImEESt5tupleIJNS8_6TensorESD_SD_EERKSD_lbbbEUlllE1_EE10hipError_tPvRmT2_T3_mT4_P12ihipStream_tbEUlT_E_NS1_11comp_targetILNS1_3genE10ELNS1_11target_archE1201ELNS1_3gpuE5ELNS1_3repE0EEENS1_30default_config_static_selectorELNS0_4arch9wavefront6targetE1EEEvT1_ ; -- Begin function _ZN7rocprim17ROCPRIM_400000_NS6detail17trampoline_kernelINS0_14default_configENS1_35adjacent_difference_config_selectorILb0ElEEZNS1_24adjacent_difference_implIS3_Lb0ELb0EPlS7_ZN2at6native12_GLOBAL__N_124unique_dim_cuda_templateImEESt5tupleIJNS8_6TensorESD_SD_EERKSD_lbbbEUlllE1_EE10hipError_tPvRmT2_T3_mT4_P12ihipStream_tbEUlT_E_NS1_11comp_targetILNS1_3genE10ELNS1_11target_archE1201ELNS1_3gpuE5ELNS1_3repE0EEENS1_30default_config_static_selectorELNS0_4arch9wavefront6targetE1EEEvT1_
	.p2align	8
	.type	_ZN7rocprim17ROCPRIM_400000_NS6detail17trampoline_kernelINS0_14default_configENS1_35adjacent_difference_config_selectorILb0ElEEZNS1_24adjacent_difference_implIS3_Lb0ELb0EPlS7_ZN2at6native12_GLOBAL__N_124unique_dim_cuda_templateImEESt5tupleIJNS8_6TensorESD_SD_EERKSD_lbbbEUlllE1_EE10hipError_tPvRmT2_T3_mT4_P12ihipStream_tbEUlT_E_NS1_11comp_targetILNS1_3genE10ELNS1_11target_archE1201ELNS1_3gpuE5ELNS1_3repE0EEENS1_30default_config_static_selectorELNS0_4arch9wavefront6targetE1EEEvT1_,@function
_ZN7rocprim17ROCPRIM_400000_NS6detail17trampoline_kernelINS0_14default_configENS1_35adjacent_difference_config_selectorILb0ElEEZNS1_24adjacent_difference_implIS3_Lb0ELb0EPlS7_ZN2at6native12_GLOBAL__N_124unique_dim_cuda_templateImEESt5tupleIJNS8_6TensorESD_SD_EERKSD_lbbbEUlllE1_EE10hipError_tPvRmT2_T3_mT4_P12ihipStream_tbEUlT_E_NS1_11comp_targetILNS1_3genE10ELNS1_11target_archE1201ELNS1_3gpuE5ELNS1_3repE0EEENS1_30default_config_static_selectorELNS0_4arch9wavefront6targetE1EEEvT1_: ; @_ZN7rocprim17ROCPRIM_400000_NS6detail17trampoline_kernelINS0_14default_configENS1_35adjacent_difference_config_selectorILb0ElEEZNS1_24adjacent_difference_implIS3_Lb0ELb0EPlS7_ZN2at6native12_GLOBAL__N_124unique_dim_cuda_templateImEESt5tupleIJNS8_6TensorESD_SD_EERKSD_lbbbEUlllE1_EE10hipError_tPvRmT2_T3_mT4_P12ihipStream_tbEUlT_E_NS1_11comp_targetILNS1_3genE10ELNS1_11target_archE1201ELNS1_3gpuE5ELNS1_3repE0EEENS1_30default_config_static_selectorELNS0_4arch9wavefront6targetE1EEEvT1_
; %bb.0:
	.section	.rodata,"a",@progbits
	.p2align	6, 0x0
	.amdhsa_kernel _ZN7rocprim17ROCPRIM_400000_NS6detail17trampoline_kernelINS0_14default_configENS1_35adjacent_difference_config_selectorILb0ElEEZNS1_24adjacent_difference_implIS3_Lb0ELb0EPlS7_ZN2at6native12_GLOBAL__N_124unique_dim_cuda_templateImEESt5tupleIJNS8_6TensorESD_SD_EERKSD_lbbbEUlllE1_EE10hipError_tPvRmT2_T3_mT4_P12ihipStream_tbEUlT_E_NS1_11comp_targetILNS1_3genE10ELNS1_11target_archE1201ELNS1_3gpuE5ELNS1_3repE0EEENS1_30default_config_static_selectorELNS0_4arch9wavefront6targetE1EEEvT1_
		.amdhsa_group_segment_fixed_size 0
		.amdhsa_private_segment_fixed_size 0
		.amdhsa_kernarg_size 64
		.amdhsa_user_sgpr_count 2
		.amdhsa_user_sgpr_dispatch_ptr 0
		.amdhsa_user_sgpr_queue_ptr 0
		.amdhsa_user_sgpr_kernarg_segment_ptr 1
		.amdhsa_user_sgpr_dispatch_id 0
		.amdhsa_user_sgpr_kernarg_preload_length 0
		.amdhsa_user_sgpr_kernarg_preload_offset 0
		.amdhsa_user_sgpr_private_segment_size 0
		.amdhsa_uses_dynamic_stack 0
		.amdhsa_enable_private_segment 0
		.amdhsa_system_sgpr_workgroup_id_x 1
		.amdhsa_system_sgpr_workgroup_id_y 0
		.amdhsa_system_sgpr_workgroup_id_z 0
		.amdhsa_system_sgpr_workgroup_info 0
		.amdhsa_system_vgpr_workitem_id 0
		.amdhsa_next_free_vgpr 1
		.amdhsa_next_free_sgpr 0
		.amdhsa_accum_offset 4
		.amdhsa_reserve_vcc 0
		.amdhsa_float_round_mode_32 0
		.amdhsa_float_round_mode_16_64 0
		.amdhsa_float_denorm_mode_32 3
		.amdhsa_float_denorm_mode_16_64 3
		.amdhsa_dx10_clamp 1
		.amdhsa_ieee_mode 1
		.amdhsa_fp16_overflow 0
		.amdhsa_tg_split 0
		.amdhsa_exception_fp_ieee_invalid_op 0
		.amdhsa_exception_fp_denorm_src 0
		.amdhsa_exception_fp_ieee_div_zero 0
		.amdhsa_exception_fp_ieee_overflow 0
		.amdhsa_exception_fp_ieee_underflow 0
		.amdhsa_exception_fp_ieee_inexact 0
		.amdhsa_exception_int_div_zero 0
	.end_amdhsa_kernel
	.section	.text._ZN7rocprim17ROCPRIM_400000_NS6detail17trampoline_kernelINS0_14default_configENS1_35adjacent_difference_config_selectorILb0ElEEZNS1_24adjacent_difference_implIS3_Lb0ELb0EPlS7_ZN2at6native12_GLOBAL__N_124unique_dim_cuda_templateImEESt5tupleIJNS8_6TensorESD_SD_EERKSD_lbbbEUlllE1_EE10hipError_tPvRmT2_T3_mT4_P12ihipStream_tbEUlT_E_NS1_11comp_targetILNS1_3genE10ELNS1_11target_archE1201ELNS1_3gpuE5ELNS1_3repE0EEENS1_30default_config_static_selectorELNS0_4arch9wavefront6targetE1EEEvT1_,"axG",@progbits,_ZN7rocprim17ROCPRIM_400000_NS6detail17trampoline_kernelINS0_14default_configENS1_35adjacent_difference_config_selectorILb0ElEEZNS1_24adjacent_difference_implIS3_Lb0ELb0EPlS7_ZN2at6native12_GLOBAL__N_124unique_dim_cuda_templateImEESt5tupleIJNS8_6TensorESD_SD_EERKSD_lbbbEUlllE1_EE10hipError_tPvRmT2_T3_mT4_P12ihipStream_tbEUlT_E_NS1_11comp_targetILNS1_3genE10ELNS1_11target_archE1201ELNS1_3gpuE5ELNS1_3repE0EEENS1_30default_config_static_selectorELNS0_4arch9wavefront6targetE1EEEvT1_,comdat
.Lfunc_end1639:
	.size	_ZN7rocprim17ROCPRIM_400000_NS6detail17trampoline_kernelINS0_14default_configENS1_35adjacent_difference_config_selectorILb0ElEEZNS1_24adjacent_difference_implIS3_Lb0ELb0EPlS7_ZN2at6native12_GLOBAL__N_124unique_dim_cuda_templateImEESt5tupleIJNS8_6TensorESD_SD_EERKSD_lbbbEUlllE1_EE10hipError_tPvRmT2_T3_mT4_P12ihipStream_tbEUlT_E_NS1_11comp_targetILNS1_3genE10ELNS1_11target_archE1201ELNS1_3gpuE5ELNS1_3repE0EEENS1_30default_config_static_selectorELNS0_4arch9wavefront6targetE1EEEvT1_, .Lfunc_end1639-_ZN7rocprim17ROCPRIM_400000_NS6detail17trampoline_kernelINS0_14default_configENS1_35adjacent_difference_config_selectorILb0ElEEZNS1_24adjacent_difference_implIS3_Lb0ELb0EPlS7_ZN2at6native12_GLOBAL__N_124unique_dim_cuda_templateImEESt5tupleIJNS8_6TensorESD_SD_EERKSD_lbbbEUlllE1_EE10hipError_tPvRmT2_T3_mT4_P12ihipStream_tbEUlT_E_NS1_11comp_targetILNS1_3genE10ELNS1_11target_archE1201ELNS1_3gpuE5ELNS1_3repE0EEENS1_30default_config_static_selectorELNS0_4arch9wavefront6targetE1EEEvT1_
                                        ; -- End function
	.set _ZN7rocprim17ROCPRIM_400000_NS6detail17trampoline_kernelINS0_14default_configENS1_35adjacent_difference_config_selectorILb0ElEEZNS1_24adjacent_difference_implIS3_Lb0ELb0EPlS7_ZN2at6native12_GLOBAL__N_124unique_dim_cuda_templateImEESt5tupleIJNS8_6TensorESD_SD_EERKSD_lbbbEUlllE1_EE10hipError_tPvRmT2_T3_mT4_P12ihipStream_tbEUlT_E_NS1_11comp_targetILNS1_3genE10ELNS1_11target_archE1201ELNS1_3gpuE5ELNS1_3repE0EEENS1_30default_config_static_selectorELNS0_4arch9wavefront6targetE1EEEvT1_.num_vgpr, 0
	.set _ZN7rocprim17ROCPRIM_400000_NS6detail17trampoline_kernelINS0_14default_configENS1_35adjacent_difference_config_selectorILb0ElEEZNS1_24adjacent_difference_implIS3_Lb0ELb0EPlS7_ZN2at6native12_GLOBAL__N_124unique_dim_cuda_templateImEESt5tupleIJNS8_6TensorESD_SD_EERKSD_lbbbEUlllE1_EE10hipError_tPvRmT2_T3_mT4_P12ihipStream_tbEUlT_E_NS1_11comp_targetILNS1_3genE10ELNS1_11target_archE1201ELNS1_3gpuE5ELNS1_3repE0EEENS1_30default_config_static_selectorELNS0_4arch9wavefront6targetE1EEEvT1_.num_agpr, 0
	.set _ZN7rocprim17ROCPRIM_400000_NS6detail17trampoline_kernelINS0_14default_configENS1_35adjacent_difference_config_selectorILb0ElEEZNS1_24adjacent_difference_implIS3_Lb0ELb0EPlS7_ZN2at6native12_GLOBAL__N_124unique_dim_cuda_templateImEESt5tupleIJNS8_6TensorESD_SD_EERKSD_lbbbEUlllE1_EE10hipError_tPvRmT2_T3_mT4_P12ihipStream_tbEUlT_E_NS1_11comp_targetILNS1_3genE10ELNS1_11target_archE1201ELNS1_3gpuE5ELNS1_3repE0EEENS1_30default_config_static_selectorELNS0_4arch9wavefront6targetE1EEEvT1_.numbered_sgpr, 0
	.set _ZN7rocprim17ROCPRIM_400000_NS6detail17trampoline_kernelINS0_14default_configENS1_35adjacent_difference_config_selectorILb0ElEEZNS1_24adjacent_difference_implIS3_Lb0ELb0EPlS7_ZN2at6native12_GLOBAL__N_124unique_dim_cuda_templateImEESt5tupleIJNS8_6TensorESD_SD_EERKSD_lbbbEUlllE1_EE10hipError_tPvRmT2_T3_mT4_P12ihipStream_tbEUlT_E_NS1_11comp_targetILNS1_3genE10ELNS1_11target_archE1201ELNS1_3gpuE5ELNS1_3repE0EEENS1_30default_config_static_selectorELNS0_4arch9wavefront6targetE1EEEvT1_.num_named_barrier, 0
	.set _ZN7rocprim17ROCPRIM_400000_NS6detail17trampoline_kernelINS0_14default_configENS1_35adjacent_difference_config_selectorILb0ElEEZNS1_24adjacent_difference_implIS3_Lb0ELb0EPlS7_ZN2at6native12_GLOBAL__N_124unique_dim_cuda_templateImEESt5tupleIJNS8_6TensorESD_SD_EERKSD_lbbbEUlllE1_EE10hipError_tPvRmT2_T3_mT4_P12ihipStream_tbEUlT_E_NS1_11comp_targetILNS1_3genE10ELNS1_11target_archE1201ELNS1_3gpuE5ELNS1_3repE0EEENS1_30default_config_static_selectorELNS0_4arch9wavefront6targetE1EEEvT1_.private_seg_size, 0
	.set _ZN7rocprim17ROCPRIM_400000_NS6detail17trampoline_kernelINS0_14default_configENS1_35adjacent_difference_config_selectorILb0ElEEZNS1_24adjacent_difference_implIS3_Lb0ELb0EPlS7_ZN2at6native12_GLOBAL__N_124unique_dim_cuda_templateImEESt5tupleIJNS8_6TensorESD_SD_EERKSD_lbbbEUlllE1_EE10hipError_tPvRmT2_T3_mT4_P12ihipStream_tbEUlT_E_NS1_11comp_targetILNS1_3genE10ELNS1_11target_archE1201ELNS1_3gpuE5ELNS1_3repE0EEENS1_30default_config_static_selectorELNS0_4arch9wavefront6targetE1EEEvT1_.uses_vcc, 0
	.set _ZN7rocprim17ROCPRIM_400000_NS6detail17trampoline_kernelINS0_14default_configENS1_35adjacent_difference_config_selectorILb0ElEEZNS1_24adjacent_difference_implIS3_Lb0ELb0EPlS7_ZN2at6native12_GLOBAL__N_124unique_dim_cuda_templateImEESt5tupleIJNS8_6TensorESD_SD_EERKSD_lbbbEUlllE1_EE10hipError_tPvRmT2_T3_mT4_P12ihipStream_tbEUlT_E_NS1_11comp_targetILNS1_3genE10ELNS1_11target_archE1201ELNS1_3gpuE5ELNS1_3repE0EEENS1_30default_config_static_selectorELNS0_4arch9wavefront6targetE1EEEvT1_.uses_flat_scratch, 0
	.set _ZN7rocprim17ROCPRIM_400000_NS6detail17trampoline_kernelINS0_14default_configENS1_35adjacent_difference_config_selectorILb0ElEEZNS1_24adjacent_difference_implIS3_Lb0ELb0EPlS7_ZN2at6native12_GLOBAL__N_124unique_dim_cuda_templateImEESt5tupleIJNS8_6TensorESD_SD_EERKSD_lbbbEUlllE1_EE10hipError_tPvRmT2_T3_mT4_P12ihipStream_tbEUlT_E_NS1_11comp_targetILNS1_3genE10ELNS1_11target_archE1201ELNS1_3gpuE5ELNS1_3repE0EEENS1_30default_config_static_selectorELNS0_4arch9wavefront6targetE1EEEvT1_.has_dyn_sized_stack, 0
	.set _ZN7rocprim17ROCPRIM_400000_NS6detail17trampoline_kernelINS0_14default_configENS1_35adjacent_difference_config_selectorILb0ElEEZNS1_24adjacent_difference_implIS3_Lb0ELb0EPlS7_ZN2at6native12_GLOBAL__N_124unique_dim_cuda_templateImEESt5tupleIJNS8_6TensorESD_SD_EERKSD_lbbbEUlllE1_EE10hipError_tPvRmT2_T3_mT4_P12ihipStream_tbEUlT_E_NS1_11comp_targetILNS1_3genE10ELNS1_11target_archE1201ELNS1_3gpuE5ELNS1_3repE0EEENS1_30default_config_static_selectorELNS0_4arch9wavefront6targetE1EEEvT1_.has_recursion, 0
	.set _ZN7rocprim17ROCPRIM_400000_NS6detail17trampoline_kernelINS0_14default_configENS1_35adjacent_difference_config_selectorILb0ElEEZNS1_24adjacent_difference_implIS3_Lb0ELb0EPlS7_ZN2at6native12_GLOBAL__N_124unique_dim_cuda_templateImEESt5tupleIJNS8_6TensorESD_SD_EERKSD_lbbbEUlllE1_EE10hipError_tPvRmT2_T3_mT4_P12ihipStream_tbEUlT_E_NS1_11comp_targetILNS1_3genE10ELNS1_11target_archE1201ELNS1_3gpuE5ELNS1_3repE0EEENS1_30default_config_static_selectorELNS0_4arch9wavefront6targetE1EEEvT1_.has_indirect_call, 0
	.section	.AMDGPU.csdata,"",@progbits
; Kernel info:
; codeLenInByte = 0
; TotalNumSgprs: 6
; NumVgprs: 0
; NumAgprs: 0
; TotalNumVgprs: 0
; ScratchSize: 0
; MemoryBound: 0
; FloatMode: 240
; IeeeMode: 1
; LDSByteSize: 0 bytes/workgroup (compile time only)
; SGPRBlocks: 0
; VGPRBlocks: 0
; NumSGPRsForWavesPerEU: 6
; NumVGPRsForWavesPerEU: 1
; AccumOffset: 4
; Occupancy: 8
; WaveLimiterHint : 0
; COMPUTE_PGM_RSRC2:SCRATCH_EN: 0
; COMPUTE_PGM_RSRC2:USER_SGPR: 2
; COMPUTE_PGM_RSRC2:TRAP_HANDLER: 0
; COMPUTE_PGM_RSRC2:TGID_X_EN: 1
; COMPUTE_PGM_RSRC2:TGID_Y_EN: 0
; COMPUTE_PGM_RSRC2:TGID_Z_EN: 0
; COMPUTE_PGM_RSRC2:TIDIG_COMP_CNT: 0
; COMPUTE_PGM_RSRC3_GFX90A:ACCUM_OFFSET: 0
; COMPUTE_PGM_RSRC3_GFX90A:TG_SPLIT: 0
	.section	.text._ZN7rocprim17ROCPRIM_400000_NS6detail17trampoline_kernelINS0_14default_configENS1_35adjacent_difference_config_selectorILb0ElEEZNS1_24adjacent_difference_implIS3_Lb0ELb0EPlS7_ZN2at6native12_GLOBAL__N_124unique_dim_cuda_templateImEESt5tupleIJNS8_6TensorESD_SD_EERKSD_lbbbEUlllE1_EE10hipError_tPvRmT2_T3_mT4_P12ihipStream_tbEUlT_E_NS1_11comp_targetILNS1_3genE5ELNS1_11target_archE942ELNS1_3gpuE9ELNS1_3repE0EEENS1_30default_config_static_selectorELNS0_4arch9wavefront6targetE1EEEvT1_,"axG",@progbits,_ZN7rocprim17ROCPRIM_400000_NS6detail17trampoline_kernelINS0_14default_configENS1_35adjacent_difference_config_selectorILb0ElEEZNS1_24adjacent_difference_implIS3_Lb0ELb0EPlS7_ZN2at6native12_GLOBAL__N_124unique_dim_cuda_templateImEESt5tupleIJNS8_6TensorESD_SD_EERKSD_lbbbEUlllE1_EE10hipError_tPvRmT2_T3_mT4_P12ihipStream_tbEUlT_E_NS1_11comp_targetILNS1_3genE5ELNS1_11target_archE942ELNS1_3gpuE9ELNS1_3repE0EEENS1_30default_config_static_selectorELNS0_4arch9wavefront6targetE1EEEvT1_,comdat
	.globl	_ZN7rocprim17ROCPRIM_400000_NS6detail17trampoline_kernelINS0_14default_configENS1_35adjacent_difference_config_selectorILb0ElEEZNS1_24adjacent_difference_implIS3_Lb0ELb0EPlS7_ZN2at6native12_GLOBAL__N_124unique_dim_cuda_templateImEESt5tupleIJNS8_6TensorESD_SD_EERKSD_lbbbEUlllE1_EE10hipError_tPvRmT2_T3_mT4_P12ihipStream_tbEUlT_E_NS1_11comp_targetILNS1_3genE5ELNS1_11target_archE942ELNS1_3gpuE9ELNS1_3repE0EEENS1_30default_config_static_selectorELNS0_4arch9wavefront6targetE1EEEvT1_ ; -- Begin function _ZN7rocprim17ROCPRIM_400000_NS6detail17trampoline_kernelINS0_14default_configENS1_35adjacent_difference_config_selectorILb0ElEEZNS1_24adjacent_difference_implIS3_Lb0ELb0EPlS7_ZN2at6native12_GLOBAL__N_124unique_dim_cuda_templateImEESt5tupleIJNS8_6TensorESD_SD_EERKSD_lbbbEUlllE1_EE10hipError_tPvRmT2_T3_mT4_P12ihipStream_tbEUlT_E_NS1_11comp_targetILNS1_3genE5ELNS1_11target_archE942ELNS1_3gpuE9ELNS1_3repE0EEENS1_30default_config_static_selectorELNS0_4arch9wavefront6targetE1EEEvT1_
	.p2align	8
	.type	_ZN7rocprim17ROCPRIM_400000_NS6detail17trampoline_kernelINS0_14default_configENS1_35adjacent_difference_config_selectorILb0ElEEZNS1_24adjacent_difference_implIS3_Lb0ELb0EPlS7_ZN2at6native12_GLOBAL__N_124unique_dim_cuda_templateImEESt5tupleIJNS8_6TensorESD_SD_EERKSD_lbbbEUlllE1_EE10hipError_tPvRmT2_T3_mT4_P12ihipStream_tbEUlT_E_NS1_11comp_targetILNS1_3genE5ELNS1_11target_archE942ELNS1_3gpuE9ELNS1_3repE0EEENS1_30default_config_static_selectorELNS0_4arch9wavefront6targetE1EEEvT1_,@function
_ZN7rocprim17ROCPRIM_400000_NS6detail17trampoline_kernelINS0_14default_configENS1_35adjacent_difference_config_selectorILb0ElEEZNS1_24adjacent_difference_implIS3_Lb0ELb0EPlS7_ZN2at6native12_GLOBAL__N_124unique_dim_cuda_templateImEESt5tupleIJNS8_6TensorESD_SD_EERKSD_lbbbEUlllE1_EE10hipError_tPvRmT2_T3_mT4_P12ihipStream_tbEUlT_E_NS1_11comp_targetILNS1_3genE5ELNS1_11target_archE942ELNS1_3gpuE9ELNS1_3repE0EEENS1_30default_config_static_selectorELNS0_4arch9wavefront6targetE1EEEvT1_: ; @_ZN7rocprim17ROCPRIM_400000_NS6detail17trampoline_kernelINS0_14default_configENS1_35adjacent_difference_config_selectorILb0ElEEZNS1_24adjacent_difference_implIS3_Lb0ELb0EPlS7_ZN2at6native12_GLOBAL__N_124unique_dim_cuda_templateImEESt5tupleIJNS8_6TensorESD_SD_EERKSD_lbbbEUlllE1_EE10hipError_tPvRmT2_T3_mT4_P12ihipStream_tbEUlT_E_NS1_11comp_targetILNS1_3genE5ELNS1_11target_archE942ELNS1_3gpuE9ELNS1_3repE0EEENS1_30default_config_static_selectorELNS0_4arch9wavefront6targetE1EEEvT1_
; %bb.0:
	.section	.rodata,"a",@progbits
	.p2align	6, 0x0
	.amdhsa_kernel _ZN7rocprim17ROCPRIM_400000_NS6detail17trampoline_kernelINS0_14default_configENS1_35adjacent_difference_config_selectorILb0ElEEZNS1_24adjacent_difference_implIS3_Lb0ELb0EPlS7_ZN2at6native12_GLOBAL__N_124unique_dim_cuda_templateImEESt5tupleIJNS8_6TensorESD_SD_EERKSD_lbbbEUlllE1_EE10hipError_tPvRmT2_T3_mT4_P12ihipStream_tbEUlT_E_NS1_11comp_targetILNS1_3genE5ELNS1_11target_archE942ELNS1_3gpuE9ELNS1_3repE0EEENS1_30default_config_static_selectorELNS0_4arch9wavefront6targetE1EEEvT1_
		.amdhsa_group_segment_fixed_size 0
		.amdhsa_private_segment_fixed_size 0
		.amdhsa_kernarg_size 64
		.amdhsa_user_sgpr_count 2
		.amdhsa_user_sgpr_dispatch_ptr 0
		.amdhsa_user_sgpr_queue_ptr 0
		.amdhsa_user_sgpr_kernarg_segment_ptr 1
		.amdhsa_user_sgpr_dispatch_id 0
		.amdhsa_user_sgpr_kernarg_preload_length 0
		.amdhsa_user_sgpr_kernarg_preload_offset 0
		.amdhsa_user_sgpr_private_segment_size 0
		.amdhsa_uses_dynamic_stack 0
		.amdhsa_enable_private_segment 0
		.amdhsa_system_sgpr_workgroup_id_x 1
		.amdhsa_system_sgpr_workgroup_id_y 0
		.amdhsa_system_sgpr_workgroup_id_z 0
		.amdhsa_system_sgpr_workgroup_info 0
		.amdhsa_system_vgpr_workitem_id 0
		.amdhsa_next_free_vgpr 1
		.amdhsa_next_free_sgpr 0
		.amdhsa_accum_offset 4
		.amdhsa_reserve_vcc 0
		.amdhsa_float_round_mode_32 0
		.amdhsa_float_round_mode_16_64 0
		.amdhsa_float_denorm_mode_32 3
		.amdhsa_float_denorm_mode_16_64 3
		.amdhsa_dx10_clamp 1
		.amdhsa_ieee_mode 1
		.amdhsa_fp16_overflow 0
		.amdhsa_tg_split 0
		.amdhsa_exception_fp_ieee_invalid_op 0
		.amdhsa_exception_fp_denorm_src 0
		.amdhsa_exception_fp_ieee_div_zero 0
		.amdhsa_exception_fp_ieee_overflow 0
		.amdhsa_exception_fp_ieee_underflow 0
		.amdhsa_exception_fp_ieee_inexact 0
		.amdhsa_exception_int_div_zero 0
	.end_amdhsa_kernel
	.section	.text._ZN7rocprim17ROCPRIM_400000_NS6detail17trampoline_kernelINS0_14default_configENS1_35adjacent_difference_config_selectorILb0ElEEZNS1_24adjacent_difference_implIS3_Lb0ELb0EPlS7_ZN2at6native12_GLOBAL__N_124unique_dim_cuda_templateImEESt5tupleIJNS8_6TensorESD_SD_EERKSD_lbbbEUlllE1_EE10hipError_tPvRmT2_T3_mT4_P12ihipStream_tbEUlT_E_NS1_11comp_targetILNS1_3genE5ELNS1_11target_archE942ELNS1_3gpuE9ELNS1_3repE0EEENS1_30default_config_static_selectorELNS0_4arch9wavefront6targetE1EEEvT1_,"axG",@progbits,_ZN7rocprim17ROCPRIM_400000_NS6detail17trampoline_kernelINS0_14default_configENS1_35adjacent_difference_config_selectorILb0ElEEZNS1_24adjacent_difference_implIS3_Lb0ELb0EPlS7_ZN2at6native12_GLOBAL__N_124unique_dim_cuda_templateImEESt5tupleIJNS8_6TensorESD_SD_EERKSD_lbbbEUlllE1_EE10hipError_tPvRmT2_T3_mT4_P12ihipStream_tbEUlT_E_NS1_11comp_targetILNS1_3genE5ELNS1_11target_archE942ELNS1_3gpuE9ELNS1_3repE0EEENS1_30default_config_static_selectorELNS0_4arch9wavefront6targetE1EEEvT1_,comdat
.Lfunc_end1640:
	.size	_ZN7rocprim17ROCPRIM_400000_NS6detail17trampoline_kernelINS0_14default_configENS1_35adjacent_difference_config_selectorILb0ElEEZNS1_24adjacent_difference_implIS3_Lb0ELb0EPlS7_ZN2at6native12_GLOBAL__N_124unique_dim_cuda_templateImEESt5tupleIJNS8_6TensorESD_SD_EERKSD_lbbbEUlllE1_EE10hipError_tPvRmT2_T3_mT4_P12ihipStream_tbEUlT_E_NS1_11comp_targetILNS1_3genE5ELNS1_11target_archE942ELNS1_3gpuE9ELNS1_3repE0EEENS1_30default_config_static_selectorELNS0_4arch9wavefront6targetE1EEEvT1_, .Lfunc_end1640-_ZN7rocprim17ROCPRIM_400000_NS6detail17trampoline_kernelINS0_14default_configENS1_35adjacent_difference_config_selectorILb0ElEEZNS1_24adjacent_difference_implIS3_Lb0ELb0EPlS7_ZN2at6native12_GLOBAL__N_124unique_dim_cuda_templateImEESt5tupleIJNS8_6TensorESD_SD_EERKSD_lbbbEUlllE1_EE10hipError_tPvRmT2_T3_mT4_P12ihipStream_tbEUlT_E_NS1_11comp_targetILNS1_3genE5ELNS1_11target_archE942ELNS1_3gpuE9ELNS1_3repE0EEENS1_30default_config_static_selectorELNS0_4arch9wavefront6targetE1EEEvT1_
                                        ; -- End function
	.set _ZN7rocprim17ROCPRIM_400000_NS6detail17trampoline_kernelINS0_14default_configENS1_35adjacent_difference_config_selectorILb0ElEEZNS1_24adjacent_difference_implIS3_Lb0ELb0EPlS7_ZN2at6native12_GLOBAL__N_124unique_dim_cuda_templateImEESt5tupleIJNS8_6TensorESD_SD_EERKSD_lbbbEUlllE1_EE10hipError_tPvRmT2_T3_mT4_P12ihipStream_tbEUlT_E_NS1_11comp_targetILNS1_3genE5ELNS1_11target_archE942ELNS1_3gpuE9ELNS1_3repE0EEENS1_30default_config_static_selectorELNS0_4arch9wavefront6targetE1EEEvT1_.num_vgpr, 0
	.set _ZN7rocprim17ROCPRIM_400000_NS6detail17trampoline_kernelINS0_14default_configENS1_35adjacent_difference_config_selectorILb0ElEEZNS1_24adjacent_difference_implIS3_Lb0ELb0EPlS7_ZN2at6native12_GLOBAL__N_124unique_dim_cuda_templateImEESt5tupleIJNS8_6TensorESD_SD_EERKSD_lbbbEUlllE1_EE10hipError_tPvRmT2_T3_mT4_P12ihipStream_tbEUlT_E_NS1_11comp_targetILNS1_3genE5ELNS1_11target_archE942ELNS1_3gpuE9ELNS1_3repE0EEENS1_30default_config_static_selectorELNS0_4arch9wavefront6targetE1EEEvT1_.num_agpr, 0
	.set _ZN7rocprim17ROCPRIM_400000_NS6detail17trampoline_kernelINS0_14default_configENS1_35adjacent_difference_config_selectorILb0ElEEZNS1_24adjacent_difference_implIS3_Lb0ELb0EPlS7_ZN2at6native12_GLOBAL__N_124unique_dim_cuda_templateImEESt5tupleIJNS8_6TensorESD_SD_EERKSD_lbbbEUlllE1_EE10hipError_tPvRmT2_T3_mT4_P12ihipStream_tbEUlT_E_NS1_11comp_targetILNS1_3genE5ELNS1_11target_archE942ELNS1_3gpuE9ELNS1_3repE0EEENS1_30default_config_static_selectorELNS0_4arch9wavefront6targetE1EEEvT1_.numbered_sgpr, 0
	.set _ZN7rocprim17ROCPRIM_400000_NS6detail17trampoline_kernelINS0_14default_configENS1_35adjacent_difference_config_selectorILb0ElEEZNS1_24adjacent_difference_implIS3_Lb0ELb0EPlS7_ZN2at6native12_GLOBAL__N_124unique_dim_cuda_templateImEESt5tupleIJNS8_6TensorESD_SD_EERKSD_lbbbEUlllE1_EE10hipError_tPvRmT2_T3_mT4_P12ihipStream_tbEUlT_E_NS1_11comp_targetILNS1_3genE5ELNS1_11target_archE942ELNS1_3gpuE9ELNS1_3repE0EEENS1_30default_config_static_selectorELNS0_4arch9wavefront6targetE1EEEvT1_.num_named_barrier, 0
	.set _ZN7rocprim17ROCPRIM_400000_NS6detail17trampoline_kernelINS0_14default_configENS1_35adjacent_difference_config_selectorILb0ElEEZNS1_24adjacent_difference_implIS3_Lb0ELb0EPlS7_ZN2at6native12_GLOBAL__N_124unique_dim_cuda_templateImEESt5tupleIJNS8_6TensorESD_SD_EERKSD_lbbbEUlllE1_EE10hipError_tPvRmT2_T3_mT4_P12ihipStream_tbEUlT_E_NS1_11comp_targetILNS1_3genE5ELNS1_11target_archE942ELNS1_3gpuE9ELNS1_3repE0EEENS1_30default_config_static_selectorELNS0_4arch9wavefront6targetE1EEEvT1_.private_seg_size, 0
	.set _ZN7rocprim17ROCPRIM_400000_NS6detail17trampoline_kernelINS0_14default_configENS1_35adjacent_difference_config_selectorILb0ElEEZNS1_24adjacent_difference_implIS3_Lb0ELb0EPlS7_ZN2at6native12_GLOBAL__N_124unique_dim_cuda_templateImEESt5tupleIJNS8_6TensorESD_SD_EERKSD_lbbbEUlllE1_EE10hipError_tPvRmT2_T3_mT4_P12ihipStream_tbEUlT_E_NS1_11comp_targetILNS1_3genE5ELNS1_11target_archE942ELNS1_3gpuE9ELNS1_3repE0EEENS1_30default_config_static_selectorELNS0_4arch9wavefront6targetE1EEEvT1_.uses_vcc, 0
	.set _ZN7rocprim17ROCPRIM_400000_NS6detail17trampoline_kernelINS0_14default_configENS1_35adjacent_difference_config_selectorILb0ElEEZNS1_24adjacent_difference_implIS3_Lb0ELb0EPlS7_ZN2at6native12_GLOBAL__N_124unique_dim_cuda_templateImEESt5tupleIJNS8_6TensorESD_SD_EERKSD_lbbbEUlllE1_EE10hipError_tPvRmT2_T3_mT4_P12ihipStream_tbEUlT_E_NS1_11comp_targetILNS1_3genE5ELNS1_11target_archE942ELNS1_3gpuE9ELNS1_3repE0EEENS1_30default_config_static_selectorELNS0_4arch9wavefront6targetE1EEEvT1_.uses_flat_scratch, 0
	.set _ZN7rocprim17ROCPRIM_400000_NS6detail17trampoline_kernelINS0_14default_configENS1_35adjacent_difference_config_selectorILb0ElEEZNS1_24adjacent_difference_implIS3_Lb0ELb0EPlS7_ZN2at6native12_GLOBAL__N_124unique_dim_cuda_templateImEESt5tupleIJNS8_6TensorESD_SD_EERKSD_lbbbEUlllE1_EE10hipError_tPvRmT2_T3_mT4_P12ihipStream_tbEUlT_E_NS1_11comp_targetILNS1_3genE5ELNS1_11target_archE942ELNS1_3gpuE9ELNS1_3repE0EEENS1_30default_config_static_selectorELNS0_4arch9wavefront6targetE1EEEvT1_.has_dyn_sized_stack, 0
	.set _ZN7rocprim17ROCPRIM_400000_NS6detail17trampoline_kernelINS0_14default_configENS1_35adjacent_difference_config_selectorILb0ElEEZNS1_24adjacent_difference_implIS3_Lb0ELb0EPlS7_ZN2at6native12_GLOBAL__N_124unique_dim_cuda_templateImEESt5tupleIJNS8_6TensorESD_SD_EERKSD_lbbbEUlllE1_EE10hipError_tPvRmT2_T3_mT4_P12ihipStream_tbEUlT_E_NS1_11comp_targetILNS1_3genE5ELNS1_11target_archE942ELNS1_3gpuE9ELNS1_3repE0EEENS1_30default_config_static_selectorELNS0_4arch9wavefront6targetE1EEEvT1_.has_recursion, 0
	.set _ZN7rocprim17ROCPRIM_400000_NS6detail17trampoline_kernelINS0_14default_configENS1_35adjacent_difference_config_selectorILb0ElEEZNS1_24adjacent_difference_implIS3_Lb0ELb0EPlS7_ZN2at6native12_GLOBAL__N_124unique_dim_cuda_templateImEESt5tupleIJNS8_6TensorESD_SD_EERKSD_lbbbEUlllE1_EE10hipError_tPvRmT2_T3_mT4_P12ihipStream_tbEUlT_E_NS1_11comp_targetILNS1_3genE5ELNS1_11target_archE942ELNS1_3gpuE9ELNS1_3repE0EEENS1_30default_config_static_selectorELNS0_4arch9wavefront6targetE1EEEvT1_.has_indirect_call, 0
	.section	.AMDGPU.csdata,"",@progbits
; Kernel info:
; codeLenInByte = 0
; TotalNumSgprs: 6
; NumVgprs: 0
; NumAgprs: 0
; TotalNumVgprs: 0
; ScratchSize: 0
; MemoryBound: 0
; FloatMode: 240
; IeeeMode: 1
; LDSByteSize: 0 bytes/workgroup (compile time only)
; SGPRBlocks: 0
; VGPRBlocks: 0
; NumSGPRsForWavesPerEU: 6
; NumVGPRsForWavesPerEU: 1
; AccumOffset: 4
; Occupancy: 8
; WaveLimiterHint : 0
; COMPUTE_PGM_RSRC2:SCRATCH_EN: 0
; COMPUTE_PGM_RSRC2:USER_SGPR: 2
; COMPUTE_PGM_RSRC2:TRAP_HANDLER: 0
; COMPUTE_PGM_RSRC2:TGID_X_EN: 1
; COMPUTE_PGM_RSRC2:TGID_Y_EN: 0
; COMPUTE_PGM_RSRC2:TGID_Z_EN: 0
; COMPUTE_PGM_RSRC2:TIDIG_COMP_CNT: 0
; COMPUTE_PGM_RSRC3_GFX90A:ACCUM_OFFSET: 0
; COMPUTE_PGM_RSRC3_GFX90A:TG_SPLIT: 0
	.section	.text._ZN7rocprim17ROCPRIM_400000_NS6detail17trampoline_kernelINS0_14default_configENS1_35adjacent_difference_config_selectorILb0ElEEZNS1_24adjacent_difference_implIS3_Lb0ELb0EPlS7_ZN2at6native12_GLOBAL__N_124unique_dim_cuda_templateImEESt5tupleIJNS8_6TensorESD_SD_EERKSD_lbbbEUlllE1_EE10hipError_tPvRmT2_T3_mT4_P12ihipStream_tbEUlT_E_NS1_11comp_targetILNS1_3genE4ELNS1_11target_archE910ELNS1_3gpuE8ELNS1_3repE0EEENS1_30default_config_static_selectorELNS0_4arch9wavefront6targetE1EEEvT1_,"axG",@progbits,_ZN7rocprim17ROCPRIM_400000_NS6detail17trampoline_kernelINS0_14default_configENS1_35adjacent_difference_config_selectorILb0ElEEZNS1_24adjacent_difference_implIS3_Lb0ELb0EPlS7_ZN2at6native12_GLOBAL__N_124unique_dim_cuda_templateImEESt5tupleIJNS8_6TensorESD_SD_EERKSD_lbbbEUlllE1_EE10hipError_tPvRmT2_T3_mT4_P12ihipStream_tbEUlT_E_NS1_11comp_targetILNS1_3genE4ELNS1_11target_archE910ELNS1_3gpuE8ELNS1_3repE0EEENS1_30default_config_static_selectorELNS0_4arch9wavefront6targetE1EEEvT1_,comdat
	.globl	_ZN7rocprim17ROCPRIM_400000_NS6detail17trampoline_kernelINS0_14default_configENS1_35adjacent_difference_config_selectorILb0ElEEZNS1_24adjacent_difference_implIS3_Lb0ELb0EPlS7_ZN2at6native12_GLOBAL__N_124unique_dim_cuda_templateImEESt5tupleIJNS8_6TensorESD_SD_EERKSD_lbbbEUlllE1_EE10hipError_tPvRmT2_T3_mT4_P12ihipStream_tbEUlT_E_NS1_11comp_targetILNS1_3genE4ELNS1_11target_archE910ELNS1_3gpuE8ELNS1_3repE0EEENS1_30default_config_static_selectorELNS0_4arch9wavefront6targetE1EEEvT1_ ; -- Begin function _ZN7rocprim17ROCPRIM_400000_NS6detail17trampoline_kernelINS0_14default_configENS1_35adjacent_difference_config_selectorILb0ElEEZNS1_24adjacent_difference_implIS3_Lb0ELb0EPlS7_ZN2at6native12_GLOBAL__N_124unique_dim_cuda_templateImEESt5tupleIJNS8_6TensorESD_SD_EERKSD_lbbbEUlllE1_EE10hipError_tPvRmT2_T3_mT4_P12ihipStream_tbEUlT_E_NS1_11comp_targetILNS1_3genE4ELNS1_11target_archE910ELNS1_3gpuE8ELNS1_3repE0EEENS1_30default_config_static_selectorELNS0_4arch9wavefront6targetE1EEEvT1_
	.p2align	8
	.type	_ZN7rocprim17ROCPRIM_400000_NS6detail17trampoline_kernelINS0_14default_configENS1_35adjacent_difference_config_selectorILb0ElEEZNS1_24adjacent_difference_implIS3_Lb0ELb0EPlS7_ZN2at6native12_GLOBAL__N_124unique_dim_cuda_templateImEESt5tupleIJNS8_6TensorESD_SD_EERKSD_lbbbEUlllE1_EE10hipError_tPvRmT2_T3_mT4_P12ihipStream_tbEUlT_E_NS1_11comp_targetILNS1_3genE4ELNS1_11target_archE910ELNS1_3gpuE8ELNS1_3repE0EEENS1_30default_config_static_selectorELNS0_4arch9wavefront6targetE1EEEvT1_,@function
_ZN7rocprim17ROCPRIM_400000_NS6detail17trampoline_kernelINS0_14default_configENS1_35adjacent_difference_config_selectorILb0ElEEZNS1_24adjacent_difference_implIS3_Lb0ELb0EPlS7_ZN2at6native12_GLOBAL__N_124unique_dim_cuda_templateImEESt5tupleIJNS8_6TensorESD_SD_EERKSD_lbbbEUlllE1_EE10hipError_tPvRmT2_T3_mT4_P12ihipStream_tbEUlT_E_NS1_11comp_targetILNS1_3genE4ELNS1_11target_archE910ELNS1_3gpuE8ELNS1_3repE0EEENS1_30default_config_static_selectorELNS0_4arch9wavefront6targetE1EEEvT1_: ; @_ZN7rocprim17ROCPRIM_400000_NS6detail17trampoline_kernelINS0_14default_configENS1_35adjacent_difference_config_selectorILb0ElEEZNS1_24adjacent_difference_implIS3_Lb0ELb0EPlS7_ZN2at6native12_GLOBAL__N_124unique_dim_cuda_templateImEESt5tupleIJNS8_6TensorESD_SD_EERKSD_lbbbEUlllE1_EE10hipError_tPvRmT2_T3_mT4_P12ihipStream_tbEUlT_E_NS1_11comp_targetILNS1_3genE4ELNS1_11target_archE910ELNS1_3gpuE8ELNS1_3repE0EEENS1_30default_config_static_selectorELNS0_4arch9wavefront6targetE1EEEvT1_
; %bb.0:
	.section	.rodata,"a",@progbits
	.p2align	6, 0x0
	.amdhsa_kernel _ZN7rocprim17ROCPRIM_400000_NS6detail17trampoline_kernelINS0_14default_configENS1_35adjacent_difference_config_selectorILb0ElEEZNS1_24adjacent_difference_implIS3_Lb0ELb0EPlS7_ZN2at6native12_GLOBAL__N_124unique_dim_cuda_templateImEESt5tupleIJNS8_6TensorESD_SD_EERKSD_lbbbEUlllE1_EE10hipError_tPvRmT2_T3_mT4_P12ihipStream_tbEUlT_E_NS1_11comp_targetILNS1_3genE4ELNS1_11target_archE910ELNS1_3gpuE8ELNS1_3repE0EEENS1_30default_config_static_selectorELNS0_4arch9wavefront6targetE1EEEvT1_
		.amdhsa_group_segment_fixed_size 0
		.amdhsa_private_segment_fixed_size 0
		.amdhsa_kernarg_size 64
		.amdhsa_user_sgpr_count 2
		.amdhsa_user_sgpr_dispatch_ptr 0
		.amdhsa_user_sgpr_queue_ptr 0
		.amdhsa_user_sgpr_kernarg_segment_ptr 1
		.amdhsa_user_sgpr_dispatch_id 0
		.amdhsa_user_sgpr_kernarg_preload_length 0
		.amdhsa_user_sgpr_kernarg_preload_offset 0
		.amdhsa_user_sgpr_private_segment_size 0
		.amdhsa_uses_dynamic_stack 0
		.amdhsa_enable_private_segment 0
		.amdhsa_system_sgpr_workgroup_id_x 1
		.amdhsa_system_sgpr_workgroup_id_y 0
		.amdhsa_system_sgpr_workgroup_id_z 0
		.amdhsa_system_sgpr_workgroup_info 0
		.amdhsa_system_vgpr_workitem_id 0
		.amdhsa_next_free_vgpr 1
		.amdhsa_next_free_sgpr 0
		.amdhsa_accum_offset 4
		.amdhsa_reserve_vcc 0
		.amdhsa_float_round_mode_32 0
		.amdhsa_float_round_mode_16_64 0
		.amdhsa_float_denorm_mode_32 3
		.amdhsa_float_denorm_mode_16_64 3
		.amdhsa_dx10_clamp 1
		.amdhsa_ieee_mode 1
		.amdhsa_fp16_overflow 0
		.amdhsa_tg_split 0
		.amdhsa_exception_fp_ieee_invalid_op 0
		.amdhsa_exception_fp_denorm_src 0
		.amdhsa_exception_fp_ieee_div_zero 0
		.amdhsa_exception_fp_ieee_overflow 0
		.amdhsa_exception_fp_ieee_underflow 0
		.amdhsa_exception_fp_ieee_inexact 0
		.amdhsa_exception_int_div_zero 0
	.end_amdhsa_kernel
	.section	.text._ZN7rocprim17ROCPRIM_400000_NS6detail17trampoline_kernelINS0_14default_configENS1_35adjacent_difference_config_selectorILb0ElEEZNS1_24adjacent_difference_implIS3_Lb0ELb0EPlS7_ZN2at6native12_GLOBAL__N_124unique_dim_cuda_templateImEESt5tupleIJNS8_6TensorESD_SD_EERKSD_lbbbEUlllE1_EE10hipError_tPvRmT2_T3_mT4_P12ihipStream_tbEUlT_E_NS1_11comp_targetILNS1_3genE4ELNS1_11target_archE910ELNS1_3gpuE8ELNS1_3repE0EEENS1_30default_config_static_selectorELNS0_4arch9wavefront6targetE1EEEvT1_,"axG",@progbits,_ZN7rocprim17ROCPRIM_400000_NS6detail17trampoline_kernelINS0_14default_configENS1_35adjacent_difference_config_selectorILb0ElEEZNS1_24adjacent_difference_implIS3_Lb0ELb0EPlS7_ZN2at6native12_GLOBAL__N_124unique_dim_cuda_templateImEESt5tupleIJNS8_6TensorESD_SD_EERKSD_lbbbEUlllE1_EE10hipError_tPvRmT2_T3_mT4_P12ihipStream_tbEUlT_E_NS1_11comp_targetILNS1_3genE4ELNS1_11target_archE910ELNS1_3gpuE8ELNS1_3repE0EEENS1_30default_config_static_selectorELNS0_4arch9wavefront6targetE1EEEvT1_,comdat
.Lfunc_end1641:
	.size	_ZN7rocprim17ROCPRIM_400000_NS6detail17trampoline_kernelINS0_14default_configENS1_35adjacent_difference_config_selectorILb0ElEEZNS1_24adjacent_difference_implIS3_Lb0ELb0EPlS7_ZN2at6native12_GLOBAL__N_124unique_dim_cuda_templateImEESt5tupleIJNS8_6TensorESD_SD_EERKSD_lbbbEUlllE1_EE10hipError_tPvRmT2_T3_mT4_P12ihipStream_tbEUlT_E_NS1_11comp_targetILNS1_3genE4ELNS1_11target_archE910ELNS1_3gpuE8ELNS1_3repE0EEENS1_30default_config_static_selectorELNS0_4arch9wavefront6targetE1EEEvT1_, .Lfunc_end1641-_ZN7rocprim17ROCPRIM_400000_NS6detail17trampoline_kernelINS0_14default_configENS1_35adjacent_difference_config_selectorILb0ElEEZNS1_24adjacent_difference_implIS3_Lb0ELb0EPlS7_ZN2at6native12_GLOBAL__N_124unique_dim_cuda_templateImEESt5tupleIJNS8_6TensorESD_SD_EERKSD_lbbbEUlllE1_EE10hipError_tPvRmT2_T3_mT4_P12ihipStream_tbEUlT_E_NS1_11comp_targetILNS1_3genE4ELNS1_11target_archE910ELNS1_3gpuE8ELNS1_3repE0EEENS1_30default_config_static_selectorELNS0_4arch9wavefront6targetE1EEEvT1_
                                        ; -- End function
	.set _ZN7rocprim17ROCPRIM_400000_NS6detail17trampoline_kernelINS0_14default_configENS1_35adjacent_difference_config_selectorILb0ElEEZNS1_24adjacent_difference_implIS3_Lb0ELb0EPlS7_ZN2at6native12_GLOBAL__N_124unique_dim_cuda_templateImEESt5tupleIJNS8_6TensorESD_SD_EERKSD_lbbbEUlllE1_EE10hipError_tPvRmT2_T3_mT4_P12ihipStream_tbEUlT_E_NS1_11comp_targetILNS1_3genE4ELNS1_11target_archE910ELNS1_3gpuE8ELNS1_3repE0EEENS1_30default_config_static_selectorELNS0_4arch9wavefront6targetE1EEEvT1_.num_vgpr, 0
	.set _ZN7rocprim17ROCPRIM_400000_NS6detail17trampoline_kernelINS0_14default_configENS1_35adjacent_difference_config_selectorILb0ElEEZNS1_24adjacent_difference_implIS3_Lb0ELb0EPlS7_ZN2at6native12_GLOBAL__N_124unique_dim_cuda_templateImEESt5tupleIJNS8_6TensorESD_SD_EERKSD_lbbbEUlllE1_EE10hipError_tPvRmT2_T3_mT4_P12ihipStream_tbEUlT_E_NS1_11comp_targetILNS1_3genE4ELNS1_11target_archE910ELNS1_3gpuE8ELNS1_3repE0EEENS1_30default_config_static_selectorELNS0_4arch9wavefront6targetE1EEEvT1_.num_agpr, 0
	.set _ZN7rocprim17ROCPRIM_400000_NS6detail17trampoline_kernelINS0_14default_configENS1_35adjacent_difference_config_selectorILb0ElEEZNS1_24adjacent_difference_implIS3_Lb0ELb0EPlS7_ZN2at6native12_GLOBAL__N_124unique_dim_cuda_templateImEESt5tupleIJNS8_6TensorESD_SD_EERKSD_lbbbEUlllE1_EE10hipError_tPvRmT2_T3_mT4_P12ihipStream_tbEUlT_E_NS1_11comp_targetILNS1_3genE4ELNS1_11target_archE910ELNS1_3gpuE8ELNS1_3repE0EEENS1_30default_config_static_selectorELNS0_4arch9wavefront6targetE1EEEvT1_.numbered_sgpr, 0
	.set _ZN7rocprim17ROCPRIM_400000_NS6detail17trampoline_kernelINS0_14default_configENS1_35adjacent_difference_config_selectorILb0ElEEZNS1_24adjacent_difference_implIS3_Lb0ELb0EPlS7_ZN2at6native12_GLOBAL__N_124unique_dim_cuda_templateImEESt5tupleIJNS8_6TensorESD_SD_EERKSD_lbbbEUlllE1_EE10hipError_tPvRmT2_T3_mT4_P12ihipStream_tbEUlT_E_NS1_11comp_targetILNS1_3genE4ELNS1_11target_archE910ELNS1_3gpuE8ELNS1_3repE0EEENS1_30default_config_static_selectorELNS0_4arch9wavefront6targetE1EEEvT1_.num_named_barrier, 0
	.set _ZN7rocprim17ROCPRIM_400000_NS6detail17trampoline_kernelINS0_14default_configENS1_35adjacent_difference_config_selectorILb0ElEEZNS1_24adjacent_difference_implIS3_Lb0ELb0EPlS7_ZN2at6native12_GLOBAL__N_124unique_dim_cuda_templateImEESt5tupleIJNS8_6TensorESD_SD_EERKSD_lbbbEUlllE1_EE10hipError_tPvRmT2_T3_mT4_P12ihipStream_tbEUlT_E_NS1_11comp_targetILNS1_3genE4ELNS1_11target_archE910ELNS1_3gpuE8ELNS1_3repE0EEENS1_30default_config_static_selectorELNS0_4arch9wavefront6targetE1EEEvT1_.private_seg_size, 0
	.set _ZN7rocprim17ROCPRIM_400000_NS6detail17trampoline_kernelINS0_14default_configENS1_35adjacent_difference_config_selectorILb0ElEEZNS1_24adjacent_difference_implIS3_Lb0ELb0EPlS7_ZN2at6native12_GLOBAL__N_124unique_dim_cuda_templateImEESt5tupleIJNS8_6TensorESD_SD_EERKSD_lbbbEUlllE1_EE10hipError_tPvRmT2_T3_mT4_P12ihipStream_tbEUlT_E_NS1_11comp_targetILNS1_3genE4ELNS1_11target_archE910ELNS1_3gpuE8ELNS1_3repE0EEENS1_30default_config_static_selectorELNS0_4arch9wavefront6targetE1EEEvT1_.uses_vcc, 0
	.set _ZN7rocprim17ROCPRIM_400000_NS6detail17trampoline_kernelINS0_14default_configENS1_35adjacent_difference_config_selectorILb0ElEEZNS1_24adjacent_difference_implIS3_Lb0ELb0EPlS7_ZN2at6native12_GLOBAL__N_124unique_dim_cuda_templateImEESt5tupleIJNS8_6TensorESD_SD_EERKSD_lbbbEUlllE1_EE10hipError_tPvRmT2_T3_mT4_P12ihipStream_tbEUlT_E_NS1_11comp_targetILNS1_3genE4ELNS1_11target_archE910ELNS1_3gpuE8ELNS1_3repE0EEENS1_30default_config_static_selectorELNS0_4arch9wavefront6targetE1EEEvT1_.uses_flat_scratch, 0
	.set _ZN7rocprim17ROCPRIM_400000_NS6detail17trampoline_kernelINS0_14default_configENS1_35adjacent_difference_config_selectorILb0ElEEZNS1_24adjacent_difference_implIS3_Lb0ELb0EPlS7_ZN2at6native12_GLOBAL__N_124unique_dim_cuda_templateImEESt5tupleIJNS8_6TensorESD_SD_EERKSD_lbbbEUlllE1_EE10hipError_tPvRmT2_T3_mT4_P12ihipStream_tbEUlT_E_NS1_11comp_targetILNS1_3genE4ELNS1_11target_archE910ELNS1_3gpuE8ELNS1_3repE0EEENS1_30default_config_static_selectorELNS0_4arch9wavefront6targetE1EEEvT1_.has_dyn_sized_stack, 0
	.set _ZN7rocprim17ROCPRIM_400000_NS6detail17trampoline_kernelINS0_14default_configENS1_35adjacent_difference_config_selectorILb0ElEEZNS1_24adjacent_difference_implIS3_Lb0ELb0EPlS7_ZN2at6native12_GLOBAL__N_124unique_dim_cuda_templateImEESt5tupleIJNS8_6TensorESD_SD_EERKSD_lbbbEUlllE1_EE10hipError_tPvRmT2_T3_mT4_P12ihipStream_tbEUlT_E_NS1_11comp_targetILNS1_3genE4ELNS1_11target_archE910ELNS1_3gpuE8ELNS1_3repE0EEENS1_30default_config_static_selectorELNS0_4arch9wavefront6targetE1EEEvT1_.has_recursion, 0
	.set _ZN7rocprim17ROCPRIM_400000_NS6detail17trampoline_kernelINS0_14default_configENS1_35adjacent_difference_config_selectorILb0ElEEZNS1_24adjacent_difference_implIS3_Lb0ELb0EPlS7_ZN2at6native12_GLOBAL__N_124unique_dim_cuda_templateImEESt5tupleIJNS8_6TensorESD_SD_EERKSD_lbbbEUlllE1_EE10hipError_tPvRmT2_T3_mT4_P12ihipStream_tbEUlT_E_NS1_11comp_targetILNS1_3genE4ELNS1_11target_archE910ELNS1_3gpuE8ELNS1_3repE0EEENS1_30default_config_static_selectorELNS0_4arch9wavefront6targetE1EEEvT1_.has_indirect_call, 0
	.section	.AMDGPU.csdata,"",@progbits
; Kernel info:
; codeLenInByte = 0
; TotalNumSgprs: 6
; NumVgprs: 0
; NumAgprs: 0
; TotalNumVgprs: 0
; ScratchSize: 0
; MemoryBound: 0
; FloatMode: 240
; IeeeMode: 1
; LDSByteSize: 0 bytes/workgroup (compile time only)
; SGPRBlocks: 0
; VGPRBlocks: 0
; NumSGPRsForWavesPerEU: 6
; NumVGPRsForWavesPerEU: 1
; AccumOffset: 4
; Occupancy: 8
; WaveLimiterHint : 0
; COMPUTE_PGM_RSRC2:SCRATCH_EN: 0
; COMPUTE_PGM_RSRC2:USER_SGPR: 2
; COMPUTE_PGM_RSRC2:TRAP_HANDLER: 0
; COMPUTE_PGM_RSRC2:TGID_X_EN: 1
; COMPUTE_PGM_RSRC2:TGID_Y_EN: 0
; COMPUTE_PGM_RSRC2:TGID_Z_EN: 0
; COMPUTE_PGM_RSRC2:TIDIG_COMP_CNT: 0
; COMPUTE_PGM_RSRC3_GFX90A:ACCUM_OFFSET: 0
; COMPUTE_PGM_RSRC3_GFX90A:TG_SPLIT: 0
	.section	.text._ZN7rocprim17ROCPRIM_400000_NS6detail17trampoline_kernelINS0_14default_configENS1_35adjacent_difference_config_selectorILb0ElEEZNS1_24adjacent_difference_implIS3_Lb0ELb0EPlS7_ZN2at6native12_GLOBAL__N_124unique_dim_cuda_templateImEESt5tupleIJNS8_6TensorESD_SD_EERKSD_lbbbEUlllE1_EE10hipError_tPvRmT2_T3_mT4_P12ihipStream_tbEUlT_E_NS1_11comp_targetILNS1_3genE3ELNS1_11target_archE908ELNS1_3gpuE7ELNS1_3repE0EEENS1_30default_config_static_selectorELNS0_4arch9wavefront6targetE1EEEvT1_,"axG",@progbits,_ZN7rocprim17ROCPRIM_400000_NS6detail17trampoline_kernelINS0_14default_configENS1_35adjacent_difference_config_selectorILb0ElEEZNS1_24adjacent_difference_implIS3_Lb0ELb0EPlS7_ZN2at6native12_GLOBAL__N_124unique_dim_cuda_templateImEESt5tupleIJNS8_6TensorESD_SD_EERKSD_lbbbEUlllE1_EE10hipError_tPvRmT2_T3_mT4_P12ihipStream_tbEUlT_E_NS1_11comp_targetILNS1_3genE3ELNS1_11target_archE908ELNS1_3gpuE7ELNS1_3repE0EEENS1_30default_config_static_selectorELNS0_4arch9wavefront6targetE1EEEvT1_,comdat
	.globl	_ZN7rocprim17ROCPRIM_400000_NS6detail17trampoline_kernelINS0_14default_configENS1_35adjacent_difference_config_selectorILb0ElEEZNS1_24adjacent_difference_implIS3_Lb0ELb0EPlS7_ZN2at6native12_GLOBAL__N_124unique_dim_cuda_templateImEESt5tupleIJNS8_6TensorESD_SD_EERKSD_lbbbEUlllE1_EE10hipError_tPvRmT2_T3_mT4_P12ihipStream_tbEUlT_E_NS1_11comp_targetILNS1_3genE3ELNS1_11target_archE908ELNS1_3gpuE7ELNS1_3repE0EEENS1_30default_config_static_selectorELNS0_4arch9wavefront6targetE1EEEvT1_ ; -- Begin function _ZN7rocprim17ROCPRIM_400000_NS6detail17trampoline_kernelINS0_14default_configENS1_35adjacent_difference_config_selectorILb0ElEEZNS1_24adjacent_difference_implIS3_Lb0ELb0EPlS7_ZN2at6native12_GLOBAL__N_124unique_dim_cuda_templateImEESt5tupleIJNS8_6TensorESD_SD_EERKSD_lbbbEUlllE1_EE10hipError_tPvRmT2_T3_mT4_P12ihipStream_tbEUlT_E_NS1_11comp_targetILNS1_3genE3ELNS1_11target_archE908ELNS1_3gpuE7ELNS1_3repE0EEENS1_30default_config_static_selectorELNS0_4arch9wavefront6targetE1EEEvT1_
	.p2align	8
	.type	_ZN7rocprim17ROCPRIM_400000_NS6detail17trampoline_kernelINS0_14default_configENS1_35adjacent_difference_config_selectorILb0ElEEZNS1_24adjacent_difference_implIS3_Lb0ELb0EPlS7_ZN2at6native12_GLOBAL__N_124unique_dim_cuda_templateImEESt5tupleIJNS8_6TensorESD_SD_EERKSD_lbbbEUlllE1_EE10hipError_tPvRmT2_T3_mT4_P12ihipStream_tbEUlT_E_NS1_11comp_targetILNS1_3genE3ELNS1_11target_archE908ELNS1_3gpuE7ELNS1_3repE0EEENS1_30default_config_static_selectorELNS0_4arch9wavefront6targetE1EEEvT1_,@function
_ZN7rocprim17ROCPRIM_400000_NS6detail17trampoline_kernelINS0_14default_configENS1_35adjacent_difference_config_selectorILb0ElEEZNS1_24adjacent_difference_implIS3_Lb0ELb0EPlS7_ZN2at6native12_GLOBAL__N_124unique_dim_cuda_templateImEESt5tupleIJNS8_6TensorESD_SD_EERKSD_lbbbEUlllE1_EE10hipError_tPvRmT2_T3_mT4_P12ihipStream_tbEUlT_E_NS1_11comp_targetILNS1_3genE3ELNS1_11target_archE908ELNS1_3gpuE7ELNS1_3repE0EEENS1_30default_config_static_selectorELNS0_4arch9wavefront6targetE1EEEvT1_: ; @_ZN7rocprim17ROCPRIM_400000_NS6detail17trampoline_kernelINS0_14default_configENS1_35adjacent_difference_config_selectorILb0ElEEZNS1_24adjacent_difference_implIS3_Lb0ELb0EPlS7_ZN2at6native12_GLOBAL__N_124unique_dim_cuda_templateImEESt5tupleIJNS8_6TensorESD_SD_EERKSD_lbbbEUlllE1_EE10hipError_tPvRmT2_T3_mT4_P12ihipStream_tbEUlT_E_NS1_11comp_targetILNS1_3genE3ELNS1_11target_archE908ELNS1_3gpuE7ELNS1_3repE0EEENS1_30default_config_static_selectorELNS0_4arch9wavefront6targetE1EEEvT1_
; %bb.0:
	.section	.rodata,"a",@progbits
	.p2align	6, 0x0
	.amdhsa_kernel _ZN7rocprim17ROCPRIM_400000_NS6detail17trampoline_kernelINS0_14default_configENS1_35adjacent_difference_config_selectorILb0ElEEZNS1_24adjacent_difference_implIS3_Lb0ELb0EPlS7_ZN2at6native12_GLOBAL__N_124unique_dim_cuda_templateImEESt5tupleIJNS8_6TensorESD_SD_EERKSD_lbbbEUlllE1_EE10hipError_tPvRmT2_T3_mT4_P12ihipStream_tbEUlT_E_NS1_11comp_targetILNS1_3genE3ELNS1_11target_archE908ELNS1_3gpuE7ELNS1_3repE0EEENS1_30default_config_static_selectorELNS0_4arch9wavefront6targetE1EEEvT1_
		.amdhsa_group_segment_fixed_size 0
		.amdhsa_private_segment_fixed_size 0
		.amdhsa_kernarg_size 64
		.amdhsa_user_sgpr_count 2
		.amdhsa_user_sgpr_dispatch_ptr 0
		.amdhsa_user_sgpr_queue_ptr 0
		.amdhsa_user_sgpr_kernarg_segment_ptr 1
		.amdhsa_user_sgpr_dispatch_id 0
		.amdhsa_user_sgpr_kernarg_preload_length 0
		.amdhsa_user_sgpr_kernarg_preload_offset 0
		.amdhsa_user_sgpr_private_segment_size 0
		.amdhsa_uses_dynamic_stack 0
		.amdhsa_enable_private_segment 0
		.amdhsa_system_sgpr_workgroup_id_x 1
		.amdhsa_system_sgpr_workgroup_id_y 0
		.amdhsa_system_sgpr_workgroup_id_z 0
		.amdhsa_system_sgpr_workgroup_info 0
		.amdhsa_system_vgpr_workitem_id 0
		.amdhsa_next_free_vgpr 1
		.amdhsa_next_free_sgpr 0
		.amdhsa_accum_offset 4
		.amdhsa_reserve_vcc 0
		.amdhsa_float_round_mode_32 0
		.amdhsa_float_round_mode_16_64 0
		.amdhsa_float_denorm_mode_32 3
		.amdhsa_float_denorm_mode_16_64 3
		.amdhsa_dx10_clamp 1
		.amdhsa_ieee_mode 1
		.amdhsa_fp16_overflow 0
		.amdhsa_tg_split 0
		.amdhsa_exception_fp_ieee_invalid_op 0
		.amdhsa_exception_fp_denorm_src 0
		.amdhsa_exception_fp_ieee_div_zero 0
		.amdhsa_exception_fp_ieee_overflow 0
		.amdhsa_exception_fp_ieee_underflow 0
		.amdhsa_exception_fp_ieee_inexact 0
		.amdhsa_exception_int_div_zero 0
	.end_amdhsa_kernel
	.section	.text._ZN7rocprim17ROCPRIM_400000_NS6detail17trampoline_kernelINS0_14default_configENS1_35adjacent_difference_config_selectorILb0ElEEZNS1_24adjacent_difference_implIS3_Lb0ELb0EPlS7_ZN2at6native12_GLOBAL__N_124unique_dim_cuda_templateImEESt5tupleIJNS8_6TensorESD_SD_EERKSD_lbbbEUlllE1_EE10hipError_tPvRmT2_T3_mT4_P12ihipStream_tbEUlT_E_NS1_11comp_targetILNS1_3genE3ELNS1_11target_archE908ELNS1_3gpuE7ELNS1_3repE0EEENS1_30default_config_static_selectorELNS0_4arch9wavefront6targetE1EEEvT1_,"axG",@progbits,_ZN7rocprim17ROCPRIM_400000_NS6detail17trampoline_kernelINS0_14default_configENS1_35adjacent_difference_config_selectorILb0ElEEZNS1_24adjacent_difference_implIS3_Lb0ELb0EPlS7_ZN2at6native12_GLOBAL__N_124unique_dim_cuda_templateImEESt5tupleIJNS8_6TensorESD_SD_EERKSD_lbbbEUlllE1_EE10hipError_tPvRmT2_T3_mT4_P12ihipStream_tbEUlT_E_NS1_11comp_targetILNS1_3genE3ELNS1_11target_archE908ELNS1_3gpuE7ELNS1_3repE0EEENS1_30default_config_static_selectorELNS0_4arch9wavefront6targetE1EEEvT1_,comdat
.Lfunc_end1642:
	.size	_ZN7rocprim17ROCPRIM_400000_NS6detail17trampoline_kernelINS0_14default_configENS1_35adjacent_difference_config_selectorILb0ElEEZNS1_24adjacent_difference_implIS3_Lb0ELb0EPlS7_ZN2at6native12_GLOBAL__N_124unique_dim_cuda_templateImEESt5tupleIJNS8_6TensorESD_SD_EERKSD_lbbbEUlllE1_EE10hipError_tPvRmT2_T3_mT4_P12ihipStream_tbEUlT_E_NS1_11comp_targetILNS1_3genE3ELNS1_11target_archE908ELNS1_3gpuE7ELNS1_3repE0EEENS1_30default_config_static_selectorELNS0_4arch9wavefront6targetE1EEEvT1_, .Lfunc_end1642-_ZN7rocprim17ROCPRIM_400000_NS6detail17trampoline_kernelINS0_14default_configENS1_35adjacent_difference_config_selectorILb0ElEEZNS1_24adjacent_difference_implIS3_Lb0ELb0EPlS7_ZN2at6native12_GLOBAL__N_124unique_dim_cuda_templateImEESt5tupleIJNS8_6TensorESD_SD_EERKSD_lbbbEUlllE1_EE10hipError_tPvRmT2_T3_mT4_P12ihipStream_tbEUlT_E_NS1_11comp_targetILNS1_3genE3ELNS1_11target_archE908ELNS1_3gpuE7ELNS1_3repE0EEENS1_30default_config_static_selectorELNS0_4arch9wavefront6targetE1EEEvT1_
                                        ; -- End function
	.set _ZN7rocprim17ROCPRIM_400000_NS6detail17trampoline_kernelINS0_14default_configENS1_35adjacent_difference_config_selectorILb0ElEEZNS1_24adjacent_difference_implIS3_Lb0ELb0EPlS7_ZN2at6native12_GLOBAL__N_124unique_dim_cuda_templateImEESt5tupleIJNS8_6TensorESD_SD_EERKSD_lbbbEUlllE1_EE10hipError_tPvRmT2_T3_mT4_P12ihipStream_tbEUlT_E_NS1_11comp_targetILNS1_3genE3ELNS1_11target_archE908ELNS1_3gpuE7ELNS1_3repE0EEENS1_30default_config_static_selectorELNS0_4arch9wavefront6targetE1EEEvT1_.num_vgpr, 0
	.set _ZN7rocprim17ROCPRIM_400000_NS6detail17trampoline_kernelINS0_14default_configENS1_35adjacent_difference_config_selectorILb0ElEEZNS1_24adjacent_difference_implIS3_Lb0ELb0EPlS7_ZN2at6native12_GLOBAL__N_124unique_dim_cuda_templateImEESt5tupleIJNS8_6TensorESD_SD_EERKSD_lbbbEUlllE1_EE10hipError_tPvRmT2_T3_mT4_P12ihipStream_tbEUlT_E_NS1_11comp_targetILNS1_3genE3ELNS1_11target_archE908ELNS1_3gpuE7ELNS1_3repE0EEENS1_30default_config_static_selectorELNS0_4arch9wavefront6targetE1EEEvT1_.num_agpr, 0
	.set _ZN7rocprim17ROCPRIM_400000_NS6detail17trampoline_kernelINS0_14default_configENS1_35adjacent_difference_config_selectorILb0ElEEZNS1_24adjacent_difference_implIS3_Lb0ELb0EPlS7_ZN2at6native12_GLOBAL__N_124unique_dim_cuda_templateImEESt5tupleIJNS8_6TensorESD_SD_EERKSD_lbbbEUlllE1_EE10hipError_tPvRmT2_T3_mT4_P12ihipStream_tbEUlT_E_NS1_11comp_targetILNS1_3genE3ELNS1_11target_archE908ELNS1_3gpuE7ELNS1_3repE0EEENS1_30default_config_static_selectorELNS0_4arch9wavefront6targetE1EEEvT1_.numbered_sgpr, 0
	.set _ZN7rocprim17ROCPRIM_400000_NS6detail17trampoline_kernelINS0_14default_configENS1_35adjacent_difference_config_selectorILb0ElEEZNS1_24adjacent_difference_implIS3_Lb0ELb0EPlS7_ZN2at6native12_GLOBAL__N_124unique_dim_cuda_templateImEESt5tupleIJNS8_6TensorESD_SD_EERKSD_lbbbEUlllE1_EE10hipError_tPvRmT2_T3_mT4_P12ihipStream_tbEUlT_E_NS1_11comp_targetILNS1_3genE3ELNS1_11target_archE908ELNS1_3gpuE7ELNS1_3repE0EEENS1_30default_config_static_selectorELNS0_4arch9wavefront6targetE1EEEvT1_.num_named_barrier, 0
	.set _ZN7rocprim17ROCPRIM_400000_NS6detail17trampoline_kernelINS0_14default_configENS1_35adjacent_difference_config_selectorILb0ElEEZNS1_24adjacent_difference_implIS3_Lb0ELb0EPlS7_ZN2at6native12_GLOBAL__N_124unique_dim_cuda_templateImEESt5tupleIJNS8_6TensorESD_SD_EERKSD_lbbbEUlllE1_EE10hipError_tPvRmT2_T3_mT4_P12ihipStream_tbEUlT_E_NS1_11comp_targetILNS1_3genE3ELNS1_11target_archE908ELNS1_3gpuE7ELNS1_3repE0EEENS1_30default_config_static_selectorELNS0_4arch9wavefront6targetE1EEEvT1_.private_seg_size, 0
	.set _ZN7rocprim17ROCPRIM_400000_NS6detail17trampoline_kernelINS0_14default_configENS1_35adjacent_difference_config_selectorILb0ElEEZNS1_24adjacent_difference_implIS3_Lb0ELb0EPlS7_ZN2at6native12_GLOBAL__N_124unique_dim_cuda_templateImEESt5tupleIJNS8_6TensorESD_SD_EERKSD_lbbbEUlllE1_EE10hipError_tPvRmT2_T3_mT4_P12ihipStream_tbEUlT_E_NS1_11comp_targetILNS1_3genE3ELNS1_11target_archE908ELNS1_3gpuE7ELNS1_3repE0EEENS1_30default_config_static_selectorELNS0_4arch9wavefront6targetE1EEEvT1_.uses_vcc, 0
	.set _ZN7rocprim17ROCPRIM_400000_NS6detail17trampoline_kernelINS0_14default_configENS1_35adjacent_difference_config_selectorILb0ElEEZNS1_24adjacent_difference_implIS3_Lb0ELb0EPlS7_ZN2at6native12_GLOBAL__N_124unique_dim_cuda_templateImEESt5tupleIJNS8_6TensorESD_SD_EERKSD_lbbbEUlllE1_EE10hipError_tPvRmT2_T3_mT4_P12ihipStream_tbEUlT_E_NS1_11comp_targetILNS1_3genE3ELNS1_11target_archE908ELNS1_3gpuE7ELNS1_3repE0EEENS1_30default_config_static_selectorELNS0_4arch9wavefront6targetE1EEEvT1_.uses_flat_scratch, 0
	.set _ZN7rocprim17ROCPRIM_400000_NS6detail17trampoline_kernelINS0_14default_configENS1_35adjacent_difference_config_selectorILb0ElEEZNS1_24adjacent_difference_implIS3_Lb0ELb0EPlS7_ZN2at6native12_GLOBAL__N_124unique_dim_cuda_templateImEESt5tupleIJNS8_6TensorESD_SD_EERKSD_lbbbEUlllE1_EE10hipError_tPvRmT2_T3_mT4_P12ihipStream_tbEUlT_E_NS1_11comp_targetILNS1_3genE3ELNS1_11target_archE908ELNS1_3gpuE7ELNS1_3repE0EEENS1_30default_config_static_selectorELNS0_4arch9wavefront6targetE1EEEvT1_.has_dyn_sized_stack, 0
	.set _ZN7rocprim17ROCPRIM_400000_NS6detail17trampoline_kernelINS0_14default_configENS1_35adjacent_difference_config_selectorILb0ElEEZNS1_24adjacent_difference_implIS3_Lb0ELb0EPlS7_ZN2at6native12_GLOBAL__N_124unique_dim_cuda_templateImEESt5tupleIJNS8_6TensorESD_SD_EERKSD_lbbbEUlllE1_EE10hipError_tPvRmT2_T3_mT4_P12ihipStream_tbEUlT_E_NS1_11comp_targetILNS1_3genE3ELNS1_11target_archE908ELNS1_3gpuE7ELNS1_3repE0EEENS1_30default_config_static_selectorELNS0_4arch9wavefront6targetE1EEEvT1_.has_recursion, 0
	.set _ZN7rocprim17ROCPRIM_400000_NS6detail17trampoline_kernelINS0_14default_configENS1_35adjacent_difference_config_selectorILb0ElEEZNS1_24adjacent_difference_implIS3_Lb0ELb0EPlS7_ZN2at6native12_GLOBAL__N_124unique_dim_cuda_templateImEESt5tupleIJNS8_6TensorESD_SD_EERKSD_lbbbEUlllE1_EE10hipError_tPvRmT2_T3_mT4_P12ihipStream_tbEUlT_E_NS1_11comp_targetILNS1_3genE3ELNS1_11target_archE908ELNS1_3gpuE7ELNS1_3repE0EEENS1_30default_config_static_selectorELNS0_4arch9wavefront6targetE1EEEvT1_.has_indirect_call, 0
	.section	.AMDGPU.csdata,"",@progbits
; Kernel info:
; codeLenInByte = 0
; TotalNumSgprs: 6
; NumVgprs: 0
; NumAgprs: 0
; TotalNumVgprs: 0
; ScratchSize: 0
; MemoryBound: 0
; FloatMode: 240
; IeeeMode: 1
; LDSByteSize: 0 bytes/workgroup (compile time only)
; SGPRBlocks: 0
; VGPRBlocks: 0
; NumSGPRsForWavesPerEU: 6
; NumVGPRsForWavesPerEU: 1
; AccumOffset: 4
; Occupancy: 8
; WaveLimiterHint : 0
; COMPUTE_PGM_RSRC2:SCRATCH_EN: 0
; COMPUTE_PGM_RSRC2:USER_SGPR: 2
; COMPUTE_PGM_RSRC2:TRAP_HANDLER: 0
; COMPUTE_PGM_RSRC2:TGID_X_EN: 1
; COMPUTE_PGM_RSRC2:TGID_Y_EN: 0
; COMPUTE_PGM_RSRC2:TGID_Z_EN: 0
; COMPUTE_PGM_RSRC2:TIDIG_COMP_CNT: 0
; COMPUTE_PGM_RSRC3_GFX90A:ACCUM_OFFSET: 0
; COMPUTE_PGM_RSRC3_GFX90A:TG_SPLIT: 0
	.section	.text._ZN7rocprim17ROCPRIM_400000_NS6detail17trampoline_kernelINS0_14default_configENS1_35adjacent_difference_config_selectorILb0ElEEZNS1_24adjacent_difference_implIS3_Lb0ELb0EPlS7_ZN2at6native12_GLOBAL__N_124unique_dim_cuda_templateImEESt5tupleIJNS8_6TensorESD_SD_EERKSD_lbbbEUlllE1_EE10hipError_tPvRmT2_T3_mT4_P12ihipStream_tbEUlT_E_NS1_11comp_targetILNS1_3genE2ELNS1_11target_archE906ELNS1_3gpuE6ELNS1_3repE0EEENS1_30default_config_static_selectorELNS0_4arch9wavefront6targetE1EEEvT1_,"axG",@progbits,_ZN7rocprim17ROCPRIM_400000_NS6detail17trampoline_kernelINS0_14default_configENS1_35adjacent_difference_config_selectorILb0ElEEZNS1_24adjacent_difference_implIS3_Lb0ELb0EPlS7_ZN2at6native12_GLOBAL__N_124unique_dim_cuda_templateImEESt5tupleIJNS8_6TensorESD_SD_EERKSD_lbbbEUlllE1_EE10hipError_tPvRmT2_T3_mT4_P12ihipStream_tbEUlT_E_NS1_11comp_targetILNS1_3genE2ELNS1_11target_archE906ELNS1_3gpuE6ELNS1_3repE0EEENS1_30default_config_static_selectorELNS0_4arch9wavefront6targetE1EEEvT1_,comdat
	.globl	_ZN7rocprim17ROCPRIM_400000_NS6detail17trampoline_kernelINS0_14default_configENS1_35adjacent_difference_config_selectorILb0ElEEZNS1_24adjacent_difference_implIS3_Lb0ELb0EPlS7_ZN2at6native12_GLOBAL__N_124unique_dim_cuda_templateImEESt5tupleIJNS8_6TensorESD_SD_EERKSD_lbbbEUlllE1_EE10hipError_tPvRmT2_T3_mT4_P12ihipStream_tbEUlT_E_NS1_11comp_targetILNS1_3genE2ELNS1_11target_archE906ELNS1_3gpuE6ELNS1_3repE0EEENS1_30default_config_static_selectorELNS0_4arch9wavefront6targetE1EEEvT1_ ; -- Begin function _ZN7rocprim17ROCPRIM_400000_NS6detail17trampoline_kernelINS0_14default_configENS1_35adjacent_difference_config_selectorILb0ElEEZNS1_24adjacent_difference_implIS3_Lb0ELb0EPlS7_ZN2at6native12_GLOBAL__N_124unique_dim_cuda_templateImEESt5tupleIJNS8_6TensorESD_SD_EERKSD_lbbbEUlllE1_EE10hipError_tPvRmT2_T3_mT4_P12ihipStream_tbEUlT_E_NS1_11comp_targetILNS1_3genE2ELNS1_11target_archE906ELNS1_3gpuE6ELNS1_3repE0EEENS1_30default_config_static_selectorELNS0_4arch9wavefront6targetE1EEEvT1_
	.p2align	8
	.type	_ZN7rocprim17ROCPRIM_400000_NS6detail17trampoline_kernelINS0_14default_configENS1_35adjacent_difference_config_selectorILb0ElEEZNS1_24adjacent_difference_implIS3_Lb0ELb0EPlS7_ZN2at6native12_GLOBAL__N_124unique_dim_cuda_templateImEESt5tupleIJNS8_6TensorESD_SD_EERKSD_lbbbEUlllE1_EE10hipError_tPvRmT2_T3_mT4_P12ihipStream_tbEUlT_E_NS1_11comp_targetILNS1_3genE2ELNS1_11target_archE906ELNS1_3gpuE6ELNS1_3repE0EEENS1_30default_config_static_selectorELNS0_4arch9wavefront6targetE1EEEvT1_,@function
_ZN7rocprim17ROCPRIM_400000_NS6detail17trampoline_kernelINS0_14default_configENS1_35adjacent_difference_config_selectorILb0ElEEZNS1_24adjacent_difference_implIS3_Lb0ELb0EPlS7_ZN2at6native12_GLOBAL__N_124unique_dim_cuda_templateImEESt5tupleIJNS8_6TensorESD_SD_EERKSD_lbbbEUlllE1_EE10hipError_tPvRmT2_T3_mT4_P12ihipStream_tbEUlT_E_NS1_11comp_targetILNS1_3genE2ELNS1_11target_archE906ELNS1_3gpuE6ELNS1_3repE0EEENS1_30default_config_static_selectorELNS0_4arch9wavefront6targetE1EEEvT1_: ; @_ZN7rocprim17ROCPRIM_400000_NS6detail17trampoline_kernelINS0_14default_configENS1_35adjacent_difference_config_selectorILb0ElEEZNS1_24adjacent_difference_implIS3_Lb0ELb0EPlS7_ZN2at6native12_GLOBAL__N_124unique_dim_cuda_templateImEESt5tupleIJNS8_6TensorESD_SD_EERKSD_lbbbEUlllE1_EE10hipError_tPvRmT2_T3_mT4_P12ihipStream_tbEUlT_E_NS1_11comp_targetILNS1_3genE2ELNS1_11target_archE906ELNS1_3gpuE6ELNS1_3repE0EEENS1_30default_config_static_selectorELNS0_4arch9wavefront6targetE1EEEvT1_
; %bb.0:
	.section	.rodata,"a",@progbits
	.p2align	6, 0x0
	.amdhsa_kernel _ZN7rocprim17ROCPRIM_400000_NS6detail17trampoline_kernelINS0_14default_configENS1_35adjacent_difference_config_selectorILb0ElEEZNS1_24adjacent_difference_implIS3_Lb0ELb0EPlS7_ZN2at6native12_GLOBAL__N_124unique_dim_cuda_templateImEESt5tupleIJNS8_6TensorESD_SD_EERKSD_lbbbEUlllE1_EE10hipError_tPvRmT2_T3_mT4_P12ihipStream_tbEUlT_E_NS1_11comp_targetILNS1_3genE2ELNS1_11target_archE906ELNS1_3gpuE6ELNS1_3repE0EEENS1_30default_config_static_selectorELNS0_4arch9wavefront6targetE1EEEvT1_
		.amdhsa_group_segment_fixed_size 0
		.amdhsa_private_segment_fixed_size 0
		.amdhsa_kernarg_size 64
		.amdhsa_user_sgpr_count 2
		.amdhsa_user_sgpr_dispatch_ptr 0
		.amdhsa_user_sgpr_queue_ptr 0
		.amdhsa_user_sgpr_kernarg_segment_ptr 1
		.amdhsa_user_sgpr_dispatch_id 0
		.amdhsa_user_sgpr_kernarg_preload_length 0
		.amdhsa_user_sgpr_kernarg_preload_offset 0
		.amdhsa_user_sgpr_private_segment_size 0
		.amdhsa_uses_dynamic_stack 0
		.amdhsa_enable_private_segment 0
		.amdhsa_system_sgpr_workgroup_id_x 1
		.amdhsa_system_sgpr_workgroup_id_y 0
		.amdhsa_system_sgpr_workgroup_id_z 0
		.amdhsa_system_sgpr_workgroup_info 0
		.amdhsa_system_vgpr_workitem_id 0
		.amdhsa_next_free_vgpr 1
		.amdhsa_next_free_sgpr 0
		.amdhsa_accum_offset 4
		.amdhsa_reserve_vcc 0
		.amdhsa_float_round_mode_32 0
		.amdhsa_float_round_mode_16_64 0
		.amdhsa_float_denorm_mode_32 3
		.amdhsa_float_denorm_mode_16_64 3
		.amdhsa_dx10_clamp 1
		.amdhsa_ieee_mode 1
		.amdhsa_fp16_overflow 0
		.amdhsa_tg_split 0
		.amdhsa_exception_fp_ieee_invalid_op 0
		.amdhsa_exception_fp_denorm_src 0
		.amdhsa_exception_fp_ieee_div_zero 0
		.amdhsa_exception_fp_ieee_overflow 0
		.amdhsa_exception_fp_ieee_underflow 0
		.amdhsa_exception_fp_ieee_inexact 0
		.amdhsa_exception_int_div_zero 0
	.end_amdhsa_kernel
	.section	.text._ZN7rocprim17ROCPRIM_400000_NS6detail17trampoline_kernelINS0_14default_configENS1_35adjacent_difference_config_selectorILb0ElEEZNS1_24adjacent_difference_implIS3_Lb0ELb0EPlS7_ZN2at6native12_GLOBAL__N_124unique_dim_cuda_templateImEESt5tupleIJNS8_6TensorESD_SD_EERKSD_lbbbEUlllE1_EE10hipError_tPvRmT2_T3_mT4_P12ihipStream_tbEUlT_E_NS1_11comp_targetILNS1_3genE2ELNS1_11target_archE906ELNS1_3gpuE6ELNS1_3repE0EEENS1_30default_config_static_selectorELNS0_4arch9wavefront6targetE1EEEvT1_,"axG",@progbits,_ZN7rocprim17ROCPRIM_400000_NS6detail17trampoline_kernelINS0_14default_configENS1_35adjacent_difference_config_selectorILb0ElEEZNS1_24adjacent_difference_implIS3_Lb0ELb0EPlS7_ZN2at6native12_GLOBAL__N_124unique_dim_cuda_templateImEESt5tupleIJNS8_6TensorESD_SD_EERKSD_lbbbEUlllE1_EE10hipError_tPvRmT2_T3_mT4_P12ihipStream_tbEUlT_E_NS1_11comp_targetILNS1_3genE2ELNS1_11target_archE906ELNS1_3gpuE6ELNS1_3repE0EEENS1_30default_config_static_selectorELNS0_4arch9wavefront6targetE1EEEvT1_,comdat
.Lfunc_end1643:
	.size	_ZN7rocprim17ROCPRIM_400000_NS6detail17trampoline_kernelINS0_14default_configENS1_35adjacent_difference_config_selectorILb0ElEEZNS1_24adjacent_difference_implIS3_Lb0ELb0EPlS7_ZN2at6native12_GLOBAL__N_124unique_dim_cuda_templateImEESt5tupleIJNS8_6TensorESD_SD_EERKSD_lbbbEUlllE1_EE10hipError_tPvRmT2_T3_mT4_P12ihipStream_tbEUlT_E_NS1_11comp_targetILNS1_3genE2ELNS1_11target_archE906ELNS1_3gpuE6ELNS1_3repE0EEENS1_30default_config_static_selectorELNS0_4arch9wavefront6targetE1EEEvT1_, .Lfunc_end1643-_ZN7rocprim17ROCPRIM_400000_NS6detail17trampoline_kernelINS0_14default_configENS1_35adjacent_difference_config_selectorILb0ElEEZNS1_24adjacent_difference_implIS3_Lb0ELb0EPlS7_ZN2at6native12_GLOBAL__N_124unique_dim_cuda_templateImEESt5tupleIJNS8_6TensorESD_SD_EERKSD_lbbbEUlllE1_EE10hipError_tPvRmT2_T3_mT4_P12ihipStream_tbEUlT_E_NS1_11comp_targetILNS1_3genE2ELNS1_11target_archE906ELNS1_3gpuE6ELNS1_3repE0EEENS1_30default_config_static_selectorELNS0_4arch9wavefront6targetE1EEEvT1_
                                        ; -- End function
	.set _ZN7rocprim17ROCPRIM_400000_NS6detail17trampoline_kernelINS0_14default_configENS1_35adjacent_difference_config_selectorILb0ElEEZNS1_24adjacent_difference_implIS3_Lb0ELb0EPlS7_ZN2at6native12_GLOBAL__N_124unique_dim_cuda_templateImEESt5tupleIJNS8_6TensorESD_SD_EERKSD_lbbbEUlllE1_EE10hipError_tPvRmT2_T3_mT4_P12ihipStream_tbEUlT_E_NS1_11comp_targetILNS1_3genE2ELNS1_11target_archE906ELNS1_3gpuE6ELNS1_3repE0EEENS1_30default_config_static_selectorELNS0_4arch9wavefront6targetE1EEEvT1_.num_vgpr, 0
	.set _ZN7rocprim17ROCPRIM_400000_NS6detail17trampoline_kernelINS0_14default_configENS1_35adjacent_difference_config_selectorILb0ElEEZNS1_24adjacent_difference_implIS3_Lb0ELb0EPlS7_ZN2at6native12_GLOBAL__N_124unique_dim_cuda_templateImEESt5tupleIJNS8_6TensorESD_SD_EERKSD_lbbbEUlllE1_EE10hipError_tPvRmT2_T3_mT4_P12ihipStream_tbEUlT_E_NS1_11comp_targetILNS1_3genE2ELNS1_11target_archE906ELNS1_3gpuE6ELNS1_3repE0EEENS1_30default_config_static_selectorELNS0_4arch9wavefront6targetE1EEEvT1_.num_agpr, 0
	.set _ZN7rocprim17ROCPRIM_400000_NS6detail17trampoline_kernelINS0_14default_configENS1_35adjacent_difference_config_selectorILb0ElEEZNS1_24adjacent_difference_implIS3_Lb0ELb0EPlS7_ZN2at6native12_GLOBAL__N_124unique_dim_cuda_templateImEESt5tupleIJNS8_6TensorESD_SD_EERKSD_lbbbEUlllE1_EE10hipError_tPvRmT2_T3_mT4_P12ihipStream_tbEUlT_E_NS1_11comp_targetILNS1_3genE2ELNS1_11target_archE906ELNS1_3gpuE6ELNS1_3repE0EEENS1_30default_config_static_selectorELNS0_4arch9wavefront6targetE1EEEvT1_.numbered_sgpr, 0
	.set _ZN7rocprim17ROCPRIM_400000_NS6detail17trampoline_kernelINS0_14default_configENS1_35adjacent_difference_config_selectorILb0ElEEZNS1_24adjacent_difference_implIS3_Lb0ELb0EPlS7_ZN2at6native12_GLOBAL__N_124unique_dim_cuda_templateImEESt5tupleIJNS8_6TensorESD_SD_EERKSD_lbbbEUlllE1_EE10hipError_tPvRmT2_T3_mT4_P12ihipStream_tbEUlT_E_NS1_11comp_targetILNS1_3genE2ELNS1_11target_archE906ELNS1_3gpuE6ELNS1_3repE0EEENS1_30default_config_static_selectorELNS0_4arch9wavefront6targetE1EEEvT1_.num_named_barrier, 0
	.set _ZN7rocprim17ROCPRIM_400000_NS6detail17trampoline_kernelINS0_14default_configENS1_35adjacent_difference_config_selectorILb0ElEEZNS1_24adjacent_difference_implIS3_Lb0ELb0EPlS7_ZN2at6native12_GLOBAL__N_124unique_dim_cuda_templateImEESt5tupleIJNS8_6TensorESD_SD_EERKSD_lbbbEUlllE1_EE10hipError_tPvRmT2_T3_mT4_P12ihipStream_tbEUlT_E_NS1_11comp_targetILNS1_3genE2ELNS1_11target_archE906ELNS1_3gpuE6ELNS1_3repE0EEENS1_30default_config_static_selectorELNS0_4arch9wavefront6targetE1EEEvT1_.private_seg_size, 0
	.set _ZN7rocprim17ROCPRIM_400000_NS6detail17trampoline_kernelINS0_14default_configENS1_35adjacent_difference_config_selectorILb0ElEEZNS1_24adjacent_difference_implIS3_Lb0ELb0EPlS7_ZN2at6native12_GLOBAL__N_124unique_dim_cuda_templateImEESt5tupleIJNS8_6TensorESD_SD_EERKSD_lbbbEUlllE1_EE10hipError_tPvRmT2_T3_mT4_P12ihipStream_tbEUlT_E_NS1_11comp_targetILNS1_3genE2ELNS1_11target_archE906ELNS1_3gpuE6ELNS1_3repE0EEENS1_30default_config_static_selectorELNS0_4arch9wavefront6targetE1EEEvT1_.uses_vcc, 0
	.set _ZN7rocprim17ROCPRIM_400000_NS6detail17trampoline_kernelINS0_14default_configENS1_35adjacent_difference_config_selectorILb0ElEEZNS1_24adjacent_difference_implIS3_Lb0ELb0EPlS7_ZN2at6native12_GLOBAL__N_124unique_dim_cuda_templateImEESt5tupleIJNS8_6TensorESD_SD_EERKSD_lbbbEUlllE1_EE10hipError_tPvRmT2_T3_mT4_P12ihipStream_tbEUlT_E_NS1_11comp_targetILNS1_3genE2ELNS1_11target_archE906ELNS1_3gpuE6ELNS1_3repE0EEENS1_30default_config_static_selectorELNS0_4arch9wavefront6targetE1EEEvT1_.uses_flat_scratch, 0
	.set _ZN7rocprim17ROCPRIM_400000_NS6detail17trampoline_kernelINS0_14default_configENS1_35adjacent_difference_config_selectorILb0ElEEZNS1_24adjacent_difference_implIS3_Lb0ELb0EPlS7_ZN2at6native12_GLOBAL__N_124unique_dim_cuda_templateImEESt5tupleIJNS8_6TensorESD_SD_EERKSD_lbbbEUlllE1_EE10hipError_tPvRmT2_T3_mT4_P12ihipStream_tbEUlT_E_NS1_11comp_targetILNS1_3genE2ELNS1_11target_archE906ELNS1_3gpuE6ELNS1_3repE0EEENS1_30default_config_static_selectorELNS0_4arch9wavefront6targetE1EEEvT1_.has_dyn_sized_stack, 0
	.set _ZN7rocprim17ROCPRIM_400000_NS6detail17trampoline_kernelINS0_14default_configENS1_35adjacent_difference_config_selectorILb0ElEEZNS1_24adjacent_difference_implIS3_Lb0ELb0EPlS7_ZN2at6native12_GLOBAL__N_124unique_dim_cuda_templateImEESt5tupleIJNS8_6TensorESD_SD_EERKSD_lbbbEUlllE1_EE10hipError_tPvRmT2_T3_mT4_P12ihipStream_tbEUlT_E_NS1_11comp_targetILNS1_3genE2ELNS1_11target_archE906ELNS1_3gpuE6ELNS1_3repE0EEENS1_30default_config_static_selectorELNS0_4arch9wavefront6targetE1EEEvT1_.has_recursion, 0
	.set _ZN7rocprim17ROCPRIM_400000_NS6detail17trampoline_kernelINS0_14default_configENS1_35adjacent_difference_config_selectorILb0ElEEZNS1_24adjacent_difference_implIS3_Lb0ELb0EPlS7_ZN2at6native12_GLOBAL__N_124unique_dim_cuda_templateImEESt5tupleIJNS8_6TensorESD_SD_EERKSD_lbbbEUlllE1_EE10hipError_tPvRmT2_T3_mT4_P12ihipStream_tbEUlT_E_NS1_11comp_targetILNS1_3genE2ELNS1_11target_archE906ELNS1_3gpuE6ELNS1_3repE0EEENS1_30default_config_static_selectorELNS0_4arch9wavefront6targetE1EEEvT1_.has_indirect_call, 0
	.section	.AMDGPU.csdata,"",@progbits
; Kernel info:
; codeLenInByte = 0
; TotalNumSgprs: 6
; NumVgprs: 0
; NumAgprs: 0
; TotalNumVgprs: 0
; ScratchSize: 0
; MemoryBound: 0
; FloatMode: 240
; IeeeMode: 1
; LDSByteSize: 0 bytes/workgroup (compile time only)
; SGPRBlocks: 0
; VGPRBlocks: 0
; NumSGPRsForWavesPerEU: 6
; NumVGPRsForWavesPerEU: 1
; AccumOffset: 4
; Occupancy: 8
; WaveLimiterHint : 0
; COMPUTE_PGM_RSRC2:SCRATCH_EN: 0
; COMPUTE_PGM_RSRC2:USER_SGPR: 2
; COMPUTE_PGM_RSRC2:TRAP_HANDLER: 0
; COMPUTE_PGM_RSRC2:TGID_X_EN: 1
; COMPUTE_PGM_RSRC2:TGID_Y_EN: 0
; COMPUTE_PGM_RSRC2:TGID_Z_EN: 0
; COMPUTE_PGM_RSRC2:TIDIG_COMP_CNT: 0
; COMPUTE_PGM_RSRC3_GFX90A:ACCUM_OFFSET: 0
; COMPUTE_PGM_RSRC3_GFX90A:TG_SPLIT: 0
	.section	.text._ZN7rocprim17ROCPRIM_400000_NS6detail17trampoline_kernelINS0_14default_configENS1_35adjacent_difference_config_selectorILb0ElEEZNS1_24adjacent_difference_implIS3_Lb0ELb0EPlS7_ZN2at6native12_GLOBAL__N_124unique_dim_cuda_templateImEESt5tupleIJNS8_6TensorESD_SD_EERKSD_lbbbEUlllE1_EE10hipError_tPvRmT2_T3_mT4_P12ihipStream_tbEUlT_E_NS1_11comp_targetILNS1_3genE9ELNS1_11target_archE1100ELNS1_3gpuE3ELNS1_3repE0EEENS1_30default_config_static_selectorELNS0_4arch9wavefront6targetE1EEEvT1_,"axG",@progbits,_ZN7rocprim17ROCPRIM_400000_NS6detail17trampoline_kernelINS0_14default_configENS1_35adjacent_difference_config_selectorILb0ElEEZNS1_24adjacent_difference_implIS3_Lb0ELb0EPlS7_ZN2at6native12_GLOBAL__N_124unique_dim_cuda_templateImEESt5tupleIJNS8_6TensorESD_SD_EERKSD_lbbbEUlllE1_EE10hipError_tPvRmT2_T3_mT4_P12ihipStream_tbEUlT_E_NS1_11comp_targetILNS1_3genE9ELNS1_11target_archE1100ELNS1_3gpuE3ELNS1_3repE0EEENS1_30default_config_static_selectorELNS0_4arch9wavefront6targetE1EEEvT1_,comdat
	.globl	_ZN7rocprim17ROCPRIM_400000_NS6detail17trampoline_kernelINS0_14default_configENS1_35adjacent_difference_config_selectorILb0ElEEZNS1_24adjacent_difference_implIS3_Lb0ELb0EPlS7_ZN2at6native12_GLOBAL__N_124unique_dim_cuda_templateImEESt5tupleIJNS8_6TensorESD_SD_EERKSD_lbbbEUlllE1_EE10hipError_tPvRmT2_T3_mT4_P12ihipStream_tbEUlT_E_NS1_11comp_targetILNS1_3genE9ELNS1_11target_archE1100ELNS1_3gpuE3ELNS1_3repE0EEENS1_30default_config_static_selectorELNS0_4arch9wavefront6targetE1EEEvT1_ ; -- Begin function _ZN7rocprim17ROCPRIM_400000_NS6detail17trampoline_kernelINS0_14default_configENS1_35adjacent_difference_config_selectorILb0ElEEZNS1_24adjacent_difference_implIS3_Lb0ELb0EPlS7_ZN2at6native12_GLOBAL__N_124unique_dim_cuda_templateImEESt5tupleIJNS8_6TensorESD_SD_EERKSD_lbbbEUlllE1_EE10hipError_tPvRmT2_T3_mT4_P12ihipStream_tbEUlT_E_NS1_11comp_targetILNS1_3genE9ELNS1_11target_archE1100ELNS1_3gpuE3ELNS1_3repE0EEENS1_30default_config_static_selectorELNS0_4arch9wavefront6targetE1EEEvT1_
	.p2align	8
	.type	_ZN7rocprim17ROCPRIM_400000_NS6detail17trampoline_kernelINS0_14default_configENS1_35adjacent_difference_config_selectorILb0ElEEZNS1_24adjacent_difference_implIS3_Lb0ELb0EPlS7_ZN2at6native12_GLOBAL__N_124unique_dim_cuda_templateImEESt5tupleIJNS8_6TensorESD_SD_EERKSD_lbbbEUlllE1_EE10hipError_tPvRmT2_T3_mT4_P12ihipStream_tbEUlT_E_NS1_11comp_targetILNS1_3genE9ELNS1_11target_archE1100ELNS1_3gpuE3ELNS1_3repE0EEENS1_30default_config_static_selectorELNS0_4arch9wavefront6targetE1EEEvT1_,@function
_ZN7rocprim17ROCPRIM_400000_NS6detail17trampoline_kernelINS0_14default_configENS1_35adjacent_difference_config_selectorILb0ElEEZNS1_24adjacent_difference_implIS3_Lb0ELb0EPlS7_ZN2at6native12_GLOBAL__N_124unique_dim_cuda_templateImEESt5tupleIJNS8_6TensorESD_SD_EERKSD_lbbbEUlllE1_EE10hipError_tPvRmT2_T3_mT4_P12ihipStream_tbEUlT_E_NS1_11comp_targetILNS1_3genE9ELNS1_11target_archE1100ELNS1_3gpuE3ELNS1_3repE0EEENS1_30default_config_static_selectorELNS0_4arch9wavefront6targetE1EEEvT1_: ; @_ZN7rocprim17ROCPRIM_400000_NS6detail17trampoline_kernelINS0_14default_configENS1_35adjacent_difference_config_selectorILb0ElEEZNS1_24adjacent_difference_implIS3_Lb0ELb0EPlS7_ZN2at6native12_GLOBAL__N_124unique_dim_cuda_templateImEESt5tupleIJNS8_6TensorESD_SD_EERKSD_lbbbEUlllE1_EE10hipError_tPvRmT2_T3_mT4_P12ihipStream_tbEUlT_E_NS1_11comp_targetILNS1_3genE9ELNS1_11target_archE1100ELNS1_3gpuE3ELNS1_3repE0EEENS1_30default_config_static_selectorELNS0_4arch9wavefront6targetE1EEEvT1_
; %bb.0:
	.section	.rodata,"a",@progbits
	.p2align	6, 0x0
	.amdhsa_kernel _ZN7rocprim17ROCPRIM_400000_NS6detail17trampoline_kernelINS0_14default_configENS1_35adjacent_difference_config_selectorILb0ElEEZNS1_24adjacent_difference_implIS3_Lb0ELb0EPlS7_ZN2at6native12_GLOBAL__N_124unique_dim_cuda_templateImEESt5tupleIJNS8_6TensorESD_SD_EERKSD_lbbbEUlllE1_EE10hipError_tPvRmT2_T3_mT4_P12ihipStream_tbEUlT_E_NS1_11comp_targetILNS1_3genE9ELNS1_11target_archE1100ELNS1_3gpuE3ELNS1_3repE0EEENS1_30default_config_static_selectorELNS0_4arch9wavefront6targetE1EEEvT1_
		.amdhsa_group_segment_fixed_size 0
		.amdhsa_private_segment_fixed_size 0
		.amdhsa_kernarg_size 64
		.amdhsa_user_sgpr_count 2
		.amdhsa_user_sgpr_dispatch_ptr 0
		.amdhsa_user_sgpr_queue_ptr 0
		.amdhsa_user_sgpr_kernarg_segment_ptr 1
		.amdhsa_user_sgpr_dispatch_id 0
		.amdhsa_user_sgpr_kernarg_preload_length 0
		.amdhsa_user_sgpr_kernarg_preload_offset 0
		.amdhsa_user_sgpr_private_segment_size 0
		.amdhsa_uses_dynamic_stack 0
		.amdhsa_enable_private_segment 0
		.amdhsa_system_sgpr_workgroup_id_x 1
		.amdhsa_system_sgpr_workgroup_id_y 0
		.amdhsa_system_sgpr_workgroup_id_z 0
		.amdhsa_system_sgpr_workgroup_info 0
		.amdhsa_system_vgpr_workitem_id 0
		.amdhsa_next_free_vgpr 1
		.amdhsa_next_free_sgpr 0
		.amdhsa_accum_offset 4
		.amdhsa_reserve_vcc 0
		.amdhsa_float_round_mode_32 0
		.amdhsa_float_round_mode_16_64 0
		.amdhsa_float_denorm_mode_32 3
		.amdhsa_float_denorm_mode_16_64 3
		.amdhsa_dx10_clamp 1
		.amdhsa_ieee_mode 1
		.amdhsa_fp16_overflow 0
		.amdhsa_tg_split 0
		.amdhsa_exception_fp_ieee_invalid_op 0
		.amdhsa_exception_fp_denorm_src 0
		.amdhsa_exception_fp_ieee_div_zero 0
		.amdhsa_exception_fp_ieee_overflow 0
		.amdhsa_exception_fp_ieee_underflow 0
		.amdhsa_exception_fp_ieee_inexact 0
		.amdhsa_exception_int_div_zero 0
	.end_amdhsa_kernel
	.section	.text._ZN7rocprim17ROCPRIM_400000_NS6detail17trampoline_kernelINS0_14default_configENS1_35adjacent_difference_config_selectorILb0ElEEZNS1_24adjacent_difference_implIS3_Lb0ELb0EPlS7_ZN2at6native12_GLOBAL__N_124unique_dim_cuda_templateImEESt5tupleIJNS8_6TensorESD_SD_EERKSD_lbbbEUlllE1_EE10hipError_tPvRmT2_T3_mT4_P12ihipStream_tbEUlT_E_NS1_11comp_targetILNS1_3genE9ELNS1_11target_archE1100ELNS1_3gpuE3ELNS1_3repE0EEENS1_30default_config_static_selectorELNS0_4arch9wavefront6targetE1EEEvT1_,"axG",@progbits,_ZN7rocprim17ROCPRIM_400000_NS6detail17trampoline_kernelINS0_14default_configENS1_35adjacent_difference_config_selectorILb0ElEEZNS1_24adjacent_difference_implIS3_Lb0ELb0EPlS7_ZN2at6native12_GLOBAL__N_124unique_dim_cuda_templateImEESt5tupleIJNS8_6TensorESD_SD_EERKSD_lbbbEUlllE1_EE10hipError_tPvRmT2_T3_mT4_P12ihipStream_tbEUlT_E_NS1_11comp_targetILNS1_3genE9ELNS1_11target_archE1100ELNS1_3gpuE3ELNS1_3repE0EEENS1_30default_config_static_selectorELNS0_4arch9wavefront6targetE1EEEvT1_,comdat
.Lfunc_end1644:
	.size	_ZN7rocprim17ROCPRIM_400000_NS6detail17trampoline_kernelINS0_14default_configENS1_35adjacent_difference_config_selectorILb0ElEEZNS1_24adjacent_difference_implIS3_Lb0ELb0EPlS7_ZN2at6native12_GLOBAL__N_124unique_dim_cuda_templateImEESt5tupleIJNS8_6TensorESD_SD_EERKSD_lbbbEUlllE1_EE10hipError_tPvRmT2_T3_mT4_P12ihipStream_tbEUlT_E_NS1_11comp_targetILNS1_3genE9ELNS1_11target_archE1100ELNS1_3gpuE3ELNS1_3repE0EEENS1_30default_config_static_selectorELNS0_4arch9wavefront6targetE1EEEvT1_, .Lfunc_end1644-_ZN7rocprim17ROCPRIM_400000_NS6detail17trampoline_kernelINS0_14default_configENS1_35adjacent_difference_config_selectorILb0ElEEZNS1_24adjacent_difference_implIS3_Lb0ELb0EPlS7_ZN2at6native12_GLOBAL__N_124unique_dim_cuda_templateImEESt5tupleIJNS8_6TensorESD_SD_EERKSD_lbbbEUlllE1_EE10hipError_tPvRmT2_T3_mT4_P12ihipStream_tbEUlT_E_NS1_11comp_targetILNS1_3genE9ELNS1_11target_archE1100ELNS1_3gpuE3ELNS1_3repE0EEENS1_30default_config_static_selectorELNS0_4arch9wavefront6targetE1EEEvT1_
                                        ; -- End function
	.set _ZN7rocprim17ROCPRIM_400000_NS6detail17trampoline_kernelINS0_14default_configENS1_35adjacent_difference_config_selectorILb0ElEEZNS1_24adjacent_difference_implIS3_Lb0ELb0EPlS7_ZN2at6native12_GLOBAL__N_124unique_dim_cuda_templateImEESt5tupleIJNS8_6TensorESD_SD_EERKSD_lbbbEUlllE1_EE10hipError_tPvRmT2_T3_mT4_P12ihipStream_tbEUlT_E_NS1_11comp_targetILNS1_3genE9ELNS1_11target_archE1100ELNS1_3gpuE3ELNS1_3repE0EEENS1_30default_config_static_selectorELNS0_4arch9wavefront6targetE1EEEvT1_.num_vgpr, 0
	.set _ZN7rocprim17ROCPRIM_400000_NS6detail17trampoline_kernelINS0_14default_configENS1_35adjacent_difference_config_selectorILb0ElEEZNS1_24adjacent_difference_implIS3_Lb0ELb0EPlS7_ZN2at6native12_GLOBAL__N_124unique_dim_cuda_templateImEESt5tupleIJNS8_6TensorESD_SD_EERKSD_lbbbEUlllE1_EE10hipError_tPvRmT2_T3_mT4_P12ihipStream_tbEUlT_E_NS1_11comp_targetILNS1_3genE9ELNS1_11target_archE1100ELNS1_3gpuE3ELNS1_3repE0EEENS1_30default_config_static_selectorELNS0_4arch9wavefront6targetE1EEEvT1_.num_agpr, 0
	.set _ZN7rocprim17ROCPRIM_400000_NS6detail17trampoline_kernelINS0_14default_configENS1_35adjacent_difference_config_selectorILb0ElEEZNS1_24adjacent_difference_implIS3_Lb0ELb0EPlS7_ZN2at6native12_GLOBAL__N_124unique_dim_cuda_templateImEESt5tupleIJNS8_6TensorESD_SD_EERKSD_lbbbEUlllE1_EE10hipError_tPvRmT2_T3_mT4_P12ihipStream_tbEUlT_E_NS1_11comp_targetILNS1_3genE9ELNS1_11target_archE1100ELNS1_3gpuE3ELNS1_3repE0EEENS1_30default_config_static_selectorELNS0_4arch9wavefront6targetE1EEEvT1_.numbered_sgpr, 0
	.set _ZN7rocprim17ROCPRIM_400000_NS6detail17trampoline_kernelINS0_14default_configENS1_35adjacent_difference_config_selectorILb0ElEEZNS1_24adjacent_difference_implIS3_Lb0ELb0EPlS7_ZN2at6native12_GLOBAL__N_124unique_dim_cuda_templateImEESt5tupleIJNS8_6TensorESD_SD_EERKSD_lbbbEUlllE1_EE10hipError_tPvRmT2_T3_mT4_P12ihipStream_tbEUlT_E_NS1_11comp_targetILNS1_3genE9ELNS1_11target_archE1100ELNS1_3gpuE3ELNS1_3repE0EEENS1_30default_config_static_selectorELNS0_4arch9wavefront6targetE1EEEvT1_.num_named_barrier, 0
	.set _ZN7rocprim17ROCPRIM_400000_NS6detail17trampoline_kernelINS0_14default_configENS1_35adjacent_difference_config_selectorILb0ElEEZNS1_24adjacent_difference_implIS3_Lb0ELb0EPlS7_ZN2at6native12_GLOBAL__N_124unique_dim_cuda_templateImEESt5tupleIJNS8_6TensorESD_SD_EERKSD_lbbbEUlllE1_EE10hipError_tPvRmT2_T3_mT4_P12ihipStream_tbEUlT_E_NS1_11comp_targetILNS1_3genE9ELNS1_11target_archE1100ELNS1_3gpuE3ELNS1_3repE0EEENS1_30default_config_static_selectorELNS0_4arch9wavefront6targetE1EEEvT1_.private_seg_size, 0
	.set _ZN7rocprim17ROCPRIM_400000_NS6detail17trampoline_kernelINS0_14default_configENS1_35adjacent_difference_config_selectorILb0ElEEZNS1_24adjacent_difference_implIS3_Lb0ELb0EPlS7_ZN2at6native12_GLOBAL__N_124unique_dim_cuda_templateImEESt5tupleIJNS8_6TensorESD_SD_EERKSD_lbbbEUlllE1_EE10hipError_tPvRmT2_T3_mT4_P12ihipStream_tbEUlT_E_NS1_11comp_targetILNS1_3genE9ELNS1_11target_archE1100ELNS1_3gpuE3ELNS1_3repE0EEENS1_30default_config_static_selectorELNS0_4arch9wavefront6targetE1EEEvT1_.uses_vcc, 0
	.set _ZN7rocprim17ROCPRIM_400000_NS6detail17trampoline_kernelINS0_14default_configENS1_35adjacent_difference_config_selectorILb0ElEEZNS1_24adjacent_difference_implIS3_Lb0ELb0EPlS7_ZN2at6native12_GLOBAL__N_124unique_dim_cuda_templateImEESt5tupleIJNS8_6TensorESD_SD_EERKSD_lbbbEUlllE1_EE10hipError_tPvRmT2_T3_mT4_P12ihipStream_tbEUlT_E_NS1_11comp_targetILNS1_3genE9ELNS1_11target_archE1100ELNS1_3gpuE3ELNS1_3repE0EEENS1_30default_config_static_selectorELNS0_4arch9wavefront6targetE1EEEvT1_.uses_flat_scratch, 0
	.set _ZN7rocprim17ROCPRIM_400000_NS6detail17trampoline_kernelINS0_14default_configENS1_35adjacent_difference_config_selectorILb0ElEEZNS1_24adjacent_difference_implIS3_Lb0ELb0EPlS7_ZN2at6native12_GLOBAL__N_124unique_dim_cuda_templateImEESt5tupleIJNS8_6TensorESD_SD_EERKSD_lbbbEUlllE1_EE10hipError_tPvRmT2_T3_mT4_P12ihipStream_tbEUlT_E_NS1_11comp_targetILNS1_3genE9ELNS1_11target_archE1100ELNS1_3gpuE3ELNS1_3repE0EEENS1_30default_config_static_selectorELNS0_4arch9wavefront6targetE1EEEvT1_.has_dyn_sized_stack, 0
	.set _ZN7rocprim17ROCPRIM_400000_NS6detail17trampoline_kernelINS0_14default_configENS1_35adjacent_difference_config_selectorILb0ElEEZNS1_24adjacent_difference_implIS3_Lb0ELb0EPlS7_ZN2at6native12_GLOBAL__N_124unique_dim_cuda_templateImEESt5tupleIJNS8_6TensorESD_SD_EERKSD_lbbbEUlllE1_EE10hipError_tPvRmT2_T3_mT4_P12ihipStream_tbEUlT_E_NS1_11comp_targetILNS1_3genE9ELNS1_11target_archE1100ELNS1_3gpuE3ELNS1_3repE0EEENS1_30default_config_static_selectorELNS0_4arch9wavefront6targetE1EEEvT1_.has_recursion, 0
	.set _ZN7rocprim17ROCPRIM_400000_NS6detail17trampoline_kernelINS0_14default_configENS1_35adjacent_difference_config_selectorILb0ElEEZNS1_24adjacent_difference_implIS3_Lb0ELb0EPlS7_ZN2at6native12_GLOBAL__N_124unique_dim_cuda_templateImEESt5tupleIJNS8_6TensorESD_SD_EERKSD_lbbbEUlllE1_EE10hipError_tPvRmT2_T3_mT4_P12ihipStream_tbEUlT_E_NS1_11comp_targetILNS1_3genE9ELNS1_11target_archE1100ELNS1_3gpuE3ELNS1_3repE0EEENS1_30default_config_static_selectorELNS0_4arch9wavefront6targetE1EEEvT1_.has_indirect_call, 0
	.section	.AMDGPU.csdata,"",@progbits
; Kernel info:
; codeLenInByte = 0
; TotalNumSgprs: 6
; NumVgprs: 0
; NumAgprs: 0
; TotalNumVgprs: 0
; ScratchSize: 0
; MemoryBound: 0
; FloatMode: 240
; IeeeMode: 1
; LDSByteSize: 0 bytes/workgroup (compile time only)
; SGPRBlocks: 0
; VGPRBlocks: 0
; NumSGPRsForWavesPerEU: 6
; NumVGPRsForWavesPerEU: 1
; AccumOffset: 4
; Occupancy: 8
; WaveLimiterHint : 0
; COMPUTE_PGM_RSRC2:SCRATCH_EN: 0
; COMPUTE_PGM_RSRC2:USER_SGPR: 2
; COMPUTE_PGM_RSRC2:TRAP_HANDLER: 0
; COMPUTE_PGM_RSRC2:TGID_X_EN: 1
; COMPUTE_PGM_RSRC2:TGID_Y_EN: 0
; COMPUTE_PGM_RSRC2:TGID_Z_EN: 0
; COMPUTE_PGM_RSRC2:TIDIG_COMP_CNT: 0
; COMPUTE_PGM_RSRC3_GFX90A:ACCUM_OFFSET: 0
; COMPUTE_PGM_RSRC3_GFX90A:TG_SPLIT: 0
	.section	.text._ZN7rocprim17ROCPRIM_400000_NS6detail17trampoline_kernelINS0_14default_configENS1_35adjacent_difference_config_selectorILb0ElEEZNS1_24adjacent_difference_implIS3_Lb0ELb0EPlS7_ZN2at6native12_GLOBAL__N_124unique_dim_cuda_templateImEESt5tupleIJNS8_6TensorESD_SD_EERKSD_lbbbEUlllE1_EE10hipError_tPvRmT2_T3_mT4_P12ihipStream_tbEUlT_E_NS1_11comp_targetILNS1_3genE8ELNS1_11target_archE1030ELNS1_3gpuE2ELNS1_3repE0EEENS1_30default_config_static_selectorELNS0_4arch9wavefront6targetE1EEEvT1_,"axG",@progbits,_ZN7rocprim17ROCPRIM_400000_NS6detail17trampoline_kernelINS0_14default_configENS1_35adjacent_difference_config_selectorILb0ElEEZNS1_24adjacent_difference_implIS3_Lb0ELb0EPlS7_ZN2at6native12_GLOBAL__N_124unique_dim_cuda_templateImEESt5tupleIJNS8_6TensorESD_SD_EERKSD_lbbbEUlllE1_EE10hipError_tPvRmT2_T3_mT4_P12ihipStream_tbEUlT_E_NS1_11comp_targetILNS1_3genE8ELNS1_11target_archE1030ELNS1_3gpuE2ELNS1_3repE0EEENS1_30default_config_static_selectorELNS0_4arch9wavefront6targetE1EEEvT1_,comdat
	.globl	_ZN7rocprim17ROCPRIM_400000_NS6detail17trampoline_kernelINS0_14default_configENS1_35adjacent_difference_config_selectorILb0ElEEZNS1_24adjacent_difference_implIS3_Lb0ELb0EPlS7_ZN2at6native12_GLOBAL__N_124unique_dim_cuda_templateImEESt5tupleIJNS8_6TensorESD_SD_EERKSD_lbbbEUlllE1_EE10hipError_tPvRmT2_T3_mT4_P12ihipStream_tbEUlT_E_NS1_11comp_targetILNS1_3genE8ELNS1_11target_archE1030ELNS1_3gpuE2ELNS1_3repE0EEENS1_30default_config_static_selectorELNS0_4arch9wavefront6targetE1EEEvT1_ ; -- Begin function _ZN7rocprim17ROCPRIM_400000_NS6detail17trampoline_kernelINS0_14default_configENS1_35adjacent_difference_config_selectorILb0ElEEZNS1_24adjacent_difference_implIS3_Lb0ELb0EPlS7_ZN2at6native12_GLOBAL__N_124unique_dim_cuda_templateImEESt5tupleIJNS8_6TensorESD_SD_EERKSD_lbbbEUlllE1_EE10hipError_tPvRmT2_T3_mT4_P12ihipStream_tbEUlT_E_NS1_11comp_targetILNS1_3genE8ELNS1_11target_archE1030ELNS1_3gpuE2ELNS1_3repE0EEENS1_30default_config_static_selectorELNS0_4arch9wavefront6targetE1EEEvT1_
	.p2align	8
	.type	_ZN7rocprim17ROCPRIM_400000_NS6detail17trampoline_kernelINS0_14default_configENS1_35adjacent_difference_config_selectorILb0ElEEZNS1_24adjacent_difference_implIS3_Lb0ELb0EPlS7_ZN2at6native12_GLOBAL__N_124unique_dim_cuda_templateImEESt5tupleIJNS8_6TensorESD_SD_EERKSD_lbbbEUlllE1_EE10hipError_tPvRmT2_T3_mT4_P12ihipStream_tbEUlT_E_NS1_11comp_targetILNS1_3genE8ELNS1_11target_archE1030ELNS1_3gpuE2ELNS1_3repE0EEENS1_30default_config_static_selectorELNS0_4arch9wavefront6targetE1EEEvT1_,@function
_ZN7rocprim17ROCPRIM_400000_NS6detail17trampoline_kernelINS0_14default_configENS1_35adjacent_difference_config_selectorILb0ElEEZNS1_24adjacent_difference_implIS3_Lb0ELb0EPlS7_ZN2at6native12_GLOBAL__N_124unique_dim_cuda_templateImEESt5tupleIJNS8_6TensorESD_SD_EERKSD_lbbbEUlllE1_EE10hipError_tPvRmT2_T3_mT4_P12ihipStream_tbEUlT_E_NS1_11comp_targetILNS1_3genE8ELNS1_11target_archE1030ELNS1_3gpuE2ELNS1_3repE0EEENS1_30default_config_static_selectorELNS0_4arch9wavefront6targetE1EEEvT1_: ; @_ZN7rocprim17ROCPRIM_400000_NS6detail17trampoline_kernelINS0_14default_configENS1_35adjacent_difference_config_selectorILb0ElEEZNS1_24adjacent_difference_implIS3_Lb0ELb0EPlS7_ZN2at6native12_GLOBAL__N_124unique_dim_cuda_templateImEESt5tupleIJNS8_6TensorESD_SD_EERKSD_lbbbEUlllE1_EE10hipError_tPvRmT2_T3_mT4_P12ihipStream_tbEUlT_E_NS1_11comp_targetILNS1_3genE8ELNS1_11target_archE1030ELNS1_3gpuE2ELNS1_3repE0EEENS1_30default_config_static_selectorELNS0_4arch9wavefront6targetE1EEEvT1_
; %bb.0:
	.section	.rodata,"a",@progbits
	.p2align	6, 0x0
	.amdhsa_kernel _ZN7rocprim17ROCPRIM_400000_NS6detail17trampoline_kernelINS0_14default_configENS1_35adjacent_difference_config_selectorILb0ElEEZNS1_24adjacent_difference_implIS3_Lb0ELb0EPlS7_ZN2at6native12_GLOBAL__N_124unique_dim_cuda_templateImEESt5tupleIJNS8_6TensorESD_SD_EERKSD_lbbbEUlllE1_EE10hipError_tPvRmT2_T3_mT4_P12ihipStream_tbEUlT_E_NS1_11comp_targetILNS1_3genE8ELNS1_11target_archE1030ELNS1_3gpuE2ELNS1_3repE0EEENS1_30default_config_static_selectorELNS0_4arch9wavefront6targetE1EEEvT1_
		.amdhsa_group_segment_fixed_size 0
		.amdhsa_private_segment_fixed_size 0
		.amdhsa_kernarg_size 64
		.amdhsa_user_sgpr_count 2
		.amdhsa_user_sgpr_dispatch_ptr 0
		.amdhsa_user_sgpr_queue_ptr 0
		.amdhsa_user_sgpr_kernarg_segment_ptr 1
		.amdhsa_user_sgpr_dispatch_id 0
		.amdhsa_user_sgpr_kernarg_preload_length 0
		.amdhsa_user_sgpr_kernarg_preload_offset 0
		.amdhsa_user_sgpr_private_segment_size 0
		.amdhsa_uses_dynamic_stack 0
		.amdhsa_enable_private_segment 0
		.amdhsa_system_sgpr_workgroup_id_x 1
		.amdhsa_system_sgpr_workgroup_id_y 0
		.amdhsa_system_sgpr_workgroup_id_z 0
		.amdhsa_system_sgpr_workgroup_info 0
		.amdhsa_system_vgpr_workitem_id 0
		.amdhsa_next_free_vgpr 1
		.amdhsa_next_free_sgpr 0
		.amdhsa_accum_offset 4
		.amdhsa_reserve_vcc 0
		.amdhsa_float_round_mode_32 0
		.amdhsa_float_round_mode_16_64 0
		.amdhsa_float_denorm_mode_32 3
		.amdhsa_float_denorm_mode_16_64 3
		.amdhsa_dx10_clamp 1
		.amdhsa_ieee_mode 1
		.amdhsa_fp16_overflow 0
		.amdhsa_tg_split 0
		.amdhsa_exception_fp_ieee_invalid_op 0
		.amdhsa_exception_fp_denorm_src 0
		.amdhsa_exception_fp_ieee_div_zero 0
		.amdhsa_exception_fp_ieee_overflow 0
		.amdhsa_exception_fp_ieee_underflow 0
		.amdhsa_exception_fp_ieee_inexact 0
		.amdhsa_exception_int_div_zero 0
	.end_amdhsa_kernel
	.section	.text._ZN7rocprim17ROCPRIM_400000_NS6detail17trampoline_kernelINS0_14default_configENS1_35adjacent_difference_config_selectorILb0ElEEZNS1_24adjacent_difference_implIS3_Lb0ELb0EPlS7_ZN2at6native12_GLOBAL__N_124unique_dim_cuda_templateImEESt5tupleIJNS8_6TensorESD_SD_EERKSD_lbbbEUlllE1_EE10hipError_tPvRmT2_T3_mT4_P12ihipStream_tbEUlT_E_NS1_11comp_targetILNS1_3genE8ELNS1_11target_archE1030ELNS1_3gpuE2ELNS1_3repE0EEENS1_30default_config_static_selectorELNS0_4arch9wavefront6targetE1EEEvT1_,"axG",@progbits,_ZN7rocprim17ROCPRIM_400000_NS6detail17trampoline_kernelINS0_14default_configENS1_35adjacent_difference_config_selectorILb0ElEEZNS1_24adjacent_difference_implIS3_Lb0ELb0EPlS7_ZN2at6native12_GLOBAL__N_124unique_dim_cuda_templateImEESt5tupleIJNS8_6TensorESD_SD_EERKSD_lbbbEUlllE1_EE10hipError_tPvRmT2_T3_mT4_P12ihipStream_tbEUlT_E_NS1_11comp_targetILNS1_3genE8ELNS1_11target_archE1030ELNS1_3gpuE2ELNS1_3repE0EEENS1_30default_config_static_selectorELNS0_4arch9wavefront6targetE1EEEvT1_,comdat
.Lfunc_end1645:
	.size	_ZN7rocprim17ROCPRIM_400000_NS6detail17trampoline_kernelINS0_14default_configENS1_35adjacent_difference_config_selectorILb0ElEEZNS1_24adjacent_difference_implIS3_Lb0ELb0EPlS7_ZN2at6native12_GLOBAL__N_124unique_dim_cuda_templateImEESt5tupleIJNS8_6TensorESD_SD_EERKSD_lbbbEUlllE1_EE10hipError_tPvRmT2_T3_mT4_P12ihipStream_tbEUlT_E_NS1_11comp_targetILNS1_3genE8ELNS1_11target_archE1030ELNS1_3gpuE2ELNS1_3repE0EEENS1_30default_config_static_selectorELNS0_4arch9wavefront6targetE1EEEvT1_, .Lfunc_end1645-_ZN7rocprim17ROCPRIM_400000_NS6detail17trampoline_kernelINS0_14default_configENS1_35adjacent_difference_config_selectorILb0ElEEZNS1_24adjacent_difference_implIS3_Lb0ELb0EPlS7_ZN2at6native12_GLOBAL__N_124unique_dim_cuda_templateImEESt5tupleIJNS8_6TensorESD_SD_EERKSD_lbbbEUlllE1_EE10hipError_tPvRmT2_T3_mT4_P12ihipStream_tbEUlT_E_NS1_11comp_targetILNS1_3genE8ELNS1_11target_archE1030ELNS1_3gpuE2ELNS1_3repE0EEENS1_30default_config_static_selectorELNS0_4arch9wavefront6targetE1EEEvT1_
                                        ; -- End function
	.set _ZN7rocprim17ROCPRIM_400000_NS6detail17trampoline_kernelINS0_14default_configENS1_35adjacent_difference_config_selectorILb0ElEEZNS1_24adjacent_difference_implIS3_Lb0ELb0EPlS7_ZN2at6native12_GLOBAL__N_124unique_dim_cuda_templateImEESt5tupleIJNS8_6TensorESD_SD_EERKSD_lbbbEUlllE1_EE10hipError_tPvRmT2_T3_mT4_P12ihipStream_tbEUlT_E_NS1_11comp_targetILNS1_3genE8ELNS1_11target_archE1030ELNS1_3gpuE2ELNS1_3repE0EEENS1_30default_config_static_selectorELNS0_4arch9wavefront6targetE1EEEvT1_.num_vgpr, 0
	.set _ZN7rocprim17ROCPRIM_400000_NS6detail17trampoline_kernelINS0_14default_configENS1_35adjacent_difference_config_selectorILb0ElEEZNS1_24adjacent_difference_implIS3_Lb0ELb0EPlS7_ZN2at6native12_GLOBAL__N_124unique_dim_cuda_templateImEESt5tupleIJNS8_6TensorESD_SD_EERKSD_lbbbEUlllE1_EE10hipError_tPvRmT2_T3_mT4_P12ihipStream_tbEUlT_E_NS1_11comp_targetILNS1_3genE8ELNS1_11target_archE1030ELNS1_3gpuE2ELNS1_3repE0EEENS1_30default_config_static_selectorELNS0_4arch9wavefront6targetE1EEEvT1_.num_agpr, 0
	.set _ZN7rocprim17ROCPRIM_400000_NS6detail17trampoline_kernelINS0_14default_configENS1_35adjacent_difference_config_selectorILb0ElEEZNS1_24adjacent_difference_implIS3_Lb0ELb0EPlS7_ZN2at6native12_GLOBAL__N_124unique_dim_cuda_templateImEESt5tupleIJNS8_6TensorESD_SD_EERKSD_lbbbEUlllE1_EE10hipError_tPvRmT2_T3_mT4_P12ihipStream_tbEUlT_E_NS1_11comp_targetILNS1_3genE8ELNS1_11target_archE1030ELNS1_3gpuE2ELNS1_3repE0EEENS1_30default_config_static_selectorELNS0_4arch9wavefront6targetE1EEEvT1_.numbered_sgpr, 0
	.set _ZN7rocprim17ROCPRIM_400000_NS6detail17trampoline_kernelINS0_14default_configENS1_35adjacent_difference_config_selectorILb0ElEEZNS1_24adjacent_difference_implIS3_Lb0ELb0EPlS7_ZN2at6native12_GLOBAL__N_124unique_dim_cuda_templateImEESt5tupleIJNS8_6TensorESD_SD_EERKSD_lbbbEUlllE1_EE10hipError_tPvRmT2_T3_mT4_P12ihipStream_tbEUlT_E_NS1_11comp_targetILNS1_3genE8ELNS1_11target_archE1030ELNS1_3gpuE2ELNS1_3repE0EEENS1_30default_config_static_selectorELNS0_4arch9wavefront6targetE1EEEvT1_.num_named_barrier, 0
	.set _ZN7rocprim17ROCPRIM_400000_NS6detail17trampoline_kernelINS0_14default_configENS1_35adjacent_difference_config_selectorILb0ElEEZNS1_24adjacent_difference_implIS3_Lb0ELb0EPlS7_ZN2at6native12_GLOBAL__N_124unique_dim_cuda_templateImEESt5tupleIJNS8_6TensorESD_SD_EERKSD_lbbbEUlllE1_EE10hipError_tPvRmT2_T3_mT4_P12ihipStream_tbEUlT_E_NS1_11comp_targetILNS1_3genE8ELNS1_11target_archE1030ELNS1_3gpuE2ELNS1_3repE0EEENS1_30default_config_static_selectorELNS0_4arch9wavefront6targetE1EEEvT1_.private_seg_size, 0
	.set _ZN7rocprim17ROCPRIM_400000_NS6detail17trampoline_kernelINS0_14default_configENS1_35adjacent_difference_config_selectorILb0ElEEZNS1_24adjacent_difference_implIS3_Lb0ELb0EPlS7_ZN2at6native12_GLOBAL__N_124unique_dim_cuda_templateImEESt5tupleIJNS8_6TensorESD_SD_EERKSD_lbbbEUlllE1_EE10hipError_tPvRmT2_T3_mT4_P12ihipStream_tbEUlT_E_NS1_11comp_targetILNS1_3genE8ELNS1_11target_archE1030ELNS1_3gpuE2ELNS1_3repE0EEENS1_30default_config_static_selectorELNS0_4arch9wavefront6targetE1EEEvT1_.uses_vcc, 0
	.set _ZN7rocprim17ROCPRIM_400000_NS6detail17trampoline_kernelINS0_14default_configENS1_35adjacent_difference_config_selectorILb0ElEEZNS1_24adjacent_difference_implIS3_Lb0ELb0EPlS7_ZN2at6native12_GLOBAL__N_124unique_dim_cuda_templateImEESt5tupleIJNS8_6TensorESD_SD_EERKSD_lbbbEUlllE1_EE10hipError_tPvRmT2_T3_mT4_P12ihipStream_tbEUlT_E_NS1_11comp_targetILNS1_3genE8ELNS1_11target_archE1030ELNS1_3gpuE2ELNS1_3repE0EEENS1_30default_config_static_selectorELNS0_4arch9wavefront6targetE1EEEvT1_.uses_flat_scratch, 0
	.set _ZN7rocprim17ROCPRIM_400000_NS6detail17trampoline_kernelINS0_14default_configENS1_35adjacent_difference_config_selectorILb0ElEEZNS1_24adjacent_difference_implIS3_Lb0ELb0EPlS7_ZN2at6native12_GLOBAL__N_124unique_dim_cuda_templateImEESt5tupleIJNS8_6TensorESD_SD_EERKSD_lbbbEUlllE1_EE10hipError_tPvRmT2_T3_mT4_P12ihipStream_tbEUlT_E_NS1_11comp_targetILNS1_3genE8ELNS1_11target_archE1030ELNS1_3gpuE2ELNS1_3repE0EEENS1_30default_config_static_selectorELNS0_4arch9wavefront6targetE1EEEvT1_.has_dyn_sized_stack, 0
	.set _ZN7rocprim17ROCPRIM_400000_NS6detail17trampoline_kernelINS0_14default_configENS1_35adjacent_difference_config_selectorILb0ElEEZNS1_24adjacent_difference_implIS3_Lb0ELb0EPlS7_ZN2at6native12_GLOBAL__N_124unique_dim_cuda_templateImEESt5tupleIJNS8_6TensorESD_SD_EERKSD_lbbbEUlllE1_EE10hipError_tPvRmT2_T3_mT4_P12ihipStream_tbEUlT_E_NS1_11comp_targetILNS1_3genE8ELNS1_11target_archE1030ELNS1_3gpuE2ELNS1_3repE0EEENS1_30default_config_static_selectorELNS0_4arch9wavefront6targetE1EEEvT1_.has_recursion, 0
	.set _ZN7rocprim17ROCPRIM_400000_NS6detail17trampoline_kernelINS0_14default_configENS1_35adjacent_difference_config_selectorILb0ElEEZNS1_24adjacent_difference_implIS3_Lb0ELb0EPlS7_ZN2at6native12_GLOBAL__N_124unique_dim_cuda_templateImEESt5tupleIJNS8_6TensorESD_SD_EERKSD_lbbbEUlllE1_EE10hipError_tPvRmT2_T3_mT4_P12ihipStream_tbEUlT_E_NS1_11comp_targetILNS1_3genE8ELNS1_11target_archE1030ELNS1_3gpuE2ELNS1_3repE0EEENS1_30default_config_static_selectorELNS0_4arch9wavefront6targetE1EEEvT1_.has_indirect_call, 0
	.section	.AMDGPU.csdata,"",@progbits
; Kernel info:
; codeLenInByte = 0
; TotalNumSgprs: 6
; NumVgprs: 0
; NumAgprs: 0
; TotalNumVgprs: 0
; ScratchSize: 0
; MemoryBound: 0
; FloatMode: 240
; IeeeMode: 1
; LDSByteSize: 0 bytes/workgroup (compile time only)
; SGPRBlocks: 0
; VGPRBlocks: 0
; NumSGPRsForWavesPerEU: 6
; NumVGPRsForWavesPerEU: 1
; AccumOffset: 4
; Occupancy: 8
; WaveLimiterHint : 0
; COMPUTE_PGM_RSRC2:SCRATCH_EN: 0
; COMPUTE_PGM_RSRC2:USER_SGPR: 2
; COMPUTE_PGM_RSRC2:TRAP_HANDLER: 0
; COMPUTE_PGM_RSRC2:TGID_X_EN: 1
; COMPUTE_PGM_RSRC2:TGID_Y_EN: 0
; COMPUTE_PGM_RSRC2:TGID_Z_EN: 0
; COMPUTE_PGM_RSRC2:TIDIG_COMP_CNT: 0
; COMPUTE_PGM_RSRC3_GFX90A:ACCUM_OFFSET: 0
; COMPUTE_PGM_RSRC3_GFX90A:TG_SPLIT: 0
	.section	.text._ZN7rocprim17ROCPRIM_400000_NS6detail17trampoline_kernelINS0_14default_configENS1_25transform_config_selectorIlLb0EEEZNS1_14transform_implILb0ES3_S5_NS0_18transform_iteratorINS0_17counting_iteratorImlEEZNS1_24adjacent_difference_implIS3_Lb1ELb0EPlSB_ZN2at6native12_GLOBAL__N_124unique_dim_cuda_templateImEESt5tupleIJNSC_6TensorESH_SH_EERKSH_lbbbEUlllE1_EE10hipError_tPvRmT2_T3_mT4_P12ihipStream_tbEUlmE_lEESB_NS0_8identityIvEEEESM_SP_SQ_mSR_ST_bEUlT_E_NS1_11comp_targetILNS1_3genE0ELNS1_11target_archE4294967295ELNS1_3gpuE0ELNS1_3repE0EEENS1_30default_config_static_selectorELNS0_4arch9wavefront6targetE1EEEvT1_,"axG",@progbits,_ZN7rocprim17ROCPRIM_400000_NS6detail17trampoline_kernelINS0_14default_configENS1_25transform_config_selectorIlLb0EEEZNS1_14transform_implILb0ES3_S5_NS0_18transform_iteratorINS0_17counting_iteratorImlEEZNS1_24adjacent_difference_implIS3_Lb1ELb0EPlSB_ZN2at6native12_GLOBAL__N_124unique_dim_cuda_templateImEESt5tupleIJNSC_6TensorESH_SH_EERKSH_lbbbEUlllE1_EE10hipError_tPvRmT2_T3_mT4_P12ihipStream_tbEUlmE_lEESB_NS0_8identityIvEEEESM_SP_SQ_mSR_ST_bEUlT_E_NS1_11comp_targetILNS1_3genE0ELNS1_11target_archE4294967295ELNS1_3gpuE0ELNS1_3repE0EEENS1_30default_config_static_selectorELNS0_4arch9wavefront6targetE1EEEvT1_,comdat
	.globl	_ZN7rocprim17ROCPRIM_400000_NS6detail17trampoline_kernelINS0_14default_configENS1_25transform_config_selectorIlLb0EEEZNS1_14transform_implILb0ES3_S5_NS0_18transform_iteratorINS0_17counting_iteratorImlEEZNS1_24adjacent_difference_implIS3_Lb1ELb0EPlSB_ZN2at6native12_GLOBAL__N_124unique_dim_cuda_templateImEESt5tupleIJNSC_6TensorESH_SH_EERKSH_lbbbEUlllE1_EE10hipError_tPvRmT2_T3_mT4_P12ihipStream_tbEUlmE_lEESB_NS0_8identityIvEEEESM_SP_SQ_mSR_ST_bEUlT_E_NS1_11comp_targetILNS1_3genE0ELNS1_11target_archE4294967295ELNS1_3gpuE0ELNS1_3repE0EEENS1_30default_config_static_selectorELNS0_4arch9wavefront6targetE1EEEvT1_ ; -- Begin function _ZN7rocprim17ROCPRIM_400000_NS6detail17trampoline_kernelINS0_14default_configENS1_25transform_config_selectorIlLb0EEEZNS1_14transform_implILb0ES3_S5_NS0_18transform_iteratorINS0_17counting_iteratorImlEEZNS1_24adjacent_difference_implIS3_Lb1ELb0EPlSB_ZN2at6native12_GLOBAL__N_124unique_dim_cuda_templateImEESt5tupleIJNSC_6TensorESH_SH_EERKSH_lbbbEUlllE1_EE10hipError_tPvRmT2_T3_mT4_P12ihipStream_tbEUlmE_lEESB_NS0_8identityIvEEEESM_SP_SQ_mSR_ST_bEUlT_E_NS1_11comp_targetILNS1_3genE0ELNS1_11target_archE4294967295ELNS1_3gpuE0ELNS1_3repE0EEENS1_30default_config_static_selectorELNS0_4arch9wavefront6targetE1EEEvT1_
	.p2align	8
	.type	_ZN7rocprim17ROCPRIM_400000_NS6detail17trampoline_kernelINS0_14default_configENS1_25transform_config_selectorIlLb0EEEZNS1_14transform_implILb0ES3_S5_NS0_18transform_iteratorINS0_17counting_iteratorImlEEZNS1_24adjacent_difference_implIS3_Lb1ELb0EPlSB_ZN2at6native12_GLOBAL__N_124unique_dim_cuda_templateImEESt5tupleIJNSC_6TensorESH_SH_EERKSH_lbbbEUlllE1_EE10hipError_tPvRmT2_T3_mT4_P12ihipStream_tbEUlmE_lEESB_NS0_8identityIvEEEESM_SP_SQ_mSR_ST_bEUlT_E_NS1_11comp_targetILNS1_3genE0ELNS1_11target_archE4294967295ELNS1_3gpuE0ELNS1_3repE0EEENS1_30default_config_static_selectorELNS0_4arch9wavefront6targetE1EEEvT1_,@function
_ZN7rocprim17ROCPRIM_400000_NS6detail17trampoline_kernelINS0_14default_configENS1_25transform_config_selectorIlLb0EEEZNS1_14transform_implILb0ES3_S5_NS0_18transform_iteratorINS0_17counting_iteratorImlEEZNS1_24adjacent_difference_implIS3_Lb1ELb0EPlSB_ZN2at6native12_GLOBAL__N_124unique_dim_cuda_templateImEESt5tupleIJNSC_6TensorESH_SH_EERKSH_lbbbEUlllE1_EE10hipError_tPvRmT2_T3_mT4_P12ihipStream_tbEUlmE_lEESB_NS0_8identityIvEEEESM_SP_SQ_mSR_ST_bEUlT_E_NS1_11comp_targetILNS1_3genE0ELNS1_11target_archE4294967295ELNS1_3gpuE0ELNS1_3repE0EEENS1_30default_config_static_selectorELNS0_4arch9wavefront6targetE1EEEvT1_: ; @_ZN7rocprim17ROCPRIM_400000_NS6detail17trampoline_kernelINS0_14default_configENS1_25transform_config_selectorIlLb0EEEZNS1_14transform_implILb0ES3_S5_NS0_18transform_iteratorINS0_17counting_iteratorImlEEZNS1_24adjacent_difference_implIS3_Lb1ELb0EPlSB_ZN2at6native12_GLOBAL__N_124unique_dim_cuda_templateImEESt5tupleIJNSC_6TensorESH_SH_EERKSH_lbbbEUlllE1_EE10hipError_tPvRmT2_T3_mT4_P12ihipStream_tbEUlmE_lEESB_NS0_8identityIvEEEESM_SP_SQ_mSR_ST_bEUlT_E_NS1_11comp_targetILNS1_3genE0ELNS1_11target_archE4294967295ELNS1_3gpuE0ELNS1_3repE0EEENS1_30default_config_static_selectorELNS0_4arch9wavefront6targetE1EEEvT1_
; %bb.0:
	s_load_dword s3, s[0:1], 0x38
	s_load_dword s5, s[0:1], 0x20
	s_lshl_b32 s4, s2, 7
	s_waitcnt lgkmcnt(0)
	s_add_i32 s3, s3, -1
	s_cmp_lg_u32 s2, s3
	s_cselect_b64 s[2:3], -1, 0
	s_sub_i32 s5, s5, s4
	v_cmp_gt_u32_e32 vcc, s5, v0
	s_or_b64 s[2:3], s[2:3], vcc
	s_and_saveexec_b64 s[6:7], s[2:3]
	s_cbranch_execz .LBB1646_2
; %bb.1:
	s_load_dwordx2 s[2:3], s[0:1], 0x18
	s_load_dwordx4 s[8:11], s[0:1], 0x0
	s_load_dwordx2 s[6:7], s[0:1], 0x28
	s_load_dword s5, s[0:1], 0x10
	v_mov_b32_e32 v1, 0
	s_waitcnt lgkmcnt(0)
	s_lshl_b64 s[0:1], s[2:3], 3
	v_mov_b32_e32 v2, s10
	s_add_u32 s6, s6, s0
	s_addc_u32 s7, s7, s1
	s_add_u32 s0, s8, s2
	s_addc_u32 s1, s9, s3
	;; [unrolled: 2-line block ×3, first 2 shown]
	v_lshl_add_u64 v[4:5], s[0:1], 0, v[0:1]
	v_mad_u64_u32 v[6:7], s[0:1], v4, s5, 0
	v_mov_b32_e32 v4, v7
	v_mad_u64_u32 v[4:5], s[0:1], v5, s5, v[4:5]
	v_mov_b32_e32 v3, s11
	v_mov_b32_e32 v7, v4
	v_lshl_add_u64 v[2:3], v[6:7], 3, v[2:3]
	global_load_dwordx2 v[2:3], v[2:3], off
	s_mov_b32 s5, 0
	s_lshl_b64 s[0:1], s[4:5], 3
	s_add_u32 s0, s6, s0
	s_addc_u32 s1, s7, s1
	v_lshl_add_u64 v[0:1], v[0:1], 3, s[0:1]
	s_waitcnt vmcnt(0)
	global_store_dwordx2 v[0:1], v[2:3], off
.LBB1646_2:
	s_endpgm
	.section	.rodata,"a",@progbits
	.p2align	6, 0x0
	.amdhsa_kernel _ZN7rocprim17ROCPRIM_400000_NS6detail17trampoline_kernelINS0_14default_configENS1_25transform_config_selectorIlLb0EEEZNS1_14transform_implILb0ES3_S5_NS0_18transform_iteratorINS0_17counting_iteratorImlEEZNS1_24adjacent_difference_implIS3_Lb1ELb0EPlSB_ZN2at6native12_GLOBAL__N_124unique_dim_cuda_templateImEESt5tupleIJNSC_6TensorESH_SH_EERKSH_lbbbEUlllE1_EE10hipError_tPvRmT2_T3_mT4_P12ihipStream_tbEUlmE_lEESB_NS0_8identityIvEEEESM_SP_SQ_mSR_ST_bEUlT_E_NS1_11comp_targetILNS1_3genE0ELNS1_11target_archE4294967295ELNS1_3gpuE0ELNS1_3repE0EEENS1_30default_config_static_selectorELNS0_4arch9wavefront6targetE1EEEvT1_
		.amdhsa_group_segment_fixed_size 0
		.amdhsa_private_segment_fixed_size 0
		.amdhsa_kernarg_size 312
		.amdhsa_user_sgpr_count 2
		.amdhsa_user_sgpr_dispatch_ptr 0
		.amdhsa_user_sgpr_queue_ptr 0
		.amdhsa_user_sgpr_kernarg_segment_ptr 1
		.amdhsa_user_sgpr_dispatch_id 0
		.amdhsa_user_sgpr_kernarg_preload_length 0
		.amdhsa_user_sgpr_kernarg_preload_offset 0
		.amdhsa_user_sgpr_private_segment_size 0
		.amdhsa_uses_dynamic_stack 0
		.amdhsa_enable_private_segment 0
		.amdhsa_system_sgpr_workgroup_id_x 1
		.amdhsa_system_sgpr_workgroup_id_y 0
		.amdhsa_system_sgpr_workgroup_id_z 0
		.amdhsa_system_sgpr_workgroup_info 0
		.amdhsa_system_vgpr_workitem_id 0
		.amdhsa_next_free_vgpr 8
		.amdhsa_next_free_sgpr 12
		.amdhsa_accum_offset 8
		.amdhsa_reserve_vcc 1
		.amdhsa_float_round_mode_32 0
		.amdhsa_float_round_mode_16_64 0
		.amdhsa_float_denorm_mode_32 3
		.amdhsa_float_denorm_mode_16_64 3
		.amdhsa_dx10_clamp 1
		.amdhsa_ieee_mode 1
		.amdhsa_fp16_overflow 0
		.amdhsa_tg_split 0
		.amdhsa_exception_fp_ieee_invalid_op 0
		.amdhsa_exception_fp_denorm_src 0
		.amdhsa_exception_fp_ieee_div_zero 0
		.amdhsa_exception_fp_ieee_overflow 0
		.amdhsa_exception_fp_ieee_underflow 0
		.amdhsa_exception_fp_ieee_inexact 0
		.amdhsa_exception_int_div_zero 0
	.end_amdhsa_kernel
	.section	.text._ZN7rocprim17ROCPRIM_400000_NS6detail17trampoline_kernelINS0_14default_configENS1_25transform_config_selectorIlLb0EEEZNS1_14transform_implILb0ES3_S5_NS0_18transform_iteratorINS0_17counting_iteratorImlEEZNS1_24adjacent_difference_implIS3_Lb1ELb0EPlSB_ZN2at6native12_GLOBAL__N_124unique_dim_cuda_templateImEESt5tupleIJNSC_6TensorESH_SH_EERKSH_lbbbEUlllE1_EE10hipError_tPvRmT2_T3_mT4_P12ihipStream_tbEUlmE_lEESB_NS0_8identityIvEEEESM_SP_SQ_mSR_ST_bEUlT_E_NS1_11comp_targetILNS1_3genE0ELNS1_11target_archE4294967295ELNS1_3gpuE0ELNS1_3repE0EEENS1_30default_config_static_selectorELNS0_4arch9wavefront6targetE1EEEvT1_,"axG",@progbits,_ZN7rocprim17ROCPRIM_400000_NS6detail17trampoline_kernelINS0_14default_configENS1_25transform_config_selectorIlLb0EEEZNS1_14transform_implILb0ES3_S5_NS0_18transform_iteratorINS0_17counting_iteratorImlEEZNS1_24adjacent_difference_implIS3_Lb1ELb0EPlSB_ZN2at6native12_GLOBAL__N_124unique_dim_cuda_templateImEESt5tupleIJNSC_6TensorESH_SH_EERKSH_lbbbEUlllE1_EE10hipError_tPvRmT2_T3_mT4_P12ihipStream_tbEUlmE_lEESB_NS0_8identityIvEEEESM_SP_SQ_mSR_ST_bEUlT_E_NS1_11comp_targetILNS1_3genE0ELNS1_11target_archE4294967295ELNS1_3gpuE0ELNS1_3repE0EEENS1_30default_config_static_selectorELNS0_4arch9wavefront6targetE1EEEvT1_,comdat
.Lfunc_end1646:
	.size	_ZN7rocprim17ROCPRIM_400000_NS6detail17trampoline_kernelINS0_14default_configENS1_25transform_config_selectorIlLb0EEEZNS1_14transform_implILb0ES3_S5_NS0_18transform_iteratorINS0_17counting_iteratorImlEEZNS1_24adjacent_difference_implIS3_Lb1ELb0EPlSB_ZN2at6native12_GLOBAL__N_124unique_dim_cuda_templateImEESt5tupleIJNSC_6TensorESH_SH_EERKSH_lbbbEUlllE1_EE10hipError_tPvRmT2_T3_mT4_P12ihipStream_tbEUlmE_lEESB_NS0_8identityIvEEEESM_SP_SQ_mSR_ST_bEUlT_E_NS1_11comp_targetILNS1_3genE0ELNS1_11target_archE4294967295ELNS1_3gpuE0ELNS1_3repE0EEENS1_30default_config_static_selectorELNS0_4arch9wavefront6targetE1EEEvT1_, .Lfunc_end1646-_ZN7rocprim17ROCPRIM_400000_NS6detail17trampoline_kernelINS0_14default_configENS1_25transform_config_selectorIlLb0EEEZNS1_14transform_implILb0ES3_S5_NS0_18transform_iteratorINS0_17counting_iteratorImlEEZNS1_24adjacent_difference_implIS3_Lb1ELb0EPlSB_ZN2at6native12_GLOBAL__N_124unique_dim_cuda_templateImEESt5tupleIJNSC_6TensorESH_SH_EERKSH_lbbbEUlllE1_EE10hipError_tPvRmT2_T3_mT4_P12ihipStream_tbEUlmE_lEESB_NS0_8identityIvEEEESM_SP_SQ_mSR_ST_bEUlT_E_NS1_11comp_targetILNS1_3genE0ELNS1_11target_archE4294967295ELNS1_3gpuE0ELNS1_3repE0EEENS1_30default_config_static_selectorELNS0_4arch9wavefront6targetE1EEEvT1_
                                        ; -- End function
	.set _ZN7rocprim17ROCPRIM_400000_NS6detail17trampoline_kernelINS0_14default_configENS1_25transform_config_selectorIlLb0EEEZNS1_14transform_implILb0ES3_S5_NS0_18transform_iteratorINS0_17counting_iteratorImlEEZNS1_24adjacent_difference_implIS3_Lb1ELb0EPlSB_ZN2at6native12_GLOBAL__N_124unique_dim_cuda_templateImEESt5tupleIJNSC_6TensorESH_SH_EERKSH_lbbbEUlllE1_EE10hipError_tPvRmT2_T3_mT4_P12ihipStream_tbEUlmE_lEESB_NS0_8identityIvEEEESM_SP_SQ_mSR_ST_bEUlT_E_NS1_11comp_targetILNS1_3genE0ELNS1_11target_archE4294967295ELNS1_3gpuE0ELNS1_3repE0EEENS1_30default_config_static_selectorELNS0_4arch9wavefront6targetE1EEEvT1_.num_vgpr, 8
	.set _ZN7rocprim17ROCPRIM_400000_NS6detail17trampoline_kernelINS0_14default_configENS1_25transform_config_selectorIlLb0EEEZNS1_14transform_implILb0ES3_S5_NS0_18transform_iteratorINS0_17counting_iteratorImlEEZNS1_24adjacent_difference_implIS3_Lb1ELb0EPlSB_ZN2at6native12_GLOBAL__N_124unique_dim_cuda_templateImEESt5tupleIJNSC_6TensorESH_SH_EERKSH_lbbbEUlllE1_EE10hipError_tPvRmT2_T3_mT4_P12ihipStream_tbEUlmE_lEESB_NS0_8identityIvEEEESM_SP_SQ_mSR_ST_bEUlT_E_NS1_11comp_targetILNS1_3genE0ELNS1_11target_archE4294967295ELNS1_3gpuE0ELNS1_3repE0EEENS1_30default_config_static_selectorELNS0_4arch9wavefront6targetE1EEEvT1_.num_agpr, 0
	.set _ZN7rocprim17ROCPRIM_400000_NS6detail17trampoline_kernelINS0_14default_configENS1_25transform_config_selectorIlLb0EEEZNS1_14transform_implILb0ES3_S5_NS0_18transform_iteratorINS0_17counting_iteratorImlEEZNS1_24adjacent_difference_implIS3_Lb1ELb0EPlSB_ZN2at6native12_GLOBAL__N_124unique_dim_cuda_templateImEESt5tupleIJNSC_6TensorESH_SH_EERKSH_lbbbEUlllE1_EE10hipError_tPvRmT2_T3_mT4_P12ihipStream_tbEUlmE_lEESB_NS0_8identityIvEEEESM_SP_SQ_mSR_ST_bEUlT_E_NS1_11comp_targetILNS1_3genE0ELNS1_11target_archE4294967295ELNS1_3gpuE0ELNS1_3repE0EEENS1_30default_config_static_selectorELNS0_4arch9wavefront6targetE1EEEvT1_.numbered_sgpr, 12
	.set _ZN7rocprim17ROCPRIM_400000_NS6detail17trampoline_kernelINS0_14default_configENS1_25transform_config_selectorIlLb0EEEZNS1_14transform_implILb0ES3_S5_NS0_18transform_iteratorINS0_17counting_iteratorImlEEZNS1_24adjacent_difference_implIS3_Lb1ELb0EPlSB_ZN2at6native12_GLOBAL__N_124unique_dim_cuda_templateImEESt5tupleIJNSC_6TensorESH_SH_EERKSH_lbbbEUlllE1_EE10hipError_tPvRmT2_T3_mT4_P12ihipStream_tbEUlmE_lEESB_NS0_8identityIvEEEESM_SP_SQ_mSR_ST_bEUlT_E_NS1_11comp_targetILNS1_3genE0ELNS1_11target_archE4294967295ELNS1_3gpuE0ELNS1_3repE0EEENS1_30default_config_static_selectorELNS0_4arch9wavefront6targetE1EEEvT1_.num_named_barrier, 0
	.set _ZN7rocprim17ROCPRIM_400000_NS6detail17trampoline_kernelINS0_14default_configENS1_25transform_config_selectorIlLb0EEEZNS1_14transform_implILb0ES3_S5_NS0_18transform_iteratorINS0_17counting_iteratorImlEEZNS1_24adjacent_difference_implIS3_Lb1ELb0EPlSB_ZN2at6native12_GLOBAL__N_124unique_dim_cuda_templateImEESt5tupleIJNSC_6TensorESH_SH_EERKSH_lbbbEUlllE1_EE10hipError_tPvRmT2_T3_mT4_P12ihipStream_tbEUlmE_lEESB_NS0_8identityIvEEEESM_SP_SQ_mSR_ST_bEUlT_E_NS1_11comp_targetILNS1_3genE0ELNS1_11target_archE4294967295ELNS1_3gpuE0ELNS1_3repE0EEENS1_30default_config_static_selectorELNS0_4arch9wavefront6targetE1EEEvT1_.private_seg_size, 0
	.set _ZN7rocprim17ROCPRIM_400000_NS6detail17trampoline_kernelINS0_14default_configENS1_25transform_config_selectorIlLb0EEEZNS1_14transform_implILb0ES3_S5_NS0_18transform_iteratorINS0_17counting_iteratorImlEEZNS1_24adjacent_difference_implIS3_Lb1ELb0EPlSB_ZN2at6native12_GLOBAL__N_124unique_dim_cuda_templateImEESt5tupleIJNSC_6TensorESH_SH_EERKSH_lbbbEUlllE1_EE10hipError_tPvRmT2_T3_mT4_P12ihipStream_tbEUlmE_lEESB_NS0_8identityIvEEEESM_SP_SQ_mSR_ST_bEUlT_E_NS1_11comp_targetILNS1_3genE0ELNS1_11target_archE4294967295ELNS1_3gpuE0ELNS1_3repE0EEENS1_30default_config_static_selectorELNS0_4arch9wavefront6targetE1EEEvT1_.uses_vcc, 1
	.set _ZN7rocprim17ROCPRIM_400000_NS6detail17trampoline_kernelINS0_14default_configENS1_25transform_config_selectorIlLb0EEEZNS1_14transform_implILb0ES3_S5_NS0_18transform_iteratorINS0_17counting_iteratorImlEEZNS1_24adjacent_difference_implIS3_Lb1ELb0EPlSB_ZN2at6native12_GLOBAL__N_124unique_dim_cuda_templateImEESt5tupleIJNSC_6TensorESH_SH_EERKSH_lbbbEUlllE1_EE10hipError_tPvRmT2_T3_mT4_P12ihipStream_tbEUlmE_lEESB_NS0_8identityIvEEEESM_SP_SQ_mSR_ST_bEUlT_E_NS1_11comp_targetILNS1_3genE0ELNS1_11target_archE4294967295ELNS1_3gpuE0ELNS1_3repE0EEENS1_30default_config_static_selectorELNS0_4arch9wavefront6targetE1EEEvT1_.uses_flat_scratch, 0
	.set _ZN7rocprim17ROCPRIM_400000_NS6detail17trampoline_kernelINS0_14default_configENS1_25transform_config_selectorIlLb0EEEZNS1_14transform_implILb0ES3_S5_NS0_18transform_iteratorINS0_17counting_iteratorImlEEZNS1_24adjacent_difference_implIS3_Lb1ELb0EPlSB_ZN2at6native12_GLOBAL__N_124unique_dim_cuda_templateImEESt5tupleIJNSC_6TensorESH_SH_EERKSH_lbbbEUlllE1_EE10hipError_tPvRmT2_T3_mT4_P12ihipStream_tbEUlmE_lEESB_NS0_8identityIvEEEESM_SP_SQ_mSR_ST_bEUlT_E_NS1_11comp_targetILNS1_3genE0ELNS1_11target_archE4294967295ELNS1_3gpuE0ELNS1_3repE0EEENS1_30default_config_static_selectorELNS0_4arch9wavefront6targetE1EEEvT1_.has_dyn_sized_stack, 0
	.set _ZN7rocprim17ROCPRIM_400000_NS6detail17trampoline_kernelINS0_14default_configENS1_25transform_config_selectorIlLb0EEEZNS1_14transform_implILb0ES3_S5_NS0_18transform_iteratorINS0_17counting_iteratorImlEEZNS1_24adjacent_difference_implIS3_Lb1ELb0EPlSB_ZN2at6native12_GLOBAL__N_124unique_dim_cuda_templateImEESt5tupleIJNSC_6TensorESH_SH_EERKSH_lbbbEUlllE1_EE10hipError_tPvRmT2_T3_mT4_P12ihipStream_tbEUlmE_lEESB_NS0_8identityIvEEEESM_SP_SQ_mSR_ST_bEUlT_E_NS1_11comp_targetILNS1_3genE0ELNS1_11target_archE4294967295ELNS1_3gpuE0ELNS1_3repE0EEENS1_30default_config_static_selectorELNS0_4arch9wavefront6targetE1EEEvT1_.has_recursion, 0
	.set _ZN7rocprim17ROCPRIM_400000_NS6detail17trampoline_kernelINS0_14default_configENS1_25transform_config_selectorIlLb0EEEZNS1_14transform_implILb0ES3_S5_NS0_18transform_iteratorINS0_17counting_iteratorImlEEZNS1_24adjacent_difference_implIS3_Lb1ELb0EPlSB_ZN2at6native12_GLOBAL__N_124unique_dim_cuda_templateImEESt5tupleIJNSC_6TensorESH_SH_EERKSH_lbbbEUlllE1_EE10hipError_tPvRmT2_T3_mT4_P12ihipStream_tbEUlmE_lEESB_NS0_8identityIvEEEESM_SP_SQ_mSR_ST_bEUlT_E_NS1_11comp_targetILNS1_3genE0ELNS1_11target_archE4294967295ELNS1_3gpuE0ELNS1_3repE0EEENS1_30default_config_static_selectorELNS0_4arch9wavefront6targetE1EEEvT1_.has_indirect_call, 0
	.section	.AMDGPU.csdata,"",@progbits
; Kernel info:
; codeLenInByte = 220
; TotalNumSgprs: 18
; NumVgprs: 8
; NumAgprs: 0
; TotalNumVgprs: 8
; ScratchSize: 0
; MemoryBound: 0
; FloatMode: 240
; IeeeMode: 1
; LDSByteSize: 0 bytes/workgroup (compile time only)
; SGPRBlocks: 2
; VGPRBlocks: 0
; NumSGPRsForWavesPerEU: 18
; NumVGPRsForWavesPerEU: 8
; AccumOffset: 8
; Occupancy: 8
; WaveLimiterHint : 0
; COMPUTE_PGM_RSRC2:SCRATCH_EN: 0
; COMPUTE_PGM_RSRC2:USER_SGPR: 2
; COMPUTE_PGM_RSRC2:TRAP_HANDLER: 0
; COMPUTE_PGM_RSRC2:TGID_X_EN: 1
; COMPUTE_PGM_RSRC2:TGID_Y_EN: 0
; COMPUTE_PGM_RSRC2:TGID_Z_EN: 0
; COMPUTE_PGM_RSRC2:TIDIG_COMP_CNT: 0
; COMPUTE_PGM_RSRC3_GFX90A:ACCUM_OFFSET: 1
; COMPUTE_PGM_RSRC3_GFX90A:TG_SPLIT: 0
	.section	.text._ZN7rocprim17ROCPRIM_400000_NS6detail17trampoline_kernelINS0_14default_configENS1_25transform_config_selectorIlLb0EEEZNS1_14transform_implILb0ES3_S5_NS0_18transform_iteratorINS0_17counting_iteratorImlEEZNS1_24adjacent_difference_implIS3_Lb1ELb0EPlSB_ZN2at6native12_GLOBAL__N_124unique_dim_cuda_templateImEESt5tupleIJNSC_6TensorESH_SH_EERKSH_lbbbEUlllE1_EE10hipError_tPvRmT2_T3_mT4_P12ihipStream_tbEUlmE_lEESB_NS0_8identityIvEEEESM_SP_SQ_mSR_ST_bEUlT_E_NS1_11comp_targetILNS1_3genE5ELNS1_11target_archE942ELNS1_3gpuE9ELNS1_3repE0EEENS1_30default_config_static_selectorELNS0_4arch9wavefront6targetE1EEEvT1_,"axG",@progbits,_ZN7rocprim17ROCPRIM_400000_NS6detail17trampoline_kernelINS0_14default_configENS1_25transform_config_selectorIlLb0EEEZNS1_14transform_implILb0ES3_S5_NS0_18transform_iteratorINS0_17counting_iteratorImlEEZNS1_24adjacent_difference_implIS3_Lb1ELb0EPlSB_ZN2at6native12_GLOBAL__N_124unique_dim_cuda_templateImEESt5tupleIJNSC_6TensorESH_SH_EERKSH_lbbbEUlllE1_EE10hipError_tPvRmT2_T3_mT4_P12ihipStream_tbEUlmE_lEESB_NS0_8identityIvEEEESM_SP_SQ_mSR_ST_bEUlT_E_NS1_11comp_targetILNS1_3genE5ELNS1_11target_archE942ELNS1_3gpuE9ELNS1_3repE0EEENS1_30default_config_static_selectorELNS0_4arch9wavefront6targetE1EEEvT1_,comdat
	.globl	_ZN7rocprim17ROCPRIM_400000_NS6detail17trampoline_kernelINS0_14default_configENS1_25transform_config_selectorIlLb0EEEZNS1_14transform_implILb0ES3_S5_NS0_18transform_iteratorINS0_17counting_iteratorImlEEZNS1_24adjacent_difference_implIS3_Lb1ELb0EPlSB_ZN2at6native12_GLOBAL__N_124unique_dim_cuda_templateImEESt5tupleIJNSC_6TensorESH_SH_EERKSH_lbbbEUlllE1_EE10hipError_tPvRmT2_T3_mT4_P12ihipStream_tbEUlmE_lEESB_NS0_8identityIvEEEESM_SP_SQ_mSR_ST_bEUlT_E_NS1_11comp_targetILNS1_3genE5ELNS1_11target_archE942ELNS1_3gpuE9ELNS1_3repE0EEENS1_30default_config_static_selectorELNS0_4arch9wavefront6targetE1EEEvT1_ ; -- Begin function _ZN7rocprim17ROCPRIM_400000_NS6detail17trampoline_kernelINS0_14default_configENS1_25transform_config_selectorIlLb0EEEZNS1_14transform_implILb0ES3_S5_NS0_18transform_iteratorINS0_17counting_iteratorImlEEZNS1_24adjacent_difference_implIS3_Lb1ELb0EPlSB_ZN2at6native12_GLOBAL__N_124unique_dim_cuda_templateImEESt5tupleIJNSC_6TensorESH_SH_EERKSH_lbbbEUlllE1_EE10hipError_tPvRmT2_T3_mT4_P12ihipStream_tbEUlmE_lEESB_NS0_8identityIvEEEESM_SP_SQ_mSR_ST_bEUlT_E_NS1_11comp_targetILNS1_3genE5ELNS1_11target_archE942ELNS1_3gpuE9ELNS1_3repE0EEENS1_30default_config_static_selectorELNS0_4arch9wavefront6targetE1EEEvT1_
	.p2align	8
	.type	_ZN7rocprim17ROCPRIM_400000_NS6detail17trampoline_kernelINS0_14default_configENS1_25transform_config_selectorIlLb0EEEZNS1_14transform_implILb0ES3_S5_NS0_18transform_iteratorINS0_17counting_iteratorImlEEZNS1_24adjacent_difference_implIS3_Lb1ELb0EPlSB_ZN2at6native12_GLOBAL__N_124unique_dim_cuda_templateImEESt5tupleIJNSC_6TensorESH_SH_EERKSH_lbbbEUlllE1_EE10hipError_tPvRmT2_T3_mT4_P12ihipStream_tbEUlmE_lEESB_NS0_8identityIvEEEESM_SP_SQ_mSR_ST_bEUlT_E_NS1_11comp_targetILNS1_3genE5ELNS1_11target_archE942ELNS1_3gpuE9ELNS1_3repE0EEENS1_30default_config_static_selectorELNS0_4arch9wavefront6targetE1EEEvT1_,@function
_ZN7rocprim17ROCPRIM_400000_NS6detail17trampoline_kernelINS0_14default_configENS1_25transform_config_selectorIlLb0EEEZNS1_14transform_implILb0ES3_S5_NS0_18transform_iteratorINS0_17counting_iteratorImlEEZNS1_24adjacent_difference_implIS3_Lb1ELb0EPlSB_ZN2at6native12_GLOBAL__N_124unique_dim_cuda_templateImEESt5tupleIJNSC_6TensorESH_SH_EERKSH_lbbbEUlllE1_EE10hipError_tPvRmT2_T3_mT4_P12ihipStream_tbEUlmE_lEESB_NS0_8identityIvEEEESM_SP_SQ_mSR_ST_bEUlT_E_NS1_11comp_targetILNS1_3genE5ELNS1_11target_archE942ELNS1_3gpuE9ELNS1_3repE0EEENS1_30default_config_static_selectorELNS0_4arch9wavefront6targetE1EEEvT1_: ; @_ZN7rocprim17ROCPRIM_400000_NS6detail17trampoline_kernelINS0_14default_configENS1_25transform_config_selectorIlLb0EEEZNS1_14transform_implILb0ES3_S5_NS0_18transform_iteratorINS0_17counting_iteratorImlEEZNS1_24adjacent_difference_implIS3_Lb1ELb0EPlSB_ZN2at6native12_GLOBAL__N_124unique_dim_cuda_templateImEESt5tupleIJNSC_6TensorESH_SH_EERKSH_lbbbEUlllE1_EE10hipError_tPvRmT2_T3_mT4_P12ihipStream_tbEUlmE_lEESB_NS0_8identityIvEEEESM_SP_SQ_mSR_ST_bEUlT_E_NS1_11comp_targetILNS1_3genE5ELNS1_11target_archE942ELNS1_3gpuE9ELNS1_3repE0EEENS1_30default_config_static_selectorELNS0_4arch9wavefront6targetE1EEEvT1_
; %bb.0:
	.section	.rodata,"a",@progbits
	.p2align	6, 0x0
	.amdhsa_kernel _ZN7rocprim17ROCPRIM_400000_NS6detail17trampoline_kernelINS0_14default_configENS1_25transform_config_selectorIlLb0EEEZNS1_14transform_implILb0ES3_S5_NS0_18transform_iteratorINS0_17counting_iteratorImlEEZNS1_24adjacent_difference_implIS3_Lb1ELb0EPlSB_ZN2at6native12_GLOBAL__N_124unique_dim_cuda_templateImEESt5tupleIJNSC_6TensorESH_SH_EERKSH_lbbbEUlllE1_EE10hipError_tPvRmT2_T3_mT4_P12ihipStream_tbEUlmE_lEESB_NS0_8identityIvEEEESM_SP_SQ_mSR_ST_bEUlT_E_NS1_11comp_targetILNS1_3genE5ELNS1_11target_archE942ELNS1_3gpuE9ELNS1_3repE0EEENS1_30default_config_static_selectorELNS0_4arch9wavefront6targetE1EEEvT1_
		.amdhsa_group_segment_fixed_size 0
		.amdhsa_private_segment_fixed_size 0
		.amdhsa_kernarg_size 56
		.amdhsa_user_sgpr_count 2
		.amdhsa_user_sgpr_dispatch_ptr 0
		.amdhsa_user_sgpr_queue_ptr 0
		.amdhsa_user_sgpr_kernarg_segment_ptr 1
		.amdhsa_user_sgpr_dispatch_id 0
		.amdhsa_user_sgpr_kernarg_preload_length 0
		.amdhsa_user_sgpr_kernarg_preload_offset 0
		.amdhsa_user_sgpr_private_segment_size 0
		.amdhsa_uses_dynamic_stack 0
		.amdhsa_enable_private_segment 0
		.amdhsa_system_sgpr_workgroup_id_x 1
		.amdhsa_system_sgpr_workgroup_id_y 0
		.amdhsa_system_sgpr_workgroup_id_z 0
		.amdhsa_system_sgpr_workgroup_info 0
		.amdhsa_system_vgpr_workitem_id 0
		.amdhsa_next_free_vgpr 1
		.amdhsa_next_free_sgpr 0
		.amdhsa_accum_offset 4
		.amdhsa_reserve_vcc 0
		.amdhsa_float_round_mode_32 0
		.amdhsa_float_round_mode_16_64 0
		.amdhsa_float_denorm_mode_32 3
		.amdhsa_float_denorm_mode_16_64 3
		.amdhsa_dx10_clamp 1
		.amdhsa_ieee_mode 1
		.amdhsa_fp16_overflow 0
		.amdhsa_tg_split 0
		.amdhsa_exception_fp_ieee_invalid_op 0
		.amdhsa_exception_fp_denorm_src 0
		.amdhsa_exception_fp_ieee_div_zero 0
		.amdhsa_exception_fp_ieee_overflow 0
		.amdhsa_exception_fp_ieee_underflow 0
		.amdhsa_exception_fp_ieee_inexact 0
		.amdhsa_exception_int_div_zero 0
	.end_amdhsa_kernel
	.section	.text._ZN7rocprim17ROCPRIM_400000_NS6detail17trampoline_kernelINS0_14default_configENS1_25transform_config_selectorIlLb0EEEZNS1_14transform_implILb0ES3_S5_NS0_18transform_iteratorINS0_17counting_iteratorImlEEZNS1_24adjacent_difference_implIS3_Lb1ELb0EPlSB_ZN2at6native12_GLOBAL__N_124unique_dim_cuda_templateImEESt5tupleIJNSC_6TensorESH_SH_EERKSH_lbbbEUlllE1_EE10hipError_tPvRmT2_T3_mT4_P12ihipStream_tbEUlmE_lEESB_NS0_8identityIvEEEESM_SP_SQ_mSR_ST_bEUlT_E_NS1_11comp_targetILNS1_3genE5ELNS1_11target_archE942ELNS1_3gpuE9ELNS1_3repE0EEENS1_30default_config_static_selectorELNS0_4arch9wavefront6targetE1EEEvT1_,"axG",@progbits,_ZN7rocprim17ROCPRIM_400000_NS6detail17trampoline_kernelINS0_14default_configENS1_25transform_config_selectorIlLb0EEEZNS1_14transform_implILb0ES3_S5_NS0_18transform_iteratorINS0_17counting_iteratorImlEEZNS1_24adjacent_difference_implIS3_Lb1ELb0EPlSB_ZN2at6native12_GLOBAL__N_124unique_dim_cuda_templateImEESt5tupleIJNSC_6TensorESH_SH_EERKSH_lbbbEUlllE1_EE10hipError_tPvRmT2_T3_mT4_P12ihipStream_tbEUlmE_lEESB_NS0_8identityIvEEEESM_SP_SQ_mSR_ST_bEUlT_E_NS1_11comp_targetILNS1_3genE5ELNS1_11target_archE942ELNS1_3gpuE9ELNS1_3repE0EEENS1_30default_config_static_selectorELNS0_4arch9wavefront6targetE1EEEvT1_,comdat
.Lfunc_end1647:
	.size	_ZN7rocprim17ROCPRIM_400000_NS6detail17trampoline_kernelINS0_14default_configENS1_25transform_config_selectorIlLb0EEEZNS1_14transform_implILb0ES3_S5_NS0_18transform_iteratorINS0_17counting_iteratorImlEEZNS1_24adjacent_difference_implIS3_Lb1ELb0EPlSB_ZN2at6native12_GLOBAL__N_124unique_dim_cuda_templateImEESt5tupleIJNSC_6TensorESH_SH_EERKSH_lbbbEUlllE1_EE10hipError_tPvRmT2_T3_mT4_P12ihipStream_tbEUlmE_lEESB_NS0_8identityIvEEEESM_SP_SQ_mSR_ST_bEUlT_E_NS1_11comp_targetILNS1_3genE5ELNS1_11target_archE942ELNS1_3gpuE9ELNS1_3repE0EEENS1_30default_config_static_selectorELNS0_4arch9wavefront6targetE1EEEvT1_, .Lfunc_end1647-_ZN7rocprim17ROCPRIM_400000_NS6detail17trampoline_kernelINS0_14default_configENS1_25transform_config_selectorIlLb0EEEZNS1_14transform_implILb0ES3_S5_NS0_18transform_iteratorINS0_17counting_iteratorImlEEZNS1_24adjacent_difference_implIS3_Lb1ELb0EPlSB_ZN2at6native12_GLOBAL__N_124unique_dim_cuda_templateImEESt5tupleIJNSC_6TensorESH_SH_EERKSH_lbbbEUlllE1_EE10hipError_tPvRmT2_T3_mT4_P12ihipStream_tbEUlmE_lEESB_NS0_8identityIvEEEESM_SP_SQ_mSR_ST_bEUlT_E_NS1_11comp_targetILNS1_3genE5ELNS1_11target_archE942ELNS1_3gpuE9ELNS1_3repE0EEENS1_30default_config_static_selectorELNS0_4arch9wavefront6targetE1EEEvT1_
                                        ; -- End function
	.set _ZN7rocprim17ROCPRIM_400000_NS6detail17trampoline_kernelINS0_14default_configENS1_25transform_config_selectorIlLb0EEEZNS1_14transform_implILb0ES3_S5_NS0_18transform_iteratorINS0_17counting_iteratorImlEEZNS1_24adjacent_difference_implIS3_Lb1ELb0EPlSB_ZN2at6native12_GLOBAL__N_124unique_dim_cuda_templateImEESt5tupleIJNSC_6TensorESH_SH_EERKSH_lbbbEUlllE1_EE10hipError_tPvRmT2_T3_mT4_P12ihipStream_tbEUlmE_lEESB_NS0_8identityIvEEEESM_SP_SQ_mSR_ST_bEUlT_E_NS1_11comp_targetILNS1_3genE5ELNS1_11target_archE942ELNS1_3gpuE9ELNS1_3repE0EEENS1_30default_config_static_selectorELNS0_4arch9wavefront6targetE1EEEvT1_.num_vgpr, 0
	.set _ZN7rocprim17ROCPRIM_400000_NS6detail17trampoline_kernelINS0_14default_configENS1_25transform_config_selectorIlLb0EEEZNS1_14transform_implILb0ES3_S5_NS0_18transform_iteratorINS0_17counting_iteratorImlEEZNS1_24adjacent_difference_implIS3_Lb1ELb0EPlSB_ZN2at6native12_GLOBAL__N_124unique_dim_cuda_templateImEESt5tupleIJNSC_6TensorESH_SH_EERKSH_lbbbEUlllE1_EE10hipError_tPvRmT2_T3_mT4_P12ihipStream_tbEUlmE_lEESB_NS0_8identityIvEEEESM_SP_SQ_mSR_ST_bEUlT_E_NS1_11comp_targetILNS1_3genE5ELNS1_11target_archE942ELNS1_3gpuE9ELNS1_3repE0EEENS1_30default_config_static_selectorELNS0_4arch9wavefront6targetE1EEEvT1_.num_agpr, 0
	.set _ZN7rocprim17ROCPRIM_400000_NS6detail17trampoline_kernelINS0_14default_configENS1_25transform_config_selectorIlLb0EEEZNS1_14transform_implILb0ES3_S5_NS0_18transform_iteratorINS0_17counting_iteratorImlEEZNS1_24adjacent_difference_implIS3_Lb1ELb0EPlSB_ZN2at6native12_GLOBAL__N_124unique_dim_cuda_templateImEESt5tupleIJNSC_6TensorESH_SH_EERKSH_lbbbEUlllE1_EE10hipError_tPvRmT2_T3_mT4_P12ihipStream_tbEUlmE_lEESB_NS0_8identityIvEEEESM_SP_SQ_mSR_ST_bEUlT_E_NS1_11comp_targetILNS1_3genE5ELNS1_11target_archE942ELNS1_3gpuE9ELNS1_3repE0EEENS1_30default_config_static_selectorELNS0_4arch9wavefront6targetE1EEEvT1_.numbered_sgpr, 0
	.set _ZN7rocprim17ROCPRIM_400000_NS6detail17trampoline_kernelINS0_14default_configENS1_25transform_config_selectorIlLb0EEEZNS1_14transform_implILb0ES3_S5_NS0_18transform_iteratorINS0_17counting_iteratorImlEEZNS1_24adjacent_difference_implIS3_Lb1ELb0EPlSB_ZN2at6native12_GLOBAL__N_124unique_dim_cuda_templateImEESt5tupleIJNSC_6TensorESH_SH_EERKSH_lbbbEUlllE1_EE10hipError_tPvRmT2_T3_mT4_P12ihipStream_tbEUlmE_lEESB_NS0_8identityIvEEEESM_SP_SQ_mSR_ST_bEUlT_E_NS1_11comp_targetILNS1_3genE5ELNS1_11target_archE942ELNS1_3gpuE9ELNS1_3repE0EEENS1_30default_config_static_selectorELNS0_4arch9wavefront6targetE1EEEvT1_.num_named_barrier, 0
	.set _ZN7rocprim17ROCPRIM_400000_NS6detail17trampoline_kernelINS0_14default_configENS1_25transform_config_selectorIlLb0EEEZNS1_14transform_implILb0ES3_S5_NS0_18transform_iteratorINS0_17counting_iteratorImlEEZNS1_24adjacent_difference_implIS3_Lb1ELb0EPlSB_ZN2at6native12_GLOBAL__N_124unique_dim_cuda_templateImEESt5tupleIJNSC_6TensorESH_SH_EERKSH_lbbbEUlllE1_EE10hipError_tPvRmT2_T3_mT4_P12ihipStream_tbEUlmE_lEESB_NS0_8identityIvEEEESM_SP_SQ_mSR_ST_bEUlT_E_NS1_11comp_targetILNS1_3genE5ELNS1_11target_archE942ELNS1_3gpuE9ELNS1_3repE0EEENS1_30default_config_static_selectorELNS0_4arch9wavefront6targetE1EEEvT1_.private_seg_size, 0
	.set _ZN7rocprim17ROCPRIM_400000_NS6detail17trampoline_kernelINS0_14default_configENS1_25transform_config_selectorIlLb0EEEZNS1_14transform_implILb0ES3_S5_NS0_18transform_iteratorINS0_17counting_iteratorImlEEZNS1_24adjacent_difference_implIS3_Lb1ELb0EPlSB_ZN2at6native12_GLOBAL__N_124unique_dim_cuda_templateImEESt5tupleIJNSC_6TensorESH_SH_EERKSH_lbbbEUlllE1_EE10hipError_tPvRmT2_T3_mT4_P12ihipStream_tbEUlmE_lEESB_NS0_8identityIvEEEESM_SP_SQ_mSR_ST_bEUlT_E_NS1_11comp_targetILNS1_3genE5ELNS1_11target_archE942ELNS1_3gpuE9ELNS1_3repE0EEENS1_30default_config_static_selectorELNS0_4arch9wavefront6targetE1EEEvT1_.uses_vcc, 0
	.set _ZN7rocprim17ROCPRIM_400000_NS6detail17trampoline_kernelINS0_14default_configENS1_25transform_config_selectorIlLb0EEEZNS1_14transform_implILb0ES3_S5_NS0_18transform_iteratorINS0_17counting_iteratorImlEEZNS1_24adjacent_difference_implIS3_Lb1ELb0EPlSB_ZN2at6native12_GLOBAL__N_124unique_dim_cuda_templateImEESt5tupleIJNSC_6TensorESH_SH_EERKSH_lbbbEUlllE1_EE10hipError_tPvRmT2_T3_mT4_P12ihipStream_tbEUlmE_lEESB_NS0_8identityIvEEEESM_SP_SQ_mSR_ST_bEUlT_E_NS1_11comp_targetILNS1_3genE5ELNS1_11target_archE942ELNS1_3gpuE9ELNS1_3repE0EEENS1_30default_config_static_selectorELNS0_4arch9wavefront6targetE1EEEvT1_.uses_flat_scratch, 0
	.set _ZN7rocprim17ROCPRIM_400000_NS6detail17trampoline_kernelINS0_14default_configENS1_25transform_config_selectorIlLb0EEEZNS1_14transform_implILb0ES3_S5_NS0_18transform_iteratorINS0_17counting_iteratorImlEEZNS1_24adjacent_difference_implIS3_Lb1ELb0EPlSB_ZN2at6native12_GLOBAL__N_124unique_dim_cuda_templateImEESt5tupleIJNSC_6TensorESH_SH_EERKSH_lbbbEUlllE1_EE10hipError_tPvRmT2_T3_mT4_P12ihipStream_tbEUlmE_lEESB_NS0_8identityIvEEEESM_SP_SQ_mSR_ST_bEUlT_E_NS1_11comp_targetILNS1_3genE5ELNS1_11target_archE942ELNS1_3gpuE9ELNS1_3repE0EEENS1_30default_config_static_selectorELNS0_4arch9wavefront6targetE1EEEvT1_.has_dyn_sized_stack, 0
	.set _ZN7rocprim17ROCPRIM_400000_NS6detail17trampoline_kernelINS0_14default_configENS1_25transform_config_selectorIlLb0EEEZNS1_14transform_implILb0ES3_S5_NS0_18transform_iteratorINS0_17counting_iteratorImlEEZNS1_24adjacent_difference_implIS3_Lb1ELb0EPlSB_ZN2at6native12_GLOBAL__N_124unique_dim_cuda_templateImEESt5tupleIJNSC_6TensorESH_SH_EERKSH_lbbbEUlllE1_EE10hipError_tPvRmT2_T3_mT4_P12ihipStream_tbEUlmE_lEESB_NS0_8identityIvEEEESM_SP_SQ_mSR_ST_bEUlT_E_NS1_11comp_targetILNS1_3genE5ELNS1_11target_archE942ELNS1_3gpuE9ELNS1_3repE0EEENS1_30default_config_static_selectorELNS0_4arch9wavefront6targetE1EEEvT1_.has_recursion, 0
	.set _ZN7rocprim17ROCPRIM_400000_NS6detail17trampoline_kernelINS0_14default_configENS1_25transform_config_selectorIlLb0EEEZNS1_14transform_implILb0ES3_S5_NS0_18transform_iteratorINS0_17counting_iteratorImlEEZNS1_24adjacent_difference_implIS3_Lb1ELb0EPlSB_ZN2at6native12_GLOBAL__N_124unique_dim_cuda_templateImEESt5tupleIJNSC_6TensorESH_SH_EERKSH_lbbbEUlllE1_EE10hipError_tPvRmT2_T3_mT4_P12ihipStream_tbEUlmE_lEESB_NS0_8identityIvEEEESM_SP_SQ_mSR_ST_bEUlT_E_NS1_11comp_targetILNS1_3genE5ELNS1_11target_archE942ELNS1_3gpuE9ELNS1_3repE0EEENS1_30default_config_static_selectorELNS0_4arch9wavefront6targetE1EEEvT1_.has_indirect_call, 0
	.section	.AMDGPU.csdata,"",@progbits
; Kernel info:
; codeLenInByte = 0
; TotalNumSgprs: 6
; NumVgprs: 0
; NumAgprs: 0
; TotalNumVgprs: 0
; ScratchSize: 0
; MemoryBound: 0
; FloatMode: 240
; IeeeMode: 1
; LDSByteSize: 0 bytes/workgroup (compile time only)
; SGPRBlocks: 0
; VGPRBlocks: 0
; NumSGPRsForWavesPerEU: 6
; NumVGPRsForWavesPerEU: 1
; AccumOffset: 4
; Occupancy: 8
; WaveLimiterHint : 0
; COMPUTE_PGM_RSRC2:SCRATCH_EN: 0
; COMPUTE_PGM_RSRC2:USER_SGPR: 2
; COMPUTE_PGM_RSRC2:TRAP_HANDLER: 0
; COMPUTE_PGM_RSRC2:TGID_X_EN: 1
; COMPUTE_PGM_RSRC2:TGID_Y_EN: 0
; COMPUTE_PGM_RSRC2:TGID_Z_EN: 0
; COMPUTE_PGM_RSRC2:TIDIG_COMP_CNT: 0
; COMPUTE_PGM_RSRC3_GFX90A:ACCUM_OFFSET: 0
; COMPUTE_PGM_RSRC3_GFX90A:TG_SPLIT: 0
	.section	.text._ZN7rocprim17ROCPRIM_400000_NS6detail17trampoline_kernelINS0_14default_configENS1_25transform_config_selectorIlLb0EEEZNS1_14transform_implILb0ES3_S5_NS0_18transform_iteratorINS0_17counting_iteratorImlEEZNS1_24adjacent_difference_implIS3_Lb1ELb0EPlSB_ZN2at6native12_GLOBAL__N_124unique_dim_cuda_templateImEESt5tupleIJNSC_6TensorESH_SH_EERKSH_lbbbEUlllE1_EE10hipError_tPvRmT2_T3_mT4_P12ihipStream_tbEUlmE_lEESB_NS0_8identityIvEEEESM_SP_SQ_mSR_ST_bEUlT_E_NS1_11comp_targetILNS1_3genE4ELNS1_11target_archE910ELNS1_3gpuE8ELNS1_3repE0EEENS1_30default_config_static_selectorELNS0_4arch9wavefront6targetE1EEEvT1_,"axG",@progbits,_ZN7rocprim17ROCPRIM_400000_NS6detail17trampoline_kernelINS0_14default_configENS1_25transform_config_selectorIlLb0EEEZNS1_14transform_implILb0ES3_S5_NS0_18transform_iteratorINS0_17counting_iteratorImlEEZNS1_24adjacent_difference_implIS3_Lb1ELb0EPlSB_ZN2at6native12_GLOBAL__N_124unique_dim_cuda_templateImEESt5tupleIJNSC_6TensorESH_SH_EERKSH_lbbbEUlllE1_EE10hipError_tPvRmT2_T3_mT4_P12ihipStream_tbEUlmE_lEESB_NS0_8identityIvEEEESM_SP_SQ_mSR_ST_bEUlT_E_NS1_11comp_targetILNS1_3genE4ELNS1_11target_archE910ELNS1_3gpuE8ELNS1_3repE0EEENS1_30default_config_static_selectorELNS0_4arch9wavefront6targetE1EEEvT1_,comdat
	.globl	_ZN7rocprim17ROCPRIM_400000_NS6detail17trampoline_kernelINS0_14default_configENS1_25transform_config_selectorIlLb0EEEZNS1_14transform_implILb0ES3_S5_NS0_18transform_iteratorINS0_17counting_iteratorImlEEZNS1_24adjacent_difference_implIS3_Lb1ELb0EPlSB_ZN2at6native12_GLOBAL__N_124unique_dim_cuda_templateImEESt5tupleIJNSC_6TensorESH_SH_EERKSH_lbbbEUlllE1_EE10hipError_tPvRmT2_T3_mT4_P12ihipStream_tbEUlmE_lEESB_NS0_8identityIvEEEESM_SP_SQ_mSR_ST_bEUlT_E_NS1_11comp_targetILNS1_3genE4ELNS1_11target_archE910ELNS1_3gpuE8ELNS1_3repE0EEENS1_30default_config_static_selectorELNS0_4arch9wavefront6targetE1EEEvT1_ ; -- Begin function _ZN7rocprim17ROCPRIM_400000_NS6detail17trampoline_kernelINS0_14default_configENS1_25transform_config_selectorIlLb0EEEZNS1_14transform_implILb0ES3_S5_NS0_18transform_iteratorINS0_17counting_iteratorImlEEZNS1_24adjacent_difference_implIS3_Lb1ELb0EPlSB_ZN2at6native12_GLOBAL__N_124unique_dim_cuda_templateImEESt5tupleIJNSC_6TensorESH_SH_EERKSH_lbbbEUlllE1_EE10hipError_tPvRmT2_T3_mT4_P12ihipStream_tbEUlmE_lEESB_NS0_8identityIvEEEESM_SP_SQ_mSR_ST_bEUlT_E_NS1_11comp_targetILNS1_3genE4ELNS1_11target_archE910ELNS1_3gpuE8ELNS1_3repE0EEENS1_30default_config_static_selectorELNS0_4arch9wavefront6targetE1EEEvT1_
	.p2align	8
	.type	_ZN7rocprim17ROCPRIM_400000_NS6detail17trampoline_kernelINS0_14default_configENS1_25transform_config_selectorIlLb0EEEZNS1_14transform_implILb0ES3_S5_NS0_18transform_iteratorINS0_17counting_iteratorImlEEZNS1_24adjacent_difference_implIS3_Lb1ELb0EPlSB_ZN2at6native12_GLOBAL__N_124unique_dim_cuda_templateImEESt5tupleIJNSC_6TensorESH_SH_EERKSH_lbbbEUlllE1_EE10hipError_tPvRmT2_T3_mT4_P12ihipStream_tbEUlmE_lEESB_NS0_8identityIvEEEESM_SP_SQ_mSR_ST_bEUlT_E_NS1_11comp_targetILNS1_3genE4ELNS1_11target_archE910ELNS1_3gpuE8ELNS1_3repE0EEENS1_30default_config_static_selectorELNS0_4arch9wavefront6targetE1EEEvT1_,@function
_ZN7rocprim17ROCPRIM_400000_NS6detail17trampoline_kernelINS0_14default_configENS1_25transform_config_selectorIlLb0EEEZNS1_14transform_implILb0ES3_S5_NS0_18transform_iteratorINS0_17counting_iteratorImlEEZNS1_24adjacent_difference_implIS3_Lb1ELb0EPlSB_ZN2at6native12_GLOBAL__N_124unique_dim_cuda_templateImEESt5tupleIJNSC_6TensorESH_SH_EERKSH_lbbbEUlllE1_EE10hipError_tPvRmT2_T3_mT4_P12ihipStream_tbEUlmE_lEESB_NS0_8identityIvEEEESM_SP_SQ_mSR_ST_bEUlT_E_NS1_11comp_targetILNS1_3genE4ELNS1_11target_archE910ELNS1_3gpuE8ELNS1_3repE0EEENS1_30default_config_static_selectorELNS0_4arch9wavefront6targetE1EEEvT1_: ; @_ZN7rocprim17ROCPRIM_400000_NS6detail17trampoline_kernelINS0_14default_configENS1_25transform_config_selectorIlLb0EEEZNS1_14transform_implILb0ES3_S5_NS0_18transform_iteratorINS0_17counting_iteratorImlEEZNS1_24adjacent_difference_implIS3_Lb1ELb0EPlSB_ZN2at6native12_GLOBAL__N_124unique_dim_cuda_templateImEESt5tupleIJNSC_6TensorESH_SH_EERKSH_lbbbEUlllE1_EE10hipError_tPvRmT2_T3_mT4_P12ihipStream_tbEUlmE_lEESB_NS0_8identityIvEEEESM_SP_SQ_mSR_ST_bEUlT_E_NS1_11comp_targetILNS1_3genE4ELNS1_11target_archE910ELNS1_3gpuE8ELNS1_3repE0EEENS1_30default_config_static_selectorELNS0_4arch9wavefront6targetE1EEEvT1_
; %bb.0:
	.section	.rodata,"a",@progbits
	.p2align	6, 0x0
	.amdhsa_kernel _ZN7rocprim17ROCPRIM_400000_NS6detail17trampoline_kernelINS0_14default_configENS1_25transform_config_selectorIlLb0EEEZNS1_14transform_implILb0ES3_S5_NS0_18transform_iteratorINS0_17counting_iteratorImlEEZNS1_24adjacent_difference_implIS3_Lb1ELb0EPlSB_ZN2at6native12_GLOBAL__N_124unique_dim_cuda_templateImEESt5tupleIJNSC_6TensorESH_SH_EERKSH_lbbbEUlllE1_EE10hipError_tPvRmT2_T3_mT4_P12ihipStream_tbEUlmE_lEESB_NS0_8identityIvEEEESM_SP_SQ_mSR_ST_bEUlT_E_NS1_11comp_targetILNS1_3genE4ELNS1_11target_archE910ELNS1_3gpuE8ELNS1_3repE0EEENS1_30default_config_static_selectorELNS0_4arch9wavefront6targetE1EEEvT1_
		.amdhsa_group_segment_fixed_size 0
		.amdhsa_private_segment_fixed_size 0
		.amdhsa_kernarg_size 56
		.amdhsa_user_sgpr_count 2
		.amdhsa_user_sgpr_dispatch_ptr 0
		.amdhsa_user_sgpr_queue_ptr 0
		.amdhsa_user_sgpr_kernarg_segment_ptr 1
		.amdhsa_user_sgpr_dispatch_id 0
		.amdhsa_user_sgpr_kernarg_preload_length 0
		.amdhsa_user_sgpr_kernarg_preload_offset 0
		.amdhsa_user_sgpr_private_segment_size 0
		.amdhsa_uses_dynamic_stack 0
		.amdhsa_enable_private_segment 0
		.amdhsa_system_sgpr_workgroup_id_x 1
		.amdhsa_system_sgpr_workgroup_id_y 0
		.amdhsa_system_sgpr_workgroup_id_z 0
		.amdhsa_system_sgpr_workgroup_info 0
		.amdhsa_system_vgpr_workitem_id 0
		.amdhsa_next_free_vgpr 1
		.amdhsa_next_free_sgpr 0
		.amdhsa_accum_offset 4
		.amdhsa_reserve_vcc 0
		.amdhsa_float_round_mode_32 0
		.amdhsa_float_round_mode_16_64 0
		.amdhsa_float_denorm_mode_32 3
		.amdhsa_float_denorm_mode_16_64 3
		.amdhsa_dx10_clamp 1
		.amdhsa_ieee_mode 1
		.amdhsa_fp16_overflow 0
		.amdhsa_tg_split 0
		.amdhsa_exception_fp_ieee_invalid_op 0
		.amdhsa_exception_fp_denorm_src 0
		.amdhsa_exception_fp_ieee_div_zero 0
		.amdhsa_exception_fp_ieee_overflow 0
		.amdhsa_exception_fp_ieee_underflow 0
		.amdhsa_exception_fp_ieee_inexact 0
		.amdhsa_exception_int_div_zero 0
	.end_amdhsa_kernel
	.section	.text._ZN7rocprim17ROCPRIM_400000_NS6detail17trampoline_kernelINS0_14default_configENS1_25transform_config_selectorIlLb0EEEZNS1_14transform_implILb0ES3_S5_NS0_18transform_iteratorINS0_17counting_iteratorImlEEZNS1_24adjacent_difference_implIS3_Lb1ELb0EPlSB_ZN2at6native12_GLOBAL__N_124unique_dim_cuda_templateImEESt5tupleIJNSC_6TensorESH_SH_EERKSH_lbbbEUlllE1_EE10hipError_tPvRmT2_T3_mT4_P12ihipStream_tbEUlmE_lEESB_NS0_8identityIvEEEESM_SP_SQ_mSR_ST_bEUlT_E_NS1_11comp_targetILNS1_3genE4ELNS1_11target_archE910ELNS1_3gpuE8ELNS1_3repE0EEENS1_30default_config_static_selectorELNS0_4arch9wavefront6targetE1EEEvT1_,"axG",@progbits,_ZN7rocprim17ROCPRIM_400000_NS6detail17trampoline_kernelINS0_14default_configENS1_25transform_config_selectorIlLb0EEEZNS1_14transform_implILb0ES3_S5_NS0_18transform_iteratorINS0_17counting_iteratorImlEEZNS1_24adjacent_difference_implIS3_Lb1ELb0EPlSB_ZN2at6native12_GLOBAL__N_124unique_dim_cuda_templateImEESt5tupleIJNSC_6TensorESH_SH_EERKSH_lbbbEUlllE1_EE10hipError_tPvRmT2_T3_mT4_P12ihipStream_tbEUlmE_lEESB_NS0_8identityIvEEEESM_SP_SQ_mSR_ST_bEUlT_E_NS1_11comp_targetILNS1_3genE4ELNS1_11target_archE910ELNS1_3gpuE8ELNS1_3repE0EEENS1_30default_config_static_selectorELNS0_4arch9wavefront6targetE1EEEvT1_,comdat
.Lfunc_end1648:
	.size	_ZN7rocprim17ROCPRIM_400000_NS6detail17trampoline_kernelINS0_14default_configENS1_25transform_config_selectorIlLb0EEEZNS1_14transform_implILb0ES3_S5_NS0_18transform_iteratorINS0_17counting_iteratorImlEEZNS1_24adjacent_difference_implIS3_Lb1ELb0EPlSB_ZN2at6native12_GLOBAL__N_124unique_dim_cuda_templateImEESt5tupleIJNSC_6TensorESH_SH_EERKSH_lbbbEUlllE1_EE10hipError_tPvRmT2_T3_mT4_P12ihipStream_tbEUlmE_lEESB_NS0_8identityIvEEEESM_SP_SQ_mSR_ST_bEUlT_E_NS1_11comp_targetILNS1_3genE4ELNS1_11target_archE910ELNS1_3gpuE8ELNS1_3repE0EEENS1_30default_config_static_selectorELNS0_4arch9wavefront6targetE1EEEvT1_, .Lfunc_end1648-_ZN7rocprim17ROCPRIM_400000_NS6detail17trampoline_kernelINS0_14default_configENS1_25transform_config_selectorIlLb0EEEZNS1_14transform_implILb0ES3_S5_NS0_18transform_iteratorINS0_17counting_iteratorImlEEZNS1_24adjacent_difference_implIS3_Lb1ELb0EPlSB_ZN2at6native12_GLOBAL__N_124unique_dim_cuda_templateImEESt5tupleIJNSC_6TensorESH_SH_EERKSH_lbbbEUlllE1_EE10hipError_tPvRmT2_T3_mT4_P12ihipStream_tbEUlmE_lEESB_NS0_8identityIvEEEESM_SP_SQ_mSR_ST_bEUlT_E_NS1_11comp_targetILNS1_3genE4ELNS1_11target_archE910ELNS1_3gpuE8ELNS1_3repE0EEENS1_30default_config_static_selectorELNS0_4arch9wavefront6targetE1EEEvT1_
                                        ; -- End function
	.set _ZN7rocprim17ROCPRIM_400000_NS6detail17trampoline_kernelINS0_14default_configENS1_25transform_config_selectorIlLb0EEEZNS1_14transform_implILb0ES3_S5_NS0_18transform_iteratorINS0_17counting_iteratorImlEEZNS1_24adjacent_difference_implIS3_Lb1ELb0EPlSB_ZN2at6native12_GLOBAL__N_124unique_dim_cuda_templateImEESt5tupleIJNSC_6TensorESH_SH_EERKSH_lbbbEUlllE1_EE10hipError_tPvRmT2_T3_mT4_P12ihipStream_tbEUlmE_lEESB_NS0_8identityIvEEEESM_SP_SQ_mSR_ST_bEUlT_E_NS1_11comp_targetILNS1_3genE4ELNS1_11target_archE910ELNS1_3gpuE8ELNS1_3repE0EEENS1_30default_config_static_selectorELNS0_4arch9wavefront6targetE1EEEvT1_.num_vgpr, 0
	.set _ZN7rocprim17ROCPRIM_400000_NS6detail17trampoline_kernelINS0_14default_configENS1_25transform_config_selectorIlLb0EEEZNS1_14transform_implILb0ES3_S5_NS0_18transform_iteratorINS0_17counting_iteratorImlEEZNS1_24adjacent_difference_implIS3_Lb1ELb0EPlSB_ZN2at6native12_GLOBAL__N_124unique_dim_cuda_templateImEESt5tupleIJNSC_6TensorESH_SH_EERKSH_lbbbEUlllE1_EE10hipError_tPvRmT2_T3_mT4_P12ihipStream_tbEUlmE_lEESB_NS0_8identityIvEEEESM_SP_SQ_mSR_ST_bEUlT_E_NS1_11comp_targetILNS1_3genE4ELNS1_11target_archE910ELNS1_3gpuE8ELNS1_3repE0EEENS1_30default_config_static_selectorELNS0_4arch9wavefront6targetE1EEEvT1_.num_agpr, 0
	.set _ZN7rocprim17ROCPRIM_400000_NS6detail17trampoline_kernelINS0_14default_configENS1_25transform_config_selectorIlLb0EEEZNS1_14transform_implILb0ES3_S5_NS0_18transform_iteratorINS0_17counting_iteratorImlEEZNS1_24adjacent_difference_implIS3_Lb1ELb0EPlSB_ZN2at6native12_GLOBAL__N_124unique_dim_cuda_templateImEESt5tupleIJNSC_6TensorESH_SH_EERKSH_lbbbEUlllE1_EE10hipError_tPvRmT2_T3_mT4_P12ihipStream_tbEUlmE_lEESB_NS0_8identityIvEEEESM_SP_SQ_mSR_ST_bEUlT_E_NS1_11comp_targetILNS1_3genE4ELNS1_11target_archE910ELNS1_3gpuE8ELNS1_3repE0EEENS1_30default_config_static_selectorELNS0_4arch9wavefront6targetE1EEEvT1_.numbered_sgpr, 0
	.set _ZN7rocprim17ROCPRIM_400000_NS6detail17trampoline_kernelINS0_14default_configENS1_25transform_config_selectorIlLb0EEEZNS1_14transform_implILb0ES3_S5_NS0_18transform_iteratorINS0_17counting_iteratorImlEEZNS1_24adjacent_difference_implIS3_Lb1ELb0EPlSB_ZN2at6native12_GLOBAL__N_124unique_dim_cuda_templateImEESt5tupleIJNSC_6TensorESH_SH_EERKSH_lbbbEUlllE1_EE10hipError_tPvRmT2_T3_mT4_P12ihipStream_tbEUlmE_lEESB_NS0_8identityIvEEEESM_SP_SQ_mSR_ST_bEUlT_E_NS1_11comp_targetILNS1_3genE4ELNS1_11target_archE910ELNS1_3gpuE8ELNS1_3repE0EEENS1_30default_config_static_selectorELNS0_4arch9wavefront6targetE1EEEvT1_.num_named_barrier, 0
	.set _ZN7rocprim17ROCPRIM_400000_NS6detail17trampoline_kernelINS0_14default_configENS1_25transform_config_selectorIlLb0EEEZNS1_14transform_implILb0ES3_S5_NS0_18transform_iteratorINS0_17counting_iteratorImlEEZNS1_24adjacent_difference_implIS3_Lb1ELb0EPlSB_ZN2at6native12_GLOBAL__N_124unique_dim_cuda_templateImEESt5tupleIJNSC_6TensorESH_SH_EERKSH_lbbbEUlllE1_EE10hipError_tPvRmT2_T3_mT4_P12ihipStream_tbEUlmE_lEESB_NS0_8identityIvEEEESM_SP_SQ_mSR_ST_bEUlT_E_NS1_11comp_targetILNS1_3genE4ELNS1_11target_archE910ELNS1_3gpuE8ELNS1_3repE0EEENS1_30default_config_static_selectorELNS0_4arch9wavefront6targetE1EEEvT1_.private_seg_size, 0
	.set _ZN7rocprim17ROCPRIM_400000_NS6detail17trampoline_kernelINS0_14default_configENS1_25transform_config_selectorIlLb0EEEZNS1_14transform_implILb0ES3_S5_NS0_18transform_iteratorINS0_17counting_iteratorImlEEZNS1_24adjacent_difference_implIS3_Lb1ELb0EPlSB_ZN2at6native12_GLOBAL__N_124unique_dim_cuda_templateImEESt5tupleIJNSC_6TensorESH_SH_EERKSH_lbbbEUlllE1_EE10hipError_tPvRmT2_T3_mT4_P12ihipStream_tbEUlmE_lEESB_NS0_8identityIvEEEESM_SP_SQ_mSR_ST_bEUlT_E_NS1_11comp_targetILNS1_3genE4ELNS1_11target_archE910ELNS1_3gpuE8ELNS1_3repE0EEENS1_30default_config_static_selectorELNS0_4arch9wavefront6targetE1EEEvT1_.uses_vcc, 0
	.set _ZN7rocprim17ROCPRIM_400000_NS6detail17trampoline_kernelINS0_14default_configENS1_25transform_config_selectorIlLb0EEEZNS1_14transform_implILb0ES3_S5_NS0_18transform_iteratorINS0_17counting_iteratorImlEEZNS1_24adjacent_difference_implIS3_Lb1ELb0EPlSB_ZN2at6native12_GLOBAL__N_124unique_dim_cuda_templateImEESt5tupleIJNSC_6TensorESH_SH_EERKSH_lbbbEUlllE1_EE10hipError_tPvRmT2_T3_mT4_P12ihipStream_tbEUlmE_lEESB_NS0_8identityIvEEEESM_SP_SQ_mSR_ST_bEUlT_E_NS1_11comp_targetILNS1_3genE4ELNS1_11target_archE910ELNS1_3gpuE8ELNS1_3repE0EEENS1_30default_config_static_selectorELNS0_4arch9wavefront6targetE1EEEvT1_.uses_flat_scratch, 0
	.set _ZN7rocprim17ROCPRIM_400000_NS6detail17trampoline_kernelINS0_14default_configENS1_25transform_config_selectorIlLb0EEEZNS1_14transform_implILb0ES3_S5_NS0_18transform_iteratorINS0_17counting_iteratorImlEEZNS1_24adjacent_difference_implIS3_Lb1ELb0EPlSB_ZN2at6native12_GLOBAL__N_124unique_dim_cuda_templateImEESt5tupleIJNSC_6TensorESH_SH_EERKSH_lbbbEUlllE1_EE10hipError_tPvRmT2_T3_mT4_P12ihipStream_tbEUlmE_lEESB_NS0_8identityIvEEEESM_SP_SQ_mSR_ST_bEUlT_E_NS1_11comp_targetILNS1_3genE4ELNS1_11target_archE910ELNS1_3gpuE8ELNS1_3repE0EEENS1_30default_config_static_selectorELNS0_4arch9wavefront6targetE1EEEvT1_.has_dyn_sized_stack, 0
	.set _ZN7rocprim17ROCPRIM_400000_NS6detail17trampoline_kernelINS0_14default_configENS1_25transform_config_selectorIlLb0EEEZNS1_14transform_implILb0ES3_S5_NS0_18transform_iteratorINS0_17counting_iteratorImlEEZNS1_24adjacent_difference_implIS3_Lb1ELb0EPlSB_ZN2at6native12_GLOBAL__N_124unique_dim_cuda_templateImEESt5tupleIJNSC_6TensorESH_SH_EERKSH_lbbbEUlllE1_EE10hipError_tPvRmT2_T3_mT4_P12ihipStream_tbEUlmE_lEESB_NS0_8identityIvEEEESM_SP_SQ_mSR_ST_bEUlT_E_NS1_11comp_targetILNS1_3genE4ELNS1_11target_archE910ELNS1_3gpuE8ELNS1_3repE0EEENS1_30default_config_static_selectorELNS0_4arch9wavefront6targetE1EEEvT1_.has_recursion, 0
	.set _ZN7rocprim17ROCPRIM_400000_NS6detail17trampoline_kernelINS0_14default_configENS1_25transform_config_selectorIlLb0EEEZNS1_14transform_implILb0ES3_S5_NS0_18transform_iteratorINS0_17counting_iteratorImlEEZNS1_24adjacent_difference_implIS3_Lb1ELb0EPlSB_ZN2at6native12_GLOBAL__N_124unique_dim_cuda_templateImEESt5tupleIJNSC_6TensorESH_SH_EERKSH_lbbbEUlllE1_EE10hipError_tPvRmT2_T3_mT4_P12ihipStream_tbEUlmE_lEESB_NS0_8identityIvEEEESM_SP_SQ_mSR_ST_bEUlT_E_NS1_11comp_targetILNS1_3genE4ELNS1_11target_archE910ELNS1_3gpuE8ELNS1_3repE0EEENS1_30default_config_static_selectorELNS0_4arch9wavefront6targetE1EEEvT1_.has_indirect_call, 0
	.section	.AMDGPU.csdata,"",@progbits
; Kernel info:
; codeLenInByte = 0
; TotalNumSgprs: 6
; NumVgprs: 0
; NumAgprs: 0
; TotalNumVgprs: 0
; ScratchSize: 0
; MemoryBound: 0
; FloatMode: 240
; IeeeMode: 1
; LDSByteSize: 0 bytes/workgroup (compile time only)
; SGPRBlocks: 0
; VGPRBlocks: 0
; NumSGPRsForWavesPerEU: 6
; NumVGPRsForWavesPerEU: 1
; AccumOffset: 4
; Occupancy: 8
; WaveLimiterHint : 0
; COMPUTE_PGM_RSRC2:SCRATCH_EN: 0
; COMPUTE_PGM_RSRC2:USER_SGPR: 2
; COMPUTE_PGM_RSRC2:TRAP_HANDLER: 0
; COMPUTE_PGM_RSRC2:TGID_X_EN: 1
; COMPUTE_PGM_RSRC2:TGID_Y_EN: 0
; COMPUTE_PGM_RSRC2:TGID_Z_EN: 0
; COMPUTE_PGM_RSRC2:TIDIG_COMP_CNT: 0
; COMPUTE_PGM_RSRC3_GFX90A:ACCUM_OFFSET: 0
; COMPUTE_PGM_RSRC3_GFX90A:TG_SPLIT: 0
	.section	.text._ZN7rocprim17ROCPRIM_400000_NS6detail17trampoline_kernelINS0_14default_configENS1_25transform_config_selectorIlLb0EEEZNS1_14transform_implILb0ES3_S5_NS0_18transform_iteratorINS0_17counting_iteratorImlEEZNS1_24adjacent_difference_implIS3_Lb1ELb0EPlSB_ZN2at6native12_GLOBAL__N_124unique_dim_cuda_templateImEESt5tupleIJNSC_6TensorESH_SH_EERKSH_lbbbEUlllE1_EE10hipError_tPvRmT2_T3_mT4_P12ihipStream_tbEUlmE_lEESB_NS0_8identityIvEEEESM_SP_SQ_mSR_ST_bEUlT_E_NS1_11comp_targetILNS1_3genE3ELNS1_11target_archE908ELNS1_3gpuE7ELNS1_3repE0EEENS1_30default_config_static_selectorELNS0_4arch9wavefront6targetE1EEEvT1_,"axG",@progbits,_ZN7rocprim17ROCPRIM_400000_NS6detail17trampoline_kernelINS0_14default_configENS1_25transform_config_selectorIlLb0EEEZNS1_14transform_implILb0ES3_S5_NS0_18transform_iteratorINS0_17counting_iteratorImlEEZNS1_24adjacent_difference_implIS3_Lb1ELb0EPlSB_ZN2at6native12_GLOBAL__N_124unique_dim_cuda_templateImEESt5tupleIJNSC_6TensorESH_SH_EERKSH_lbbbEUlllE1_EE10hipError_tPvRmT2_T3_mT4_P12ihipStream_tbEUlmE_lEESB_NS0_8identityIvEEEESM_SP_SQ_mSR_ST_bEUlT_E_NS1_11comp_targetILNS1_3genE3ELNS1_11target_archE908ELNS1_3gpuE7ELNS1_3repE0EEENS1_30default_config_static_selectorELNS0_4arch9wavefront6targetE1EEEvT1_,comdat
	.globl	_ZN7rocprim17ROCPRIM_400000_NS6detail17trampoline_kernelINS0_14default_configENS1_25transform_config_selectorIlLb0EEEZNS1_14transform_implILb0ES3_S5_NS0_18transform_iteratorINS0_17counting_iteratorImlEEZNS1_24adjacent_difference_implIS3_Lb1ELb0EPlSB_ZN2at6native12_GLOBAL__N_124unique_dim_cuda_templateImEESt5tupleIJNSC_6TensorESH_SH_EERKSH_lbbbEUlllE1_EE10hipError_tPvRmT2_T3_mT4_P12ihipStream_tbEUlmE_lEESB_NS0_8identityIvEEEESM_SP_SQ_mSR_ST_bEUlT_E_NS1_11comp_targetILNS1_3genE3ELNS1_11target_archE908ELNS1_3gpuE7ELNS1_3repE0EEENS1_30default_config_static_selectorELNS0_4arch9wavefront6targetE1EEEvT1_ ; -- Begin function _ZN7rocprim17ROCPRIM_400000_NS6detail17trampoline_kernelINS0_14default_configENS1_25transform_config_selectorIlLb0EEEZNS1_14transform_implILb0ES3_S5_NS0_18transform_iteratorINS0_17counting_iteratorImlEEZNS1_24adjacent_difference_implIS3_Lb1ELb0EPlSB_ZN2at6native12_GLOBAL__N_124unique_dim_cuda_templateImEESt5tupleIJNSC_6TensorESH_SH_EERKSH_lbbbEUlllE1_EE10hipError_tPvRmT2_T3_mT4_P12ihipStream_tbEUlmE_lEESB_NS0_8identityIvEEEESM_SP_SQ_mSR_ST_bEUlT_E_NS1_11comp_targetILNS1_3genE3ELNS1_11target_archE908ELNS1_3gpuE7ELNS1_3repE0EEENS1_30default_config_static_selectorELNS0_4arch9wavefront6targetE1EEEvT1_
	.p2align	8
	.type	_ZN7rocprim17ROCPRIM_400000_NS6detail17trampoline_kernelINS0_14default_configENS1_25transform_config_selectorIlLb0EEEZNS1_14transform_implILb0ES3_S5_NS0_18transform_iteratorINS0_17counting_iteratorImlEEZNS1_24adjacent_difference_implIS3_Lb1ELb0EPlSB_ZN2at6native12_GLOBAL__N_124unique_dim_cuda_templateImEESt5tupleIJNSC_6TensorESH_SH_EERKSH_lbbbEUlllE1_EE10hipError_tPvRmT2_T3_mT4_P12ihipStream_tbEUlmE_lEESB_NS0_8identityIvEEEESM_SP_SQ_mSR_ST_bEUlT_E_NS1_11comp_targetILNS1_3genE3ELNS1_11target_archE908ELNS1_3gpuE7ELNS1_3repE0EEENS1_30default_config_static_selectorELNS0_4arch9wavefront6targetE1EEEvT1_,@function
_ZN7rocprim17ROCPRIM_400000_NS6detail17trampoline_kernelINS0_14default_configENS1_25transform_config_selectorIlLb0EEEZNS1_14transform_implILb0ES3_S5_NS0_18transform_iteratorINS0_17counting_iteratorImlEEZNS1_24adjacent_difference_implIS3_Lb1ELb0EPlSB_ZN2at6native12_GLOBAL__N_124unique_dim_cuda_templateImEESt5tupleIJNSC_6TensorESH_SH_EERKSH_lbbbEUlllE1_EE10hipError_tPvRmT2_T3_mT4_P12ihipStream_tbEUlmE_lEESB_NS0_8identityIvEEEESM_SP_SQ_mSR_ST_bEUlT_E_NS1_11comp_targetILNS1_3genE3ELNS1_11target_archE908ELNS1_3gpuE7ELNS1_3repE0EEENS1_30default_config_static_selectorELNS0_4arch9wavefront6targetE1EEEvT1_: ; @_ZN7rocprim17ROCPRIM_400000_NS6detail17trampoline_kernelINS0_14default_configENS1_25transform_config_selectorIlLb0EEEZNS1_14transform_implILb0ES3_S5_NS0_18transform_iteratorINS0_17counting_iteratorImlEEZNS1_24adjacent_difference_implIS3_Lb1ELb0EPlSB_ZN2at6native12_GLOBAL__N_124unique_dim_cuda_templateImEESt5tupleIJNSC_6TensorESH_SH_EERKSH_lbbbEUlllE1_EE10hipError_tPvRmT2_T3_mT4_P12ihipStream_tbEUlmE_lEESB_NS0_8identityIvEEEESM_SP_SQ_mSR_ST_bEUlT_E_NS1_11comp_targetILNS1_3genE3ELNS1_11target_archE908ELNS1_3gpuE7ELNS1_3repE0EEENS1_30default_config_static_selectorELNS0_4arch9wavefront6targetE1EEEvT1_
; %bb.0:
	.section	.rodata,"a",@progbits
	.p2align	6, 0x0
	.amdhsa_kernel _ZN7rocprim17ROCPRIM_400000_NS6detail17trampoline_kernelINS0_14default_configENS1_25transform_config_selectorIlLb0EEEZNS1_14transform_implILb0ES3_S5_NS0_18transform_iteratorINS0_17counting_iteratorImlEEZNS1_24adjacent_difference_implIS3_Lb1ELb0EPlSB_ZN2at6native12_GLOBAL__N_124unique_dim_cuda_templateImEESt5tupleIJNSC_6TensorESH_SH_EERKSH_lbbbEUlllE1_EE10hipError_tPvRmT2_T3_mT4_P12ihipStream_tbEUlmE_lEESB_NS0_8identityIvEEEESM_SP_SQ_mSR_ST_bEUlT_E_NS1_11comp_targetILNS1_3genE3ELNS1_11target_archE908ELNS1_3gpuE7ELNS1_3repE0EEENS1_30default_config_static_selectorELNS0_4arch9wavefront6targetE1EEEvT1_
		.amdhsa_group_segment_fixed_size 0
		.amdhsa_private_segment_fixed_size 0
		.amdhsa_kernarg_size 56
		.amdhsa_user_sgpr_count 2
		.amdhsa_user_sgpr_dispatch_ptr 0
		.amdhsa_user_sgpr_queue_ptr 0
		.amdhsa_user_sgpr_kernarg_segment_ptr 1
		.amdhsa_user_sgpr_dispatch_id 0
		.amdhsa_user_sgpr_kernarg_preload_length 0
		.amdhsa_user_sgpr_kernarg_preload_offset 0
		.amdhsa_user_sgpr_private_segment_size 0
		.amdhsa_uses_dynamic_stack 0
		.amdhsa_enable_private_segment 0
		.amdhsa_system_sgpr_workgroup_id_x 1
		.amdhsa_system_sgpr_workgroup_id_y 0
		.amdhsa_system_sgpr_workgroup_id_z 0
		.amdhsa_system_sgpr_workgroup_info 0
		.amdhsa_system_vgpr_workitem_id 0
		.amdhsa_next_free_vgpr 1
		.amdhsa_next_free_sgpr 0
		.amdhsa_accum_offset 4
		.amdhsa_reserve_vcc 0
		.amdhsa_float_round_mode_32 0
		.amdhsa_float_round_mode_16_64 0
		.amdhsa_float_denorm_mode_32 3
		.amdhsa_float_denorm_mode_16_64 3
		.amdhsa_dx10_clamp 1
		.amdhsa_ieee_mode 1
		.amdhsa_fp16_overflow 0
		.amdhsa_tg_split 0
		.amdhsa_exception_fp_ieee_invalid_op 0
		.amdhsa_exception_fp_denorm_src 0
		.amdhsa_exception_fp_ieee_div_zero 0
		.amdhsa_exception_fp_ieee_overflow 0
		.amdhsa_exception_fp_ieee_underflow 0
		.amdhsa_exception_fp_ieee_inexact 0
		.amdhsa_exception_int_div_zero 0
	.end_amdhsa_kernel
	.section	.text._ZN7rocprim17ROCPRIM_400000_NS6detail17trampoline_kernelINS0_14default_configENS1_25transform_config_selectorIlLb0EEEZNS1_14transform_implILb0ES3_S5_NS0_18transform_iteratorINS0_17counting_iteratorImlEEZNS1_24adjacent_difference_implIS3_Lb1ELb0EPlSB_ZN2at6native12_GLOBAL__N_124unique_dim_cuda_templateImEESt5tupleIJNSC_6TensorESH_SH_EERKSH_lbbbEUlllE1_EE10hipError_tPvRmT2_T3_mT4_P12ihipStream_tbEUlmE_lEESB_NS0_8identityIvEEEESM_SP_SQ_mSR_ST_bEUlT_E_NS1_11comp_targetILNS1_3genE3ELNS1_11target_archE908ELNS1_3gpuE7ELNS1_3repE0EEENS1_30default_config_static_selectorELNS0_4arch9wavefront6targetE1EEEvT1_,"axG",@progbits,_ZN7rocprim17ROCPRIM_400000_NS6detail17trampoline_kernelINS0_14default_configENS1_25transform_config_selectorIlLb0EEEZNS1_14transform_implILb0ES3_S5_NS0_18transform_iteratorINS0_17counting_iteratorImlEEZNS1_24adjacent_difference_implIS3_Lb1ELb0EPlSB_ZN2at6native12_GLOBAL__N_124unique_dim_cuda_templateImEESt5tupleIJNSC_6TensorESH_SH_EERKSH_lbbbEUlllE1_EE10hipError_tPvRmT2_T3_mT4_P12ihipStream_tbEUlmE_lEESB_NS0_8identityIvEEEESM_SP_SQ_mSR_ST_bEUlT_E_NS1_11comp_targetILNS1_3genE3ELNS1_11target_archE908ELNS1_3gpuE7ELNS1_3repE0EEENS1_30default_config_static_selectorELNS0_4arch9wavefront6targetE1EEEvT1_,comdat
.Lfunc_end1649:
	.size	_ZN7rocprim17ROCPRIM_400000_NS6detail17trampoline_kernelINS0_14default_configENS1_25transform_config_selectorIlLb0EEEZNS1_14transform_implILb0ES3_S5_NS0_18transform_iteratorINS0_17counting_iteratorImlEEZNS1_24adjacent_difference_implIS3_Lb1ELb0EPlSB_ZN2at6native12_GLOBAL__N_124unique_dim_cuda_templateImEESt5tupleIJNSC_6TensorESH_SH_EERKSH_lbbbEUlllE1_EE10hipError_tPvRmT2_T3_mT4_P12ihipStream_tbEUlmE_lEESB_NS0_8identityIvEEEESM_SP_SQ_mSR_ST_bEUlT_E_NS1_11comp_targetILNS1_3genE3ELNS1_11target_archE908ELNS1_3gpuE7ELNS1_3repE0EEENS1_30default_config_static_selectorELNS0_4arch9wavefront6targetE1EEEvT1_, .Lfunc_end1649-_ZN7rocprim17ROCPRIM_400000_NS6detail17trampoline_kernelINS0_14default_configENS1_25transform_config_selectorIlLb0EEEZNS1_14transform_implILb0ES3_S5_NS0_18transform_iteratorINS0_17counting_iteratorImlEEZNS1_24adjacent_difference_implIS3_Lb1ELb0EPlSB_ZN2at6native12_GLOBAL__N_124unique_dim_cuda_templateImEESt5tupleIJNSC_6TensorESH_SH_EERKSH_lbbbEUlllE1_EE10hipError_tPvRmT2_T3_mT4_P12ihipStream_tbEUlmE_lEESB_NS0_8identityIvEEEESM_SP_SQ_mSR_ST_bEUlT_E_NS1_11comp_targetILNS1_3genE3ELNS1_11target_archE908ELNS1_3gpuE7ELNS1_3repE0EEENS1_30default_config_static_selectorELNS0_4arch9wavefront6targetE1EEEvT1_
                                        ; -- End function
	.set _ZN7rocprim17ROCPRIM_400000_NS6detail17trampoline_kernelINS0_14default_configENS1_25transform_config_selectorIlLb0EEEZNS1_14transform_implILb0ES3_S5_NS0_18transform_iteratorINS0_17counting_iteratorImlEEZNS1_24adjacent_difference_implIS3_Lb1ELb0EPlSB_ZN2at6native12_GLOBAL__N_124unique_dim_cuda_templateImEESt5tupleIJNSC_6TensorESH_SH_EERKSH_lbbbEUlllE1_EE10hipError_tPvRmT2_T3_mT4_P12ihipStream_tbEUlmE_lEESB_NS0_8identityIvEEEESM_SP_SQ_mSR_ST_bEUlT_E_NS1_11comp_targetILNS1_3genE3ELNS1_11target_archE908ELNS1_3gpuE7ELNS1_3repE0EEENS1_30default_config_static_selectorELNS0_4arch9wavefront6targetE1EEEvT1_.num_vgpr, 0
	.set _ZN7rocprim17ROCPRIM_400000_NS6detail17trampoline_kernelINS0_14default_configENS1_25transform_config_selectorIlLb0EEEZNS1_14transform_implILb0ES3_S5_NS0_18transform_iteratorINS0_17counting_iteratorImlEEZNS1_24adjacent_difference_implIS3_Lb1ELb0EPlSB_ZN2at6native12_GLOBAL__N_124unique_dim_cuda_templateImEESt5tupleIJNSC_6TensorESH_SH_EERKSH_lbbbEUlllE1_EE10hipError_tPvRmT2_T3_mT4_P12ihipStream_tbEUlmE_lEESB_NS0_8identityIvEEEESM_SP_SQ_mSR_ST_bEUlT_E_NS1_11comp_targetILNS1_3genE3ELNS1_11target_archE908ELNS1_3gpuE7ELNS1_3repE0EEENS1_30default_config_static_selectorELNS0_4arch9wavefront6targetE1EEEvT1_.num_agpr, 0
	.set _ZN7rocprim17ROCPRIM_400000_NS6detail17trampoline_kernelINS0_14default_configENS1_25transform_config_selectorIlLb0EEEZNS1_14transform_implILb0ES3_S5_NS0_18transform_iteratorINS0_17counting_iteratorImlEEZNS1_24adjacent_difference_implIS3_Lb1ELb0EPlSB_ZN2at6native12_GLOBAL__N_124unique_dim_cuda_templateImEESt5tupleIJNSC_6TensorESH_SH_EERKSH_lbbbEUlllE1_EE10hipError_tPvRmT2_T3_mT4_P12ihipStream_tbEUlmE_lEESB_NS0_8identityIvEEEESM_SP_SQ_mSR_ST_bEUlT_E_NS1_11comp_targetILNS1_3genE3ELNS1_11target_archE908ELNS1_3gpuE7ELNS1_3repE0EEENS1_30default_config_static_selectorELNS0_4arch9wavefront6targetE1EEEvT1_.numbered_sgpr, 0
	.set _ZN7rocprim17ROCPRIM_400000_NS6detail17trampoline_kernelINS0_14default_configENS1_25transform_config_selectorIlLb0EEEZNS1_14transform_implILb0ES3_S5_NS0_18transform_iteratorINS0_17counting_iteratorImlEEZNS1_24adjacent_difference_implIS3_Lb1ELb0EPlSB_ZN2at6native12_GLOBAL__N_124unique_dim_cuda_templateImEESt5tupleIJNSC_6TensorESH_SH_EERKSH_lbbbEUlllE1_EE10hipError_tPvRmT2_T3_mT4_P12ihipStream_tbEUlmE_lEESB_NS0_8identityIvEEEESM_SP_SQ_mSR_ST_bEUlT_E_NS1_11comp_targetILNS1_3genE3ELNS1_11target_archE908ELNS1_3gpuE7ELNS1_3repE0EEENS1_30default_config_static_selectorELNS0_4arch9wavefront6targetE1EEEvT1_.num_named_barrier, 0
	.set _ZN7rocprim17ROCPRIM_400000_NS6detail17trampoline_kernelINS0_14default_configENS1_25transform_config_selectorIlLb0EEEZNS1_14transform_implILb0ES3_S5_NS0_18transform_iteratorINS0_17counting_iteratorImlEEZNS1_24adjacent_difference_implIS3_Lb1ELb0EPlSB_ZN2at6native12_GLOBAL__N_124unique_dim_cuda_templateImEESt5tupleIJNSC_6TensorESH_SH_EERKSH_lbbbEUlllE1_EE10hipError_tPvRmT2_T3_mT4_P12ihipStream_tbEUlmE_lEESB_NS0_8identityIvEEEESM_SP_SQ_mSR_ST_bEUlT_E_NS1_11comp_targetILNS1_3genE3ELNS1_11target_archE908ELNS1_3gpuE7ELNS1_3repE0EEENS1_30default_config_static_selectorELNS0_4arch9wavefront6targetE1EEEvT1_.private_seg_size, 0
	.set _ZN7rocprim17ROCPRIM_400000_NS6detail17trampoline_kernelINS0_14default_configENS1_25transform_config_selectorIlLb0EEEZNS1_14transform_implILb0ES3_S5_NS0_18transform_iteratorINS0_17counting_iteratorImlEEZNS1_24adjacent_difference_implIS3_Lb1ELb0EPlSB_ZN2at6native12_GLOBAL__N_124unique_dim_cuda_templateImEESt5tupleIJNSC_6TensorESH_SH_EERKSH_lbbbEUlllE1_EE10hipError_tPvRmT2_T3_mT4_P12ihipStream_tbEUlmE_lEESB_NS0_8identityIvEEEESM_SP_SQ_mSR_ST_bEUlT_E_NS1_11comp_targetILNS1_3genE3ELNS1_11target_archE908ELNS1_3gpuE7ELNS1_3repE0EEENS1_30default_config_static_selectorELNS0_4arch9wavefront6targetE1EEEvT1_.uses_vcc, 0
	.set _ZN7rocprim17ROCPRIM_400000_NS6detail17trampoline_kernelINS0_14default_configENS1_25transform_config_selectorIlLb0EEEZNS1_14transform_implILb0ES3_S5_NS0_18transform_iteratorINS0_17counting_iteratorImlEEZNS1_24adjacent_difference_implIS3_Lb1ELb0EPlSB_ZN2at6native12_GLOBAL__N_124unique_dim_cuda_templateImEESt5tupleIJNSC_6TensorESH_SH_EERKSH_lbbbEUlllE1_EE10hipError_tPvRmT2_T3_mT4_P12ihipStream_tbEUlmE_lEESB_NS0_8identityIvEEEESM_SP_SQ_mSR_ST_bEUlT_E_NS1_11comp_targetILNS1_3genE3ELNS1_11target_archE908ELNS1_3gpuE7ELNS1_3repE0EEENS1_30default_config_static_selectorELNS0_4arch9wavefront6targetE1EEEvT1_.uses_flat_scratch, 0
	.set _ZN7rocprim17ROCPRIM_400000_NS6detail17trampoline_kernelINS0_14default_configENS1_25transform_config_selectorIlLb0EEEZNS1_14transform_implILb0ES3_S5_NS0_18transform_iteratorINS0_17counting_iteratorImlEEZNS1_24adjacent_difference_implIS3_Lb1ELb0EPlSB_ZN2at6native12_GLOBAL__N_124unique_dim_cuda_templateImEESt5tupleIJNSC_6TensorESH_SH_EERKSH_lbbbEUlllE1_EE10hipError_tPvRmT2_T3_mT4_P12ihipStream_tbEUlmE_lEESB_NS0_8identityIvEEEESM_SP_SQ_mSR_ST_bEUlT_E_NS1_11comp_targetILNS1_3genE3ELNS1_11target_archE908ELNS1_3gpuE7ELNS1_3repE0EEENS1_30default_config_static_selectorELNS0_4arch9wavefront6targetE1EEEvT1_.has_dyn_sized_stack, 0
	.set _ZN7rocprim17ROCPRIM_400000_NS6detail17trampoline_kernelINS0_14default_configENS1_25transform_config_selectorIlLb0EEEZNS1_14transform_implILb0ES3_S5_NS0_18transform_iteratorINS0_17counting_iteratorImlEEZNS1_24adjacent_difference_implIS3_Lb1ELb0EPlSB_ZN2at6native12_GLOBAL__N_124unique_dim_cuda_templateImEESt5tupleIJNSC_6TensorESH_SH_EERKSH_lbbbEUlllE1_EE10hipError_tPvRmT2_T3_mT4_P12ihipStream_tbEUlmE_lEESB_NS0_8identityIvEEEESM_SP_SQ_mSR_ST_bEUlT_E_NS1_11comp_targetILNS1_3genE3ELNS1_11target_archE908ELNS1_3gpuE7ELNS1_3repE0EEENS1_30default_config_static_selectorELNS0_4arch9wavefront6targetE1EEEvT1_.has_recursion, 0
	.set _ZN7rocprim17ROCPRIM_400000_NS6detail17trampoline_kernelINS0_14default_configENS1_25transform_config_selectorIlLb0EEEZNS1_14transform_implILb0ES3_S5_NS0_18transform_iteratorINS0_17counting_iteratorImlEEZNS1_24adjacent_difference_implIS3_Lb1ELb0EPlSB_ZN2at6native12_GLOBAL__N_124unique_dim_cuda_templateImEESt5tupleIJNSC_6TensorESH_SH_EERKSH_lbbbEUlllE1_EE10hipError_tPvRmT2_T3_mT4_P12ihipStream_tbEUlmE_lEESB_NS0_8identityIvEEEESM_SP_SQ_mSR_ST_bEUlT_E_NS1_11comp_targetILNS1_3genE3ELNS1_11target_archE908ELNS1_3gpuE7ELNS1_3repE0EEENS1_30default_config_static_selectorELNS0_4arch9wavefront6targetE1EEEvT1_.has_indirect_call, 0
	.section	.AMDGPU.csdata,"",@progbits
; Kernel info:
; codeLenInByte = 0
; TotalNumSgprs: 6
; NumVgprs: 0
; NumAgprs: 0
; TotalNumVgprs: 0
; ScratchSize: 0
; MemoryBound: 0
; FloatMode: 240
; IeeeMode: 1
; LDSByteSize: 0 bytes/workgroup (compile time only)
; SGPRBlocks: 0
; VGPRBlocks: 0
; NumSGPRsForWavesPerEU: 6
; NumVGPRsForWavesPerEU: 1
; AccumOffset: 4
; Occupancy: 8
; WaveLimiterHint : 0
; COMPUTE_PGM_RSRC2:SCRATCH_EN: 0
; COMPUTE_PGM_RSRC2:USER_SGPR: 2
; COMPUTE_PGM_RSRC2:TRAP_HANDLER: 0
; COMPUTE_PGM_RSRC2:TGID_X_EN: 1
; COMPUTE_PGM_RSRC2:TGID_Y_EN: 0
; COMPUTE_PGM_RSRC2:TGID_Z_EN: 0
; COMPUTE_PGM_RSRC2:TIDIG_COMP_CNT: 0
; COMPUTE_PGM_RSRC3_GFX90A:ACCUM_OFFSET: 0
; COMPUTE_PGM_RSRC3_GFX90A:TG_SPLIT: 0
	.section	.text._ZN7rocprim17ROCPRIM_400000_NS6detail17trampoline_kernelINS0_14default_configENS1_25transform_config_selectorIlLb0EEEZNS1_14transform_implILb0ES3_S5_NS0_18transform_iteratorINS0_17counting_iteratorImlEEZNS1_24adjacent_difference_implIS3_Lb1ELb0EPlSB_ZN2at6native12_GLOBAL__N_124unique_dim_cuda_templateImEESt5tupleIJNSC_6TensorESH_SH_EERKSH_lbbbEUlllE1_EE10hipError_tPvRmT2_T3_mT4_P12ihipStream_tbEUlmE_lEESB_NS0_8identityIvEEEESM_SP_SQ_mSR_ST_bEUlT_E_NS1_11comp_targetILNS1_3genE2ELNS1_11target_archE906ELNS1_3gpuE6ELNS1_3repE0EEENS1_30default_config_static_selectorELNS0_4arch9wavefront6targetE1EEEvT1_,"axG",@progbits,_ZN7rocprim17ROCPRIM_400000_NS6detail17trampoline_kernelINS0_14default_configENS1_25transform_config_selectorIlLb0EEEZNS1_14transform_implILb0ES3_S5_NS0_18transform_iteratorINS0_17counting_iteratorImlEEZNS1_24adjacent_difference_implIS3_Lb1ELb0EPlSB_ZN2at6native12_GLOBAL__N_124unique_dim_cuda_templateImEESt5tupleIJNSC_6TensorESH_SH_EERKSH_lbbbEUlllE1_EE10hipError_tPvRmT2_T3_mT4_P12ihipStream_tbEUlmE_lEESB_NS0_8identityIvEEEESM_SP_SQ_mSR_ST_bEUlT_E_NS1_11comp_targetILNS1_3genE2ELNS1_11target_archE906ELNS1_3gpuE6ELNS1_3repE0EEENS1_30default_config_static_selectorELNS0_4arch9wavefront6targetE1EEEvT1_,comdat
	.globl	_ZN7rocprim17ROCPRIM_400000_NS6detail17trampoline_kernelINS0_14default_configENS1_25transform_config_selectorIlLb0EEEZNS1_14transform_implILb0ES3_S5_NS0_18transform_iteratorINS0_17counting_iteratorImlEEZNS1_24adjacent_difference_implIS3_Lb1ELb0EPlSB_ZN2at6native12_GLOBAL__N_124unique_dim_cuda_templateImEESt5tupleIJNSC_6TensorESH_SH_EERKSH_lbbbEUlllE1_EE10hipError_tPvRmT2_T3_mT4_P12ihipStream_tbEUlmE_lEESB_NS0_8identityIvEEEESM_SP_SQ_mSR_ST_bEUlT_E_NS1_11comp_targetILNS1_3genE2ELNS1_11target_archE906ELNS1_3gpuE6ELNS1_3repE0EEENS1_30default_config_static_selectorELNS0_4arch9wavefront6targetE1EEEvT1_ ; -- Begin function _ZN7rocprim17ROCPRIM_400000_NS6detail17trampoline_kernelINS0_14default_configENS1_25transform_config_selectorIlLb0EEEZNS1_14transform_implILb0ES3_S5_NS0_18transform_iteratorINS0_17counting_iteratorImlEEZNS1_24adjacent_difference_implIS3_Lb1ELb0EPlSB_ZN2at6native12_GLOBAL__N_124unique_dim_cuda_templateImEESt5tupleIJNSC_6TensorESH_SH_EERKSH_lbbbEUlllE1_EE10hipError_tPvRmT2_T3_mT4_P12ihipStream_tbEUlmE_lEESB_NS0_8identityIvEEEESM_SP_SQ_mSR_ST_bEUlT_E_NS1_11comp_targetILNS1_3genE2ELNS1_11target_archE906ELNS1_3gpuE6ELNS1_3repE0EEENS1_30default_config_static_selectorELNS0_4arch9wavefront6targetE1EEEvT1_
	.p2align	8
	.type	_ZN7rocprim17ROCPRIM_400000_NS6detail17trampoline_kernelINS0_14default_configENS1_25transform_config_selectorIlLb0EEEZNS1_14transform_implILb0ES3_S5_NS0_18transform_iteratorINS0_17counting_iteratorImlEEZNS1_24adjacent_difference_implIS3_Lb1ELb0EPlSB_ZN2at6native12_GLOBAL__N_124unique_dim_cuda_templateImEESt5tupleIJNSC_6TensorESH_SH_EERKSH_lbbbEUlllE1_EE10hipError_tPvRmT2_T3_mT4_P12ihipStream_tbEUlmE_lEESB_NS0_8identityIvEEEESM_SP_SQ_mSR_ST_bEUlT_E_NS1_11comp_targetILNS1_3genE2ELNS1_11target_archE906ELNS1_3gpuE6ELNS1_3repE0EEENS1_30default_config_static_selectorELNS0_4arch9wavefront6targetE1EEEvT1_,@function
_ZN7rocprim17ROCPRIM_400000_NS6detail17trampoline_kernelINS0_14default_configENS1_25transform_config_selectorIlLb0EEEZNS1_14transform_implILb0ES3_S5_NS0_18transform_iteratorINS0_17counting_iteratorImlEEZNS1_24adjacent_difference_implIS3_Lb1ELb0EPlSB_ZN2at6native12_GLOBAL__N_124unique_dim_cuda_templateImEESt5tupleIJNSC_6TensorESH_SH_EERKSH_lbbbEUlllE1_EE10hipError_tPvRmT2_T3_mT4_P12ihipStream_tbEUlmE_lEESB_NS0_8identityIvEEEESM_SP_SQ_mSR_ST_bEUlT_E_NS1_11comp_targetILNS1_3genE2ELNS1_11target_archE906ELNS1_3gpuE6ELNS1_3repE0EEENS1_30default_config_static_selectorELNS0_4arch9wavefront6targetE1EEEvT1_: ; @_ZN7rocprim17ROCPRIM_400000_NS6detail17trampoline_kernelINS0_14default_configENS1_25transform_config_selectorIlLb0EEEZNS1_14transform_implILb0ES3_S5_NS0_18transform_iteratorINS0_17counting_iteratorImlEEZNS1_24adjacent_difference_implIS3_Lb1ELb0EPlSB_ZN2at6native12_GLOBAL__N_124unique_dim_cuda_templateImEESt5tupleIJNSC_6TensorESH_SH_EERKSH_lbbbEUlllE1_EE10hipError_tPvRmT2_T3_mT4_P12ihipStream_tbEUlmE_lEESB_NS0_8identityIvEEEESM_SP_SQ_mSR_ST_bEUlT_E_NS1_11comp_targetILNS1_3genE2ELNS1_11target_archE906ELNS1_3gpuE6ELNS1_3repE0EEENS1_30default_config_static_selectorELNS0_4arch9wavefront6targetE1EEEvT1_
; %bb.0:
	.section	.rodata,"a",@progbits
	.p2align	6, 0x0
	.amdhsa_kernel _ZN7rocprim17ROCPRIM_400000_NS6detail17trampoline_kernelINS0_14default_configENS1_25transform_config_selectorIlLb0EEEZNS1_14transform_implILb0ES3_S5_NS0_18transform_iteratorINS0_17counting_iteratorImlEEZNS1_24adjacent_difference_implIS3_Lb1ELb0EPlSB_ZN2at6native12_GLOBAL__N_124unique_dim_cuda_templateImEESt5tupleIJNSC_6TensorESH_SH_EERKSH_lbbbEUlllE1_EE10hipError_tPvRmT2_T3_mT4_P12ihipStream_tbEUlmE_lEESB_NS0_8identityIvEEEESM_SP_SQ_mSR_ST_bEUlT_E_NS1_11comp_targetILNS1_3genE2ELNS1_11target_archE906ELNS1_3gpuE6ELNS1_3repE0EEENS1_30default_config_static_selectorELNS0_4arch9wavefront6targetE1EEEvT1_
		.amdhsa_group_segment_fixed_size 0
		.amdhsa_private_segment_fixed_size 0
		.amdhsa_kernarg_size 56
		.amdhsa_user_sgpr_count 2
		.amdhsa_user_sgpr_dispatch_ptr 0
		.amdhsa_user_sgpr_queue_ptr 0
		.amdhsa_user_sgpr_kernarg_segment_ptr 1
		.amdhsa_user_sgpr_dispatch_id 0
		.amdhsa_user_sgpr_kernarg_preload_length 0
		.amdhsa_user_sgpr_kernarg_preload_offset 0
		.amdhsa_user_sgpr_private_segment_size 0
		.amdhsa_uses_dynamic_stack 0
		.amdhsa_enable_private_segment 0
		.amdhsa_system_sgpr_workgroup_id_x 1
		.amdhsa_system_sgpr_workgroup_id_y 0
		.amdhsa_system_sgpr_workgroup_id_z 0
		.amdhsa_system_sgpr_workgroup_info 0
		.amdhsa_system_vgpr_workitem_id 0
		.amdhsa_next_free_vgpr 1
		.amdhsa_next_free_sgpr 0
		.amdhsa_accum_offset 4
		.amdhsa_reserve_vcc 0
		.amdhsa_float_round_mode_32 0
		.amdhsa_float_round_mode_16_64 0
		.amdhsa_float_denorm_mode_32 3
		.amdhsa_float_denorm_mode_16_64 3
		.amdhsa_dx10_clamp 1
		.amdhsa_ieee_mode 1
		.amdhsa_fp16_overflow 0
		.amdhsa_tg_split 0
		.amdhsa_exception_fp_ieee_invalid_op 0
		.amdhsa_exception_fp_denorm_src 0
		.amdhsa_exception_fp_ieee_div_zero 0
		.amdhsa_exception_fp_ieee_overflow 0
		.amdhsa_exception_fp_ieee_underflow 0
		.amdhsa_exception_fp_ieee_inexact 0
		.amdhsa_exception_int_div_zero 0
	.end_amdhsa_kernel
	.section	.text._ZN7rocprim17ROCPRIM_400000_NS6detail17trampoline_kernelINS0_14default_configENS1_25transform_config_selectorIlLb0EEEZNS1_14transform_implILb0ES3_S5_NS0_18transform_iteratorINS0_17counting_iteratorImlEEZNS1_24adjacent_difference_implIS3_Lb1ELb0EPlSB_ZN2at6native12_GLOBAL__N_124unique_dim_cuda_templateImEESt5tupleIJNSC_6TensorESH_SH_EERKSH_lbbbEUlllE1_EE10hipError_tPvRmT2_T3_mT4_P12ihipStream_tbEUlmE_lEESB_NS0_8identityIvEEEESM_SP_SQ_mSR_ST_bEUlT_E_NS1_11comp_targetILNS1_3genE2ELNS1_11target_archE906ELNS1_3gpuE6ELNS1_3repE0EEENS1_30default_config_static_selectorELNS0_4arch9wavefront6targetE1EEEvT1_,"axG",@progbits,_ZN7rocprim17ROCPRIM_400000_NS6detail17trampoline_kernelINS0_14default_configENS1_25transform_config_selectorIlLb0EEEZNS1_14transform_implILb0ES3_S5_NS0_18transform_iteratorINS0_17counting_iteratorImlEEZNS1_24adjacent_difference_implIS3_Lb1ELb0EPlSB_ZN2at6native12_GLOBAL__N_124unique_dim_cuda_templateImEESt5tupleIJNSC_6TensorESH_SH_EERKSH_lbbbEUlllE1_EE10hipError_tPvRmT2_T3_mT4_P12ihipStream_tbEUlmE_lEESB_NS0_8identityIvEEEESM_SP_SQ_mSR_ST_bEUlT_E_NS1_11comp_targetILNS1_3genE2ELNS1_11target_archE906ELNS1_3gpuE6ELNS1_3repE0EEENS1_30default_config_static_selectorELNS0_4arch9wavefront6targetE1EEEvT1_,comdat
.Lfunc_end1650:
	.size	_ZN7rocprim17ROCPRIM_400000_NS6detail17trampoline_kernelINS0_14default_configENS1_25transform_config_selectorIlLb0EEEZNS1_14transform_implILb0ES3_S5_NS0_18transform_iteratorINS0_17counting_iteratorImlEEZNS1_24adjacent_difference_implIS3_Lb1ELb0EPlSB_ZN2at6native12_GLOBAL__N_124unique_dim_cuda_templateImEESt5tupleIJNSC_6TensorESH_SH_EERKSH_lbbbEUlllE1_EE10hipError_tPvRmT2_T3_mT4_P12ihipStream_tbEUlmE_lEESB_NS0_8identityIvEEEESM_SP_SQ_mSR_ST_bEUlT_E_NS1_11comp_targetILNS1_3genE2ELNS1_11target_archE906ELNS1_3gpuE6ELNS1_3repE0EEENS1_30default_config_static_selectorELNS0_4arch9wavefront6targetE1EEEvT1_, .Lfunc_end1650-_ZN7rocprim17ROCPRIM_400000_NS6detail17trampoline_kernelINS0_14default_configENS1_25transform_config_selectorIlLb0EEEZNS1_14transform_implILb0ES3_S5_NS0_18transform_iteratorINS0_17counting_iteratorImlEEZNS1_24adjacent_difference_implIS3_Lb1ELb0EPlSB_ZN2at6native12_GLOBAL__N_124unique_dim_cuda_templateImEESt5tupleIJNSC_6TensorESH_SH_EERKSH_lbbbEUlllE1_EE10hipError_tPvRmT2_T3_mT4_P12ihipStream_tbEUlmE_lEESB_NS0_8identityIvEEEESM_SP_SQ_mSR_ST_bEUlT_E_NS1_11comp_targetILNS1_3genE2ELNS1_11target_archE906ELNS1_3gpuE6ELNS1_3repE0EEENS1_30default_config_static_selectorELNS0_4arch9wavefront6targetE1EEEvT1_
                                        ; -- End function
	.set _ZN7rocprim17ROCPRIM_400000_NS6detail17trampoline_kernelINS0_14default_configENS1_25transform_config_selectorIlLb0EEEZNS1_14transform_implILb0ES3_S5_NS0_18transform_iteratorINS0_17counting_iteratorImlEEZNS1_24adjacent_difference_implIS3_Lb1ELb0EPlSB_ZN2at6native12_GLOBAL__N_124unique_dim_cuda_templateImEESt5tupleIJNSC_6TensorESH_SH_EERKSH_lbbbEUlllE1_EE10hipError_tPvRmT2_T3_mT4_P12ihipStream_tbEUlmE_lEESB_NS0_8identityIvEEEESM_SP_SQ_mSR_ST_bEUlT_E_NS1_11comp_targetILNS1_3genE2ELNS1_11target_archE906ELNS1_3gpuE6ELNS1_3repE0EEENS1_30default_config_static_selectorELNS0_4arch9wavefront6targetE1EEEvT1_.num_vgpr, 0
	.set _ZN7rocprim17ROCPRIM_400000_NS6detail17trampoline_kernelINS0_14default_configENS1_25transform_config_selectorIlLb0EEEZNS1_14transform_implILb0ES3_S5_NS0_18transform_iteratorINS0_17counting_iteratorImlEEZNS1_24adjacent_difference_implIS3_Lb1ELb0EPlSB_ZN2at6native12_GLOBAL__N_124unique_dim_cuda_templateImEESt5tupleIJNSC_6TensorESH_SH_EERKSH_lbbbEUlllE1_EE10hipError_tPvRmT2_T3_mT4_P12ihipStream_tbEUlmE_lEESB_NS0_8identityIvEEEESM_SP_SQ_mSR_ST_bEUlT_E_NS1_11comp_targetILNS1_3genE2ELNS1_11target_archE906ELNS1_3gpuE6ELNS1_3repE0EEENS1_30default_config_static_selectorELNS0_4arch9wavefront6targetE1EEEvT1_.num_agpr, 0
	.set _ZN7rocprim17ROCPRIM_400000_NS6detail17trampoline_kernelINS0_14default_configENS1_25transform_config_selectorIlLb0EEEZNS1_14transform_implILb0ES3_S5_NS0_18transform_iteratorINS0_17counting_iteratorImlEEZNS1_24adjacent_difference_implIS3_Lb1ELb0EPlSB_ZN2at6native12_GLOBAL__N_124unique_dim_cuda_templateImEESt5tupleIJNSC_6TensorESH_SH_EERKSH_lbbbEUlllE1_EE10hipError_tPvRmT2_T3_mT4_P12ihipStream_tbEUlmE_lEESB_NS0_8identityIvEEEESM_SP_SQ_mSR_ST_bEUlT_E_NS1_11comp_targetILNS1_3genE2ELNS1_11target_archE906ELNS1_3gpuE6ELNS1_3repE0EEENS1_30default_config_static_selectorELNS0_4arch9wavefront6targetE1EEEvT1_.numbered_sgpr, 0
	.set _ZN7rocprim17ROCPRIM_400000_NS6detail17trampoline_kernelINS0_14default_configENS1_25transform_config_selectorIlLb0EEEZNS1_14transform_implILb0ES3_S5_NS0_18transform_iteratorINS0_17counting_iteratorImlEEZNS1_24adjacent_difference_implIS3_Lb1ELb0EPlSB_ZN2at6native12_GLOBAL__N_124unique_dim_cuda_templateImEESt5tupleIJNSC_6TensorESH_SH_EERKSH_lbbbEUlllE1_EE10hipError_tPvRmT2_T3_mT4_P12ihipStream_tbEUlmE_lEESB_NS0_8identityIvEEEESM_SP_SQ_mSR_ST_bEUlT_E_NS1_11comp_targetILNS1_3genE2ELNS1_11target_archE906ELNS1_3gpuE6ELNS1_3repE0EEENS1_30default_config_static_selectorELNS0_4arch9wavefront6targetE1EEEvT1_.num_named_barrier, 0
	.set _ZN7rocprim17ROCPRIM_400000_NS6detail17trampoline_kernelINS0_14default_configENS1_25transform_config_selectorIlLb0EEEZNS1_14transform_implILb0ES3_S5_NS0_18transform_iteratorINS0_17counting_iteratorImlEEZNS1_24adjacent_difference_implIS3_Lb1ELb0EPlSB_ZN2at6native12_GLOBAL__N_124unique_dim_cuda_templateImEESt5tupleIJNSC_6TensorESH_SH_EERKSH_lbbbEUlllE1_EE10hipError_tPvRmT2_T3_mT4_P12ihipStream_tbEUlmE_lEESB_NS0_8identityIvEEEESM_SP_SQ_mSR_ST_bEUlT_E_NS1_11comp_targetILNS1_3genE2ELNS1_11target_archE906ELNS1_3gpuE6ELNS1_3repE0EEENS1_30default_config_static_selectorELNS0_4arch9wavefront6targetE1EEEvT1_.private_seg_size, 0
	.set _ZN7rocprim17ROCPRIM_400000_NS6detail17trampoline_kernelINS0_14default_configENS1_25transform_config_selectorIlLb0EEEZNS1_14transform_implILb0ES3_S5_NS0_18transform_iteratorINS0_17counting_iteratorImlEEZNS1_24adjacent_difference_implIS3_Lb1ELb0EPlSB_ZN2at6native12_GLOBAL__N_124unique_dim_cuda_templateImEESt5tupleIJNSC_6TensorESH_SH_EERKSH_lbbbEUlllE1_EE10hipError_tPvRmT2_T3_mT4_P12ihipStream_tbEUlmE_lEESB_NS0_8identityIvEEEESM_SP_SQ_mSR_ST_bEUlT_E_NS1_11comp_targetILNS1_3genE2ELNS1_11target_archE906ELNS1_3gpuE6ELNS1_3repE0EEENS1_30default_config_static_selectorELNS0_4arch9wavefront6targetE1EEEvT1_.uses_vcc, 0
	.set _ZN7rocprim17ROCPRIM_400000_NS6detail17trampoline_kernelINS0_14default_configENS1_25transform_config_selectorIlLb0EEEZNS1_14transform_implILb0ES3_S5_NS0_18transform_iteratorINS0_17counting_iteratorImlEEZNS1_24adjacent_difference_implIS3_Lb1ELb0EPlSB_ZN2at6native12_GLOBAL__N_124unique_dim_cuda_templateImEESt5tupleIJNSC_6TensorESH_SH_EERKSH_lbbbEUlllE1_EE10hipError_tPvRmT2_T3_mT4_P12ihipStream_tbEUlmE_lEESB_NS0_8identityIvEEEESM_SP_SQ_mSR_ST_bEUlT_E_NS1_11comp_targetILNS1_3genE2ELNS1_11target_archE906ELNS1_3gpuE6ELNS1_3repE0EEENS1_30default_config_static_selectorELNS0_4arch9wavefront6targetE1EEEvT1_.uses_flat_scratch, 0
	.set _ZN7rocprim17ROCPRIM_400000_NS6detail17trampoline_kernelINS0_14default_configENS1_25transform_config_selectorIlLb0EEEZNS1_14transform_implILb0ES3_S5_NS0_18transform_iteratorINS0_17counting_iteratorImlEEZNS1_24adjacent_difference_implIS3_Lb1ELb0EPlSB_ZN2at6native12_GLOBAL__N_124unique_dim_cuda_templateImEESt5tupleIJNSC_6TensorESH_SH_EERKSH_lbbbEUlllE1_EE10hipError_tPvRmT2_T3_mT4_P12ihipStream_tbEUlmE_lEESB_NS0_8identityIvEEEESM_SP_SQ_mSR_ST_bEUlT_E_NS1_11comp_targetILNS1_3genE2ELNS1_11target_archE906ELNS1_3gpuE6ELNS1_3repE0EEENS1_30default_config_static_selectorELNS0_4arch9wavefront6targetE1EEEvT1_.has_dyn_sized_stack, 0
	.set _ZN7rocprim17ROCPRIM_400000_NS6detail17trampoline_kernelINS0_14default_configENS1_25transform_config_selectorIlLb0EEEZNS1_14transform_implILb0ES3_S5_NS0_18transform_iteratorINS0_17counting_iteratorImlEEZNS1_24adjacent_difference_implIS3_Lb1ELb0EPlSB_ZN2at6native12_GLOBAL__N_124unique_dim_cuda_templateImEESt5tupleIJNSC_6TensorESH_SH_EERKSH_lbbbEUlllE1_EE10hipError_tPvRmT2_T3_mT4_P12ihipStream_tbEUlmE_lEESB_NS0_8identityIvEEEESM_SP_SQ_mSR_ST_bEUlT_E_NS1_11comp_targetILNS1_3genE2ELNS1_11target_archE906ELNS1_3gpuE6ELNS1_3repE0EEENS1_30default_config_static_selectorELNS0_4arch9wavefront6targetE1EEEvT1_.has_recursion, 0
	.set _ZN7rocprim17ROCPRIM_400000_NS6detail17trampoline_kernelINS0_14default_configENS1_25transform_config_selectorIlLb0EEEZNS1_14transform_implILb0ES3_S5_NS0_18transform_iteratorINS0_17counting_iteratorImlEEZNS1_24adjacent_difference_implIS3_Lb1ELb0EPlSB_ZN2at6native12_GLOBAL__N_124unique_dim_cuda_templateImEESt5tupleIJNSC_6TensorESH_SH_EERKSH_lbbbEUlllE1_EE10hipError_tPvRmT2_T3_mT4_P12ihipStream_tbEUlmE_lEESB_NS0_8identityIvEEEESM_SP_SQ_mSR_ST_bEUlT_E_NS1_11comp_targetILNS1_3genE2ELNS1_11target_archE906ELNS1_3gpuE6ELNS1_3repE0EEENS1_30default_config_static_selectorELNS0_4arch9wavefront6targetE1EEEvT1_.has_indirect_call, 0
	.section	.AMDGPU.csdata,"",@progbits
; Kernel info:
; codeLenInByte = 0
; TotalNumSgprs: 6
; NumVgprs: 0
; NumAgprs: 0
; TotalNumVgprs: 0
; ScratchSize: 0
; MemoryBound: 0
; FloatMode: 240
; IeeeMode: 1
; LDSByteSize: 0 bytes/workgroup (compile time only)
; SGPRBlocks: 0
; VGPRBlocks: 0
; NumSGPRsForWavesPerEU: 6
; NumVGPRsForWavesPerEU: 1
; AccumOffset: 4
; Occupancy: 8
; WaveLimiterHint : 0
; COMPUTE_PGM_RSRC2:SCRATCH_EN: 0
; COMPUTE_PGM_RSRC2:USER_SGPR: 2
; COMPUTE_PGM_RSRC2:TRAP_HANDLER: 0
; COMPUTE_PGM_RSRC2:TGID_X_EN: 1
; COMPUTE_PGM_RSRC2:TGID_Y_EN: 0
; COMPUTE_PGM_RSRC2:TGID_Z_EN: 0
; COMPUTE_PGM_RSRC2:TIDIG_COMP_CNT: 0
; COMPUTE_PGM_RSRC3_GFX90A:ACCUM_OFFSET: 0
; COMPUTE_PGM_RSRC3_GFX90A:TG_SPLIT: 0
	.section	.text._ZN7rocprim17ROCPRIM_400000_NS6detail17trampoline_kernelINS0_14default_configENS1_25transform_config_selectorIlLb0EEEZNS1_14transform_implILb0ES3_S5_NS0_18transform_iteratorINS0_17counting_iteratorImlEEZNS1_24adjacent_difference_implIS3_Lb1ELb0EPlSB_ZN2at6native12_GLOBAL__N_124unique_dim_cuda_templateImEESt5tupleIJNSC_6TensorESH_SH_EERKSH_lbbbEUlllE1_EE10hipError_tPvRmT2_T3_mT4_P12ihipStream_tbEUlmE_lEESB_NS0_8identityIvEEEESM_SP_SQ_mSR_ST_bEUlT_E_NS1_11comp_targetILNS1_3genE10ELNS1_11target_archE1201ELNS1_3gpuE5ELNS1_3repE0EEENS1_30default_config_static_selectorELNS0_4arch9wavefront6targetE1EEEvT1_,"axG",@progbits,_ZN7rocprim17ROCPRIM_400000_NS6detail17trampoline_kernelINS0_14default_configENS1_25transform_config_selectorIlLb0EEEZNS1_14transform_implILb0ES3_S5_NS0_18transform_iteratorINS0_17counting_iteratorImlEEZNS1_24adjacent_difference_implIS3_Lb1ELb0EPlSB_ZN2at6native12_GLOBAL__N_124unique_dim_cuda_templateImEESt5tupleIJNSC_6TensorESH_SH_EERKSH_lbbbEUlllE1_EE10hipError_tPvRmT2_T3_mT4_P12ihipStream_tbEUlmE_lEESB_NS0_8identityIvEEEESM_SP_SQ_mSR_ST_bEUlT_E_NS1_11comp_targetILNS1_3genE10ELNS1_11target_archE1201ELNS1_3gpuE5ELNS1_3repE0EEENS1_30default_config_static_selectorELNS0_4arch9wavefront6targetE1EEEvT1_,comdat
	.globl	_ZN7rocprim17ROCPRIM_400000_NS6detail17trampoline_kernelINS0_14default_configENS1_25transform_config_selectorIlLb0EEEZNS1_14transform_implILb0ES3_S5_NS0_18transform_iteratorINS0_17counting_iteratorImlEEZNS1_24adjacent_difference_implIS3_Lb1ELb0EPlSB_ZN2at6native12_GLOBAL__N_124unique_dim_cuda_templateImEESt5tupleIJNSC_6TensorESH_SH_EERKSH_lbbbEUlllE1_EE10hipError_tPvRmT2_T3_mT4_P12ihipStream_tbEUlmE_lEESB_NS0_8identityIvEEEESM_SP_SQ_mSR_ST_bEUlT_E_NS1_11comp_targetILNS1_3genE10ELNS1_11target_archE1201ELNS1_3gpuE5ELNS1_3repE0EEENS1_30default_config_static_selectorELNS0_4arch9wavefront6targetE1EEEvT1_ ; -- Begin function _ZN7rocprim17ROCPRIM_400000_NS6detail17trampoline_kernelINS0_14default_configENS1_25transform_config_selectorIlLb0EEEZNS1_14transform_implILb0ES3_S5_NS0_18transform_iteratorINS0_17counting_iteratorImlEEZNS1_24adjacent_difference_implIS3_Lb1ELb0EPlSB_ZN2at6native12_GLOBAL__N_124unique_dim_cuda_templateImEESt5tupleIJNSC_6TensorESH_SH_EERKSH_lbbbEUlllE1_EE10hipError_tPvRmT2_T3_mT4_P12ihipStream_tbEUlmE_lEESB_NS0_8identityIvEEEESM_SP_SQ_mSR_ST_bEUlT_E_NS1_11comp_targetILNS1_3genE10ELNS1_11target_archE1201ELNS1_3gpuE5ELNS1_3repE0EEENS1_30default_config_static_selectorELNS0_4arch9wavefront6targetE1EEEvT1_
	.p2align	8
	.type	_ZN7rocprim17ROCPRIM_400000_NS6detail17trampoline_kernelINS0_14default_configENS1_25transform_config_selectorIlLb0EEEZNS1_14transform_implILb0ES3_S5_NS0_18transform_iteratorINS0_17counting_iteratorImlEEZNS1_24adjacent_difference_implIS3_Lb1ELb0EPlSB_ZN2at6native12_GLOBAL__N_124unique_dim_cuda_templateImEESt5tupleIJNSC_6TensorESH_SH_EERKSH_lbbbEUlllE1_EE10hipError_tPvRmT2_T3_mT4_P12ihipStream_tbEUlmE_lEESB_NS0_8identityIvEEEESM_SP_SQ_mSR_ST_bEUlT_E_NS1_11comp_targetILNS1_3genE10ELNS1_11target_archE1201ELNS1_3gpuE5ELNS1_3repE0EEENS1_30default_config_static_selectorELNS0_4arch9wavefront6targetE1EEEvT1_,@function
_ZN7rocprim17ROCPRIM_400000_NS6detail17trampoline_kernelINS0_14default_configENS1_25transform_config_selectorIlLb0EEEZNS1_14transform_implILb0ES3_S5_NS0_18transform_iteratorINS0_17counting_iteratorImlEEZNS1_24adjacent_difference_implIS3_Lb1ELb0EPlSB_ZN2at6native12_GLOBAL__N_124unique_dim_cuda_templateImEESt5tupleIJNSC_6TensorESH_SH_EERKSH_lbbbEUlllE1_EE10hipError_tPvRmT2_T3_mT4_P12ihipStream_tbEUlmE_lEESB_NS0_8identityIvEEEESM_SP_SQ_mSR_ST_bEUlT_E_NS1_11comp_targetILNS1_3genE10ELNS1_11target_archE1201ELNS1_3gpuE5ELNS1_3repE0EEENS1_30default_config_static_selectorELNS0_4arch9wavefront6targetE1EEEvT1_: ; @_ZN7rocprim17ROCPRIM_400000_NS6detail17trampoline_kernelINS0_14default_configENS1_25transform_config_selectorIlLb0EEEZNS1_14transform_implILb0ES3_S5_NS0_18transform_iteratorINS0_17counting_iteratorImlEEZNS1_24adjacent_difference_implIS3_Lb1ELb0EPlSB_ZN2at6native12_GLOBAL__N_124unique_dim_cuda_templateImEESt5tupleIJNSC_6TensorESH_SH_EERKSH_lbbbEUlllE1_EE10hipError_tPvRmT2_T3_mT4_P12ihipStream_tbEUlmE_lEESB_NS0_8identityIvEEEESM_SP_SQ_mSR_ST_bEUlT_E_NS1_11comp_targetILNS1_3genE10ELNS1_11target_archE1201ELNS1_3gpuE5ELNS1_3repE0EEENS1_30default_config_static_selectorELNS0_4arch9wavefront6targetE1EEEvT1_
; %bb.0:
	.section	.rodata,"a",@progbits
	.p2align	6, 0x0
	.amdhsa_kernel _ZN7rocprim17ROCPRIM_400000_NS6detail17trampoline_kernelINS0_14default_configENS1_25transform_config_selectorIlLb0EEEZNS1_14transform_implILb0ES3_S5_NS0_18transform_iteratorINS0_17counting_iteratorImlEEZNS1_24adjacent_difference_implIS3_Lb1ELb0EPlSB_ZN2at6native12_GLOBAL__N_124unique_dim_cuda_templateImEESt5tupleIJNSC_6TensorESH_SH_EERKSH_lbbbEUlllE1_EE10hipError_tPvRmT2_T3_mT4_P12ihipStream_tbEUlmE_lEESB_NS0_8identityIvEEEESM_SP_SQ_mSR_ST_bEUlT_E_NS1_11comp_targetILNS1_3genE10ELNS1_11target_archE1201ELNS1_3gpuE5ELNS1_3repE0EEENS1_30default_config_static_selectorELNS0_4arch9wavefront6targetE1EEEvT1_
		.amdhsa_group_segment_fixed_size 0
		.amdhsa_private_segment_fixed_size 0
		.amdhsa_kernarg_size 56
		.amdhsa_user_sgpr_count 2
		.amdhsa_user_sgpr_dispatch_ptr 0
		.amdhsa_user_sgpr_queue_ptr 0
		.amdhsa_user_sgpr_kernarg_segment_ptr 1
		.amdhsa_user_sgpr_dispatch_id 0
		.amdhsa_user_sgpr_kernarg_preload_length 0
		.amdhsa_user_sgpr_kernarg_preload_offset 0
		.amdhsa_user_sgpr_private_segment_size 0
		.amdhsa_uses_dynamic_stack 0
		.amdhsa_enable_private_segment 0
		.amdhsa_system_sgpr_workgroup_id_x 1
		.amdhsa_system_sgpr_workgroup_id_y 0
		.amdhsa_system_sgpr_workgroup_id_z 0
		.amdhsa_system_sgpr_workgroup_info 0
		.amdhsa_system_vgpr_workitem_id 0
		.amdhsa_next_free_vgpr 1
		.amdhsa_next_free_sgpr 0
		.amdhsa_accum_offset 4
		.amdhsa_reserve_vcc 0
		.amdhsa_float_round_mode_32 0
		.amdhsa_float_round_mode_16_64 0
		.amdhsa_float_denorm_mode_32 3
		.amdhsa_float_denorm_mode_16_64 3
		.amdhsa_dx10_clamp 1
		.amdhsa_ieee_mode 1
		.amdhsa_fp16_overflow 0
		.amdhsa_tg_split 0
		.amdhsa_exception_fp_ieee_invalid_op 0
		.amdhsa_exception_fp_denorm_src 0
		.amdhsa_exception_fp_ieee_div_zero 0
		.amdhsa_exception_fp_ieee_overflow 0
		.amdhsa_exception_fp_ieee_underflow 0
		.amdhsa_exception_fp_ieee_inexact 0
		.amdhsa_exception_int_div_zero 0
	.end_amdhsa_kernel
	.section	.text._ZN7rocprim17ROCPRIM_400000_NS6detail17trampoline_kernelINS0_14default_configENS1_25transform_config_selectorIlLb0EEEZNS1_14transform_implILb0ES3_S5_NS0_18transform_iteratorINS0_17counting_iteratorImlEEZNS1_24adjacent_difference_implIS3_Lb1ELb0EPlSB_ZN2at6native12_GLOBAL__N_124unique_dim_cuda_templateImEESt5tupleIJNSC_6TensorESH_SH_EERKSH_lbbbEUlllE1_EE10hipError_tPvRmT2_T3_mT4_P12ihipStream_tbEUlmE_lEESB_NS0_8identityIvEEEESM_SP_SQ_mSR_ST_bEUlT_E_NS1_11comp_targetILNS1_3genE10ELNS1_11target_archE1201ELNS1_3gpuE5ELNS1_3repE0EEENS1_30default_config_static_selectorELNS0_4arch9wavefront6targetE1EEEvT1_,"axG",@progbits,_ZN7rocprim17ROCPRIM_400000_NS6detail17trampoline_kernelINS0_14default_configENS1_25transform_config_selectorIlLb0EEEZNS1_14transform_implILb0ES3_S5_NS0_18transform_iteratorINS0_17counting_iteratorImlEEZNS1_24adjacent_difference_implIS3_Lb1ELb0EPlSB_ZN2at6native12_GLOBAL__N_124unique_dim_cuda_templateImEESt5tupleIJNSC_6TensorESH_SH_EERKSH_lbbbEUlllE1_EE10hipError_tPvRmT2_T3_mT4_P12ihipStream_tbEUlmE_lEESB_NS0_8identityIvEEEESM_SP_SQ_mSR_ST_bEUlT_E_NS1_11comp_targetILNS1_3genE10ELNS1_11target_archE1201ELNS1_3gpuE5ELNS1_3repE0EEENS1_30default_config_static_selectorELNS0_4arch9wavefront6targetE1EEEvT1_,comdat
.Lfunc_end1651:
	.size	_ZN7rocprim17ROCPRIM_400000_NS6detail17trampoline_kernelINS0_14default_configENS1_25transform_config_selectorIlLb0EEEZNS1_14transform_implILb0ES3_S5_NS0_18transform_iteratorINS0_17counting_iteratorImlEEZNS1_24adjacent_difference_implIS3_Lb1ELb0EPlSB_ZN2at6native12_GLOBAL__N_124unique_dim_cuda_templateImEESt5tupleIJNSC_6TensorESH_SH_EERKSH_lbbbEUlllE1_EE10hipError_tPvRmT2_T3_mT4_P12ihipStream_tbEUlmE_lEESB_NS0_8identityIvEEEESM_SP_SQ_mSR_ST_bEUlT_E_NS1_11comp_targetILNS1_3genE10ELNS1_11target_archE1201ELNS1_3gpuE5ELNS1_3repE0EEENS1_30default_config_static_selectorELNS0_4arch9wavefront6targetE1EEEvT1_, .Lfunc_end1651-_ZN7rocprim17ROCPRIM_400000_NS6detail17trampoline_kernelINS0_14default_configENS1_25transform_config_selectorIlLb0EEEZNS1_14transform_implILb0ES3_S5_NS0_18transform_iteratorINS0_17counting_iteratorImlEEZNS1_24adjacent_difference_implIS3_Lb1ELb0EPlSB_ZN2at6native12_GLOBAL__N_124unique_dim_cuda_templateImEESt5tupleIJNSC_6TensorESH_SH_EERKSH_lbbbEUlllE1_EE10hipError_tPvRmT2_T3_mT4_P12ihipStream_tbEUlmE_lEESB_NS0_8identityIvEEEESM_SP_SQ_mSR_ST_bEUlT_E_NS1_11comp_targetILNS1_3genE10ELNS1_11target_archE1201ELNS1_3gpuE5ELNS1_3repE0EEENS1_30default_config_static_selectorELNS0_4arch9wavefront6targetE1EEEvT1_
                                        ; -- End function
	.set _ZN7rocprim17ROCPRIM_400000_NS6detail17trampoline_kernelINS0_14default_configENS1_25transform_config_selectorIlLb0EEEZNS1_14transform_implILb0ES3_S5_NS0_18transform_iteratorINS0_17counting_iteratorImlEEZNS1_24adjacent_difference_implIS3_Lb1ELb0EPlSB_ZN2at6native12_GLOBAL__N_124unique_dim_cuda_templateImEESt5tupleIJNSC_6TensorESH_SH_EERKSH_lbbbEUlllE1_EE10hipError_tPvRmT2_T3_mT4_P12ihipStream_tbEUlmE_lEESB_NS0_8identityIvEEEESM_SP_SQ_mSR_ST_bEUlT_E_NS1_11comp_targetILNS1_3genE10ELNS1_11target_archE1201ELNS1_3gpuE5ELNS1_3repE0EEENS1_30default_config_static_selectorELNS0_4arch9wavefront6targetE1EEEvT1_.num_vgpr, 0
	.set _ZN7rocprim17ROCPRIM_400000_NS6detail17trampoline_kernelINS0_14default_configENS1_25transform_config_selectorIlLb0EEEZNS1_14transform_implILb0ES3_S5_NS0_18transform_iteratorINS0_17counting_iteratorImlEEZNS1_24adjacent_difference_implIS3_Lb1ELb0EPlSB_ZN2at6native12_GLOBAL__N_124unique_dim_cuda_templateImEESt5tupleIJNSC_6TensorESH_SH_EERKSH_lbbbEUlllE1_EE10hipError_tPvRmT2_T3_mT4_P12ihipStream_tbEUlmE_lEESB_NS0_8identityIvEEEESM_SP_SQ_mSR_ST_bEUlT_E_NS1_11comp_targetILNS1_3genE10ELNS1_11target_archE1201ELNS1_3gpuE5ELNS1_3repE0EEENS1_30default_config_static_selectorELNS0_4arch9wavefront6targetE1EEEvT1_.num_agpr, 0
	.set _ZN7rocprim17ROCPRIM_400000_NS6detail17trampoline_kernelINS0_14default_configENS1_25transform_config_selectorIlLb0EEEZNS1_14transform_implILb0ES3_S5_NS0_18transform_iteratorINS0_17counting_iteratorImlEEZNS1_24adjacent_difference_implIS3_Lb1ELb0EPlSB_ZN2at6native12_GLOBAL__N_124unique_dim_cuda_templateImEESt5tupleIJNSC_6TensorESH_SH_EERKSH_lbbbEUlllE1_EE10hipError_tPvRmT2_T3_mT4_P12ihipStream_tbEUlmE_lEESB_NS0_8identityIvEEEESM_SP_SQ_mSR_ST_bEUlT_E_NS1_11comp_targetILNS1_3genE10ELNS1_11target_archE1201ELNS1_3gpuE5ELNS1_3repE0EEENS1_30default_config_static_selectorELNS0_4arch9wavefront6targetE1EEEvT1_.numbered_sgpr, 0
	.set _ZN7rocprim17ROCPRIM_400000_NS6detail17trampoline_kernelINS0_14default_configENS1_25transform_config_selectorIlLb0EEEZNS1_14transform_implILb0ES3_S5_NS0_18transform_iteratorINS0_17counting_iteratorImlEEZNS1_24adjacent_difference_implIS3_Lb1ELb0EPlSB_ZN2at6native12_GLOBAL__N_124unique_dim_cuda_templateImEESt5tupleIJNSC_6TensorESH_SH_EERKSH_lbbbEUlllE1_EE10hipError_tPvRmT2_T3_mT4_P12ihipStream_tbEUlmE_lEESB_NS0_8identityIvEEEESM_SP_SQ_mSR_ST_bEUlT_E_NS1_11comp_targetILNS1_3genE10ELNS1_11target_archE1201ELNS1_3gpuE5ELNS1_3repE0EEENS1_30default_config_static_selectorELNS0_4arch9wavefront6targetE1EEEvT1_.num_named_barrier, 0
	.set _ZN7rocprim17ROCPRIM_400000_NS6detail17trampoline_kernelINS0_14default_configENS1_25transform_config_selectorIlLb0EEEZNS1_14transform_implILb0ES3_S5_NS0_18transform_iteratorINS0_17counting_iteratorImlEEZNS1_24adjacent_difference_implIS3_Lb1ELb0EPlSB_ZN2at6native12_GLOBAL__N_124unique_dim_cuda_templateImEESt5tupleIJNSC_6TensorESH_SH_EERKSH_lbbbEUlllE1_EE10hipError_tPvRmT2_T3_mT4_P12ihipStream_tbEUlmE_lEESB_NS0_8identityIvEEEESM_SP_SQ_mSR_ST_bEUlT_E_NS1_11comp_targetILNS1_3genE10ELNS1_11target_archE1201ELNS1_3gpuE5ELNS1_3repE0EEENS1_30default_config_static_selectorELNS0_4arch9wavefront6targetE1EEEvT1_.private_seg_size, 0
	.set _ZN7rocprim17ROCPRIM_400000_NS6detail17trampoline_kernelINS0_14default_configENS1_25transform_config_selectorIlLb0EEEZNS1_14transform_implILb0ES3_S5_NS0_18transform_iteratorINS0_17counting_iteratorImlEEZNS1_24adjacent_difference_implIS3_Lb1ELb0EPlSB_ZN2at6native12_GLOBAL__N_124unique_dim_cuda_templateImEESt5tupleIJNSC_6TensorESH_SH_EERKSH_lbbbEUlllE1_EE10hipError_tPvRmT2_T3_mT4_P12ihipStream_tbEUlmE_lEESB_NS0_8identityIvEEEESM_SP_SQ_mSR_ST_bEUlT_E_NS1_11comp_targetILNS1_3genE10ELNS1_11target_archE1201ELNS1_3gpuE5ELNS1_3repE0EEENS1_30default_config_static_selectorELNS0_4arch9wavefront6targetE1EEEvT1_.uses_vcc, 0
	.set _ZN7rocprim17ROCPRIM_400000_NS6detail17trampoline_kernelINS0_14default_configENS1_25transform_config_selectorIlLb0EEEZNS1_14transform_implILb0ES3_S5_NS0_18transform_iteratorINS0_17counting_iteratorImlEEZNS1_24adjacent_difference_implIS3_Lb1ELb0EPlSB_ZN2at6native12_GLOBAL__N_124unique_dim_cuda_templateImEESt5tupleIJNSC_6TensorESH_SH_EERKSH_lbbbEUlllE1_EE10hipError_tPvRmT2_T3_mT4_P12ihipStream_tbEUlmE_lEESB_NS0_8identityIvEEEESM_SP_SQ_mSR_ST_bEUlT_E_NS1_11comp_targetILNS1_3genE10ELNS1_11target_archE1201ELNS1_3gpuE5ELNS1_3repE0EEENS1_30default_config_static_selectorELNS0_4arch9wavefront6targetE1EEEvT1_.uses_flat_scratch, 0
	.set _ZN7rocprim17ROCPRIM_400000_NS6detail17trampoline_kernelINS0_14default_configENS1_25transform_config_selectorIlLb0EEEZNS1_14transform_implILb0ES3_S5_NS0_18transform_iteratorINS0_17counting_iteratorImlEEZNS1_24adjacent_difference_implIS3_Lb1ELb0EPlSB_ZN2at6native12_GLOBAL__N_124unique_dim_cuda_templateImEESt5tupleIJNSC_6TensorESH_SH_EERKSH_lbbbEUlllE1_EE10hipError_tPvRmT2_T3_mT4_P12ihipStream_tbEUlmE_lEESB_NS0_8identityIvEEEESM_SP_SQ_mSR_ST_bEUlT_E_NS1_11comp_targetILNS1_3genE10ELNS1_11target_archE1201ELNS1_3gpuE5ELNS1_3repE0EEENS1_30default_config_static_selectorELNS0_4arch9wavefront6targetE1EEEvT1_.has_dyn_sized_stack, 0
	.set _ZN7rocprim17ROCPRIM_400000_NS6detail17trampoline_kernelINS0_14default_configENS1_25transform_config_selectorIlLb0EEEZNS1_14transform_implILb0ES3_S5_NS0_18transform_iteratorINS0_17counting_iteratorImlEEZNS1_24adjacent_difference_implIS3_Lb1ELb0EPlSB_ZN2at6native12_GLOBAL__N_124unique_dim_cuda_templateImEESt5tupleIJNSC_6TensorESH_SH_EERKSH_lbbbEUlllE1_EE10hipError_tPvRmT2_T3_mT4_P12ihipStream_tbEUlmE_lEESB_NS0_8identityIvEEEESM_SP_SQ_mSR_ST_bEUlT_E_NS1_11comp_targetILNS1_3genE10ELNS1_11target_archE1201ELNS1_3gpuE5ELNS1_3repE0EEENS1_30default_config_static_selectorELNS0_4arch9wavefront6targetE1EEEvT1_.has_recursion, 0
	.set _ZN7rocprim17ROCPRIM_400000_NS6detail17trampoline_kernelINS0_14default_configENS1_25transform_config_selectorIlLb0EEEZNS1_14transform_implILb0ES3_S5_NS0_18transform_iteratorINS0_17counting_iteratorImlEEZNS1_24adjacent_difference_implIS3_Lb1ELb0EPlSB_ZN2at6native12_GLOBAL__N_124unique_dim_cuda_templateImEESt5tupleIJNSC_6TensorESH_SH_EERKSH_lbbbEUlllE1_EE10hipError_tPvRmT2_T3_mT4_P12ihipStream_tbEUlmE_lEESB_NS0_8identityIvEEEESM_SP_SQ_mSR_ST_bEUlT_E_NS1_11comp_targetILNS1_3genE10ELNS1_11target_archE1201ELNS1_3gpuE5ELNS1_3repE0EEENS1_30default_config_static_selectorELNS0_4arch9wavefront6targetE1EEEvT1_.has_indirect_call, 0
	.section	.AMDGPU.csdata,"",@progbits
; Kernel info:
; codeLenInByte = 0
; TotalNumSgprs: 6
; NumVgprs: 0
; NumAgprs: 0
; TotalNumVgprs: 0
; ScratchSize: 0
; MemoryBound: 0
; FloatMode: 240
; IeeeMode: 1
; LDSByteSize: 0 bytes/workgroup (compile time only)
; SGPRBlocks: 0
; VGPRBlocks: 0
; NumSGPRsForWavesPerEU: 6
; NumVGPRsForWavesPerEU: 1
; AccumOffset: 4
; Occupancy: 8
; WaveLimiterHint : 0
; COMPUTE_PGM_RSRC2:SCRATCH_EN: 0
; COMPUTE_PGM_RSRC2:USER_SGPR: 2
; COMPUTE_PGM_RSRC2:TRAP_HANDLER: 0
; COMPUTE_PGM_RSRC2:TGID_X_EN: 1
; COMPUTE_PGM_RSRC2:TGID_Y_EN: 0
; COMPUTE_PGM_RSRC2:TGID_Z_EN: 0
; COMPUTE_PGM_RSRC2:TIDIG_COMP_CNT: 0
; COMPUTE_PGM_RSRC3_GFX90A:ACCUM_OFFSET: 0
; COMPUTE_PGM_RSRC3_GFX90A:TG_SPLIT: 0
	.section	.text._ZN7rocprim17ROCPRIM_400000_NS6detail17trampoline_kernelINS0_14default_configENS1_25transform_config_selectorIlLb0EEEZNS1_14transform_implILb0ES3_S5_NS0_18transform_iteratorINS0_17counting_iteratorImlEEZNS1_24adjacent_difference_implIS3_Lb1ELb0EPlSB_ZN2at6native12_GLOBAL__N_124unique_dim_cuda_templateImEESt5tupleIJNSC_6TensorESH_SH_EERKSH_lbbbEUlllE1_EE10hipError_tPvRmT2_T3_mT4_P12ihipStream_tbEUlmE_lEESB_NS0_8identityIvEEEESM_SP_SQ_mSR_ST_bEUlT_E_NS1_11comp_targetILNS1_3genE10ELNS1_11target_archE1200ELNS1_3gpuE4ELNS1_3repE0EEENS1_30default_config_static_selectorELNS0_4arch9wavefront6targetE1EEEvT1_,"axG",@progbits,_ZN7rocprim17ROCPRIM_400000_NS6detail17trampoline_kernelINS0_14default_configENS1_25transform_config_selectorIlLb0EEEZNS1_14transform_implILb0ES3_S5_NS0_18transform_iteratorINS0_17counting_iteratorImlEEZNS1_24adjacent_difference_implIS3_Lb1ELb0EPlSB_ZN2at6native12_GLOBAL__N_124unique_dim_cuda_templateImEESt5tupleIJNSC_6TensorESH_SH_EERKSH_lbbbEUlllE1_EE10hipError_tPvRmT2_T3_mT4_P12ihipStream_tbEUlmE_lEESB_NS0_8identityIvEEEESM_SP_SQ_mSR_ST_bEUlT_E_NS1_11comp_targetILNS1_3genE10ELNS1_11target_archE1200ELNS1_3gpuE4ELNS1_3repE0EEENS1_30default_config_static_selectorELNS0_4arch9wavefront6targetE1EEEvT1_,comdat
	.globl	_ZN7rocprim17ROCPRIM_400000_NS6detail17trampoline_kernelINS0_14default_configENS1_25transform_config_selectorIlLb0EEEZNS1_14transform_implILb0ES3_S5_NS0_18transform_iteratorINS0_17counting_iteratorImlEEZNS1_24adjacent_difference_implIS3_Lb1ELb0EPlSB_ZN2at6native12_GLOBAL__N_124unique_dim_cuda_templateImEESt5tupleIJNSC_6TensorESH_SH_EERKSH_lbbbEUlllE1_EE10hipError_tPvRmT2_T3_mT4_P12ihipStream_tbEUlmE_lEESB_NS0_8identityIvEEEESM_SP_SQ_mSR_ST_bEUlT_E_NS1_11comp_targetILNS1_3genE10ELNS1_11target_archE1200ELNS1_3gpuE4ELNS1_3repE0EEENS1_30default_config_static_selectorELNS0_4arch9wavefront6targetE1EEEvT1_ ; -- Begin function _ZN7rocprim17ROCPRIM_400000_NS6detail17trampoline_kernelINS0_14default_configENS1_25transform_config_selectorIlLb0EEEZNS1_14transform_implILb0ES3_S5_NS0_18transform_iteratorINS0_17counting_iteratorImlEEZNS1_24adjacent_difference_implIS3_Lb1ELb0EPlSB_ZN2at6native12_GLOBAL__N_124unique_dim_cuda_templateImEESt5tupleIJNSC_6TensorESH_SH_EERKSH_lbbbEUlllE1_EE10hipError_tPvRmT2_T3_mT4_P12ihipStream_tbEUlmE_lEESB_NS0_8identityIvEEEESM_SP_SQ_mSR_ST_bEUlT_E_NS1_11comp_targetILNS1_3genE10ELNS1_11target_archE1200ELNS1_3gpuE4ELNS1_3repE0EEENS1_30default_config_static_selectorELNS0_4arch9wavefront6targetE1EEEvT1_
	.p2align	8
	.type	_ZN7rocprim17ROCPRIM_400000_NS6detail17trampoline_kernelINS0_14default_configENS1_25transform_config_selectorIlLb0EEEZNS1_14transform_implILb0ES3_S5_NS0_18transform_iteratorINS0_17counting_iteratorImlEEZNS1_24adjacent_difference_implIS3_Lb1ELb0EPlSB_ZN2at6native12_GLOBAL__N_124unique_dim_cuda_templateImEESt5tupleIJNSC_6TensorESH_SH_EERKSH_lbbbEUlllE1_EE10hipError_tPvRmT2_T3_mT4_P12ihipStream_tbEUlmE_lEESB_NS0_8identityIvEEEESM_SP_SQ_mSR_ST_bEUlT_E_NS1_11comp_targetILNS1_3genE10ELNS1_11target_archE1200ELNS1_3gpuE4ELNS1_3repE0EEENS1_30default_config_static_selectorELNS0_4arch9wavefront6targetE1EEEvT1_,@function
_ZN7rocprim17ROCPRIM_400000_NS6detail17trampoline_kernelINS0_14default_configENS1_25transform_config_selectorIlLb0EEEZNS1_14transform_implILb0ES3_S5_NS0_18transform_iteratorINS0_17counting_iteratorImlEEZNS1_24adjacent_difference_implIS3_Lb1ELb0EPlSB_ZN2at6native12_GLOBAL__N_124unique_dim_cuda_templateImEESt5tupleIJNSC_6TensorESH_SH_EERKSH_lbbbEUlllE1_EE10hipError_tPvRmT2_T3_mT4_P12ihipStream_tbEUlmE_lEESB_NS0_8identityIvEEEESM_SP_SQ_mSR_ST_bEUlT_E_NS1_11comp_targetILNS1_3genE10ELNS1_11target_archE1200ELNS1_3gpuE4ELNS1_3repE0EEENS1_30default_config_static_selectorELNS0_4arch9wavefront6targetE1EEEvT1_: ; @_ZN7rocprim17ROCPRIM_400000_NS6detail17trampoline_kernelINS0_14default_configENS1_25transform_config_selectorIlLb0EEEZNS1_14transform_implILb0ES3_S5_NS0_18transform_iteratorINS0_17counting_iteratorImlEEZNS1_24adjacent_difference_implIS3_Lb1ELb0EPlSB_ZN2at6native12_GLOBAL__N_124unique_dim_cuda_templateImEESt5tupleIJNSC_6TensorESH_SH_EERKSH_lbbbEUlllE1_EE10hipError_tPvRmT2_T3_mT4_P12ihipStream_tbEUlmE_lEESB_NS0_8identityIvEEEESM_SP_SQ_mSR_ST_bEUlT_E_NS1_11comp_targetILNS1_3genE10ELNS1_11target_archE1200ELNS1_3gpuE4ELNS1_3repE0EEENS1_30default_config_static_selectorELNS0_4arch9wavefront6targetE1EEEvT1_
; %bb.0:
	.section	.rodata,"a",@progbits
	.p2align	6, 0x0
	.amdhsa_kernel _ZN7rocprim17ROCPRIM_400000_NS6detail17trampoline_kernelINS0_14default_configENS1_25transform_config_selectorIlLb0EEEZNS1_14transform_implILb0ES3_S5_NS0_18transform_iteratorINS0_17counting_iteratorImlEEZNS1_24adjacent_difference_implIS3_Lb1ELb0EPlSB_ZN2at6native12_GLOBAL__N_124unique_dim_cuda_templateImEESt5tupleIJNSC_6TensorESH_SH_EERKSH_lbbbEUlllE1_EE10hipError_tPvRmT2_T3_mT4_P12ihipStream_tbEUlmE_lEESB_NS0_8identityIvEEEESM_SP_SQ_mSR_ST_bEUlT_E_NS1_11comp_targetILNS1_3genE10ELNS1_11target_archE1200ELNS1_3gpuE4ELNS1_3repE0EEENS1_30default_config_static_selectorELNS0_4arch9wavefront6targetE1EEEvT1_
		.amdhsa_group_segment_fixed_size 0
		.amdhsa_private_segment_fixed_size 0
		.amdhsa_kernarg_size 56
		.amdhsa_user_sgpr_count 2
		.amdhsa_user_sgpr_dispatch_ptr 0
		.amdhsa_user_sgpr_queue_ptr 0
		.amdhsa_user_sgpr_kernarg_segment_ptr 1
		.amdhsa_user_sgpr_dispatch_id 0
		.amdhsa_user_sgpr_kernarg_preload_length 0
		.amdhsa_user_sgpr_kernarg_preload_offset 0
		.amdhsa_user_sgpr_private_segment_size 0
		.amdhsa_uses_dynamic_stack 0
		.amdhsa_enable_private_segment 0
		.amdhsa_system_sgpr_workgroup_id_x 1
		.amdhsa_system_sgpr_workgroup_id_y 0
		.amdhsa_system_sgpr_workgroup_id_z 0
		.amdhsa_system_sgpr_workgroup_info 0
		.amdhsa_system_vgpr_workitem_id 0
		.amdhsa_next_free_vgpr 1
		.amdhsa_next_free_sgpr 0
		.amdhsa_accum_offset 4
		.amdhsa_reserve_vcc 0
		.amdhsa_float_round_mode_32 0
		.amdhsa_float_round_mode_16_64 0
		.amdhsa_float_denorm_mode_32 3
		.amdhsa_float_denorm_mode_16_64 3
		.amdhsa_dx10_clamp 1
		.amdhsa_ieee_mode 1
		.amdhsa_fp16_overflow 0
		.amdhsa_tg_split 0
		.amdhsa_exception_fp_ieee_invalid_op 0
		.amdhsa_exception_fp_denorm_src 0
		.amdhsa_exception_fp_ieee_div_zero 0
		.amdhsa_exception_fp_ieee_overflow 0
		.amdhsa_exception_fp_ieee_underflow 0
		.amdhsa_exception_fp_ieee_inexact 0
		.amdhsa_exception_int_div_zero 0
	.end_amdhsa_kernel
	.section	.text._ZN7rocprim17ROCPRIM_400000_NS6detail17trampoline_kernelINS0_14default_configENS1_25transform_config_selectorIlLb0EEEZNS1_14transform_implILb0ES3_S5_NS0_18transform_iteratorINS0_17counting_iteratorImlEEZNS1_24adjacent_difference_implIS3_Lb1ELb0EPlSB_ZN2at6native12_GLOBAL__N_124unique_dim_cuda_templateImEESt5tupleIJNSC_6TensorESH_SH_EERKSH_lbbbEUlllE1_EE10hipError_tPvRmT2_T3_mT4_P12ihipStream_tbEUlmE_lEESB_NS0_8identityIvEEEESM_SP_SQ_mSR_ST_bEUlT_E_NS1_11comp_targetILNS1_3genE10ELNS1_11target_archE1200ELNS1_3gpuE4ELNS1_3repE0EEENS1_30default_config_static_selectorELNS0_4arch9wavefront6targetE1EEEvT1_,"axG",@progbits,_ZN7rocprim17ROCPRIM_400000_NS6detail17trampoline_kernelINS0_14default_configENS1_25transform_config_selectorIlLb0EEEZNS1_14transform_implILb0ES3_S5_NS0_18transform_iteratorINS0_17counting_iteratorImlEEZNS1_24adjacent_difference_implIS3_Lb1ELb0EPlSB_ZN2at6native12_GLOBAL__N_124unique_dim_cuda_templateImEESt5tupleIJNSC_6TensorESH_SH_EERKSH_lbbbEUlllE1_EE10hipError_tPvRmT2_T3_mT4_P12ihipStream_tbEUlmE_lEESB_NS0_8identityIvEEEESM_SP_SQ_mSR_ST_bEUlT_E_NS1_11comp_targetILNS1_3genE10ELNS1_11target_archE1200ELNS1_3gpuE4ELNS1_3repE0EEENS1_30default_config_static_selectorELNS0_4arch9wavefront6targetE1EEEvT1_,comdat
.Lfunc_end1652:
	.size	_ZN7rocprim17ROCPRIM_400000_NS6detail17trampoline_kernelINS0_14default_configENS1_25transform_config_selectorIlLb0EEEZNS1_14transform_implILb0ES3_S5_NS0_18transform_iteratorINS0_17counting_iteratorImlEEZNS1_24adjacent_difference_implIS3_Lb1ELb0EPlSB_ZN2at6native12_GLOBAL__N_124unique_dim_cuda_templateImEESt5tupleIJNSC_6TensorESH_SH_EERKSH_lbbbEUlllE1_EE10hipError_tPvRmT2_T3_mT4_P12ihipStream_tbEUlmE_lEESB_NS0_8identityIvEEEESM_SP_SQ_mSR_ST_bEUlT_E_NS1_11comp_targetILNS1_3genE10ELNS1_11target_archE1200ELNS1_3gpuE4ELNS1_3repE0EEENS1_30default_config_static_selectorELNS0_4arch9wavefront6targetE1EEEvT1_, .Lfunc_end1652-_ZN7rocprim17ROCPRIM_400000_NS6detail17trampoline_kernelINS0_14default_configENS1_25transform_config_selectorIlLb0EEEZNS1_14transform_implILb0ES3_S5_NS0_18transform_iteratorINS0_17counting_iteratorImlEEZNS1_24adjacent_difference_implIS3_Lb1ELb0EPlSB_ZN2at6native12_GLOBAL__N_124unique_dim_cuda_templateImEESt5tupleIJNSC_6TensorESH_SH_EERKSH_lbbbEUlllE1_EE10hipError_tPvRmT2_T3_mT4_P12ihipStream_tbEUlmE_lEESB_NS0_8identityIvEEEESM_SP_SQ_mSR_ST_bEUlT_E_NS1_11comp_targetILNS1_3genE10ELNS1_11target_archE1200ELNS1_3gpuE4ELNS1_3repE0EEENS1_30default_config_static_selectorELNS0_4arch9wavefront6targetE1EEEvT1_
                                        ; -- End function
	.set _ZN7rocprim17ROCPRIM_400000_NS6detail17trampoline_kernelINS0_14default_configENS1_25transform_config_selectorIlLb0EEEZNS1_14transform_implILb0ES3_S5_NS0_18transform_iteratorINS0_17counting_iteratorImlEEZNS1_24adjacent_difference_implIS3_Lb1ELb0EPlSB_ZN2at6native12_GLOBAL__N_124unique_dim_cuda_templateImEESt5tupleIJNSC_6TensorESH_SH_EERKSH_lbbbEUlllE1_EE10hipError_tPvRmT2_T3_mT4_P12ihipStream_tbEUlmE_lEESB_NS0_8identityIvEEEESM_SP_SQ_mSR_ST_bEUlT_E_NS1_11comp_targetILNS1_3genE10ELNS1_11target_archE1200ELNS1_3gpuE4ELNS1_3repE0EEENS1_30default_config_static_selectorELNS0_4arch9wavefront6targetE1EEEvT1_.num_vgpr, 0
	.set _ZN7rocprim17ROCPRIM_400000_NS6detail17trampoline_kernelINS0_14default_configENS1_25transform_config_selectorIlLb0EEEZNS1_14transform_implILb0ES3_S5_NS0_18transform_iteratorINS0_17counting_iteratorImlEEZNS1_24adjacent_difference_implIS3_Lb1ELb0EPlSB_ZN2at6native12_GLOBAL__N_124unique_dim_cuda_templateImEESt5tupleIJNSC_6TensorESH_SH_EERKSH_lbbbEUlllE1_EE10hipError_tPvRmT2_T3_mT4_P12ihipStream_tbEUlmE_lEESB_NS0_8identityIvEEEESM_SP_SQ_mSR_ST_bEUlT_E_NS1_11comp_targetILNS1_3genE10ELNS1_11target_archE1200ELNS1_3gpuE4ELNS1_3repE0EEENS1_30default_config_static_selectorELNS0_4arch9wavefront6targetE1EEEvT1_.num_agpr, 0
	.set _ZN7rocprim17ROCPRIM_400000_NS6detail17trampoline_kernelINS0_14default_configENS1_25transform_config_selectorIlLb0EEEZNS1_14transform_implILb0ES3_S5_NS0_18transform_iteratorINS0_17counting_iteratorImlEEZNS1_24adjacent_difference_implIS3_Lb1ELb0EPlSB_ZN2at6native12_GLOBAL__N_124unique_dim_cuda_templateImEESt5tupleIJNSC_6TensorESH_SH_EERKSH_lbbbEUlllE1_EE10hipError_tPvRmT2_T3_mT4_P12ihipStream_tbEUlmE_lEESB_NS0_8identityIvEEEESM_SP_SQ_mSR_ST_bEUlT_E_NS1_11comp_targetILNS1_3genE10ELNS1_11target_archE1200ELNS1_3gpuE4ELNS1_3repE0EEENS1_30default_config_static_selectorELNS0_4arch9wavefront6targetE1EEEvT1_.numbered_sgpr, 0
	.set _ZN7rocprim17ROCPRIM_400000_NS6detail17trampoline_kernelINS0_14default_configENS1_25transform_config_selectorIlLb0EEEZNS1_14transform_implILb0ES3_S5_NS0_18transform_iteratorINS0_17counting_iteratorImlEEZNS1_24adjacent_difference_implIS3_Lb1ELb0EPlSB_ZN2at6native12_GLOBAL__N_124unique_dim_cuda_templateImEESt5tupleIJNSC_6TensorESH_SH_EERKSH_lbbbEUlllE1_EE10hipError_tPvRmT2_T3_mT4_P12ihipStream_tbEUlmE_lEESB_NS0_8identityIvEEEESM_SP_SQ_mSR_ST_bEUlT_E_NS1_11comp_targetILNS1_3genE10ELNS1_11target_archE1200ELNS1_3gpuE4ELNS1_3repE0EEENS1_30default_config_static_selectorELNS0_4arch9wavefront6targetE1EEEvT1_.num_named_barrier, 0
	.set _ZN7rocprim17ROCPRIM_400000_NS6detail17trampoline_kernelINS0_14default_configENS1_25transform_config_selectorIlLb0EEEZNS1_14transform_implILb0ES3_S5_NS0_18transform_iteratorINS0_17counting_iteratorImlEEZNS1_24adjacent_difference_implIS3_Lb1ELb0EPlSB_ZN2at6native12_GLOBAL__N_124unique_dim_cuda_templateImEESt5tupleIJNSC_6TensorESH_SH_EERKSH_lbbbEUlllE1_EE10hipError_tPvRmT2_T3_mT4_P12ihipStream_tbEUlmE_lEESB_NS0_8identityIvEEEESM_SP_SQ_mSR_ST_bEUlT_E_NS1_11comp_targetILNS1_3genE10ELNS1_11target_archE1200ELNS1_3gpuE4ELNS1_3repE0EEENS1_30default_config_static_selectorELNS0_4arch9wavefront6targetE1EEEvT1_.private_seg_size, 0
	.set _ZN7rocprim17ROCPRIM_400000_NS6detail17trampoline_kernelINS0_14default_configENS1_25transform_config_selectorIlLb0EEEZNS1_14transform_implILb0ES3_S5_NS0_18transform_iteratorINS0_17counting_iteratorImlEEZNS1_24adjacent_difference_implIS3_Lb1ELb0EPlSB_ZN2at6native12_GLOBAL__N_124unique_dim_cuda_templateImEESt5tupleIJNSC_6TensorESH_SH_EERKSH_lbbbEUlllE1_EE10hipError_tPvRmT2_T3_mT4_P12ihipStream_tbEUlmE_lEESB_NS0_8identityIvEEEESM_SP_SQ_mSR_ST_bEUlT_E_NS1_11comp_targetILNS1_3genE10ELNS1_11target_archE1200ELNS1_3gpuE4ELNS1_3repE0EEENS1_30default_config_static_selectorELNS0_4arch9wavefront6targetE1EEEvT1_.uses_vcc, 0
	.set _ZN7rocprim17ROCPRIM_400000_NS6detail17trampoline_kernelINS0_14default_configENS1_25transform_config_selectorIlLb0EEEZNS1_14transform_implILb0ES3_S5_NS0_18transform_iteratorINS0_17counting_iteratorImlEEZNS1_24adjacent_difference_implIS3_Lb1ELb0EPlSB_ZN2at6native12_GLOBAL__N_124unique_dim_cuda_templateImEESt5tupleIJNSC_6TensorESH_SH_EERKSH_lbbbEUlllE1_EE10hipError_tPvRmT2_T3_mT4_P12ihipStream_tbEUlmE_lEESB_NS0_8identityIvEEEESM_SP_SQ_mSR_ST_bEUlT_E_NS1_11comp_targetILNS1_3genE10ELNS1_11target_archE1200ELNS1_3gpuE4ELNS1_3repE0EEENS1_30default_config_static_selectorELNS0_4arch9wavefront6targetE1EEEvT1_.uses_flat_scratch, 0
	.set _ZN7rocprim17ROCPRIM_400000_NS6detail17trampoline_kernelINS0_14default_configENS1_25transform_config_selectorIlLb0EEEZNS1_14transform_implILb0ES3_S5_NS0_18transform_iteratorINS0_17counting_iteratorImlEEZNS1_24adjacent_difference_implIS3_Lb1ELb0EPlSB_ZN2at6native12_GLOBAL__N_124unique_dim_cuda_templateImEESt5tupleIJNSC_6TensorESH_SH_EERKSH_lbbbEUlllE1_EE10hipError_tPvRmT2_T3_mT4_P12ihipStream_tbEUlmE_lEESB_NS0_8identityIvEEEESM_SP_SQ_mSR_ST_bEUlT_E_NS1_11comp_targetILNS1_3genE10ELNS1_11target_archE1200ELNS1_3gpuE4ELNS1_3repE0EEENS1_30default_config_static_selectorELNS0_4arch9wavefront6targetE1EEEvT1_.has_dyn_sized_stack, 0
	.set _ZN7rocprim17ROCPRIM_400000_NS6detail17trampoline_kernelINS0_14default_configENS1_25transform_config_selectorIlLb0EEEZNS1_14transform_implILb0ES3_S5_NS0_18transform_iteratorINS0_17counting_iteratorImlEEZNS1_24adjacent_difference_implIS3_Lb1ELb0EPlSB_ZN2at6native12_GLOBAL__N_124unique_dim_cuda_templateImEESt5tupleIJNSC_6TensorESH_SH_EERKSH_lbbbEUlllE1_EE10hipError_tPvRmT2_T3_mT4_P12ihipStream_tbEUlmE_lEESB_NS0_8identityIvEEEESM_SP_SQ_mSR_ST_bEUlT_E_NS1_11comp_targetILNS1_3genE10ELNS1_11target_archE1200ELNS1_3gpuE4ELNS1_3repE0EEENS1_30default_config_static_selectorELNS0_4arch9wavefront6targetE1EEEvT1_.has_recursion, 0
	.set _ZN7rocprim17ROCPRIM_400000_NS6detail17trampoline_kernelINS0_14default_configENS1_25transform_config_selectorIlLb0EEEZNS1_14transform_implILb0ES3_S5_NS0_18transform_iteratorINS0_17counting_iteratorImlEEZNS1_24adjacent_difference_implIS3_Lb1ELb0EPlSB_ZN2at6native12_GLOBAL__N_124unique_dim_cuda_templateImEESt5tupleIJNSC_6TensorESH_SH_EERKSH_lbbbEUlllE1_EE10hipError_tPvRmT2_T3_mT4_P12ihipStream_tbEUlmE_lEESB_NS0_8identityIvEEEESM_SP_SQ_mSR_ST_bEUlT_E_NS1_11comp_targetILNS1_3genE10ELNS1_11target_archE1200ELNS1_3gpuE4ELNS1_3repE0EEENS1_30default_config_static_selectorELNS0_4arch9wavefront6targetE1EEEvT1_.has_indirect_call, 0
	.section	.AMDGPU.csdata,"",@progbits
; Kernel info:
; codeLenInByte = 0
; TotalNumSgprs: 6
; NumVgprs: 0
; NumAgprs: 0
; TotalNumVgprs: 0
; ScratchSize: 0
; MemoryBound: 0
; FloatMode: 240
; IeeeMode: 1
; LDSByteSize: 0 bytes/workgroup (compile time only)
; SGPRBlocks: 0
; VGPRBlocks: 0
; NumSGPRsForWavesPerEU: 6
; NumVGPRsForWavesPerEU: 1
; AccumOffset: 4
; Occupancy: 8
; WaveLimiterHint : 0
; COMPUTE_PGM_RSRC2:SCRATCH_EN: 0
; COMPUTE_PGM_RSRC2:USER_SGPR: 2
; COMPUTE_PGM_RSRC2:TRAP_HANDLER: 0
; COMPUTE_PGM_RSRC2:TGID_X_EN: 1
; COMPUTE_PGM_RSRC2:TGID_Y_EN: 0
; COMPUTE_PGM_RSRC2:TGID_Z_EN: 0
; COMPUTE_PGM_RSRC2:TIDIG_COMP_CNT: 0
; COMPUTE_PGM_RSRC3_GFX90A:ACCUM_OFFSET: 0
; COMPUTE_PGM_RSRC3_GFX90A:TG_SPLIT: 0
	.section	.text._ZN7rocprim17ROCPRIM_400000_NS6detail17trampoline_kernelINS0_14default_configENS1_25transform_config_selectorIlLb0EEEZNS1_14transform_implILb0ES3_S5_NS0_18transform_iteratorINS0_17counting_iteratorImlEEZNS1_24adjacent_difference_implIS3_Lb1ELb0EPlSB_ZN2at6native12_GLOBAL__N_124unique_dim_cuda_templateImEESt5tupleIJNSC_6TensorESH_SH_EERKSH_lbbbEUlllE1_EE10hipError_tPvRmT2_T3_mT4_P12ihipStream_tbEUlmE_lEESB_NS0_8identityIvEEEESM_SP_SQ_mSR_ST_bEUlT_E_NS1_11comp_targetILNS1_3genE9ELNS1_11target_archE1100ELNS1_3gpuE3ELNS1_3repE0EEENS1_30default_config_static_selectorELNS0_4arch9wavefront6targetE1EEEvT1_,"axG",@progbits,_ZN7rocprim17ROCPRIM_400000_NS6detail17trampoline_kernelINS0_14default_configENS1_25transform_config_selectorIlLb0EEEZNS1_14transform_implILb0ES3_S5_NS0_18transform_iteratorINS0_17counting_iteratorImlEEZNS1_24adjacent_difference_implIS3_Lb1ELb0EPlSB_ZN2at6native12_GLOBAL__N_124unique_dim_cuda_templateImEESt5tupleIJNSC_6TensorESH_SH_EERKSH_lbbbEUlllE1_EE10hipError_tPvRmT2_T3_mT4_P12ihipStream_tbEUlmE_lEESB_NS0_8identityIvEEEESM_SP_SQ_mSR_ST_bEUlT_E_NS1_11comp_targetILNS1_3genE9ELNS1_11target_archE1100ELNS1_3gpuE3ELNS1_3repE0EEENS1_30default_config_static_selectorELNS0_4arch9wavefront6targetE1EEEvT1_,comdat
	.globl	_ZN7rocprim17ROCPRIM_400000_NS6detail17trampoline_kernelINS0_14default_configENS1_25transform_config_selectorIlLb0EEEZNS1_14transform_implILb0ES3_S5_NS0_18transform_iteratorINS0_17counting_iteratorImlEEZNS1_24adjacent_difference_implIS3_Lb1ELb0EPlSB_ZN2at6native12_GLOBAL__N_124unique_dim_cuda_templateImEESt5tupleIJNSC_6TensorESH_SH_EERKSH_lbbbEUlllE1_EE10hipError_tPvRmT2_T3_mT4_P12ihipStream_tbEUlmE_lEESB_NS0_8identityIvEEEESM_SP_SQ_mSR_ST_bEUlT_E_NS1_11comp_targetILNS1_3genE9ELNS1_11target_archE1100ELNS1_3gpuE3ELNS1_3repE0EEENS1_30default_config_static_selectorELNS0_4arch9wavefront6targetE1EEEvT1_ ; -- Begin function _ZN7rocprim17ROCPRIM_400000_NS6detail17trampoline_kernelINS0_14default_configENS1_25transform_config_selectorIlLb0EEEZNS1_14transform_implILb0ES3_S5_NS0_18transform_iteratorINS0_17counting_iteratorImlEEZNS1_24adjacent_difference_implIS3_Lb1ELb0EPlSB_ZN2at6native12_GLOBAL__N_124unique_dim_cuda_templateImEESt5tupleIJNSC_6TensorESH_SH_EERKSH_lbbbEUlllE1_EE10hipError_tPvRmT2_T3_mT4_P12ihipStream_tbEUlmE_lEESB_NS0_8identityIvEEEESM_SP_SQ_mSR_ST_bEUlT_E_NS1_11comp_targetILNS1_3genE9ELNS1_11target_archE1100ELNS1_3gpuE3ELNS1_3repE0EEENS1_30default_config_static_selectorELNS0_4arch9wavefront6targetE1EEEvT1_
	.p2align	8
	.type	_ZN7rocprim17ROCPRIM_400000_NS6detail17trampoline_kernelINS0_14default_configENS1_25transform_config_selectorIlLb0EEEZNS1_14transform_implILb0ES3_S5_NS0_18transform_iteratorINS0_17counting_iteratorImlEEZNS1_24adjacent_difference_implIS3_Lb1ELb0EPlSB_ZN2at6native12_GLOBAL__N_124unique_dim_cuda_templateImEESt5tupleIJNSC_6TensorESH_SH_EERKSH_lbbbEUlllE1_EE10hipError_tPvRmT2_T3_mT4_P12ihipStream_tbEUlmE_lEESB_NS0_8identityIvEEEESM_SP_SQ_mSR_ST_bEUlT_E_NS1_11comp_targetILNS1_3genE9ELNS1_11target_archE1100ELNS1_3gpuE3ELNS1_3repE0EEENS1_30default_config_static_selectorELNS0_4arch9wavefront6targetE1EEEvT1_,@function
_ZN7rocprim17ROCPRIM_400000_NS6detail17trampoline_kernelINS0_14default_configENS1_25transform_config_selectorIlLb0EEEZNS1_14transform_implILb0ES3_S5_NS0_18transform_iteratorINS0_17counting_iteratorImlEEZNS1_24adjacent_difference_implIS3_Lb1ELb0EPlSB_ZN2at6native12_GLOBAL__N_124unique_dim_cuda_templateImEESt5tupleIJNSC_6TensorESH_SH_EERKSH_lbbbEUlllE1_EE10hipError_tPvRmT2_T3_mT4_P12ihipStream_tbEUlmE_lEESB_NS0_8identityIvEEEESM_SP_SQ_mSR_ST_bEUlT_E_NS1_11comp_targetILNS1_3genE9ELNS1_11target_archE1100ELNS1_3gpuE3ELNS1_3repE0EEENS1_30default_config_static_selectorELNS0_4arch9wavefront6targetE1EEEvT1_: ; @_ZN7rocprim17ROCPRIM_400000_NS6detail17trampoline_kernelINS0_14default_configENS1_25transform_config_selectorIlLb0EEEZNS1_14transform_implILb0ES3_S5_NS0_18transform_iteratorINS0_17counting_iteratorImlEEZNS1_24adjacent_difference_implIS3_Lb1ELb0EPlSB_ZN2at6native12_GLOBAL__N_124unique_dim_cuda_templateImEESt5tupleIJNSC_6TensorESH_SH_EERKSH_lbbbEUlllE1_EE10hipError_tPvRmT2_T3_mT4_P12ihipStream_tbEUlmE_lEESB_NS0_8identityIvEEEESM_SP_SQ_mSR_ST_bEUlT_E_NS1_11comp_targetILNS1_3genE9ELNS1_11target_archE1100ELNS1_3gpuE3ELNS1_3repE0EEENS1_30default_config_static_selectorELNS0_4arch9wavefront6targetE1EEEvT1_
; %bb.0:
	.section	.rodata,"a",@progbits
	.p2align	6, 0x0
	.amdhsa_kernel _ZN7rocprim17ROCPRIM_400000_NS6detail17trampoline_kernelINS0_14default_configENS1_25transform_config_selectorIlLb0EEEZNS1_14transform_implILb0ES3_S5_NS0_18transform_iteratorINS0_17counting_iteratorImlEEZNS1_24adjacent_difference_implIS3_Lb1ELb0EPlSB_ZN2at6native12_GLOBAL__N_124unique_dim_cuda_templateImEESt5tupleIJNSC_6TensorESH_SH_EERKSH_lbbbEUlllE1_EE10hipError_tPvRmT2_T3_mT4_P12ihipStream_tbEUlmE_lEESB_NS0_8identityIvEEEESM_SP_SQ_mSR_ST_bEUlT_E_NS1_11comp_targetILNS1_3genE9ELNS1_11target_archE1100ELNS1_3gpuE3ELNS1_3repE0EEENS1_30default_config_static_selectorELNS0_4arch9wavefront6targetE1EEEvT1_
		.amdhsa_group_segment_fixed_size 0
		.amdhsa_private_segment_fixed_size 0
		.amdhsa_kernarg_size 56
		.amdhsa_user_sgpr_count 2
		.amdhsa_user_sgpr_dispatch_ptr 0
		.amdhsa_user_sgpr_queue_ptr 0
		.amdhsa_user_sgpr_kernarg_segment_ptr 1
		.amdhsa_user_sgpr_dispatch_id 0
		.amdhsa_user_sgpr_kernarg_preload_length 0
		.amdhsa_user_sgpr_kernarg_preload_offset 0
		.amdhsa_user_sgpr_private_segment_size 0
		.amdhsa_uses_dynamic_stack 0
		.amdhsa_enable_private_segment 0
		.amdhsa_system_sgpr_workgroup_id_x 1
		.amdhsa_system_sgpr_workgroup_id_y 0
		.amdhsa_system_sgpr_workgroup_id_z 0
		.amdhsa_system_sgpr_workgroup_info 0
		.amdhsa_system_vgpr_workitem_id 0
		.amdhsa_next_free_vgpr 1
		.amdhsa_next_free_sgpr 0
		.amdhsa_accum_offset 4
		.amdhsa_reserve_vcc 0
		.amdhsa_float_round_mode_32 0
		.amdhsa_float_round_mode_16_64 0
		.amdhsa_float_denorm_mode_32 3
		.amdhsa_float_denorm_mode_16_64 3
		.amdhsa_dx10_clamp 1
		.amdhsa_ieee_mode 1
		.amdhsa_fp16_overflow 0
		.amdhsa_tg_split 0
		.amdhsa_exception_fp_ieee_invalid_op 0
		.amdhsa_exception_fp_denorm_src 0
		.amdhsa_exception_fp_ieee_div_zero 0
		.amdhsa_exception_fp_ieee_overflow 0
		.amdhsa_exception_fp_ieee_underflow 0
		.amdhsa_exception_fp_ieee_inexact 0
		.amdhsa_exception_int_div_zero 0
	.end_amdhsa_kernel
	.section	.text._ZN7rocprim17ROCPRIM_400000_NS6detail17trampoline_kernelINS0_14default_configENS1_25transform_config_selectorIlLb0EEEZNS1_14transform_implILb0ES3_S5_NS0_18transform_iteratorINS0_17counting_iteratorImlEEZNS1_24adjacent_difference_implIS3_Lb1ELb0EPlSB_ZN2at6native12_GLOBAL__N_124unique_dim_cuda_templateImEESt5tupleIJNSC_6TensorESH_SH_EERKSH_lbbbEUlllE1_EE10hipError_tPvRmT2_T3_mT4_P12ihipStream_tbEUlmE_lEESB_NS0_8identityIvEEEESM_SP_SQ_mSR_ST_bEUlT_E_NS1_11comp_targetILNS1_3genE9ELNS1_11target_archE1100ELNS1_3gpuE3ELNS1_3repE0EEENS1_30default_config_static_selectorELNS0_4arch9wavefront6targetE1EEEvT1_,"axG",@progbits,_ZN7rocprim17ROCPRIM_400000_NS6detail17trampoline_kernelINS0_14default_configENS1_25transform_config_selectorIlLb0EEEZNS1_14transform_implILb0ES3_S5_NS0_18transform_iteratorINS0_17counting_iteratorImlEEZNS1_24adjacent_difference_implIS3_Lb1ELb0EPlSB_ZN2at6native12_GLOBAL__N_124unique_dim_cuda_templateImEESt5tupleIJNSC_6TensorESH_SH_EERKSH_lbbbEUlllE1_EE10hipError_tPvRmT2_T3_mT4_P12ihipStream_tbEUlmE_lEESB_NS0_8identityIvEEEESM_SP_SQ_mSR_ST_bEUlT_E_NS1_11comp_targetILNS1_3genE9ELNS1_11target_archE1100ELNS1_3gpuE3ELNS1_3repE0EEENS1_30default_config_static_selectorELNS0_4arch9wavefront6targetE1EEEvT1_,comdat
.Lfunc_end1653:
	.size	_ZN7rocprim17ROCPRIM_400000_NS6detail17trampoline_kernelINS0_14default_configENS1_25transform_config_selectorIlLb0EEEZNS1_14transform_implILb0ES3_S5_NS0_18transform_iteratorINS0_17counting_iteratorImlEEZNS1_24adjacent_difference_implIS3_Lb1ELb0EPlSB_ZN2at6native12_GLOBAL__N_124unique_dim_cuda_templateImEESt5tupleIJNSC_6TensorESH_SH_EERKSH_lbbbEUlllE1_EE10hipError_tPvRmT2_T3_mT4_P12ihipStream_tbEUlmE_lEESB_NS0_8identityIvEEEESM_SP_SQ_mSR_ST_bEUlT_E_NS1_11comp_targetILNS1_3genE9ELNS1_11target_archE1100ELNS1_3gpuE3ELNS1_3repE0EEENS1_30default_config_static_selectorELNS0_4arch9wavefront6targetE1EEEvT1_, .Lfunc_end1653-_ZN7rocprim17ROCPRIM_400000_NS6detail17trampoline_kernelINS0_14default_configENS1_25transform_config_selectorIlLb0EEEZNS1_14transform_implILb0ES3_S5_NS0_18transform_iteratorINS0_17counting_iteratorImlEEZNS1_24adjacent_difference_implIS3_Lb1ELb0EPlSB_ZN2at6native12_GLOBAL__N_124unique_dim_cuda_templateImEESt5tupleIJNSC_6TensorESH_SH_EERKSH_lbbbEUlllE1_EE10hipError_tPvRmT2_T3_mT4_P12ihipStream_tbEUlmE_lEESB_NS0_8identityIvEEEESM_SP_SQ_mSR_ST_bEUlT_E_NS1_11comp_targetILNS1_3genE9ELNS1_11target_archE1100ELNS1_3gpuE3ELNS1_3repE0EEENS1_30default_config_static_selectorELNS0_4arch9wavefront6targetE1EEEvT1_
                                        ; -- End function
	.set _ZN7rocprim17ROCPRIM_400000_NS6detail17trampoline_kernelINS0_14default_configENS1_25transform_config_selectorIlLb0EEEZNS1_14transform_implILb0ES3_S5_NS0_18transform_iteratorINS0_17counting_iteratorImlEEZNS1_24adjacent_difference_implIS3_Lb1ELb0EPlSB_ZN2at6native12_GLOBAL__N_124unique_dim_cuda_templateImEESt5tupleIJNSC_6TensorESH_SH_EERKSH_lbbbEUlllE1_EE10hipError_tPvRmT2_T3_mT4_P12ihipStream_tbEUlmE_lEESB_NS0_8identityIvEEEESM_SP_SQ_mSR_ST_bEUlT_E_NS1_11comp_targetILNS1_3genE9ELNS1_11target_archE1100ELNS1_3gpuE3ELNS1_3repE0EEENS1_30default_config_static_selectorELNS0_4arch9wavefront6targetE1EEEvT1_.num_vgpr, 0
	.set _ZN7rocprim17ROCPRIM_400000_NS6detail17trampoline_kernelINS0_14default_configENS1_25transform_config_selectorIlLb0EEEZNS1_14transform_implILb0ES3_S5_NS0_18transform_iteratorINS0_17counting_iteratorImlEEZNS1_24adjacent_difference_implIS3_Lb1ELb0EPlSB_ZN2at6native12_GLOBAL__N_124unique_dim_cuda_templateImEESt5tupleIJNSC_6TensorESH_SH_EERKSH_lbbbEUlllE1_EE10hipError_tPvRmT2_T3_mT4_P12ihipStream_tbEUlmE_lEESB_NS0_8identityIvEEEESM_SP_SQ_mSR_ST_bEUlT_E_NS1_11comp_targetILNS1_3genE9ELNS1_11target_archE1100ELNS1_3gpuE3ELNS1_3repE0EEENS1_30default_config_static_selectorELNS0_4arch9wavefront6targetE1EEEvT1_.num_agpr, 0
	.set _ZN7rocprim17ROCPRIM_400000_NS6detail17trampoline_kernelINS0_14default_configENS1_25transform_config_selectorIlLb0EEEZNS1_14transform_implILb0ES3_S5_NS0_18transform_iteratorINS0_17counting_iteratorImlEEZNS1_24adjacent_difference_implIS3_Lb1ELb0EPlSB_ZN2at6native12_GLOBAL__N_124unique_dim_cuda_templateImEESt5tupleIJNSC_6TensorESH_SH_EERKSH_lbbbEUlllE1_EE10hipError_tPvRmT2_T3_mT4_P12ihipStream_tbEUlmE_lEESB_NS0_8identityIvEEEESM_SP_SQ_mSR_ST_bEUlT_E_NS1_11comp_targetILNS1_3genE9ELNS1_11target_archE1100ELNS1_3gpuE3ELNS1_3repE0EEENS1_30default_config_static_selectorELNS0_4arch9wavefront6targetE1EEEvT1_.numbered_sgpr, 0
	.set _ZN7rocprim17ROCPRIM_400000_NS6detail17trampoline_kernelINS0_14default_configENS1_25transform_config_selectorIlLb0EEEZNS1_14transform_implILb0ES3_S5_NS0_18transform_iteratorINS0_17counting_iteratorImlEEZNS1_24adjacent_difference_implIS3_Lb1ELb0EPlSB_ZN2at6native12_GLOBAL__N_124unique_dim_cuda_templateImEESt5tupleIJNSC_6TensorESH_SH_EERKSH_lbbbEUlllE1_EE10hipError_tPvRmT2_T3_mT4_P12ihipStream_tbEUlmE_lEESB_NS0_8identityIvEEEESM_SP_SQ_mSR_ST_bEUlT_E_NS1_11comp_targetILNS1_3genE9ELNS1_11target_archE1100ELNS1_3gpuE3ELNS1_3repE0EEENS1_30default_config_static_selectorELNS0_4arch9wavefront6targetE1EEEvT1_.num_named_barrier, 0
	.set _ZN7rocprim17ROCPRIM_400000_NS6detail17trampoline_kernelINS0_14default_configENS1_25transform_config_selectorIlLb0EEEZNS1_14transform_implILb0ES3_S5_NS0_18transform_iteratorINS0_17counting_iteratorImlEEZNS1_24adjacent_difference_implIS3_Lb1ELb0EPlSB_ZN2at6native12_GLOBAL__N_124unique_dim_cuda_templateImEESt5tupleIJNSC_6TensorESH_SH_EERKSH_lbbbEUlllE1_EE10hipError_tPvRmT2_T3_mT4_P12ihipStream_tbEUlmE_lEESB_NS0_8identityIvEEEESM_SP_SQ_mSR_ST_bEUlT_E_NS1_11comp_targetILNS1_3genE9ELNS1_11target_archE1100ELNS1_3gpuE3ELNS1_3repE0EEENS1_30default_config_static_selectorELNS0_4arch9wavefront6targetE1EEEvT1_.private_seg_size, 0
	.set _ZN7rocprim17ROCPRIM_400000_NS6detail17trampoline_kernelINS0_14default_configENS1_25transform_config_selectorIlLb0EEEZNS1_14transform_implILb0ES3_S5_NS0_18transform_iteratorINS0_17counting_iteratorImlEEZNS1_24adjacent_difference_implIS3_Lb1ELb0EPlSB_ZN2at6native12_GLOBAL__N_124unique_dim_cuda_templateImEESt5tupleIJNSC_6TensorESH_SH_EERKSH_lbbbEUlllE1_EE10hipError_tPvRmT2_T3_mT4_P12ihipStream_tbEUlmE_lEESB_NS0_8identityIvEEEESM_SP_SQ_mSR_ST_bEUlT_E_NS1_11comp_targetILNS1_3genE9ELNS1_11target_archE1100ELNS1_3gpuE3ELNS1_3repE0EEENS1_30default_config_static_selectorELNS0_4arch9wavefront6targetE1EEEvT1_.uses_vcc, 0
	.set _ZN7rocprim17ROCPRIM_400000_NS6detail17trampoline_kernelINS0_14default_configENS1_25transform_config_selectorIlLb0EEEZNS1_14transform_implILb0ES3_S5_NS0_18transform_iteratorINS0_17counting_iteratorImlEEZNS1_24adjacent_difference_implIS3_Lb1ELb0EPlSB_ZN2at6native12_GLOBAL__N_124unique_dim_cuda_templateImEESt5tupleIJNSC_6TensorESH_SH_EERKSH_lbbbEUlllE1_EE10hipError_tPvRmT2_T3_mT4_P12ihipStream_tbEUlmE_lEESB_NS0_8identityIvEEEESM_SP_SQ_mSR_ST_bEUlT_E_NS1_11comp_targetILNS1_3genE9ELNS1_11target_archE1100ELNS1_3gpuE3ELNS1_3repE0EEENS1_30default_config_static_selectorELNS0_4arch9wavefront6targetE1EEEvT1_.uses_flat_scratch, 0
	.set _ZN7rocprim17ROCPRIM_400000_NS6detail17trampoline_kernelINS0_14default_configENS1_25transform_config_selectorIlLb0EEEZNS1_14transform_implILb0ES3_S5_NS0_18transform_iteratorINS0_17counting_iteratorImlEEZNS1_24adjacent_difference_implIS3_Lb1ELb0EPlSB_ZN2at6native12_GLOBAL__N_124unique_dim_cuda_templateImEESt5tupleIJNSC_6TensorESH_SH_EERKSH_lbbbEUlllE1_EE10hipError_tPvRmT2_T3_mT4_P12ihipStream_tbEUlmE_lEESB_NS0_8identityIvEEEESM_SP_SQ_mSR_ST_bEUlT_E_NS1_11comp_targetILNS1_3genE9ELNS1_11target_archE1100ELNS1_3gpuE3ELNS1_3repE0EEENS1_30default_config_static_selectorELNS0_4arch9wavefront6targetE1EEEvT1_.has_dyn_sized_stack, 0
	.set _ZN7rocprim17ROCPRIM_400000_NS6detail17trampoline_kernelINS0_14default_configENS1_25transform_config_selectorIlLb0EEEZNS1_14transform_implILb0ES3_S5_NS0_18transform_iteratorINS0_17counting_iteratorImlEEZNS1_24adjacent_difference_implIS3_Lb1ELb0EPlSB_ZN2at6native12_GLOBAL__N_124unique_dim_cuda_templateImEESt5tupleIJNSC_6TensorESH_SH_EERKSH_lbbbEUlllE1_EE10hipError_tPvRmT2_T3_mT4_P12ihipStream_tbEUlmE_lEESB_NS0_8identityIvEEEESM_SP_SQ_mSR_ST_bEUlT_E_NS1_11comp_targetILNS1_3genE9ELNS1_11target_archE1100ELNS1_3gpuE3ELNS1_3repE0EEENS1_30default_config_static_selectorELNS0_4arch9wavefront6targetE1EEEvT1_.has_recursion, 0
	.set _ZN7rocprim17ROCPRIM_400000_NS6detail17trampoline_kernelINS0_14default_configENS1_25transform_config_selectorIlLb0EEEZNS1_14transform_implILb0ES3_S5_NS0_18transform_iteratorINS0_17counting_iteratorImlEEZNS1_24adjacent_difference_implIS3_Lb1ELb0EPlSB_ZN2at6native12_GLOBAL__N_124unique_dim_cuda_templateImEESt5tupleIJNSC_6TensorESH_SH_EERKSH_lbbbEUlllE1_EE10hipError_tPvRmT2_T3_mT4_P12ihipStream_tbEUlmE_lEESB_NS0_8identityIvEEEESM_SP_SQ_mSR_ST_bEUlT_E_NS1_11comp_targetILNS1_3genE9ELNS1_11target_archE1100ELNS1_3gpuE3ELNS1_3repE0EEENS1_30default_config_static_selectorELNS0_4arch9wavefront6targetE1EEEvT1_.has_indirect_call, 0
	.section	.AMDGPU.csdata,"",@progbits
; Kernel info:
; codeLenInByte = 0
; TotalNumSgprs: 6
; NumVgprs: 0
; NumAgprs: 0
; TotalNumVgprs: 0
; ScratchSize: 0
; MemoryBound: 0
; FloatMode: 240
; IeeeMode: 1
; LDSByteSize: 0 bytes/workgroup (compile time only)
; SGPRBlocks: 0
; VGPRBlocks: 0
; NumSGPRsForWavesPerEU: 6
; NumVGPRsForWavesPerEU: 1
; AccumOffset: 4
; Occupancy: 8
; WaveLimiterHint : 0
; COMPUTE_PGM_RSRC2:SCRATCH_EN: 0
; COMPUTE_PGM_RSRC2:USER_SGPR: 2
; COMPUTE_PGM_RSRC2:TRAP_HANDLER: 0
; COMPUTE_PGM_RSRC2:TGID_X_EN: 1
; COMPUTE_PGM_RSRC2:TGID_Y_EN: 0
; COMPUTE_PGM_RSRC2:TGID_Z_EN: 0
; COMPUTE_PGM_RSRC2:TIDIG_COMP_CNT: 0
; COMPUTE_PGM_RSRC3_GFX90A:ACCUM_OFFSET: 0
; COMPUTE_PGM_RSRC3_GFX90A:TG_SPLIT: 0
	.section	.text._ZN7rocprim17ROCPRIM_400000_NS6detail17trampoline_kernelINS0_14default_configENS1_25transform_config_selectorIlLb0EEEZNS1_14transform_implILb0ES3_S5_NS0_18transform_iteratorINS0_17counting_iteratorImlEEZNS1_24adjacent_difference_implIS3_Lb1ELb0EPlSB_ZN2at6native12_GLOBAL__N_124unique_dim_cuda_templateImEESt5tupleIJNSC_6TensorESH_SH_EERKSH_lbbbEUlllE1_EE10hipError_tPvRmT2_T3_mT4_P12ihipStream_tbEUlmE_lEESB_NS0_8identityIvEEEESM_SP_SQ_mSR_ST_bEUlT_E_NS1_11comp_targetILNS1_3genE8ELNS1_11target_archE1030ELNS1_3gpuE2ELNS1_3repE0EEENS1_30default_config_static_selectorELNS0_4arch9wavefront6targetE1EEEvT1_,"axG",@progbits,_ZN7rocprim17ROCPRIM_400000_NS6detail17trampoline_kernelINS0_14default_configENS1_25transform_config_selectorIlLb0EEEZNS1_14transform_implILb0ES3_S5_NS0_18transform_iteratorINS0_17counting_iteratorImlEEZNS1_24adjacent_difference_implIS3_Lb1ELb0EPlSB_ZN2at6native12_GLOBAL__N_124unique_dim_cuda_templateImEESt5tupleIJNSC_6TensorESH_SH_EERKSH_lbbbEUlllE1_EE10hipError_tPvRmT2_T3_mT4_P12ihipStream_tbEUlmE_lEESB_NS0_8identityIvEEEESM_SP_SQ_mSR_ST_bEUlT_E_NS1_11comp_targetILNS1_3genE8ELNS1_11target_archE1030ELNS1_3gpuE2ELNS1_3repE0EEENS1_30default_config_static_selectorELNS0_4arch9wavefront6targetE1EEEvT1_,comdat
	.globl	_ZN7rocprim17ROCPRIM_400000_NS6detail17trampoline_kernelINS0_14default_configENS1_25transform_config_selectorIlLb0EEEZNS1_14transform_implILb0ES3_S5_NS0_18transform_iteratorINS0_17counting_iteratorImlEEZNS1_24adjacent_difference_implIS3_Lb1ELb0EPlSB_ZN2at6native12_GLOBAL__N_124unique_dim_cuda_templateImEESt5tupleIJNSC_6TensorESH_SH_EERKSH_lbbbEUlllE1_EE10hipError_tPvRmT2_T3_mT4_P12ihipStream_tbEUlmE_lEESB_NS0_8identityIvEEEESM_SP_SQ_mSR_ST_bEUlT_E_NS1_11comp_targetILNS1_3genE8ELNS1_11target_archE1030ELNS1_3gpuE2ELNS1_3repE0EEENS1_30default_config_static_selectorELNS0_4arch9wavefront6targetE1EEEvT1_ ; -- Begin function _ZN7rocprim17ROCPRIM_400000_NS6detail17trampoline_kernelINS0_14default_configENS1_25transform_config_selectorIlLb0EEEZNS1_14transform_implILb0ES3_S5_NS0_18transform_iteratorINS0_17counting_iteratorImlEEZNS1_24adjacent_difference_implIS3_Lb1ELb0EPlSB_ZN2at6native12_GLOBAL__N_124unique_dim_cuda_templateImEESt5tupleIJNSC_6TensorESH_SH_EERKSH_lbbbEUlllE1_EE10hipError_tPvRmT2_T3_mT4_P12ihipStream_tbEUlmE_lEESB_NS0_8identityIvEEEESM_SP_SQ_mSR_ST_bEUlT_E_NS1_11comp_targetILNS1_3genE8ELNS1_11target_archE1030ELNS1_3gpuE2ELNS1_3repE0EEENS1_30default_config_static_selectorELNS0_4arch9wavefront6targetE1EEEvT1_
	.p2align	8
	.type	_ZN7rocprim17ROCPRIM_400000_NS6detail17trampoline_kernelINS0_14default_configENS1_25transform_config_selectorIlLb0EEEZNS1_14transform_implILb0ES3_S5_NS0_18transform_iteratorINS0_17counting_iteratorImlEEZNS1_24adjacent_difference_implIS3_Lb1ELb0EPlSB_ZN2at6native12_GLOBAL__N_124unique_dim_cuda_templateImEESt5tupleIJNSC_6TensorESH_SH_EERKSH_lbbbEUlllE1_EE10hipError_tPvRmT2_T3_mT4_P12ihipStream_tbEUlmE_lEESB_NS0_8identityIvEEEESM_SP_SQ_mSR_ST_bEUlT_E_NS1_11comp_targetILNS1_3genE8ELNS1_11target_archE1030ELNS1_3gpuE2ELNS1_3repE0EEENS1_30default_config_static_selectorELNS0_4arch9wavefront6targetE1EEEvT1_,@function
_ZN7rocprim17ROCPRIM_400000_NS6detail17trampoline_kernelINS0_14default_configENS1_25transform_config_selectorIlLb0EEEZNS1_14transform_implILb0ES3_S5_NS0_18transform_iteratorINS0_17counting_iteratorImlEEZNS1_24adjacent_difference_implIS3_Lb1ELb0EPlSB_ZN2at6native12_GLOBAL__N_124unique_dim_cuda_templateImEESt5tupleIJNSC_6TensorESH_SH_EERKSH_lbbbEUlllE1_EE10hipError_tPvRmT2_T3_mT4_P12ihipStream_tbEUlmE_lEESB_NS0_8identityIvEEEESM_SP_SQ_mSR_ST_bEUlT_E_NS1_11comp_targetILNS1_3genE8ELNS1_11target_archE1030ELNS1_3gpuE2ELNS1_3repE0EEENS1_30default_config_static_selectorELNS0_4arch9wavefront6targetE1EEEvT1_: ; @_ZN7rocprim17ROCPRIM_400000_NS6detail17trampoline_kernelINS0_14default_configENS1_25transform_config_selectorIlLb0EEEZNS1_14transform_implILb0ES3_S5_NS0_18transform_iteratorINS0_17counting_iteratorImlEEZNS1_24adjacent_difference_implIS3_Lb1ELb0EPlSB_ZN2at6native12_GLOBAL__N_124unique_dim_cuda_templateImEESt5tupleIJNSC_6TensorESH_SH_EERKSH_lbbbEUlllE1_EE10hipError_tPvRmT2_T3_mT4_P12ihipStream_tbEUlmE_lEESB_NS0_8identityIvEEEESM_SP_SQ_mSR_ST_bEUlT_E_NS1_11comp_targetILNS1_3genE8ELNS1_11target_archE1030ELNS1_3gpuE2ELNS1_3repE0EEENS1_30default_config_static_selectorELNS0_4arch9wavefront6targetE1EEEvT1_
; %bb.0:
	.section	.rodata,"a",@progbits
	.p2align	6, 0x0
	.amdhsa_kernel _ZN7rocprim17ROCPRIM_400000_NS6detail17trampoline_kernelINS0_14default_configENS1_25transform_config_selectorIlLb0EEEZNS1_14transform_implILb0ES3_S5_NS0_18transform_iteratorINS0_17counting_iteratorImlEEZNS1_24adjacent_difference_implIS3_Lb1ELb0EPlSB_ZN2at6native12_GLOBAL__N_124unique_dim_cuda_templateImEESt5tupleIJNSC_6TensorESH_SH_EERKSH_lbbbEUlllE1_EE10hipError_tPvRmT2_T3_mT4_P12ihipStream_tbEUlmE_lEESB_NS0_8identityIvEEEESM_SP_SQ_mSR_ST_bEUlT_E_NS1_11comp_targetILNS1_3genE8ELNS1_11target_archE1030ELNS1_3gpuE2ELNS1_3repE0EEENS1_30default_config_static_selectorELNS0_4arch9wavefront6targetE1EEEvT1_
		.amdhsa_group_segment_fixed_size 0
		.amdhsa_private_segment_fixed_size 0
		.amdhsa_kernarg_size 56
		.amdhsa_user_sgpr_count 2
		.amdhsa_user_sgpr_dispatch_ptr 0
		.amdhsa_user_sgpr_queue_ptr 0
		.amdhsa_user_sgpr_kernarg_segment_ptr 1
		.amdhsa_user_sgpr_dispatch_id 0
		.amdhsa_user_sgpr_kernarg_preload_length 0
		.amdhsa_user_sgpr_kernarg_preload_offset 0
		.amdhsa_user_sgpr_private_segment_size 0
		.amdhsa_uses_dynamic_stack 0
		.amdhsa_enable_private_segment 0
		.amdhsa_system_sgpr_workgroup_id_x 1
		.amdhsa_system_sgpr_workgroup_id_y 0
		.amdhsa_system_sgpr_workgroup_id_z 0
		.amdhsa_system_sgpr_workgroup_info 0
		.amdhsa_system_vgpr_workitem_id 0
		.amdhsa_next_free_vgpr 1
		.amdhsa_next_free_sgpr 0
		.amdhsa_accum_offset 4
		.amdhsa_reserve_vcc 0
		.amdhsa_float_round_mode_32 0
		.amdhsa_float_round_mode_16_64 0
		.amdhsa_float_denorm_mode_32 3
		.amdhsa_float_denorm_mode_16_64 3
		.amdhsa_dx10_clamp 1
		.amdhsa_ieee_mode 1
		.amdhsa_fp16_overflow 0
		.amdhsa_tg_split 0
		.amdhsa_exception_fp_ieee_invalid_op 0
		.amdhsa_exception_fp_denorm_src 0
		.amdhsa_exception_fp_ieee_div_zero 0
		.amdhsa_exception_fp_ieee_overflow 0
		.amdhsa_exception_fp_ieee_underflow 0
		.amdhsa_exception_fp_ieee_inexact 0
		.amdhsa_exception_int_div_zero 0
	.end_amdhsa_kernel
	.section	.text._ZN7rocprim17ROCPRIM_400000_NS6detail17trampoline_kernelINS0_14default_configENS1_25transform_config_selectorIlLb0EEEZNS1_14transform_implILb0ES3_S5_NS0_18transform_iteratorINS0_17counting_iteratorImlEEZNS1_24adjacent_difference_implIS3_Lb1ELb0EPlSB_ZN2at6native12_GLOBAL__N_124unique_dim_cuda_templateImEESt5tupleIJNSC_6TensorESH_SH_EERKSH_lbbbEUlllE1_EE10hipError_tPvRmT2_T3_mT4_P12ihipStream_tbEUlmE_lEESB_NS0_8identityIvEEEESM_SP_SQ_mSR_ST_bEUlT_E_NS1_11comp_targetILNS1_3genE8ELNS1_11target_archE1030ELNS1_3gpuE2ELNS1_3repE0EEENS1_30default_config_static_selectorELNS0_4arch9wavefront6targetE1EEEvT1_,"axG",@progbits,_ZN7rocprim17ROCPRIM_400000_NS6detail17trampoline_kernelINS0_14default_configENS1_25transform_config_selectorIlLb0EEEZNS1_14transform_implILb0ES3_S5_NS0_18transform_iteratorINS0_17counting_iteratorImlEEZNS1_24adjacent_difference_implIS3_Lb1ELb0EPlSB_ZN2at6native12_GLOBAL__N_124unique_dim_cuda_templateImEESt5tupleIJNSC_6TensorESH_SH_EERKSH_lbbbEUlllE1_EE10hipError_tPvRmT2_T3_mT4_P12ihipStream_tbEUlmE_lEESB_NS0_8identityIvEEEESM_SP_SQ_mSR_ST_bEUlT_E_NS1_11comp_targetILNS1_3genE8ELNS1_11target_archE1030ELNS1_3gpuE2ELNS1_3repE0EEENS1_30default_config_static_selectorELNS0_4arch9wavefront6targetE1EEEvT1_,comdat
.Lfunc_end1654:
	.size	_ZN7rocprim17ROCPRIM_400000_NS6detail17trampoline_kernelINS0_14default_configENS1_25transform_config_selectorIlLb0EEEZNS1_14transform_implILb0ES3_S5_NS0_18transform_iteratorINS0_17counting_iteratorImlEEZNS1_24adjacent_difference_implIS3_Lb1ELb0EPlSB_ZN2at6native12_GLOBAL__N_124unique_dim_cuda_templateImEESt5tupleIJNSC_6TensorESH_SH_EERKSH_lbbbEUlllE1_EE10hipError_tPvRmT2_T3_mT4_P12ihipStream_tbEUlmE_lEESB_NS0_8identityIvEEEESM_SP_SQ_mSR_ST_bEUlT_E_NS1_11comp_targetILNS1_3genE8ELNS1_11target_archE1030ELNS1_3gpuE2ELNS1_3repE0EEENS1_30default_config_static_selectorELNS0_4arch9wavefront6targetE1EEEvT1_, .Lfunc_end1654-_ZN7rocprim17ROCPRIM_400000_NS6detail17trampoline_kernelINS0_14default_configENS1_25transform_config_selectorIlLb0EEEZNS1_14transform_implILb0ES3_S5_NS0_18transform_iteratorINS0_17counting_iteratorImlEEZNS1_24adjacent_difference_implIS3_Lb1ELb0EPlSB_ZN2at6native12_GLOBAL__N_124unique_dim_cuda_templateImEESt5tupleIJNSC_6TensorESH_SH_EERKSH_lbbbEUlllE1_EE10hipError_tPvRmT2_T3_mT4_P12ihipStream_tbEUlmE_lEESB_NS0_8identityIvEEEESM_SP_SQ_mSR_ST_bEUlT_E_NS1_11comp_targetILNS1_3genE8ELNS1_11target_archE1030ELNS1_3gpuE2ELNS1_3repE0EEENS1_30default_config_static_selectorELNS0_4arch9wavefront6targetE1EEEvT1_
                                        ; -- End function
	.set _ZN7rocprim17ROCPRIM_400000_NS6detail17trampoline_kernelINS0_14default_configENS1_25transform_config_selectorIlLb0EEEZNS1_14transform_implILb0ES3_S5_NS0_18transform_iteratorINS0_17counting_iteratorImlEEZNS1_24adjacent_difference_implIS3_Lb1ELb0EPlSB_ZN2at6native12_GLOBAL__N_124unique_dim_cuda_templateImEESt5tupleIJNSC_6TensorESH_SH_EERKSH_lbbbEUlllE1_EE10hipError_tPvRmT2_T3_mT4_P12ihipStream_tbEUlmE_lEESB_NS0_8identityIvEEEESM_SP_SQ_mSR_ST_bEUlT_E_NS1_11comp_targetILNS1_3genE8ELNS1_11target_archE1030ELNS1_3gpuE2ELNS1_3repE0EEENS1_30default_config_static_selectorELNS0_4arch9wavefront6targetE1EEEvT1_.num_vgpr, 0
	.set _ZN7rocprim17ROCPRIM_400000_NS6detail17trampoline_kernelINS0_14default_configENS1_25transform_config_selectorIlLb0EEEZNS1_14transform_implILb0ES3_S5_NS0_18transform_iteratorINS0_17counting_iteratorImlEEZNS1_24adjacent_difference_implIS3_Lb1ELb0EPlSB_ZN2at6native12_GLOBAL__N_124unique_dim_cuda_templateImEESt5tupleIJNSC_6TensorESH_SH_EERKSH_lbbbEUlllE1_EE10hipError_tPvRmT2_T3_mT4_P12ihipStream_tbEUlmE_lEESB_NS0_8identityIvEEEESM_SP_SQ_mSR_ST_bEUlT_E_NS1_11comp_targetILNS1_3genE8ELNS1_11target_archE1030ELNS1_3gpuE2ELNS1_3repE0EEENS1_30default_config_static_selectorELNS0_4arch9wavefront6targetE1EEEvT1_.num_agpr, 0
	.set _ZN7rocprim17ROCPRIM_400000_NS6detail17trampoline_kernelINS0_14default_configENS1_25transform_config_selectorIlLb0EEEZNS1_14transform_implILb0ES3_S5_NS0_18transform_iteratorINS0_17counting_iteratorImlEEZNS1_24adjacent_difference_implIS3_Lb1ELb0EPlSB_ZN2at6native12_GLOBAL__N_124unique_dim_cuda_templateImEESt5tupleIJNSC_6TensorESH_SH_EERKSH_lbbbEUlllE1_EE10hipError_tPvRmT2_T3_mT4_P12ihipStream_tbEUlmE_lEESB_NS0_8identityIvEEEESM_SP_SQ_mSR_ST_bEUlT_E_NS1_11comp_targetILNS1_3genE8ELNS1_11target_archE1030ELNS1_3gpuE2ELNS1_3repE0EEENS1_30default_config_static_selectorELNS0_4arch9wavefront6targetE1EEEvT1_.numbered_sgpr, 0
	.set _ZN7rocprim17ROCPRIM_400000_NS6detail17trampoline_kernelINS0_14default_configENS1_25transform_config_selectorIlLb0EEEZNS1_14transform_implILb0ES3_S5_NS0_18transform_iteratorINS0_17counting_iteratorImlEEZNS1_24adjacent_difference_implIS3_Lb1ELb0EPlSB_ZN2at6native12_GLOBAL__N_124unique_dim_cuda_templateImEESt5tupleIJNSC_6TensorESH_SH_EERKSH_lbbbEUlllE1_EE10hipError_tPvRmT2_T3_mT4_P12ihipStream_tbEUlmE_lEESB_NS0_8identityIvEEEESM_SP_SQ_mSR_ST_bEUlT_E_NS1_11comp_targetILNS1_3genE8ELNS1_11target_archE1030ELNS1_3gpuE2ELNS1_3repE0EEENS1_30default_config_static_selectorELNS0_4arch9wavefront6targetE1EEEvT1_.num_named_barrier, 0
	.set _ZN7rocprim17ROCPRIM_400000_NS6detail17trampoline_kernelINS0_14default_configENS1_25transform_config_selectorIlLb0EEEZNS1_14transform_implILb0ES3_S5_NS0_18transform_iteratorINS0_17counting_iteratorImlEEZNS1_24adjacent_difference_implIS3_Lb1ELb0EPlSB_ZN2at6native12_GLOBAL__N_124unique_dim_cuda_templateImEESt5tupleIJNSC_6TensorESH_SH_EERKSH_lbbbEUlllE1_EE10hipError_tPvRmT2_T3_mT4_P12ihipStream_tbEUlmE_lEESB_NS0_8identityIvEEEESM_SP_SQ_mSR_ST_bEUlT_E_NS1_11comp_targetILNS1_3genE8ELNS1_11target_archE1030ELNS1_3gpuE2ELNS1_3repE0EEENS1_30default_config_static_selectorELNS0_4arch9wavefront6targetE1EEEvT1_.private_seg_size, 0
	.set _ZN7rocprim17ROCPRIM_400000_NS6detail17trampoline_kernelINS0_14default_configENS1_25transform_config_selectorIlLb0EEEZNS1_14transform_implILb0ES3_S5_NS0_18transform_iteratorINS0_17counting_iteratorImlEEZNS1_24adjacent_difference_implIS3_Lb1ELb0EPlSB_ZN2at6native12_GLOBAL__N_124unique_dim_cuda_templateImEESt5tupleIJNSC_6TensorESH_SH_EERKSH_lbbbEUlllE1_EE10hipError_tPvRmT2_T3_mT4_P12ihipStream_tbEUlmE_lEESB_NS0_8identityIvEEEESM_SP_SQ_mSR_ST_bEUlT_E_NS1_11comp_targetILNS1_3genE8ELNS1_11target_archE1030ELNS1_3gpuE2ELNS1_3repE0EEENS1_30default_config_static_selectorELNS0_4arch9wavefront6targetE1EEEvT1_.uses_vcc, 0
	.set _ZN7rocprim17ROCPRIM_400000_NS6detail17trampoline_kernelINS0_14default_configENS1_25transform_config_selectorIlLb0EEEZNS1_14transform_implILb0ES3_S5_NS0_18transform_iteratorINS0_17counting_iteratorImlEEZNS1_24adjacent_difference_implIS3_Lb1ELb0EPlSB_ZN2at6native12_GLOBAL__N_124unique_dim_cuda_templateImEESt5tupleIJNSC_6TensorESH_SH_EERKSH_lbbbEUlllE1_EE10hipError_tPvRmT2_T3_mT4_P12ihipStream_tbEUlmE_lEESB_NS0_8identityIvEEEESM_SP_SQ_mSR_ST_bEUlT_E_NS1_11comp_targetILNS1_3genE8ELNS1_11target_archE1030ELNS1_3gpuE2ELNS1_3repE0EEENS1_30default_config_static_selectorELNS0_4arch9wavefront6targetE1EEEvT1_.uses_flat_scratch, 0
	.set _ZN7rocprim17ROCPRIM_400000_NS6detail17trampoline_kernelINS0_14default_configENS1_25transform_config_selectorIlLb0EEEZNS1_14transform_implILb0ES3_S5_NS0_18transform_iteratorINS0_17counting_iteratorImlEEZNS1_24adjacent_difference_implIS3_Lb1ELb0EPlSB_ZN2at6native12_GLOBAL__N_124unique_dim_cuda_templateImEESt5tupleIJNSC_6TensorESH_SH_EERKSH_lbbbEUlllE1_EE10hipError_tPvRmT2_T3_mT4_P12ihipStream_tbEUlmE_lEESB_NS0_8identityIvEEEESM_SP_SQ_mSR_ST_bEUlT_E_NS1_11comp_targetILNS1_3genE8ELNS1_11target_archE1030ELNS1_3gpuE2ELNS1_3repE0EEENS1_30default_config_static_selectorELNS0_4arch9wavefront6targetE1EEEvT1_.has_dyn_sized_stack, 0
	.set _ZN7rocprim17ROCPRIM_400000_NS6detail17trampoline_kernelINS0_14default_configENS1_25transform_config_selectorIlLb0EEEZNS1_14transform_implILb0ES3_S5_NS0_18transform_iteratorINS0_17counting_iteratorImlEEZNS1_24adjacent_difference_implIS3_Lb1ELb0EPlSB_ZN2at6native12_GLOBAL__N_124unique_dim_cuda_templateImEESt5tupleIJNSC_6TensorESH_SH_EERKSH_lbbbEUlllE1_EE10hipError_tPvRmT2_T3_mT4_P12ihipStream_tbEUlmE_lEESB_NS0_8identityIvEEEESM_SP_SQ_mSR_ST_bEUlT_E_NS1_11comp_targetILNS1_3genE8ELNS1_11target_archE1030ELNS1_3gpuE2ELNS1_3repE0EEENS1_30default_config_static_selectorELNS0_4arch9wavefront6targetE1EEEvT1_.has_recursion, 0
	.set _ZN7rocprim17ROCPRIM_400000_NS6detail17trampoline_kernelINS0_14default_configENS1_25transform_config_selectorIlLb0EEEZNS1_14transform_implILb0ES3_S5_NS0_18transform_iteratorINS0_17counting_iteratorImlEEZNS1_24adjacent_difference_implIS3_Lb1ELb0EPlSB_ZN2at6native12_GLOBAL__N_124unique_dim_cuda_templateImEESt5tupleIJNSC_6TensorESH_SH_EERKSH_lbbbEUlllE1_EE10hipError_tPvRmT2_T3_mT4_P12ihipStream_tbEUlmE_lEESB_NS0_8identityIvEEEESM_SP_SQ_mSR_ST_bEUlT_E_NS1_11comp_targetILNS1_3genE8ELNS1_11target_archE1030ELNS1_3gpuE2ELNS1_3repE0EEENS1_30default_config_static_selectorELNS0_4arch9wavefront6targetE1EEEvT1_.has_indirect_call, 0
	.section	.AMDGPU.csdata,"",@progbits
; Kernel info:
; codeLenInByte = 0
; TotalNumSgprs: 6
; NumVgprs: 0
; NumAgprs: 0
; TotalNumVgprs: 0
; ScratchSize: 0
; MemoryBound: 0
; FloatMode: 240
; IeeeMode: 1
; LDSByteSize: 0 bytes/workgroup (compile time only)
; SGPRBlocks: 0
; VGPRBlocks: 0
; NumSGPRsForWavesPerEU: 6
; NumVGPRsForWavesPerEU: 1
; AccumOffset: 4
; Occupancy: 8
; WaveLimiterHint : 0
; COMPUTE_PGM_RSRC2:SCRATCH_EN: 0
; COMPUTE_PGM_RSRC2:USER_SGPR: 2
; COMPUTE_PGM_RSRC2:TRAP_HANDLER: 0
; COMPUTE_PGM_RSRC2:TGID_X_EN: 1
; COMPUTE_PGM_RSRC2:TGID_Y_EN: 0
; COMPUTE_PGM_RSRC2:TGID_Z_EN: 0
; COMPUTE_PGM_RSRC2:TIDIG_COMP_CNT: 0
; COMPUTE_PGM_RSRC3_GFX90A:ACCUM_OFFSET: 0
; COMPUTE_PGM_RSRC3_GFX90A:TG_SPLIT: 0
	.section	.text._ZN7rocprim17ROCPRIM_400000_NS6detail17trampoline_kernelINS0_14default_configENS1_35adjacent_difference_config_selectorILb1ElEEZNS1_24adjacent_difference_implIS3_Lb1ELb0EPlS7_ZN2at6native12_GLOBAL__N_124unique_dim_cuda_templateImEESt5tupleIJNS8_6TensorESD_SD_EERKSD_lbbbEUlllE1_EE10hipError_tPvRmT2_T3_mT4_P12ihipStream_tbEUlT_E_NS1_11comp_targetILNS1_3genE0ELNS1_11target_archE4294967295ELNS1_3gpuE0ELNS1_3repE0EEENS1_30default_config_static_selectorELNS0_4arch9wavefront6targetE1EEEvT1_,"axG",@progbits,_ZN7rocprim17ROCPRIM_400000_NS6detail17trampoline_kernelINS0_14default_configENS1_35adjacent_difference_config_selectorILb1ElEEZNS1_24adjacent_difference_implIS3_Lb1ELb0EPlS7_ZN2at6native12_GLOBAL__N_124unique_dim_cuda_templateImEESt5tupleIJNS8_6TensorESD_SD_EERKSD_lbbbEUlllE1_EE10hipError_tPvRmT2_T3_mT4_P12ihipStream_tbEUlT_E_NS1_11comp_targetILNS1_3genE0ELNS1_11target_archE4294967295ELNS1_3gpuE0ELNS1_3repE0EEENS1_30default_config_static_selectorELNS0_4arch9wavefront6targetE1EEEvT1_,comdat
	.globl	_ZN7rocprim17ROCPRIM_400000_NS6detail17trampoline_kernelINS0_14default_configENS1_35adjacent_difference_config_selectorILb1ElEEZNS1_24adjacent_difference_implIS3_Lb1ELb0EPlS7_ZN2at6native12_GLOBAL__N_124unique_dim_cuda_templateImEESt5tupleIJNS8_6TensorESD_SD_EERKSD_lbbbEUlllE1_EE10hipError_tPvRmT2_T3_mT4_P12ihipStream_tbEUlT_E_NS1_11comp_targetILNS1_3genE0ELNS1_11target_archE4294967295ELNS1_3gpuE0ELNS1_3repE0EEENS1_30default_config_static_selectorELNS0_4arch9wavefront6targetE1EEEvT1_ ; -- Begin function _ZN7rocprim17ROCPRIM_400000_NS6detail17trampoline_kernelINS0_14default_configENS1_35adjacent_difference_config_selectorILb1ElEEZNS1_24adjacent_difference_implIS3_Lb1ELb0EPlS7_ZN2at6native12_GLOBAL__N_124unique_dim_cuda_templateImEESt5tupleIJNS8_6TensorESD_SD_EERKSD_lbbbEUlllE1_EE10hipError_tPvRmT2_T3_mT4_P12ihipStream_tbEUlT_E_NS1_11comp_targetILNS1_3genE0ELNS1_11target_archE4294967295ELNS1_3gpuE0ELNS1_3repE0EEENS1_30default_config_static_selectorELNS0_4arch9wavefront6targetE1EEEvT1_
	.p2align	8
	.type	_ZN7rocprim17ROCPRIM_400000_NS6detail17trampoline_kernelINS0_14default_configENS1_35adjacent_difference_config_selectorILb1ElEEZNS1_24adjacent_difference_implIS3_Lb1ELb0EPlS7_ZN2at6native12_GLOBAL__N_124unique_dim_cuda_templateImEESt5tupleIJNS8_6TensorESD_SD_EERKSD_lbbbEUlllE1_EE10hipError_tPvRmT2_T3_mT4_P12ihipStream_tbEUlT_E_NS1_11comp_targetILNS1_3genE0ELNS1_11target_archE4294967295ELNS1_3gpuE0ELNS1_3repE0EEENS1_30default_config_static_selectorELNS0_4arch9wavefront6targetE1EEEvT1_,@function
_ZN7rocprim17ROCPRIM_400000_NS6detail17trampoline_kernelINS0_14default_configENS1_35adjacent_difference_config_selectorILb1ElEEZNS1_24adjacent_difference_implIS3_Lb1ELb0EPlS7_ZN2at6native12_GLOBAL__N_124unique_dim_cuda_templateImEESt5tupleIJNS8_6TensorESD_SD_EERKSD_lbbbEUlllE1_EE10hipError_tPvRmT2_T3_mT4_P12ihipStream_tbEUlT_E_NS1_11comp_targetILNS1_3genE0ELNS1_11target_archE4294967295ELNS1_3gpuE0ELNS1_3repE0EEENS1_30default_config_static_selectorELNS0_4arch9wavefront6targetE1EEEvT1_: ; @_ZN7rocprim17ROCPRIM_400000_NS6detail17trampoline_kernelINS0_14default_configENS1_35adjacent_difference_config_selectorILb1ElEEZNS1_24adjacent_difference_implIS3_Lb1ELb0EPlS7_ZN2at6native12_GLOBAL__N_124unique_dim_cuda_templateImEESt5tupleIJNS8_6TensorESD_SD_EERKSD_lbbbEUlllE1_EE10hipError_tPvRmT2_T3_mT4_P12ihipStream_tbEUlT_E_NS1_11comp_targetILNS1_3genE0ELNS1_11target_archE4294967295ELNS1_3gpuE0ELNS1_3repE0EEENS1_30default_config_static_selectorELNS0_4arch9wavefront6targetE1EEEvT1_
; %bb.0:
	s_load_dwordx16 s[4:19], s[0:1], 0x0
	s_mov_b32 s25, 0
	s_mov_b64 s[26:27], -1
	s_waitcnt lgkmcnt(0)
	s_lshl_b64 s[6:7], s[6:7], 3
	s_add_u32 s30, s4, s6
	s_addc_u32 s31, s5, s7
	s_lshl_b32 s4, s2, 10
	s_lshr_b64 s[0:1], s[10:11], 10
	s_and_b32 s24, s10, 0x3ff
	s_cmp_lg_u64 s[24:25], 0
	s_cselect_b64 s[20:21], -1, 0
	v_cndmask_b32_e64 v1, 0, 1, s[20:21]
	s_mov_b32 s24, s2
	v_readfirstlane_b32 s3, v1
	s_add_u32 s22, s0, s3
	s_addc_u32 s23, s1, 0
	s_add_u32 s2, s18, s2
	s_addc_u32 s3, s19, 0
	s_add_u32 s20, s22, -1
	s_addc_u32 s21, s23, -1
	v_mov_b64_e32 v[2:3], s[20:21]
	v_cmp_ge_u64_e64 s[0:1], s[2:3], v[2:3]
	s_and_b64 vcc, exec, s[0:1]
	s_cbranch_vccz .LBB1655_6
; %bb.1:
	s_lshl_b32 s5, s20, 10
	s_sub_i32 s11, s10, s5
	s_mov_b32 s5, s25
	s_lshl_b64 s[26:27], s[4:5], 3
	s_add_u32 s26, s30, s26
	v_mov_b32_e32 v2, 0
	s_addc_u32 s27, s31, s27
	v_cmp_gt_u32_e32 vcc, s11, v0
	v_mov_b32_e32 v3, v2
	v_mov_b32_e32 v4, v2
	;; [unrolled: 1-line block ×3, first 2 shown]
	s_and_saveexec_b64 s[28:29], vcc
	s_cbranch_execz .LBB1655_3
; %bb.2:
	v_lshlrev_b32_e32 v1, 3, v0
	global_load_dwordx2 v[4:5], v1, s[26:27]
	v_mov_b32_e32 v6, v2
	v_mov_b32_e32 v7, v2
	s_waitcnt vmcnt(0)
	v_mov_b64_e32 v[2:3], v[4:5]
	v_mov_b64_e32 v[4:5], v[6:7]
.LBB1655_3:
	s_or_b64 exec, exec, s[28:29]
	v_or_b32_e32 v1, 0x200, v0
	v_cmp_gt_u32_e32 vcc, s11, v1
	s_and_saveexec_b64 s[28:29], vcc
	s_cbranch_execz .LBB1655_5
; %bb.4:
	v_lshlrev_b32_e32 v4, 3, v1
	global_load_dwordx2 v[4:5], v4, s[26:27]
.LBB1655_5:
	s_or_b64 exec, exec, s[28:29]
	v_lshrrev_b32_e32 v6, 2, v0
	v_lshrrev_b32_e32 v1, 2, v1
	v_and_b32_e32 v6, 0x78, v6
	v_lshlrev_b32_e32 v7, 3, v0
	v_and_b32_e32 v1, 0xf8, v1
	v_add_u32_e32 v6, v6, v7
	v_add_u32_e32 v1, v1, v7
	s_mov_b64 s[26:27], 0
	ds_write_b64 v6, v[2:3]
	s_waitcnt vmcnt(0)
	ds_write_b64 v1, v[4:5] offset:4096
	s_waitcnt lgkmcnt(0)
	s_barrier
.LBB1655_6:
	s_and_b64 vcc, exec, s[26:27]
	s_cbranch_vccz .LBB1655_8
; %bb.7:
	s_mov_b32 s5, 0
	s_lshl_b64 s[26:27], s[4:5], 3
	s_add_u32 s26, s30, s26
	s_addc_u32 s27, s31, s27
	v_lshlrev_b32_e32 v2, 3, v0
	v_mov_b32_e32 v3, 0
	v_lshl_add_u64 v[4:5], s[26:27], 0, v[2:3]
	v_add_co_u32_e32 v4, vcc, 0x1000, v4
	v_lshrrev_b32_e32 v1, 2, v0
	s_nop 0
	v_addc_co_u32_e32 v5, vcc, 0, v5, vcc
	global_load_dwordx2 v[6:7], v2, s[26:27]
	global_load_dwordx2 v[8:9], v[4:5], off
	v_or_b32_e32 v3, 0x200, v0
	v_and_b32_e32 v1, 0x78, v1
	v_lshrrev_b32_e32 v3, 2, v3
	v_add_u32_e32 v1, v1, v2
	v_and_b32_e32 v3, 0xf8, v3
	v_add_u32_e32 v2, v3, v2
	s_waitcnt vmcnt(1)
	ds_write_b64 v1, v[6:7]
	s_waitcnt vmcnt(0)
	ds_write_b64 v2, v[8:9] offset:4096
	s_waitcnt lgkmcnt(0)
	s_barrier
.LBB1655_8:
	v_lshrrev_b32_e32 v1, 1, v0
	v_and_b32_e32 v2, 0xf8, v1
	v_lshl_add_u32 v2, v0, 4, v2
	ds_read2_b64 v[2:5], v2 offset1:1
	s_cmp_eq_u64 s[2:3], 0
	s_waitcnt lgkmcnt(0)
	s_barrier
	s_cbranch_scc1 .LBB1655_15
; %bb.9:
	s_lshl_b64 s[18:19], s[18:19], 3
	s_add_u32 s5, s16, s18
	s_addc_u32 s11, s17, s19
	s_lshl_b64 s[16:17], s[24:25], 3
	s_add_u32 s5, s5, s16
	s_addc_u32 s11, s11, s17
	s_add_u32 s16, s5, -8
	s_addc_u32 s17, s11, -1
	s_load_dwordx2 s[16:17], s[16:17], 0x0
	s_cmp_eq_u64 s[2:3], s[20:21]
	s_cbranch_scc1 .LBB1655_16
; %bb.10:
	v_cmp_lt_i64_e64 s[24:25], s[12:13], 1
	v_lshlrev_b32_e32 v12, 3, v0
	v_mov_b64_e32 v[8:9], 0
	v_cmp_gt_i64_e64 s[18:19], s[12:13], 0
	s_and_b64 vcc, exec, s[24:25]
	ds_write_b64 v12, v[4:5]
	s_cbranch_vccnz .LBB1655_18
; %bb.11:
	v_mul_lo_u32 v8, v5, s12
	v_mul_lo_u32 v9, v4, s13
	v_mad_u64_u32 v[6:7], s[24:25], v4, s12, 0
	v_add3_u32 v7, v7, v9, v8
	v_mul_lo_u32 v10, v3, s12
	v_mul_lo_u32 v11, v2, s13
	v_mad_u64_u32 v[8:9], s[24:25], v2, s12, 0
	v_add3_u32 v9, v9, v11, v10
	v_lshl_add_u64 v[6:7], v[6:7], 3, s[14:15]
	v_lshl_add_u64 v[10:11], v[8:9], 3, s[14:15]
	s_mov_b64 s[24:25], 0
	s_mov_b64 s[26:27], s[12:13]
                                        ; implicit-def: $sgpr28_sgpr29
	s_branch .LBB1655_13
.LBB1655_12:                            ;   in Loop: Header=BB1655_13 Depth=1
	s_or_b64 exec, exec, s[30:31]
	s_and_b64 s[30:31], exec, s[28:29]
	s_or_b64 s[24:25], s[30:31], s[24:25]
	s_andn2_b64 exec, exec, s[24:25]
	s_cbranch_execz .LBB1655_17
.LBB1655_13:                            ; =>This Inner Loop Header: Depth=1
	global_load_dwordx2 v[14:15], v[6:7], off
	global_load_dwordx2 v[16:17], v[10:11], off
	v_mov_b64_e32 v[8:9], 1
	s_or_b64 s[28:29], s[28:29], exec
	s_waitcnt vmcnt(0)
	v_cmp_eq_u64_e32 vcc, v[14:15], v[16:17]
	s_and_saveexec_b64 s[30:31], vcc
	s_cbranch_execz .LBB1655_12
; %bb.14:                               ;   in Loop: Header=BB1655_13 Depth=1
	s_add_u32 s26, s26, -1
	s_addc_u32 s27, s27, -1
	s_cmp_eq_u64 s[26:27], 0
	s_cselect_b64 s[34:35], -1, 0
	s_andn2_b64 s[28:29], s[28:29], exec
	s_and_b64 s[34:35], s[34:35], exec
	v_lshl_add_u64 v[6:7], v[6:7], 0, 8
	v_lshl_add_u64 v[10:11], v[10:11], 0, 8
	v_mov_b64_e32 v[8:9], 0
	s_or_b64 s[28:29], s[28:29], s[34:35]
	s_branch .LBB1655_12
.LBB1655_15:
                                        ; implicit-def: $vgpr8_vgpr9
                                        ; implicit-def: $vgpr6_vgpr7
	s_branch .LBB1655_47
.LBB1655_16:
                                        ; implicit-def: $vgpr8_vgpr9
                                        ; implicit-def: $vgpr6_vgpr7
	s_cbranch_execnz .LBB1655_27
	s_branch .LBB1655_46
.LBB1655_17:
	s_or_b64 exec, exec, s[24:25]
.LBB1655_18:
	v_cmp_ne_u32_e32 vcc, 0, v0
	s_waitcnt lgkmcnt(0)
	v_mov_b64_e32 v[6:7], s[16:17]
	s_barrier
	s_and_saveexec_b64 s[24:25], vcc
; %bb.19:
	v_add_u32_e32 v6, -8, v12
	ds_read_b64 v[6:7], v6
; %bb.20:
	s_or_b64 exec, exec, s[24:25]
	s_andn2_b64 vcc, exec, s[18:19]
	s_cbranch_vccnz .LBB1655_26
; %bb.21:
	v_mul_lo_u32 v12, v3, s12
	v_mul_lo_u32 v13, v2, s13
	v_mad_u64_u32 v[10:11], s[18:19], v2, s12, 0
	v_add3_u32 v11, v11, v13, v12
	s_waitcnt lgkmcnt(0)
	v_mul_lo_u32 v12, v7, s12
	v_mul_lo_u32 v13, v6, s13
	v_mad_u64_u32 v[6:7], s[18:19], v6, s12, 0
	v_add3_u32 v7, v7, v13, v12
	v_lshl_add_u64 v[10:11], v[10:11], 3, s[14:15]
	v_lshl_add_u64 v[12:13], v[6:7], 3, s[14:15]
	s_mov_b64 s[18:19], 0
	s_mov_b64 s[24:25], s[12:13]
                                        ; implicit-def: $sgpr26_sgpr27
	s_branch .LBB1655_23
.LBB1655_22:                            ;   in Loop: Header=BB1655_23 Depth=1
	s_or_b64 exec, exec, s[28:29]
	s_and_b64 s[28:29], exec, s[26:27]
	s_or_b64 s[18:19], s[28:29], s[18:19]
	s_andn2_b64 exec, exec, s[18:19]
	s_cbranch_execz .LBB1655_25
.LBB1655_23:                            ; =>This Inner Loop Header: Depth=1
	global_load_dwordx2 v[14:15], v[10:11], off
	global_load_dwordx2 v[16:17], v[12:13], off
	v_mov_b64_e32 v[6:7], 1
	s_or_b64 s[26:27], s[26:27], exec
	s_waitcnt vmcnt(0)
	v_cmp_eq_u64_e32 vcc, v[14:15], v[16:17]
	s_and_saveexec_b64 s[28:29], vcc
	s_cbranch_execz .LBB1655_22
; %bb.24:                               ;   in Loop: Header=BB1655_23 Depth=1
	s_add_u32 s24, s24, -1
	s_addc_u32 s25, s25, -1
	s_cmp_eq_u64 s[24:25], 0
	s_cselect_b64 s[30:31], -1, 0
	s_andn2_b64 s[26:27], s[26:27], exec
	s_and_b64 s[30:31], s[30:31], exec
	v_lshl_add_u64 v[10:11], v[10:11], 0, 8
	v_lshl_add_u64 v[12:13], v[12:13], 0, 8
	v_mov_b64_e32 v[6:7], 0
	s_or_b64 s[26:27], s[26:27], s[30:31]
	s_branch .LBB1655_22
.LBB1655_25:
	s_or_b64 exec, exec, s[18:19]
	s_branch .LBB1655_46
.LBB1655_26:
	s_waitcnt lgkmcnt(0)
	v_mov_b64_e32 v[6:7], 0
	s_branch .LBB1655_46
.LBB1655_27:
	s_lshl_b32 s2, s2, 10
	v_lshlrev_b32_e32 v14, 1, v0
	s_sub_i32 s5, s10, s2
	v_or_b32_e32 v6, 1, v14
	v_lshlrev_b32_e32 v15, 3, v0
	v_cmp_gt_u32_e32 vcc, s5, v6
	v_mov_b64_e32 v[8:9], v[4:5]
	ds_write_b64 v15, v[4:5]
	v_mov_b64_e32 v[6:7], v[2:3]
	s_and_saveexec_b64 s[2:3], vcc
	s_cbranch_execz .LBB1655_35
; %bb.28:
	v_cmp_lt_i64_e64 s[18:19], s[12:13], 1
	s_and_b64 vcc, exec, s[18:19]
	s_cbranch_vccnz .LBB1655_34
; %bb.29:
	v_mul_lo_u32 v8, v5, s12
	v_mul_lo_u32 v9, v4, s13
	v_mad_u64_u32 v[6:7], s[18:19], v4, s12, 0
	v_add3_u32 v7, v7, v9, v8
	v_mul_lo_u32 v10, v3, s12
	v_mul_lo_u32 v11, v2, s13
	v_mad_u64_u32 v[8:9], s[18:19], v2, s12, 0
	v_add3_u32 v9, v9, v11, v10
	v_lshl_add_u64 v[6:7], v[6:7], 3, s[14:15]
	v_lshl_add_u64 v[10:11], v[8:9], 3, s[14:15]
	s_mov_b64 s[18:19], 0
	s_mov_b64 s[24:25], s[12:13]
                                        ; implicit-def: $sgpr26_sgpr27
	s_branch .LBB1655_31
.LBB1655_30:                            ;   in Loop: Header=BB1655_31 Depth=1
	s_or_b64 exec, exec, s[28:29]
	s_and_b64 s[28:29], exec, s[26:27]
	s_or_b64 s[18:19], s[28:29], s[18:19]
	s_andn2_b64 exec, exec, s[18:19]
	s_cbranch_execz .LBB1655_33
.LBB1655_31:                            ; =>This Inner Loop Header: Depth=1
	global_load_dwordx2 v[12:13], v[6:7], off
	global_load_dwordx2 v[16:17], v[10:11], off
	v_mov_b64_e32 v[8:9], 1
	s_or_b64 s[26:27], s[26:27], exec
	s_waitcnt vmcnt(0)
	v_cmp_eq_u64_e32 vcc, v[12:13], v[16:17]
	s_and_saveexec_b64 s[28:29], vcc
	s_cbranch_execz .LBB1655_30
; %bb.32:                               ;   in Loop: Header=BB1655_31 Depth=1
	s_add_u32 s24, s24, -1
	s_addc_u32 s25, s25, -1
	s_cmp_eq_u64 s[24:25], 0
	s_cselect_b64 s[30:31], -1, 0
	s_andn2_b64 s[26:27], s[26:27], exec
	s_and_b64 s[30:31], s[30:31], exec
	v_lshl_add_u64 v[6:7], v[6:7], 0, 8
	v_lshl_add_u64 v[10:11], v[10:11], 0, 8
	v_mov_b64_e32 v[8:9], 0
	s_or_b64 s[26:27], s[26:27], s[30:31]
	s_branch .LBB1655_30
.LBB1655_33:
	s_or_b64 exec, exec, s[18:19]
	s_branch .LBB1655_35
.LBB1655_34:
	v_mov_b64_e32 v[8:9], 0
.LBB1655_35:
	s_or_b64 exec, exec, s[2:3]
	v_cmp_ne_u32_e32 vcc, 0, v0
	s_waitcnt lgkmcnt(0)
	v_mov_b64_e32 v[12:13], s[16:17]
	s_barrier
	s_and_saveexec_b64 s[2:3], vcc
; %bb.36:
	v_add_u32_e32 v6, -8, v15
	ds_read_b64 v[12:13], v6
; %bb.37:
	s_or_b64 exec, exec, s[2:3]
	v_cmp_gt_u32_e32 vcc, s5, v14
	v_mov_b64_e32 v[6:7], v[2:3]
	s_and_saveexec_b64 s[2:3], vcc
	s_cbranch_execz .LBB1655_45
; %bb.38:
	v_cmp_lt_i64_e64 s[16:17], s[12:13], 1
	s_and_b64 vcc, exec, s[16:17]
	s_cbranch_vccnz .LBB1655_44
; %bb.39:
	v_mul_lo_u32 v10, v3, s12
	v_mul_lo_u32 v11, v2, s13
	v_mad_u64_u32 v[6:7], s[16:17], v2, s12, 0
	v_add3_u32 v7, v7, v11, v10
	v_lshl_add_u64 v[10:11], v[6:7], 3, s[14:15]
	s_waitcnt lgkmcnt(0)
	v_mul_lo_u32 v13, v13, s12
	v_mul_lo_u32 v14, v12, s13
	v_mad_u64_u32 v[6:7], s[16:17], v12, s12, 0
	v_add3_u32 v7, v7, v14, v13
	v_lshl_add_u64 v[12:13], v[6:7], 3, s[14:15]
	s_mov_b64 s[16:17], 0
	s_mov_b64 s[18:19], s[12:13]
                                        ; implicit-def: $sgpr24_sgpr25
	s_branch .LBB1655_41
.LBB1655_40:                            ;   in Loop: Header=BB1655_41 Depth=1
	s_or_b64 exec, exec, s[26:27]
	s_and_b64 s[26:27], exec, s[24:25]
	s_or_b64 s[16:17], s[26:27], s[16:17]
	s_andn2_b64 exec, exec, s[16:17]
	s_cbranch_execz .LBB1655_43
.LBB1655_41:                            ; =>This Inner Loop Header: Depth=1
	global_load_dwordx2 v[14:15], v[10:11], off
	global_load_dwordx2 v[16:17], v[12:13], off
	v_mov_b64_e32 v[6:7], 1
	s_or_b64 s[24:25], s[24:25], exec
	s_waitcnt vmcnt(0)
	v_cmp_eq_u64_e32 vcc, v[14:15], v[16:17]
	s_and_saveexec_b64 s[26:27], vcc
	s_cbranch_execz .LBB1655_40
; %bb.42:                               ;   in Loop: Header=BB1655_41 Depth=1
	s_add_u32 s18, s18, -1
	s_addc_u32 s19, s19, -1
	s_cmp_eq_u64 s[18:19], 0
	s_cselect_b64 s[28:29], -1, 0
	s_andn2_b64 s[24:25], s[24:25], exec
	s_and_b64 s[28:29], s[28:29], exec
	v_lshl_add_u64 v[10:11], v[10:11], 0, 8
	v_lshl_add_u64 v[12:13], v[12:13], 0, 8
	v_mov_b64_e32 v[6:7], 0
	s_or_b64 s[24:25], s[24:25], s[28:29]
	s_branch .LBB1655_40
.LBB1655_43:
	s_or_b64 exec, exec, s[16:17]
	s_branch .LBB1655_45
.LBB1655_44:
	v_mov_b64_e32 v[6:7], 0
.LBB1655_45:
	s_or_b64 exec, exec, s[2:3]
.LBB1655_46:
	s_cbranch_execnz .LBB1655_81
.LBB1655_47:
	s_cmp_eq_u64 s[22:23], 1
	s_cbranch_scc1 .LBB1655_53
; %bb.48:
	s_waitcnt lgkmcnt(0)
	v_cmp_lt_i64_e64 s[16:17], s[12:13], 1
	v_lshlrev_b32_e32 v12, 3, v0
	v_mov_b64_e32 v[8:9], 0
	v_cmp_gt_i64_e64 s[2:3], s[12:13], 0
	s_and_b64 vcc, exec, s[16:17]
	ds_write_b64 v12, v[4:5]
	s_cbranch_vccnz .LBB1655_55
; %bb.49:
	v_mul_lo_u32 v8, v5, s12
	v_mul_lo_u32 v9, v4, s13
	v_mad_u64_u32 v[6:7], s[16:17], v4, s12, 0
	v_add3_u32 v7, v7, v9, v8
	v_mul_lo_u32 v10, v3, s12
	v_mul_lo_u32 v11, v2, s13
	v_mad_u64_u32 v[8:9], s[16:17], v2, s12, 0
	v_add3_u32 v9, v9, v11, v10
	v_lshl_add_u64 v[6:7], v[6:7], 3, s[14:15]
	v_lshl_add_u64 v[10:11], v[8:9], 3, s[14:15]
	s_mov_b64 s[16:17], 0
	s_mov_b64 s[18:19], s[12:13]
                                        ; implicit-def: $sgpr22_sgpr23
	s_branch .LBB1655_51
.LBB1655_50:                            ;   in Loop: Header=BB1655_51 Depth=1
	s_or_b64 exec, exec, s[24:25]
	s_and_b64 s[24:25], exec, s[22:23]
	s_or_b64 s[16:17], s[24:25], s[16:17]
	s_andn2_b64 exec, exec, s[16:17]
	s_cbranch_execz .LBB1655_54
.LBB1655_51:                            ; =>This Inner Loop Header: Depth=1
	global_load_dwordx2 v[14:15], v[6:7], off
	global_load_dwordx2 v[16:17], v[10:11], off
	v_mov_b64_e32 v[8:9], 1
	s_or_b64 s[22:23], s[22:23], exec
	s_waitcnt vmcnt(0)
	v_cmp_eq_u64_e32 vcc, v[14:15], v[16:17]
	s_and_saveexec_b64 s[24:25], vcc
	s_cbranch_execz .LBB1655_50
; %bb.52:                               ;   in Loop: Header=BB1655_51 Depth=1
	s_add_u32 s18, s18, -1
	s_addc_u32 s19, s19, -1
	s_cmp_eq_u64 s[18:19], 0
	s_cselect_b64 s[26:27], -1, 0
	s_andn2_b64 s[22:23], s[22:23], exec
	s_and_b64 s[26:27], s[26:27], exec
	v_lshl_add_u64 v[6:7], v[6:7], 0, 8
	v_lshl_add_u64 v[10:11], v[10:11], 0, 8
	v_mov_b64_e32 v[8:9], 0
	s_or_b64 s[22:23], s[22:23], s[26:27]
	s_branch .LBB1655_50
.LBB1655_53:
                                        ; implicit-def: $vgpr8_vgpr9
                                        ; implicit-def: $vgpr6_vgpr7
	s_cbranch_execnz .LBB1655_64
	s_branch .LBB1655_81
.LBB1655_54:
	s_or_b64 exec, exec, s[16:17]
.LBB1655_55:
	v_cmp_ne_u32_e32 vcc, 0, v0
	v_mov_b64_e32 v[6:7], v[2:3]
	s_waitcnt lgkmcnt(0)
	s_barrier
	s_and_saveexec_b64 s[16:17], vcc
	s_cbranch_execz .LBB1655_63
; %bb.56:
	s_andn2_b64 vcc, exec, s[2:3]
	s_cbranch_vccnz .LBB1655_62
; %bb.57:
	v_add_u32_e32 v6, -8, v12
	ds_read_b64 v[6:7], v6
	v_mul_lo_u32 v12, v3, s12
	v_mul_lo_u32 v13, v2, s13
	v_mad_u64_u32 v[10:11], s[2:3], v2, s12, 0
	v_add3_u32 v11, v11, v13, v12
	s_waitcnt lgkmcnt(0)
	v_mul_lo_u32 v12, s13, v6
	v_mul_lo_u32 v13, s12, v7
	v_mad_u64_u32 v[6:7], s[2:3], s12, v6, 0
	v_add3_u32 v7, v7, v13, v12
	v_lshl_add_u64 v[10:11], v[10:11], 3, s[14:15]
	v_lshl_add_u64 v[12:13], v[6:7], 3, s[14:15]
	s_mov_b64 s[2:3], 0
	s_mov_b64 s[18:19], s[12:13]
                                        ; implicit-def: $sgpr22_sgpr23
	s_branch .LBB1655_59
.LBB1655_58:                            ;   in Loop: Header=BB1655_59 Depth=1
	s_or_b64 exec, exec, s[24:25]
	s_and_b64 s[24:25], exec, s[22:23]
	s_or_b64 s[2:3], s[24:25], s[2:3]
	s_andn2_b64 exec, exec, s[2:3]
	s_cbranch_execz .LBB1655_61
.LBB1655_59:                            ; =>This Inner Loop Header: Depth=1
	global_load_dwordx2 v[14:15], v[10:11], off
	global_load_dwordx2 v[16:17], v[12:13], off
	v_mov_b64_e32 v[6:7], 1
	s_or_b64 s[22:23], s[22:23], exec
	s_waitcnt vmcnt(0)
	v_cmp_eq_u64_e32 vcc, v[14:15], v[16:17]
	s_and_saveexec_b64 s[24:25], vcc
	s_cbranch_execz .LBB1655_58
; %bb.60:                               ;   in Loop: Header=BB1655_59 Depth=1
	s_add_u32 s18, s18, -1
	s_addc_u32 s19, s19, -1
	s_cmp_eq_u64 s[18:19], 0
	s_cselect_b64 s[26:27], -1, 0
	s_andn2_b64 s[22:23], s[22:23], exec
	s_and_b64 s[26:27], s[26:27], exec
	v_lshl_add_u64 v[10:11], v[10:11], 0, 8
	v_lshl_add_u64 v[12:13], v[12:13], 0, 8
	v_mov_b64_e32 v[6:7], 0
	s_or_b64 s[22:23], s[22:23], s[26:27]
	s_branch .LBB1655_58
.LBB1655_61:
	s_or_b64 exec, exec, s[2:3]
	s_branch .LBB1655_63
.LBB1655_62:
	v_mov_b64_e32 v[6:7], 0
.LBB1655_63:
	s_or_b64 exec, exec, s[16:17]
	s_branch .LBB1655_81
.LBB1655_64:
	v_lshlrev_b32_e32 v11, 1, v0
	v_or_b32_e32 v6, 1, v11
	v_lshlrev_b32_e32 v10, 3, v0
	v_cmp_gt_u32_e32 vcc, s10, v6
	v_mov_b64_e32 v[8:9], v[4:5]
	ds_write_b64 v10, v[4:5]
	v_mov_b64_e32 v[6:7], v[2:3]
	s_and_saveexec_b64 s[2:3], vcc
	s_cbranch_execz .LBB1655_72
; %bb.65:
	s_waitcnt lgkmcnt(0)
	v_cmp_lt_i64_e64 s[16:17], s[12:13], 1
	s_and_b64 vcc, exec, s[16:17]
	s_cbranch_vccnz .LBB1655_71
; %bb.66:
	v_mul_lo_u32 v6, v5, s12
	v_mul_lo_u32 v7, v4, s13
	v_mad_u64_u32 v[4:5], s[16:17], v4, s12, 0
	v_add3_u32 v5, v5, v7, v6
	v_mul_lo_u32 v8, v3, s12
	v_mul_lo_u32 v9, v2, s13
	v_mad_u64_u32 v[6:7], s[16:17], v2, s12, 0
	v_add3_u32 v7, v7, v9, v8
	v_lshl_add_u64 v[4:5], v[4:5], 3, s[14:15]
	v_lshl_add_u64 v[6:7], v[6:7], 3, s[14:15]
	s_mov_b64 s[16:17], 0
	s_mov_b64 s[18:19], s[12:13]
                                        ; implicit-def: $sgpr22_sgpr23
	s_branch .LBB1655_68
.LBB1655_67:                            ;   in Loop: Header=BB1655_68 Depth=1
	s_or_b64 exec, exec, s[24:25]
	s_and_b64 s[24:25], exec, s[22:23]
	s_or_b64 s[16:17], s[24:25], s[16:17]
	s_andn2_b64 exec, exec, s[16:17]
	s_cbranch_execz .LBB1655_70
.LBB1655_68:                            ; =>This Inner Loop Header: Depth=1
	global_load_dwordx2 v[12:13], v[4:5], off
	global_load_dwordx2 v[14:15], v[6:7], off
	v_mov_b64_e32 v[8:9], 1
	s_or_b64 s[22:23], s[22:23], exec
	s_waitcnt vmcnt(0)
	v_cmp_eq_u64_e32 vcc, v[12:13], v[14:15]
	s_and_saveexec_b64 s[24:25], vcc
	s_cbranch_execz .LBB1655_67
; %bb.69:                               ;   in Loop: Header=BB1655_68 Depth=1
	s_add_u32 s18, s18, -1
	s_addc_u32 s19, s19, -1
	s_cmp_eq_u64 s[18:19], 0
	s_cselect_b64 s[26:27], -1, 0
	s_andn2_b64 s[22:23], s[22:23], exec
	s_and_b64 s[26:27], s[26:27], exec
	v_lshl_add_u64 v[4:5], v[4:5], 0, 8
	v_lshl_add_u64 v[6:7], v[6:7], 0, 8
	v_mov_b64_e32 v[8:9], 0
	s_or_b64 s[22:23], s[22:23], s[26:27]
	s_branch .LBB1655_67
.LBB1655_70:
	s_or_b64 exec, exec, s[16:17]
	s_branch .LBB1655_72
.LBB1655_71:
	v_mov_b64_e32 v[8:9], 0
.LBB1655_72:
	s_or_b64 exec, exec, s[2:3]
	v_cmp_ne_u32_e32 vcc, 0, v0
	v_cmp_gt_u32_e64 s[2:3], s10, v11
	s_waitcnt lgkmcnt(0)
	s_and_b64 s[16:17], vcc, s[2:3]
	s_barrier
	s_and_saveexec_b64 s[2:3], s[16:17]
	s_cbranch_execz .LBB1655_80
; %bb.73:
	v_cmp_lt_i64_e64 s[16:17], s[12:13], 1
	s_and_b64 vcc, exec, s[16:17]
	s_cbranch_vccnz .LBB1655_79
; %bb.74:
	v_add_u32_e32 v4, -8, v10
	ds_read_b64 v[6:7], v4
	v_mul_lo_u32 v4, v3, s12
	v_mul_lo_u32 v5, v2, s13
	v_mad_u64_u32 v[2:3], s[16:17], v2, s12, 0
	v_add3_u32 v3, v3, v5, v4
	v_lshl_add_u64 v[4:5], v[2:3], 3, s[14:15]
	s_waitcnt lgkmcnt(0)
	v_mul_lo_u32 v10, s13, v6
	v_mul_lo_u32 v7, s12, v7
	v_mad_u64_u32 v[2:3], s[16:17], s12, v6, 0
	v_add3_u32 v3, v3, v7, v10
	v_lshl_add_u64 v[6:7], v[2:3], 3, s[14:15]
	s_mov_b64 s[14:15], 0
                                        ; implicit-def: $sgpr16_sgpr17
	s_branch .LBB1655_76
.LBB1655_75:                            ;   in Loop: Header=BB1655_76 Depth=1
	s_or_b64 exec, exec, s[18:19]
	s_and_b64 s[18:19], exec, s[16:17]
	s_or_b64 s[14:15], s[18:19], s[14:15]
	s_andn2_b64 exec, exec, s[14:15]
	s_cbranch_execz .LBB1655_78
.LBB1655_76:                            ; =>This Inner Loop Header: Depth=1
	global_load_dwordx2 v[10:11], v[4:5], off
	global_load_dwordx2 v[12:13], v[6:7], off
	v_mov_b64_e32 v[2:3], 1
	s_or_b64 s[16:17], s[16:17], exec
	s_waitcnt vmcnt(0)
	v_cmp_eq_u64_e32 vcc, v[10:11], v[12:13]
	s_and_saveexec_b64 s[18:19], vcc
	s_cbranch_execz .LBB1655_75
; %bb.77:                               ;   in Loop: Header=BB1655_76 Depth=1
	s_add_u32 s12, s12, -1
	s_addc_u32 s13, s13, -1
	s_cmp_eq_u64 s[12:13], 0
	s_cselect_b64 s[22:23], -1, 0
	s_andn2_b64 s[16:17], s[16:17], exec
	s_and_b64 s[22:23], s[22:23], exec
	v_lshl_add_u64 v[4:5], v[4:5], 0, 8
	v_lshl_add_u64 v[6:7], v[6:7], 0, 8
	v_mov_b64_e32 v[2:3], 0
	s_or_b64 s[16:17], s[16:17], s[22:23]
	s_branch .LBB1655_75
.LBB1655_78:
	s_or_b64 exec, exec, s[14:15]
	s_branch .LBB1655_80
.LBB1655_79:
	v_mov_b64_e32 v[2:3], 0
.LBB1655_80:
	s_or_b64 exec, exec, s[2:3]
	v_mov_b64_e32 v[6:7], v[2:3]
.LBB1655_81:
	s_add_u32 s6, s8, s6
	s_addc_u32 s7, s9, s7
	s_and_b64 vcc, exec, s[0:1]
	s_waitcnt lgkmcnt(0)
	s_barrier
	s_cbranch_vccz .LBB1655_85
; %bb.82:
	v_and_b32_e32 v2, 0xf8, v1
	v_lshl_add_u32 v2, v0, 4, v2
	v_or_b32_e32 v10, 0x200, v0
	ds_write2_b64 v2, v[6:7], v[8:9] offset1:1
	v_lshrrev_b32_e32 v2, 2, v10
	v_and_b32_e32 v2, 0xf8, v2
	v_lshlrev_b32_e32 v4, 3, v0
	v_add_u32_e32 v2, v2, v4
	s_lshl_b32 s0, s20, 10
	s_mov_b32 s5, 0
	s_waitcnt lgkmcnt(0)
	s_barrier
	ds_read_b64 v[2:3], v2 offset:4096
	s_sub_i32 s2, s10, s0
	s_lshl_b64 s[0:1], s[4:5], 3
	s_add_u32 s0, s6, s0
	s_addc_u32 s1, s7, s1
	v_mov_b32_e32 v5, 0
	v_lshl_add_u64 v[4:5], s[0:1], 0, v[4:5]
	v_cmp_gt_u32_e32 vcc, s2, v0
	s_and_saveexec_b64 s[0:1], vcc
	s_cbranch_execz .LBB1655_84
; %bb.83:
	v_lshrrev_b32_e32 v11, 2, v0
	v_and_b32_e32 v11, 0x78, v11
	v_lshl_add_u32 v11, v0, 3, v11
	ds_read_b64 v[12:13], v11
	s_waitcnt lgkmcnt(0)
	global_store_dwordx2 v[4:5], v[12:13], off
.LBB1655_84:
	s_or_b64 exec, exec, s[0:1]
	v_cmp_gt_u32_e64 s[0:1], s2, v10
	s_branch .LBB1655_87
.LBB1655_85:
	s_mov_b64 s[0:1], 0
                                        ; implicit-def: $vgpr2_vgpr3
                                        ; implicit-def: $vgpr4_vgpr5
	s_cbranch_execz .LBB1655_87
; %bb.86:
	v_and_b32_e32 v1, 0xf8, v1
	v_lshl_add_u32 v1, v0, 4, v1
	ds_write2_b64 v1, v[6:7], v[8:9] offset1:1
	v_lshrrev_b32_e32 v1, 2, v0
	v_lshlrev_b32_e32 v6, 3, v0
	v_or_b32_e32 v0, 0x200, v0
	v_lshrrev_b32_e32 v0, 2, v0
	v_and_b32_e32 v1, 0x78, v1
	v_and_b32_e32 v0, 0xf8, v0
	v_add_u32_e32 v1, v1, v6
	v_add_u32_e32 v0, v0, v6
	s_mov_b32 s5, 0
	s_waitcnt lgkmcnt(0)
	s_barrier
	ds_read_b64 v[8:9], v1
	ds_read_b64 v[2:3], v0 offset:4096
	s_lshl_b64 s[2:3], s[4:5], 3
	s_add_u32 s2, s6, s2
	s_addc_u32 s3, s7, s3
	v_mov_b32_e32 v7, 0
	v_lshl_add_u64 v[4:5], s[2:3], 0, v[6:7]
	s_or_b64 s[0:1], s[0:1], exec
	s_waitcnt lgkmcnt(1)
	global_store_dwordx2 v6, v[8:9], s[2:3]
.LBB1655_87:
	s_and_saveexec_b64 s[2:3], s[0:1]
	s_cbranch_execnz .LBB1655_89
; %bb.88:
	s_endpgm
.LBB1655_89:
	v_add_co_u32_e32 v0, vcc, 0x1000, v4
	s_nop 1
	v_addc_co_u32_e32 v1, vcc, 0, v5, vcc
	s_waitcnt lgkmcnt(0)
	global_store_dwordx2 v[0:1], v[2:3], off
	s_endpgm
	.section	.rodata,"a",@progbits
	.p2align	6, 0x0
	.amdhsa_kernel _ZN7rocprim17ROCPRIM_400000_NS6detail17trampoline_kernelINS0_14default_configENS1_35adjacent_difference_config_selectorILb1ElEEZNS1_24adjacent_difference_implIS3_Lb1ELb0EPlS7_ZN2at6native12_GLOBAL__N_124unique_dim_cuda_templateImEESt5tupleIJNS8_6TensorESD_SD_EERKSD_lbbbEUlllE1_EE10hipError_tPvRmT2_T3_mT4_P12ihipStream_tbEUlT_E_NS1_11comp_targetILNS1_3genE0ELNS1_11target_archE4294967295ELNS1_3gpuE0ELNS1_3repE0EEENS1_30default_config_static_selectorELNS0_4arch9wavefront6targetE1EEEvT1_
		.amdhsa_group_segment_fixed_size 8448
		.amdhsa_private_segment_fixed_size 0
		.amdhsa_kernarg_size 64
		.amdhsa_user_sgpr_count 2
		.amdhsa_user_sgpr_dispatch_ptr 0
		.amdhsa_user_sgpr_queue_ptr 0
		.amdhsa_user_sgpr_kernarg_segment_ptr 1
		.amdhsa_user_sgpr_dispatch_id 0
		.amdhsa_user_sgpr_kernarg_preload_length 0
		.amdhsa_user_sgpr_kernarg_preload_offset 0
		.amdhsa_user_sgpr_private_segment_size 0
		.amdhsa_uses_dynamic_stack 0
		.amdhsa_enable_private_segment 0
		.amdhsa_system_sgpr_workgroup_id_x 1
		.amdhsa_system_sgpr_workgroup_id_y 0
		.amdhsa_system_sgpr_workgroup_id_z 0
		.amdhsa_system_sgpr_workgroup_info 0
		.amdhsa_system_vgpr_workitem_id 0
		.amdhsa_next_free_vgpr 18
		.amdhsa_next_free_sgpr 36
		.amdhsa_accum_offset 20
		.amdhsa_reserve_vcc 1
		.amdhsa_float_round_mode_32 0
		.amdhsa_float_round_mode_16_64 0
		.amdhsa_float_denorm_mode_32 3
		.amdhsa_float_denorm_mode_16_64 3
		.amdhsa_dx10_clamp 1
		.amdhsa_ieee_mode 1
		.amdhsa_fp16_overflow 0
		.amdhsa_tg_split 0
		.amdhsa_exception_fp_ieee_invalid_op 0
		.amdhsa_exception_fp_denorm_src 0
		.amdhsa_exception_fp_ieee_div_zero 0
		.amdhsa_exception_fp_ieee_overflow 0
		.amdhsa_exception_fp_ieee_underflow 0
		.amdhsa_exception_fp_ieee_inexact 0
		.amdhsa_exception_int_div_zero 0
	.end_amdhsa_kernel
	.section	.text._ZN7rocprim17ROCPRIM_400000_NS6detail17trampoline_kernelINS0_14default_configENS1_35adjacent_difference_config_selectorILb1ElEEZNS1_24adjacent_difference_implIS3_Lb1ELb0EPlS7_ZN2at6native12_GLOBAL__N_124unique_dim_cuda_templateImEESt5tupleIJNS8_6TensorESD_SD_EERKSD_lbbbEUlllE1_EE10hipError_tPvRmT2_T3_mT4_P12ihipStream_tbEUlT_E_NS1_11comp_targetILNS1_3genE0ELNS1_11target_archE4294967295ELNS1_3gpuE0ELNS1_3repE0EEENS1_30default_config_static_selectorELNS0_4arch9wavefront6targetE1EEEvT1_,"axG",@progbits,_ZN7rocprim17ROCPRIM_400000_NS6detail17trampoline_kernelINS0_14default_configENS1_35adjacent_difference_config_selectorILb1ElEEZNS1_24adjacent_difference_implIS3_Lb1ELb0EPlS7_ZN2at6native12_GLOBAL__N_124unique_dim_cuda_templateImEESt5tupleIJNS8_6TensorESD_SD_EERKSD_lbbbEUlllE1_EE10hipError_tPvRmT2_T3_mT4_P12ihipStream_tbEUlT_E_NS1_11comp_targetILNS1_3genE0ELNS1_11target_archE4294967295ELNS1_3gpuE0ELNS1_3repE0EEENS1_30default_config_static_selectorELNS0_4arch9wavefront6targetE1EEEvT1_,comdat
.Lfunc_end1655:
	.size	_ZN7rocprim17ROCPRIM_400000_NS6detail17trampoline_kernelINS0_14default_configENS1_35adjacent_difference_config_selectorILb1ElEEZNS1_24adjacent_difference_implIS3_Lb1ELb0EPlS7_ZN2at6native12_GLOBAL__N_124unique_dim_cuda_templateImEESt5tupleIJNS8_6TensorESD_SD_EERKSD_lbbbEUlllE1_EE10hipError_tPvRmT2_T3_mT4_P12ihipStream_tbEUlT_E_NS1_11comp_targetILNS1_3genE0ELNS1_11target_archE4294967295ELNS1_3gpuE0ELNS1_3repE0EEENS1_30default_config_static_selectorELNS0_4arch9wavefront6targetE1EEEvT1_, .Lfunc_end1655-_ZN7rocprim17ROCPRIM_400000_NS6detail17trampoline_kernelINS0_14default_configENS1_35adjacent_difference_config_selectorILb1ElEEZNS1_24adjacent_difference_implIS3_Lb1ELb0EPlS7_ZN2at6native12_GLOBAL__N_124unique_dim_cuda_templateImEESt5tupleIJNS8_6TensorESD_SD_EERKSD_lbbbEUlllE1_EE10hipError_tPvRmT2_T3_mT4_P12ihipStream_tbEUlT_E_NS1_11comp_targetILNS1_3genE0ELNS1_11target_archE4294967295ELNS1_3gpuE0ELNS1_3repE0EEENS1_30default_config_static_selectorELNS0_4arch9wavefront6targetE1EEEvT1_
                                        ; -- End function
	.set _ZN7rocprim17ROCPRIM_400000_NS6detail17trampoline_kernelINS0_14default_configENS1_35adjacent_difference_config_selectorILb1ElEEZNS1_24adjacent_difference_implIS3_Lb1ELb0EPlS7_ZN2at6native12_GLOBAL__N_124unique_dim_cuda_templateImEESt5tupleIJNS8_6TensorESD_SD_EERKSD_lbbbEUlllE1_EE10hipError_tPvRmT2_T3_mT4_P12ihipStream_tbEUlT_E_NS1_11comp_targetILNS1_3genE0ELNS1_11target_archE4294967295ELNS1_3gpuE0ELNS1_3repE0EEENS1_30default_config_static_selectorELNS0_4arch9wavefront6targetE1EEEvT1_.num_vgpr, 18
	.set _ZN7rocprim17ROCPRIM_400000_NS6detail17trampoline_kernelINS0_14default_configENS1_35adjacent_difference_config_selectorILb1ElEEZNS1_24adjacent_difference_implIS3_Lb1ELb0EPlS7_ZN2at6native12_GLOBAL__N_124unique_dim_cuda_templateImEESt5tupleIJNS8_6TensorESD_SD_EERKSD_lbbbEUlllE1_EE10hipError_tPvRmT2_T3_mT4_P12ihipStream_tbEUlT_E_NS1_11comp_targetILNS1_3genE0ELNS1_11target_archE4294967295ELNS1_3gpuE0ELNS1_3repE0EEENS1_30default_config_static_selectorELNS0_4arch9wavefront6targetE1EEEvT1_.num_agpr, 0
	.set _ZN7rocprim17ROCPRIM_400000_NS6detail17trampoline_kernelINS0_14default_configENS1_35adjacent_difference_config_selectorILb1ElEEZNS1_24adjacent_difference_implIS3_Lb1ELb0EPlS7_ZN2at6native12_GLOBAL__N_124unique_dim_cuda_templateImEESt5tupleIJNS8_6TensorESD_SD_EERKSD_lbbbEUlllE1_EE10hipError_tPvRmT2_T3_mT4_P12ihipStream_tbEUlT_E_NS1_11comp_targetILNS1_3genE0ELNS1_11target_archE4294967295ELNS1_3gpuE0ELNS1_3repE0EEENS1_30default_config_static_selectorELNS0_4arch9wavefront6targetE1EEEvT1_.numbered_sgpr, 36
	.set _ZN7rocprim17ROCPRIM_400000_NS6detail17trampoline_kernelINS0_14default_configENS1_35adjacent_difference_config_selectorILb1ElEEZNS1_24adjacent_difference_implIS3_Lb1ELb0EPlS7_ZN2at6native12_GLOBAL__N_124unique_dim_cuda_templateImEESt5tupleIJNS8_6TensorESD_SD_EERKSD_lbbbEUlllE1_EE10hipError_tPvRmT2_T3_mT4_P12ihipStream_tbEUlT_E_NS1_11comp_targetILNS1_3genE0ELNS1_11target_archE4294967295ELNS1_3gpuE0ELNS1_3repE0EEENS1_30default_config_static_selectorELNS0_4arch9wavefront6targetE1EEEvT1_.num_named_barrier, 0
	.set _ZN7rocprim17ROCPRIM_400000_NS6detail17trampoline_kernelINS0_14default_configENS1_35adjacent_difference_config_selectorILb1ElEEZNS1_24adjacent_difference_implIS3_Lb1ELb0EPlS7_ZN2at6native12_GLOBAL__N_124unique_dim_cuda_templateImEESt5tupleIJNS8_6TensorESD_SD_EERKSD_lbbbEUlllE1_EE10hipError_tPvRmT2_T3_mT4_P12ihipStream_tbEUlT_E_NS1_11comp_targetILNS1_3genE0ELNS1_11target_archE4294967295ELNS1_3gpuE0ELNS1_3repE0EEENS1_30default_config_static_selectorELNS0_4arch9wavefront6targetE1EEEvT1_.private_seg_size, 0
	.set _ZN7rocprim17ROCPRIM_400000_NS6detail17trampoline_kernelINS0_14default_configENS1_35adjacent_difference_config_selectorILb1ElEEZNS1_24adjacent_difference_implIS3_Lb1ELb0EPlS7_ZN2at6native12_GLOBAL__N_124unique_dim_cuda_templateImEESt5tupleIJNS8_6TensorESD_SD_EERKSD_lbbbEUlllE1_EE10hipError_tPvRmT2_T3_mT4_P12ihipStream_tbEUlT_E_NS1_11comp_targetILNS1_3genE0ELNS1_11target_archE4294967295ELNS1_3gpuE0ELNS1_3repE0EEENS1_30default_config_static_selectorELNS0_4arch9wavefront6targetE1EEEvT1_.uses_vcc, 1
	.set _ZN7rocprim17ROCPRIM_400000_NS6detail17trampoline_kernelINS0_14default_configENS1_35adjacent_difference_config_selectorILb1ElEEZNS1_24adjacent_difference_implIS3_Lb1ELb0EPlS7_ZN2at6native12_GLOBAL__N_124unique_dim_cuda_templateImEESt5tupleIJNS8_6TensorESD_SD_EERKSD_lbbbEUlllE1_EE10hipError_tPvRmT2_T3_mT4_P12ihipStream_tbEUlT_E_NS1_11comp_targetILNS1_3genE0ELNS1_11target_archE4294967295ELNS1_3gpuE0ELNS1_3repE0EEENS1_30default_config_static_selectorELNS0_4arch9wavefront6targetE1EEEvT1_.uses_flat_scratch, 0
	.set _ZN7rocprim17ROCPRIM_400000_NS6detail17trampoline_kernelINS0_14default_configENS1_35adjacent_difference_config_selectorILb1ElEEZNS1_24adjacent_difference_implIS3_Lb1ELb0EPlS7_ZN2at6native12_GLOBAL__N_124unique_dim_cuda_templateImEESt5tupleIJNS8_6TensorESD_SD_EERKSD_lbbbEUlllE1_EE10hipError_tPvRmT2_T3_mT4_P12ihipStream_tbEUlT_E_NS1_11comp_targetILNS1_3genE0ELNS1_11target_archE4294967295ELNS1_3gpuE0ELNS1_3repE0EEENS1_30default_config_static_selectorELNS0_4arch9wavefront6targetE1EEEvT1_.has_dyn_sized_stack, 0
	.set _ZN7rocprim17ROCPRIM_400000_NS6detail17trampoline_kernelINS0_14default_configENS1_35adjacent_difference_config_selectorILb1ElEEZNS1_24adjacent_difference_implIS3_Lb1ELb0EPlS7_ZN2at6native12_GLOBAL__N_124unique_dim_cuda_templateImEESt5tupleIJNS8_6TensorESD_SD_EERKSD_lbbbEUlllE1_EE10hipError_tPvRmT2_T3_mT4_P12ihipStream_tbEUlT_E_NS1_11comp_targetILNS1_3genE0ELNS1_11target_archE4294967295ELNS1_3gpuE0ELNS1_3repE0EEENS1_30default_config_static_selectorELNS0_4arch9wavefront6targetE1EEEvT1_.has_recursion, 0
	.set _ZN7rocprim17ROCPRIM_400000_NS6detail17trampoline_kernelINS0_14default_configENS1_35adjacent_difference_config_selectorILb1ElEEZNS1_24adjacent_difference_implIS3_Lb1ELb0EPlS7_ZN2at6native12_GLOBAL__N_124unique_dim_cuda_templateImEESt5tupleIJNS8_6TensorESD_SD_EERKSD_lbbbEUlllE1_EE10hipError_tPvRmT2_T3_mT4_P12ihipStream_tbEUlT_E_NS1_11comp_targetILNS1_3genE0ELNS1_11target_archE4294967295ELNS1_3gpuE0ELNS1_3repE0EEENS1_30default_config_static_selectorELNS0_4arch9wavefront6targetE1EEEvT1_.has_indirect_call, 0
	.section	.AMDGPU.csdata,"",@progbits
; Kernel info:
; codeLenInByte = 3144
; TotalNumSgprs: 42
; NumVgprs: 18
; NumAgprs: 0
; TotalNumVgprs: 18
; ScratchSize: 0
; MemoryBound: 0
; FloatMode: 240
; IeeeMode: 1
; LDSByteSize: 8448 bytes/workgroup (compile time only)
; SGPRBlocks: 5
; VGPRBlocks: 2
; NumSGPRsForWavesPerEU: 42
; NumVGPRsForWavesPerEU: 18
; AccumOffset: 20
; Occupancy: 8
; WaveLimiterHint : 1
; COMPUTE_PGM_RSRC2:SCRATCH_EN: 0
; COMPUTE_PGM_RSRC2:USER_SGPR: 2
; COMPUTE_PGM_RSRC2:TRAP_HANDLER: 0
; COMPUTE_PGM_RSRC2:TGID_X_EN: 1
; COMPUTE_PGM_RSRC2:TGID_Y_EN: 0
; COMPUTE_PGM_RSRC2:TGID_Z_EN: 0
; COMPUTE_PGM_RSRC2:TIDIG_COMP_CNT: 0
; COMPUTE_PGM_RSRC3_GFX90A:ACCUM_OFFSET: 4
; COMPUTE_PGM_RSRC3_GFX90A:TG_SPLIT: 0
	.section	.text._ZN7rocprim17ROCPRIM_400000_NS6detail17trampoline_kernelINS0_14default_configENS1_35adjacent_difference_config_selectorILb1ElEEZNS1_24adjacent_difference_implIS3_Lb1ELb0EPlS7_ZN2at6native12_GLOBAL__N_124unique_dim_cuda_templateImEESt5tupleIJNS8_6TensorESD_SD_EERKSD_lbbbEUlllE1_EE10hipError_tPvRmT2_T3_mT4_P12ihipStream_tbEUlT_E_NS1_11comp_targetILNS1_3genE10ELNS1_11target_archE1201ELNS1_3gpuE5ELNS1_3repE0EEENS1_30default_config_static_selectorELNS0_4arch9wavefront6targetE1EEEvT1_,"axG",@progbits,_ZN7rocprim17ROCPRIM_400000_NS6detail17trampoline_kernelINS0_14default_configENS1_35adjacent_difference_config_selectorILb1ElEEZNS1_24adjacent_difference_implIS3_Lb1ELb0EPlS7_ZN2at6native12_GLOBAL__N_124unique_dim_cuda_templateImEESt5tupleIJNS8_6TensorESD_SD_EERKSD_lbbbEUlllE1_EE10hipError_tPvRmT2_T3_mT4_P12ihipStream_tbEUlT_E_NS1_11comp_targetILNS1_3genE10ELNS1_11target_archE1201ELNS1_3gpuE5ELNS1_3repE0EEENS1_30default_config_static_selectorELNS0_4arch9wavefront6targetE1EEEvT1_,comdat
	.globl	_ZN7rocprim17ROCPRIM_400000_NS6detail17trampoline_kernelINS0_14default_configENS1_35adjacent_difference_config_selectorILb1ElEEZNS1_24adjacent_difference_implIS3_Lb1ELb0EPlS7_ZN2at6native12_GLOBAL__N_124unique_dim_cuda_templateImEESt5tupleIJNS8_6TensorESD_SD_EERKSD_lbbbEUlllE1_EE10hipError_tPvRmT2_T3_mT4_P12ihipStream_tbEUlT_E_NS1_11comp_targetILNS1_3genE10ELNS1_11target_archE1201ELNS1_3gpuE5ELNS1_3repE0EEENS1_30default_config_static_selectorELNS0_4arch9wavefront6targetE1EEEvT1_ ; -- Begin function _ZN7rocprim17ROCPRIM_400000_NS6detail17trampoline_kernelINS0_14default_configENS1_35adjacent_difference_config_selectorILb1ElEEZNS1_24adjacent_difference_implIS3_Lb1ELb0EPlS7_ZN2at6native12_GLOBAL__N_124unique_dim_cuda_templateImEESt5tupleIJNS8_6TensorESD_SD_EERKSD_lbbbEUlllE1_EE10hipError_tPvRmT2_T3_mT4_P12ihipStream_tbEUlT_E_NS1_11comp_targetILNS1_3genE10ELNS1_11target_archE1201ELNS1_3gpuE5ELNS1_3repE0EEENS1_30default_config_static_selectorELNS0_4arch9wavefront6targetE1EEEvT1_
	.p2align	8
	.type	_ZN7rocprim17ROCPRIM_400000_NS6detail17trampoline_kernelINS0_14default_configENS1_35adjacent_difference_config_selectorILb1ElEEZNS1_24adjacent_difference_implIS3_Lb1ELb0EPlS7_ZN2at6native12_GLOBAL__N_124unique_dim_cuda_templateImEESt5tupleIJNS8_6TensorESD_SD_EERKSD_lbbbEUlllE1_EE10hipError_tPvRmT2_T3_mT4_P12ihipStream_tbEUlT_E_NS1_11comp_targetILNS1_3genE10ELNS1_11target_archE1201ELNS1_3gpuE5ELNS1_3repE0EEENS1_30default_config_static_selectorELNS0_4arch9wavefront6targetE1EEEvT1_,@function
_ZN7rocprim17ROCPRIM_400000_NS6detail17trampoline_kernelINS0_14default_configENS1_35adjacent_difference_config_selectorILb1ElEEZNS1_24adjacent_difference_implIS3_Lb1ELb0EPlS7_ZN2at6native12_GLOBAL__N_124unique_dim_cuda_templateImEESt5tupleIJNS8_6TensorESD_SD_EERKSD_lbbbEUlllE1_EE10hipError_tPvRmT2_T3_mT4_P12ihipStream_tbEUlT_E_NS1_11comp_targetILNS1_3genE10ELNS1_11target_archE1201ELNS1_3gpuE5ELNS1_3repE0EEENS1_30default_config_static_selectorELNS0_4arch9wavefront6targetE1EEEvT1_: ; @_ZN7rocprim17ROCPRIM_400000_NS6detail17trampoline_kernelINS0_14default_configENS1_35adjacent_difference_config_selectorILb1ElEEZNS1_24adjacent_difference_implIS3_Lb1ELb0EPlS7_ZN2at6native12_GLOBAL__N_124unique_dim_cuda_templateImEESt5tupleIJNS8_6TensorESD_SD_EERKSD_lbbbEUlllE1_EE10hipError_tPvRmT2_T3_mT4_P12ihipStream_tbEUlT_E_NS1_11comp_targetILNS1_3genE10ELNS1_11target_archE1201ELNS1_3gpuE5ELNS1_3repE0EEENS1_30default_config_static_selectorELNS0_4arch9wavefront6targetE1EEEvT1_
; %bb.0:
	.section	.rodata,"a",@progbits
	.p2align	6, 0x0
	.amdhsa_kernel _ZN7rocprim17ROCPRIM_400000_NS6detail17trampoline_kernelINS0_14default_configENS1_35adjacent_difference_config_selectorILb1ElEEZNS1_24adjacent_difference_implIS3_Lb1ELb0EPlS7_ZN2at6native12_GLOBAL__N_124unique_dim_cuda_templateImEESt5tupleIJNS8_6TensorESD_SD_EERKSD_lbbbEUlllE1_EE10hipError_tPvRmT2_T3_mT4_P12ihipStream_tbEUlT_E_NS1_11comp_targetILNS1_3genE10ELNS1_11target_archE1201ELNS1_3gpuE5ELNS1_3repE0EEENS1_30default_config_static_selectorELNS0_4arch9wavefront6targetE1EEEvT1_
		.amdhsa_group_segment_fixed_size 0
		.amdhsa_private_segment_fixed_size 0
		.amdhsa_kernarg_size 64
		.amdhsa_user_sgpr_count 2
		.amdhsa_user_sgpr_dispatch_ptr 0
		.amdhsa_user_sgpr_queue_ptr 0
		.amdhsa_user_sgpr_kernarg_segment_ptr 1
		.amdhsa_user_sgpr_dispatch_id 0
		.amdhsa_user_sgpr_kernarg_preload_length 0
		.amdhsa_user_sgpr_kernarg_preload_offset 0
		.amdhsa_user_sgpr_private_segment_size 0
		.amdhsa_uses_dynamic_stack 0
		.amdhsa_enable_private_segment 0
		.amdhsa_system_sgpr_workgroup_id_x 1
		.amdhsa_system_sgpr_workgroup_id_y 0
		.amdhsa_system_sgpr_workgroup_id_z 0
		.amdhsa_system_sgpr_workgroup_info 0
		.amdhsa_system_vgpr_workitem_id 0
		.amdhsa_next_free_vgpr 1
		.amdhsa_next_free_sgpr 0
		.amdhsa_accum_offset 4
		.amdhsa_reserve_vcc 0
		.amdhsa_float_round_mode_32 0
		.amdhsa_float_round_mode_16_64 0
		.amdhsa_float_denorm_mode_32 3
		.amdhsa_float_denorm_mode_16_64 3
		.amdhsa_dx10_clamp 1
		.amdhsa_ieee_mode 1
		.amdhsa_fp16_overflow 0
		.amdhsa_tg_split 0
		.amdhsa_exception_fp_ieee_invalid_op 0
		.amdhsa_exception_fp_denorm_src 0
		.amdhsa_exception_fp_ieee_div_zero 0
		.amdhsa_exception_fp_ieee_overflow 0
		.amdhsa_exception_fp_ieee_underflow 0
		.amdhsa_exception_fp_ieee_inexact 0
		.amdhsa_exception_int_div_zero 0
	.end_amdhsa_kernel
	.section	.text._ZN7rocprim17ROCPRIM_400000_NS6detail17trampoline_kernelINS0_14default_configENS1_35adjacent_difference_config_selectorILb1ElEEZNS1_24adjacent_difference_implIS3_Lb1ELb0EPlS7_ZN2at6native12_GLOBAL__N_124unique_dim_cuda_templateImEESt5tupleIJNS8_6TensorESD_SD_EERKSD_lbbbEUlllE1_EE10hipError_tPvRmT2_T3_mT4_P12ihipStream_tbEUlT_E_NS1_11comp_targetILNS1_3genE10ELNS1_11target_archE1201ELNS1_3gpuE5ELNS1_3repE0EEENS1_30default_config_static_selectorELNS0_4arch9wavefront6targetE1EEEvT1_,"axG",@progbits,_ZN7rocprim17ROCPRIM_400000_NS6detail17trampoline_kernelINS0_14default_configENS1_35adjacent_difference_config_selectorILb1ElEEZNS1_24adjacent_difference_implIS3_Lb1ELb0EPlS7_ZN2at6native12_GLOBAL__N_124unique_dim_cuda_templateImEESt5tupleIJNS8_6TensorESD_SD_EERKSD_lbbbEUlllE1_EE10hipError_tPvRmT2_T3_mT4_P12ihipStream_tbEUlT_E_NS1_11comp_targetILNS1_3genE10ELNS1_11target_archE1201ELNS1_3gpuE5ELNS1_3repE0EEENS1_30default_config_static_selectorELNS0_4arch9wavefront6targetE1EEEvT1_,comdat
.Lfunc_end1656:
	.size	_ZN7rocprim17ROCPRIM_400000_NS6detail17trampoline_kernelINS0_14default_configENS1_35adjacent_difference_config_selectorILb1ElEEZNS1_24adjacent_difference_implIS3_Lb1ELb0EPlS7_ZN2at6native12_GLOBAL__N_124unique_dim_cuda_templateImEESt5tupleIJNS8_6TensorESD_SD_EERKSD_lbbbEUlllE1_EE10hipError_tPvRmT2_T3_mT4_P12ihipStream_tbEUlT_E_NS1_11comp_targetILNS1_3genE10ELNS1_11target_archE1201ELNS1_3gpuE5ELNS1_3repE0EEENS1_30default_config_static_selectorELNS0_4arch9wavefront6targetE1EEEvT1_, .Lfunc_end1656-_ZN7rocprim17ROCPRIM_400000_NS6detail17trampoline_kernelINS0_14default_configENS1_35adjacent_difference_config_selectorILb1ElEEZNS1_24adjacent_difference_implIS3_Lb1ELb0EPlS7_ZN2at6native12_GLOBAL__N_124unique_dim_cuda_templateImEESt5tupleIJNS8_6TensorESD_SD_EERKSD_lbbbEUlllE1_EE10hipError_tPvRmT2_T3_mT4_P12ihipStream_tbEUlT_E_NS1_11comp_targetILNS1_3genE10ELNS1_11target_archE1201ELNS1_3gpuE5ELNS1_3repE0EEENS1_30default_config_static_selectorELNS0_4arch9wavefront6targetE1EEEvT1_
                                        ; -- End function
	.set _ZN7rocprim17ROCPRIM_400000_NS6detail17trampoline_kernelINS0_14default_configENS1_35adjacent_difference_config_selectorILb1ElEEZNS1_24adjacent_difference_implIS3_Lb1ELb0EPlS7_ZN2at6native12_GLOBAL__N_124unique_dim_cuda_templateImEESt5tupleIJNS8_6TensorESD_SD_EERKSD_lbbbEUlllE1_EE10hipError_tPvRmT2_T3_mT4_P12ihipStream_tbEUlT_E_NS1_11comp_targetILNS1_3genE10ELNS1_11target_archE1201ELNS1_3gpuE5ELNS1_3repE0EEENS1_30default_config_static_selectorELNS0_4arch9wavefront6targetE1EEEvT1_.num_vgpr, 0
	.set _ZN7rocprim17ROCPRIM_400000_NS6detail17trampoline_kernelINS0_14default_configENS1_35adjacent_difference_config_selectorILb1ElEEZNS1_24adjacent_difference_implIS3_Lb1ELb0EPlS7_ZN2at6native12_GLOBAL__N_124unique_dim_cuda_templateImEESt5tupleIJNS8_6TensorESD_SD_EERKSD_lbbbEUlllE1_EE10hipError_tPvRmT2_T3_mT4_P12ihipStream_tbEUlT_E_NS1_11comp_targetILNS1_3genE10ELNS1_11target_archE1201ELNS1_3gpuE5ELNS1_3repE0EEENS1_30default_config_static_selectorELNS0_4arch9wavefront6targetE1EEEvT1_.num_agpr, 0
	.set _ZN7rocprim17ROCPRIM_400000_NS6detail17trampoline_kernelINS0_14default_configENS1_35adjacent_difference_config_selectorILb1ElEEZNS1_24adjacent_difference_implIS3_Lb1ELb0EPlS7_ZN2at6native12_GLOBAL__N_124unique_dim_cuda_templateImEESt5tupleIJNS8_6TensorESD_SD_EERKSD_lbbbEUlllE1_EE10hipError_tPvRmT2_T3_mT4_P12ihipStream_tbEUlT_E_NS1_11comp_targetILNS1_3genE10ELNS1_11target_archE1201ELNS1_3gpuE5ELNS1_3repE0EEENS1_30default_config_static_selectorELNS0_4arch9wavefront6targetE1EEEvT1_.numbered_sgpr, 0
	.set _ZN7rocprim17ROCPRIM_400000_NS6detail17trampoline_kernelINS0_14default_configENS1_35adjacent_difference_config_selectorILb1ElEEZNS1_24adjacent_difference_implIS3_Lb1ELb0EPlS7_ZN2at6native12_GLOBAL__N_124unique_dim_cuda_templateImEESt5tupleIJNS8_6TensorESD_SD_EERKSD_lbbbEUlllE1_EE10hipError_tPvRmT2_T3_mT4_P12ihipStream_tbEUlT_E_NS1_11comp_targetILNS1_3genE10ELNS1_11target_archE1201ELNS1_3gpuE5ELNS1_3repE0EEENS1_30default_config_static_selectorELNS0_4arch9wavefront6targetE1EEEvT1_.num_named_barrier, 0
	.set _ZN7rocprim17ROCPRIM_400000_NS6detail17trampoline_kernelINS0_14default_configENS1_35adjacent_difference_config_selectorILb1ElEEZNS1_24adjacent_difference_implIS3_Lb1ELb0EPlS7_ZN2at6native12_GLOBAL__N_124unique_dim_cuda_templateImEESt5tupleIJNS8_6TensorESD_SD_EERKSD_lbbbEUlllE1_EE10hipError_tPvRmT2_T3_mT4_P12ihipStream_tbEUlT_E_NS1_11comp_targetILNS1_3genE10ELNS1_11target_archE1201ELNS1_3gpuE5ELNS1_3repE0EEENS1_30default_config_static_selectorELNS0_4arch9wavefront6targetE1EEEvT1_.private_seg_size, 0
	.set _ZN7rocprim17ROCPRIM_400000_NS6detail17trampoline_kernelINS0_14default_configENS1_35adjacent_difference_config_selectorILb1ElEEZNS1_24adjacent_difference_implIS3_Lb1ELb0EPlS7_ZN2at6native12_GLOBAL__N_124unique_dim_cuda_templateImEESt5tupleIJNS8_6TensorESD_SD_EERKSD_lbbbEUlllE1_EE10hipError_tPvRmT2_T3_mT4_P12ihipStream_tbEUlT_E_NS1_11comp_targetILNS1_3genE10ELNS1_11target_archE1201ELNS1_3gpuE5ELNS1_3repE0EEENS1_30default_config_static_selectorELNS0_4arch9wavefront6targetE1EEEvT1_.uses_vcc, 0
	.set _ZN7rocprim17ROCPRIM_400000_NS6detail17trampoline_kernelINS0_14default_configENS1_35adjacent_difference_config_selectorILb1ElEEZNS1_24adjacent_difference_implIS3_Lb1ELb0EPlS7_ZN2at6native12_GLOBAL__N_124unique_dim_cuda_templateImEESt5tupleIJNS8_6TensorESD_SD_EERKSD_lbbbEUlllE1_EE10hipError_tPvRmT2_T3_mT4_P12ihipStream_tbEUlT_E_NS1_11comp_targetILNS1_3genE10ELNS1_11target_archE1201ELNS1_3gpuE5ELNS1_3repE0EEENS1_30default_config_static_selectorELNS0_4arch9wavefront6targetE1EEEvT1_.uses_flat_scratch, 0
	.set _ZN7rocprim17ROCPRIM_400000_NS6detail17trampoline_kernelINS0_14default_configENS1_35adjacent_difference_config_selectorILb1ElEEZNS1_24adjacent_difference_implIS3_Lb1ELb0EPlS7_ZN2at6native12_GLOBAL__N_124unique_dim_cuda_templateImEESt5tupleIJNS8_6TensorESD_SD_EERKSD_lbbbEUlllE1_EE10hipError_tPvRmT2_T3_mT4_P12ihipStream_tbEUlT_E_NS1_11comp_targetILNS1_3genE10ELNS1_11target_archE1201ELNS1_3gpuE5ELNS1_3repE0EEENS1_30default_config_static_selectorELNS0_4arch9wavefront6targetE1EEEvT1_.has_dyn_sized_stack, 0
	.set _ZN7rocprim17ROCPRIM_400000_NS6detail17trampoline_kernelINS0_14default_configENS1_35adjacent_difference_config_selectorILb1ElEEZNS1_24adjacent_difference_implIS3_Lb1ELb0EPlS7_ZN2at6native12_GLOBAL__N_124unique_dim_cuda_templateImEESt5tupleIJNS8_6TensorESD_SD_EERKSD_lbbbEUlllE1_EE10hipError_tPvRmT2_T3_mT4_P12ihipStream_tbEUlT_E_NS1_11comp_targetILNS1_3genE10ELNS1_11target_archE1201ELNS1_3gpuE5ELNS1_3repE0EEENS1_30default_config_static_selectorELNS0_4arch9wavefront6targetE1EEEvT1_.has_recursion, 0
	.set _ZN7rocprim17ROCPRIM_400000_NS6detail17trampoline_kernelINS0_14default_configENS1_35adjacent_difference_config_selectorILb1ElEEZNS1_24adjacent_difference_implIS3_Lb1ELb0EPlS7_ZN2at6native12_GLOBAL__N_124unique_dim_cuda_templateImEESt5tupleIJNS8_6TensorESD_SD_EERKSD_lbbbEUlllE1_EE10hipError_tPvRmT2_T3_mT4_P12ihipStream_tbEUlT_E_NS1_11comp_targetILNS1_3genE10ELNS1_11target_archE1201ELNS1_3gpuE5ELNS1_3repE0EEENS1_30default_config_static_selectorELNS0_4arch9wavefront6targetE1EEEvT1_.has_indirect_call, 0
	.section	.AMDGPU.csdata,"",@progbits
; Kernel info:
; codeLenInByte = 0
; TotalNumSgprs: 6
; NumVgprs: 0
; NumAgprs: 0
; TotalNumVgprs: 0
; ScratchSize: 0
; MemoryBound: 0
; FloatMode: 240
; IeeeMode: 1
; LDSByteSize: 0 bytes/workgroup (compile time only)
; SGPRBlocks: 0
; VGPRBlocks: 0
; NumSGPRsForWavesPerEU: 6
; NumVGPRsForWavesPerEU: 1
; AccumOffset: 4
; Occupancy: 8
; WaveLimiterHint : 0
; COMPUTE_PGM_RSRC2:SCRATCH_EN: 0
; COMPUTE_PGM_RSRC2:USER_SGPR: 2
; COMPUTE_PGM_RSRC2:TRAP_HANDLER: 0
; COMPUTE_PGM_RSRC2:TGID_X_EN: 1
; COMPUTE_PGM_RSRC2:TGID_Y_EN: 0
; COMPUTE_PGM_RSRC2:TGID_Z_EN: 0
; COMPUTE_PGM_RSRC2:TIDIG_COMP_CNT: 0
; COMPUTE_PGM_RSRC3_GFX90A:ACCUM_OFFSET: 0
; COMPUTE_PGM_RSRC3_GFX90A:TG_SPLIT: 0
	.section	.text._ZN7rocprim17ROCPRIM_400000_NS6detail17trampoline_kernelINS0_14default_configENS1_35adjacent_difference_config_selectorILb1ElEEZNS1_24adjacent_difference_implIS3_Lb1ELb0EPlS7_ZN2at6native12_GLOBAL__N_124unique_dim_cuda_templateImEESt5tupleIJNS8_6TensorESD_SD_EERKSD_lbbbEUlllE1_EE10hipError_tPvRmT2_T3_mT4_P12ihipStream_tbEUlT_E_NS1_11comp_targetILNS1_3genE5ELNS1_11target_archE942ELNS1_3gpuE9ELNS1_3repE0EEENS1_30default_config_static_selectorELNS0_4arch9wavefront6targetE1EEEvT1_,"axG",@progbits,_ZN7rocprim17ROCPRIM_400000_NS6detail17trampoline_kernelINS0_14default_configENS1_35adjacent_difference_config_selectorILb1ElEEZNS1_24adjacent_difference_implIS3_Lb1ELb0EPlS7_ZN2at6native12_GLOBAL__N_124unique_dim_cuda_templateImEESt5tupleIJNS8_6TensorESD_SD_EERKSD_lbbbEUlllE1_EE10hipError_tPvRmT2_T3_mT4_P12ihipStream_tbEUlT_E_NS1_11comp_targetILNS1_3genE5ELNS1_11target_archE942ELNS1_3gpuE9ELNS1_3repE0EEENS1_30default_config_static_selectorELNS0_4arch9wavefront6targetE1EEEvT1_,comdat
	.globl	_ZN7rocprim17ROCPRIM_400000_NS6detail17trampoline_kernelINS0_14default_configENS1_35adjacent_difference_config_selectorILb1ElEEZNS1_24adjacent_difference_implIS3_Lb1ELb0EPlS7_ZN2at6native12_GLOBAL__N_124unique_dim_cuda_templateImEESt5tupleIJNS8_6TensorESD_SD_EERKSD_lbbbEUlllE1_EE10hipError_tPvRmT2_T3_mT4_P12ihipStream_tbEUlT_E_NS1_11comp_targetILNS1_3genE5ELNS1_11target_archE942ELNS1_3gpuE9ELNS1_3repE0EEENS1_30default_config_static_selectorELNS0_4arch9wavefront6targetE1EEEvT1_ ; -- Begin function _ZN7rocprim17ROCPRIM_400000_NS6detail17trampoline_kernelINS0_14default_configENS1_35adjacent_difference_config_selectorILb1ElEEZNS1_24adjacent_difference_implIS3_Lb1ELb0EPlS7_ZN2at6native12_GLOBAL__N_124unique_dim_cuda_templateImEESt5tupleIJNS8_6TensorESD_SD_EERKSD_lbbbEUlllE1_EE10hipError_tPvRmT2_T3_mT4_P12ihipStream_tbEUlT_E_NS1_11comp_targetILNS1_3genE5ELNS1_11target_archE942ELNS1_3gpuE9ELNS1_3repE0EEENS1_30default_config_static_selectorELNS0_4arch9wavefront6targetE1EEEvT1_
	.p2align	8
	.type	_ZN7rocprim17ROCPRIM_400000_NS6detail17trampoline_kernelINS0_14default_configENS1_35adjacent_difference_config_selectorILb1ElEEZNS1_24adjacent_difference_implIS3_Lb1ELb0EPlS7_ZN2at6native12_GLOBAL__N_124unique_dim_cuda_templateImEESt5tupleIJNS8_6TensorESD_SD_EERKSD_lbbbEUlllE1_EE10hipError_tPvRmT2_T3_mT4_P12ihipStream_tbEUlT_E_NS1_11comp_targetILNS1_3genE5ELNS1_11target_archE942ELNS1_3gpuE9ELNS1_3repE0EEENS1_30default_config_static_selectorELNS0_4arch9wavefront6targetE1EEEvT1_,@function
_ZN7rocprim17ROCPRIM_400000_NS6detail17trampoline_kernelINS0_14default_configENS1_35adjacent_difference_config_selectorILb1ElEEZNS1_24adjacent_difference_implIS3_Lb1ELb0EPlS7_ZN2at6native12_GLOBAL__N_124unique_dim_cuda_templateImEESt5tupleIJNS8_6TensorESD_SD_EERKSD_lbbbEUlllE1_EE10hipError_tPvRmT2_T3_mT4_P12ihipStream_tbEUlT_E_NS1_11comp_targetILNS1_3genE5ELNS1_11target_archE942ELNS1_3gpuE9ELNS1_3repE0EEENS1_30default_config_static_selectorELNS0_4arch9wavefront6targetE1EEEvT1_: ; @_ZN7rocprim17ROCPRIM_400000_NS6detail17trampoline_kernelINS0_14default_configENS1_35adjacent_difference_config_selectorILb1ElEEZNS1_24adjacent_difference_implIS3_Lb1ELb0EPlS7_ZN2at6native12_GLOBAL__N_124unique_dim_cuda_templateImEESt5tupleIJNS8_6TensorESD_SD_EERKSD_lbbbEUlllE1_EE10hipError_tPvRmT2_T3_mT4_P12ihipStream_tbEUlT_E_NS1_11comp_targetILNS1_3genE5ELNS1_11target_archE942ELNS1_3gpuE9ELNS1_3repE0EEENS1_30default_config_static_selectorELNS0_4arch9wavefront6targetE1EEEvT1_
; %bb.0:
	.section	.rodata,"a",@progbits
	.p2align	6, 0x0
	.amdhsa_kernel _ZN7rocprim17ROCPRIM_400000_NS6detail17trampoline_kernelINS0_14default_configENS1_35adjacent_difference_config_selectorILb1ElEEZNS1_24adjacent_difference_implIS3_Lb1ELb0EPlS7_ZN2at6native12_GLOBAL__N_124unique_dim_cuda_templateImEESt5tupleIJNS8_6TensorESD_SD_EERKSD_lbbbEUlllE1_EE10hipError_tPvRmT2_T3_mT4_P12ihipStream_tbEUlT_E_NS1_11comp_targetILNS1_3genE5ELNS1_11target_archE942ELNS1_3gpuE9ELNS1_3repE0EEENS1_30default_config_static_selectorELNS0_4arch9wavefront6targetE1EEEvT1_
		.amdhsa_group_segment_fixed_size 0
		.amdhsa_private_segment_fixed_size 0
		.amdhsa_kernarg_size 64
		.amdhsa_user_sgpr_count 2
		.amdhsa_user_sgpr_dispatch_ptr 0
		.amdhsa_user_sgpr_queue_ptr 0
		.amdhsa_user_sgpr_kernarg_segment_ptr 1
		.amdhsa_user_sgpr_dispatch_id 0
		.amdhsa_user_sgpr_kernarg_preload_length 0
		.amdhsa_user_sgpr_kernarg_preload_offset 0
		.amdhsa_user_sgpr_private_segment_size 0
		.amdhsa_uses_dynamic_stack 0
		.amdhsa_enable_private_segment 0
		.amdhsa_system_sgpr_workgroup_id_x 1
		.amdhsa_system_sgpr_workgroup_id_y 0
		.amdhsa_system_sgpr_workgroup_id_z 0
		.amdhsa_system_sgpr_workgroup_info 0
		.amdhsa_system_vgpr_workitem_id 0
		.amdhsa_next_free_vgpr 1
		.amdhsa_next_free_sgpr 0
		.amdhsa_accum_offset 4
		.amdhsa_reserve_vcc 0
		.amdhsa_float_round_mode_32 0
		.amdhsa_float_round_mode_16_64 0
		.amdhsa_float_denorm_mode_32 3
		.amdhsa_float_denorm_mode_16_64 3
		.amdhsa_dx10_clamp 1
		.amdhsa_ieee_mode 1
		.amdhsa_fp16_overflow 0
		.amdhsa_tg_split 0
		.amdhsa_exception_fp_ieee_invalid_op 0
		.amdhsa_exception_fp_denorm_src 0
		.amdhsa_exception_fp_ieee_div_zero 0
		.amdhsa_exception_fp_ieee_overflow 0
		.amdhsa_exception_fp_ieee_underflow 0
		.amdhsa_exception_fp_ieee_inexact 0
		.amdhsa_exception_int_div_zero 0
	.end_amdhsa_kernel
	.section	.text._ZN7rocprim17ROCPRIM_400000_NS6detail17trampoline_kernelINS0_14default_configENS1_35adjacent_difference_config_selectorILb1ElEEZNS1_24adjacent_difference_implIS3_Lb1ELb0EPlS7_ZN2at6native12_GLOBAL__N_124unique_dim_cuda_templateImEESt5tupleIJNS8_6TensorESD_SD_EERKSD_lbbbEUlllE1_EE10hipError_tPvRmT2_T3_mT4_P12ihipStream_tbEUlT_E_NS1_11comp_targetILNS1_3genE5ELNS1_11target_archE942ELNS1_3gpuE9ELNS1_3repE0EEENS1_30default_config_static_selectorELNS0_4arch9wavefront6targetE1EEEvT1_,"axG",@progbits,_ZN7rocprim17ROCPRIM_400000_NS6detail17trampoline_kernelINS0_14default_configENS1_35adjacent_difference_config_selectorILb1ElEEZNS1_24adjacent_difference_implIS3_Lb1ELb0EPlS7_ZN2at6native12_GLOBAL__N_124unique_dim_cuda_templateImEESt5tupleIJNS8_6TensorESD_SD_EERKSD_lbbbEUlllE1_EE10hipError_tPvRmT2_T3_mT4_P12ihipStream_tbEUlT_E_NS1_11comp_targetILNS1_3genE5ELNS1_11target_archE942ELNS1_3gpuE9ELNS1_3repE0EEENS1_30default_config_static_selectorELNS0_4arch9wavefront6targetE1EEEvT1_,comdat
.Lfunc_end1657:
	.size	_ZN7rocprim17ROCPRIM_400000_NS6detail17trampoline_kernelINS0_14default_configENS1_35adjacent_difference_config_selectorILb1ElEEZNS1_24adjacent_difference_implIS3_Lb1ELb0EPlS7_ZN2at6native12_GLOBAL__N_124unique_dim_cuda_templateImEESt5tupleIJNS8_6TensorESD_SD_EERKSD_lbbbEUlllE1_EE10hipError_tPvRmT2_T3_mT4_P12ihipStream_tbEUlT_E_NS1_11comp_targetILNS1_3genE5ELNS1_11target_archE942ELNS1_3gpuE9ELNS1_3repE0EEENS1_30default_config_static_selectorELNS0_4arch9wavefront6targetE1EEEvT1_, .Lfunc_end1657-_ZN7rocprim17ROCPRIM_400000_NS6detail17trampoline_kernelINS0_14default_configENS1_35adjacent_difference_config_selectorILb1ElEEZNS1_24adjacent_difference_implIS3_Lb1ELb0EPlS7_ZN2at6native12_GLOBAL__N_124unique_dim_cuda_templateImEESt5tupleIJNS8_6TensorESD_SD_EERKSD_lbbbEUlllE1_EE10hipError_tPvRmT2_T3_mT4_P12ihipStream_tbEUlT_E_NS1_11comp_targetILNS1_3genE5ELNS1_11target_archE942ELNS1_3gpuE9ELNS1_3repE0EEENS1_30default_config_static_selectorELNS0_4arch9wavefront6targetE1EEEvT1_
                                        ; -- End function
	.set _ZN7rocprim17ROCPRIM_400000_NS6detail17trampoline_kernelINS0_14default_configENS1_35adjacent_difference_config_selectorILb1ElEEZNS1_24adjacent_difference_implIS3_Lb1ELb0EPlS7_ZN2at6native12_GLOBAL__N_124unique_dim_cuda_templateImEESt5tupleIJNS8_6TensorESD_SD_EERKSD_lbbbEUlllE1_EE10hipError_tPvRmT2_T3_mT4_P12ihipStream_tbEUlT_E_NS1_11comp_targetILNS1_3genE5ELNS1_11target_archE942ELNS1_3gpuE9ELNS1_3repE0EEENS1_30default_config_static_selectorELNS0_4arch9wavefront6targetE1EEEvT1_.num_vgpr, 0
	.set _ZN7rocprim17ROCPRIM_400000_NS6detail17trampoline_kernelINS0_14default_configENS1_35adjacent_difference_config_selectorILb1ElEEZNS1_24adjacent_difference_implIS3_Lb1ELb0EPlS7_ZN2at6native12_GLOBAL__N_124unique_dim_cuda_templateImEESt5tupleIJNS8_6TensorESD_SD_EERKSD_lbbbEUlllE1_EE10hipError_tPvRmT2_T3_mT4_P12ihipStream_tbEUlT_E_NS1_11comp_targetILNS1_3genE5ELNS1_11target_archE942ELNS1_3gpuE9ELNS1_3repE0EEENS1_30default_config_static_selectorELNS0_4arch9wavefront6targetE1EEEvT1_.num_agpr, 0
	.set _ZN7rocprim17ROCPRIM_400000_NS6detail17trampoline_kernelINS0_14default_configENS1_35adjacent_difference_config_selectorILb1ElEEZNS1_24adjacent_difference_implIS3_Lb1ELb0EPlS7_ZN2at6native12_GLOBAL__N_124unique_dim_cuda_templateImEESt5tupleIJNS8_6TensorESD_SD_EERKSD_lbbbEUlllE1_EE10hipError_tPvRmT2_T3_mT4_P12ihipStream_tbEUlT_E_NS1_11comp_targetILNS1_3genE5ELNS1_11target_archE942ELNS1_3gpuE9ELNS1_3repE0EEENS1_30default_config_static_selectorELNS0_4arch9wavefront6targetE1EEEvT1_.numbered_sgpr, 0
	.set _ZN7rocprim17ROCPRIM_400000_NS6detail17trampoline_kernelINS0_14default_configENS1_35adjacent_difference_config_selectorILb1ElEEZNS1_24adjacent_difference_implIS3_Lb1ELb0EPlS7_ZN2at6native12_GLOBAL__N_124unique_dim_cuda_templateImEESt5tupleIJNS8_6TensorESD_SD_EERKSD_lbbbEUlllE1_EE10hipError_tPvRmT2_T3_mT4_P12ihipStream_tbEUlT_E_NS1_11comp_targetILNS1_3genE5ELNS1_11target_archE942ELNS1_3gpuE9ELNS1_3repE0EEENS1_30default_config_static_selectorELNS0_4arch9wavefront6targetE1EEEvT1_.num_named_barrier, 0
	.set _ZN7rocprim17ROCPRIM_400000_NS6detail17trampoline_kernelINS0_14default_configENS1_35adjacent_difference_config_selectorILb1ElEEZNS1_24adjacent_difference_implIS3_Lb1ELb0EPlS7_ZN2at6native12_GLOBAL__N_124unique_dim_cuda_templateImEESt5tupleIJNS8_6TensorESD_SD_EERKSD_lbbbEUlllE1_EE10hipError_tPvRmT2_T3_mT4_P12ihipStream_tbEUlT_E_NS1_11comp_targetILNS1_3genE5ELNS1_11target_archE942ELNS1_3gpuE9ELNS1_3repE0EEENS1_30default_config_static_selectorELNS0_4arch9wavefront6targetE1EEEvT1_.private_seg_size, 0
	.set _ZN7rocprim17ROCPRIM_400000_NS6detail17trampoline_kernelINS0_14default_configENS1_35adjacent_difference_config_selectorILb1ElEEZNS1_24adjacent_difference_implIS3_Lb1ELb0EPlS7_ZN2at6native12_GLOBAL__N_124unique_dim_cuda_templateImEESt5tupleIJNS8_6TensorESD_SD_EERKSD_lbbbEUlllE1_EE10hipError_tPvRmT2_T3_mT4_P12ihipStream_tbEUlT_E_NS1_11comp_targetILNS1_3genE5ELNS1_11target_archE942ELNS1_3gpuE9ELNS1_3repE0EEENS1_30default_config_static_selectorELNS0_4arch9wavefront6targetE1EEEvT1_.uses_vcc, 0
	.set _ZN7rocprim17ROCPRIM_400000_NS6detail17trampoline_kernelINS0_14default_configENS1_35adjacent_difference_config_selectorILb1ElEEZNS1_24adjacent_difference_implIS3_Lb1ELb0EPlS7_ZN2at6native12_GLOBAL__N_124unique_dim_cuda_templateImEESt5tupleIJNS8_6TensorESD_SD_EERKSD_lbbbEUlllE1_EE10hipError_tPvRmT2_T3_mT4_P12ihipStream_tbEUlT_E_NS1_11comp_targetILNS1_3genE5ELNS1_11target_archE942ELNS1_3gpuE9ELNS1_3repE0EEENS1_30default_config_static_selectorELNS0_4arch9wavefront6targetE1EEEvT1_.uses_flat_scratch, 0
	.set _ZN7rocprim17ROCPRIM_400000_NS6detail17trampoline_kernelINS0_14default_configENS1_35adjacent_difference_config_selectorILb1ElEEZNS1_24adjacent_difference_implIS3_Lb1ELb0EPlS7_ZN2at6native12_GLOBAL__N_124unique_dim_cuda_templateImEESt5tupleIJNS8_6TensorESD_SD_EERKSD_lbbbEUlllE1_EE10hipError_tPvRmT2_T3_mT4_P12ihipStream_tbEUlT_E_NS1_11comp_targetILNS1_3genE5ELNS1_11target_archE942ELNS1_3gpuE9ELNS1_3repE0EEENS1_30default_config_static_selectorELNS0_4arch9wavefront6targetE1EEEvT1_.has_dyn_sized_stack, 0
	.set _ZN7rocprim17ROCPRIM_400000_NS6detail17trampoline_kernelINS0_14default_configENS1_35adjacent_difference_config_selectorILb1ElEEZNS1_24adjacent_difference_implIS3_Lb1ELb0EPlS7_ZN2at6native12_GLOBAL__N_124unique_dim_cuda_templateImEESt5tupleIJNS8_6TensorESD_SD_EERKSD_lbbbEUlllE1_EE10hipError_tPvRmT2_T3_mT4_P12ihipStream_tbEUlT_E_NS1_11comp_targetILNS1_3genE5ELNS1_11target_archE942ELNS1_3gpuE9ELNS1_3repE0EEENS1_30default_config_static_selectorELNS0_4arch9wavefront6targetE1EEEvT1_.has_recursion, 0
	.set _ZN7rocprim17ROCPRIM_400000_NS6detail17trampoline_kernelINS0_14default_configENS1_35adjacent_difference_config_selectorILb1ElEEZNS1_24adjacent_difference_implIS3_Lb1ELb0EPlS7_ZN2at6native12_GLOBAL__N_124unique_dim_cuda_templateImEESt5tupleIJNS8_6TensorESD_SD_EERKSD_lbbbEUlllE1_EE10hipError_tPvRmT2_T3_mT4_P12ihipStream_tbEUlT_E_NS1_11comp_targetILNS1_3genE5ELNS1_11target_archE942ELNS1_3gpuE9ELNS1_3repE0EEENS1_30default_config_static_selectorELNS0_4arch9wavefront6targetE1EEEvT1_.has_indirect_call, 0
	.section	.AMDGPU.csdata,"",@progbits
; Kernel info:
; codeLenInByte = 0
; TotalNumSgprs: 6
; NumVgprs: 0
; NumAgprs: 0
; TotalNumVgprs: 0
; ScratchSize: 0
; MemoryBound: 0
; FloatMode: 240
; IeeeMode: 1
; LDSByteSize: 0 bytes/workgroup (compile time only)
; SGPRBlocks: 0
; VGPRBlocks: 0
; NumSGPRsForWavesPerEU: 6
; NumVGPRsForWavesPerEU: 1
; AccumOffset: 4
; Occupancy: 8
; WaveLimiterHint : 0
; COMPUTE_PGM_RSRC2:SCRATCH_EN: 0
; COMPUTE_PGM_RSRC2:USER_SGPR: 2
; COMPUTE_PGM_RSRC2:TRAP_HANDLER: 0
; COMPUTE_PGM_RSRC2:TGID_X_EN: 1
; COMPUTE_PGM_RSRC2:TGID_Y_EN: 0
; COMPUTE_PGM_RSRC2:TGID_Z_EN: 0
; COMPUTE_PGM_RSRC2:TIDIG_COMP_CNT: 0
; COMPUTE_PGM_RSRC3_GFX90A:ACCUM_OFFSET: 0
; COMPUTE_PGM_RSRC3_GFX90A:TG_SPLIT: 0
	.section	.text._ZN7rocprim17ROCPRIM_400000_NS6detail17trampoline_kernelINS0_14default_configENS1_35adjacent_difference_config_selectorILb1ElEEZNS1_24adjacent_difference_implIS3_Lb1ELb0EPlS7_ZN2at6native12_GLOBAL__N_124unique_dim_cuda_templateImEESt5tupleIJNS8_6TensorESD_SD_EERKSD_lbbbEUlllE1_EE10hipError_tPvRmT2_T3_mT4_P12ihipStream_tbEUlT_E_NS1_11comp_targetILNS1_3genE4ELNS1_11target_archE910ELNS1_3gpuE8ELNS1_3repE0EEENS1_30default_config_static_selectorELNS0_4arch9wavefront6targetE1EEEvT1_,"axG",@progbits,_ZN7rocprim17ROCPRIM_400000_NS6detail17trampoline_kernelINS0_14default_configENS1_35adjacent_difference_config_selectorILb1ElEEZNS1_24adjacent_difference_implIS3_Lb1ELb0EPlS7_ZN2at6native12_GLOBAL__N_124unique_dim_cuda_templateImEESt5tupleIJNS8_6TensorESD_SD_EERKSD_lbbbEUlllE1_EE10hipError_tPvRmT2_T3_mT4_P12ihipStream_tbEUlT_E_NS1_11comp_targetILNS1_3genE4ELNS1_11target_archE910ELNS1_3gpuE8ELNS1_3repE0EEENS1_30default_config_static_selectorELNS0_4arch9wavefront6targetE1EEEvT1_,comdat
	.globl	_ZN7rocprim17ROCPRIM_400000_NS6detail17trampoline_kernelINS0_14default_configENS1_35adjacent_difference_config_selectorILb1ElEEZNS1_24adjacent_difference_implIS3_Lb1ELb0EPlS7_ZN2at6native12_GLOBAL__N_124unique_dim_cuda_templateImEESt5tupleIJNS8_6TensorESD_SD_EERKSD_lbbbEUlllE1_EE10hipError_tPvRmT2_T3_mT4_P12ihipStream_tbEUlT_E_NS1_11comp_targetILNS1_3genE4ELNS1_11target_archE910ELNS1_3gpuE8ELNS1_3repE0EEENS1_30default_config_static_selectorELNS0_4arch9wavefront6targetE1EEEvT1_ ; -- Begin function _ZN7rocprim17ROCPRIM_400000_NS6detail17trampoline_kernelINS0_14default_configENS1_35adjacent_difference_config_selectorILb1ElEEZNS1_24adjacent_difference_implIS3_Lb1ELb0EPlS7_ZN2at6native12_GLOBAL__N_124unique_dim_cuda_templateImEESt5tupleIJNS8_6TensorESD_SD_EERKSD_lbbbEUlllE1_EE10hipError_tPvRmT2_T3_mT4_P12ihipStream_tbEUlT_E_NS1_11comp_targetILNS1_3genE4ELNS1_11target_archE910ELNS1_3gpuE8ELNS1_3repE0EEENS1_30default_config_static_selectorELNS0_4arch9wavefront6targetE1EEEvT1_
	.p2align	8
	.type	_ZN7rocprim17ROCPRIM_400000_NS6detail17trampoline_kernelINS0_14default_configENS1_35adjacent_difference_config_selectorILb1ElEEZNS1_24adjacent_difference_implIS3_Lb1ELb0EPlS7_ZN2at6native12_GLOBAL__N_124unique_dim_cuda_templateImEESt5tupleIJNS8_6TensorESD_SD_EERKSD_lbbbEUlllE1_EE10hipError_tPvRmT2_T3_mT4_P12ihipStream_tbEUlT_E_NS1_11comp_targetILNS1_3genE4ELNS1_11target_archE910ELNS1_3gpuE8ELNS1_3repE0EEENS1_30default_config_static_selectorELNS0_4arch9wavefront6targetE1EEEvT1_,@function
_ZN7rocprim17ROCPRIM_400000_NS6detail17trampoline_kernelINS0_14default_configENS1_35adjacent_difference_config_selectorILb1ElEEZNS1_24adjacent_difference_implIS3_Lb1ELb0EPlS7_ZN2at6native12_GLOBAL__N_124unique_dim_cuda_templateImEESt5tupleIJNS8_6TensorESD_SD_EERKSD_lbbbEUlllE1_EE10hipError_tPvRmT2_T3_mT4_P12ihipStream_tbEUlT_E_NS1_11comp_targetILNS1_3genE4ELNS1_11target_archE910ELNS1_3gpuE8ELNS1_3repE0EEENS1_30default_config_static_selectorELNS0_4arch9wavefront6targetE1EEEvT1_: ; @_ZN7rocprim17ROCPRIM_400000_NS6detail17trampoline_kernelINS0_14default_configENS1_35adjacent_difference_config_selectorILb1ElEEZNS1_24adjacent_difference_implIS3_Lb1ELb0EPlS7_ZN2at6native12_GLOBAL__N_124unique_dim_cuda_templateImEESt5tupleIJNS8_6TensorESD_SD_EERKSD_lbbbEUlllE1_EE10hipError_tPvRmT2_T3_mT4_P12ihipStream_tbEUlT_E_NS1_11comp_targetILNS1_3genE4ELNS1_11target_archE910ELNS1_3gpuE8ELNS1_3repE0EEENS1_30default_config_static_selectorELNS0_4arch9wavefront6targetE1EEEvT1_
; %bb.0:
	.section	.rodata,"a",@progbits
	.p2align	6, 0x0
	.amdhsa_kernel _ZN7rocprim17ROCPRIM_400000_NS6detail17trampoline_kernelINS0_14default_configENS1_35adjacent_difference_config_selectorILb1ElEEZNS1_24adjacent_difference_implIS3_Lb1ELb0EPlS7_ZN2at6native12_GLOBAL__N_124unique_dim_cuda_templateImEESt5tupleIJNS8_6TensorESD_SD_EERKSD_lbbbEUlllE1_EE10hipError_tPvRmT2_T3_mT4_P12ihipStream_tbEUlT_E_NS1_11comp_targetILNS1_3genE4ELNS1_11target_archE910ELNS1_3gpuE8ELNS1_3repE0EEENS1_30default_config_static_selectorELNS0_4arch9wavefront6targetE1EEEvT1_
		.amdhsa_group_segment_fixed_size 0
		.amdhsa_private_segment_fixed_size 0
		.amdhsa_kernarg_size 64
		.amdhsa_user_sgpr_count 2
		.amdhsa_user_sgpr_dispatch_ptr 0
		.amdhsa_user_sgpr_queue_ptr 0
		.amdhsa_user_sgpr_kernarg_segment_ptr 1
		.amdhsa_user_sgpr_dispatch_id 0
		.amdhsa_user_sgpr_kernarg_preload_length 0
		.amdhsa_user_sgpr_kernarg_preload_offset 0
		.amdhsa_user_sgpr_private_segment_size 0
		.amdhsa_uses_dynamic_stack 0
		.amdhsa_enable_private_segment 0
		.amdhsa_system_sgpr_workgroup_id_x 1
		.amdhsa_system_sgpr_workgroup_id_y 0
		.amdhsa_system_sgpr_workgroup_id_z 0
		.amdhsa_system_sgpr_workgroup_info 0
		.amdhsa_system_vgpr_workitem_id 0
		.amdhsa_next_free_vgpr 1
		.amdhsa_next_free_sgpr 0
		.amdhsa_accum_offset 4
		.amdhsa_reserve_vcc 0
		.amdhsa_float_round_mode_32 0
		.amdhsa_float_round_mode_16_64 0
		.amdhsa_float_denorm_mode_32 3
		.amdhsa_float_denorm_mode_16_64 3
		.amdhsa_dx10_clamp 1
		.amdhsa_ieee_mode 1
		.amdhsa_fp16_overflow 0
		.amdhsa_tg_split 0
		.amdhsa_exception_fp_ieee_invalid_op 0
		.amdhsa_exception_fp_denorm_src 0
		.amdhsa_exception_fp_ieee_div_zero 0
		.amdhsa_exception_fp_ieee_overflow 0
		.amdhsa_exception_fp_ieee_underflow 0
		.amdhsa_exception_fp_ieee_inexact 0
		.amdhsa_exception_int_div_zero 0
	.end_amdhsa_kernel
	.section	.text._ZN7rocprim17ROCPRIM_400000_NS6detail17trampoline_kernelINS0_14default_configENS1_35adjacent_difference_config_selectorILb1ElEEZNS1_24adjacent_difference_implIS3_Lb1ELb0EPlS7_ZN2at6native12_GLOBAL__N_124unique_dim_cuda_templateImEESt5tupleIJNS8_6TensorESD_SD_EERKSD_lbbbEUlllE1_EE10hipError_tPvRmT2_T3_mT4_P12ihipStream_tbEUlT_E_NS1_11comp_targetILNS1_3genE4ELNS1_11target_archE910ELNS1_3gpuE8ELNS1_3repE0EEENS1_30default_config_static_selectorELNS0_4arch9wavefront6targetE1EEEvT1_,"axG",@progbits,_ZN7rocprim17ROCPRIM_400000_NS6detail17trampoline_kernelINS0_14default_configENS1_35adjacent_difference_config_selectorILb1ElEEZNS1_24adjacent_difference_implIS3_Lb1ELb0EPlS7_ZN2at6native12_GLOBAL__N_124unique_dim_cuda_templateImEESt5tupleIJNS8_6TensorESD_SD_EERKSD_lbbbEUlllE1_EE10hipError_tPvRmT2_T3_mT4_P12ihipStream_tbEUlT_E_NS1_11comp_targetILNS1_3genE4ELNS1_11target_archE910ELNS1_3gpuE8ELNS1_3repE0EEENS1_30default_config_static_selectorELNS0_4arch9wavefront6targetE1EEEvT1_,comdat
.Lfunc_end1658:
	.size	_ZN7rocprim17ROCPRIM_400000_NS6detail17trampoline_kernelINS0_14default_configENS1_35adjacent_difference_config_selectorILb1ElEEZNS1_24adjacent_difference_implIS3_Lb1ELb0EPlS7_ZN2at6native12_GLOBAL__N_124unique_dim_cuda_templateImEESt5tupleIJNS8_6TensorESD_SD_EERKSD_lbbbEUlllE1_EE10hipError_tPvRmT2_T3_mT4_P12ihipStream_tbEUlT_E_NS1_11comp_targetILNS1_3genE4ELNS1_11target_archE910ELNS1_3gpuE8ELNS1_3repE0EEENS1_30default_config_static_selectorELNS0_4arch9wavefront6targetE1EEEvT1_, .Lfunc_end1658-_ZN7rocprim17ROCPRIM_400000_NS6detail17trampoline_kernelINS0_14default_configENS1_35adjacent_difference_config_selectorILb1ElEEZNS1_24adjacent_difference_implIS3_Lb1ELb0EPlS7_ZN2at6native12_GLOBAL__N_124unique_dim_cuda_templateImEESt5tupleIJNS8_6TensorESD_SD_EERKSD_lbbbEUlllE1_EE10hipError_tPvRmT2_T3_mT4_P12ihipStream_tbEUlT_E_NS1_11comp_targetILNS1_3genE4ELNS1_11target_archE910ELNS1_3gpuE8ELNS1_3repE0EEENS1_30default_config_static_selectorELNS0_4arch9wavefront6targetE1EEEvT1_
                                        ; -- End function
	.set _ZN7rocprim17ROCPRIM_400000_NS6detail17trampoline_kernelINS0_14default_configENS1_35adjacent_difference_config_selectorILb1ElEEZNS1_24adjacent_difference_implIS3_Lb1ELb0EPlS7_ZN2at6native12_GLOBAL__N_124unique_dim_cuda_templateImEESt5tupleIJNS8_6TensorESD_SD_EERKSD_lbbbEUlllE1_EE10hipError_tPvRmT2_T3_mT4_P12ihipStream_tbEUlT_E_NS1_11comp_targetILNS1_3genE4ELNS1_11target_archE910ELNS1_3gpuE8ELNS1_3repE0EEENS1_30default_config_static_selectorELNS0_4arch9wavefront6targetE1EEEvT1_.num_vgpr, 0
	.set _ZN7rocprim17ROCPRIM_400000_NS6detail17trampoline_kernelINS0_14default_configENS1_35adjacent_difference_config_selectorILb1ElEEZNS1_24adjacent_difference_implIS3_Lb1ELb0EPlS7_ZN2at6native12_GLOBAL__N_124unique_dim_cuda_templateImEESt5tupleIJNS8_6TensorESD_SD_EERKSD_lbbbEUlllE1_EE10hipError_tPvRmT2_T3_mT4_P12ihipStream_tbEUlT_E_NS1_11comp_targetILNS1_3genE4ELNS1_11target_archE910ELNS1_3gpuE8ELNS1_3repE0EEENS1_30default_config_static_selectorELNS0_4arch9wavefront6targetE1EEEvT1_.num_agpr, 0
	.set _ZN7rocprim17ROCPRIM_400000_NS6detail17trampoline_kernelINS0_14default_configENS1_35adjacent_difference_config_selectorILb1ElEEZNS1_24adjacent_difference_implIS3_Lb1ELb0EPlS7_ZN2at6native12_GLOBAL__N_124unique_dim_cuda_templateImEESt5tupleIJNS8_6TensorESD_SD_EERKSD_lbbbEUlllE1_EE10hipError_tPvRmT2_T3_mT4_P12ihipStream_tbEUlT_E_NS1_11comp_targetILNS1_3genE4ELNS1_11target_archE910ELNS1_3gpuE8ELNS1_3repE0EEENS1_30default_config_static_selectorELNS0_4arch9wavefront6targetE1EEEvT1_.numbered_sgpr, 0
	.set _ZN7rocprim17ROCPRIM_400000_NS6detail17trampoline_kernelINS0_14default_configENS1_35adjacent_difference_config_selectorILb1ElEEZNS1_24adjacent_difference_implIS3_Lb1ELb0EPlS7_ZN2at6native12_GLOBAL__N_124unique_dim_cuda_templateImEESt5tupleIJNS8_6TensorESD_SD_EERKSD_lbbbEUlllE1_EE10hipError_tPvRmT2_T3_mT4_P12ihipStream_tbEUlT_E_NS1_11comp_targetILNS1_3genE4ELNS1_11target_archE910ELNS1_3gpuE8ELNS1_3repE0EEENS1_30default_config_static_selectorELNS0_4arch9wavefront6targetE1EEEvT1_.num_named_barrier, 0
	.set _ZN7rocprim17ROCPRIM_400000_NS6detail17trampoline_kernelINS0_14default_configENS1_35adjacent_difference_config_selectorILb1ElEEZNS1_24adjacent_difference_implIS3_Lb1ELb0EPlS7_ZN2at6native12_GLOBAL__N_124unique_dim_cuda_templateImEESt5tupleIJNS8_6TensorESD_SD_EERKSD_lbbbEUlllE1_EE10hipError_tPvRmT2_T3_mT4_P12ihipStream_tbEUlT_E_NS1_11comp_targetILNS1_3genE4ELNS1_11target_archE910ELNS1_3gpuE8ELNS1_3repE0EEENS1_30default_config_static_selectorELNS0_4arch9wavefront6targetE1EEEvT1_.private_seg_size, 0
	.set _ZN7rocprim17ROCPRIM_400000_NS6detail17trampoline_kernelINS0_14default_configENS1_35adjacent_difference_config_selectorILb1ElEEZNS1_24adjacent_difference_implIS3_Lb1ELb0EPlS7_ZN2at6native12_GLOBAL__N_124unique_dim_cuda_templateImEESt5tupleIJNS8_6TensorESD_SD_EERKSD_lbbbEUlllE1_EE10hipError_tPvRmT2_T3_mT4_P12ihipStream_tbEUlT_E_NS1_11comp_targetILNS1_3genE4ELNS1_11target_archE910ELNS1_3gpuE8ELNS1_3repE0EEENS1_30default_config_static_selectorELNS0_4arch9wavefront6targetE1EEEvT1_.uses_vcc, 0
	.set _ZN7rocprim17ROCPRIM_400000_NS6detail17trampoline_kernelINS0_14default_configENS1_35adjacent_difference_config_selectorILb1ElEEZNS1_24adjacent_difference_implIS3_Lb1ELb0EPlS7_ZN2at6native12_GLOBAL__N_124unique_dim_cuda_templateImEESt5tupleIJNS8_6TensorESD_SD_EERKSD_lbbbEUlllE1_EE10hipError_tPvRmT2_T3_mT4_P12ihipStream_tbEUlT_E_NS1_11comp_targetILNS1_3genE4ELNS1_11target_archE910ELNS1_3gpuE8ELNS1_3repE0EEENS1_30default_config_static_selectorELNS0_4arch9wavefront6targetE1EEEvT1_.uses_flat_scratch, 0
	.set _ZN7rocprim17ROCPRIM_400000_NS6detail17trampoline_kernelINS0_14default_configENS1_35adjacent_difference_config_selectorILb1ElEEZNS1_24adjacent_difference_implIS3_Lb1ELb0EPlS7_ZN2at6native12_GLOBAL__N_124unique_dim_cuda_templateImEESt5tupleIJNS8_6TensorESD_SD_EERKSD_lbbbEUlllE1_EE10hipError_tPvRmT2_T3_mT4_P12ihipStream_tbEUlT_E_NS1_11comp_targetILNS1_3genE4ELNS1_11target_archE910ELNS1_3gpuE8ELNS1_3repE0EEENS1_30default_config_static_selectorELNS0_4arch9wavefront6targetE1EEEvT1_.has_dyn_sized_stack, 0
	.set _ZN7rocprim17ROCPRIM_400000_NS6detail17trampoline_kernelINS0_14default_configENS1_35adjacent_difference_config_selectorILb1ElEEZNS1_24adjacent_difference_implIS3_Lb1ELb0EPlS7_ZN2at6native12_GLOBAL__N_124unique_dim_cuda_templateImEESt5tupleIJNS8_6TensorESD_SD_EERKSD_lbbbEUlllE1_EE10hipError_tPvRmT2_T3_mT4_P12ihipStream_tbEUlT_E_NS1_11comp_targetILNS1_3genE4ELNS1_11target_archE910ELNS1_3gpuE8ELNS1_3repE0EEENS1_30default_config_static_selectorELNS0_4arch9wavefront6targetE1EEEvT1_.has_recursion, 0
	.set _ZN7rocprim17ROCPRIM_400000_NS6detail17trampoline_kernelINS0_14default_configENS1_35adjacent_difference_config_selectorILb1ElEEZNS1_24adjacent_difference_implIS3_Lb1ELb0EPlS7_ZN2at6native12_GLOBAL__N_124unique_dim_cuda_templateImEESt5tupleIJNS8_6TensorESD_SD_EERKSD_lbbbEUlllE1_EE10hipError_tPvRmT2_T3_mT4_P12ihipStream_tbEUlT_E_NS1_11comp_targetILNS1_3genE4ELNS1_11target_archE910ELNS1_3gpuE8ELNS1_3repE0EEENS1_30default_config_static_selectorELNS0_4arch9wavefront6targetE1EEEvT1_.has_indirect_call, 0
	.section	.AMDGPU.csdata,"",@progbits
; Kernel info:
; codeLenInByte = 0
; TotalNumSgprs: 6
; NumVgprs: 0
; NumAgprs: 0
; TotalNumVgprs: 0
; ScratchSize: 0
; MemoryBound: 0
; FloatMode: 240
; IeeeMode: 1
; LDSByteSize: 0 bytes/workgroup (compile time only)
; SGPRBlocks: 0
; VGPRBlocks: 0
; NumSGPRsForWavesPerEU: 6
; NumVGPRsForWavesPerEU: 1
; AccumOffset: 4
; Occupancy: 8
; WaveLimiterHint : 0
; COMPUTE_PGM_RSRC2:SCRATCH_EN: 0
; COMPUTE_PGM_RSRC2:USER_SGPR: 2
; COMPUTE_PGM_RSRC2:TRAP_HANDLER: 0
; COMPUTE_PGM_RSRC2:TGID_X_EN: 1
; COMPUTE_PGM_RSRC2:TGID_Y_EN: 0
; COMPUTE_PGM_RSRC2:TGID_Z_EN: 0
; COMPUTE_PGM_RSRC2:TIDIG_COMP_CNT: 0
; COMPUTE_PGM_RSRC3_GFX90A:ACCUM_OFFSET: 0
; COMPUTE_PGM_RSRC3_GFX90A:TG_SPLIT: 0
	.section	.text._ZN7rocprim17ROCPRIM_400000_NS6detail17trampoline_kernelINS0_14default_configENS1_35adjacent_difference_config_selectorILb1ElEEZNS1_24adjacent_difference_implIS3_Lb1ELb0EPlS7_ZN2at6native12_GLOBAL__N_124unique_dim_cuda_templateImEESt5tupleIJNS8_6TensorESD_SD_EERKSD_lbbbEUlllE1_EE10hipError_tPvRmT2_T3_mT4_P12ihipStream_tbEUlT_E_NS1_11comp_targetILNS1_3genE3ELNS1_11target_archE908ELNS1_3gpuE7ELNS1_3repE0EEENS1_30default_config_static_selectorELNS0_4arch9wavefront6targetE1EEEvT1_,"axG",@progbits,_ZN7rocprim17ROCPRIM_400000_NS6detail17trampoline_kernelINS0_14default_configENS1_35adjacent_difference_config_selectorILb1ElEEZNS1_24adjacent_difference_implIS3_Lb1ELb0EPlS7_ZN2at6native12_GLOBAL__N_124unique_dim_cuda_templateImEESt5tupleIJNS8_6TensorESD_SD_EERKSD_lbbbEUlllE1_EE10hipError_tPvRmT2_T3_mT4_P12ihipStream_tbEUlT_E_NS1_11comp_targetILNS1_3genE3ELNS1_11target_archE908ELNS1_3gpuE7ELNS1_3repE0EEENS1_30default_config_static_selectorELNS0_4arch9wavefront6targetE1EEEvT1_,comdat
	.globl	_ZN7rocprim17ROCPRIM_400000_NS6detail17trampoline_kernelINS0_14default_configENS1_35adjacent_difference_config_selectorILb1ElEEZNS1_24adjacent_difference_implIS3_Lb1ELb0EPlS7_ZN2at6native12_GLOBAL__N_124unique_dim_cuda_templateImEESt5tupleIJNS8_6TensorESD_SD_EERKSD_lbbbEUlllE1_EE10hipError_tPvRmT2_T3_mT4_P12ihipStream_tbEUlT_E_NS1_11comp_targetILNS1_3genE3ELNS1_11target_archE908ELNS1_3gpuE7ELNS1_3repE0EEENS1_30default_config_static_selectorELNS0_4arch9wavefront6targetE1EEEvT1_ ; -- Begin function _ZN7rocprim17ROCPRIM_400000_NS6detail17trampoline_kernelINS0_14default_configENS1_35adjacent_difference_config_selectorILb1ElEEZNS1_24adjacent_difference_implIS3_Lb1ELb0EPlS7_ZN2at6native12_GLOBAL__N_124unique_dim_cuda_templateImEESt5tupleIJNS8_6TensorESD_SD_EERKSD_lbbbEUlllE1_EE10hipError_tPvRmT2_T3_mT4_P12ihipStream_tbEUlT_E_NS1_11comp_targetILNS1_3genE3ELNS1_11target_archE908ELNS1_3gpuE7ELNS1_3repE0EEENS1_30default_config_static_selectorELNS0_4arch9wavefront6targetE1EEEvT1_
	.p2align	8
	.type	_ZN7rocprim17ROCPRIM_400000_NS6detail17trampoline_kernelINS0_14default_configENS1_35adjacent_difference_config_selectorILb1ElEEZNS1_24adjacent_difference_implIS3_Lb1ELb0EPlS7_ZN2at6native12_GLOBAL__N_124unique_dim_cuda_templateImEESt5tupleIJNS8_6TensorESD_SD_EERKSD_lbbbEUlllE1_EE10hipError_tPvRmT2_T3_mT4_P12ihipStream_tbEUlT_E_NS1_11comp_targetILNS1_3genE3ELNS1_11target_archE908ELNS1_3gpuE7ELNS1_3repE0EEENS1_30default_config_static_selectorELNS0_4arch9wavefront6targetE1EEEvT1_,@function
_ZN7rocprim17ROCPRIM_400000_NS6detail17trampoline_kernelINS0_14default_configENS1_35adjacent_difference_config_selectorILb1ElEEZNS1_24adjacent_difference_implIS3_Lb1ELb0EPlS7_ZN2at6native12_GLOBAL__N_124unique_dim_cuda_templateImEESt5tupleIJNS8_6TensorESD_SD_EERKSD_lbbbEUlllE1_EE10hipError_tPvRmT2_T3_mT4_P12ihipStream_tbEUlT_E_NS1_11comp_targetILNS1_3genE3ELNS1_11target_archE908ELNS1_3gpuE7ELNS1_3repE0EEENS1_30default_config_static_selectorELNS0_4arch9wavefront6targetE1EEEvT1_: ; @_ZN7rocprim17ROCPRIM_400000_NS6detail17trampoline_kernelINS0_14default_configENS1_35adjacent_difference_config_selectorILb1ElEEZNS1_24adjacent_difference_implIS3_Lb1ELb0EPlS7_ZN2at6native12_GLOBAL__N_124unique_dim_cuda_templateImEESt5tupleIJNS8_6TensorESD_SD_EERKSD_lbbbEUlllE1_EE10hipError_tPvRmT2_T3_mT4_P12ihipStream_tbEUlT_E_NS1_11comp_targetILNS1_3genE3ELNS1_11target_archE908ELNS1_3gpuE7ELNS1_3repE0EEENS1_30default_config_static_selectorELNS0_4arch9wavefront6targetE1EEEvT1_
; %bb.0:
	.section	.rodata,"a",@progbits
	.p2align	6, 0x0
	.amdhsa_kernel _ZN7rocprim17ROCPRIM_400000_NS6detail17trampoline_kernelINS0_14default_configENS1_35adjacent_difference_config_selectorILb1ElEEZNS1_24adjacent_difference_implIS3_Lb1ELb0EPlS7_ZN2at6native12_GLOBAL__N_124unique_dim_cuda_templateImEESt5tupleIJNS8_6TensorESD_SD_EERKSD_lbbbEUlllE1_EE10hipError_tPvRmT2_T3_mT4_P12ihipStream_tbEUlT_E_NS1_11comp_targetILNS1_3genE3ELNS1_11target_archE908ELNS1_3gpuE7ELNS1_3repE0EEENS1_30default_config_static_selectorELNS0_4arch9wavefront6targetE1EEEvT1_
		.amdhsa_group_segment_fixed_size 0
		.amdhsa_private_segment_fixed_size 0
		.amdhsa_kernarg_size 64
		.amdhsa_user_sgpr_count 2
		.amdhsa_user_sgpr_dispatch_ptr 0
		.amdhsa_user_sgpr_queue_ptr 0
		.amdhsa_user_sgpr_kernarg_segment_ptr 1
		.amdhsa_user_sgpr_dispatch_id 0
		.amdhsa_user_sgpr_kernarg_preload_length 0
		.amdhsa_user_sgpr_kernarg_preload_offset 0
		.amdhsa_user_sgpr_private_segment_size 0
		.amdhsa_uses_dynamic_stack 0
		.amdhsa_enable_private_segment 0
		.amdhsa_system_sgpr_workgroup_id_x 1
		.amdhsa_system_sgpr_workgroup_id_y 0
		.amdhsa_system_sgpr_workgroup_id_z 0
		.amdhsa_system_sgpr_workgroup_info 0
		.amdhsa_system_vgpr_workitem_id 0
		.amdhsa_next_free_vgpr 1
		.amdhsa_next_free_sgpr 0
		.amdhsa_accum_offset 4
		.amdhsa_reserve_vcc 0
		.amdhsa_float_round_mode_32 0
		.amdhsa_float_round_mode_16_64 0
		.amdhsa_float_denorm_mode_32 3
		.amdhsa_float_denorm_mode_16_64 3
		.amdhsa_dx10_clamp 1
		.amdhsa_ieee_mode 1
		.amdhsa_fp16_overflow 0
		.amdhsa_tg_split 0
		.amdhsa_exception_fp_ieee_invalid_op 0
		.amdhsa_exception_fp_denorm_src 0
		.amdhsa_exception_fp_ieee_div_zero 0
		.amdhsa_exception_fp_ieee_overflow 0
		.amdhsa_exception_fp_ieee_underflow 0
		.amdhsa_exception_fp_ieee_inexact 0
		.amdhsa_exception_int_div_zero 0
	.end_amdhsa_kernel
	.section	.text._ZN7rocprim17ROCPRIM_400000_NS6detail17trampoline_kernelINS0_14default_configENS1_35adjacent_difference_config_selectorILb1ElEEZNS1_24adjacent_difference_implIS3_Lb1ELb0EPlS7_ZN2at6native12_GLOBAL__N_124unique_dim_cuda_templateImEESt5tupleIJNS8_6TensorESD_SD_EERKSD_lbbbEUlllE1_EE10hipError_tPvRmT2_T3_mT4_P12ihipStream_tbEUlT_E_NS1_11comp_targetILNS1_3genE3ELNS1_11target_archE908ELNS1_3gpuE7ELNS1_3repE0EEENS1_30default_config_static_selectorELNS0_4arch9wavefront6targetE1EEEvT1_,"axG",@progbits,_ZN7rocprim17ROCPRIM_400000_NS6detail17trampoline_kernelINS0_14default_configENS1_35adjacent_difference_config_selectorILb1ElEEZNS1_24adjacent_difference_implIS3_Lb1ELb0EPlS7_ZN2at6native12_GLOBAL__N_124unique_dim_cuda_templateImEESt5tupleIJNS8_6TensorESD_SD_EERKSD_lbbbEUlllE1_EE10hipError_tPvRmT2_T3_mT4_P12ihipStream_tbEUlT_E_NS1_11comp_targetILNS1_3genE3ELNS1_11target_archE908ELNS1_3gpuE7ELNS1_3repE0EEENS1_30default_config_static_selectorELNS0_4arch9wavefront6targetE1EEEvT1_,comdat
.Lfunc_end1659:
	.size	_ZN7rocprim17ROCPRIM_400000_NS6detail17trampoline_kernelINS0_14default_configENS1_35adjacent_difference_config_selectorILb1ElEEZNS1_24adjacent_difference_implIS3_Lb1ELb0EPlS7_ZN2at6native12_GLOBAL__N_124unique_dim_cuda_templateImEESt5tupleIJNS8_6TensorESD_SD_EERKSD_lbbbEUlllE1_EE10hipError_tPvRmT2_T3_mT4_P12ihipStream_tbEUlT_E_NS1_11comp_targetILNS1_3genE3ELNS1_11target_archE908ELNS1_3gpuE7ELNS1_3repE0EEENS1_30default_config_static_selectorELNS0_4arch9wavefront6targetE1EEEvT1_, .Lfunc_end1659-_ZN7rocprim17ROCPRIM_400000_NS6detail17trampoline_kernelINS0_14default_configENS1_35adjacent_difference_config_selectorILb1ElEEZNS1_24adjacent_difference_implIS3_Lb1ELb0EPlS7_ZN2at6native12_GLOBAL__N_124unique_dim_cuda_templateImEESt5tupleIJNS8_6TensorESD_SD_EERKSD_lbbbEUlllE1_EE10hipError_tPvRmT2_T3_mT4_P12ihipStream_tbEUlT_E_NS1_11comp_targetILNS1_3genE3ELNS1_11target_archE908ELNS1_3gpuE7ELNS1_3repE0EEENS1_30default_config_static_selectorELNS0_4arch9wavefront6targetE1EEEvT1_
                                        ; -- End function
	.set _ZN7rocprim17ROCPRIM_400000_NS6detail17trampoline_kernelINS0_14default_configENS1_35adjacent_difference_config_selectorILb1ElEEZNS1_24adjacent_difference_implIS3_Lb1ELb0EPlS7_ZN2at6native12_GLOBAL__N_124unique_dim_cuda_templateImEESt5tupleIJNS8_6TensorESD_SD_EERKSD_lbbbEUlllE1_EE10hipError_tPvRmT2_T3_mT4_P12ihipStream_tbEUlT_E_NS1_11comp_targetILNS1_3genE3ELNS1_11target_archE908ELNS1_3gpuE7ELNS1_3repE0EEENS1_30default_config_static_selectorELNS0_4arch9wavefront6targetE1EEEvT1_.num_vgpr, 0
	.set _ZN7rocprim17ROCPRIM_400000_NS6detail17trampoline_kernelINS0_14default_configENS1_35adjacent_difference_config_selectorILb1ElEEZNS1_24adjacent_difference_implIS3_Lb1ELb0EPlS7_ZN2at6native12_GLOBAL__N_124unique_dim_cuda_templateImEESt5tupleIJNS8_6TensorESD_SD_EERKSD_lbbbEUlllE1_EE10hipError_tPvRmT2_T3_mT4_P12ihipStream_tbEUlT_E_NS1_11comp_targetILNS1_3genE3ELNS1_11target_archE908ELNS1_3gpuE7ELNS1_3repE0EEENS1_30default_config_static_selectorELNS0_4arch9wavefront6targetE1EEEvT1_.num_agpr, 0
	.set _ZN7rocprim17ROCPRIM_400000_NS6detail17trampoline_kernelINS0_14default_configENS1_35adjacent_difference_config_selectorILb1ElEEZNS1_24adjacent_difference_implIS3_Lb1ELb0EPlS7_ZN2at6native12_GLOBAL__N_124unique_dim_cuda_templateImEESt5tupleIJNS8_6TensorESD_SD_EERKSD_lbbbEUlllE1_EE10hipError_tPvRmT2_T3_mT4_P12ihipStream_tbEUlT_E_NS1_11comp_targetILNS1_3genE3ELNS1_11target_archE908ELNS1_3gpuE7ELNS1_3repE0EEENS1_30default_config_static_selectorELNS0_4arch9wavefront6targetE1EEEvT1_.numbered_sgpr, 0
	.set _ZN7rocprim17ROCPRIM_400000_NS6detail17trampoline_kernelINS0_14default_configENS1_35adjacent_difference_config_selectorILb1ElEEZNS1_24adjacent_difference_implIS3_Lb1ELb0EPlS7_ZN2at6native12_GLOBAL__N_124unique_dim_cuda_templateImEESt5tupleIJNS8_6TensorESD_SD_EERKSD_lbbbEUlllE1_EE10hipError_tPvRmT2_T3_mT4_P12ihipStream_tbEUlT_E_NS1_11comp_targetILNS1_3genE3ELNS1_11target_archE908ELNS1_3gpuE7ELNS1_3repE0EEENS1_30default_config_static_selectorELNS0_4arch9wavefront6targetE1EEEvT1_.num_named_barrier, 0
	.set _ZN7rocprim17ROCPRIM_400000_NS6detail17trampoline_kernelINS0_14default_configENS1_35adjacent_difference_config_selectorILb1ElEEZNS1_24adjacent_difference_implIS3_Lb1ELb0EPlS7_ZN2at6native12_GLOBAL__N_124unique_dim_cuda_templateImEESt5tupleIJNS8_6TensorESD_SD_EERKSD_lbbbEUlllE1_EE10hipError_tPvRmT2_T3_mT4_P12ihipStream_tbEUlT_E_NS1_11comp_targetILNS1_3genE3ELNS1_11target_archE908ELNS1_3gpuE7ELNS1_3repE0EEENS1_30default_config_static_selectorELNS0_4arch9wavefront6targetE1EEEvT1_.private_seg_size, 0
	.set _ZN7rocprim17ROCPRIM_400000_NS6detail17trampoline_kernelINS0_14default_configENS1_35adjacent_difference_config_selectorILb1ElEEZNS1_24adjacent_difference_implIS3_Lb1ELb0EPlS7_ZN2at6native12_GLOBAL__N_124unique_dim_cuda_templateImEESt5tupleIJNS8_6TensorESD_SD_EERKSD_lbbbEUlllE1_EE10hipError_tPvRmT2_T3_mT4_P12ihipStream_tbEUlT_E_NS1_11comp_targetILNS1_3genE3ELNS1_11target_archE908ELNS1_3gpuE7ELNS1_3repE0EEENS1_30default_config_static_selectorELNS0_4arch9wavefront6targetE1EEEvT1_.uses_vcc, 0
	.set _ZN7rocprim17ROCPRIM_400000_NS6detail17trampoline_kernelINS0_14default_configENS1_35adjacent_difference_config_selectorILb1ElEEZNS1_24adjacent_difference_implIS3_Lb1ELb0EPlS7_ZN2at6native12_GLOBAL__N_124unique_dim_cuda_templateImEESt5tupleIJNS8_6TensorESD_SD_EERKSD_lbbbEUlllE1_EE10hipError_tPvRmT2_T3_mT4_P12ihipStream_tbEUlT_E_NS1_11comp_targetILNS1_3genE3ELNS1_11target_archE908ELNS1_3gpuE7ELNS1_3repE0EEENS1_30default_config_static_selectorELNS0_4arch9wavefront6targetE1EEEvT1_.uses_flat_scratch, 0
	.set _ZN7rocprim17ROCPRIM_400000_NS6detail17trampoline_kernelINS0_14default_configENS1_35adjacent_difference_config_selectorILb1ElEEZNS1_24adjacent_difference_implIS3_Lb1ELb0EPlS7_ZN2at6native12_GLOBAL__N_124unique_dim_cuda_templateImEESt5tupleIJNS8_6TensorESD_SD_EERKSD_lbbbEUlllE1_EE10hipError_tPvRmT2_T3_mT4_P12ihipStream_tbEUlT_E_NS1_11comp_targetILNS1_3genE3ELNS1_11target_archE908ELNS1_3gpuE7ELNS1_3repE0EEENS1_30default_config_static_selectorELNS0_4arch9wavefront6targetE1EEEvT1_.has_dyn_sized_stack, 0
	.set _ZN7rocprim17ROCPRIM_400000_NS6detail17trampoline_kernelINS0_14default_configENS1_35adjacent_difference_config_selectorILb1ElEEZNS1_24adjacent_difference_implIS3_Lb1ELb0EPlS7_ZN2at6native12_GLOBAL__N_124unique_dim_cuda_templateImEESt5tupleIJNS8_6TensorESD_SD_EERKSD_lbbbEUlllE1_EE10hipError_tPvRmT2_T3_mT4_P12ihipStream_tbEUlT_E_NS1_11comp_targetILNS1_3genE3ELNS1_11target_archE908ELNS1_3gpuE7ELNS1_3repE0EEENS1_30default_config_static_selectorELNS0_4arch9wavefront6targetE1EEEvT1_.has_recursion, 0
	.set _ZN7rocprim17ROCPRIM_400000_NS6detail17trampoline_kernelINS0_14default_configENS1_35adjacent_difference_config_selectorILb1ElEEZNS1_24adjacent_difference_implIS3_Lb1ELb0EPlS7_ZN2at6native12_GLOBAL__N_124unique_dim_cuda_templateImEESt5tupleIJNS8_6TensorESD_SD_EERKSD_lbbbEUlllE1_EE10hipError_tPvRmT2_T3_mT4_P12ihipStream_tbEUlT_E_NS1_11comp_targetILNS1_3genE3ELNS1_11target_archE908ELNS1_3gpuE7ELNS1_3repE0EEENS1_30default_config_static_selectorELNS0_4arch9wavefront6targetE1EEEvT1_.has_indirect_call, 0
	.section	.AMDGPU.csdata,"",@progbits
; Kernel info:
; codeLenInByte = 0
; TotalNumSgprs: 6
; NumVgprs: 0
; NumAgprs: 0
; TotalNumVgprs: 0
; ScratchSize: 0
; MemoryBound: 0
; FloatMode: 240
; IeeeMode: 1
; LDSByteSize: 0 bytes/workgroup (compile time only)
; SGPRBlocks: 0
; VGPRBlocks: 0
; NumSGPRsForWavesPerEU: 6
; NumVGPRsForWavesPerEU: 1
; AccumOffset: 4
; Occupancy: 8
; WaveLimiterHint : 0
; COMPUTE_PGM_RSRC2:SCRATCH_EN: 0
; COMPUTE_PGM_RSRC2:USER_SGPR: 2
; COMPUTE_PGM_RSRC2:TRAP_HANDLER: 0
; COMPUTE_PGM_RSRC2:TGID_X_EN: 1
; COMPUTE_PGM_RSRC2:TGID_Y_EN: 0
; COMPUTE_PGM_RSRC2:TGID_Z_EN: 0
; COMPUTE_PGM_RSRC2:TIDIG_COMP_CNT: 0
; COMPUTE_PGM_RSRC3_GFX90A:ACCUM_OFFSET: 0
; COMPUTE_PGM_RSRC3_GFX90A:TG_SPLIT: 0
	.section	.text._ZN7rocprim17ROCPRIM_400000_NS6detail17trampoline_kernelINS0_14default_configENS1_35adjacent_difference_config_selectorILb1ElEEZNS1_24adjacent_difference_implIS3_Lb1ELb0EPlS7_ZN2at6native12_GLOBAL__N_124unique_dim_cuda_templateImEESt5tupleIJNS8_6TensorESD_SD_EERKSD_lbbbEUlllE1_EE10hipError_tPvRmT2_T3_mT4_P12ihipStream_tbEUlT_E_NS1_11comp_targetILNS1_3genE2ELNS1_11target_archE906ELNS1_3gpuE6ELNS1_3repE0EEENS1_30default_config_static_selectorELNS0_4arch9wavefront6targetE1EEEvT1_,"axG",@progbits,_ZN7rocprim17ROCPRIM_400000_NS6detail17trampoline_kernelINS0_14default_configENS1_35adjacent_difference_config_selectorILb1ElEEZNS1_24adjacent_difference_implIS3_Lb1ELb0EPlS7_ZN2at6native12_GLOBAL__N_124unique_dim_cuda_templateImEESt5tupleIJNS8_6TensorESD_SD_EERKSD_lbbbEUlllE1_EE10hipError_tPvRmT2_T3_mT4_P12ihipStream_tbEUlT_E_NS1_11comp_targetILNS1_3genE2ELNS1_11target_archE906ELNS1_3gpuE6ELNS1_3repE0EEENS1_30default_config_static_selectorELNS0_4arch9wavefront6targetE1EEEvT1_,comdat
	.globl	_ZN7rocprim17ROCPRIM_400000_NS6detail17trampoline_kernelINS0_14default_configENS1_35adjacent_difference_config_selectorILb1ElEEZNS1_24adjacent_difference_implIS3_Lb1ELb0EPlS7_ZN2at6native12_GLOBAL__N_124unique_dim_cuda_templateImEESt5tupleIJNS8_6TensorESD_SD_EERKSD_lbbbEUlllE1_EE10hipError_tPvRmT2_T3_mT4_P12ihipStream_tbEUlT_E_NS1_11comp_targetILNS1_3genE2ELNS1_11target_archE906ELNS1_3gpuE6ELNS1_3repE0EEENS1_30default_config_static_selectorELNS0_4arch9wavefront6targetE1EEEvT1_ ; -- Begin function _ZN7rocprim17ROCPRIM_400000_NS6detail17trampoline_kernelINS0_14default_configENS1_35adjacent_difference_config_selectorILb1ElEEZNS1_24adjacent_difference_implIS3_Lb1ELb0EPlS7_ZN2at6native12_GLOBAL__N_124unique_dim_cuda_templateImEESt5tupleIJNS8_6TensorESD_SD_EERKSD_lbbbEUlllE1_EE10hipError_tPvRmT2_T3_mT4_P12ihipStream_tbEUlT_E_NS1_11comp_targetILNS1_3genE2ELNS1_11target_archE906ELNS1_3gpuE6ELNS1_3repE0EEENS1_30default_config_static_selectorELNS0_4arch9wavefront6targetE1EEEvT1_
	.p2align	8
	.type	_ZN7rocprim17ROCPRIM_400000_NS6detail17trampoline_kernelINS0_14default_configENS1_35adjacent_difference_config_selectorILb1ElEEZNS1_24adjacent_difference_implIS3_Lb1ELb0EPlS7_ZN2at6native12_GLOBAL__N_124unique_dim_cuda_templateImEESt5tupleIJNS8_6TensorESD_SD_EERKSD_lbbbEUlllE1_EE10hipError_tPvRmT2_T3_mT4_P12ihipStream_tbEUlT_E_NS1_11comp_targetILNS1_3genE2ELNS1_11target_archE906ELNS1_3gpuE6ELNS1_3repE0EEENS1_30default_config_static_selectorELNS0_4arch9wavefront6targetE1EEEvT1_,@function
_ZN7rocprim17ROCPRIM_400000_NS6detail17trampoline_kernelINS0_14default_configENS1_35adjacent_difference_config_selectorILb1ElEEZNS1_24adjacent_difference_implIS3_Lb1ELb0EPlS7_ZN2at6native12_GLOBAL__N_124unique_dim_cuda_templateImEESt5tupleIJNS8_6TensorESD_SD_EERKSD_lbbbEUlllE1_EE10hipError_tPvRmT2_T3_mT4_P12ihipStream_tbEUlT_E_NS1_11comp_targetILNS1_3genE2ELNS1_11target_archE906ELNS1_3gpuE6ELNS1_3repE0EEENS1_30default_config_static_selectorELNS0_4arch9wavefront6targetE1EEEvT1_: ; @_ZN7rocprim17ROCPRIM_400000_NS6detail17trampoline_kernelINS0_14default_configENS1_35adjacent_difference_config_selectorILb1ElEEZNS1_24adjacent_difference_implIS3_Lb1ELb0EPlS7_ZN2at6native12_GLOBAL__N_124unique_dim_cuda_templateImEESt5tupleIJNS8_6TensorESD_SD_EERKSD_lbbbEUlllE1_EE10hipError_tPvRmT2_T3_mT4_P12ihipStream_tbEUlT_E_NS1_11comp_targetILNS1_3genE2ELNS1_11target_archE906ELNS1_3gpuE6ELNS1_3repE0EEENS1_30default_config_static_selectorELNS0_4arch9wavefront6targetE1EEEvT1_
; %bb.0:
	.section	.rodata,"a",@progbits
	.p2align	6, 0x0
	.amdhsa_kernel _ZN7rocprim17ROCPRIM_400000_NS6detail17trampoline_kernelINS0_14default_configENS1_35adjacent_difference_config_selectorILb1ElEEZNS1_24adjacent_difference_implIS3_Lb1ELb0EPlS7_ZN2at6native12_GLOBAL__N_124unique_dim_cuda_templateImEESt5tupleIJNS8_6TensorESD_SD_EERKSD_lbbbEUlllE1_EE10hipError_tPvRmT2_T3_mT4_P12ihipStream_tbEUlT_E_NS1_11comp_targetILNS1_3genE2ELNS1_11target_archE906ELNS1_3gpuE6ELNS1_3repE0EEENS1_30default_config_static_selectorELNS0_4arch9wavefront6targetE1EEEvT1_
		.amdhsa_group_segment_fixed_size 0
		.amdhsa_private_segment_fixed_size 0
		.amdhsa_kernarg_size 64
		.amdhsa_user_sgpr_count 2
		.amdhsa_user_sgpr_dispatch_ptr 0
		.amdhsa_user_sgpr_queue_ptr 0
		.amdhsa_user_sgpr_kernarg_segment_ptr 1
		.amdhsa_user_sgpr_dispatch_id 0
		.amdhsa_user_sgpr_kernarg_preload_length 0
		.amdhsa_user_sgpr_kernarg_preload_offset 0
		.amdhsa_user_sgpr_private_segment_size 0
		.amdhsa_uses_dynamic_stack 0
		.amdhsa_enable_private_segment 0
		.amdhsa_system_sgpr_workgroup_id_x 1
		.amdhsa_system_sgpr_workgroup_id_y 0
		.amdhsa_system_sgpr_workgroup_id_z 0
		.amdhsa_system_sgpr_workgroup_info 0
		.amdhsa_system_vgpr_workitem_id 0
		.amdhsa_next_free_vgpr 1
		.amdhsa_next_free_sgpr 0
		.amdhsa_accum_offset 4
		.amdhsa_reserve_vcc 0
		.amdhsa_float_round_mode_32 0
		.amdhsa_float_round_mode_16_64 0
		.amdhsa_float_denorm_mode_32 3
		.amdhsa_float_denorm_mode_16_64 3
		.amdhsa_dx10_clamp 1
		.amdhsa_ieee_mode 1
		.amdhsa_fp16_overflow 0
		.amdhsa_tg_split 0
		.amdhsa_exception_fp_ieee_invalid_op 0
		.amdhsa_exception_fp_denorm_src 0
		.amdhsa_exception_fp_ieee_div_zero 0
		.amdhsa_exception_fp_ieee_overflow 0
		.amdhsa_exception_fp_ieee_underflow 0
		.amdhsa_exception_fp_ieee_inexact 0
		.amdhsa_exception_int_div_zero 0
	.end_amdhsa_kernel
	.section	.text._ZN7rocprim17ROCPRIM_400000_NS6detail17trampoline_kernelINS0_14default_configENS1_35adjacent_difference_config_selectorILb1ElEEZNS1_24adjacent_difference_implIS3_Lb1ELb0EPlS7_ZN2at6native12_GLOBAL__N_124unique_dim_cuda_templateImEESt5tupleIJNS8_6TensorESD_SD_EERKSD_lbbbEUlllE1_EE10hipError_tPvRmT2_T3_mT4_P12ihipStream_tbEUlT_E_NS1_11comp_targetILNS1_3genE2ELNS1_11target_archE906ELNS1_3gpuE6ELNS1_3repE0EEENS1_30default_config_static_selectorELNS0_4arch9wavefront6targetE1EEEvT1_,"axG",@progbits,_ZN7rocprim17ROCPRIM_400000_NS6detail17trampoline_kernelINS0_14default_configENS1_35adjacent_difference_config_selectorILb1ElEEZNS1_24adjacent_difference_implIS3_Lb1ELb0EPlS7_ZN2at6native12_GLOBAL__N_124unique_dim_cuda_templateImEESt5tupleIJNS8_6TensorESD_SD_EERKSD_lbbbEUlllE1_EE10hipError_tPvRmT2_T3_mT4_P12ihipStream_tbEUlT_E_NS1_11comp_targetILNS1_3genE2ELNS1_11target_archE906ELNS1_3gpuE6ELNS1_3repE0EEENS1_30default_config_static_selectorELNS0_4arch9wavefront6targetE1EEEvT1_,comdat
.Lfunc_end1660:
	.size	_ZN7rocprim17ROCPRIM_400000_NS6detail17trampoline_kernelINS0_14default_configENS1_35adjacent_difference_config_selectorILb1ElEEZNS1_24adjacent_difference_implIS3_Lb1ELb0EPlS7_ZN2at6native12_GLOBAL__N_124unique_dim_cuda_templateImEESt5tupleIJNS8_6TensorESD_SD_EERKSD_lbbbEUlllE1_EE10hipError_tPvRmT2_T3_mT4_P12ihipStream_tbEUlT_E_NS1_11comp_targetILNS1_3genE2ELNS1_11target_archE906ELNS1_3gpuE6ELNS1_3repE0EEENS1_30default_config_static_selectorELNS0_4arch9wavefront6targetE1EEEvT1_, .Lfunc_end1660-_ZN7rocprim17ROCPRIM_400000_NS6detail17trampoline_kernelINS0_14default_configENS1_35adjacent_difference_config_selectorILb1ElEEZNS1_24adjacent_difference_implIS3_Lb1ELb0EPlS7_ZN2at6native12_GLOBAL__N_124unique_dim_cuda_templateImEESt5tupleIJNS8_6TensorESD_SD_EERKSD_lbbbEUlllE1_EE10hipError_tPvRmT2_T3_mT4_P12ihipStream_tbEUlT_E_NS1_11comp_targetILNS1_3genE2ELNS1_11target_archE906ELNS1_3gpuE6ELNS1_3repE0EEENS1_30default_config_static_selectorELNS0_4arch9wavefront6targetE1EEEvT1_
                                        ; -- End function
	.set _ZN7rocprim17ROCPRIM_400000_NS6detail17trampoline_kernelINS0_14default_configENS1_35adjacent_difference_config_selectorILb1ElEEZNS1_24adjacent_difference_implIS3_Lb1ELb0EPlS7_ZN2at6native12_GLOBAL__N_124unique_dim_cuda_templateImEESt5tupleIJNS8_6TensorESD_SD_EERKSD_lbbbEUlllE1_EE10hipError_tPvRmT2_T3_mT4_P12ihipStream_tbEUlT_E_NS1_11comp_targetILNS1_3genE2ELNS1_11target_archE906ELNS1_3gpuE6ELNS1_3repE0EEENS1_30default_config_static_selectorELNS0_4arch9wavefront6targetE1EEEvT1_.num_vgpr, 0
	.set _ZN7rocprim17ROCPRIM_400000_NS6detail17trampoline_kernelINS0_14default_configENS1_35adjacent_difference_config_selectorILb1ElEEZNS1_24adjacent_difference_implIS3_Lb1ELb0EPlS7_ZN2at6native12_GLOBAL__N_124unique_dim_cuda_templateImEESt5tupleIJNS8_6TensorESD_SD_EERKSD_lbbbEUlllE1_EE10hipError_tPvRmT2_T3_mT4_P12ihipStream_tbEUlT_E_NS1_11comp_targetILNS1_3genE2ELNS1_11target_archE906ELNS1_3gpuE6ELNS1_3repE0EEENS1_30default_config_static_selectorELNS0_4arch9wavefront6targetE1EEEvT1_.num_agpr, 0
	.set _ZN7rocprim17ROCPRIM_400000_NS6detail17trampoline_kernelINS0_14default_configENS1_35adjacent_difference_config_selectorILb1ElEEZNS1_24adjacent_difference_implIS3_Lb1ELb0EPlS7_ZN2at6native12_GLOBAL__N_124unique_dim_cuda_templateImEESt5tupleIJNS8_6TensorESD_SD_EERKSD_lbbbEUlllE1_EE10hipError_tPvRmT2_T3_mT4_P12ihipStream_tbEUlT_E_NS1_11comp_targetILNS1_3genE2ELNS1_11target_archE906ELNS1_3gpuE6ELNS1_3repE0EEENS1_30default_config_static_selectorELNS0_4arch9wavefront6targetE1EEEvT1_.numbered_sgpr, 0
	.set _ZN7rocprim17ROCPRIM_400000_NS6detail17trampoline_kernelINS0_14default_configENS1_35adjacent_difference_config_selectorILb1ElEEZNS1_24adjacent_difference_implIS3_Lb1ELb0EPlS7_ZN2at6native12_GLOBAL__N_124unique_dim_cuda_templateImEESt5tupleIJNS8_6TensorESD_SD_EERKSD_lbbbEUlllE1_EE10hipError_tPvRmT2_T3_mT4_P12ihipStream_tbEUlT_E_NS1_11comp_targetILNS1_3genE2ELNS1_11target_archE906ELNS1_3gpuE6ELNS1_3repE0EEENS1_30default_config_static_selectorELNS0_4arch9wavefront6targetE1EEEvT1_.num_named_barrier, 0
	.set _ZN7rocprim17ROCPRIM_400000_NS6detail17trampoline_kernelINS0_14default_configENS1_35adjacent_difference_config_selectorILb1ElEEZNS1_24adjacent_difference_implIS3_Lb1ELb0EPlS7_ZN2at6native12_GLOBAL__N_124unique_dim_cuda_templateImEESt5tupleIJNS8_6TensorESD_SD_EERKSD_lbbbEUlllE1_EE10hipError_tPvRmT2_T3_mT4_P12ihipStream_tbEUlT_E_NS1_11comp_targetILNS1_3genE2ELNS1_11target_archE906ELNS1_3gpuE6ELNS1_3repE0EEENS1_30default_config_static_selectorELNS0_4arch9wavefront6targetE1EEEvT1_.private_seg_size, 0
	.set _ZN7rocprim17ROCPRIM_400000_NS6detail17trampoline_kernelINS0_14default_configENS1_35adjacent_difference_config_selectorILb1ElEEZNS1_24adjacent_difference_implIS3_Lb1ELb0EPlS7_ZN2at6native12_GLOBAL__N_124unique_dim_cuda_templateImEESt5tupleIJNS8_6TensorESD_SD_EERKSD_lbbbEUlllE1_EE10hipError_tPvRmT2_T3_mT4_P12ihipStream_tbEUlT_E_NS1_11comp_targetILNS1_3genE2ELNS1_11target_archE906ELNS1_3gpuE6ELNS1_3repE0EEENS1_30default_config_static_selectorELNS0_4arch9wavefront6targetE1EEEvT1_.uses_vcc, 0
	.set _ZN7rocprim17ROCPRIM_400000_NS6detail17trampoline_kernelINS0_14default_configENS1_35adjacent_difference_config_selectorILb1ElEEZNS1_24adjacent_difference_implIS3_Lb1ELb0EPlS7_ZN2at6native12_GLOBAL__N_124unique_dim_cuda_templateImEESt5tupleIJNS8_6TensorESD_SD_EERKSD_lbbbEUlllE1_EE10hipError_tPvRmT2_T3_mT4_P12ihipStream_tbEUlT_E_NS1_11comp_targetILNS1_3genE2ELNS1_11target_archE906ELNS1_3gpuE6ELNS1_3repE0EEENS1_30default_config_static_selectorELNS0_4arch9wavefront6targetE1EEEvT1_.uses_flat_scratch, 0
	.set _ZN7rocprim17ROCPRIM_400000_NS6detail17trampoline_kernelINS0_14default_configENS1_35adjacent_difference_config_selectorILb1ElEEZNS1_24adjacent_difference_implIS3_Lb1ELb0EPlS7_ZN2at6native12_GLOBAL__N_124unique_dim_cuda_templateImEESt5tupleIJNS8_6TensorESD_SD_EERKSD_lbbbEUlllE1_EE10hipError_tPvRmT2_T3_mT4_P12ihipStream_tbEUlT_E_NS1_11comp_targetILNS1_3genE2ELNS1_11target_archE906ELNS1_3gpuE6ELNS1_3repE0EEENS1_30default_config_static_selectorELNS0_4arch9wavefront6targetE1EEEvT1_.has_dyn_sized_stack, 0
	.set _ZN7rocprim17ROCPRIM_400000_NS6detail17trampoline_kernelINS0_14default_configENS1_35adjacent_difference_config_selectorILb1ElEEZNS1_24adjacent_difference_implIS3_Lb1ELb0EPlS7_ZN2at6native12_GLOBAL__N_124unique_dim_cuda_templateImEESt5tupleIJNS8_6TensorESD_SD_EERKSD_lbbbEUlllE1_EE10hipError_tPvRmT2_T3_mT4_P12ihipStream_tbEUlT_E_NS1_11comp_targetILNS1_3genE2ELNS1_11target_archE906ELNS1_3gpuE6ELNS1_3repE0EEENS1_30default_config_static_selectorELNS0_4arch9wavefront6targetE1EEEvT1_.has_recursion, 0
	.set _ZN7rocprim17ROCPRIM_400000_NS6detail17trampoline_kernelINS0_14default_configENS1_35adjacent_difference_config_selectorILb1ElEEZNS1_24adjacent_difference_implIS3_Lb1ELb0EPlS7_ZN2at6native12_GLOBAL__N_124unique_dim_cuda_templateImEESt5tupleIJNS8_6TensorESD_SD_EERKSD_lbbbEUlllE1_EE10hipError_tPvRmT2_T3_mT4_P12ihipStream_tbEUlT_E_NS1_11comp_targetILNS1_3genE2ELNS1_11target_archE906ELNS1_3gpuE6ELNS1_3repE0EEENS1_30default_config_static_selectorELNS0_4arch9wavefront6targetE1EEEvT1_.has_indirect_call, 0
	.section	.AMDGPU.csdata,"",@progbits
; Kernel info:
; codeLenInByte = 0
; TotalNumSgprs: 6
; NumVgprs: 0
; NumAgprs: 0
; TotalNumVgprs: 0
; ScratchSize: 0
; MemoryBound: 0
; FloatMode: 240
; IeeeMode: 1
; LDSByteSize: 0 bytes/workgroup (compile time only)
; SGPRBlocks: 0
; VGPRBlocks: 0
; NumSGPRsForWavesPerEU: 6
; NumVGPRsForWavesPerEU: 1
; AccumOffset: 4
; Occupancy: 8
; WaveLimiterHint : 0
; COMPUTE_PGM_RSRC2:SCRATCH_EN: 0
; COMPUTE_PGM_RSRC2:USER_SGPR: 2
; COMPUTE_PGM_RSRC2:TRAP_HANDLER: 0
; COMPUTE_PGM_RSRC2:TGID_X_EN: 1
; COMPUTE_PGM_RSRC2:TGID_Y_EN: 0
; COMPUTE_PGM_RSRC2:TGID_Z_EN: 0
; COMPUTE_PGM_RSRC2:TIDIG_COMP_CNT: 0
; COMPUTE_PGM_RSRC3_GFX90A:ACCUM_OFFSET: 0
; COMPUTE_PGM_RSRC3_GFX90A:TG_SPLIT: 0
	.section	.text._ZN7rocprim17ROCPRIM_400000_NS6detail17trampoline_kernelINS0_14default_configENS1_35adjacent_difference_config_selectorILb1ElEEZNS1_24adjacent_difference_implIS3_Lb1ELb0EPlS7_ZN2at6native12_GLOBAL__N_124unique_dim_cuda_templateImEESt5tupleIJNS8_6TensorESD_SD_EERKSD_lbbbEUlllE1_EE10hipError_tPvRmT2_T3_mT4_P12ihipStream_tbEUlT_E_NS1_11comp_targetILNS1_3genE9ELNS1_11target_archE1100ELNS1_3gpuE3ELNS1_3repE0EEENS1_30default_config_static_selectorELNS0_4arch9wavefront6targetE1EEEvT1_,"axG",@progbits,_ZN7rocprim17ROCPRIM_400000_NS6detail17trampoline_kernelINS0_14default_configENS1_35adjacent_difference_config_selectorILb1ElEEZNS1_24adjacent_difference_implIS3_Lb1ELb0EPlS7_ZN2at6native12_GLOBAL__N_124unique_dim_cuda_templateImEESt5tupleIJNS8_6TensorESD_SD_EERKSD_lbbbEUlllE1_EE10hipError_tPvRmT2_T3_mT4_P12ihipStream_tbEUlT_E_NS1_11comp_targetILNS1_3genE9ELNS1_11target_archE1100ELNS1_3gpuE3ELNS1_3repE0EEENS1_30default_config_static_selectorELNS0_4arch9wavefront6targetE1EEEvT1_,comdat
	.globl	_ZN7rocprim17ROCPRIM_400000_NS6detail17trampoline_kernelINS0_14default_configENS1_35adjacent_difference_config_selectorILb1ElEEZNS1_24adjacent_difference_implIS3_Lb1ELb0EPlS7_ZN2at6native12_GLOBAL__N_124unique_dim_cuda_templateImEESt5tupleIJNS8_6TensorESD_SD_EERKSD_lbbbEUlllE1_EE10hipError_tPvRmT2_T3_mT4_P12ihipStream_tbEUlT_E_NS1_11comp_targetILNS1_3genE9ELNS1_11target_archE1100ELNS1_3gpuE3ELNS1_3repE0EEENS1_30default_config_static_selectorELNS0_4arch9wavefront6targetE1EEEvT1_ ; -- Begin function _ZN7rocprim17ROCPRIM_400000_NS6detail17trampoline_kernelINS0_14default_configENS1_35adjacent_difference_config_selectorILb1ElEEZNS1_24adjacent_difference_implIS3_Lb1ELb0EPlS7_ZN2at6native12_GLOBAL__N_124unique_dim_cuda_templateImEESt5tupleIJNS8_6TensorESD_SD_EERKSD_lbbbEUlllE1_EE10hipError_tPvRmT2_T3_mT4_P12ihipStream_tbEUlT_E_NS1_11comp_targetILNS1_3genE9ELNS1_11target_archE1100ELNS1_3gpuE3ELNS1_3repE0EEENS1_30default_config_static_selectorELNS0_4arch9wavefront6targetE1EEEvT1_
	.p2align	8
	.type	_ZN7rocprim17ROCPRIM_400000_NS6detail17trampoline_kernelINS0_14default_configENS1_35adjacent_difference_config_selectorILb1ElEEZNS1_24adjacent_difference_implIS3_Lb1ELb0EPlS7_ZN2at6native12_GLOBAL__N_124unique_dim_cuda_templateImEESt5tupleIJNS8_6TensorESD_SD_EERKSD_lbbbEUlllE1_EE10hipError_tPvRmT2_T3_mT4_P12ihipStream_tbEUlT_E_NS1_11comp_targetILNS1_3genE9ELNS1_11target_archE1100ELNS1_3gpuE3ELNS1_3repE0EEENS1_30default_config_static_selectorELNS0_4arch9wavefront6targetE1EEEvT1_,@function
_ZN7rocprim17ROCPRIM_400000_NS6detail17trampoline_kernelINS0_14default_configENS1_35adjacent_difference_config_selectorILb1ElEEZNS1_24adjacent_difference_implIS3_Lb1ELb0EPlS7_ZN2at6native12_GLOBAL__N_124unique_dim_cuda_templateImEESt5tupleIJNS8_6TensorESD_SD_EERKSD_lbbbEUlllE1_EE10hipError_tPvRmT2_T3_mT4_P12ihipStream_tbEUlT_E_NS1_11comp_targetILNS1_3genE9ELNS1_11target_archE1100ELNS1_3gpuE3ELNS1_3repE0EEENS1_30default_config_static_selectorELNS0_4arch9wavefront6targetE1EEEvT1_: ; @_ZN7rocprim17ROCPRIM_400000_NS6detail17trampoline_kernelINS0_14default_configENS1_35adjacent_difference_config_selectorILb1ElEEZNS1_24adjacent_difference_implIS3_Lb1ELb0EPlS7_ZN2at6native12_GLOBAL__N_124unique_dim_cuda_templateImEESt5tupleIJNS8_6TensorESD_SD_EERKSD_lbbbEUlllE1_EE10hipError_tPvRmT2_T3_mT4_P12ihipStream_tbEUlT_E_NS1_11comp_targetILNS1_3genE9ELNS1_11target_archE1100ELNS1_3gpuE3ELNS1_3repE0EEENS1_30default_config_static_selectorELNS0_4arch9wavefront6targetE1EEEvT1_
; %bb.0:
	.section	.rodata,"a",@progbits
	.p2align	6, 0x0
	.amdhsa_kernel _ZN7rocprim17ROCPRIM_400000_NS6detail17trampoline_kernelINS0_14default_configENS1_35adjacent_difference_config_selectorILb1ElEEZNS1_24adjacent_difference_implIS3_Lb1ELb0EPlS7_ZN2at6native12_GLOBAL__N_124unique_dim_cuda_templateImEESt5tupleIJNS8_6TensorESD_SD_EERKSD_lbbbEUlllE1_EE10hipError_tPvRmT2_T3_mT4_P12ihipStream_tbEUlT_E_NS1_11comp_targetILNS1_3genE9ELNS1_11target_archE1100ELNS1_3gpuE3ELNS1_3repE0EEENS1_30default_config_static_selectorELNS0_4arch9wavefront6targetE1EEEvT1_
		.amdhsa_group_segment_fixed_size 0
		.amdhsa_private_segment_fixed_size 0
		.amdhsa_kernarg_size 64
		.amdhsa_user_sgpr_count 2
		.amdhsa_user_sgpr_dispatch_ptr 0
		.amdhsa_user_sgpr_queue_ptr 0
		.amdhsa_user_sgpr_kernarg_segment_ptr 1
		.amdhsa_user_sgpr_dispatch_id 0
		.amdhsa_user_sgpr_kernarg_preload_length 0
		.amdhsa_user_sgpr_kernarg_preload_offset 0
		.amdhsa_user_sgpr_private_segment_size 0
		.amdhsa_uses_dynamic_stack 0
		.amdhsa_enable_private_segment 0
		.amdhsa_system_sgpr_workgroup_id_x 1
		.amdhsa_system_sgpr_workgroup_id_y 0
		.amdhsa_system_sgpr_workgroup_id_z 0
		.amdhsa_system_sgpr_workgroup_info 0
		.amdhsa_system_vgpr_workitem_id 0
		.amdhsa_next_free_vgpr 1
		.amdhsa_next_free_sgpr 0
		.amdhsa_accum_offset 4
		.amdhsa_reserve_vcc 0
		.amdhsa_float_round_mode_32 0
		.amdhsa_float_round_mode_16_64 0
		.amdhsa_float_denorm_mode_32 3
		.amdhsa_float_denorm_mode_16_64 3
		.amdhsa_dx10_clamp 1
		.amdhsa_ieee_mode 1
		.amdhsa_fp16_overflow 0
		.amdhsa_tg_split 0
		.amdhsa_exception_fp_ieee_invalid_op 0
		.amdhsa_exception_fp_denorm_src 0
		.amdhsa_exception_fp_ieee_div_zero 0
		.amdhsa_exception_fp_ieee_overflow 0
		.amdhsa_exception_fp_ieee_underflow 0
		.amdhsa_exception_fp_ieee_inexact 0
		.amdhsa_exception_int_div_zero 0
	.end_amdhsa_kernel
	.section	.text._ZN7rocprim17ROCPRIM_400000_NS6detail17trampoline_kernelINS0_14default_configENS1_35adjacent_difference_config_selectorILb1ElEEZNS1_24adjacent_difference_implIS3_Lb1ELb0EPlS7_ZN2at6native12_GLOBAL__N_124unique_dim_cuda_templateImEESt5tupleIJNS8_6TensorESD_SD_EERKSD_lbbbEUlllE1_EE10hipError_tPvRmT2_T3_mT4_P12ihipStream_tbEUlT_E_NS1_11comp_targetILNS1_3genE9ELNS1_11target_archE1100ELNS1_3gpuE3ELNS1_3repE0EEENS1_30default_config_static_selectorELNS0_4arch9wavefront6targetE1EEEvT1_,"axG",@progbits,_ZN7rocprim17ROCPRIM_400000_NS6detail17trampoline_kernelINS0_14default_configENS1_35adjacent_difference_config_selectorILb1ElEEZNS1_24adjacent_difference_implIS3_Lb1ELb0EPlS7_ZN2at6native12_GLOBAL__N_124unique_dim_cuda_templateImEESt5tupleIJNS8_6TensorESD_SD_EERKSD_lbbbEUlllE1_EE10hipError_tPvRmT2_T3_mT4_P12ihipStream_tbEUlT_E_NS1_11comp_targetILNS1_3genE9ELNS1_11target_archE1100ELNS1_3gpuE3ELNS1_3repE0EEENS1_30default_config_static_selectorELNS0_4arch9wavefront6targetE1EEEvT1_,comdat
.Lfunc_end1661:
	.size	_ZN7rocprim17ROCPRIM_400000_NS6detail17trampoline_kernelINS0_14default_configENS1_35adjacent_difference_config_selectorILb1ElEEZNS1_24adjacent_difference_implIS3_Lb1ELb0EPlS7_ZN2at6native12_GLOBAL__N_124unique_dim_cuda_templateImEESt5tupleIJNS8_6TensorESD_SD_EERKSD_lbbbEUlllE1_EE10hipError_tPvRmT2_T3_mT4_P12ihipStream_tbEUlT_E_NS1_11comp_targetILNS1_3genE9ELNS1_11target_archE1100ELNS1_3gpuE3ELNS1_3repE0EEENS1_30default_config_static_selectorELNS0_4arch9wavefront6targetE1EEEvT1_, .Lfunc_end1661-_ZN7rocprim17ROCPRIM_400000_NS6detail17trampoline_kernelINS0_14default_configENS1_35adjacent_difference_config_selectorILb1ElEEZNS1_24adjacent_difference_implIS3_Lb1ELb0EPlS7_ZN2at6native12_GLOBAL__N_124unique_dim_cuda_templateImEESt5tupleIJNS8_6TensorESD_SD_EERKSD_lbbbEUlllE1_EE10hipError_tPvRmT2_T3_mT4_P12ihipStream_tbEUlT_E_NS1_11comp_targetILNS1_3genE9ELNS1_11target_archE1100ELNS1_3gpuE3ELNS1_3repE0EEENS1_30default_config_static_selectorELNS0_4arch9wavefront6targetE1EEEvT1_
                                        ; -- End function
	.set _ZN7rocprim17ROCPRIM_400000_NS6detail17trampoline_kernelINS0_14default_configENS1_35adjacent_difference_config_selectorILb1ElEEZNS1_24adjacent_difference_implIS3_Lb1ELb0EPlS7_ZN2at6native12_GLOBAL__N_124unique_dim_cuda_templateImEESt5tupleIJNS8_6TensorESD_SD_EERKSD_lbbbEUlllE1_EE10hipError_tPvRmT2_T3_mT4_P12ihipStream_tbEUlT_E_NS1_11comp_targetILNS1_3genE9ELNS1_11target_archE1100ELNS1_3gpuE3ELNS1_3repE0EEENS1_30default_config_static_selectorELNS0_4arch9wavefront6targetE1EEEvT1_.num_vgpr, 0
	.set _ZN7rocprim17ROCPRIM_400000_NS6detail17trampoline_kernelINS0_14default_configENS1_35adjacent_difference_config_selectorILb1ElEEZNS1_24adjacent_difference_implIS3_Lb1ELb0EPlS7_ZN2at6native12_GLOBAL__N_124unique_dim_cuda_templateImEESt5tupleIJNS8_6TensorESD_SD_EERKSD_lbbbEUlllE1_EE10hipError_tPvRmT2_T3_mT4_P12ihipStream_tbEUlT_E_NS1_11comp_targetILNS1_3genE9ELNS1_11target_archE1100ELNS1_3gpuE3ELNS1_3repE0EEENS1_30default_config_static_selectorELNS0_4arch9wavefront6targetE1EEEvT1_.num_agpr, 0
	.set _ZN7rocprim17ROCPRIM_400000_NS6detail17trampoline_kernelINS0_14default_configENS1_35adjacent_difference_config_selectorILb1ElEEZNS1_24adjacent_difference_implIS3_Lb1ELb0EPlS7_ZN2at6native12_GLOBAL__N_124unique_dim_cuda_templateImEESt5tupleIJNS8_6TensorESD_SD_EERKSD_lbbbEUlllE1_EE10hipError_tPvRmT2_T3_mT4_P12ihipStream_tbEUlT_E_NS1_11comp_targetILNS1_3genE9ELNS1_11target_archE1100ELNS1_3gpuE3ELNS1_3repE0EEENS1_30default_config_static_selectorELNS0_4arch9wavefront6targetE1EEEvT1_.numbered_sgpr, 0
	.set _ZN7rocprim17ROCPRIM_400000_NS6detail17trampoline_kernelINS0_14default_configENS1_35adjacent_difference_config_selectorILb1ElEEZNS1_24adjacent_difference_implIS3_Lb1ELb0EPlS7_ZN2at6native12_GLOBAL__N_124unique_dim_cuda_templateImEESt5tupleIJNS8_6TensorESD_SD_EERKSD_lbbbEUlllE1_EE10hipError_tPvRmT2_T3_mT4_P12ihipStream_tbEUlT_E_NS1_11comp_targetILNS1_3genE9ELNS1_11target_archE1100ELNS1_3gpuE3ELNS1_3repE0EEENS1_30default_config_static_selectorELNS0_4arch9wavefront6targetE1EEEvT1_.num_named_barrier, 0
	.set _ZN7rocprim17ROCPRIM_400000_NS6detail17trampoline_kernelINS0_14default_configENS1_35adjacent_difference_config_selectorILb1ElEEZNS1_24adjacent_difference_implIS3_Lb1ELb0EPlS7_ZN2at6native12_GLOBAL__N_124unique_dim_cuda_templateImEESt5tupleIJNS8_6TensorESD_SD_EERKSD_lbbbEUlllE1_EE10hipError_tPvRmT2_T3_mT4_P12ihipStream_tbEUlT_E_NS1_11comp_targetILNS1_3genE9ELNS1_11target_archE1100ELNS1_3gpuE3ELNS1_3repE0EEENS1_30default_config_static_selectorELNS0_4arch9wavefront6targetE1EEEvT1_.private_seg_size, 0
	.set _ZN7rocprim17ROCPRIM_400000_NS6detail17trampoline_kernelINS0_14default_configENS1_35adjacent_difference_config_selectorILb1ElEEZNS1_24adjacent_difference_implIS3_Lb1ELb0EPlS7_ZN2at6native12_GLOBAL__N_124unique_dim_cuda_templateImEESt5tupleIJNS8_6TensorESD_SD_EERKSD_lbbbEUlllE1_EE10hipError_tPvRmT2_T3_mT4_P12ihipStream_tbEUlT_E_NS1_11comp_targetILNS1_3genE9ELNS1_11target_archE1100ELNS1_3gpuE3ELNS1_3repE0EEENS1_30default_config_static_selectorELNS0_4arch9wavefront6targetE1EEEvT1_.uses_vcc, 0
	.set _ZN7rocprim17ROCPRIM_400000_NS6detail17trampoline_kernelINS0_14default_configENS1_35adjacent_difference_config_selectorILb1ElEEZNS1_24adjacent_difference_implIS3_Lb1ELb0EPlS7_ZN2at6native12_GLOBAL__N_124unique_dim_cuda_templateImEESt5tupleIJNS8_6TensorESD_SD_EERKSD_lbbbEUlllE1_EE10hipError_tPvRmT2_T3_mT4_P12ihipStream_tbEUlT_E_NS1_11comp_targetILNS1_3genE9ELNS1_11target_archE1100ELNS1_3gpuE3ELNS1_3repE0EEENS1_30default_config_static_selectorELNS0_4arch9wavefront6targetE1EEEvT1_.uses_flat_scratch, 0
	.set _ZN7rocprim17ROCPRIM_400000_NS6detail17trampoline_kernelINS0_14default_configENS1_35adjacent_difference_config_selectorILb1ElEEZNS1_24adjacent_difference_implIS3_Lb1ELb0EPlS7_ZN2at6native12_GLOBAL__N_124unique_dim_cuda_templateImEESt5tupleIJNS8_6TensorESD_SD_EERKSD_lbbbEUlllE1_EE10hipError_tPvRmT2_T3_mT4_P12ihipStream_tbEUlT_E_NS1_11comp_targetILNS1_3genE9ELNS1_11target_archE1100ELNS1_3gpuE3ELNS1_3repE0EEENS1_30default_config_static_selectorELNS0_4arch9wavefront6targetE1EEEvT1_.has_dyn_sized_stack, 0
	.set _ZN7rocprim17ROCPRIM_400000_NS6detail17trampoline_kernelINS0_14default_configENS1_35adjacent_difference_config_selectorILb1ElEEZNS1_24adjacent_difference_implIS3_Lb1ELb0EPlS7_ZN2at6native12_GLOBAL__N_124unique_dim_cuda_templateImEESt5tupleIJNS8_6TensorESD_SD_EERKSD_lbbbEUlllE1_EE10hipError_tPvRmT2_T3_mT4_P12ihipStream_tbEUlT_E_NS1_11comp_targetILNS1_3genE9ELNS1_11target_archE1100ELNS1_3gpuE3ELNS1_3repE0EEENS1_30default_config_static_selectorELNS0_4arch9wavefront6targetE1EEEvT1_.has_recursion, 0
	.set _ZN7rocprim17ROCPRIM_400000_NS6detail17trampoline_kernelINS0_14default_configENS1_35adjacent_difference_config_selectorILb1ElEEZNS1_24adjacent_difference_implIS3_Lb1ELb0EPlS7_ZN2at6native12_GLOBAL__N_124unique_dim_cuda_templateImEESt5tupleIJNS8_6TensorESD_SD_EERKSD_lbbbEUlllE1_EE10hipError_tPvRmT2_T3_mT4_P12ihipStream_tbEUlT_E_NS1_11comp_targetILNS1_3genE9ELNS1_11target_archE1100ELNS1_3gpuE3ELNS1_3repE0EEENS1_30default_config_static_selectorELNS0_4arch9wavefront6targetE1EEEvT1_.has_indirect_call, 0
	.section	.AMDGPU.csdata,"",@progbits
; Kernel info:
; codeLenInByte = 0
; TotalNumSgprs: 6
; NumVgprs: 0
; NumAgprs: 0
; TotalNumVgprs: 0
; ScratchSize: 0
; MemoryBound: 0
; FloatMode: 240
; IeeeMode: 1
; LDSByteSize: 0 bytes/workgroup (compile time only)
; SGPRBlocks: 0
; VGPRBlocks: 0
; NumSGPRsForWavesPerEU: 6
; NumVGPRsForWavesPerEU: 1
; AccumOffset: 4
; Occupancy: 8
; WaveLimiterHint : 0
; COMPUTE_PGM_RSRC2:SCRATCH_EN: 0
; COMPUTE_PGM_RSRC2:USER_SGPR: 2
; COMPUTE_PGM_RSRC2:TRAP_HANDLER: 0
; COMPUTE_PGM_RSRC2:TGID_X_EN: 1
; COMPUTE_PGM_RSRC2:TGID_Y_EN: 0
; COMPUTE_PGM_RSRC2:TGID_Z_EN: 0
; COMPUTE_PGM_RSRC2:TIDIG_COMP_CNT: 0
; COMPUTE_PGM_RSRC3_GFX90A:ACCUM_OFFSET: 0
; COMPUTE_PGM_RSRC3_GFX90A:TG_SPLIT: 0
	.section	.text._ZN7rocprim17ROCPRIM_400000_NS6detail17trampoline_kernelINS0_14default_configENS1_35adjacent_difference_config_selectorILb1ElEEZNS1_24adjacent_difference_implIS3_Lb1ELb0EPlS7_ZN2at6native12_GLOBAL__N_124unique_dim_cuda_templateImEESt5tupleIJNS8_6TensorESD_SD_EERKSD_lbbbEUlllE1_EE10hipError_tPvRmT2_T3_mT4_P12ihipStream_tbEUlT_E_NS1_11comp_targetILNS1_3genE8ELNS1_11target_archE1030ELNS1_3gpuE2ELNS1_3repE0EEENS1_30default_config_static_selectorELNS0_4arch9wavefront6targetE1EEEvT1_,"axG",@progbits,_ZN7rocprim17ROCPRIM_400000_NS6detail17trampoline_kernelINS0_14default_configENS1_35adjacent_difference_config_selectorILb1ElEEZNS1_24adjacent_difference_implIS3_Lb1ELb0EPlS7_ZN2at6native12_GLOBAL__N_124unique_dim_cuda_templateImEESt5tupleIJNS8_6TensorESD_SD_EERKSD_lbbbEUlllE1_EE10hipError_tPvRmT2_T3_mT4_P12ihipStream_tbEUlT_E_NS1_11comp_targetILNS1_3genE8ELNS1_11target_archE1030ELNS1_3gpuE2ELNS1_3repE0EEENS1_30default_config_static_selectorELNS0_4arch9wavefront6targetE1EEEvT1_,comdat
	.globl	_ZN7rocprim17ROCPRIM_400000_NS6detail17trampoline_kernelINS0_14default_configENS1_35adjacent_difference_config_selectorILb1ElEEZNS1_24adjacent_difference_implIS3_Lb1ELb0EPlS7_ZN2at6native12_GLOBAL__N_124unique_dim_cuda_templateImEESt5tupleIJNS8_6TensorESD_SD_EERKSD_lbbbEUlllE1_EE10hipError_tPvRmT2_T3_mT4_P12ihipStream_tbEUlT_E_NS1_11comp_targetILNS1_3genE8ELNS1_11target_archE1030ELNS1_3gpuE2ELNS1_3repE0EEENS1_30default_config_static_selectorELNS0_4arch9wavefront6targetE1EEEvT1_ ; -- Begin function _ZN7rocprim17ROCPRIM_400000_NS6detail17trampoline_kernelINS0_14default_configENS1_35adjacent_difference_config_selectorILb1ElEEZNS1_24adjacent_difference_implIS3_Lb1ELb0EPlS7_ZN2at6native12_GLOBAL__N_124unique_dim_cuda_templateImEESt5tupleIJNS8_6TensorESD_SD_EERKSD_lbbbEUlllE1_EE10hipError_tPvRmT2_T3_mT4_P12ihipStream_tbEUlT_E_NS1_11comp_targetILNS1_3genE8ELNS1_11target_archE1030ELNS1_3gpuE2ELNS1_3repE0EEENS1_30default_config_static_selectorELNS0_4arch9wavefront6targetE1EEEvT1_
	.p2align	8
	.type	_ZN7rocprim17ROCPRIM_400000_NS6detail17trampoline_kernelINS0_14default_configENS1_35adjacent_difference_config_selectorILb1ElEEZNS1_24adjacent_difference_implIS3_Lb1ELb0EPlS7_ZN2at6native12_GLOBAL__N_124unique_dim_cuda_templateImEESt5tupleIJNS8_6TensorESD_SD_EERKSD_lbbbEUlllE1_EE10hipError_tPvRmT2_T3_mT4_P12ihipStream_tbEUlT_E_NS1_11comp_targetILNS1_3genE8ELNS1_11target_archE1030ELNS1_3gpuE2ELNS1_3repE0EEENS1_30default_config_static_selectorELNS0_4arch9wavefront6targetE1EEEvT1_,@function
_ZN7rocprim17ROCPRIM_400000_NS6detail17trampoline_kernelINS0_14default_configENS1_35adjacent_difference_config_selectorILb1ElEEZNS1_24adjacent_difference_implIS3_Lb1ELb0EPlS7_ZN2at6native12_GLOBAL__N_124unique_dim_cuda_templateImEESt5tupleIJNS8_6TensorESD_SD_EERKSD_lbbbEUlllE1_EE10hipError_tPvRmT2_T3_mT4_P12ihipStream_tbEUlT_E_NS1_11comp_targetILNS1_3genE8ELNS1_11target_archE1030ELNS1_3gpuE2ELNS1_3repE0EEENS1_30default_config_static_selectorELNS0_4arch9wavefront6targetE1EEEvT1_: ; @_ZN7rocprim17ROCPRIM_400000_NS6detail17trampoline_kernelINS0_14default_configENS1_35adjacent_difference_config_selectorILb1ElEEZNS1_24adjacent_difference_implIS3_Lb1ELb0EPlS7_ZN2at6native12_GLOBAL__N_124unique_dim_cuda_templateImEESt5tupleIJNS8_6TensorESD_SD_EERKSD_lbbbEUlllE1_EE10hipError_tPvRmT2_T3_mT4_P12ihipStream_tbEUlT_E_NS1_11comp_targetILNS1_3genE8ELNS1_11target_archE1030ELNS1_3gpuE2ELNS1_3repE0EEENS1_30default_config_static_selectorELNS0_4arch9wavefront6targetE1EEEvT1_
; %bb.0:
	.section	.rodata,"a",@progbits
	.p2align	6, 0x0
	.amdhsa_kernel _ZN7rocprim17ROCPRIM_400000_NS6detail17trampoline_kernelINS0_14default_configENS1_35adjacent_difference_config_selectorILb1ElEEZNS1_24adjacent_difference_implIS3_Lb1ELb0EPlS7_ZN2at6native12_GLOBAL__N_124unique_dim_cuda_templateImEESt5tupleIJNS8_6TensorESD_SD_EERKSD_lbbbEUlllE1_EE10hipError_tPvRmT2_T3_mT4_P12ihipStream_tbEUlT_E_NS1_11comp_targetILNS1_3genE8ELNS1_11target_archE1030ELNS1_3gpuE2ELNS1_3repE0EEENS1_30default_config_static_selectorELNS0_4arch9wavefront6targetE1EEEvT1_
		.amdhsa_group_segment_fixed_size 0
		.amdhsa_private_segment_fixed_size 0
		.amdhsa_kernarg_size 64
		.amdhsa_user_sgpr_count 2
		.amdhsa_user_sgpr_dispatch_ptr 0
		.amdhsa_user_sgpr_queue_ptr 0
		.amdhsa_user_sgpr_kernarg_segment_ptr 1
		.amdhsa_user_sgpr_dispatch_id 0
		.amdhsa_user_sgpr_kernarg_preload_length 0
		.amdhsa_user_sgpr_kernarg_preload_offset 0
		.amdhsa_user_sgpr_private_segment_size 0
		.amdhsa_uses_dynamic_stack 0
		.amdhsa_enable_private_segment 0
		.amdhsa_system_sgpr_workgroup_id_x 1
		.amdhsa_system_sgpr_workgroup_id_y 0
		.amdhsa_system_sgpr_workgroup_id_z 0
		.amdhsa_system_sgpr_workgroup_info 0
		.amdhsa_system_vgpr_workitem_id 0
		.amdhsa_next_free_vgpr 1
		.amdhsa_next_free_sgpr 0
		.amdhsa_accum_offset 4
		.amdhsa_reserve_vcc 0
		.amdhsa_float_round_mode_32 0
		.amdhsa_float_round_mode_16_64 0
		.amdhsa_float_denorm_mode_32 3
		.amdhsa_float_denorm_mode_16_64 3
		.amdhsa_dx10_clamp 1
		.amdhsa_ieee_mode 1
		.amdhsa_fp16_overflow 0
		.amdhsa_tg_split 0
		.amdhsa_exception_fp_ieee_invalid_op 0
		.amdhsa_exception_fp_denorm_src 0
		.amdhsa_exception_fp_ieee_div_zero 0
		.amdhsa_exception_fp_ieee_overflow 0
		.amdhsa_exception_fp_ieee_underflow 0
		.amdhsa_exception_fp_ieee_inexact 0
		.amdhsa_exception_int_div_zero 0
	.end_amdhsa_kernel
	.section	.text._ZN7rocprim17ROCPRIM_400000_NS6detail17trampoline_kernelINS0_14default_configENS1_35adjacent_difference_config_selectorILb1ElEEZNS1_24adjacent_difference_implIS3_Lb1ELb0EPlS7_ZN2at6native12_GLOBAL__N_124unique_dim_cuda_templateImEESt5tupleIJNS8_6TensorESD_SD_EERKSD_lbbbEUlllE1_EE10hipError_tPvRmT2_T3_mT4_P12ihipStream_tbEUlT_E_NS1_11comp_targetILNS1_3genE8ELNS1_11target_archE1030ELNS1_3gpuE2ELNS1_3repE0EEENS1_30default_config_static_selectorELNS0_4arch9wavefront6targetE1EEEvT1_,"axG",@progbits,_ZN7rocprim17ROCPRIM_400000_NS6detail17trampoline_kernelINS0_14default_configENS1_35adjacent_difference_config_selectorILb1ElEEZNS1_24adjacent_difference_implIS3_Lb1ELb0EPlS7_ZN2at6native12_GLOBAL__N_124unique_dim_cuda_templateImEESt5tupleIJNS8_6TensorESD_SD_EERKSD_lbbbEUlllE1_EE10hipError_tPvRmT2_T3_mT4_P12ihipStream_tbEUlT_E_NS1_11comp_targetILNS1_3genE8ELNS1_11target_archE1030ELNS1_3gpuE2ELNS1_3repE0EEENS1_30default_config_static_selectorELNS0_4arch9wavefront6targetE1EEEvT1_,comdat
.Lfunc_end1662:
	.size	_ZN7rocprim17ROCPRIM_400000_NS6detail17trampoline_kernelINS0_14default_configENS1_35adjacent_difference_config_selectorILb1ElEEZNS1_24adjacent_difference_implIS3_Lb1ELb0EPlS7_ZN2at6native12_GLOBAL__N_124unique_dim_cuda_templateImEESt5tupleIJNS8_6TensorESD_SD_EERKSD_lbbbEUlllE1_EE10hipError_tPvRmT2_T3_mT4_P12ihipStream_tbEUlT_E_NS1_11comp_targetILNS1_3genE8ELNS1_11target_archE1030ELNS1_3gpuE2ELNS1_3repE0EEENS1_30default_config_static_selectorELNS0_4arch9wavefront6targetE1EEEvT1_, .Lfunc_end1662-_ZN7rocprim17ROCPRIM_400000_NS6detail17trampoline_kernelINS0_14default_configENS1_35adjacent_difference_config_selectorILb1ElEEZNS1_24adjacent_difference_implIS3_Lb1ELb0EPlS7_ZN2at6native12_GLOBAL__N_124unique_dim_cuda_templateImEESt5tupleIJNS8_6TensorESD_SD_EERKSD_lbbbEUlllE1_EE10hipError_tPvRmT2_T3_mT4_P12ihipStream_tbEUlT_E_NS1_11comp_targetILNS1_3genE8ELNS1_11target_archE1030ELNS1_3gpuE2ELNS1_3repE0EEENS1_30default_config_static_selectorELNS0_4arch9wavefront6targetE1EEEvT1_
                                        ; -- End function
	.set _ZN7rocprim17ROCPRIM_400000_NS6detail17trampoline_kernelINS0_14default_configENS1_35adjacent_difference_config_selectorILb1ElEEZNS1_24adjacent_difference_implIS3_Lb1ELb0EPlS7_ZN2at6native12_GLOBAL__N_124unique_dim_cuda_templateImEESt5tupleIJNS8_6TensorESD_SD_EERKSD_lbbbEUlllE1_EE10hipError_tPvRmT2_T3_mT4_P12ihipStream_tbEUlT_E_NS1_11comp_targetILNS1_3genE8ELNS1_11target_archE1030ELNS1_3gpuE2ELNS1_3repE0EEENS1_30default_config_static_selectorELNS0_4arch9wavefront6targetE1EEEvT1_.num_vgpr, 0
	.set _ZN7rocprim17ROCPRIM_400000_NS6detail17trampoline_kernelINS0_14default_configENS1_35adjacent_difference_config_selectorILb1ElEEZNS1_24adjacent_difference_implIS3_Lb1ELb0EPlS7_ZN2at6native12_GLOBAL__N_124unique_dim_cuda_templateImEESt5tupleIJNS8_6TensorESD_SD_EERKSD_lbbbEUlllE1_EE10hipError_tPvRmT2_T3_mT4_P12ihipStream_tbEUlT_E_NS1_11comp_targetILNS1_3genE8ELNS1_11target_archE1030ELNS1_3gpuE2ELNS1_3repE0EEENS1_30default_config_static_selectorELNS0_4arch9wavefront6targetE1EEEvT1_.num_agpr, 0
	.set _ZN7rocprim17ROCPRIM_400000_NS6detail17trampoline_kernelINS0_14default_configENS1_35adjacent_difference_config_selectorILb1ElEEZNS1_24adjacent_difference_implIS3_Lb1ELb0EPlS7_ZN2at6native12_GLOBAL__N_124unique_dim_cuda_templateImEESt5tupleIJNS8_6TensorESD_SD_EERKSD_lbbbEUlllE1_EE10hipError_tPvRmT2_T3_mT4_P12ihipStream_tbEUlT_E_NS1_11comp_targetILNS1_3genE8ELNS1_11target_archE1030ELNS1_3gpuE2ELNS1_3repE0EEENS1_30default_config_static_selectorELNS0_4arch9wavefront6targetE1EEEvT1_.numbered_sgpr, 0
	.set _ZN7rocprim17ROCPRIM_400000_NS6detail17trampoline_kernelINS0_14default_configENS1_35adjacent_difference_config_selectorILb1ElEEZNS1_24adjacent_difference_implIS3_Lb1ELb0EPlS7_ZN2at6native12_GLOBAL__N_124unique_dim_cuda_templateImEESt5tupleIJNS8_6TensorESD_SD_EERKSD_lbbbEUlllE1_EE10hipError_tPvRmT2_T3_mT4_P12ihipStream_tbEUlT_E_NS1_11comp_targetILNS1_3genE8ELNS1_11target_archE1030ELNS1_3gpuE2ELNS1_3repE0EEENS1_30default_config_static_selectorELNS0_4arch9wavefront6targetE1EEEvT1_.num_named_barrier, 0
	.set _ZN7rocprim17ROCPRIM_400000_NS6detail17trampoline_kernelINS0_14default_configENS1_35adjacent_difference_config_selectorILb1ElEEZNS1_24adjacent_difference_implIS3_Lb1ELb0EPlS7_ZN2at6native12_GLOBAL__N_124unique_dim_cuda_templateImEESt5tupleIJNS8_6TensorESD_SD_EERKSD_lbbbEUlllE1_EE10hipError_tPvRmT2_T3_mT4_P12ihipStream_tbEUlT_E_NS1_11comp_targetILNS1_3genE8ELNS1_11target_archE1030ELNS1_3gpuE2ELNS1_3repE0EEENS1_30default_config_static_selectorELNS0_4arch9wavefront6targetE1EEEvT1_.private_seg_size, 0
	.set _ZN7rocprim17ROCPRIM_400000_NS6detail17trampoline_kernelINS0_14default_configENS1_35adjacent_difference_config_selectorILb1ElEEZNS1_24adjacent_difference_implIS3_Lb1ELb0EPlS7_ZN2at6native12_GLOBAL__N_124unique_dim_cuda_templateImEESt5tupleIJNS8_6TensorESD_SD_EERKSD_lbbbEUlllE1_EE10hipError_tPvRmT2_T3_mT4_P12ihipStream_tbEUlT_E_NS1_11comp_targetILNS1_3genE8ELNS1_11target_archE1030ELNS1_3gpuE2ELNS1_3repE0EEENS1_30default_config_static_selectorELNS0_4arch9wavefront6targetE1EEEvT1_.uses_vcc, 0
	.set _ZN7rocprim17ROCPRIM_400000_NS6detail17trampoline_kernelINS0_14default_configENS1_35adjacent_difference_config_selectorILb1ElEEZNS1_24adjacent_difference_implIS3_Lb1ELb0EPlS7_ZN2at6native12_GLOBAL__N_124unique_dim_cuda_templateImEESt5tupleIJNS8_6TensorESD_SD_EERKSD_lbbbEUlllE1_EE10hipError_tPvRmT2_T3_mT4_P12ihipStream_tbEUlT_E_NS1_11comp_targetILNS1_3genE8ELNS1_11target_archE1030ELNS1_3gpuE2ELNS1_3repE0EEENS1_30default_config_static_selectorELNS0_4arch9wavefront6targetE1EEEvT1_.uses_flat_scratch, 0
	.set _ZN7rocprim17ROCPRIM_400000_NS6detail17trampoline_kernelINS0_14default_configENS1_35adjacent_difference_config_selectorILb1ElEEZNS1_24adjacent_difference_implIS3_Lb1ELb0EPlS7_ZN2at6native12_GLOBAL__N_124unique_dim_cuda_templateImEESt5tupleIJNS8_6TensorESD_SD_EERKSD_lbbbEUlllE1_EE10hipError_tPvRmT2_T3_mT4_P12ihipStream_tbEUlT_E_NS1_11comp_targetILNS1_3genE8ELNS1_11target_archE1030ELNS1_3gpuE2ELNS1_3repE0EEENS1_30default_config_static_selectorELNS0_4arch9wavefront6targetE1EEEvT1_.has_dyn_sized_stack, 0
	.set _ZN7rocprim17ROCPRIM_400000_NS6detail17trampoline_kernelINS0_14default_configENS1_35adjacent_difference_config_selectorILb1ElEEZNS1_24adjacent_difference_implIS3_Lb1ELb0EPlS7_ZN2at6native12_GLOBAL__N_124unique_dim_cuda_templateImEESt5tupleIJNS8_6TensorESD_SD_EERKSD_lbbbEUlllE1_EE10hipError_tPvRmT2_T3_mT4_P12ihipStream_tbEUlT_E_NS1_11comp_targetILNS1_3genE8ELNS1_11target_archE1030ELNS1_3gpuE2ELNS1_3repE0EEENS1_30default_config_static_selectorELNS0_4arch9wavefront6targetE1EEEvT1_.has_recursion, 0
	.set _ZN7rocprim17ROCPRIM_400000_NS6detail17trampoline_kernelINS0_14default_configENS1_35adjacent_difference_config_selectorILb1ElEEZNS1_24adjacent_difference_implIS3_Lb1ELb0EPlS7_ZN2at6native12_GLOBAL__N_124unique_dim_cuda_templateImEESt5tupleIJNS8_6TensorESD_SD_EERKSD_lbbbEUlllE1_EE10hipError_tPvRmT2_T3_mT4_P12ihipStream_tbEUlT_E_NS1_11comp_targetILNS1_3genE8ELNS1_11target_archE1030ELNS1_3gpuE2ELNS1_3repE0EEENS1_30default_config_static_selectorELNS0_4arch9wavefront6targetE1EEEvT1_.has_indirect_call, 0
	.section	.AMDGPU.csdata,"",@progbits
; Kernel info:
; codeLenInByte = 0
; TotalNumSgprs: 6
; NumVgprs: 0
; NumAgprs: 0
; TotalNumVgprs: 0
; ScratchSize: 0
; MemoryBound: 0
; FloatMode: 240
; IeeeMode: 1
; LDSByteSize: 0 bytes/workgroup (compile time only)
; SGPRBlocks: 0
; VGPRBlocks: 0
; NumSGPRsForWavesPerEU: 6
; NumVGPRsForWavesPerEU: 1
; AccumOffset: 4
; Occupancy: 8
; WaveLimiterHint : 0
; COMPUTE_PGM_RSRC2:SCRATCH_EN: 0
; COMPUTE_PGM_RSRC2:USER_SGPR: 2
; COMPUTE_PGM_RSRC2:TRAP_HANDLER: 0
; COMPUTE_PGM_RSRC2:TGID_X_EN: 1
; COMPUTE_PGM_RSRC2:TGID_Y_EN: 0
; COMPUTE_PGM_RSRC2:TGID_Z_EN: 0
; COMPUTE_PGM_RSRC2:TIDIG_COMP_CNT: 0
; COMPUTE_PGM_RSRC3_GFX90A:ACCUM_OFFSET: 0
; COMPUTE_PGM_RSRC3_GFX90A:TG_SPLIT: 0
	.section	.text._ZN7rocprim17ROCPRIM_400000_NS6detail17trampoline_kernelINS0_14default_configENS1_25partition_config_selectorILNS1_17partition_subalgoE8ElNS0_10empty_typeEbEEZZNS1_14partition_implILS5_8ELb0ES3_jPlPS6_PKS6_NS0_5tupleIJS9_S6_EEENSD_IJSA_SA_EEENS0_18inequality_wrapperIZN2at6native12_GLOBAL__N_124unique_dim_cuda_templateImEESt5tupleIJNSH_6TensorESM_SM_EERKSM_lbbbEUlllE0_EEPmJS6_EEE10hipError_tPvRmT3_T4_T5_T6_T7_T9_mT8_P12ihipStream_tbDpT10_ENKUlT_T0_E_clISt17integral_constantIbLb0EES1C_EEDaS17_S18_EUlS17_E_NS1_11comp_targetILNS1_3genE0ELNS1_11target_archE4294967295ELNS1_3gpuE0ELNS1_3repE0EEENS1_30default_config_static_selectorELNS0_4arch9wavefront6targetE1EEEvT1_,"axG",@progbits,_ZN7rocprim17ROCPRIM_400000_NS6detail17trampoline_kernelINS0_14default_configENS1_25partition_config_selectorILNS1_17partition_subalgoE8ElNS0_10empty_typeEbEEZZNS1_14partition_implILS5_8ELb0ES3_jPlPS6_PKS6_NS0_5tupleIJS9_S6_EEENSD_IJSA_SA_EEENS0_18inequality_wrapperIZN2at6native12_GLOBAL__N_124unique_dim_cuda_templateImEESt5tupleIJNSH_6TensorESM_SM_EERKSM_lbbbEUlllE0_EEPmJS6_EEE10hipError_tPvRmT3_T4_T5_T6_T7_T9_mT8_P12ihipStream_tbDpT10_ENKUlT_T0_E_clISt17integral_constantIbLb0EES1C_EEDaS17_S18_EUlS17_E_NS1_11comp_targetILNS1_3genE0ELNS1_11target_archE4294967295ELNS1_3gpuE0ELNS1_3repE0EEENS1_30default_config_static_selectorELNS0_4arch9wavefront6targetE1EEEvT1_,comdat
	.globl	_ZN7rocprim17ROCPRIM_400000_NS6detail17trampoline_kernelINS0_14default_configENS1_25partition_config_selectorILNS1_17partition_subalgoE8ElNS0_10empty_typeEbEEZZNS1_14partition_implILS5_8ELb0ES3_jPlPS6_PKS6_NS0_5tupleIJS9_S6_EEENSD_IJSA_SA_EEENS0_18inequality_wrapperIZN2at6native12_GLOBAL__N_124unique_dim_cuda_templateImEESt5tupleIJNSH_6TensorESM_SM_EERKSM_lbbbEUlllE0_EEPmJS6_EEE10hipError_tPvRmT3_T4_T5_T6_T7_T9_mT8_P12ihipStream_tbDpT10_ENKUlT_T0_E_clISt17integral_constantIbLb0EES1C_EEDaS17_S18_EUlS17_E_NS1_11comp_targetILNS1_3genE0ELNS1_11target_archE4294967295ELNS1_3gpuE0ELNS1_3repE0EEENS1_30default_config_static_selectorELNS0_4arch9wavefront6targetE1EEEvT1_ ; -- Begin function _ZN7rocprim17ROCPRIM_400000_NS6detail17trampoline_kernelINS0_14default_configENS1_25partition_config_selectorILNS1_17partition_subalgoE8ElNS0_10empty_typeEbEEZZNS1_14partition_implILS5_8ELb0ES3_jPlPS6_PKS6_NS0_5tupleIJS9_S6_EEENSD_IJSA_SA_EEENS0_18inequality_wrapperIZN2at6native12_GLOBAL__N_124unique_dim_cuda_templateImEESt5tupleIJNSH_6TensorESM_SM_EERKSM_lbbbEUlllE0_EEPmJS6_EEE10hipError_tPvRmT3_T4_T5_T6_T7_T9_mT8_P12ihipStream_tbDpT10_ENKUlT_T0_E_clISt17integral_constantIbLb0EES1C_EEDaS17_S18_EUlS17_E_NS1_11comp_targetILNS1_3genE0ELNS1_11target_archE4294967295ELNS1_3gpuE0ELNS1_3repE0EEENS1_30default_config_static_selectorELNS0_4arch9wavefront6targetE1EEEvT1_
	.p2align	8
	.type	_ZN7rocprim17ROCPRIM_400000_NS6detail17trampoline_kernelINS0_14default_configENS1_25partition_config_selectorILNS1_17partition_subalgoE8ElNS0_10empty_typeEbEEZZNS1_14partition_implILS5_8ELb0ES3_jPlPS6_PKS6_NS0_5tupleIJS9_S6_EEENSD_IJSA_SA_EEENS0_18inequality_wrapperIZN2at6native12_GLOBAL__N_124unique_dim_cuda_templateImEESt5tupleIJNSH_6TensorESM_SM_EERKSM_lbbbEUlllE0_EEPmJS6_EEE10hipError_tPvRmT3_T4_T5_T6_T7_T9_mT8_P12ihipStream_tbDpT10_ENKUlT_T0_E_clISt17integral_constantIbLb0EES1C_EEDaS17_S18_EUlS17_E_NS1_11comp_targetILNS1_3genE0ELNS1_11target_archE4294967295ELNS1_3gpuE0ELNS1_3repE0EEENS1_30default_config_static_selectorELNS0_4arch9wavefront6targetE1EEEvT1_,@function
_ZN7rocprim17ROCPRIM_400000_NS6detail17trampoline_kernelINS0_14default_configENS1_25partition_config_selectorILNS1_17partition_subalgoE8ElNS0_10empty_typeEbEEZZNS1_14partition_implILS5_8ELb0ES3_jPlPS6_PKS6_NS0_5tupleIJS9_S6_EEENSD_IJSA_SA_EEENS0_18inequality_wrapperIZN2at6native12_GLOBAL__N_124unique_dim_cuda_templateImEESt5tupleIJNSH_6TensorESM_SM_EERKSM_lbbbEUlllE0_EEPmJS6_EEE10hipError_tPvRmT3_T4_T5_T6_T7_T9_mT8_P12ihipStream_tbDpT10_ENKUlT_T0_E_clISt17integral_constantIbLb0EES1C_EEDaS17_S18_EUlS17_E_NS1_11comp_targetILNS1_3genE0ELNS1_11target_archE4294967295ELNS1_3gpuE0ELNS1_3repE0EEENS1_30default_config_static_selectorELNS0_4arch9wavefront6targetE1EEEvT1_: ; @_ZN7rocprim17ROCPRIM_400000_NS6detail17trampoline_kernelINS0_14default_configENS1_25partition_config_selectorILNS1_17partition_subalgoE8ElNS0_10empty_typeEbEEZZNS1_14partition_implILS5_8ELb0ES3_jPlPS6_PKS6_NS0_5tupleIJS9_S6_EEENSD_IJSA_SA_EEENS0_18inequality_wrapperIZN2at6native12_GLOBAL__N_124unique_dim_cuda_templateImEESt5tupleIJNSH_6TensorESM_SM_EERKSM_lbbbEUlllE0_EEPmJS6_EEE10hipError_tPvRmT3_T4_T5_T6_T7_T9_mT8_P12ihipStream_tbDpT10_ENKUlT_T0_E_clISt17integral_constantIbLb0EES1C_EEDaS17_S18_EUlS17_E_NS1_11comp_targetILNS1_3genE0ELNS1_11target_archE4294967295ELNS1_3gpuE0ELNS1_3repE0EEENS1_30default_config_static_selectorELNS0_4arch9wavefront6targetE1EEEvT1_
; %bb.0:
	s_load_dwordx4 s[4:7], s[0:1], 0x8
	s_load_dwordx8 s[24:31], s[0:1], 0x40
	s_load_dwordx4 s[20:23], s[0:1], 0x60
	s_load_dword s3, s[0:1], 0x70
	v_lshlrev_b32_e32 v18, 3, v0
	s_waitcnt lgkmcnt(0)
	s_lshl_b64 s[8:9], s[6:7], 3
	s_add_u32 s12, s4, s8
	s_addc_u32 s13, s5, s9
	s_mul_i32 s8, s3, 0xe00
	s_add_i32 s10, s3, -1
	s_add_i32 s3, s8, s6
	s_sub_i32 s3, s28, s3
	s_add_u32 s8, s6, s8
	s_addc_u32 s9, s7, 0
	v_mov_b64_e32 v[2:3], s[8:9]
	s_cmp_eq_u32 s2, s10
	s_load_dwordx2 s[26:27], s[26:27], 0x0
	v_cmp_le_u64_e32 vcc, s[28:29], v[2:3]
	s_cselect_b64 s[28:29], -1, 0
	s_mul_i32 s4, s2, 0xe00
	s_mov_b32 s5, 0
	s_and_b64 s[8:9], s[28:29], vcc
	s_xor_b64 s[34:35], s[8:9], -1
	s_lshl_b64 s[4:5], s[4:5], 3
	s_add_u32 s4, s12, s4
	s_mov_b64 s[10:11], -1
	s_addc_u32 s5, s13, s5
	s_and_b64 vcc, exec, s[34:35]
	s_cbranch_vccz .LBB1663_2
; %bb.1:
	v_lshlrev_b32_e32 v2, 3, v0
	v_mov_b32_e32 v3, 0
	v_lshl_add_u64 v[4:5], s[4:5], 0, v[2:3]
	v_add_co_u32_e32 v8, vcc, 0x1000, v4
	global_load_dwordx2 v[6:7], v2, s[4:5]
	s_nop 0
	v_addc_co_u32_e32 v9, vcc, 0, v5, vcc
	v_add_co_u32_e32 v10, vcc, 0x2000, v4
	s_mov_b64 s[10:11], 0
	s_nop 0
	v_addc_co_u32_e32 v11, vcc, 0, v5, vcc
	v_add_co_u32_e32 v12, vcc, 0x3000, v4
	s_nop 1
	v_addc_co_u32_e32 v13, vcc, 0, v5, vcc
	v_add_co_u32_e32 v14, vcc, 0x4000, v4
	s_nop 1
	v_addc_co_u32_e32 v15, vcc, 0, v5, vcc
	global_load_dwordx2 v[16:17], v[8:9], off
	global_load_dwordx2 v[20:21], v[10:11], off
	;; [unrolled: 1-line block ×4, first 2 shown]
	v_add_co_u32_e32 v8, vcc, 0x5000, v4
	s_nop 1
	v_addc_co_u32_e32 v9, vcc, 0, v5, vcc
	v_add_co_u32_e32 v4, vcc, 0x6000, v4
	s_nop 1
	v_addc_co_u32_e32 v5, vcc, 0, v5, vcc
	global_load_dwordx2 v[10:11], v[8:9], off
	global_load_dwordx2 v[12:13], v[4:5], off
	s_waitcnt vmcnt(5)
	ds_write2st64_b64 v2, v[6:7], v[16:17] offset1:8
	s_waitcnt vmcnt(3)
	ds_write2st64_b64 v2, v[20:21], v[22:23] offset0:16 offset1:24
	s_waitcnt vmcnt(1)
	ds_write2st64_b64 v2, v[24:25], v[10:11] offset0:32 offset1:40
	s_waitcnt vmcnt(0)
	ds_write_b64 v2, v[12:13] offset:24576
	s_waitcnt lgkmcnt(0)
	s_barrier
.LBB1663_2:
	s_andn2_b64 vcc, exec, s[10:11]
	s_addk_i32 s3, 0xe00
	s_cbranch_vccnz .LBB1663_18
; %bb.3:
	v_mov_b32_e32 v2, 0
	v_cmp_gt_u32_e32 vcc, s3, v0
	v_mov_b32_e32 v3, v2
	v_mov_b32_e32 v4, v2
	;; [unrolled: 1-line block ×13, first 2 shown]
	s_and_saveexec_b64 s[10:11], vcc
	s_cbranch_execz .LBB1663_5
; %bb.4:
	v_lshlrev_b32_e32 v1, 3, v0
	global_load_dwordx2 v[4:5], v1, s[4:5]
	v_mov_b32_e32 v6, v2
	v_mov_b32_e32 v7, v2
	;; [unrolled: 1-line block ×12, first 2 shown]
	s_waitcnt vmcnt(0)
	v_mov_b64_e32 v[2:3], v[4:5]
	v_mov_b64_e32 v[4:5], v[6:7]
	;; [unrolled: 1-line block ×8, first 2 shown]
.LBB1663_5:
	s_or_b64 exec, exec, s[10:11]
	v_or_b32_e32 v1, 0x200, v0
	v_cmp_gt_u32_e32 vcc, s3, v1
	s_and_saveexec_b64 s[10:11], vcc
	s_cbranch_execz .LBB1663_7
; %bb.6:
	v_lshlrev_b32_e32 v1, 3, v1
	global_load_dwordx2 v[4:5], v1, s[4:5]
.LBB1663_7:
	s_or_b64 exec, exec, s[10:11]
	v_or_b32_e32 v1, 0x400, v0
	v_cmp_gt_u32_e32 vcc, s3, v1
	s_and_saveexec_b64 s[10:11], vcc
	s_cbranch_execz .LBB1663_9
; %bb.8:
	v_lshlrev_b32_e32 v1, 3, v1
	global_load_dwordx2 v[6:7], v1, s[4:5]
.LBB1663_9:
	;; [unrolled: 9-line block ×6, first 2 shown]
	s_or_b64 exec, exec, s[10:11]
	v_lshlrev_b32_e32 v1, 3, v0
	s_waitcnt vmcnt(0)
	ds_write2st64_b64 v1, v[2:3], v[4:5] offset1:8
	ds_write2st64_b64 v1, v[6:7], v[8:9] offset0:16 offset1:24
	ds_write2st64_b64 v1, v[10:11], v[12:13] offset0:32 offset1:40
	ds_write_b64 v1, v[14:15] offset:24576
	s_waitcnt lgkmcnt(0)
	s_barrier
.LBB1663_18:
	v_mul_u32_u24_e32 v1, 7, v0
	v_lshlrev_b32_e32 v24, 3, v1
	s_waitcnt lgkmcnt(0)
	ds_read2_b64 v[10:13], v24 offset1:1
	ds_read2_b64 v[6:9], v24 offset0:2 offset1:3
	ds_read2_b64 v[2:5], v24 offset0:4 offset1:5
	ds_read_b64 v[14:15], v24 offset:48
	s_cmp_lg_u32 s2, 0
	s_cselect_b64 s[16:17], -1, 0
	s_cmp_lg_u64 s[6:7], 0
	s_cselect_b64 s[6:7], -1, 0
	s_or_b64 s[6:7], s[16:17], s[6:7]
	s_mov_b64 s[10:11], 0
	s_and_b64 vcc, exec, s[6:7]
	v_cmp_gt_i64_e64 s[12:13], s[30:31], 0
	s_waitcnt lgkmcnt(0)
	s_barrier
	s_cbranch_vccz .LBB1663_34
; %bb.19:
	s_add_u32 s4, s4, -8
	s_addc_u32 s5, s5, -1
	s_load_dwordx2 s[10:11], s[4:5], 0x0
	v_cndmask_b32_e64 v16, 0, 1, s[12:13]
	v_lshlrev_b32_e32 v25, 3, v0
	s_mov_b64 s[6:7], 0
	s_and_b64 vcc, exec, s[34:35]
	v_cmp_ne_u32_e64 s[4:5], 1, v16
	ds_write_b64 v25, v[14:15]
	s_cbranch_vccz .LBB1663_36
; %bb.20:
	s_and_b64 vcc, exec, s[4:5]
	s_cbranch_vccnz .LBB1663_37
; %bb.21:
	v_mul_lo_u32 v19, v5, s30
	v_mul_lo_u32 v20, v4, s31
	v_mad_u64_u32 v[16:17], s[6:7], v4, s30, 0
	v_add3_u32 v17, v17, v20, v19
	v_mul_lo_u32 v19, v15, s30
	v_mul_lo_u32 v22, v14, s31
	v_mad_u64_u32 v[20:21], s[6:7], v14, s30, 0
	s_add_u32 s14, s30, -1
	v_lshl_add_u64 v[16:17], v[16:17], 3, s[20:21]
	v_add3_u32 v21, v21, v22, v19
	s_addc_u32 s15, s31, -1
	v_lshl_add_u64 v[20:21], v[20:21], 3, s[20:21]
	s_mov_b64 s[18:19], 0
	s_mov_b64 s[36:37], s[14:15]
	v_mov_b64_e32 v[22:23], v[16:17]
                                        ; implicit-def: $sgpr12_sgpr13
.LBB1663_22:                            ; =>This Inner Loop Header: Depth=1
	global_load_dwordx2 v[26:27], v[22:23], off
	global_load_dwordx2 v[28:29], v[20:21], off
	s_add_u32 s6, s36, -1
	s_addc_u32 s7, s37, -1
	s_cmp_eq_u64 s[36:37], 0
	s_mov_b64 s[36:37], s[6:7]
	s_cselect_b64 s[38:39], -1, 0
	v_lshl_add_u64 v[22:23], v[22:23], 0, 8
	v_lshl_add_u64 v[20:21], v[20:21], 0, 8
	s_waitcnt vmcnt(0)
	v_cmp_ne_u64_e64 s[6:7], v[26:27], v[28:29]
	s_or_b64 s[6:7], s[6:7], s[38:39]
	s_and_b64 s[6:7], exec, s[6:7]
	v_cmp_eq_u64_e32 vcc, v[26:27], v[28:29]
	s_or_b64 s[18:19], s[6:7], s[18:19]
	s_andn2_b64 s[6:7], s[12:13], exec
	s_and_b64 s[12:13], vcc, exec
	s_or_b64 s[12:13], s[6:7], s[12:13]
	s_andn2_b64 exec, exec, s[18:19]
	s_cbranch_execnz .LBB1663_22
; %bb.23:
	s_or_b64 exec, exec, s[18:19]
	v_mul_lo_u32 v19, v3, s30
	v_mul_lo_u32 v22, v2, s31
	v_mad_u64_u32 v[20:21], s[6:7], v2, s30, 0
	v_add3_u32 v21, v21, v22, v19
	v_lshl_add_u64 v[20:21], v[20:21], 3, s[20:21]
	s_mov_b64 s[36:37], 0
	s_mov_b64 s[38:39], s[14:15]
	v_mov_b64_e32 v[22:23], v[20:21]
                                        ; implicit-def: $sgpr18_sgpr19
.LBB1663_24:                            ; =>This Inner Loop Header: Depth=1
	global_load_dwordx2 v[26:27], v[22:23], off
	global_load_dwordx2 v[28:29], v[16:17], off
	s_add_u32 s6, s38, -1
	s_addc_u32 s7, s39, -1
	s_cmp_eq_u64 s[38:39], 0
	s_mov_b64 s[38:39], s[6:7]
	s_cselect_b64 s[40:41], -1, 0
	v_lshl_add_u64 v[22:23], v[22:23], 0, 8
	v_lshl_add_u64 v[16:17], v[16:17], 0, 8
	s_waitcnt vmcnt(0)
	v_cmp_ne_u64_e64 s[6:7], v[26:27], v[28:29]
	s_or_b64 s[6:7], s[6:7], s[40:41]
	s_and_b64 s[6:7], exec, s[6:7]
	v_cmp_eq_u64_e32 vcc, v[26:27], v[28:29]
	s_or_b64 s[36:37], s[6:7], s[36:37]
	s_andn2_b64 s[6:7], s[18:19], exec
	s_and_b64 s[18:19], vcc, exec
	s_or_b64 s[18:19], s[6:7], s[18:19]
	s_andn2_b64 exec, exec, s[36:37]
	s_cbranch_execnz .LBB1663_24
; %bb.25:
	s_or_b64 exec, exec, s[36:37]
	v_mul_lo_u32 v19, v9, s30
	v_mul_lo_u32 v22, v8, s31
	v_mad_u64_u32 v[16:17], s[6:7], v8, s30, 0
	v_add3_u32 v17, v17, v22, v19
	v_lshl_add_u64 v[16:17], v[16:17], 3, s[20:21]
	s_mov_b64 s[38:39], 0
	s_mov_b64 s[40:41], s[14:15]
	v_mov_b64_e32 v[22:23], v[16:17]
                                        ; implicit-def: $sgpr36_sgpr37
.LBB1663_26:                            ; =>This Inner Loop Header: Depth=1
	global_load_dwordx2 v[26:27], v[22:23], off
	global_load_dwordx2 v[28:29], v[20:21], off
	s_add_u32 s6, s40, -1
	s_addc_u32 s7, s41, -1
	s_cmp_eq_u64 s[40:41], 0
	s_mov_b64 s[40:41], s[6:7]
	s_cselect_b64 s[42:43], -1, 0
	v_lshl_add_u64 v[22:23], v[22:23], 0, 8
	v_lshl_add_u64 v[20:21], v[20:21], 0, 8
	s_waitcnt vmcnt(0)
	v_cmp_ne_u64_e64 s[6:7], v[26:27], v[28:29]
	s_or_b64 s[6:7], s[6:7], s[42:43]
	s_and_b64 s[6:7], exec, s[6:7]
	v_cmp_eq_u64_e32 vcc, v[26:27], v[28:29]
	s_or_b64 s[38:39], s[6:7], s[38:39]
	s_andn2_b64 s[6:7], s[36:37], exec
	s_and_b64 s[36:37], vcc, exec
	s_or_b64 s[36:37], s[6:7], s[36:37]
	s_andn2_b64 exec, exec, s[38:39]
	s_cbranch_execnz .LBB1663_26
; %bb.27:
	s_or_b64 exec, exec, s[38:39]
	v_mul_lo_u32 v19, v7, s30
	v_mul_lo_u32 v22, v6, s31
	v_mad_u64_u32 v[20:21], s[6:7], v6, s30, 0
	v_add3_u32 v21, v21, v22, v19
	v_lshl_add_u64 v[20:21], v[20:21], 3, s[20:21]
	s_mov_b64 s[40:41], 0
	s_mov_b64 s[42:43], s[14:15]
	v_mov_b64_e32 v[22:23], v[20:21]
                                        ; implicit-def: $sgpr38_sgpr39
.LBB1663_28:                            ; =>This Inner Loop Header: Depth=1
	global_load_dwordx2 v[26:27], v[22:23], off
	global_load_dwordx2 v[28:29], v[16:17], off
	s_add_u32 s6, s42, -1
	s_addc_u32 s7, s43, -1
	s_cmp_eq_u64 s[42:43], 0
	s_mov_b64 s[42:43], s[6:7]
	s_cselect_b64 s[44:45], -1, 0
	v_lshl_add_u64 v[22:23], v[22:23], 0, 8
	v_lshl_add_u64 v[16:17], v[16:17], 0, 8
	s_waitcnt vmcnt(0)
	v_cmp_ne_u64_e64 s[6:7], v[26:27], v[28:29]
	s_or_b64 s[6:7], s[6:7], s[44:45]
	s_and_b64 s[6:7], exec, s[6:7]
	v_cmp_eq_u64_e32 vcc, v[26:27], v[28:29]
	s_or_b64 s[40:41], s[6:7], s[40:41]
	s_andn2_b64 s[6:7], s[38:39], exec
	s_and_b64 s[38:39], vcc, exec
	s_or_b64 s[38:39], s[6:7], s[38:39]
	s_andn2_b64 exec, exec, s[40:41]
	s_cbranch_execnz .LBB1663_28
; %bb.29:
	s_or_b64 exec, exec, s[40:41]
	v_mul_lo_u32 v19, v13, s30
	v_mul_lo_u32 v22, v12, s31
	v_mad_u64_u32 v[16:17], s[6:7], v12, s30, 0
	v_add3_u32 v17, v17, v22, v19
	v_lshl_add_u64 v[16:17], v[16:17], 3, s[20:21]
	s_mov_b64 s[42:43], 0
	s_mov_b64 s[44:45], s[14:15]
	v_mov_b64_e32 v[22:23], v[16:17]
                                        ; implicit-def: $sgpr40_sgpr41
.LBB1663_30:                            ; =>This Inner Loop Header: Depth=1
	global_load_dwordx2 v[26:27], v[22:23], off
	global_load_dwordx2 v[28:29], v[20:21], off
	s_add_u32 s6, s44, -1
	s_addc_u32 s7, s45, -1
	s_cmp_eq_u64 s[44:45], 0
	s_mov_b64 s[44:45], s[6:7]
	s_cselect_b64 s[46:47], -1, 0
	v_lshl_add_u64 v[22:23], v[22:23], 0, 8
	v_lshl_add_u64 v[20:21], v[20:21], 0, 8
	s_waitcnt vmcnt(0)
	v_cmp_ne_u64_e64 s[6:7], v[26:27], v[28:29]
	s_or_b64 s[6:7], s[6:7], s[46:47]
	s_and_b64 s[6:7], exec, s[6:7]
	v_cmp_eq_u64_e32 vcc, v[26:27], v[28:29]
	s_or_b64 s[42:43], s[6:7], s[42:43]
	s_andn2_b64 s[6:7], s[40:41], exec
	s_and_b64 s[40:41], vcc, exec
	s_or_b64 s[40:41], s[6:7], s[40:41]
	s_andn2_b64 exec, exec, s[42:43]
	s_cbranch_execnz .LBB1663_30
; %bb.31:
	s_or_b64 exec, exec, s[42:43]
	v_mul_lo_u32 v19, v11, s30
	v_mul_lo_u32 v22, v10, s31
	v_mad_u64_u32 v[20:21], s[6:7], v10, s30, 0
	v_add3_u32 v21, v21, v22, v19
	v_lshl_add_u64 v[20:21], v[20:21], 3, s[20:21]
	s_mov_b64 s[44:45], 0
                                        ; implicit-def: $sgpr42_sgpr43
.LBB1663_32:                            ; =>This Inner Loop Header: Depth=1
	global_load_dwordx2 v[22:23], v[20:21], off
	global_load_dwordx2 v[26:27], v[16:17], off
	s_add_u32 s6, s14, -1
	s_addc_u32 s7, s15, -1
	s_cmp_eq_u64 s[14:15], 0
	s_mov_b64 s[14:15], s[6:7]
	s_cselect_b64 s[46:47], -1, 0
	v_lshl_add_u64 v[20:21], v[20:21], 0, 8
	v_lshl_add_u64 v[16:17], v[16:17], 0, 8
	s_waitcnt vmcnt(0)
	v_cmp_ne_u64_e64 s[6:7], v[22:23], v[26:27]
	s_or_b64 s[6:7], s[6:7], s[46:47]
	s_and_b64 s[6:7], exec, s[6:7]
	v_cmp_eq_u64_e32 vcc, v[22:23], v[26:27]
	s_or_b64 s[44:45], s[6:7], s[44:45]
	s_andn2_b64 s[6:7], s[42:43], exec
	s_and_b64 s[42:43], vcc, exec
	s_or_b64 s[42:43], s[6:7], s[42:43]
	s_andn2_b64 exec, exec, s[44:45]
	s_cbranch_execnz .LBB1663_32
; %bb.33:
	s_or_b64 exec, exec, s[44:45]
	s_xor_b64 s[6:7], s[18:19], -1
	v_cndmask_b32_e64 v40, 0, 1, s[6:7]
	s_xor_b64 s[6:7], s[38:39], -1
	v_cndmask_b32_e64 v16, 0, 1, s[6:7]
	v_lshlrev_b16_e32 v16, 8, v16
	s_xor_b64 s[6:7], s[12:13], -1
	v_lshrrev_b32_e32 v16, 8, v16
	v_mov_b32_e32 v20, 1
	s_xor_b64 s[12:13], s[40:41], -1
	v_cndmask_b32_e64 v19, 0, 1, s[6:7]
	s_xor_b64 s[6:7], s[36:37], -1
	v_and_b32_sdwa v16, v16, v20 dst_sel:BYTE_1 dst_unused:UNUSED_PAD src0_sel:DWORD src1_sel:DWORD
	v_cndmask_b32_e64 v20, 0, 1, s[12:13]
	v_cndmask_b32_e64 v17, 0, 1, s[6:7]
	s_xor_b64 s[6:7], s[42:43], -1
	v_or_b32_sdwa v22, v20, v16 dst_sel:WORD_1 dst_unused:UNUSED_PAD src0_sel:DWORD src1_sel:DWORD
	s_branch .LBB1663_38
.LBB1663_34:
                                        ; implicit-def: $sgpr6_sgpr7
                                        ; implicit-def: $vgpr19
                                        ; implicit-def: $vgpr40
                                        ; implicit-def: $vgpr17
                                        ; implicit-def: $vgpr21
	s_branch .LBB1663_91
.LBB1663_35:
                                        ; implicit-def: $vgpr42
                                        ; implicit-def: $vgpr41
                                        ; implicit-def: $vgpr20
	s_branch .LBB1663_160
.LBB1663_36:
                                        ; implicit-def: $sgpr6_sgpr7
                                        ; implicit-def: $vgpr19
                                        ; implicit-def: $vgpr40
                                        ; implicit-def: $vgpr17
                                        ; implicit-def: $vgpr21
	s_cbranch_execnz .LBB1663_45
	s_branch .LBB1663_90
.LBB1663_37:
	v_mov_b32_e32 v22, 0
	v_mov_b32_e32 v19, 0
	;; [unrolled: 1-line block ×4, first 2 shown]
.LBB1663_38:
	v_cmp_ne_u32_e32 vcc, 0, v0
	s_waitcnt lgkmcnt(0)
	v_mov_b64_e32 v[20:21], s[10:11]
	s_barrier
	s_and_saveexec_b64 s[12:13], vcc
; %bb.39:
	v_add_u32_e32 v16, -8, v25
	ds_read_b64 v[20:21], v16
; %bb.40:
	s_or_b64 exec, exec, s[12:13]
	v_cndmask_b32_e64 v23, 0, 1, s[6:7]
	v_lshrrev_b32_e32 v16, 16, v22
	s_mov_b32 s6, 0xc0c0304
	v_perm_b32 v16, v16, v22, s6
	v_lshlrev_b16_e32 v23, 8, v23
	s_movk_i32 s6, 0xff
	v_bitop3_b16 v22, v22, v23, s6 bitop3:0xec
	v_and_b32_e32 v26, 0xffff, v22
	s_mov_b64 s[12:13], 0
	s_and_b64 vcc, exec, s[4:5]
	s_mov_b64 s[6:7], 0
	s_cbranch_vccnz .LBB1663_44
; %bb.41:
	s_waitcnt lgkmcnt(0)
	v_mul_lo_u32 v22, v21, s30
	v_mul_lo_u32 v23, v20, s31
	v_mad_u64_u32 v[20:21], s[6:7], v20, s30, 0
	v_add3_u32 v21, v21, v23, v22
	v_mul_lo_u32 v27, v11, s30
	v_mul_lo_u32 v28, v10, s31
	v_mad_u64_u32 v[22:23], s[6:7], v10, s30, 0
	v_add3_u32 v23, v23, v28, v27
	s_add_u32 s36, s30, -1
	v_lshl_add_u64 v[20:21], v[20:21], 3, s[20:21]
	v_lshl_add_u64 v[22:23], v[22:23], 3, s[20:21]
	s_addc_u32 s37, s31, -1
	s_mov_b64 s[14:15], 0
                                        ; implicit-def: $sgpr18_sgpr19
.LBB1663_42:                            ; =>This Inner Loop Header: Depth=1
	global_load_dwordx2 v[28:29], v[20:21], off
	global_load_dwordx2 v[30:31], v[22:23], off
	s_add_u32 s6, s36, -1
	s_addc_u32 s7, s37, -1
	s_cmp_eq_u64 s[36:37], 0
	s_mov_b64 s[36:37], s[6:7]
	s_cselect_b64 s[38:39], -1, 0
	v_lshl_add_u64 v[20:21], v[20:21], 0, 8
	v_lshl_add_u64 v[22:23], v[22:23], 0, 8
	s_waitcnt vmcnt(0)
	v_cmp_ne_u64_e64 s[6:7], v[28:29], v[30:31]
	s_or_b64 s[6:7], s[6:7], s[38:39]
	s_and_b64 s[6:7], exec, s[6:7]
	v_cmp_eq_u64_e32 vcc, v[28:29], v[30:31]
	s_or_b64 s[14:15], s[6:7], s[14:15]
	s_andn2_b64 s[6:7], s[18:19], exec
	s_and_b64 s[18:19], vcc, exec
	s_or_b64 s[18:19], s[6:7], s[18:19]
	s_andn2_b64 exec, exec, s[14:15]
	s_cbranch_execnz .LBB1663_42
; %bb.43:
	s_or_b64 exec, exec, s[14:15]
	s_xor_b64 s[6:7], s[18:19], -1
.LBB1663_44:
	s_waitcnt lgkmcnt(0)
	v_lshl_or_b32 v21, v16, 16, v26
	s_and_b64 vcc, exec, s[12:13]
	s_cbranch_vccz .LBB1663_90
.LBB1663_45:
	v_add_u32_e32 v16, 6, v1
	v_cmp_gt_u32_e32 vcc, s3, v16
	s_mov_b64 s[14:15], 0
	s_mov_b64 s[12:13], 0
	s_and_saveexec_b64 s[18:19], vcc
	s_cbranch_execz .LBB1663_51
; %bb.46:
	s_and_b64 vcc, exec, s[4:5]
	s_mov_b64 s[6:7], 0
	s_cbranch_vccnz .LBB1663_50
; %bb.47:
	v_mul_lo_u32 v19, v5, s30
	v_mul_lo_u32 v20, v4, s31
	v_mad_u64_u32 v[16:17], s[6:7], v4, s30, 0
	v_add3_u32 v17, v17, v20, v19
	v_mul_lo_u32 v19, v15, s30
	v_mul_lo_u32 v22, v14, s31
	v_mad_u64_u32 v[20:21], s[6:7], v14, s30, 0
	v_add3_u32 v21, v21, v22, v19
	s_add_u32 s38, s30, -1
	v_lshl_add_u64 v[16:17], v[16:17], 3, s[20:21]
	v_lshl_add_u64 v[20:21], v[20:21], 3, s[20:21]
	s_addc_u32 s39, s31, -1
                                        ; implicit-def: $sgpr36_sgpr37
.LBB1663_48:                            ; =>This Inner Loop Header: Depth=1
	global_load_dwordx2 v[22:23], v[16:17], off
	global_load_dwordx2 v[26:27], v[20:21], off
	s_add_u32 s6, s38, -1
	s_addc_u32 s7, s39, -1
	s_cmp_eq_u64 s[38:39], 0
	s_mov_b64 s[38:39], s[6:7]
	s_cselect_b64 s[40:41], -1, 0
	v_lshl_add_u64 v[16:17], v[16:17], 0, 8
	v_lshl_add_u64 v[20:21], v[20:21], 0, 8
	s_waitcnt vmcnt(0)
	v_cmp_ne_u64_e64 s[6:7], v[22:23], v[26:27]
	s_or_b64 s[6:7], s[6:7], s[40:41]
	s_and_b64 s[6:7], exec, s[6:7]
	v_cmp_eq_u64_e32 vcc, v[22:23], v[26:27]
	s_or_b64 s[12:13], s[6:7], s[12:13]
	s_andn2_b64 s[6:7], s[36:37], exec
	s_and_b64 s[36:37], vcc, exec
	s_or_b64 s[36:37], s[6:7], s[36:37]
	s_andn2_b64 exec, exec, s[12:13]
	s_cbranch_execnz .LBB1663_48
; %bb.49:
	s_or_b64 exec, exec, s[12:13]
	s_xor_b64 s[6:7], s[36:37], -1
.LBB1663_50:
	s_and_b64 s[12:13], s[6:7], exec
.LBB1663_51:
	s_or_b64 exec, exec, s[18:19]
	v_add_u32_e32 v16, 5, v1
	v_cmp_gt_u32_e32 vcc, s3, v16
	s_and_saveexec_b64 s[18:19], vcc
	s_cbranch_execz .LBB1663_57
; %bb.52:
	s_and_b64 vcc, exec, s[4:5]
	s_mov_b64 s[6:7], 0
	s_cbranch_vccnz .LBB1663_56
; %bb.53:
	v_mul_lo_u32 v19, v3, s30
	v_mul_lo_u32 v20, v2, s31
	v_mad_u64_u32 v[16:17], s[6:7], v2, s30, 0
	v_add3_u32 v17, v17, v20, v19
	v_mul_lo_u32 v19, v5, s30
	v_mul_lo_u32 v22, v4, s31
	v_mad_u64_u32 v[20:21], s[6:7], v4, s30, 0
	v_add3_u32 v21, v21, v22, v19
	s_add_u32 s38, s30, -1
	v_lshl_add_u64 v[16:17], v[16:17], 3, s[20:21]
	v_lshl_add_u64 v[20:21], v[20:21], 3, s[20:21]
	s_addc_u32 s39, s31, -1
	s_mov_b64 s[14:15], 0
                                        ; implicit-def: $sgpr36_sgpr37
.LBB1663_54:                            ; =>This Inner Loop Header: Depth=1
	global_load_dwordx2 v[22:23], v[16:17], off
	global_load_dwordx2 v[26:27], v[20:21], off
	s_add_u32 s6, s38, -1
	s_addc_u32 s7, s39, -1
	s_cmp_eq_u64 s[38:39], 0
	s_mov_b64 s[38:39], s[6:7]
	s_cselect_b64 s[40:41], -1, 0
	v_lshl_add_u64 v[16:17], v[16:17], 0, 8
	v_lshl_add_u64 v[20:21], v[20:21], 0, 8
	s_waitcnt vmcnt(0)
	v_cmp_ne_u64_e64 s[6:7], v[22:23], v[26:27]
	s_or_b64 s[6:7], s[6:7], s[40:41]
	s_and_b64 s[6:7], exec, s[6:7]
	v_cmp_eq_u64_e32 vcc, v[22:23], v[26:27]
	s_or_b64 s[14:15], s[6:7], s[14:15]
	s_andn2_b64 s[6:7], s[36:37], exec
	s_and_b64 s[36:37], vcc, exec
	s_or_b64 s[36:37], s[6:7], s[36:37]
	s_andn2_b64 exec, exec, s[14:15]
	s_cbranch_execnz .LBB1663_54
; %bb.55:
	s_or_b64 exec, exec, s[14:15]
	s_xor_b64 s[6:7], s[36:37], -1
.LBB1663_56:
	s_and_b64 s[14:15], s[6:7], exec
.LBB1663_57:
	s_or_b64 exec, exec, s[18:19]
	v_add_u32_e32 v16, 4, v1
	v_cmp_gt_u32_e32 vcc, s3, v16
	s_mov_b64 s[36:37], 0
	s_mov_b64 s[18:19], 0
	s_and_saveexec_b64 s[38:39], vcc
	s_cbranch_execz .LBB1663_63
; %bb.58:
	s_and_b64 vcc, exec, s[4:5]
	s_mov_b64 s[6:7], 0
	s_cbranch_vccnz .LBB1663_62
; %bb.59:
	v_mul_lo_u32 v19, v9, s30
	v_mul_lo_u32 v20, v8, s31
	v_mad_u64_u32 v[16:17], s[6:7], v8, s30, 0
	v_add3_u32 v17, v17, v20, v19
	v_mul_lo_u32 v19, v3, s30
	v_mul_lo_u32 v22, v2, s31
	v_mad_u64_u32 v[20:21], s[6:7], v2, s30, 0
	v_add3_u32 v21, v21, v22, v19
	s_add_u32 s42, s30, -1
	v_lshl_add_u64 v[16:17], v[16:17], 3, s[20:21]
	v_lshl_add_u64 v[20:21], v[20:21], 3, s[20:21]
	s_addc_u32 s43, s31, -1
                                        ; implicit-def: $sgpr40_sgpr41
.LBB1663_60:                            ; =>This Inner Loop Header: Depth=1
	global_load_dwordx2 v[22:23], v[16:17], off
	global_load_dwordx2 v[26:27], v[20:21], off
	s_add_u32 s6, s42, -1
	s_addc_u32 s7, s43, -1
	s_cmp_eq_u64 s[42:43], 0
	s_mov_b64 s[42:43], s[6:7]
	s_cselect_b64 s[44:45], -1, 0
	v_lshl_add_u64 v[16:17], v[16:17], 0, 8
	v_lshl_add_u64 v[20:21], v[20:21], 0, 8
	s_waitcnt vmcnt(0)
	v_cmp_ne_u64_e64 s[6:7], v[22:23], v[26:27]
	s_or_b64 s[6:7], s[6:7], s[44:45]
	s_and_b64 s[6:7], exec, s[6:7]
	v_cmp_eq_u64_e32 vcc, v[22:23], v[26:27]
	s_or_b64 s[18:19], s[6:7], s[18:19]
	s_andn2_b64 s[6:7], s[40:41], exec
	s_and_b64 s[40:41], vcc, exec
	s_or_b64 s[40:41], s[6:7], s[40:41]
	s_andn2_b64 exec, exec, s[18:19]
	s_cbranch_execnz .LBB1663_60
; %bb.61:
	s_or_b64 exec, exec, s[18:19]
	s_xor_b64 s[6:7], s[40:41], -1
.LBB1663_62:
	s_and_b64 s[18:19], s[6:7], exec
.LBB1663_63:
	s_or_b64 exec, exec, s[38:39]
	v_add_u32_e32 v16, 3, v1
	v_cmp_gt_u32_e32 vcc, s3, v16
	s_and_saveexec_b64 s[38:39], vcc
	s_cbranch_execz .LBB1663_69
; %bb.64:
	s_and_b64 vcc, exec, s[4:5]
	s_mov_b64 s[6:7], 0
	s_cbranch_vccnz .LBB1663_68
; %bb.65:
	v_mul_lo_u32 v19, v7, s30
	v_mul_lo_u32 v20, v6, s31
	v_mad_u64_u32 v[16:17], s[6:7], v6, s30, 0
	v_add3_u32 v17, v17, v20, v19
	v_mul_lo_u32 v19, v9, s30
	v_mul_lo_u32 v22, v8, s31
	v_mad_u64_u32 v[20:21], s[6:7], v8, s30, 0
	v_add3_u32 v21, v21, v22, v19
	s_add_u32 s42, s30, -1
	v_lshl_add_u64 v[16:17], v[16:17], 3, s[20:21]
	v_lshl_add_u64 v[20:21], v[20:21], 3, s[20:21]
	s_addc_u32 s43, s31, -1
	s_mov_b64 s[36:37], 0
                                        ; implicit-def: $sgpr40_sgpr41
.LBB1663_66:                            ; =>This Inner Loop Header: Depth=1
	global_load_dwordx2 v[22:23], v[16:17], off
	global_load_dwordx2 v[26:27], v[20:21], off
	s_add_u32 s6, s42, -1
	s_addc_u32 s7, s43, -1
	s_cmp_eq_u64 s[42:43], 0
	s_mov_b64 s[42:43], s[6:7]
	s_cselect_b64 s[44:45], -1, 0
	v_lshl_add_u64 v[16:17], v[16:17], 0, 8
	v_lshl_add_u64 v[20:21], v[20:21], 0, 8
	s_waitcnt vmcnt(0)
	v_cmp_ne_u64_e64 s[6:7], v[22:23], v[26:27]
	s_or_b64 s[6:7], s[6:7], s[44:45]
	s_and_b64 s[6:7], exec, s[6:7]
	v_cmp_eq_u64_e32 vcc, v[22:23], v[26:27]
	s_or_b64 s[36:37], s[6:7], s[36:37]
	s_andn2_b64 s[6:7], s[40:41], exec
	s_and_b64 s[40:41], vcc, exec
	s_or_b64 s[40:41], s[6:7], s[40:41]
	s_andn2_b64 exec, exec, s[36:37]
	s_cbranch_execnz .LBB1663_66
; %bb.67:
	s_or_b64 exec, exec, s[36:37]
	s_xor_b64 s[6:7], s[40:41], -1
.LBB1663_68:
	s_and_b64 s[36:37], s[6:7], exec
.LBB1663_69:
	s_or_b64 exec, exec, s[38:39]
	v_add_u32_e32 v16, 2, v1
	v_cmp_gt_u32_e32 vcc, s3, v16
	s_mov_b64 s[38:39], 0
	s_mov_b64 s[40:41], 0
	s_and_saveexec_b64 s[42:43], vcc
	s_cbranch_execz .LBB1663_75
; %bb.70:
	s_and_b64 vcc, exec, s[4:5]
	s_mov_b64 s[6:7], 0
	s_cbranch_vccnz .LBB1663_74
; %bb.71:
	v_mul_lo_u32 v19, v13, s30
	v_mul_lo_u32 v20, v12, s31
	v_mad_u64_u32 v[16:17], s[6:7], v12, s30, 0
	v_add3_u32 v17, v17, v20, v19
	v_mul_lo_u32 v19, v7, s30
	v_mul_lo_u32 v22, v6, s31
	v_mad_u64_u32 v[20:21], s[6:7], v6, s30, 0
	v_add3_u32 v21, v21, v22, v19
	s_add_u32 s46, s30, -1
	v_lshl_add_u64 v[16:17], v[16:17], 3, s[20:21]
	v_lshl_add_u64 v[20:21], v[20:21], 3, s[20:21]
	s_addc_u32 s47, s31, -1
                                        ; implicit-def: $sgpr44_sgpr45
.LBB1663_72:                            ; =>This Inner Loop Header: Depth=1
	global_load_dwordx2 v[22:23], v[16:17], off
	global_load_dwordx2 v[26:27], v[20:21], off
	s_add_u32 s6, s46, -1
	s_addc_u32 s7, s47, -1
	s_cmp_eq_u64 s[46:47], 0
	s_mov_b64 s[46:47], s[6:7]
	s_cselect_b64 s[48:49], -1, 0
	v_lshl_add_u64 v[16:17], v[16:17], 0, 8
	v_lshl_add_u64 v[20:21], v[20:21], 0, 8
	s_waitcnt vmcnt(0)
	v_cmp_ne_u64_e64 s[6:7], v[22:23], v[26:27]
	s_or_b64 s[6:7], s[6:7], s[48:49]
	s_and_b64 s[6:7], exec, s[6:7]
	v_cmp_eq_u64_e32 vcc, v[22:23], v[26:27]
	s_or_b64 s[40:41], s[6:7], s[40:41]
	s_andn2_b64 s[6:7], s[44:45], exec
	s_and_b64 s[44:45], vcc, exec
	s_or_b64 s[44:45], s[6:7], s[44:45]
	s_andn2_b64 exec, exec, s[40:41]
	s_cbranch_execnz .LBB1663_72
; %bb.73:
	s_or_b64 exec, exec, s[40:41]
	s_xor_b64 s[6:7], s[44:45], -1
.LBB1663_74:
	s_and_b64 s[40:41], s[6:7], exec
.LBB1663_75:
	s_or_b64 exec, exec, s[42:43]
	v_add_u32_e32 v16, 1, v1
	v_cmp_gt_u32_e32 vcc, s3, v16
	s_and_saveexec_b64 s[42:43], vcc
	s_cbranch_execz .LBB1663_81
; %bb.76:
	s_and_b64 vcc, exec, s[4:5]
	s_mov_b64 s[6:7], 0
	s_cbranch_vccnz .LBB1663_80
; %bb.77:
	v_mul_lo_u32 v19, v11, s30
	v_mul_lo_u32 v20, v10, s31
	v_mad_u64_u32 v[16:17], s[6:7], v10, s30, 0
	v_add3_u32 v17, v17, v20, v19
	v_mul_lo_u32 v19, v13, s30
	v_mul_lo_u32 v22, v12, s31
	v_mad_u64_u32 v[20:21], s[6:7], v12, s30, 0
	v_add3_u32 v21, v21, v22, v19
	s_add_u32 s46, s30, -1
	v_lshl_add_u64 v[16:17], v[16:17], 3, s[20:21]
	v_lshl_add_u64 v[20:21], v[20:21], 3, s[20:21]
	s_addc_u32 s47, s31, -1
	s_mov_b64 s[38:39], 0
                                        ; implicit-def: $sgpr44_sgpr45
.LBB1663_78:                            ; =>This Inner Loop Header: Depth=1
	global_load_dwordx2 v[22:23], v[16:17], off
	global_load_dwordx2 v[26:27], v[20:21], off
	s_add_u32 s6, s46, -1
	s_addc_u32 s7, s47, -1
	s_cmp_eq_u64 s[46:47], 0
	s_mov_b64 s[46:47], s[6:7]
	s_cselect_b64 s[48:49], -1, 0
	v_lshl_add_u64 v[16:17], v[16:17], 0, 8
	v_lshl_add_u64 v[20:21], v[20:21], 0, 8
	s_waitcnt vmcnt(0)
	v_cmp_ne_u64_e64 s[6:7], v[22:23], v[26:27]
	s_or_b64 s[6:7], s[6:7], s[48:49]
	s_and_b64 s[6:7], exec, s[6:7]
	v_cmp_eq_u64_e32 vcc, v[22:23], v[26:27]
	s_or_b64 s[38:39], s[6:7], s[38:39]
	s_andn2_b64 s[6:7], s[44:45], exec
	s_and_b64 s[44:45], vcc, exec
	s_or_b64 s[44:45], s[6:7], s[44:45]
	s_andn2_b64 exec, exec, s[38:39]
	s_cbranch_execnz .LBB1663_78
; %bb.79:
	s_or_b64 exec, exec, s[38:39]
	s_xor_b64 s[6:7], s[44:45], -1
.LBB1663_80:
	s_and_b64 s[38:39], s[6:7], exec
.LBB1663_81:
	s_or_b64 exec, exec, s[42:43]
	v_cmp_ne_u32_e32 vcc, 0, v0
	s_waitcnt lgkmcnt(0)
	v_mov_b64_e32 v[16:17], s[10:11]
	s_barrier
	s_and_saveexec_b64 s[6:7], vcc
; %bb.82:
	v_add_u32_e32 v16, -8, v25
	ds_read_b64 v[16:17], v16
; %bb.83:
	s_or_b64 exec, exec, s[6:7]
	v_cndmask_b32_e64 v20, 0, 1, s[36:37]
	v_cndmask_b32_e64 v19, 0, 1, s[40:41]
	;; [unrolled: 1-line block ×3, first 2 shown]
	v_lshlrev_b16_e32 v20, 8, v20
	v_cmp_gt_u32_e32 vcc, s3, v1
	v_lshlrev_b16_e32 v22, 8, v21
	v_or_b32_sdwa v23, v19, v20 dst_sel:WORD_1 dst_unused:UNUSED_PAD src0_sel:DWORD src1_sel:DWORD
	s_mov_b64 s[6:7], 0
	s_and_saveexec_b64 s[10:11], vcc
	s_cbranch_execz .LBB1663_89
; %bb.84:
	s_and_b64 vcc, exec, s[4:5]
	s_mov_b64 s[4:5], 0
	s_cbranch_vccnz .LBB1663_88
; %bb.85:
	s_waitcnt lgkmcnt(0)
	v_mul_lo_u32 v19, v17, s30
	v_mul_lo_u32 v20, v16, s31
	v_mad_u64_u32 v[16:17], s[4:5], v16, s30, 0
	v_add3_u32 v17, v17, v20, v19
	v_mul_lo_u32 v19, v11, s30
	v_mul_lo_u32 v25, v10, s31
	v_mad_u64_u32 v[20:21], s[4:5], v10, s30, 0
	v_add3_u32 v21, v21, v25, v19
	s_add_u32 s38, s30, -1
	v_lshl_add_u64 v[16:17], v[16:17], 3, s[20:21]
	v_lshl_add_u64 v[20:21], v[20:21], 3, s[20:21]
	s_addc_u32 s39, s31, -1
                                        ; implicit-def: $sgpr36_sgpr37
.LBB1663_86:                            ; =>This Inner Loop Header: Depth=1
	global_load_dwordx2 v[26:27], v[16:17], off
	global_load_dwordx2 v[28:29], v[20:21], off
	s_add_u32 s4, s38, -1
	s_addc_u32 s5, s39, -1
	s_cmp_eq_u64 s[38:39], 0
	s_mov_b64 s[38:39], s[4:5]
	s_cselect_b64 s[40:41], -1, 0
	v_lshl_add_u64 v[16:17], v[16:17], 0, 8
	v_lshl_add_u64 v[20:21], v[20:21], 0, 8
	s_waitcnt vmcnt(0)
	v_cmp_ne_u64_e64 s[4:5], v[26:27], v[28:29]
	s_or_b64 s[4:5], s[4:5], s[40:41]
	s_and_b64 s[4:5], exec, s[4:5]
	v_cmp_eq_u64_e32 vcc, v[26:27], v[28:29]
	s_or_b64 s[6:7], s[4:5], s[6:7]
	s_andn2_b64 s[4:5], s[36:37], exec
	s_and_b64 s[36:37], vcc, exec
	s_or_b64 s[36:37], s[4:5], s[36:37]
	s_andn2_b64 exec, exec, s[6:7]
	s_cbranch_execnz .LBB1663_86
; %bb.87:
	s_or_b64 exec, exec, s[6:7]
	s_xor_b64 s[4:5], s[36:37], -1
.LBB1663_88:
	s_and_b64 s[6:7], s[4:5], exec
.LBB1663_89:
	s_or_b64 exec, exec, s[10:11]
	s_waitcnt lgkmcnt(0)
	v_cndmask_b32_e64 v17, 0, 1, s[18:19]
	v_cndmask_b32_e64 v40, 0, 1, s[14:15]
	;; [unrolled: 1-line block ×3, first 2 shown]
	v_or_b32_e32 v21, v22, v23
.LBB1663_90:
	s_waitcnt lgkmcnt(0)
	s_mov_b64 s[10:11], -1
	s_cbranch_execnz .LBB1663_35
.LBB1663_91:
	s_movk_i32 s4, 0xffd0
	v_mad_i32_i24 v26, v0, s4, v24
	s_mov_b64 s[6:7], 0
	v_cmp_gt_i64_e64 s[12:13], s[30:31], 0
	s_and_b64 vcc, exec, s[34:35]
	ds_write_b64 v26, v[14:15]
	s_cbranch_vccz .LBB1663_106
; %bb.92:
	v_cndmask_b32_e64 v16, 0, 1, s[12:13]
	v_cmp_ne_u32_e64 s[4:5], 1, v16
	s_andn2_b64 vcc, exec, s[12:13]
	s_cbranch_vccnz .LBB1663_107
; %bb.93:
	v_mul_lo_u32 v19, v5, s30
	v_mul_lo_u32 v20, v4, s31
	v_mad_u64_u32 v[16:17], s[6:7], v4, s30, 0
	v_add3_u32 v17, v17, v20, v19
	v_mul_lo_u32 v19, v15, s30
	v_mul_lo_u32 v22, v14, s31
	v_mad_u64_u32 v[20:21], s[6:7], v14, s30, 0
	s_add_u32 s18, s30, -1
	v_lshl_add_u64 v[16:17], v[16:17], 3, s[20:21]
	v_add3_u32 v21, v21, v22, v19
	s_addc_u32 s19, s31, -1
	v_lshl_add_u64 v[20:21], v[20:21], 3, s[20:21]
	s_mov_b64 s[36:37], 0
	s_mov_b64 s[38:39], s[18:19]
	v_mov_b64_e32 v[22:23], v[16:17]
                                        ; implicit-def: $sgpr14_sgpr15
.LBB1663_94:                            ; =>This Inner Loop Header: Depth=1
	global_load_dwordx2 v[24:25], v[22:23], off
	global_load_dwordx2 v[28:29], v[20:21], off
	s_add_u32 s6, s38, -1
	s_addc_u32 s7, s39, -1
	s_cmp_eq_u64 s[38:39], 0
	s_mov_b64 s[38:39], s[6:7]
	s_cselect_b64 s[40:41], -1, 0
	v_lshl_add_u64 v[22:23], v[22:23], 0, 8
	v_lshl_add_u64 v[20:21], v[20:21], 0, 8
	s_waitcnt vmcnt(0)
	v_cmp_ne_u64_e64 s[6:7], v[24:25], v[28:29]
	s_or_b64 s[6:7], s[6:7], s[40:41]
	s_and_b64 s[6:7], exec, s[6:7]
	v_cmp_eq_u64_e32 vcc, v[24:25], v[28:29]
	s_or_b64 s[36:37], s[6:7], s[36:37]
	s_andn2_b64 s[6:7], s[14:15], exec
	s_and_b64 s[14:15], vcc, exec
	s_or_b64 s[14:15], s[6:7], s[14:15]
	s_andn2_b64 exec, exec, s[36:37]
	s_cbranch_execnz .LBB1663_94
; %bb.95:
	s_or_b64 exec, exec, s[36:37]
	v_mul_lo_u32 v19, v3, s30
	v_mul_lo_u32 v22, v2, s31
	v_mad_u64_u32 v[20:21], s[6:7], v2, s30, 0
	v_add3_u32 v21, v21, v22, v19
	v_lshl_add_u64 v[20:21], v[20:21], 3, s[20:21]
	s_mov_b64 s[38:39], 0
	s_mov_b64 s[40:41], s[18:19]
	v_mov_b64_e32 v[22:23], v[20:21]
                                        ; implicit-def: $sgpr36_sgpr37
.LBB1663_96:                            ; =>This Inner Loop Header: Depth=1
	global_load_dwordx2 v[24:25], v[22:23], off
	global_load_dwordx2 v[28:29], v[16:17], off
	s_add_u32 s6, s40, -1
	s_addc_u32 s7, s41, -1
	s_cmp_eq_u64 s[40:41], 0
	s_mov_b64 s[40:41], s[6:7]
	s_cselect_b64 s[42:43], -1, 0
	v_lshl_add_u64 v[22:23], v[22:23], 0, 8
	v_lshl_add_u64 v[16:17], v[16:17], 0, 8
	s_waitcnt vmcnt(0)
	v_cmp_ne_u64_e64 s[6:7], v[24:25], v[28:29]
	s_or_b64 s[6:7], s[6:7], s[42:43]
	s_and_b64 s[6:7], exec, s[6:7]
	v_cmp_eq_u64_e32 vcc, v[24:25], v[28:29]
	s_or_b64 s[38:39], s[6:7], s[38:39]
	s_andn2_b64 s[6:7], s[36:37], exec
	s_and_b64 s[36:37], vcc, exec
	s_or_b64 s[36:37], s[6:7], s[36:37]
	s_andn2_b64 exec, exec, s[38:39]
	s_cbranch_execnz .LBB1663_96
; %bb.97:
	s_or_b64 exec, exec, s[38:39]
	v_mul_lo_u32 v19, v9, s30
	v_mul_lo_u32 v22, v8, s31
	v_mad_u64_u32 v[16:17], s[6:7], v8, s30, 0
	v_add3_u32 v17, v17, v22, v19
	v_lshl_add_u64 v[16:17], v[16:17], 3, s[20:21]
	s_mov_b64 s[40:41], 0
	s_mov_b64 s[42:43], s[18:19]
	v_mov_b64_e32 v[22:23], v[16:17]
                                        ; implicit-def: $sgpr38_sgpr39
.LBB1663_98:                            ; =>This Inner Loop Header: Depth=1
	global_load_dwordx2 v[24:25], v[22:23], off
	global_load_dwordx2 v[28:29], v[20:21], off
	s_add_u32 s6, s42, -1
	s_addc_u32 s7, s43, -1
	s_cmp_eq_u64 s[42:43], 0
	s_mov_b64 s[42:43], s[6:7]
	s_cselect_b64 s[44:45], -1, 0
	v_lshl_add_u64 v[22:23], v[22:23], 0, 8
	v_lshl_add_u64 v[20:21], v[20:21], 0, 8
	s_waitcnt vmcnt(0)
	v_cmp_ne_u64_e64 s[6:7], v[24:25], v[28:29]
	s_or_b64 s[6:7], s[6:7], s[44:45]
	s_and_b64 s[6:7], exec, s[6:7]
	v_cmp_eq_u64_e32 vcc, v[24:25], v[28:29]
	s_or_b64 s[40:41], s[6:7], s[40:41]
	s_andn2_b64 s[6:7], s[38:39], exec
	s_and_b64 s[38:39], vcc, exec
	s_or_b64 s[38:39], s[6:7], s[38:39]
	s_andn2_b64 exec, exec, s[40:41]
	s_cbranch_execnz .LBB1663_98
; %bb.99:
	s_or_b64 exec, exec, s[40:41]
	v_mul_lo_u32 v19, v7, s30
	v_mul_lo_u32 v22, v6, s31
	v_mad_u64_u32 v[20:21], s[6:7], v6, s30, 0
	v_add3_u32 v21, v21, v22, v19
	v_lshl_add_u64 v[20:21], v[20:21], 3, s[20:21]
	s_mov_b64 s[42:43], 0
	s_mov_b64 s[44:45], s[18:19]
	v_mov_b64_e32 v[22:23], v[20:21]
                                        ; implicit-def: $sgpr40_sgpr41
.LBB1663_100:                           ; =>This Inner Loop Header: Depth=1
	global_load_dwordx2 v[24:25], v[22:23], off
	global_load_dwordx2 v[28:29], v[16:17], off
	s_add_u32 s6, s44, -1
	s_addc_u32 s7, s45, -1
	s_cmp_eq_u64 s[44:45], 0
	s_mov_b64 s[44:45], s[6:7]
	s_cselect_b64 s[46:47], -1, 0
	v_lshl_add_u64 v[22:23], v[22:23], 0, 8
	v_lshl_add_u64 v[16:17], v[16:17], 0, 8
	s_waitcnt vmcnt(0)
	v_cmp_ne_u64_e64 s[6:7], v[24:25], v[28:29]
	s_or_b64 s[6:7], s[6:7], s[46:47]
	s_and_b64 s[6:7], exec, s[6:7]
	v_cmp_eq_u64_e32 vcc, v[24:25], v[28:29]
	s_or_b64 s[42:43], s[6:7], s[42:43]
	s_andn2_b64 s[6:7], s[40:41], exec
	s_and_b64 s[40:41], vcc, exec
	s_or_b64 s[40:41], s[6:7], s[40:41]
	s_andn2_b64 exec, exec, s[42:43]
	s_cbranch_execnz .LBB1663_100
; %bb.101:
	s_or_b64 exec, exec, s[42:43]
	v_mul_lo_u32 v19, v13, s30
	v_mul_lo_u32 v22, v12, s31
	v_mad_u64_u32 v[16:17], s[6:7], v12, s30, 0
	v_add3_u32 v17, v17, v22, v19
	v_lshl_add_u64 v[16:17], v[16:17], 3, s[20:21]
	s_mov_b64 s[44:45], 0
	s_mov_b64 s[46:47], s[18:19]
	v_mov_b64_e32 v[22:23], v[16:17]
                                        ; implicit-def: $sgpr42_sgpr43
.LBB1663_102:                           ; =>This Inner Loop Header: Depth=1
	global_load_dwordx2 v[24:25], v[22:23], off
	global_load_dwordx2 v[28:29], v[20:21], off
	s_add_u32 s6, s46, -1
	s_addc_u32 s7, s47, -1
	s_cmp_eq_u64 s[46:47], 0
	s_mov_b64 s[46:47], s[6:7]
	s_cselect_b64 s[48:49], -1, 0
	v_lshl_add_u64 v[22:23], v[22:23], 0, 8
	v_lshl_add_u64 v[20:21], v[20:21], 0, 8
	s_waitcnt vmcnt(0)
	v_cmp_ne_u64_e64 s[6:7], v[24:25], v[28:29]
	s_or_b64 s[6:7], s[6:7], s[48:49]
	s_and_b64 s[6:7], exec, s[6:7]
	v_cmp_eq_u64_e32 vcc, v[24:25], v[28:29]
	s_or_b64 s[44:45], s[6:7], s[44:45]
	s_andn2_b64 s[6:7], s[42:43], exec
	s_and_b64 s[42:43], vcc, exec
	s_or_b64 s[42:43], s[6:7], s[42:43]
	s_andn2_b64 exec, exec, s[44:45]
	s_cbranch_execnz .LBB1663_102
; %bb.103:
	s_or_b64 exec, exec, s[44:45]
	v_mul_lo_u32 v19, v11, s30
	v_mul_lo_u32 v22, v10, s31
	v_mad_u64_u32 v[20:21], s[6:7], v10, s30, 0
	v_add3_u32 v21, v21, v22, v19
	v_lshl_add_u64 v[20:21], v[20:21], 3, s[20:21]
	s_mov_b64 s[46:47], 0
                                        ; implicit-def: $sgpr44_sgpr45
.LBB1663_104:                           ; =>This Inner Loop Header: Depth=1
	global_load_dwordx2 v[22:23], v[20:21], off
	global_load_dwordx2 v[24:25], v[16:17], off
	s_add_u32 s6, s18, -1
	s_addc_u32 s7, s19, -1
	s_cmp_eq_u64 s[18:19], 0
	s_mov_b64 s[18:19], s[6:7]
	s_cselect_b64 s[48:49], -1, 0
	v_lshl_add_u64 v[20:21], v[20:21], 0, 8
	v_lshl_add_u64 v[16:17], v[16:17], 0, 8
	s_waitcnt vmcnt(0)
	v_cmp_ne_u64_e64 s[6:7], v[22:23], v[24:25]
	s_or_b64 s[6:7], s[6:7], s[48:49]
	s_and_b64 s[6:7], exec, s[6:7]
	v_cmp_eq_u64_e32 vcc, v[22:23], v[24:25]
	s_or_b64 s[46:47], s[6:7], s[46:47]
	s_andn2_b64 s[6:7], s[44:45], exec
	s_and_b64 s[44:45], vcc, exec
	s_or_b64 s[44:45], s[6:7], s[44:45]
	s_andn2_b64 exec, exec, s[46:47]
	s_cbranch_execnz .LBB1663_104
; %bb.105:
	s_or_b64 exec, exec, s[46:47]
	s_xor_b64 s[6:7], s[36:37], -1
	v_cndmask_b32_e64 v40, 0, 1, s[6:7]
	s_xor_b64 s[6:7], s[40:41], -1
	v_cndmask_b32_e64 v16, 0, 1, s[6:7]
	v_lshlrev_b16_e32 v16, 8, v16
	s_xor_b64 s[6:7], s[14:15], -1
	v_lshrrev_b32_e32 v16, 8, v16
	v_mov_b32_e32 v20, 1
	s_xor_b64 s[14:15], s[42:43], -1
	v_cndmask_b32_e64 v19, 0, 1, s[6:7]
	s_xor_b64 s[6:7], s[38:39], -1
	v_and_b32_sdwa v16, v16, v20 dst_sel:BYTE_1 dst_unused:UNUSED_PAD src0_sel:DWORD src1_sel:DWORD
	v_cndmask_b32_e64 v20, 0, 1, s[14:15]
	v_cndmask_b32_e64 v17, 0, 1, s[6:7]
	s_xor_b64 s[6:7], s[44:45], -1
	v_or_b32_sdwa v16, v20, v16 dst_sel:WORD_1 dst_unused:UNUSED_PAD src0_sel:DWORD src1_sel:DWORD
	s_branch .LBB1663_108
.LBB1663_106:
                                        ; implicit-def: $sgpr6_sgpr7
                                        ; implicit-def: $vgpr19
                                        ; implicit-def: $vgpr40
                                        ; implicit-def: $vgpr17
                                        ; implicit-def: $vgpr21
                                        ; implicit-def: $vgpr42
                                        ; implicit-def: $vgpr41
                                        ; implicit-def: $vgpr20
	s_cbranch_execnz .LBB1663_115
	s_branch .LBB1663_160
.LBB1663_107:
	v_mov_b32_e32 v16, 0
	v_mov_b32_e32 v19, 0
	;; [unrolled: 1-line block ×4, first 2 shown]
.LBB1663_108:
	v_lshrrev_b32_e32 v41, 16, v16
	v_lshrrev_b32_e32 v20, 24, v16
	v_cndmask_b32_e64 v42, 0, 1, s[6:7]
	v_mov_b32_e32 v16, 1
	v_cmp_ne_u32_e32 vcc, 0, v0
	s_waitcnt lgkmcnt(0)
	s_barrier
                                        ; implicit-def: $sgpr6_sgpr7
                                        ; implicit-def: $vgpr21
	s_and_saveexec_b64 s[14:15], vcc
	s_xor_b64 s[14:15], exec, s[14:15]
	s_cbranch_execz .LBB1663_114
; %bb.109:
	v_lshlrev_b16_e32 v21, 8, v20
	s_movk_i32 s6, 0xff
	v_bitop3_b16 v21, v41, v21, s6 bitop3:0xec
	v_lshlrev_b16_e32 v22, 8, v42
	v_lshlrev_b32_e32 v21, 16, v21
	v_or_b32_e32 v22, 1, v22
	v_or_b32_sdwa v21, v22, v21 dst_sel:DWORD dst_unused:UNUSED_PAD src0_sel:WORD_0 src1_sel:DWORD
	s_mov_b32 s33, 0x3020104
	s_and_b64 vcc, exec, s[4:5]
	s_mov_b64 s[6:7], 0
	s_cbranch_vccnz .LBB1663_113
; %bb.110:
	v_add_u32_e32 v22, -8, v26
	ds_read_b64 v[22:23], v22
	v_mul_lo_u32 v27, v11, s30
	v_mul_lo_u32 v28, v10, s31
	s_add_u32 s36, s30, -1
	s_addc_u32 s37, s31, -1
	s_waitcnt lgkmcnt(0)
	v_mul_lo_u32 v24, v23, s30
	v_mul_lo_u32 v25, v22, s31
	v_mad_u64_u32 v[22:23], s[4:5], v22, s30, 0
	v_add3_u32 v23, v23, v25, v24
	v_mad_u64_u32 v[24:25], s[4:5], v10, s30, 0
	v_add3_u32 v25, v25, v28, v27
	v_lshl_add_u64 v[22:23], v[22:23], 3, s[20:21]
	v_lshl_add_u64 v[24:25], v[24:25], 3, s[20:21]
                                        ; implicit-def: $sgpr18_sgpr19
.LBB1663_111:                           ; =>This Inner Loop Header: Depth=1
	global_load_dwordx2 v[28:29], v[22:23], off
	global_load_dwordx2 v[30:31], v[24:25], off
	s_add_u32 s4, s36, -1
	s_addc_u32 s5, s37, -1
	s_cmp_eq_u64 s[36:37], 0
	s_mov_b64 s[36:37], s[4:5]
	s_cselect_b64 s[38:39], -1, 0
	v_lshl_add_u64 v[22:23], v[22:23], 0, 8
	v_lshl_add_u64 v[24:25], v[24:25], 0, 8
	s_waitcnt vmcnt(0)
	v_cmp_ne_u64_e64 s[4:5], v[28:29], v[30:31]
	s_or_b64 s[4:5], s[4:5], s[38:39]
	s_and_b64 s[4:5], exec, s[4:5]
	v_cmp_eq_u64_e32 vcc, v[28:29], v[30:31]
	s_or_b64 s[6:7], s[4:5], s[6:7]
	s_andn2_b64 s[4:5], s[18:19], exec
	s_and_b64 s[18:19], vcc, exec
	s_or_b64 s[18:19], s[4:5], s[18:19]
	s_andn2_b64 exec, exec, s[6:7]
	s_cbranch_execnz .LBB1663_111
; %bb.112:
	s_or_b64 exec, exec, s[6:7]
	s_xor_b64 s[6:7], s[18:19], -1
.LBB1663_113:
	v_perm_b32 v21, v21, v21, s33
	s_or_b64 s[10:11], s[10:11], exec
.LBB1663_114:
	s_or_b64 exec, exec, s[14:15]
	s_branch .LBB1663_160
.LBB1663_115:
	v_add_u32_e32 v16, 6, v1
	v_cmp_gt_u32_e32 vcc, s3, v16
	s_mov_b64 s[14:15], 0
	s_mov_b64 s[6:7], 0
	s_and_saveexec_b64 s[18:19], vcc
	s_cbranch_execz .LBB1663_121
; %bb.116:
	s_andn2_b64 vcc, exec, s[12:13]
	s_mov_b64 s[4:5], 0
	s_cbranch_vccnz .LBB1663_120
; %bb.117:
	v_mul_lo_u32 v19, v5, s30
	v_mul_lo_u32 v20, v4, s31
	v_mad_u64_u32 v[16:17], s[4:5], v4, s30, 0
	v_add3_u32 v17, v17, v20, v19
	v_mul_lo_u32 v19, v15, s30
	v_mul_lo_u32 v22, v14, s31
	v_mad_u64_u32 v[20:21], s[4:5], v14, s30, 0
	v_add3_u32 v21, v21, v22, v19
	s_add_u32 s38, s30, -1
	v_lshl_add_u64 v[16:17], v[16:17], 3, s[20:21]
	v_lshl_add_u64 v[20:21], v[20:21], 3, s[20:21]
	s_addc_u32 s39, s31, -1
                                        ; implicit-def: $sgpr36_sgpr37
.LBB1663_118:                           ; =>This Inner Loop Header: Depth=1
	global_load_dwordx2 v[22:23], v[16:17], off
	global_load_dwordx2 v[24:25], v[20:21], off
	s_add_u32 s4, s38, -1
	s_addc_u32 s5, s39, -1
	s_cmp_eq_u64 s[38:39], 0
	s_mov_b64 s[38:39], s[4:5]
	s_cselect_b64 s[40:41], -1, 0
	v_lshl_add_u64 v[16:17], v[16:17], 0, 8
	v_lshl_add_u64 v[20:21], v[20:21], 0, 8
	s_waitcnt vmcnt(0)
	v_cmp_ne_u64_e64 s[4:5], v[22:23], v[24:25]
	s_or_b64 s[4:5], s[4:5], s[40:41]
	s_and_b64 s[4:5], exec, s[4:5]
	v_cmp_eq_u64_e32 vcc, v[22:23], v[24:25]
	s_or_b64 s[6:7], s[4:5], s[6:7]
	s_andn2_b64 s[4:5], s[36:37], exec
	s_and_b64 s[36:37], vcc, exec
	s_or_b64 s[36:37], s[4:5], s[36:37]
	s_andn2_b64 exec, exec, s[6:7]
	s_cbranch_execnz .LBB1663_118
; %bb.119:
	s_or_b64 exec, exec, s[6:7]
	s_xor_b64 s[4:5], s[36:37], -1
.LBB1663_120:
	s_and_b64 s[6:7], s[4:5], exec
.LBB1663_121:
	s_or_b64 exec, exec, s[18:19]
	v_add_u32_e32 v16, 5, v1
	v_cmp_gt_u32_e32 vcc, s3, v16
	s_and_saveexec_b64 s[18:19], vcc
	s_cbranch_execz .LBB1663_127
; %bb.122:
	s_andn2_b64 vcc, exec, s[12:13]
	s_mov_b64 s[4:5], 0
	s_cbranch_vccnz .LBB1663_126
; %bb.123:
	v_mul_lo_u32 v19, v3, s30
	v_mul_lo_u32 v20, v2, s31
	v_mad_u64_u32 v[16:17], s[4:5], v2, s30, 0
	v_add3_u32 v17, v17, v20, v19
	v_mul_lo_u32 v19, v5, s30
	v_mul_lo_u32 v22, v4, s31
	v_mad_u64_u32 v[20:21], s[4:5], v4, s30, 0
	v_add3_u32 v21, v21, v22, v19
	s_add_u32 s38, s30, -1
	v_lshl_add_u64 v[16:17], v[16:17], 3, s[20:21]
	v_lshl_add_u64 v[20:21], v[20:21], 3, s[20:21]
	s_addc_u32 s39, s31, -1
	s_mov_b64 s[14:15], 0
                                        ; implicit-def: $sgpr36_sgpr37
.LBB1663_124:                           ; =>This Inner Loop Header: Depth=1
	global_load_dwordx2 v[22:23], v[16:17], off
	global_load_dwordx2 v[24:25], v[20:21], off
	s_add_u32 s4, s38, -1
	s_addc_u32 s5, s39, -1
	s_cmp_eq_u64 s[38:39], 0
	s_mov_b64 s[38:39], s[4:5]
	s_cselect_b64 s[40:41], -1, 0
	v_lshl_add_u64 v[16:17], v[16:17], 0, 8
	v_lshl_add_u64 v[20:21], v[20:21], 0, 8
	s_waitcnt vmcnt(0)
	v_cmp_ne_u64_e64 s[4:5], v[22:23], v[24:25]
	s_or_b64 s[4:5], s[4:5], s[40:41]
	s_and_b64 s[4:5], exec, s[4:5]
	v_cmp_eq_u64_e32 vcc, v[22:23], v[24:25]
	s_or_b64 s[14:15], s[4:5], s[14:15]
	s_andn2_b64 s[4:5], s[36:37], exec
	s_and_b64 s[36:37], vcc, exec
	s_or_b64 s[36:37], s[4:5], s[36:37]
	s_andn2_b64 exec, exec, s[14:15]
	s_cbranch_execnz .LBB1663_124
; %bb.125:
	s_or_b64 exec, exec, s[14:15]
	s_xor_b64 s[4:5], s[36:37], -1
.LBB1663_126:
	s_and_b64 s[14:15], s[4:5], exec
.LBB1663_127:
	s_or_b64 exec, exec, s[18:19]
	v_add_u32_e32 v16, 4, v1
	v_cmp_gt_u32_e32 vcc, s3, v16
	s_mov_b64 s[18:19], 0
	s_mov_b64 s[36:37], 0
	s_and_saveexec_b64 s[38:39], vcc
	s_cbranch_execz .LBB1663_133
; %bb.128:
	s_andn2_b64 vcc, exec, s[12:13]
	s_mov_b64 s[4:5], 0
	s_cbranch_vccnz .LBB1663_132
; %bb.129:
	v_mul_lo_u32 v19, v9, s30
	v_mul_lo_u32 v20, v8, s31
	v_mad_u64_u32 v[16:17], s[4:5], v8, s30, 0
	v_add3_u32 v17, v17, v20, v19
	v_mul_lo_u32 v19, v3, s30
	v_mul_lo_u32 v22, v2, s31
	v_mad_u64_u32 v[20:21], s[4:5], v2, s30, 0
	v_add3_u32 v21, v21, v22, v19
	s_add_u32 s42, s30, -1
	v_lshl_add_u64 v[16:17], v[16:17], 3, s[20:21]
	v_lshl_add_u64 v[20:21], v[20:21], 3, s[20:21]
	s_addc_u32 s43, s31, -1
                                        ; implicit-def: $sgpr40_sgpr41
.LBB1663_130:                           ; =>This Inner Loop Header: Depth=1
	global_load_dwordx2 v[22:23], v[16:17], off
	global_load_dwordx2 v[24:25], v[20:21], off
	s_add_u32 s4, s42, -1
	s_addc_u32 s5, s43, -1
	s_cmp_eq_u64 s[42:43], 0
	s_mov_b64 s[42:43], s[4:5]
	s_cselect_b64 s[44:45], -1, 0
	v_lshl_add_u64 v[16:17], v[16:17], 0, 8
	v_lshl_add_u64 v[20:21], v[20:21], 0, 8
	s_waitcnt vmcnt(0)
	v_cmp_ne_u64_e64 s[4:5], v[22:23], v[24:25]
	s_or_b64 s[4:5], s[4:5], s[44:45]
	s_and_b64 s[4:5], exec, s[4:5]
	v_cmp_eq_u64_e32 vcc, v[22:23], v[24:25]
	s_or_b64 s[36:37], s[4:5], s[36:37]
	s_andn2_b64 s[4:5], s[40:41], exec
	s_and_b64 s[40:41], vcc, exec
	s_or_b64 s[40:41], s[4:5], s[40:41]
	s_andn2_b64 exec, exec, s[36:37]
	s_cbranch_execnz .LBB1663_130
; %bb.131:
	s_or_b64 exec, exec, s[36:37]
	s_xor_b64 s[4:5], s[40:41], -1
.LBB1663_132:
	s_and_b64 s[36:37], s[4:5], exec
.LBB1663_133:
	s_or_b64 exec, exec, s[38:39]
	v_add_u32_e32 v16, 3, v1
	v_cmp_gt_u32_e32 vcc, s3, v16
	s_and_saveexec_b64 s[38:39], vcc
	s_cbranch_execz .LBB1663_139
; %bb.134:
	s_andn2_b64 vcc, exec, s[12:13]
	s_mov_b64 s[4:5], 0
	s_cbranch_vccnz .LBB1663_138
; %bb.135:
	v_mul_lo_u32 v19, v7, s30
	v_mul_lo_u32 v20, v6, s31
	v_mad_u64_u32 v[16:17], s[4:5], v6, s30, 0
	v_add3_u32 v17, v17, v20, v19
	v_mul_lo_u32 v19, v9, s30
	v_mul_lo_u32 v22, v8, s31
	v_mad_u64_u32 v[20:21], s[4:5], v8, s30, 0
	v_add3_u32 v21, v21, v22, v19
	s_add_u32 s42, s30, -1
	v_lshl_add_u64 v[16:17], v[16:17], 3, s[20:21]
	v_lshl_add_u64 v[20:21], v[20:21], 3, s[20:21]
	s_addc_u32 s43, s31, -1
	s_mov_b64 s[18:19], 0
                                        ; implicit-def: $sgpr40_sgpr41
.LBB1663_136:                           ; =>This Inner Loop Header: Depth=1
	global_load_dwordx2 v[22:23], v[16:17], off
	global_load_dwordx2 v[24:25], v[20:21], off
	s_add_u32 s4, s42, -1
	s_addc_u32 s5, s43, -1
	s_cmp_eq_u64 s[42:43], 0
	s_mov_b64 s[42:43], s[4:5]
	s_cselect_b64 s[44:45], -1, 0
	v_lshl_add_u64 v[16:17], v[16:17], 0, 8
	v_lshl_add_u64 v[20:21], v[20:21], 0, 8
	s_waitcnt vmcnt(0)
	v_cmp_ne_u64_e64 s[4:5], v[22:23], v[24:25]
	s_or_b64 s[4:5], s[4:5], s[44:45]
	s_and_b64 s[4:5], exec, s[4:5]
	v_cmp_eq_u64_e32 vcc, v[22:23], v[24:25]
	s_or_b64 s[18:19], s[4:5], s[18:19]
	s_andn2_b64 s[4:5], s[40:41], exec
	s_and_b64 s[40:41], vcc, exec
	s_or_b64 s[40:41], s[4:5], s[40:41]
	s_andn2_b64 exec, exec, s[18:19]
	s_cbranch_execnz .LBB1663_136
; %bb.137:
	s_or_b64 exec, exec, s[18:19]
	s_xor_b64 s[4:5], s[40:41], -1
.LBB1663_138:
	s_and_b64 s[18:19], s[4:5], exec
.LBB1663_139:
	s_or_b64 exec, exec, s[38:39]
	v_add_u32_e32 v16, 2, v1
	v_cmp_gt_u32_e32 vcc, s3, v16
	s_mov_b64 s[38:39], 0
	s_mov_b64 s[40:41], 0
	s_and_saveexec_b64 s[42:43], vcc
	s_cbranch_execz .LBB1663_145
; %bb.140:
	s_andn2_b64 vcc, exec, s[12:13]
	s_mov_b64 s[4:5], 0
	s_cbranch_vccnz .LBB1663_144
; %bb.141:
	v_mul_lo_u32 v19, v13, s30
	v_mul_lo_u32 v20, v12, s31
	v_mad_u64_u32 v[16:17], s[4:5], v12, s30, 0
	v_add3_u32 v17, v17, v20, v19
	v_mul_lo_u32 v19, v7, s30
	v_mul_lo_u32 v22, v6, s31
	v_mad_u64_u32 v[20:21], s[4:5], v6, s30, 0
	v_add3_u32 v21, v21, v22, v19
	s_add_u32 s46, s30, -1
	v_lshl_add_u64 v[16:17], v[16:17], 3, s[20:21]
	v_lshl_add_u64 v[20:21], v[20:21], 3, s[20:21]
	s_addc_u32 s47, s31, -1
                                        ; implicit-def: $sgpr44_sgpr45
.LBB1663_142:                           ; =>This Inner Loop Header: Depth=1
	global_load_dwordx2 v[22:23], v[16:17], off
	global_load_dwordx2 v[24:25], v[20:21], off
	s_add_u32 s4, s46, -1
	s_addc_u32 s5, s47, -1
	s_cmp_eq_u64 s[46:47], 0
	s_mov_b64 s[46:47], s[4:5]
	s_cselect_b64 s[48:49], -1, 0
	v_lshl_add_u64 v[16:17], v[16:17], 0, 8
	v_lshl_add_u64 v[20:21], v[20:21], 0, 8
	s_waitcnt vmcnt(0)
	v_cmp_ne_u64_e64 s[4:5], v[22:23], v[24:25]
	s_or_b64 s[4:5], s[4:5], s[48:49]
	s_and_b64 s[4:5], exec, s[4:5]
	v_cmp_eq_u64_e32 vcc, v[22:23], v[24:25]
	s_or_b64 s[40:41], s[4:5], s[40:41]
	s_andn2_b64 s[4:5], s[44:45], exec
	s_and_b64 s[44:45], vcc, exec
	s_or_b64 s[44:45], s[4:5], s[44:45]
	s_andn2_b64 exec, exec, s[40:41]
	s_cbranch_execnz .LBB1663_142
; %bb.143:
	s_or_b64 exec, exec, s[40:41]
	s_xor_b64 s[4:5], s[44:45], -1
.LBB1663_144:
	s_and_b64 s[40:41], s[4:5], exec
.LBB1663_145:
	s_or_b64 exec, exec, s[42:43]
	v_add_u32_e32 v16, 1, v1
	v_cmp_gt_u32_e32 vcc, s3, v16
	s_and_saveexec_b64 s[42:43], vcc
	s_cbranch_execz .LBB1663_151
; %bb.146:
	s_andn2_b64 vcc, exec, s[12:13]
	s_mov_b64 s[4:5], 0
	s_cbranch_vccnz .LBB1663_150
; %bb.147:
	v_mul_lo_u32 v19, v11, s30
	v_mul_lo_u32 v20, v10, s31
	v_mad_u64_u32 v[16:17], s[4:5], v10, s30, 0
	v_add3_u32 v17, v17, v20, v19
	v_mul_lo_u32 v19, v13, s30
	v_mul_lo_u32 v22, v12, s31
	v_mad_u64_u32 v[20:21], s[4:5], v12, s30, 0
	v_add3_u32 v21, v21, v22, v19
	s_add_u32 s46, s30, -1
	v_lshl_add_u64 v[16:17], v[16:17], 3, s[20:21]
	v_lshl_add_u64 v[20:21], v[20:21], 3, s[20:21]
	s_addc_u32 s47, s31, -1
	s_mov_b64 s[38:39], 0
                                        ; implicit-def: $sgpr44_sgpr45
.LBB1663_148:                           ; =>This Inner Loop Header: Depth=1
	global_load_dwordx2 v[22:23], v[16:17], off
	global_load_dwordx2 v[24:25], v[20:21], off
	s_add_u32 s4, s46, -1
	s_addc_u32 s5, s47, -1
	s_cmp_eq_u64 s[46:47], 0
	s_mov_b64 s[46:47], s[4:5]
	s_cselect_b64 s[48:49], -1, 0
	v_lshl_add_u64 v[16:17], v[16:17], 0, 8
	v_lshl_add_u64 v[20:21], v[20:21], 0, 8
	s_waitcnt vmcnt(0)
	v_cmp_ne_u64_e64 s[4:5], v[22:23], v[24:25]
	s_or_b64 s[4:5], s[4:5], s[48:49]
	s_and_b64 s[4:5], exec, s[4:5]
	v_cmp_eq_u64_e32 vcc, v[22:23], v[24:25]
	s_or_b64 s[38:39], s[4:5], s[38:39]
	s_andn2_b64 s[4:5], s[44:45], exec
	s_and_b64 s[44:45], vcc, exec
	s_or_b64 s[44:45], s[4:5], s[44:45]
	s_andn2_b64 exec, exec, s[38:39]
	s_cbranch_execnz .LBB1663_148
; %bb.149:
	s_or_b64 exec, exec, s[38:39]
	s_xor_b64 s[4:5], s[44:45], -1
.LBB1663_150:
	s_and_b64 s[38:39], s[4:5], exec
.LBB1663_151:
	s_or_b64 exec, exec, s[42:43]
	v_cndmask_b32_e64 v17, 0, 1, s[36:37]
	v_cndmask_b32_e64 v40, 0, 1, s[14:15]
	;; [unrolled: 1-line block ×6, first 2 shown]
	v_mov_b32_e32 v16, 1
	v_cmp_ne_u32_e32 vcc, 0, v0
	s_waitcnt lgkmcnt(0)
	s_barrier
                                        ; implicit-def: $sgpr6_sgpr7
                                        ; implicit-def: $vgpr21
	s_and_saveexec_b64 s[14:15], vcc
	s_cbranch_execz .LBB1663_159
; %bb.152:
	v_lshlrev_b16_e32 v21, 8, v42
	v_lshlrev_b16_e32 v22, 8, v20
	v_or_b32_e32 v21, 1, v21
	v_or_b32_sdwa v22, v41, v22 dst_sel:WORD_1 dst_unused:UNUSED_PAD src0_sel:DWORD src1_sel:DWORD
	v_cmp_gt_u32_e32 vcc, s3, v1
	v_or_b32_sdwa v21, v21, v22 dst_sel:DWORD dst_unused:UNUSED_PAD src0_sel:WORD_0 src1_sel:DWORD
	s_mov_b32 s33, 0x3020104
	s_mov_b64 s[6:7], 0
	s_and_saveexec_b64 s[18:19], vcc
	s_cbranch_execz .LBB1663_158
; %bb.153:
	s_andn2_b64 vcc, exec, s[12:13]
	s_mov_b64 s[4:5], 0
	s_cbranch_vccnz .LBB1663_157
; %bb.154:
	v_add_u32_e32 v22, -8, v26
	ds_read_b64 v[22:23], v22
	v_mul_lo_u32 v26, v11, s30
	v_mul_lo_u32 v27, v10, s31
                                        ; implicit-def: $sgpr12_sgpr13
	s_waitcnt lgkmcnt(0)
	v_mul_lo_u32 v24, v23, s30
	v_mul_lo_u32 v25, v22, s31
	v_mad_u64_u32 v[22:23], s[4:5], v22, s30, 0
	v_add3_u32 v23, v23, v25, v24
	v_mad_u64_u32 v[24:25], s[4:5], v10, s30, 0
	v_add3_u32 v25, v25, v27, v26
	v_lshl_add_u64 v[22:23], v[22:23], 3, s[20:21]
	v_lshl_add_u64 v[24:25], v[24:25], 3, s[20:21]
	s_add_u32 s20, s30, -1
	s_addc_u32 s21, s31, -1
.LBB1663_155:                           ; =>This Inner Loop Header: Depth=1
	global_load_dwordx2 v[26:27], v[22:23], off
	global_load_dwordx2 v[28:29], v[24:25], off
	s_add_u32 s4, s20, -1
	s_addc_u32 s5, s21, -1
	s_cmp_eq_u64 s[20:21], 0
	s_mov_b64 s[20:21], s[4:5]
	s_cselect_b64 s[30:31], -1, 0
	v_lshl_add_u64 v[22:23], v[22:23], 0, 8
	v_lshl_add_u64 v[24:25], v[24:25], 0, 8
	s_waitcnt vmcnt(0)
	v_cmp_ne_u64_e64 s[4:5], v[26:27], v[28:29]
	s_or_b64 s[4:5], s[4:5], s[30:31]
	s_and_b64 s[4:5], exec, s[4:5]
	v_cmp_eq_u64_e32 vcc, v[26:27], v[28:29]
	s_or_b64 s[6:7], s[4:5], s[6:7]
	s_andn2_b64 s[4:5], s[12:13], exec
	s_and_b64 s[12:13], vcc, exec
	s_or_b64 s[12:13], s[4:5], s[12:13]
	s_andn2_b64 exec, exec, s[6:7]
	s_cbranch_execnz .LBB1663_155
; %bb.156:
	s_or_b64 exec, exec, s[6:7]
	s_xor_b64 s[4:5], s[12:13], -1
.LBB1663_157:
	s_and_b64 s[6:7], s[4:5], exec
.LBB1663_158:
	s_or_b64 exec, exec, s[18:19]
	v_perm_b32 v21, v21, v21, s33
	s_or_b64 s[10:11], s[10:11], exec
.LBB1663_159:
	s_or_b64 exec, exec, s[14:15]
.LBB1663_160:
	s_and_saveexec_b64 s[4:5], s[10:11]
; %bb.161:
	v_lshrrev_b32_e32 v20, 24, v21
	v_lshrrev_b32_e32 v41, 16, v21
	;; [unrolled: 1-line block ×3, first 2 shown]
	v_cndmask_b32_e64 v16, 0, 1, s[6:7]
; %bb.162:
	s_or_b64 exec, exec, s[4:5]
	s_andn2_b64 vcc, exec, s[8:9]
	s_cbranch_vccnz .LBB1663_166
; %bb.163:
	s_mov_b32 s4, 0xc0c0004
	v_perm_b32 v20, v41, v20, s4
	v_perm_b32 v16, v16, v42, s4
	v_lshlrev_b32_e32 v20, 16, v20
	v_or_b32_e32 v16, v16, v20
	v_cmp_gt_u32_e32 vcc, s3, v1
	v_add_u32_e32 v22, 1, v1
	v_perm_b32 v17, v17, v40, s4
	v_cndmask_b32_e32 v20, v20, v16, vcc
	v_and_b32_e32 v20, 0xffff00ff, v20
	v_cmp_gt_u32_e32 vcc, s3, v22
	v_add_u32_e32 v22, 2, v1
	s_mov_b32 s4, 0x40c0100
	v_cndmask_b32_e32 v20, v20, v16, vcc
	v_lshrrev_b32_e32 v23, 24, v20
	v_and_b32_e32 v19, 0xff, v19
	v_perm_b32 v20, v23, v20, s4
	v_cmp_gt_u32_e32 vcc, s3, v22
	v_lshlrev_b32_e32 v19, 16, v19
	v_add_u32_e32 v22, 3, v1
	v_cndmask_b32_e32 v20, v20, v16, vcc
	s_mov_b32 s4, 0xffff00
	v_or_b32_e32 v21, v17, v19
	v_and_b32_e32 v20, 0xffffff, v20
	v_cmp_gt_u32_e32 vcc, s3, v22
	v_bitop3_b32 v17, v17, s4, v19 bitop3:0xc8
	v_add_u32_e32 v19, 4, v1
	v_cndmask_b32_e32 v20, v20, v16, vcc
	v_cmp_gt_u32_e32 vcc, s3, v19
	v_add_u32_e32 v19, 5, v1
	v_cmp_gt_u32_e64 s[4:5], s3, v19
	v_cndmask_b32_e32 v17, v17, v21, vcc
	v_and_b32_e32 v17, 0xffff00ff, v17
	s_or_b64 vcc, s[4:5], vcc
	v_cndmask_b32_e64 v17, v17, v21, s[4:5]
	v_cndmask_b32_e32 v16, v20, v16, vcc
	v_add_u32_e32 v1, 6, v1
	v_lshrrev_b32_e32 v41, 16, v16
	v_lshrrev_b32_e32 v42, 8, v16
	v_lshrrev_b64 v[20:21], 24, v[16:17]
	v_lshrrev_b32_e32 v19, 16, v17
	v_lshrrev_b32_e32 v40, 8, v17
	v_cmp_le_u32_e32 vcc, s3, v1
	s_and_saveexec_b64 s[4:5], vcc
; %bb.164:
	v_mov_b32_e32 v19, 0
; %bb.165:
	s_or_b64 exec, exec, s[4:5]
.LBB1663_166:
	v_and_b32_e32 v1, 0xff, v16
	v_and_b32_e32 v21, 0xff, v42
	;; [unrolled: 1-line block ×5, first 2 shown]
	v_add3_u32 v23, v21, v1, v33
	v_and_b32_e32 v39, 0xff, v40
	v_and_b32_e32 v22, 0xff, v19
	v_add3_u32 v23, v23, v35, v37
	v_add3_u32 v45, v23, v39, v22
	v_mbcnt_lo_u32_b32 v22, -1, 0
	v_mbcnt_hi_u32_b32 v43, -1, v22
	v_and_b32_e32 v22, 15, v43
	v_cmp_eq_u32_e64 s[14:15], 0, v22
	v_cmp_lt_u32_e64 s[12:13], 1, v22
	v_cmp_lt_u32_e64 s[10:11], 3, v22
	v_cmp_lt_u32_e64 s[8:9], 7, v22
	v_and_b32_e32 v22, 16, v43
	v_cmp_eq_u32_e64 s[6:7], 0, v22
	v_or_b32_e32 v22, 63, v0
	v_cmp_lt_u32_e64 s[18:19], 31, v43
	v_lshrrev_b32_e32 v44, 6, v0
	v_cmp_eq_u32_e64 s[4:5], v0, v22
	s_and_b64 vcc, exec, s[16:17]
	s_waitcnt lgkmcnt(0)
	s_barrier
	s_cbranch_vccz .LBB1663_188
; %bb.167:
	v_mov_b32_dpp v22, v45 row_shr:1 row_mask:0xf bank_mask:0xf
	v_cndmask_b32_e64 v22, v22, 0, s[14:15]
	v_add_u32_e32 v22, v22, v45
	s_nop 1
	v_mov_b32_dpp v23, v22 row_shr:2 row_mask:0xf bank_mask:0xf
	v_cndmask_b32_e64 v23, 0, v23, s[12:13]
	v_add_u32_e32 v22, v22, v23
	s_nop 1
	;; [unrolled: 4-line block ×4, first 2 shown]
	v_mov_b32_dpp v23, v22 row_bcast:15 row_mask:0xf bank_mask:0xf
	v_cndmask_b32_e64 v23, v23, 0, s[6:7]
	v_add_u32_e32 v22, v22, v23
	s_nop 1
	v_mov_b32_dpp v23, v22 row_bcast:31 row_mask:0xf bank_mask:0xf
	v_cndmask_b32_e64 v23, 0, v23, s[18:19]
	v_add_u32_e32 v22, v22, v23
	s_and_saveexec_b64 s[16:17], s[4:5]
; %bb.168:
	v_lshlrev_b32_e32 v23, 2, v44
	ds_write_b32 v23, v22
; %bb.169:
	s_or_b64 exec, exec, s[16:17]
	v_cmp_gt_u32_e32 vcc, 8, v0
	s_waitcnt lgkmcnt(0)
	s_barrier
	s_and_saveexec_b64 s[16:17], vcc
	s_cbranch_execz .LBB1663_171
; %bb.170:
	v_lshlrev_b32_e32 v23, 2, v0
	ds_read_b32 v24, v23
	v_and_b32_e32 v25, 7, v43
	v_cmp_ne_u32_e32 vcc, 0, v25
	s_waitcnt lgkmcnt(0)
	v_mov_b32_dpp v26, v24 row_shr:1 row_mask:0xf bank_mask:0xf
	v_cndmask_b32_e32 v26, 0, v26, vcc
	v_add_u32_e32 v24, v26, v24
	v_cmp_lt_u32_e32 vcc, 1, v25
	s_nop 0
	v_mov_b32_dpp v26, v24 row_shr:2 row_mask:0xf bank_mask:0xf
	v_cndmask_b32_e32 v26, 0, v26, vcc
	v_add_u32_e32 v24, v24, v26
	v_cmp_lt_u32_e32 vcc, 3, v25
	s_nop 0
	v_mov_b32_dpp v26, v24 row_shr:4 row_mask:0xf bank_mask:0xf
	v_cndmask_b32_e32 v25, 0, v26, vcc
	v_add_u32_e32 v24, v24, v25
	ds_write_b32 v23, v24
.LBB1663_171:
	s_or_b64 exec, exec, s[16:17]
	v_cmp_gt_u32_e32 vcc, 64, v0
	v_cmp_lt_u32_e64 s[16:17], 63, v0
	s_waitcnt lgkmcnt(0)
	s_barrier
                                        ; implicit-def: $vgpr32
	s_and_saveexec_b64 s[20:21], s[16:17]
	s_cbranch_execz .LBB1663_173
; %bb.172:
	v_lshl_add_u32 v23, v44, 2, -4
	ds_read_b32 v32, v23
	s_waitcnt lgkmcnt(0)
	v_add_u32_e32 v22, v32, v22
.LBB1663_173:
	s_or_b64 exec, exec, s[20:21]
	v_subrev_co_u32_e64 v23, s[16:17], 1, v43
	v_and_b32_e32 v24, 64, v43
	v_cmp_lt_i32_e64 s[20:21], v23, v24
	s_nop 1
	v_cndmask_b32_e64 v23, v23, v43, s[20:21]
	v_lshlrev_b32_e32 v23, 2, v23
	ds_bpermute_b32 v34, v23, v22
	s_and_saveexec_b64 s[20:21], vcc
	s_cbranch_execz .LBB1663_193
; %bb.174:
	v_mov_b32_e32 v29, 0
	ds_read_b32 v22, v29 offset:28
	s_and_saveexec_b64 s[30:31], s[16:17]
	s_cbranch_execz .LBB1663_176
; %bb.175:
	s_add_i32 s36, s2, 64
	s_mov_b32 s37, 0
	s_lshl_b64 s[36:37], s[36:37], 3
	s_add_u32 s36, s22, s36
	v_mov_b32_e32 v23, 1
	s_addc_u32 s37, s23, s37
	s_waitcnt lgkmcnt(0)
	global_store_dwordx2 v29, v[22:23], s[36:37] sc1
.LBB1663_176:
	s_or_b64 exec, exec, s[30:31]
	v_xad_u32 v24, v43, -1, s2
	v_add_u32_e32 v28, 64, v24
	v_lshl_add_u64 v[30:31], v[28:29], 3, s[22:23]
	global_load_dwordx2 v[26:27], v[30:31], off sc1
	s_waitcnt vmcnt(0)
	v_cmp_eq_u16_sdwa s[36:37], v27, v29 src0_sel:BYTE_0 src1_sel:DWORD
	s_and_saveexec_b64 s[30:31], s[36:37]
	s_cbranch_execz .LBB1663_180
; %bb.177:
	s_mov_b64 s[36:37], 0
	v_mov_b32_e32 v23, 0
.LBB1663_178:                           ; =>This Inner Loop Header: Depth=1
	global_load_dwordx2 v[26:27], v[30:31], off sc1
	s_waitcnt vmcnt(0)
	v_cmp_ne_u16_sdwa s[38:39], v27, v23 src0_sel:BYTE_0 src1_sel:DWORD
	s_or_b64 s[36:37], s[38:39], s[36:37]
	s_andn2_b64 exec, exec, s[36:37]
	s_cbranch_execnz .LBB1663_178
; %bb.179:
	s_or_b64 exec, exec, s[36:37]
.LBB1663_180:
	s_or_b64 exec, exec, s[30:31]
	v_and_b32_e32 v38, 63, v43
	v_mov_b32_e32 v36, 2
	v_cmp_ne_u32_e32 vcc, 63, v38
	v_cmp_eq_u16_sdwa s[30:31], v27, v36 src0_sel:BYTE_0 src1_sel:DWORD
	v_lshlrev_b64 v[28:29], v43, -1
	v_addc_co_u32_e32 v30, vcc, 0, v43, vcc
	v_and_b32_e32 v23, s31, v29
	v_lshlrev_b32_e32 v46, 2, v30
	v_or_b32_e32 v23, 0x80000000, v23
	ds_bpermute_b32 v30, v46, v26
	v_and_b32_e32 v25, s30, v28
	v_ffbl_b32_e32 v23, v23
	v_add_u32_e32 v23, 32, v23
	v_ffbl_b32_e32 v25, v25
	v_min_u32_e32 v23, v25, v23
	v_cmp_lt_u32_e32 vcc, v38, v23
	v_add_u32_e32 v48, 2, v38
	v_add_u32_e32 v50, 4, v38
	s_waitcnt lgkmcnt(0)
	v_cndmask_b32_e32 v25, 0, v30, vcc
	v_cmp_gt_u32_e32 vcc, 62, v38
	v_add_u32_e32 v25, v25, v26
	v_add_u32_e32 v52, 8, v38
	v_cndmask_b32_e64 v26, 0, 2, vcc
	v_add_lshl_u32 v47, v26, v43, 2
	ds_bpermute_b32 v26, v47, v25
	v_cmp_le_u32_e32 vcc, v48, v23
	v_add_u32_e32 v54, 16, v38
	v_add_u32_e32 v56, 32, v38
	s_waitcnt lgkmcnt(0)
	v_cndmask_b32_e32 v26, 0, v26, vcc
	v_cmp_gt_u32_e32 vcc, 60, v38
	v_add_u32_e32 v25, v25, v26
	s_nop 0
	v_cndmask_b32_e64 v26, 0, 4, vcc
	v_add_lshl_u32 v49, v26, v43, 2
	ds_bpermute_b32 v26, v49, v25
	v_cmp_le_u32_e32 vcc, v50, v23
	s_waitcnt lgkmcnt(0)
	s_nop 0
	v_cndmask_b32_e32 v26, 0, v26, vcc
	v_cmp_gt_u32_e32 vcc, 56, v38
	v_add_u32_e32 v25, v25, v26
	s_nop 0
	v_cndmask_b32_e64 v26, 0, 8, vcc
	v_add_lshl_u32 v51, v26, v43, 2
	ds_bpermute_b32 v26, v51, v25
	v_cmp_le_u32_e32 vcc, v52, v23
	s_waitcnt lgkmcnt(0)
	s_nop 0
	v_cndmask_b32_e32 v26, 0, v26, vcc
	v_cmp_gt_u32_e32 vcc, 48, v38
	v_add_u32_e32 v25, v25, v26
	s_nop 0
	v_cndmask_b32_e64 v26, 0, 16, vcc
	v_add_lshl_u32 v53, v26, v43, 2
	ds_bpermute_b32 v26, v53, v25
	v_cmp_le_u32_e32 vcc, v54, v23
	s_waitcnt lgkmcnt(0)
	s_nop 0
	v_cndmask_b32_e32 v26, 0, v26, vcc
	v_add_u32_e32 v25, v25, v26
	v_mov_b32_e32 v26, 0x80
	v_lshl_or_b32 v55, v43, 2, v26
	ds_bpermute_b32 v26, v55, v25
	v_cmp_le_u32_e32 vcc, v56, v23
	s_waitcnt lgkmcnt(0)
	s_nop 0
	v_cndmask_b32_e32 v23, 0, v26, vcc
	v_add_u32_e32 v26, v25, v23
	v_mov_b32_e32 v25, 0
	s_branch .LBB1663_183
.LBB1663_181:                           ;   in Loop: Header=BB1663_183 Depth=1
	s_or_b64 exec, exec, s[30:31]
	v_cmp_eq_u16_sdwa s[30:31], v27, v36 src0_sel:BYTE_0 src1_sel:DWORD
	ds_bpermute_b32 v57, v46, v26
	v_subrev_u32_e32 v24, 64, v24
	v_and_b32_e32 v30, s31, v29
	v_or_b32_e32 v30, 0x80000000, v30
	v_and_b32_e32 v31, s30, v28
	v_ffbl_b32_e32 v30, v30
	v_add_u32_e32 v30, 32, v30
	v_ffbl_b32_e32 v31, v31
	v_min_u32_e32 v30, v31, v30
	v_cmp_lt_u32_e32 vcc, v38, v30
	s_mov_b64 s[30:31], 0
	s_waitcnt lgkmcnt(0)
	v_cndmask_b32_e32 v31, 0, v57, vcc
	v_add_u32_e32 v26, v31, v26
	ds_bpermute_b32 v31, v47, v26
	v_cmp_le_u32_e32 vcc, v48, v30
	s_waitcnt lgkmcnt(0)
	s_nop 0
	v_cndmask_b32_e32 v31, 0, v31, vcc
	v_add_u32_e32 v26, v26, v31
	ds_bpermute_b32 v31, v49, v26
	v_cmp_le_u32_e32 vcc, v50, v30
	s_waitcnt lgkmcnt(0)
	s_nop 0
	v_cndmask_b32_e32 v31, 0, v31, vcc
	v_add_u32_e32 v26, v26, v31
	ds_bpermute_b32 v31, v51, v26
	v_cmp_le_u32_e32 vcc, v52, v30
	s_waitcnt lgkmcnt(0)
	s_nop 0
	v_cndmask_b32_e32 v31, 0, v31, vcc
	v_add_u32_e32 v26, v26, v31
	ds_bpermute_b32 v31, v53, v26
	v_cmp_le_u32_e32 vcc, v54, v30
	s_waitcnt lgkmcnt(0)
	s_nop 0
	v_cndmask_b32_e32 v31, 0, v31, vcc
	v_add_u32_e32 v26, v26, v31
	ds_bpermute_b32 v31, v55, v26
	v_cmp_le_u32_e32 vcc, v56, v30
	s_waitcnt lgkmcnt(0)
	s_nop 0
	v_cndmask_b32_e32 v30, 0, v31, vcc
	v_add3_u32 v26, v30, v23, v26
.LBB1663_182:                           ;   in Loop: Header=BB1663_183 Depth=1
	s_and_b64 vcc, exec, s[30:31]
	s_cbranch_vccnz .LBB1663_189
.LBB1663_183:                           ; =>This Loop Header: Depth=1
                                        ;     Child Loop BB1663_186 Depth 2
	v_cmp_ne_u16_sdwa s[30:31], v27, v36 src0_sel:BYTE_0 src1_sel:DWORD
	v_mov_b32_e32 v23, v26
	s_cmp_lg_u64 s[30:31], exec
	s_mov_b64 s[30:31], -1
                                        ; implicit-def: $vgpr26
                                        ; implicit-def: $vgpr27
	s_cbranch_scc1 .LBB1663_182
; %bb.184:                              ;   in Loop: Header=BB1663_183 Depth=1
	v_lshl_add_u64 v[30:31], v[24:25], 3, s[22:23]
	global_load_dwordx2 v[26:27], v[30:31], off sc1
	s_waitcnt vmcnt(0)
	v_cmp_eq_u16_sdwa s[36:37], v27, v25 src0_sel:BYTE_0 src1_sel:DWORD
	s_and_saveexec_b64 s[30:31], s[36:37]
	s_cbranch_execz .LBB1663_181
; %bb.185:                              ;   in Loop: Header=BB1663_183 Depth=1
	s_mov_b64 s[36:37], 0
.LBB1663_186:                           ;   Parent Loop BB1663_183 Depth=1
                                        ; =>  This Inner Loop Header: Depth=2
	global_load_dwordx2 v[26:27], v[30:31], off sc1
	s_waitcnt vmcnt(0)
	v_cmp_ne_u16_sdwa s[38:39], v27, v25 src0_sel:BYTE_0 src1_sel:DWORD
	s_or_b64 s[36:37], s[38:39], s[36:37]
	s_andn2_b64 exec, exec, s[36:37]
	s_cbranch_execnz .LBB1663_186
; %bb.187:                              ;   in Loop: Header=BB1663_183 Depth=1
	s_or_b64 exec, exec, s[36:37]
	s_branch .LBB1663_181
.LBB1663_188:
                                        ; implicit-def: $vgpr26
                                        ; implicit-def: $vgpr28
                                        ; implicit-def: $vgpr30
                                        ; implicit-def: $vgpr32
                                        ; implicit-def: $vgpr34
                                        ; implicit-def: $vgpr36
                                        ; implicit-def: $vgpr38
                                        ; implicit-def: $vgpr24
                                        ; implicit-def: $vgpr22
	s_load_dwordx2 s[2:3], s[0:1], 0x28
	s_cbranch_execnz .LBB1663_194
	s_branch .LBB1663_203
.LBB1663_189:
	s_and_saveexec_b64 s[30:31], s[16:17]
	s_cbranch_execz .LBB1663_191
; %bb.190:
	s_add_i32 s2, s2, 64
	s_mov_b32 s3, 0
	s_lshl_b64 s[2:3], s[2:3], 3
	s_add_u32 s2, s22, s2
	v_add_u32_e32 v24, v23, v22
	v_mov_b32_e32 v25, 2
	s_addc_u32 s3, s23, s3
	v_mov_b32_e32 v26, 0
	global_store_dwordx2 v26, v[24:25], s[2:3] sc1
	ds_write_b64 v26, v[22:23] offset:28672
.LBB1663_191:
	s_or_b64 exec, exec, s[30:31]
	v_cmp_eq_u32_e32 vcc, 0, v0
	s_and_b64 exec, exec, vcc
; %bb.192:
	v_mov_b32_e32 v22, 0
	ds_write_b32 v22, v23 offset:28
.LBB1663_193:
	s_or_b64 exec, exec, s[20:21]
	v_mov_b32_e32 v22, 0
	s_waitcnt lgkmcnt(0)
	s_barrier
	ds_read_b32 v23, v22 offset:28
	v_cndmask_b32_e64 v24, v34, v32, s[16:17]
	v_cmp_ne_u32_e32 vcc, 0, v0
	s_waitcnt lgkmcnt(0)
	s_barrier
	v_cndmask_b32_e32 v24, 0, v24, vcc
	v_add_u32_e32 v38, v23, v24
	v_add_u32_e32 v36, v38, v1
	ds_read_b64 v[22:23], v22 offset:28672
	v_add_u32_e32 v34, v36, v21
	v_add_u32_e32 v32, v34, v33
	;; [unrolled: 1-line block ×5, first 2 shown]
	s_waitcnt lgkmcnt(0)
	v_mov_b32_e32 v24, v23
	s_load_dwordx2 s[2:3], s[0:1], 0x28
	s_branch .LBB1663_203
.LBB1663_194:
	v_mov_b32_dpp v22, v45 row_shr:1 row_mask:0xf bank_mask:0xf
	v_cndmask_b32_e64 v22, v22, 0, s[14:15]
	v_add_u32_e32 v22, v22, v45
	s_nop 1
	v_mov_b32_dpp v23, v22 row_shr:2 row_mask:0xf bank_mask:0xf
	v_cndmask_b32_e64 v23, 0, v23, s[12:13]
	v_add_u32_e32 v22, v22, v23
	s_nop 1
	;; [unrolled: 4-line block ×4, first 2 shown]
	v_mov_b32_dpp v23, v22 row_bcast:15 row_mask:0xf bank_mask:0xf
	v_cndmask_b32_e64 v23, v23, 0, s[6:7]
	v_add_u32_e32 v22, v22, v23
	s_nop 1
	v_mov_b32_dpp v23, v22 row_bcast:31 row_mask:0xf bank_mask:0xf
	v_cndmask_b32_e64 v23, 0, v23, s[18:19]
	v_add_u32_e32 v22, v22, v23
	s_and_saveexec_b64 s[0:1], s[4:5]
; %bb.195:
	v_lshlrev_b32_e32 v23, 2, v44
	ds_write_b32 v23, v22
; %bb.196:
	s_or_b64 exec, exec, s[0:1]
	v_cmp_gt_u32_e32 vcc, 8, v0
	s_waitcnt lgkmcnt(0)
	s_barrier
	s_and_saveexec_b64 s[0:1], vcc
	s_cbranch_execz .LBB1663_198
; %bb.197:
	v_lshlrev_b32_e32 v23, 2, v0
	ds_read_b32 v24, v23
	v_and_b32_e32 v25, 7, v43
	v_cmp_ne_u32_e32 vcc, 0, v25
	s_waitcnt lgkmcnt(0)
	v_mov_b32_dpp v26, v24 row_shr:1 row_mask:0xf bank_mask:0xf
	v_cndmask_b32_e32 v26, 0, v26, vcc
	v_add_u32_e32 v24, v26, v24
	v_cmp_lt_u32_e32 vcc, 1, v25
	s_nop 0
	v_mov_b32_dpp v26, v24 row_shr:2 row_mask:0xf bank_mask:0xf
	v_cndmask_b32_e32 v26, 0, v26, vcc
	v_add_u32_e32 v24, v24, v26
	v_cmp_lt_u32_e32 vcc, 3, v25
	s_nop 0
	v_mov_b32_dpp v26, v24 row_shr:4 row_mask:0xf bank_mask:0xf
	v_cndmask_b32_e32 v25, 0, v26, vcc
	v_add_u32_e32 v24, v24, v25
	ds_write_b32 v23, v24
.LBB1663_198:
	s_or_b64 exec, exec, s[0:1]
	v_cmp_lt_u32_e32 vcc, 63, v0
	v_mov_b32_e32 v23, 0
	v_mov_b32_e32 v24, 0
	s_waitcnt lgkmcnt(0)
	s_barrier
	s_and_saveexec_b64 s[0:1], vcc
; %bb.199:
	v_lshl_add_u32 v24, v44, 2, -4
	ds_read_b32 v24, v24
; %bb.200:
	s_or_b64 exec, exec, s[0:1]
	v_subrev_co_u32_e32 v25, vcc, 1, v43
	v_and_b32_e32 v26, 64, v43
	v_cmp_lt_i32_e64 s[0:1], v25, v26
	s_waitcnt lgkmcnt(0)
	v_add_u32_e32 v22, v24, v22
	v_cndmask_b32_e64 v25, v25, v43, s[0:1]
	v_lshlrev_b32_e32 v25, 2, v25
	ds_bpermute_b32 v25, v25, v22
	ds_read_b32 v22, v23 offset:28
	v_cmp_eq_u32_e64 s[0:1], 0, v0
	s_and_saveexec_b64 s[4:5], s[0:1]
	s_cbranch_execz .LBB1663_202
; %bb.201:
	v_mov_b32_e32 v26, 0
	v_mov_b32_e32 v23, 2
	s_waitcnt lgkmcnt(0)
	global_store_dwordx2 v26, v[22:23], s[22:23] offset:512 sc1
.LBB1663_202:
	s_or_b64 exec, exec, s[4:5]
	s_waitcnt lgkmcnt(1)
	v_cndmask_b32_e32 v23, v25, v24, vcc
	v_cndmask_b32_e64 v38, v23, 0, s[0:1]
	v_add_u32_e32 v36, v38, v1
	v_add_u32_e32 v34, v36, v21
	;; [unrolled: 1-line block ×6, first 2 shown]
	s_waitcnt lgkmcnt(0)
	s_barrier
	v_mov_b32_e32 v24, 0
.LBB1663_203:
	s_movk_i32 s0, 0x201
	v_cmp_gt_u32_e32 vcc, s0, v22
	v_and_b32_e32 v1, 1, v16
	s_mov_b64 s[4:5], -1
	v_cmp_eq_u32_e64 s[0:1], 1, v1
	s_cbranch_vccnz .LBB1663_207
; %bb.204:
	s_and_b64 vcc, exec, s[4:5]
	s_cbranch_vccnz .LBB1663_222
.LBB1663_205:
	v_cmp_eq_u32_e32 vcc, 0, v0
	s_and_b64 s[0:1], vcc, s[28:29]
	s_waitcnt lgkmcnt(0)
	s_and_saveexec_b64 s[2:3], s[0:1]
	s_cbranch_execnz .LBB1663_239
.LBB1663_206:
	s_endpgm
.LBB1663_207:
	v_add_u32_e32 v16, v24, v22
	v_cmp_lt_u32_e32 vcc, v38, v16
	s_or_b64 s[4:5], s[34:35], vcc
	s_and_b64 s[4:5], s[4:5], s[0:1]
	s_and_saveexec_b64 s[0:1], s[4:5]
	s_cbranch_execz .LBB1663_209
; %bb.208:
	s_lshl_b64 s[4:5], s[26:27], 3
	s_waitcnt lgkmcnt(0)
	s_add_u32 s4, s2, s4
	s_addc_u32 s5, s3, s5
	v_mov_b32_e32 v39, 0
	v_lshl_add_u64 v[44:45], v[38:39], 3, s[4:5]
	global_store_dwordx2 v[44:45], v[10:11], off
.LBB1663_209:
	s_or_b64 exec, exec, s[0:1]
	v_cmp_lt_u32_e32 vcc, v36, v16
	v_and_b32_e32 v21, 1, v42
	s_or_b64 s[0:1], s[34:35], vcc
	v_cmp_eq_u32_e32 vcc, 1, v21
	s_and_b64 s[4:5], s[0:1], vcc
	s_and_saveexec_b64 s[0:1], s[4:5]
	s_cbranch_execz .LBB1663_211
; %bb.210:
	s_lshl_b64 s[4:5], s[26:27], 3
	s_waitcnt lgkmcnt(0)
	s_add_u32 s4, s2, s4
	s_addc_u32 s5, s3, s5
	v_mov_b32_e32 v37, 0
	v_lshl_add_u64 v[44:45], v[36:37], 3, s[4:5]
	global_store_dwordx2 v[44:45], v[12:13], off
.LBB1663_211:
	s_or_b64 exec, exec, s[0:1]
	v_cmp_lt_u32_e32 vcc, v34, v16
	v_and_b32_e32 v21, 1, v41
	s_or_b64 s[0:1], s[34:35], vcc
	v_cmp_eq_u32_e32 vcc, 1, v21
	s_and_b64 s[4:5], s[0:1], vcc
	;; [unrolled: 17-line block ×6, first 2 shown]
	s_and_saveexec_b64 s[0:1], s[4:5]
	s_cbranch_execz .LBB1663_221
; %bb.220:
	s_lshl_b64 s[4:5], s[26:27], 3
	s_waitcnt lgkmcnt(0)
	s_add_u32 s4, s2, s4
	s_addc_u32 s5, s3, s5
	v_mov_b32_e32 v27, 0
	v_lshl_add_u64 v[44:45], v[26:27], 3, s[4:5]
	global_store_dwordx2 v[44:45], v[14:15], off
.LBB1663_221:
	s_or_b64 exec, exec, s[0:1]
	s_branch .LBB1663_205
.LBB1663_222:
	v_cmp_eq_u32_e32 vcc, 1, v1
	s_and_saveexec_b64 s[0:1], vcc
; %bb.223:
	v_sub_u32_e32 v1, v38, v24
	v_lshlrev_b32_e32 v1, 3, v1
	ds_write_b64 v1, v[10:11]
; %bb.224:
	s_or_b64 exec, exec, s[0:1]
	v_and_b32_e32 v1, 1, v42
	v_cmp_eq_u32_e32 vcc, 1, v1
	s_and_saveexec_b64 s[0:1], vcc
; %bb.225:
	v_sub_u32_e32 v1, v36, v24
	v_lshlrev_b32_e32 v1, 3, v1
	ds_write_b64 v1, v[12:13]
; %bb.226:
	s_or_b64 exec, exec, s[0:1]
	v_and_b32_e32 v1, 1, v41
	;; [unrolled: 9-line block ×6, first 2 shown]
	v_cmp_eq_u32_e32 vcc, 1, v1
	s_and_saveexec_b64 s[0:1], vcc
; %bb.235:
	v_sub_u32_e32 v1, v26, v24
	v_lshlrev_b32_e32 v1, 3, v1
	ds_write_b64 v1, v[14:15]
; %bb.236:
	s_or_b64 exec, exec, s[0:1]
	v_mov_b32_e32 v25, 0
	s_lshl_b64 s[0:1], s[26:27], 3
	v_lshlrev_b64 v[2:3], 3, v[24:25]
	v_lshl_add_u64 v[2:3], s[0:1], 0, v[2:3]
	v_mov_b32_e32 v19, v25
	s_waitcnt lgkmcnt(0)
	v_lshl_add_u64 v[2:3], s[2:3], 0, v[2:3]
	v_lshl_add_u64 v[2:3], v[2:3], 0, v[18:19]
	s_mov_b64 s[0:1], 0
	s_mov_b64 s[2:3], 0x1000
	v_mov_b32_e32 v1, v0
	s_barrier
.LBB1663_237:                           ; =>This Inner Loop Header: Depth=1
	ds_read_b64 v[4:5], v18
	v_add_u32_e32 v1, 0x200, v1
	v_cmp_ge_u32_e32 vcc, v1, v22
	v_add_u32_e32 v18, 0x1000, v18
	s_or_b64 s[0:1], vcc, s[0:1]
	s_waitcnt lgkmcnt(0)
	global_store_dwordx2 v[2:3], v[4:5], off
	v_lshl_add_u64 v[2:3], v[2:3], 0, s[2:3]
	s_andn2_b64 exec, exec, s[0:1]
	s_cbranch_execnz .LBB1663_237
; %bb.238:
	s_or_b64 exec, exec, s[0:1]
	v_cmp_eq_u32_e32 vcc, 0, v0
	s_and_b64 s[0:1], vcc, s[28:29]
	s_and_saveexec_b64 s[2:3], s[0:1]
	s_cbranch_execz .LBB1663_206
.LBB1663_239:
	v_mov_b32_e32 v23, 0
	v_lshl_add_u64 v[0:1], s[26:27], 0, v[22:23]
	v_mov_b32_e32 v25, v23
	v_lshl_add_u64 v[0:1], v[0:1], 0, v[24:25]
	global_store_dwordx2 v23, v[0:1], s[24:25]
	s_endpgm
	.section	.rodata,"a",@progbits
	.p2align	6, 0x0
	.amdhsa_kernel _ZN7rocprim17ROCPRIM_400000_NS6detail17trampoline_kernelINS0_14default_configENS1_25partition_config_selectorILNS1_17partition_subalgoE8ElNS0_10empty_typeEbEEZZNS1_14partition_implILS5_8ELb0ES3_jPlPS6_PKS6_NS0_5tupleIJS9_S6_EEENSD_IJSA_SA_EEENS0_18inequality_wrapperIZN2at6native12_GLOBAL__N_124unique_dim_cuda_templateImEESt5tupleIJNSH_6TensorESM_SM_EERKSM_lbbbEUlllE0_EEPmJS6_EEE10hipError_tPvRmT3_T4_T5_T6_T7_T9_mT8_P12ihipStream_tbDpT10_ENKUlT_T0_E_clISt17integral_constantIbLb0EES1C_EEDaS17_S18_EUlS17_E_NS1_11comp_targetILNS1_3genE0ELNS1_11target_archE4294967295ELNS1_3gpuE0ELNS1_3repE0EEENS1_30default_config_static_selectorELNS0_4arch9wavefront6targetE1EEEvT1_
		.amdhsa_group_segment_fixed_size 28680
		.amdhsa_private_segment_fixed_size 0
		.amdhsa_kernarg_size 120
		.amdhsa_user_sgpr_count 2
		.amdhsa_user_sgpr_dispatch_ptr 0
		.amdhsa_user_sgpr_queue_ptr 0
		.amdhsa_user_sgpr_kernarg_segment_ptr 1
		.amdhsa_user_sgpr_dispatch_id 0
		.amdhsa_user_sgpr_kernarg_preload_length 0
		.amdhsa_user_sgpr_kernarg_preload_offset 0
		.amdhsa_user_sgpr_private_segment_size 0
		.amdhsa_uses_dynamic_stack 0
		.amdhsa_enable_private_segment 0
		.amdhsa_system_sgpr_workgroup_id_x 1
		.amdhsa_system_sgpr_workgroup_id_y 0
		.amdhsa_system_sgpr_workgroup_id_z 0
		.amdhsa_system_sgpr_workgroup_info 0
		.amdhsa_system_vgpr_workitem_id 0
		.amdhsa_next_free_vgpr 58
		.amdhsa_next_free_sgpr 50
		.amdhsa_accum_offset 60
		.amdhsa_reserve_vcc 1
		.amdhsa_float_round_mode_32 0
		.amdhsa_float_round_mode_16_64 0
		.amdhsa_float_denorm_mode_32 3
		.amdhsa_float_denorm_mode_16_64 3
		.amdhsa_dx10_clamp 1
		.amdhsa_ieee_mode 1
		.amdhsa_fp16_overflow 0
		.amdhsa_tg_split 0
		.amdhsa_exception_fp_ieee_invalid_op 0
		.amdhsa_exception_fp_denorm_src 0
		.amdhsa_exception_fp_ieee_div_zero 0
		.amdhsa_exception_fp_ieee_overflow 0
		.amdhsa_exception_fp_ieee_underflow 0
		.amdhsa_exception_fp_ieee_inexact 0
		.amdhsa_exception_int_div_zero 0
	.end_amdhsa_kernel
	.section	.text._ZN7rocprim17ROCPRIM_400000_NS6detail17trampoline_kernelINS0_14default_configENS1_25partition_config_selectorILNS1_17partition_subalgoE8ElNS0_10empty_typeEbEEZZNS1_14partition_implILS5_8ELb0ES3_jPlPS6_PKS6_NS0_5tupleIJS9_S6_EEENSD_IJSA_SA_EEENS0_18inequality_wrapperIZN2at6native12_GLOBAL__N_124unique_dim_cuda_templateImEESt5tupleIJNSH_6TensorESM_SM_EERKSM_lbbbEUlllE0_EEPmJS6_EEE10hipError_tPvRmT3_T4_T5_T6_T7_T9_mT8_P12ihipStream_tbDpT10_ENKUlT_T0_E_clISt17integral_constantIbLb0EES1C_EEDaS17_S18_EUlS17_E_NS1_11comp_targetILNS1_3genE0ELNS1_11target_archE4294967295ELNS1_3gpuE0ELNS1_3repE0EEENS1_30default_config_static_selectorELNS0_4arch9wavefront6targetE1EEEvT1_,"axG",@progbits,_ZN7rocprim17ROCPRIM_400000_NS6detail17trampoline_kernelINS0_14default_configENS1_25partition_config_selectorILNS1_17partition_subalgoE8ElNS0_10empty_typeEbEEZZNS1_14partition_implILS5_8ELb0ES3_jPlPS6_PKS6_NS0_5tupleIJS9_S6_EEENSD_IJSA_SA_EEENS0_18inequality_wrapperIZN2at6native12_GLOBAL__N_124unique_dim_cuda_templateImEESt5tupleIJNSH_6TensorESM_SM_EERKSM_lbbbEUlllE0_EEPmJS6_EEE10hipError_tPvRmT3_T4_T5_T6_T7_T9_mT8_P12ihipStream_tbDpT10_ENKUlT_T0_E_clISt17integral_constantIbLb0EES1C_EEDaS17_S18_EUlS17_E_NS1_11comp_targetILNS1_3genE0ELNS1_11target_archE4294967295ELNS1_3gpuE0ELNS1_3repE0EEENS1_30default_config_static_selectorELNS0_4arch9wavefront6targetE1EEEvT1_,comdat
.Lfunc_end1663:
	.size	_ZN7rocprim17ROCPRIM_400000_NS6detail17trampoline_kernelINS0_14default_configENS1_25partition_config_selectorILNS1_17partition_subalgoE8ElNS0_10empty_typeEbEEZZNS1_14partition_implILS5_8ELb0ES3_jPlPS6_PKS6_NS0_5tupleIJS9_S6_EEENSD_IJSA_SA_EEENS0_18inequality_wrapperIZN2at6native12_GLOBAL__N_124unique_dim_cuda_templateImEESt5tupleIJNSH_6TensorESM_SM_EERKSM_lbbbEUlllE0_EEPmJS6_EEE10hipError_tPvRmT3_T4_T5_T6_T7_T9_mT8_P12ihipStream_tbDpT10_ENKUlT_T0_E_clISt17integral_constantIbLb0EES1C_EEDaS17_S18_EUlS17_E_NS1_11comp_targetILNS1_3genE0ELNS1_11target_archE4294967295ELNS1_3gpuE0ELNS1_3repE0EEENS1_30default_config_static_selectorELNS0_4arch9wavefront6targetE1EEEvT1_, .Lfunc_end1663-_ZN7rocprim17ROCPRIM_400000_NS6detail17trampoline_kernelINS0_14default_configENS1_25partition_config_selectorILNS1_17partition_subalgoE8ElNS0_10empty_typeEbEEZZNS1_14partition_implILS5_8ELb0ES3_jPlPS6_PKS6_NS0_5tupleIJS9_S6_EEENSD_IJSA_SA_EEENS0_18inequality_wrapperIZN2at6native12_GLOBAL__N_124unique_dim_cuda_templateImEESt5tupleIJNSH_6TensorESM_SM_EERKSM_lbbbEUlllE0_EEPmJS6_EEE10hipError_tPvRmT3_T4_T5_T6_T7_T9_mT8_P12ihipStream_tbDpT10_ENKUlT_T0_E_clISt17integral_constantIbLb0EES1C_EEDaS17_S18_EUlS17_E_NS1_11comp_targetILNS1_3genE0ELNS1_11target_archE4294967295ELNS1_3gpuE0ELNS1_3repE0EEENS1_30default_config_static_selectorELNS0_4arch9wavefront6targetE1EEEvT1_
                                        ; -- End function
	.set _ZN7rocprim17ROCPRIM_400000_NS6detail17trampoline_kernelINS0_14default_configENS1_25partition_config_selectorILNS1_17partition_subalgoE8ElNS0_10empty_typeEbEEZZNS1_14partition_implILS5_8ELb0ES3_jPlPS6_PKS6_NS0_5tupleIJS9_S6_EEENSD_IJSA_SA_EEENS0_18inequality_wrapperIZN2at6native12_GLOBAL__N_124unique_dim_cuda_templateImEESt5tupleIJNSH_6TensorESM_SM_EERKSM_lbbbEUlllE0_EEPmJS6_EEE10hipError_tPvRmT3_T4_T5_T6_T7_T9_mT8_P12ihipStream_tbDpT10_ENKUlT_T0_E_clISt17integral_constantIbLb0EES1C_EEDaS17_S18_EUlS17_E_NS1_11comp_targetILNS1_3genE0ELNS1_11target_archE4294967295ELNS1_3gpuE0ELNS1_3repE0EEENS1_30default_config_static_selectorELNS0_4arch9wavefront6targetE1EEEvT1_.num_vgpr, 58
	.set _ZN7rocprim17ROCPRIM_400000_NS6detail17trampoline_kernelINS0_14default_configENS1_25partition_config_selectorILNS1_17partition_subalgoE8ElNS0_10empty_typeEbEEZZNS1_14partition_implILS5_8ELb0ES3_jPlPS6_PKS6_NS0_5tupleIJS9_S6_EEENSD_IJSA_SA_EEENS0_18inequality_wrapperIZN2at6native12_GLOBAL__N_124unique_dim_cuda_templateImEESt5tupleIJNSH_6TensorESM_SM_EERKSM_lbbbEUlllE0_EEPmJS6_EEE10hipError_tPvRmT3_T4_T5_T6_T7_T9_mT8_P12ihipStream_tbDpT10_ENKUlT_T0_E_clISt17integral_constantIbLb0EES1C_EEDaS17_S18_EUlS17_E_NS1_11comp_targetILNS1_3genE0ELNS1_11target_archE4294967295ELNS1_3gpuE0ELNS1_3repE0EEENS1_30default_config_static_selectorELNS0_4arch9wavefront6targetE1EEEvT1_.num_agpr, 0
	.set _ZN7rocprim17ROCPRIM_400000_NS6detail17trampoline_kernelINS0_14default_configENS1_25partition_config_selectorILNS1_17partition_subalgoE8ElNS0_10empty_typeEbEEZZNS1_14partition_implILS5_8ELb0ES3_jPlPS6_PKS6_NS0_5tupleIJS9_S6_EEENSD_IJSA_SA_EEENS0_18inequality_wrapperIZN2at6native12_GLOBAL__N_124unique_dim_cuda_templateImEESt5tupleIJNSH_6TensorESM_SM_EERKSM_lbbbEUlllE0_EEPmJS6_EEE10hipError_tPvRmT3_T4_T5_T6_T7_T9_mT8_P12ihipStream_tbDpT10_ENKUlT_T0_E_clISt17integral_constantIbLb0EES1C_EEDaS17_S18_EUlS17_E_NS1_11comp_targetILNS1_3genE0ELNS1_11target_archE4294967295ELNS1_3gpuE0ELNS1_3repE0EEENS1_30default_config_static_selectorELNS0_4arch9wavefront6targetE1EEEvT1_.numbered_sgpr, 50
	.set _ZN7rocprim17ROCPRIM_400000_NS6detail17trampoline_kernelINS0_14default_configENS1_25partition_config_selectorILNS1_17partition_subalgoE8ElNS0_10empty_typeEbEEZZNS1_14partition_implILS5_8ELb0ES3_jPlPS6_PKS6_NS0_5tupleIJS9_S6_EEENSD_IJSA_SA_EEENS0_18inequality_wrapperIZN2at6native12_GLOBAL__N_124unique_dim_cuda_templateImEESt5tupleIJNSH_6TensorESM_SM_EERKSM_lbbbEUlllE0_EEPmJS6_EEE10hipError_tPvRmT3_T4_T5_T6_T7_T9_mT8_P12ihipStream_tbDpT10_ENKUlT_T0_E_clISt17integral_constantIbLb0EES1C_EEDaS17_S18_EUlS17_E_NS1_11comp_targetILNS1_3genE0ELNS1_11target_archE4294967295ELNS1_3gpuE0ELNS1_3repE0EEENS1_30default_config_static_selectorELNS0_4arch9wavefront6targetE1EEEvT1_.num_named_barrier, 0
	.set _ZN7rocprim17ROCPRIM_400000_NS6detail17trampoline_kernelINS0_14default_configENS1_25partition_config_selectorILNS1_17partition_subalgoE8ElNS0_10empty_typeEbEEZZNS1_14partition_implILS5_8ELb0ES3_jPlPS6_PKS6_NS0_5tupleIJS9_S6_EEENSD_IJSA_SA_EEENS0_18inequality_wrapperIZN2at6native12_GLOBAL__N_124unique_dim_cuda_templateImEESt5tupleIJNSH_6TensorESM_SM_EERKSM_lbbbEUlllE0_EEPmJS6_EEE10hipError_tPvRmT3_T4_T5_T6_T7_T9_mT8_P12ihipStream_tbDpT10_ENKUlT_T0_E_clISt17integral_constantIbLb0EES1C_EEDaS17_S18_EUlS17_E_NS1_11comp_targetILNS1_3genE0ELNS1_11target_archE4294967295ELNS1_3gpuE0ELNS1_3repE0EEENS1_30default_config_static_selectorELNS0_4arch9wavefront6targetE1EEEvT1_.private_seg_size, 0
	.set _ZN7rocprim17ROCPRIM_400000_NS6detail17trampoline_kernelINS0_14default_configENS1_25partition_config_selectorILNS1_17partition_subalgoE8ElNS0_10empty_typeEbEEZZNS1_14partition_implILS5_8ELb0ES3_jPlPS6_PKS6_NS0_5tupleIJS9_S6_EEENSD_IJSA_SA_EEENS0_18inequality_wrapperIZN2at6native12_GLOBAL__N_124unique_dim_cuda_templateImEESt5tupleIJNSH_6TensorESM_SM_EERKSM_lbbbEUlllE0_EEPmJS6_EEE10hipError_tPvRmT3_T4_T5_T6_T7_T9_mT8_P12ihipStream_tbDpT10_ENKUlT_T0_E_clISt17integral_constantIbLb0EES1C_EEDaS17_S18_EUlS17_E_NS1_11comp_targetILNS1_3genE0ELNS1_11target_archE4294967295ELNS1_3gpuE0ELNS1_3repE0EEENS1_30default_config_static_selectorELNS0_4arch9wavefront6targetE1EEEvT1_.uses_vcc, 1
	.set _ZN7rocprim17ROCPRIM_400000_NS6detail17trampoline_kernelINS0_14default_configENS1_25partition_config_selectorILNS1_17partition_subalgoE8ElNS0_10empty_typeEbEEZZNS1_14partition_implILS5_8ELb0ES3_jPlPS6_PKS6_NS0_5tupleIJS9_S6_EEENSD_IJSA_SA_EEENS0_18inequality_wrapperIZN2at6native12_GLOBAL__N_124unique_dim_cuda_templateImEESt5tupleIJNSH_6TensorESM_SM_EERKSM_lbbbEUlllE0_EEPmJS6_EEE10hipError_tPvRmT3_T4_T5_T6_T7_T9_mT8_P12ihipStream_tbDpT10_ENKUlT_T0_E_clISt17integral_constantIbLb0EES1C_EEDaS17_S18_EUlS17_E_NS1_11comp_targetILNS1_3genE0ELNS1_11target_archE4294967295ELNS1_3gpuE0ELNS1_3repE0EEENS1_30default_config_static_selectorELNS0_4arch9wavefront6targetE1EEEvT1_.uses_flat_scratch, 0
	.set _ZN7rocprim17ROCPRIM_400000_NS6detail17trampoline_kernelINS0_14default_configENS1_25partition_config_selectorILNS1_17partition_subalgoE8ElNS0_10empty_typeEbEEZZNS1_14partition_implILS5_8ELb0ES3_jPlPS6_PKS6_NS0_5tupleIJS9_S6_EEENSD_IJSA_SA_EEENS0_18inequality_wrapperIZN2at6native12_GLOBAL__N_124unique_dim_cuda_templateImEESt5tupleIJNSH_6TensorESM_SM_EERKSM_lbbbEUlllE0_EEPmJS6_EEE10hipError_tPvRmT3_T4_T5_T6_T7_T9_mT8_P12ihipStream_tbDpT10_ENKUlT_T0_E_clISt17integral_constantIbLb0EES1C_EEDaS17_S18_EUlS17_E_NS1_11comp_targetILNS1_3genE0ELNS1_11target_archE4294967295ELNS1_3gpuE0ELNS1_3repE0EEENS1_30default_config_static_selectorELNS0_4arch9wavefront6targetE1EEEvT1_.has_dyn_sized_stack, 0
	.set _ZN7rocprim17ROCPRIM_400000_NS6detail17trampoline_kernelINS0_14default_configENS1_25partition_config_selectorILNS1_17partition_subalgoE8ElNS0_10empty_typeEbEEZZNS1_14partition_implILS5_8ELb0ES3_jPlPS6_PKS6_NS0_5tupleIJS9_S6_EEENSD_IJSA_SA_EEENS0_18inequality_wrapperIZN2at6native12_GLOBAL__N_124unique_dim_cuda_templateImEESt5tupleIJNSH_6TensorESM_SM_EERKSM_lbbbEUlllE0_EEPmJS6_EEE10hipError_tPvRmT3_T4_T5_T6_T7_T9_mT8_P12ihipStream_tbDpT10_ENKUlT_T0_E_clISt17integral_constantIbLb0EES1C_EEDaS17_S18_EUlS17_E_NS1_11comp_targetILNS1_3genE0ELNS1_11target_archE4294967295ELNS1_3gpuE0ELNS1_3repE0EEENS1_30default_config_static_selectorELNS0_4arch9wavefront6targetE1EEEvT1_.has_recursion, 0
	.set _ZN7rocprim17ROCPRIM_400000_NS6detail17trampoline_kernelINS0_14default_configENS1_25partition_config_selectorILNS1_17partition_subalgoE8ElNS0_10empty_typeEbEEZZNS1_14partition_implILS5_8ELb0ES3_jPlPS6_PKS6_NS0_5tupleIJS9_S6_EEENSD_IJSA_SA_EEENS0_18inequality_wrapperIZN2at6native12_GLOBAL__N_124unique_dim_cuda_templateImEESt5tupleIJNSH_6TensorESM_SM_EERKSM_lbbbEUlllE0_EEPmJS6_EEE10hipError_tPvRmT3_T4_T5_T6_T7_T9_mT8_P12ihipStream_tbDpT10_ENKUlT_T0_E_clISt17integral_constantIbLb0EES1C_EEDaS17_S18_EUlS17_E_NS1_11comp_targetILNS1_3genE0ELNS1_11target_archE4294967295ELNS1_3gpuE0ELNS1_3repE0EEENS1_30default_config_static_selectorELNS0_4arch9wavefront6targetE1EEEvT1_.has_indirect_call, 0
	.section	.AMDGPU.csdata,"",@progbits
; Kernel info:
; codeLenInByte = 10796
; TotalNumSgprs: 56
; NumVgprs: 58
; NumAgprs: 0
; TotalNumVgprs: 58
; ScratchSize: 0
; MemoryBound: 0
; FloatMode: 240
; IeeeMode: 1
; LDSByteSize: 28680 bytes/workgroup (compile time only)
; SGPRBlocks: 6
; VGPRBlocks: 7
; NumSGPRsForWavesPerEU: 56
; NumVGPRsForWavesPerEU: 58
; AccumOffset: 60
; Occupancy: 8
; WaveLimiterHint : 1
; COMPUTE_PGM_RSRC2:SCRATCH_EN: 0
; COMPUTE_PGM_RSRC2:USER_SGPR: 2
; COMPUTE_PGM_RSRC2:TRAP_HANDLER: 0
; COMPUTE_PGM_RSRC2:TGID_X_EN: 1
; COMPUTE_PGM_RSRC2:TGID_Y_EN: 0
; COMPUTE_PGM_RSRC2:TGID_Z_EN: 0
; COMPUTE_PGM_RSRC2:TIDIG_COMP_CNT: 0
; COMPUTE_PGM_RSRC3_GFX90A:ACCUM_OFFSET: 14
; COMPUTE_PGM_RSRC3_GFX90A:TG_SPLIT: 0
	.section	.text._ZN7rocprim17ROCPRIM_400000_NS6detail17trampoline_kernelINS0_14default_configENS1_25partition_config_selectorILNS1_17partition_subalgoE8ElNS0_10empty_typeEbEEZZNS1_14partition_implILS5_8ELb0ES3_jPlPS6_PKS6_NS0_5tupleIJS9_S6_EEENSD_IJSA_SA_EEENS0_18inequality_wrapperIZN2at6native12_GLOBAL__N_124unique_dim_cuda_templateImEESt5tupleIJNSH_6TensorESM_SM_EERKSM_lbbbEUlllE0_EEPmJS6_EEE10hipError_tPvRmT3_T4_T5_T6_T7_T9_mT8_P12ihipStream_tbDpT10_ENKUlT_T0_E_clISt17integral_constantIbLb0EES1C_EEDaS17_S18_EUlS17_E_NS1_11comp_targetILNS1_3genE5ELNS1_11target_archE942ELNS1_3gpuE9ELNS1_3repE0EEENS1_30default_config_static_selectorELNS0_4arch9wavefront6targetE1EEEvT1_,"axG",@progbits,_ZN7rocprim17ROCPRIM_400000_NS6detail17trampoline_kernelINS0_14default_configENS1_25partition_config_selectorILNS1_17partition_subalgoE8ElNS0_10empty_typeEbEEZZNS1_14partition_implILS5_8ELb0ES3_jPlPS6_PKS6_NS0_5tupleIJS9_S6_EEENSD_IJSA_SA_EEENS0_18inequality_wrapperIZN2at6native12_GLOBAL__N_124unique_dim_cuda_templateImEESt5tupleIJNSH_6TensorESM_SM_EERKSM_lbbbEUlllE0_EEPmJS6_EEE10hipError_tPvRmT3_T4_T5_T6_T7_T9_mT8_P12ihipStream_tbDpT10_ENKUlT_T0_E_clISt17integral_constantIbLb0EES1C_EEDaS17_S18_EUlS17_E_NS1_11comp_targetILNS1_3genE5ELNS1_11target_archE942ELNS1_3gpuE9ELNS1_3repE0EEENS1_30default_config_static_selectorELNS0_4arch9wavefront6targetE1EEEvT1_,comdat
	.globl	_ZN7rocprim17ROCPRIM_400000_NS6detail17trampoline_kernelINS0_14default_configENS1_25partition_config_selectorILNS1_17partition_subalgoE8ElNS0_10empty_typeEbEEZZNS1_14partition_implILS5_8ELb0ES3_jPlPS6_PKS6_NS0_5tupleIJS9_S6_EEENSD_IJSA_SA_EEENS0_18inequality_wrapperIZN2at6native12_GLOBAL__N_124unique_dim_cuda_templateImEESt5tupleIJNSH_6TensorESM_SM_EERKSM_lbbbEUlllE0_EEPmJS6_EEE10hipError_tPvRmT3_T4_T5_T6_T7_T9_mT8_P12ihipStream_tbDpT10_ENKUlT_T0_E_clISt17integral_constantIbLb0EES1C_EEDaS17_S18_EUlS17_E_NS1_11comp_targetILNS1_3genE5ELNS1_11target_archE942ELNS1_3gpuE9ELNS1_3repE0EEENS1_30default_config_static_selectorELNS0_4arch9wavefront6targetE1EEEvT1_ ; -- Begin function _ZN7rocprim17ROCPRIM_400000_NS6detail17trampoline_kernelINS0_14default_configENS1_25partition_config_selectorILNS1_17partition_subalgoE8ElNS0_10empty_typeEbEEZZNS1_14partition_implILS5_8ELb0ES3_jPlPS6_PKS6_NS0_5tupleIJS9_S6_EEENSD_IJSA_SA_EEENS0_18inequality_wrapperIZN2at6native12_GLOBAL__N_124unique_dim_cuda_templateImEESt5tupleIJNSH_6TensorESM_SM_EERKSM_lbbbEUlllE0_EEPmJS6_EEE10hipError_tPvRmT3_T4_T5_T6_T7_T9_mT8_P12ihipStream_tbDpT10_ENKUlT_T0_E_clISt17integral_constantIbLb0EES1C_EEDaS17_S18_EUlS17_E_NS1_11comp_targetILNS1_3genE5ELNS1_11target_archE942ELNS1_3gpuE9ELNS1_3repE0EEENS1_30default_config_static_selectorELNS0_4arch9wavefront6targetE1EEEvT1_
	.p2align	8
	.type	_ZN7rocprim17ROCPRIM_400000_NS6detail17trampoline_kernelINS0_14default_configENS1_25partition_config_selectorILNS1_17partition_subalgoE8ElNS0_10empty_typeEbEEZZNS1_14partition_implILS5_8ELb0ES3_jPlPS6_PKS6_NS0_5tupleIJS9_S6_EEENSD_IJSA_SA_EEENS0_18inequality_wrapperIZN2at6native12_GLOBAL__N_124unique_dim_cuda_templateImEESt5tupleIJNSH_6TensorESM_SM_EERKSM_lbbbEUlllE0_EEPmJS6_EEE10hipError_tPvRmT3_T4_T5_T6_T7_T9_mT8_P12ihipStream_tbDpT10_ENKUlT_T0_E_clISt17integral_constantIbLb0EES1C_EEDaS17_S18_EUlS17_E_NS1_11comp_targetILNS1_3genE5ELNS1_11target_archE942ELNS1_3gpuE9ELNS1_3repE0EEENS1_30default_config_static_selectorELNS0_4arch9wavefront6targetE1EEEvT1_,@function
_ZN7rocprim17ROCPRIM_400000_NS6detail17trampoline_kernelINS0_14default_configENS1_25partition_config_selectorILNS1_17partition_subalgoE8ElNS0_10empty_typeEbEEZZNS1_14partition_implILS5_8ELb0ES3_jPlPS6_PKS6_NS0_5tupleIJS9_S6_EEENSD_IJSA_SA_EEENS0_18inequality_wrapperIZN2at6native12_GLOBAL__N_124unique_dim_cuda_templateImEESt5tupleIJNSH_6TensorESM_SM_EERKSM_lbbbEUlllE0_EEPmJS6_EEE10hipError_tPvRmT3_T4_T5_T6_T7_T9_mT8_P12ihipStream_tbDpT10_ENKUlT_T0_E_clISt17integral_constantIbLb0EES1C_EEDaS17_S18_EUlS17_E_NS1_11comp_targetILNS1_3genE5ELNS1_11target_archE942ELNS1_3gpuE9ELNS1_3repE0EEENS1_30default_config_static_selectorELNS0_4arch9wavefront6targetE1EEEvT1_: ; @_ZN7rocprim17ROCPRIM_400000_NS6detail17trampoline_kernelINS0_14default_configENS1_25partition_config_selectorILNS1_17partition_subalgoE8ElNS0_10empty_typeEbEEZZNS1_14partition_implILS5_8ELb0ES3_jPlPS6_PKS6_NS0_5tupleIJS9_S6_EEENSD_IJSA_SA_EEENS0_18inequality_wrapperIZN2at6native12_GLOBAL__N_124unique_dim_cuda_templateImEESt5tupleIJNSH_6TensorESM_SM_EERKSM_lbbbEUlllE0_EEPmJS6_EEE10hipError_tPvRmT3_T4_T5_T6_T7_T9_mT8_P12ihipStream_tbDpT10_ENKUlT_T0_E_clISt17integral_constantIbLb0EES1C_EEDaS17_S18_EUlS17_E_NS1_11comp_targetILNS1_3genE5ELNS1_11target_archE942ELNS1_3gpuE9ELNS1_3repE0EEENS1_30default_config_static_selectorELNS0_4arch9wavefront6targetE1EEEvT1_
; %bb.0:
	.section	.rodata,"a",@progbits
	.p2align	6, 0x0
	.amdhsa_kernel _ZN7rocprim17ROCPRIM_400000_NS6detail17trampoline_kernelINS0_14default_configENS1_25partition_config_selectorILNS1_17partition_subalgoE8ElNS0_10empty_typeEbEEZZNS1_14partition_implILS5_8ELb0ES3_jPlPS6_PKS6_NS0_5tupleIJS9_S6_EEENSD_IJSA_SA_EEENS0_18inequality_wrapperIZN2at6native12_GLOBAL__N_124unique_dim_cuda_templateImEESt5tupleIJNSH_6TensorESM_SM_EERKSM_lbbbEUlllE0_EEPmJS6_EEE10hipError_tPvRmT3_T4_T5_T6_T7_T9_mT8_P12ihipStream_tbDpT10_ENKUlT_T0_E_clISt17integral_constantIbLb0EES1C_EEDaS17_S18_EUlS17_E_NS1_11comp_targetILNS1_3genE5ELNS1_11target_archE942ELNS1_3gpuE9ELNS1_3repE0EEENS1_30default_config_static_selectorELNS0_4arch9wavefront6targetE1EEEvT1_
		.amdhsa_group_segment_fixed_size 0
		.amdhsa_private_segment_fixed_size 0
		.amdhsa_kernarg_size 120
		.amdhsa_user_sgpr_count 2
		.amdhsa_user_sgpr_dispatch_ptr 0
		.amdhsa_user_sgpr_queue_ptr 0
		.amdhsa_user_sgpr_kernarg_segment_ptr 1
		.amdhsa_user_sgpr_dispatch_id 0
		.amdhsa_user_sgpr_kernarg_preload_length 0
		.amdhsa_user_sgpr_kernarg_preload_offset 0
		.amdhsa_user_sgpr_private_segment_size 0
		.amdhsa_uses_dynamic_stack 0
		.amdhsa_enable_private_segment 0
		.amdhsa_system_sgpr_workgroup_id_x 1
		.amdhsa_system_sgpr_workgroup_id_y 0
		.amdhsa_system_sgpr_workgroup_id_z 0
		.amdhsa_system_sgpr_workgroup_info 0
		.amdhsa_system_vgpr_workitem_id 0
		.amdhsa_next_free_vgpr 1
		.amdhsa_next_free_sgpr 0
		.amdhsa_accum_offset 4
		.amdhsa_reserve_vcc 0
		.amdhsa_float_round_mode_32 0
		.amdhsa_float_round_mode_16_64 0
		.amdhsa_float_denorm_mode_32 3
		.amdhsa_float_denorm_mode_16_64 3
		.amdhsa_dx10_clamp 1
		.amdhsa_ieee_mode 1
		.amdhsa_fp16_overflow 0
		.amdhsa_tg_split 0
		.amdhsa_exception_fp_ieee_invalid_op 0
		.amdhsa_exception_fp_denorm_src 0
		.amdhsa_exception_fp_ieee_div_zero 0
		.amdhsa_exception_fp_ieee_overflow 0
		.amdhsa_exception_fp_ieee_underflow 0
		.amdhsa_exception_fp_ieee_inexact 0
		.amdhsa_exception_int_div_zero 0
	.end_amdhsa_kernel
	.section	.text._ZN7rocprim17ROCPRIM_400000_NS6detail17trampoline_kernelINS0_14default_configENS1_25partition_config_selectorILNS1_17partition_subalgoE8ElNS0_10empty_typeEbEEZZNS1_14partition_implILS5_8ELb0ES3_jPlPS6_PKS6_NS0_5tupleIJS9_S6_EEENSD_IJSA_SA_EEENS0_18inequality_wrapperIZN2at6native12_GLOBAL__N_124unique_dim_cuda_templateImEESt5tupleIJNSH_6TensorESM_SM_EERKSM_lbbbEUlllE0_EEPmJS6_EEE10hipError_tPvRmT3_T4_T5_T6_T7_T9_mT8_P12ihipStream_tbDpT10_ENKUlT_T0_E_clISt17integral_constantIbLb0EES1C_EEDaS17_S18_EUlS17_E_NS1_11comp_targetILNS1_3genE5ELNS1_11target_archE942ELNS1_3gpuE9ELNS1_3repE0EEENS1_30default_config_static_selectorELNS0_4arch9wavefront6targetE1EEEvT1_,"axG",@progbits,_ZN7rocprim17ROCPRIM_400000_NS6detail17trampoline_kernelINS0_14default_configENS1_25partition_config_selectorILNS1_17partition_subalgoE8ElNS0_10empty_typeEbEEZZNS1_14partition_implILS5_8ELb0ES3_jPlPS6_PKS6_NS0_5tupleIJS9_S6_EEENSD_IJSA_SA_EEENS0_18inequality_wrapperIZN2at6native12_GLOBAL__N_124unique_dim_cuda_templateImEESt5tupleIJNSH_6TensorESM_SM_EERKSM_lbbbEUlllE0_EEPmJS6_EEE10hipError_tPvRmT3_T4_T5_T6_T7_T9_mT8_P12ihipStream_tbDpT10_ENKUlT_T0_E_clISt17integral_constantIbLb0EES1C_EEDaS17_S18_EUlS17_E_NS1_11comp_targetILNS1_3genE5ELNS1_11target_archE942ELNS1_3gpuE9ELNS1_3repE0EEENS1_30default_config_static_selectorELNS0_4arch9wavefront6targetE1EEEvT1_,comdat
.Lfunc_end1664:
	.size	_ZN7rocprim17ROCPRIM_400000_NS6detail17trampoline_kernelINS0_14default_configENS1_25partition_config_selectorILNS1_17partition_subalgoE8ElNS0_10empty_typeEbEEZZNS1_14partition_implILS5_8ELb0ES3_jPlPS6_PKS6_NS0_5tupleIJS9_S6_EEENSD_IJSA_SA_EEENS0_18inequality_wrapperIZN2at6native12_GLOBAL__N_124unique_dim_cuda_templateImEESt5tupleIJNSH_6TensorESM_SM_EERKSM_lbbbEUlllE0_EEPmJS6_EEE10hipError_tPvRmT3_T4_T5_T6_T7_T9_mT8_P12ihipStream_tbDpT10_ENKUlT_T0_E_clISt17integral_constantIbLb0EES1C_EEDaS17_S18_EUlS17_E_NS1_11comp_targetILNS1_3genE5ELNS1_11target_archE942ELNS1_3gpuE9ELNS1_3repE0EEENS1_30default_config_static_selectorELNS0_4arch9wavefront6targetE1EEEvT1_, .Lfunc_end1664-_ZN7rocprim17ROCPRIM_400000_NS6detail17trampoline_kernelINS0_14default_configENS1_25partition_config_selectorILNS1_17partition_subalgoE8ElNS0_10empty_typeEbEEZZNS1_14partition_implILS5_8ELb0ES3_jPlPS6_PKS6_NS0_5tupleIJS9_S6_EEENSD_IJSA_SA_EEENS0_18inequality_wrapperIZN2at6native12_GLOBAL__N_124unique_dim_cuda_templateImEESt5tupleIJNSH_6TensorESM_SM_EERKSM_lbbbEUlllE0_EEPmJS6_EEE10hipError_tPvRmT3_T4_T5_T6_T7_T9_mT8_P12ihipStream_tbDpT10_ENKUlT_T0_E_clISt17integral_constantIbLb0EES1C_EEDaS17_S18_EUlS17_E_NS1_11comp_targetILNS1_3genE5ELNS1_11target_archE942ELNS1_3gpuE9ELNS1_3repE0EEENS1_30default_config_static_selectorELNS0_4arch9wavefront6targetE1EEEvT1_
                                        ; -- End function
	.set _ZN7rocprim17ROCPRIM_400000_NS6detail17trampoline_kernelINS0_14default_configENS1_25partition_config_selectorILNS1_17partition_subalgoE8ElNS0_10empty_typeEbEEZZNS1_14partition_implILS5_8ELb0ES3_jPlPS6_PKS6_NS0_5tupleIJS9_S6_EEENSD_IJSA_SA_EEENS0_18inequality_wrapperIZN2at6native12_GLOBAL__N_124unique_dim_cuda_templateImEESt5tupleIJNSH_6TensorESM_SM_EERKSM_lbbbEUlllE0_EEPmJS6_EEE10hipError_tPvRmT3_T4_T5_T6_T7_T9_mT8_P12ihipStream_tbDpT10_ENKUlT_T0_E_clISt17integral_constantIbLb0EES1C_EEDaS17_S18_EUlS17_E_NS1_11comp_targetILNS1_3genE5ELNS1_11target_archE942ELNS1_3gpuE9ELNS1_3repE0EEENS1_30default_config_static_selectorELNS0_4arch9wavefront6targetE1EEEvT1_.num_vgpr, 0
	.set _ZN7rocprim17ROCPRIM_400000_NS6detail17trampoline_kernelINS0_14default_configENS1_25partition_config_selectorILNS1_17partition_subalgoE8ElNS0_10empty_typeEbEEZZNS1_14partition_implILS5_8ELb0ES3_jPlPS6_PKS6_NS0_5tupleIJS9_S6_EEENSD_IJSA_SA_EEENS0_18inequality_wrapperIZN2at6native12_GLOBAL__N_124unique_dim_cuda_templateImEESt5tupleIJNSH_6TensorESM_SM_EERKSM_lbbbEUlllE0_EEPmJS6_EEE10hipError_tPvRmT3_T4_T5_T6_T7_T9_mT8_P12ihipStream_tbDpT10_ENKUlT_T0_E_clISt17integral_constantIbLb0EES1C_EEDaS17_S18_EUlS17_E_NS1_11comp_targetILNS1_3genE5ELNS1_11target_archE942ELNS1_3gpuE9ELNS1_3repE0EEENS1_30default_config_static_selectorELNS0_4arch9wavefront6targetE1EEEvT1_.num_agpr, 0
	.set _ZN7rocprim17ROCPRIM_400000_NS6detail17trampoline_kernelINS0_14default_configENS1_25partition_config_selectorILNS1_17partition_subalgoE8ElNS0_10empty_typeEbEEZZNS1_14partition_implILS5_8ELb0ES3_jPlPS6_PKS6_NS0_5tupleIJS9_S6_EEENSD_IJSA_SA_EEENS0_18inequality_wrapperIZN2at6native12_GLOBAL__N_124unique_dim_cuda_templateImEESt5tupleIJNSH_6TensorESM_SM_EERKSM_lbbbEUlllE0_EEPmJS6_EEE10hipError_tPvRmT3_T4_T5_T6_T7_T9_mT8_P12ihipStream_tbDpT10_ENKUlT_T0_E_clISt17integral_constantIbLb0EES1C_EEDaS17_S18_EUlS17_E_NS1_11comp_targetILNS1_3genE5ELNS1_11target_archE942ELNS1_3gpuE9ELNS1_3repE0EEENS1_30default_config_static_selectorELNS0_4arch9wavefront6targetE1EEEvT1_.numbered_sgpr, 0
	.set _ZN7rocprim17ROCPRIM_400000_NS6detail17trampoline_kernelINS0_14default_configENS1_25partition_config_selectorILNS1_17partition_subalgoE8ElNS0_10empty_typeEbEEZZNS1_14partition_implILS5_8ELb0ES3_jPlPS6_PKS6_NS0_5tupleIJS9_S6_EEENSD_IJSA_SA_EEENS0_18inequality_wrapperIZN2at6native12_GLOBAL__N_124unique_dim_cuda_templateImEESt5tupleIJNSH_6TensorESM_SM_EERKSM_lbbbEUlllE0_EEPmJS6_EEE10hipError_tPvRmT3_T4_T5_T6_T7_T9_mT8_P12ihipStream_tbDpT10_ENKUlT_T0_E_clISt17integral_constantIbLb0EES1C_EEDaS17_S18_EUlS17_E_NS1_11comp_targetILNS1_3genE5ELNS1_11target_archE942ELNS1_3gpuE9ELNS1_3repE0EEENS1_30default_config_static_selectorELNS0_4arch9wavefront6targetE1EEEvT1_.num_named_barrier, 0
	.set _ZN7rocprim17ROCPRIM_400000_NS6detail17trampoline_kernelINS0_14default_configENS1_25partition_config_selectorILNS1_17partition_subalgoE8ElNS0_10empty_typeEbEEZZNS1_14partition_implILS5_8ELb0ES3_jPlPS6_PKS6_NS0_5tupleIJS9_S6_EEENSD_IJSA_SA_EEENS0_18inequality_wrapperIZN2at6native12_GLOBAL__N_124unique_dim_cuda_templateImEESt5tupleIJNSH_6TensorESM_SM_EERKSM_lbbbEUlllE0_EEPmJS6_EEE10hipError_tPvRmT3_T4_T5_T6_T7_T9_mT8_P12ihipStream_tbDpT10_ENKUlT_T0_E_clISt17integral_constantIbLb0EES1C_EEDaS17_S18_EUlS17_E_NS1_11comp_targetILNS1_3genE5ELNS1_11target_archE942ELNS1_3gpuE9ELNS1_3repE0EEENS1_30default_config_static_selectorELNS0_4arch9wavefront6targetE1EEEvT1_.private_seg_size, 0
	.set _ZN7rocprim17ROCPRIM_400000_NS6detail17trampoline_kernelINS0_14default_configENS1_25partition_config_selectorILNS1_17partition_subalgoE8ElNS0_10empty_typeEbEEZZNS1_14partition_implILS5_8ELb0ES3_jPlPS6_PKS6_NS0_5tupleIJS9_S6_EEENSD_IJSA_SA_EEENS0_18inequality_wrapperIZN2at6native12_GLOBAL__N_124unique_dim_cuda_templateImEESt5tupleIJNSH_6TensorESM_SM_EERKSM_lbbbEUlllE0_EEPmJS6_EEE10hipError_tPvRmT3_T4_T5_T6_T7_T9_mT8_P12ihipStream_tbDpT10_ENKUlT_T0_E_clISt17integral_constantIbLb0EES1C_EEDaS17_S18_EUlS17_E_NS1_11comp_targetILNS1_3genE5ELNS1_11target_archE942ELNS1_3gpuE9ELNS1_3repE0EEENS1_30default_config_static_selectorELNS0_4arch9wavefront6targetE1EEEvT1_.uses_vcc, 0
	.set _ZN7rocprim17ROCPRIM_400000_NS6detail17trampoline_kernelINS0_14default_configENS1_25partition_config_selectorILNS1_17partition_subalgoE8ElNS0_10empty_typeEbEEZZNS1_14partition_implILS5_8ELb0ES3_jPlPS6_PKS6_NS0_5tupleIJS9_S6_EEENSD_IJSA_SA_EEENS0_18inequality_wrapperIZN2at6native12_GLOBAL__N_124unique_dim_cuda_templateImEESt5tupleIJNSH_6TensorESM_SM_EERKSM_lbbbEUlllE0_EEPmJS6_EEE10hipError_tPvRmT3_T4_T5_T6_T7_T9_mT8_P12ihipStream_tbDpT10_ENKUlT_T0_E_clISt17integral_constantIbLb0EES1C_EEDaS17_S18_EUlS17_E_NS1_11comp_targetILNS1_3genE5ELNS1_11target_archE942ELNS1_3gpuE9ELNS1_3repE0EEENS1_30default_config_static_selectorELNS0_4arch9wavefront6targetE1EEEvT1_.uses_flat_scratch, 0
	.set _ZN7rocprim17ROCPRIM_400000_NS6detail17trampoline_kernelINS0_14default_configENS1_25partition_config_selectorILNS1_17partition_subalgoE8ElNS0_10empty_typeEbEEZZNS1_14partition_implILS5_8ELb0ES3_jPlPS6_PKS6_NS0_5tupleIJS9_S6_EEENSD_IJSA_SA_EEENS0_18inequality_wrapperIZN2at6native12_GLOBAL__N_124unique_dim_cuda_templateImEESt5tupleIJNSH_6TensorESM_SM_EERKSM_lbbbEUlllE0_EEPmJS6_EEE10hipError_tPvRmT3_T4_T5_T6_T7_T9_mT8_P12ihipStream_tbDpT10_ENKUlT_T0_E_clISt17integral_constantIbLb0EES1C_EEDaS17_S18_EUlS17_E_NS1_11comp_targetILNS1_3genE5ELNS1_11target_archE942ELNS1_3gpuE9ELNS1_3repE0EEENS1_30default_config_static_selectorELNS0_4arch9wavefront6targetE1EEEvT1_.has_dyn_sized_stack, 0
	.set _ZN7rocprim17ROCPRIM_400000_NS6detail17trampoline_kernelINS0_14default_configENS1_25partition_config_selectorILNS1_17partition_subalgoE8ElNS0_10empty_typeEbEEZZNS1_14partition_implILS5_8ELb0ES3_jPlPS6_PKS6_NS0_5tupleIJS9_S6_EEENSD_IJSA_SA_EEENS0_18inequality_wrapperIZN2at6native12_GLOBAL__N_124unique_dim_cuda_templateImEESt5tupleIJNSH_6TensorESM_SM_EERKSM_lbbbEUlllE0_EEPmJS6_EEE10hipError_tPvRmT3_T4_T5_T6_T7_T9_mT8_P12ihipStream_tbDpT10_ENKUlT_T0_E_clISt17integral_constantIbLb0EES1C_EEDaS17_S18_EUlS17_E_NS1_11comp_targetILNS1_3genE5ELNS1_11target_archE942ELNS1_3gpuE9ELNS1_3repE0EEENS1_30default_config_static_selectorELNS0_4arch9wavefront6targetE1EEEvT1_.has_recursion, 0
	.set _ZN7rocprim17ROCPRIM_400000_NS6detail17trampoline_kernelINS0_14default_configENS1_25partition_config_selectorILNS1_17partition_subalgoE8ElNS0_10empty_typeEbEEZZNS1_14partition_implILS5_8ELb0ES3_jPlPS6_PKS6_NS0_5tupleIJS9_S6_EEENSD_IJSA_SA_EEENS0_18inequality_wrapperIZN2at6native12_GLOBAL__N_124unique_dim_cuda_templateImEESt5tupleIJNSH_6TensorESM_SM_EERKSM_lbbbEUlllE0_EEPmJS6_EEE10hipError_tPvRmT3_T4_T5_T6_T7_T9_mT8_P12ihipStream_tbDpT10_ENKUlT_T0_E_clISt17integral_constantIbLb0EES1C_EEDaS17_S18_EUlS17_E_NS1_11comp_targetILNS1_3genE5ELNS1_11target_archE942ELNS1_3gpuE9ELNS1_3repE0EEENS1_30default_config_static_selectorELNS0_4arch9wavefront6targetE1EEEvT1_.has_indirect_call, 0
	.section	.AMDGPU.csdata,"",@progbits
; Kernel info:
; codeLenInByte = 0
; TotalNumSgprs: 6
; NumVgprs: 0
; NumAgprs: 0
; TotalNumVgprs: 0
; ScratchSize: 0
; MemoryBound: 0
; FloatMode: 240
; IeeeMode: 1
; LDSByteSize: 0 bytes/workgroup (compile time only)
; SGPRBlocks: 0
; VGPRBlocks: 0
; NumSGPRsForWavesPerEU: 6
; NumVGPRsForWavesPerEU: 1
; AccumOffset: 4
; Occupancy: 8
; WaveLimiterHint : 0
; COMPUTE_PGM_RSRC2:SCRATCH_EN: 0
; COMPUTE_PGM_RSRC2:USER_SGPR: 2
; COMPUTE_PGM_RSRC2:TRAP_HANDLER: 0
; COMPUTE_PGM_RSRC2:TGID_X_EN: 1
; COMPUTE_PGM_RSRC2:TGID_Y_EN: 0
; COMPUTE_PGM_RSRC2:TGID_Z_EN: 0
; COMPUTE_PGM_RSRC2:TIDIG_COMP_CNT: 0
; COMPUTE_PGM_RSRC3_GFX90A:ACCUM_OFFSET: 0
; COMPUTE_PGM_RSRC3_GFX90A:TG_SPLIT: 0
	.section	.text._ZN7rocprim17ROCPRIM_400000_NS6detail17trampoline_kernelINS0_14default_configENS1_25partition_config_selectorILNS1_17partition_subalgoE8ElNS0_10empty_typeEbEEZZNS1_14partition_implILS5_8ELb0ES3_jPlPS6_PKS6_NS0_5tupleIJS9_S6_EEENSD_IJSA_SA_EEENS0_18inequality_wrapperIZN2at6native12_GLOBAL__N_124unique_dim_cuda_templateImEESt5tupleIJNSH_6TensorESM_SM_EERKSM_lbbbEUlllE0_EEPmJS6_EEE10hipError_tPvRmT3_T4_T5_T6_T7_T9_mT8_P12ihipStream_tbDpT10_ENKUlT_T0_E_clISt17integral_constantIbLb0EES1C_EEDaS17_S18_EUlS17_E_NS1_11comp_targetILNS1_3genE4ELNS1_11target_archE910ELNS1_3gpuE8ELNS1_3repE0EEENS1_30default_config_static_selectorELNS0_4arch9wavefront6targetE1EEEvT1_,"axG",@progbits,_ZN7rocprim17ROCPRIM_400000_NS6detail17trampoline_kernelINS0_14default_configENS1_25partition_config_selectorILNS1_17partition_subalgoE8ElNS0_10empty_typeEbEEZZNS1_14partition_implILS5_8ELb0ES3_jPlPS6_PKS6_NS0_5tupleIJS9_S6_EEENSD_IJSA_SA_EEENS0_18inequality_wrapperIZN2at6native12_GLOBAL__N_124unique_dim_cuda_templateImEESt5tupleIJNSH_6TensorESM_SM_EERKSM_lbbbEUlllE0_EEPmJS6_EEE10hipError_tPvRmT3_T4_T5_T6_T7_T9_mT8_P12ihipStream_tbDpT10_ENKUlT_T0_E_clISt17integral_constantIbLb0EES1C_EEDaS17_S18_EUlS17_E_NS1_11comp_targetILNS1_3genE4ELNS1_11target_archE910ELNS1_3gpuE8ELNS1_3repE0EEENS1_30default_config_static_selectorELNS0_4arch9wavefront6targetE1EEEvT1_,comdat
	.globl	_ZN7rocprim17ROCPRIM_400000_NS6detail17trampoline_kernelINS0_14default_configENS1_25partition_config_selectorILNS1_17partition_subalgoE8ElNS0_10empty_typeEbEEZZNS1_14partition_implILS5_8ELb0ES3_jPlPS6_PKS6_NS0_5tupleIJS9_S6_EEENSD_IJSA_SA_EEENS0_18inequality_wrapperIZN2at6native12_GLOBAL__N_124unique_dim_cuda_templateImEESt5tupleIJNSH_6TensorESM_SM_EERKSM_lbbbEUlllE0_EEPmJS6_EEE10hipError_tPvRmT3_T4_T5_T6_T7_T9_mT8_P12ihipStream_tbDpT10_ENKUlT_T0_E_clISt17integral_constantIbLb0EES1C_EEDaS17_S18_EUlS17_E_NS1_11comp_targetILNS1_3genE4ELNS1_11target_archE910ELNS1_3gpuE8ELNS1_3repE0EEENS1_30default_config_static_selectorELNS0_4arch9wavefront6targetE1EEEvT1_ ; -- Begin function _ZN7rocprim17ROCPRIM_400000_NS6detail17trampoline_kernelINS0_14default_configENS1_25partition_config_selectorILNS1_17partition_subalgoE8ElNS0_10empty_typeEbEEZZNS1_14partition_implILS5_8ELb0ES3_jPlPS6_PKS6_NS0_5tupleIJS9_S6_EEENSD_IJSA_SA_EEENS0_18inequality_wrapperIZN2at6native12_GLOBAL__N_124unique_dim_cuda_templateImEESt5tupleIJNSH_6TensorESM_SM_EERKSM_lbbbEUlllE0_EEPmJS6_EEE10hipError_tPvRmT3_T4_T5_T6_T7_T9_mT8_P12ihipStream_tbDpT10_ENKUlT_T0_E_clISt17integral_constantIbLb0EES1C_EEDaS17_S18_EUlS17_E_NS1_11comp_targetILNS1_3genE4ELNS1_11target_archE910ELNS1_3gpuE8ELNS1_3repE0EEENS1_30default_config_static_selectorELNS0_4arch9wavefront6targetE1EEEvT1_
	.p2align	8
	.type	_ZN7rocprim17ROCPRIM_400000_NS6detail17trampoline_kernelINS0_14default_configENS1_25partition_config_selectorILNS1_17partition_subalgoE8ElNS0_10empty_typeEbEEZZNS1_14partition_implILS5_8ELb0ES3_jPlPS6_PKS6_NS0_5tupleIJS9_S6_EEENSD_IJSA_SA_EEENS0_18inequality_wrapperIZN2at6native12_GLOBAL__N_124unique_dim_cuda_templateImEESt5tupleIJNSH_6TensorESM_SM_EERKSM_lbbbEUlllE0_EEPmJS6_EEE10hipError_tPvRmT3_T4_T5_T6_T7_T9_mT8_P12ihipStream_tbDpT10_ENKUlT_T0_E_clISt17integral_constantIbLb0EES1C_EEDaS17_S18_EUlS17_E_NS1_11comp_targetILNS1_3genE4ELNS1_11target_archE910ELNS1_3gpuE8ELNS1_3repE0EEENS1_30default_config_static_selectorELNS0_4arch9wavefront6targetE1EEEvT1_,@function
_ZN7rocprim17ROCPRIM_400000_NS6detail17trampoline_kernelINS0_14default_configENS1_25partition_config_selectorILNS1_17partition_subalgoE8ElNS0_10empty_typeEbEEZZNS1_14partition_implILS5_8ELb0ES3_jPlPS6_PKS6_NS0_5tupleIJS9_S6_EEENSD_IJSA_SA_EEENS0_18inequality_wrapperIZN2at6native12_GLOBAL__N_124unique_dim_cuda_templateImEESt5tupleIJNSH_6TensorESM_SM_EERKSM_lbbbEUlllE0_EEPmJS6_EEE10hipError_tPvRmT3_T4_T5_T6_T7_T9_mT8_P12ihipStream_tbDpT10_ENKUlT_T0_E_clISt17integral_constantIbLb0EES1C_EEDaS17_S18_EUlS17_E_NS1_11comp_targetILNS1_3genE4ELNS1_11target_archE910ELNS1_3gpuE8ELNS1_3repE0EEENS1_30default_config_static_selectorELNS0_4arch9wavefront6targetE1EEEvT1_: ; @_ZN7rocprim17ROCPRIM_400000_NS6detail17trampoline_kernelINS0_14default_configENS1_25partition_config_selectorILNS1_17partition_subalgoE8ElNS0_10empty_typeEbEEZZNS1_14partition_implILS5_8ELb0ES3_jPlPS6_PKS6_NS0_5tupleIJS9_S6_EEENSD_IJSA_SA_EEENS0_18inequality_wrapperIZN2at6native12_GLOBAL__N_124unique_dim_cuda_templateImEESt5tupleIJNSH_6TensorESM_SM_EERKSM_lbbbEUlllE0_EEPmJS6_EEE10hipError_tPvRmT3_T4_T5_T6_T7_T9_mT8_P12ihipStream_tbDpT10_ENKUlT_T0_E_clISt17integral_constantIbLb0EES1C_EEDaS17_S18_EUlS17_E_NS1_11comp_targetILNS1_3genE4ELNS1_11target_archE910ELNS1_3gpuE8ELNS1_3repE0EEENS1_30default_config_static_selectorELNS0_4arch9wavefront6targetE1EEEvT1_
; %bb.0:
	.section	.rodata,"a",@progbits
	.p2align	6, 0x0
	.amdhsa_kernel _ZN7rocprim17ROCPRIM_400000_NS6detail17trampoline_kernelINS0_14default_configENS1_25partition_config_selectorILNS1_17partition_subalgoE8ElNS0_10empty_typeEbEEZZNS1_14partition_implILS5_8ELb0ES3_jPlPS6_PKS6_NS0_5tupleIJS9_S6_EEENSD_IJSA_SA_EEENS0_18inequality_wrapperIZN2at6native12_GLOBAL__N_124unique_dim_cuda_templateImEESt5tupleIJNSH_6TensorESM_SM_EERKSM_lbbbEUlllE0_EEPmJS6_EEE10hipError_tPvRmT3_T4_T5_T6_T7_T9_mT8_P12ihipStream_tbDpT10_ENKUlT_T0_E_clISt17integral_constantIbLb0EES1C_EEDaS17_S18_EUlS17_E_NS1_11comp_targetILNS1_3genE4ELNS1_11target_archE910ELNS1_3gpuE8ELNS1_3repE0EEENS1_30default_config_static_selectorELNS0_4arch9wavefront6targetE1EEEvT1_
		.amdhsa_group_segment_fixed_size 0
		.amdhsa_private_segment_fixed_size 0
		.amdhsa_kernarg_size 120
		.amdhsa_user_sgpr_count 2
		.amdhsa_user_sgpr_dispatch_ptr 0
		.amdhsa_user_sgpr_queue_ptr 0
		.amdhsa_user_sgpr_kernarg_segment_ptr 1
		.amdhsa_user_sgpr_dispatch_id 0
		.amdhsa_user_sgpr_kernarg_preload_length 0
		.amdhsa_user_sgpr_kernarg_preload_offset 0
		.amdhsa_user_sgpr_private_segment_size 0
		.amdhsa_uses_dynamic_stack 0
		.amdhsa_enable_private_segment 0
		.amdhsa_system_sgpr_workgroup_id_x 1
		.amdhsa_system_sgpr_workgroup_id_y 0
		.amdhsa_system_sgpr_workgroup_id_z 0
		.amdhsa_system_sgpr_workgroup_info 0
		.amdhsa_system_vgpr_workitem_id 0
		.amdhsa_next_free_vgpr 1
		.amdhsa_next_free_sgpr 0
		.amdhsa_accum_offset 4
		.amdhsa_reserve_vcc 0
		.amdhsa_float_round_mode_32 0
		.amdhsa_float_round_mode_16_64 0
		.amdhsa_float_denorm_mode_32 3
		.amdhsa_float_denorm_mode_16_64 3
		.amdhsa_dx10_clamp 1
		.amdhsa_ieee_mode 1
		.amdhsa_fp16_overflow 0
		.amdhsa_tg_split 0
		.amdhsa_exception_fp_ieee_invalid_op 0
		.amdhsa_exception_fp_denorm_src 0
		.amdhsa_exception_fp_ieee_div_zero 0
		.amdhsa_exception_fp_ieee_overflow 0
		.amdhsa_exception_fp_ieee_underflow 0
		.amdhsa_exception_fp_ieee_inexact 0
		.amdhsa_exception_int_div_zero 0
	.end_amdhsa_kernel
	.section	.text._ZN7rocprim17ROCPRIM_400000_NS6detail17trampoline_kernelINS0_14default_configENS1_25partition_config_selectorILNS1_17partition_subalgoE8ElNS0_10empty_typeEbEEZZNS1_14partition_implILS5_8ELb0ES3_jPlPS6_PKS6_NS0_5tupleIJS9_S6_EEENSD_IJSA_SA_EEENS0_18inequality_wrapperIZN2at6native12_GLOBAL__N_124unique_dim_cuda_templateImEESt5tupleIJNSH_6TensorESM_SM_EERKSM_lbbbEUlllE0_EEPmJS6_EEE10hipError_tPvRmT3_T4_T5_T6_T7_T9_mT8_P12ihipStream_tbDpT10_ENKUlT_T0_E_clISt17integral_constantIbLb0EES1C_EEDaS17_S18_EUlS17_E_NS1_11comp_targetILNS1_3genE4ELNS1_11target_archE910ELNS1_3gpuE8ELNS1_3repE0EEENS1_30default_config_static_selectorELNS0_4arch9wavefront6targetE1EEEvT1_,"axG",@progbits,_ZN7rocprim17ROCPRIM_400000_NS6detail17trampoline_kernelINS0_14default_configENS1_25partition_config_selectorILNS1_17partition_subalgoE8ElNS0_10empty_typeEbEEZZNS1_14partition_implILS5_8ELb0ES3_jPlPS6_PKS6_NS0_5tupleIJS9_S6_EEENSD_IJSA_SA_EEENS0_18inequality_wrapperIZN2at6native12_GLOBAL__N_124unique_dim_cuda_templateImEESt5tupleIJNSH_6TensorESM_SM_EERKSM_lbbbEUlllE0_EEPmJS6_EEE10hipError_tPvRmT3_T4_T5_T6_T7_T9_mT8_P12ihipStream_tbDpT10_ENKUlT_T0_E_clISt17integral_constantIbLb0EES1C_EEDaS17_S18_EUlS17_E_NS1_11comp_targetILNS1_3genE4ELNS1_11target_archE910ELNS1_3gpuE8ELNS1_3repE0EEENS1_30default_config_static_selectorELNS0_4arch9wavefront6targetE1EEEvT1_,comdat
.Lfunc_end1665:
	.size	_ZN7rocprim17ROCPRIM_400000_NS6detail17trampoline_kernelINS0_14default_configENS1_25partition_config_selectorILNS1_17partition_subalgoE8ElNS0_10empty_typeEbEEZZNS1_14partition_implILS5_8ELb0ES3_jPlPS6_PKS6_NS0_5tupleIJS9_S6_EEENSD_IJSA_SA_EEENS0_18inequality_wrapperIZN2at6native12_GLOBAL__N_124unique_dim_cuda_templateImEESt5tupleIJNSH_6TensorESM_SM_EERKSM_lbbbEUlllE0_EEPmJS6_EEE10hipError_tPvRmT3_T4_T5_T6_T7_T9_mT8_P12ihipStream_tbDpT10_ENKUlT_T0_E_clISt17integral_constantIbLb0EES1C_EEDaS17_S18_EUlS17_E_NS1_11comp_targetILNS1_3genE4ELNS1_11target_archE910ELNS1_3gpuE8ELNS1_3repE0EEENS1_30default_config_static_selectorELNS0_4arch9wavefront6targetE1EEEvT1_, .Lfunc_end1665-_ZN7rocprim17ROCPRIM_400000_NS6detail17trampoline_kernelINS0_14default_configENS1_25partition_config_selectorILNS1_17partition_subalgoE8ElNS0_10empty_typeEbEEZZNS1_14partition_implILS5_8ELb0ES3_jPlPS6_PKS6_NS0_5tupleIJS9_S6_EEENSD_IJSA_SA_EEENS0_18inequality_wrapperIZN2at6native12_GLOBAL__N_124unique_dim_cuda_templateImEESt5tupleIJNSH_6TensorESM_SM_EERKSM_lbbbEUlllE0_EEPmJS6_EEE10hipError_tPvRmT3_T4_T5_T6_T7_T9_mT8_P12ihipStream_tbDpT10_ENKUlT_T0_E_clISt17integral_constantIbLb0EES1C_EEDaS17_S18_EUlS17_E_NS1_11comp_targetILNS1_3genE4ELNS1_11target_archE910ELNS1_3gpuE8ELNS1_3repE0EEENS1_30default_config_static_selectorELNS0_4arch9wavefront6targetE1EEEvT1_
                                        ; -- End function
	.set _ZN7rocprim17ROCPRIM_400000_NS6detail17trampoline_kernelINS0_14default_configENS1_25partition_config_selectorILNS1_17partition_subalgoE8ElNS0_10empty_typeEbEEZZNS1_14partition_implILS5_8ELb0ES3_jPlPS6_PKS6_NS0_5tupleIJS9_S6_EEENSD_IJSA_SA_EEENS0_18inequality_wrapperIZN2at6native12_GLOBAL__N_124unique_dim_cuda_templateImEESt5tupleIJNSH_6TensorESM_SM_EERKSM_lbbbEUlllE0_EEPmJS6_EEE10hipError_tPvRmT3_T4_T5_T6_T7_T9_mT8_P12ihipStream_tbDpT10_ENKUlT_T0_E_clISt17integral_constantIbLb0EES1C_EEDaS17_S18_EUlS17_E_NS1_11comp_targetILNS1_3genE4ELNS1_11target_archE910ELNS1_3gpuE8ELNS1_3repE0EEENS1_30default_config_static_selectorELNS0_4arch9wavefront6targetE1EEEvT1_.num_vgpr, 0
	.set _ZN7rocprim17ROCPRIM_400000_NS6detail17trampoline_kernelINS0_14default_configENS1_25partition_config_selectorILNS1_17partition_subalgoE8ElNS0_10empty_typeEbEEZZNS1_14partition_implILS5_8ELb0ES3_jPlPS6_PKS6_NS0_5tupleIJS9_S6_EEENSD_IJSA_SA_EEENS0_18inequality_wrapperIZN2at6native12_GLOBAL__N_124unique_dim_cuda_templateImEESt5tupleIJNSH_6TensorESM_SM_EERKSM_lbbbEUlllE0_EEPmJS6_EEE10hipError_tPvRmT3_T4_T5_T6_T7_T9_mT8_P12ihipStream_tbDpT10_ENKUlT_T0_E_clISt17integral_constantIbLb0EES1C_EEDaS17_S18_EUlS17_E_NS1_11comp_targetILNS1_3genE4ELNS1_11target_archE910ELNS1_3gpuE8ELNS1_3repE0EEENS1_30default_config_static_selectorELNS0_4arch9wavefront6targetE1EEEvT1_.num_agpr, 0
	.set _ZN7rocprim17ROCPRIM_400000_NS6detail17trampoline_kernelINS0_14default_configENS1_25partition_config_selectorILNS1_17partition_subalgoE8ElNS0_10empty_typeEbEEZZNS1_14partition_implILS5_8ELb0ES3_jPlPS6_PKS6_NS0_5tupleIJS9_S6_EEENSD_IJSA_SA_EEENS0_18inequality_wrapperIZN2at6native12_GLOBAL__N_124unique_dim_cuda_templateImEESt5tupleIJNSH_6TensorESM_SM_EERKSM_lbbbEUlllE0_EEPmJS6_EEE10hipError_tPvRmT3_T4_T5_T6_T7_T9_mT8_P12ihipStream_tbDpT10_ENKUlT_T0_E_clISt17integral_constantIbLb0EES1C_EEDaS17_S18_EUlS17_E_NS1_11comp_targetILNS1_3genE4ELNS1_11target_archE910ELNS1_3gpuE8ELNS1_3repE0EEENS1_30default_config_static_selectorELNS0_4arch9wavefront6targetE1EEEvT1_.numbered_sgpr, 0
	.set _ZN7rocprim17ROCPRIM_400000_NS6detail17trampoline_kernelINS0_14default_configENS1_25partition_config_selectorILNS1_17partition_subalgoE8ElNS0_10empty_typeEbEEZZNS1_14partition_implILS5_8ELb0ES3_jPlPS6_PKS6_NS0_5tupleIJS9_S6_EEENSD_IJSA_SA_EEENS0_18inequality_wrapperIZN2at6native12_GLOBAL__N_124unique_dim_cuda_templateImEESt5tupleIJNSH_6TensorESM_SM_EERKSM_lbbbEUlllE0_EEPmJS6_EEE10hipError_tPvRmT3_T4_T5_T6_T7_T9_mT8_P12ihipStream_tbDpT10_ENKUlT_T0_E_clISt17integral_constantIbLb0EES1C_EEDaS17_S18_EUlS17_E_NS1_11comp_targetILNS1_3genE4ELNS1_11target_archE910ELNS1_3gpuE8ELNS1_3repE0EEENS1_30default_config_static_selectorELNS0_4arch9wavefront6targetE1EEEvT1_.num_named_barrier, 0
	.set _ZN7rocprim17ROCPRIM_400000_NS6detail17trampoline_kernelINS0_14default_configENS1_25partition_config_selectorILNS1_17partition_subalgoE8ElNS0_10empty_typeEbEEZZNS1_14partition_implILS5_8ELb0ES3_jPlPS6_PKS6_NS0_5tupleIJS9_S6_EEENSD_IJSA_SA_EEENS0_18inequality_wrapperIZN2at6native12_GLOBAL__N_124unique_dim_cuda_templateImEESt5tupleIJNSH_6TensorESM_SM_EERKSM_lbbbEUlllE0_EEPmJS6_EEE10hipError_tPvRmT3_T4_T5_T6_T7_T9_mT8_P12ihipStream_tbDpT10_ENKUlT_T0_E_clISt17integral_constantIbLb0EES1C_EEDaS17_S18_EUlS17_E_NS1_11comp_targetILNS1_3genE4ELNS1_11target_archE910ELNS1_3gpuE8ELNS1_3repE0EEENS1_30default_config_static_selectorELNS0_4arch9wavefront6targetE1EEEvT1_.private_seg_size, 0
	.set _ZN7rocprim17ROCPRIM_400000_NS6detail17trampoline_kernelINS0_14default_configENS1_25partition_config_selectorILNS1_17partition_subalgoE8ElNS0_10empty_typeEbEEZZNS1_14partition_implILS5_8ELb0ES3_jPlPS6_PKS6_NS0_5tupleIJS9_S6_EEENSD_IJSA_SA_EEENS0_18inequality_wrapperIZN2at6native12_GLOBAL__N_124unique_dim_cuda_templateImEESt5tupleIJNSH_6TensorESM_SM_EERKSM_lbbbEUlllE0_EEPmJS6_EEE10hipError_tPvRmT3_T4_T5_T6_T7_T9_mT8_P12ihipStream_tbDpT10_ENKUlT_T0_E_clISt17integral_constantIbLb0EES1C_EEDaS17_S18_EUlS17_E_NS1_11comp_targetILNS1_3genE4ELNS1_11target_archE910ELNS1_3gpuE8ELNS1_3repE0EEENS1_30default_config_static_selectorELNS0_4arch9wavefront6targetE1EEEvT1_.uses_vcc, 0
	.set _ZN7rocprim17ROCPRIM_400000_NS6detail17trampoline_kernelINS0_14default_configENS1_25partition_config_selectorILNS1_17partition_subalgoE8ElNS0_10empty_typeEbEEZZNS1_14partition_implILS5_8ELb0ES3_jPlPS6_PKS6_NS0_5tupleIJS9_S6_EEENSD_IJSA_SA_EEENS0_18inequality_wrapperIZN2at6native12_GLOBAL__N_124unique_dim_cuda_templateImEESt5tupleIJNSH_6TensorESM_SM_EERKSM_lbbbEUlllE0_EEPmJS6_EEE10hipError_tPvRmT3_T4_T5_T6_T7_T9_mT8_P12ihipStream_tbDpT10_ENKUlT_T0_E_clISt17integral_constantIbLb0EES1C_EEDaS17_S18_EUlS17_E_NS1_11comp_targetILNS1_3genE4ELNS1_11target_archE910ELNS1_3gpuE8ELNS1_3repE0EEENS1_30default_config_static_selectorELNS0_4arch9wavefront6targetE1EEEvT1_.uses_flat_scratch, 0
	.set _ZN7rocprim17ROCPRIM_400000_NS6detail17trampoline_kernelINS0_14default_configENS1_25partition_config_selectorILNS1_17partition_subalgoE8ElNS0_10empty_typeEbEEZZNS1_14partition_implILS5_8ELb0ES3_jPlPS6_PKS6_NS0_5tupleIJS9_S6_EEENSD_IJSA_SA_EEENS0_18inequality_wrapperIZN2at6native12_GLOBAL__N_124unique_dim_cuda_templateImEESt5tupleIJNSH_6TensorESM_SM_EERKSM_lbbbEUlllE0_EEPmJS6_EEE10hipError_tPvRmT3_T4_T5_T6_T7_T9_mT8_P12ihipStream_tbDpT10_ENKUlT_T0_E_clISt17integral_constantIbLb0EES1C_EEDaS17_S18_EUlS17_E_NS1_11comp_targetILNS1_3genE4ELNS1_11target_archE910ELNS1_3gpuE8ELNS1_3repE0EEENS1_30default_config_static_selectorELNS0_4arch9wavefront6targetE1EEEvT1_.has_dyn_sized_stack, 0
	.set _ZN7rocprim17ROCPRIM_400000_NS6detail17trampoline_kernelINS0_14default_configENS1_25partition_config_selectorILNS1_17partition_subalgoE8ElNS0_10empty_typeEbEEZZNS1_14partition_implILS5_8ELb0ES3_jPlPS6_PKS6_NS0_5tupleIJS9_S6_EEENSD_IJSA_SA_EEENS0_18inequality_wrapperIZN2at6native12_GLOBAL__N_124unique_dim_cuda_templateImEESt5tupleIJNSH_6TensorESM_SM_EERKSM_lbbbEUlllE0_EEPmJS6_EEE10hipError_tPvRmT3_T4_T5_T6_T7_T9_mT8_P12ihipStream_tbDpT10_ENKUlT_T0_E_clISt17integral_constantIbLb0EES1C_EEDaS17_S18_EUlS17_E_NS1_11comp_targetILNS1_3genE4ELNS1_11target_archE910ELNS1_3gpuE8ELNS1_3repE0EEENS1_30default_config_static_selectorELNS0_4arch9wavefront6targetE1EEEvT1_.has_recursion, 0
	.set _ZN7rocprim17ROCPRIM_400000_NS6detail17trampoline_kernelINS0_14default_configENS1_25partition_config_selectorILNS1_17partition_subalgoE8ElNS0_10empty_typeEbEEZZNS1_14partition_implILS5_8ELb0ES3_jPlPS6_PKS6_NS0_5tupleIJS9_S6_EEENSD_IJSA_SA_EEENS0_18inequality_wrapperIZN2at6native12_GLOBAL__N_124unique_dim_cuda_templateImEESt5tupleIJNSH_6TensorESM_SM_EERKSM_lbbbEUlllE0_EEPmJS6_EEE10hipError_tPvRmT3_T4_T5_T6_T7_T9_mT8_P12ihipStream_tbDpT10_ENKUlT_T0_E_clISt17integral_constantIbLb0EES1C_EEDaS17_S18_EUlS17_E_NS1_11comp_targetILNS1_3genE4ELNS1_11target_archE910ELNS1_3gpuE8ELNS1_3repE0EEENS1_30default_config_static_selectorELNS0_4arch9wavefront6targetE1EEEvT1_.has_indirect_call, 0
	.section	.AMDGPU.csdata,"",@progbits
; Kernel info:
; codeLenInByte = 0
; TotalNumSgprs: 6
; NumVgprs: 0
; NumAgprs: 0
; TotalNumVgprs: 0
; ScratchSize: 0
; MemoryBound: 0
; FloatMode: 240
; IeeeMode: 1
; LDSByteSize: 0 bytes/workgroup (compile time only)
; SGPRBlocks: 0
; VGPRBlocks: 0
; NumSGPRsForWavesPerEU: 6
; NumVGPRsForWavesPerEU: 1
; AccumOffset: 4
; Occupancy: 8
; WaveLimiterHint : 0
; COMPUTE_PGM_RSRC2:SCRATCH_EN: 0
; COMPUTE_PGM_RSRC2:USER_SGPR: 2
; COMPUTE_PGM_RSRC2:TRAP_HANDLER: 0
; COMPUTE_PGM_RSRC2:TGID_X_EN: 1
; COMPUTE_PGM_RSRC2:TGID_Y_EN: 0
; COMPUTE_PGM_RSRC2:TGID_Z_EN: 0
; COMPUTE_PGM_RSRC2:TIDIG_COMP_CNT: 0
; COMPUTE_PGM_RSRC3_GFX90A:ACCUM_OFFSET: 0
; COMPUTE_PGM_RSRC3_GFX90A:TG_SPLIT: 0
	.section	.text._ZN7rocprim17ROCPRIM_400000_NS6detail17trampoline_kernelINS0_14default_configENS1_25partition_config_selectorILNS1_17partition_subalgoE8ElNS0_10empty_typeEbEEZZNS1_14partition_implILS5_8ELb0ES3_jPlPS6_PKS6_NS0_5tupleIJS9_S6_EEENSD_IJSA_SA_EEENS0_18inequality_wrapperIZN2at6native12_GLOBAL__N_124unique_dim_cuda_templateImEESt5tupleIJNSH_6TensorESM_SM_EERKSM_lbbbEUlllE0_EEPmJS6_EEE10hipError_tPvRmT3_T4_T5_T6_T7_T9_mT8_P12ihipStream_tbDpT10_ENKUlT_T0_E_clISt17integral_constantIbLb0EES1C_EEDaS17_S18_EUlS17_E_NS1_11comp_targetILNS1_3genE3ELNS1_11target_archE908ELNS1_3gpuE7ELNS1_3repE0EEENS1_30default_config_static_selectorELNS0_4arch9wavefront6targetE1EEEvT1_,"axG",@progbits,_ZN7rocprim17ROCPRIM_400000_NS6detail17trampoline_kernelINS0_14default_configENS1_25partition_config_selectorILNS1_17partition_subalgoE8ElNS0_10empty_typeEbEEZZNS1_14partition_implILS5_8ELb0ES3_jPlPS6_PKS6_NS0_5tupleIJS9_S6_EEENSD_IJSA_SA_EEENS0_18inequality_wrapperIZN2at6native12_GLOBAL__N_124unique_dim_cuda_templateImEESt5tupleIJNSH_6TensorESM_SM_EERKSM_lbbbEUlllE0_EEPmJS6_EEE10hipError_tPvRmT3_T4_T5_T6_T7_T9_mT8_P12ihipStream_tbDpT10_ENKUlT_T0_E_clISt17integral_constantIbLb0EES1C_EEDaS17_S18_EUlS17_E_NS1_11comp_targetILNS1_3genE3ELNS1_11target_archE908ELNS1_3gpuE7ELNS1_3repE0EEENS1_30default_config_static_selectorELNS0_4arch9wavefront6targetE1EEEvT1_,comdat
	.globl	_ZN7rocprim17ROCPRIM_400000_NS6detail17trampoline_kernelINS0_14default_configENS1_25partition_config_selectorILNS1_17partition_subalgoE8ElNS0_10empty_typeEbEEZZNS1_14partition_implILS5_8ELb0ES3_jPlPS6_PKS6_NS0_5tupleIJS9_S6_EEENSD_IJSA_SA_EEENS0_18inequality_wrapperIZN2at6native12_GLOBAL__N_124unique_dim_cuda_templateImEESt5tupleIJNSH_6TensorESM_SM_EERKSM_lbbbEUlllE0_EEPmJS6_EEE10hipError_tPvRmT3_T4_T5_T6_T7_T9_mT8_P12ihipStream_tbDpT10_ENKUlT_T0_E_clISt17integral_constantIbLb0EES1C_EEDaS17_S18_EUlS17_E_NS1_11comp_targetILNS1_3genE3ELNS1_11target_archE908ELNS1_3gpuE7ELNS1_3repE0EEENS1_30default_config_static_selectorELNS0_4arch9wavefront6targetE1EEEvT1_ ; -- Begin function _ZN7rocprim17ROCPRIM_400000_NS6detail17trampoline_kernelINS0_14default_configENS1_25partition_config_selectorILNS1_17partition_subalgoE8ElNS0_10empty_typeEbEEZZNS1_14partition_implILS5_8ELb0ES3_jPlPS6_PKS6_NS0_5tupleIJS9_S6_EEENSD_IJSA_SA_EEENS0_18inequality_wrapperIZN2at6native12_GLOBAL__N_124unique_dim_cuda_templateImEESt5tupleIJNSH_6TensorESM_SM_EERKSM_lbbbEUlllE0_EEPmJS6_EEE10hipError_tPvRmT3_T4_T5_T6_T7_T9_mT8_P12ihipStream_tbDpT10_ENKUlT_T0_E_clISt17integral_constantIbLb0EES1C_EEDaS17_S18_EUlS17_E_NS1_11comp_targetILNS1_3genE3ELNS1_11target_archE908ELNS1_3gpuE7ELNS1_3repE0EEENS1_30default_config_static_selectorELNS0_4arch9wavefront6targetE1EEEvT1_
	.p2align	8
	.type	_ZN7rocprim17ROCPRIM_400000_NS6detail17trampoline_kernelINS0_14default_configENS1_25partition_config_selectorILNS1_17partition_subalgoE8ElNS0_10empty_typeEbEEZZNS1_14partition_implILS5_8ELb0ES3_jPlPS6_PKS6_NS0_5tupleIJS9_S6_EEENSD_IJSA_SA_EEENS0_18inequality_wrapperIZN2at6native12_GLOBAL__N_124unique_dim_cuda_templateImEESt5tupleIJNSH_6TensorESM_SM_EERKSM_lbbbEUlllE0_EEPmJS6_EEE10hipError_tPvRmT3_T4_T5_T6_T7_T9_mT8_P12ihipStream_tbDpT10_ENKUlT_T0_E_clISt17integral_constantIbLb0EES1C_EEDaS17_S18_EUlS17_E_NS1_11comp_targetILNS1_3genE3ELNS1_11target_archE908ELNS1_3gpuE7ELNS1_3repE0EEENS1_30default_config_static_selectorELNS0_4arch9wavefront6targetE1EEEvT1_,@function
_ZN7rocprim17ROCPRIM_400000_NS6detail17trampoline_kernelINS0_14default_configENS1_25partition_config_selectorILNS1_17partition_subalgoE8ElNS0_10empty_typeEbEEZZNS1_14partition_implILS5_8ELb0ES3_jPlPS6_PKS6_NS0_5tupleIJS9_S6_EEENSD_IJSA_SA_EEENS0_18inequality_wrapperIZN2at6native12_GLOBAL__N_124unique_dim_cuda_templateImEESt5tupleIJNSH_6TensorESM_SM_EERKSM_lbbbEUlllE0_EEPmJS6_EEE10hipError_tPvRmT3_T4_T5_T6_T7_T9_mT8_P12ihipStream_tbDpT10_ENKUlT_T0_E_clISt17integral_constantIbLb0EES1C_EEDaS17_S18_EUlS17_E_NS1_11comp_targetILNS1_3genE3ELNS1_11target_archE908ELNS1_3gpuE7ELNS1_3repE0EEENS1_30default_config_static_selectorELNS0_4arch9wavefront6targetE1EEEvT1_: ; @_ZN7rocprim17ROCPRIM_400000_NS6detail17trampoline_kernelINS0_14default_configENS1_25partition_config_selectorILNS1_17partition_subalgoE8ElNS0_10empty_typeEbEEZZNS1_14partition_implILS5_8ELb0ES3_jPlPS6_PKS6_NS0_5tupleIJS9_S6_EEENSD_IJSA_SA_EEENS0_18inequality_wrapperIZN2at6native12_GLOBAL__N_124unique_dim_cuda_templateImEESt5tupleIJNSH_6TensorESM_SM_EERKSM_lbbbEUlllE0_EEPmJS6_EEE10hipError_tPvRmT3_T4_T5_T6_T7_T9_mT8_P12ihipStream_tbDpT10_ENKUlT_T0_E_clISt17integral_constantIbLb0EES1C_EEDaS17_S18_EUlS17_E_NS1_11comp_targetILNS1_3genE3ELNS1_11target_archE908ELNS1_3gpuE7ELNS1_3repE0EEENS1_30default_config_static_selectorELNS0_4arch9wavefront6targetE1EEEvT1_
; %bb.0:
	.section	.rodata,"a",@progbits
	.p2align	6, 0x0
	.amdhsa_kernel _ZN7rocprim17ROCPRIM_400000_NS6detail17trampoline_kernelINS0_14default_configENS1_25partition_config_selectorILNS1_17partition_subalgoE8ElNS0_10empty_typeEbEEZZNS1_14partition_implILS5_8ELb0ES3_jPlPS6_PKS6_NS0_5tupleIJS9_S6_EEENSD_IJSA_SA_EEENS0_18inequality_wrapperIZN2at6native12_GLOBAL__N_124unique_dim_cuda_templateImEESt5tupleIJNSH_6TensorESM_SM_EERKSM_lbbbEUlllE0_EEPmJS6_EEE10hipError_tPvRmT3_T4_T5_T6_T7_T9_mT8_P12ihipStream_tbDpT10_ENKUlT_T0_E_clISt17integral_constantIbLb0EES1C_EEDaS17_S18_EUlS17_E_NS1_11comp_targetILNS1_3genE3ELNS1_11target_archE908ELNS1_3gpuE7ELNS1_3repE0EEENS1_30default_config_static_selectorELNS0_4arch9wavefront6targetE1EEEvT1_
		.amdhsa_group_segment_fixed_size 0
		.amdhsa_private_segment_fixed_size 0
		.amdhsa_kernarg_size 120
		.amdhsa_user_sgpr_count 2
		.amdhsa_user_sgpr_dispatch_ptr 0
		.amdhsa_user_sgpr_queue_ptr 0
		.amdhsa_user_sgpr_kernarg_segment_ptr 1
		.amdhsa_user_sgpr_dispatch_id 0
		.amdhsa_user_sgpr_kernarg_preload_length 0
		.amdhsa_user_sgpr_kernarg_preload_offset 0
		.amdhsa_user_sgpr_private_segment_size 0
		.amdhsa_uses_dynamic_stack 0
		.amdhsa_enable_private_segment 0
		.amdhsa_system_sgpr_workgroup_id_x 1
		.amdhsa_system_sgpr_workgroup_id_y 0
		.amdhsa_system_sgpr_workgroup_id_z 0
		.amdhsa_system_sgpr_workgroup_info 0
		.amdhsa_system_vgpr_workitem_id 0
		.amdhsa_next_free_vgpr 1
		.amdhsa_next_free_sgpr 0
		.amdhsa_accum_offset 4
		.amdhsa_reserve_vcc 0
		.amdhsa_float_round_mode_32 0
		.amdhsa_float_round_mode_16_64 0
		.amdhsa_float_denorm_mode_32 3
		.amdhsa_float_denorm_mode_16_64 3
		.amdhsa_dx10_clamp 1
		.amdhsa_ieee_mode 1
		.amdhsa_fp16_overflow 0
		.amdhsa_tg_split 0
		.amdhsa_exception_fp_ieee_invalid_op 0
		.amdhsa_exception_fp_denorm_src 0
		.amdhsa_exception_fp_ieee_div_zero 0
		.amdhsa_exception_fp_ieee_overflow 0
		.amdhsa_exception_fp_ieee_underflow 0
		.amdhsa_exception_fp_ieee_inexact 0
		.amdhsa_exception_int_div_zero 0
	.end_amdhsa_kernel
	.section	.text._ZN7rocprim17ROCPRIM_400000_NS6detail17trampoline_kernelINS0_14default_configENS1_25partition_config_selectorILNS1_17partition_subalgoE8ElNS0_10empty_typeEbEEZZNS1_14partition_implILS5_8ELb0ES3_jPlPS6_PKS6_NS0_5tupleIJS9_S6_EEENSD_IJSA_SA_EEENS0_18inequality_wrapperIZN2at6native12_GLOBAL__N_124unique_dim_cuda_templateImEESt5tupleIJNSH_6TensorESM_SM_EERKSM_lbbbEUlllE0_EEPmJS6_EEE10hipError_tPvRmT3_T4_T5_T6_T7_T9_mT8_P12ihipStream_tbDpT10_ENKUlT_T0_E_clISt17integral_constantIbLb0EES1C_EEDaS17_S18_EUlS17_E_NS1_11comp_targetILNS1_3genE3ELNS1_11target_archE908ELNS1_3gpuE7ELNS1_3repE0EEENS1_30default_config_static_selectorELNS0_4arch9wavefront6targetE1EEEvT1_,"axG",@progbits,_ZN7rocprim17ROCPRIM_400000_NS6detail17trampoline_kernelINS0_14default_configENS1_25partition_config_selectorILNS1_17partition_subalgoE8ElNS0_10empty_typeEbEEZZNS1_14partition_implILS5_8ELb0ES3_jPlPS6_PKS6_NS0_5tupleIJS9_S6_EEENSD_IJSA_SA_EEENS0_18inequality_wrapperIZN2at6native12_GLOBAL__N_124unique_dim_cuda_templateImEESt5tupleIJNSH_6TensorESM_SM_EERKSM_lbbbEUlllE0_EEPmJS6_EEE10hipError_tPvRmT3_T4_T5_T6_T7_T9_mT8_P12ihipStream_tbDpT10_ENKUlT_T0_E_clISt17integral_constantIbLb0EES1C_EEDaS17_S18_EUlS17_E_NS1_11comp_targetILNS1_3genE3ELNS1_11target_archE908ELNS1_3gpuE7ELNS1_3repE0EEENS1_30default_config_static_selectorELNS0_4arch9wavefront6targetE1EEEvT1_,comdat
.Lfunc_end1666:
	.size	_ZN7rocprim17ROCPRIM_400000_NS6detail17trampoline_kernelINS0_14default_configENS1_25partition_config_selectorILNS1_17partition_subalgoE8ElNS0_10empty_typeEbEEZZNS1_14partition_implILS5_8ELb0ES3_jPlPS6_PKS6_NS0_5tupleIJS9_S6_EEENSD_IJSA_SA_EEENS0_18inequality_wrapperIZN2at6native12_GLOBAL__N_124unique_dim_cuda_templateImEESt5tupleIJNSH_6TensorESM_SM_EERKSM_lbbbEUlllE0_EEPmJS6_EEE10hipError_tPvRmT3_T4_T5_T6_T7_T9_mT8_P12ihipStream_tbDpT10_ENKUlT_T0_E_clISt17integral_constantIbLb0EES1C_EEDaS17_S18_EUlS17_E_NS1_11comp_targetILNS1_3genE3ELNS1_11target_archE908ELNS1_3gpuE7ELNS1_3repE0EEENS1_30default_config_static_selectorELNS0_4arch9wavefront6targetE1EEEvT1_, .Lfunc_end1666-_ZN7rocprim17ROCPRIM_400000_NS6detail17trampoline_kernelINS0_14default_configENS1_25partition_config_selectorILNS1_17partition_subalgoE8ElNS0_10empty_typeEbEEZZNS1_14partition_implILS5_8ELb0ES3_jPlPS6_PKS6_NS0_5tupleIJS9_S6_EEENSD_IJSA_SA_EEENS0_18inequality_wrapperIZN2at6native12_GLOBAL__N_124unique_dim_cuda_templateImEESt5tupleIJNSH_6TensorESM_SM_EERKSM_lbbbEUlllE0_EEPmJS6_EEE10hipError_tPvRmT3_T4_T5_T6_T7_T9_mT8_P12ihipStream_tbDpT10_ENKUlT_T0_E_clISt17integral_constantIbLb0EES1C_EEDaS17_S18_EUlS17_E_NS1_11comp_targetILNS1_3genE3ELNS1_11target_archE908ELNS1_3gpuE7ELNS1_3repE0EEENS1_30default_config_static_selectorELNS0_4arch9wavefront6targetE1EEEvT1_
                                        ; -- End function
	.set _ZN7rocprim17ROCPRIM_400000_NS6detail17trampoline_kernelINS0_14default_configENS1_25partition_config_selectorILNS1_17partition_subalgoE8ElNS0_10empty_typeEbEEZZNS1_14partition_implILS5_8ELb0ES3_jPlPS6_PKS6_NS0_5tupleIJS9_S6_EEENSD_IJSA_SA_EEENS0_18inequality_wrapperIZN2at6native12_GLOBAL__N_124unique_dim_cuda_templateImEESt5tupleIJNSH_6TensorESM_SM_EERKSM_lbbbEUlllE0_EEPmJS6_EEE10hipError_tPvRmT3_T4_T5_T6_T7_T9_mT8_P12ihipStream_tbDpT10_ENKUlT_T0_E_clISt17integral_constantIbLb0EES1C_EEDaS17_S18_EUlS17_E_NS1_11comp_targetILNS1_3genE3ELNS1_11target_archE908ELNS1_3gpuE7ELNS1_3repE0EEENS1_30default_config_static_selectorELNS0_4arch9wavefront6targetE1EEEvT1_.num_vgpr, 0
	.set _ZN7rocprim17ROCPRIM_400000_NS6detail17trampoline_kernelINS0_14default_configENS1_25partition_config_selectorILNS1_17partition_subalgoE8ElNS0_10empty_typeEbEEZZNS1_14partition_implILS5_8ELb0ES3_jPlPS6_PKS6_NS0_5tupleIJS9_S6_EEENSD_IJSA_SA_EEENS0_18inequality_wrapperIZN2at6native12_GLOBAL__N_124unique_dim_cuda_templateImEESt5tupleIJNSH_6TensorESM_SM_EERKSM_lbbbEUlllE0_EEPmJS6_EEE10hipError_tPvRmT3_T4_T5_T6_T7_T9_mT8_P12ihipStream_tbDpT10_ENKUlT_T0_E_clISt17integral_constantIbLb0EES1C_EEDaS17_S18_EUlS17_E_NS1_11comp_targetILNS1_3genE3ELNS1_11target_archE908ELNS1_3gpuE7ELNS1_3repE0EEENS1_30default_config_static_selectorELNS0_4arch9wavefront6targetE1EEEvT1_.num_agpr, 0
	.set _ZN7rocprim17ROCPRIM_400000_NS6detail17trampoline_kernelINS0_14default_configENS1_25partition_config_selectorILNS1_17partition_subalgoE8ElNS0_10empty_typeEbEEZZNS1_14partition_implILS5_8ELb0ES3_jPlPS6_PKS6_NS0_5tupleIJS9_S6_EEENSD_IJSA_SA_EEENS0_18inequality_wrapperIZN2at6native12_GLOBAL__N_124unique_dim_cuda_templateImEESt5tupleIJNSH_6TensorESM_SM_EERKSM_lbbbEUlllE0_EEPmJS6_EEE10hipError_tPvRmT3_T4_T5_T6_T7_T9_mT8_P12ihipStream_tbDpT10_ENKUlT_T0_E_clISt17integral_constantIbLb0EES1C_EEDaS17_S18_EUlS17_E_NS1_11comp_targetILNS1_3genE3ELNS1_11target_archE908ELNS1_3gpuE7ELNS1_3repE0EEENS1_30default_config_static_selectorELNS0_4arch9wavefront6targetE1EEEvT1_.numbered_sgpr, 0
	.set _ZN7rocprim17ROCPRIM_400000_NS6detail17trampoline_kernelINS0_14default_configENS1_25partition_config_selectorILNS1_17partition_subalgoE8ElNS0_10empty_typeEbEEZZNS1_14partition_implILS5_8ELb0ES3_jPlPS6_PKS6_NS0_5tupleIJS9_S6_EEENSD_IJSA_SA_EEENS0_18inequality_wrapperIZN2at6native12_GLOBAL__N_124unique_dim_cuda_templateImEESt5tupleIJNSH_6TensorESM_SM_EERKSM_lbbbEUlllE0_EEPmJS6_EEE10hipError_tPvRmT3_T4_T5_T6_T7_T9_mT8_P12ihipStream_tbDpT10_ENKUlT_T0_E_clISt17integral_constantIbLb0EES1C_EEDaS17_S18_EUlS17_E_NS1_11comp_targetILNS1_3genE3ELNS1_11target_archE908ELNS1_3gpuE7ELNS1_3repE0EEENS1_30default_config_static_selectorELNS0_4arch9wavefront6targetE1EEEvT1_.num_named_barrier, 0
	.set _ZN7rocprim17ROCPRIM_400000_NS6detail17trampoline_kernelINS0_14default_configENS1_25partition_config_selectorILNS1_17partition_subalgoE8ElNS0_10empty_typeEbEEZZNS1_14partition_implILS5_8ELb0ES3_jPlPS6_PKS6_NS0_5tupleIJS9_S6_EEENSD_IJSA_SA_EEENS0_18inequality_wrapperIZN2at6native12_GLOBAL__N_124unique_dim_cuda_templateImEESt5tupleIJNSH_6TensorESM_SM_EERKSM_lbbbEUlllE0_EEPmJS6_EEE10hipError_tPvRmT3_T4_T5_T6_T7_T9_mT8_P12ihipStream_tbDpT10_ENKUlT_T0_E_clISt17integral_constantIbLb0EES1C_EEDaS17_S18_EUlS17_E_NS1_11comp_targetILNS1_3genE3ELNS1_11target_archE908ELNS1_3gpuE7ELNS1_3repE0EEENS1_30default_config_static_selectorELNS0_4arch9wavefront6targetE1EEEvT1_.private_seg_size, 0
	.set _ZN7rocprim17ROCPRIM_400000_NS6detail17trampoline_kernelINS0_14default_configENS1_25partition_config_selectorILNS1_17partition_subalgoE8ElNS0_10empty_typeEbEEZZNS1_14partition_implILS5_8ELb0ES3_jPlPS6_PKS6_NS0_5tupleIJS9_S6_EEENSD_IJSA_SA_EEENS0_18inequality_wrapperIZN2at6native12_GLOBAL__N_124unique_dim_cuda_templateImEESt5tupleIJNSH_6TensorESM_SM_EERKSM_lbbbEUlllE0_EEPmJS6_EEE10hipError_tPvRmT3_T4_T5_T6_T7_T9_mT8_P12ihipStream_tbDpT10_ENKUlT_T0_E_clISt17integral_constantIbLb0EES1C_EEDaS17_S18_EUlS17_E_NS1_11comp_targetILNS1_3genE3ELNS1_11target_archE908ELNS1_3gpuE7ELNS1_3repE0EEENS1_30default_config_static_selectorELNS0_4arch9wavefront6targetE1EEEvT1_.uses_vcc, 0
	.set _ZN7rocprim17ROCPRIM_400000_NS6detail17trampoline_kernelINS0_14default_configENS1_25partition_config_selectorILNS1_17partition_subalgoE8ElNS0_10empty_typeEbEEZZNS1_14partition_implILS5_8ELb0ES3_jPlPS6_PKS6_NS0_5tupleIJS9_S6_EEENSD_IJSA_SA_EEENS0_18inequality_wrapperIZN2at6native12_GLOBAL__N_124unique_dim_cuda_templateImEESt5tupleIJNSH_6TensorESM_SM_EERKSM_lbbbEUlllE0_EEPmJS6_EEE10hipError_tPvRmT3_T4_T5_T6_T7_T9_mT8_P12ihipStream_tbDpT10_ENKUlT_T0_E_clISt17integral_constantIbLb0EES1C_EEDaS17_S18_EUlS17_E_NS1_11comp_targetILNS1_3genE3ELNS1_11target_archE908ELNS1_3gpuE7ELNS1_3repE0EEENS1_30default_config_static_selectorELNS0_4arch9wavefront6targetE1EEEvT1_.uses_flat_scratch, 0
	.set _ZN7rocprim17ROCPRIM_400000_NS6detail17trampoline_kernelINS0_14default_configENS1_25partition_config_selectorILNS1_17partition_subalgoE8ElNS0_10empty_typeEbEEZZNS1_14partition_implILS5_8ELb0ES3_jPlPS6_PKS6_NS0_5tupleIJS9_S6_EEENSD_IJSA_SA_EEENS0_18inequality_wrapperIZN2at6native12_GLOBAL__N_124unique_dim_cuda_templateImEESt5tupleIJNSH_6TensorESM_SM_EERKSM_lbbbEUlllE0_EEPmJS6_EEE10hipError_tPvRmT3_T4_T5_T6_T7_T9_mT8_P12ihipStream_tbDpT10_ENKUlT_T0_E_clISt17integral_constantIbLb0EES1C_EEDaS17_S18_EUlS17_E_NS1_11comp_targetILNS1_3genE3ELNS1_11target_archE908ELNS1_3gpuE7ELNS1_3repE0EEENS1_30default_config_static_selectorELNS0_4arch9wavefront6targetE1EEEvT1_.has_dyn_sized_stack, 0
	.set _ZN7rocprim17ROCPRIM_400000_NS6detail17trampoline_kernelINS0_14default_configENS1_25partition_config_selectorILNS1_17partition_subalgoE8ElNS0_10empty_typeEbEEZZNS1_14partition_implILS5_8ELb0ES3_jPlPS6_PKS6_NS0_5tupleIJS9_S6_EEENSD_IJSA_SA_EEENS0_18inequality_wrapperIZN2at6native12_GLOBAL__N_124unique_dim_cuda_templateImEESt5tupleIJNSH_6TensorESM_SM_EERKSM_lbbbEUlllE0_EEPmJS6_EEE10hipError_tPvRmT3_T4_T5_T6_T7_T9_mT8_P12ihipStream_tbDpT10_ENKUlT_T0_E_clISt17integral_constantIbLb0EES1C_EEDaS17_S18_EUlS17_E_NS1_11comp_targetILNS1_3genE3ELNS1_11target_archE908ELNS1_3gpuE7ELNS1_3repE0EEENS1_30default_config_static_selectorELNS0_4arch9wavefront6targetE1EEEvT1_.has_recursion, 0
	.set _ZN7rocprim17ROCPRIM_400000_NS6detail17trampoline_kernelINS0_14default_configENS1_25partition_config_selectorILNS1_17partition_subalgoE8ElNS0_10empty_typeEbEEZZNS1_14partition_implILS5_8ELb0ES3_jPlPS6_PKS6_NS0_5tupleIJS9_S6_EEENSD_IJSA_SA_EEENS0_18inequality_wrapperIZN2at6native12_GLOBAL__N_124unique_dim_cuda_templateImEESt5tupleIJNSH_6TensorESM_SM_EERKSM_lbbbEUlllE0_EEPmJS6_EEE10hipError_tPvRmT3_T4_T5_T6_T7_T9_mT8_P12ihipStream_tbDpT10_ENKUlT_T0_E_clISt17integral_constantIbLb0EES1C_EEDaS17_S18_EUlS17_E_NS1_11comp_targetILNS1_3genE3ELNS1_11target_archE908ELNS1_3gpuE7ELNS1_3repE0EEENS1_30default_config_static_selectorELNS0_4arch9wavefront6targetE1EEEvT1_.has_indirect_call, 0
	.section	.AMDGPU.csdata,"",@progbits
; Kernel info:
; codeLenInByte = 0
; TotalNumSgprs: 6
; NumVgprs: 0
; NumAgprs: 0
; TotalNumVgprs: 0
; ScratchSize: 0
; MemoryBound: 0
; FloatMode: 240
; IeeeMode: 1
; LDSByteSize: 0 bytes/workgroup (compile time only)
; SGPRBlocks: 0
; VGPRBlocks: 0
; NumSGPRsForWavesPerEU: 6
; NumVGPRsForWavesPerEU: 1
; AccumOffset: 4
; Occupancy: 8
; WaveLimiterHint : 0
; COMPUTE_PGM_RSRC2:SCRATCH_EN: 0
; COMPUTE_PGM_RSRC2:USER_SGPR: 2
; COMPUTE_PGM_RSRC2:TRAP_HANDLER: 0
; COMPUTE_PGM_RSRC2:TGID_X_EN: 1
; COMPUTE_PGM_RSRC2:TGID_Y_EN: 0
; COMPUTE_PGM_RSRC2:TGID_Z_EN: 0
; COMPUTE_PGM_RSRC2:TIDIG_COMP_CNT: 0
; COMPUTE_PGM_RSRC3_GFX90A:ACCUM_OFFSET: 0
; COMPUTE_PGM_RSRC3_GFX90A:TG_SPLIT: 0
	.section	.text._ZN7rocprim17ROCPRIM_400000_NS6detail17trampoline_kernelINS0_14default_configENS1_25partition_config_selectorILNS1_17partition_subalgoE8ElNS0_10empty_typeEbEEZZNS1_14partition_implILS5_8ELb0ES3_jPlPS6_PKS6_NS0_5tupleIJS9_S6_EEENSD_IJSA_SA_EEENS0_18inequality_wrapperIZN2at6native12_GLOBAL__N_124unique_dim_cuda_templateImEESt5tupleIJNSH_6TensorESM_SM_EERKSM_lbbbEUlllE0_EEPmJS6_EEE10hipError_tPvRmT3_T4_T5_T6_T7_T9_mT8_P12ihipStream_tbDpT10_ENKUlT_T0_E_clISt17integral_constantIbLb0EES1C_EEDaS17_S18_EUlS17_E_NS1_11comp_targetILNS1_3genE2ELNS1_11target_archE906ELNS1_3gpuE6ELNS1_3repE0EEENS1_30default_config_static_selectorELNS0_4arch9wavefront6targetE1EEEvT1_,"axG",@progbits,_ZN7rocprim17ROCPRIM_400000_NS6detail17trampoline_kernelINS0_14default_configENS1_25partition_config_selectorILNS1_17partition_subalgoE8ElNS0_10empty_typeEbEEZZNS1_14partition_implILS5_8ELb0ES3_jPlPS6_PKS6_NS0_5tupleIJS9_S6_EEENSD_IJSA_SA_EEENS0_18inequality_wrapperIZN2at6native12_GLOBAL__N_124unique_dim_cuda_templateImEESt5tupleIJNSH_6TensorESM_SM_EERKSM_lbbbEUlllE0_EEPmJS6_EEE10hipError_tPvRmT3_T4_T5_T6_T7_T9_mT8_P12ihipStream_tbDpT10_ENKUlT_T0_E_clISt17integral_constantIbLb0EES1C_EEDaS17_S18_EUlS17_E_NS1_11comp_targetILNS1_3genE2ELNS1_11target_archE906ELNS1_3gpuE6ELNS1_3repE0EEENS1_30default_config_static_selectorELNS0_4arch9wavefront6targetE1EEEvT1_,comdat
	.globl	_ZN7rocprim17ROCPRIM_400000_NS6detail17trampoline_kernelINS0_14default_configENS1_25partition_config_selectorILNS1_17partition_subalgoE8ElNS0_10empty_typeEbEEZZNS1_14partition_implILS5_8ELb0ES3_jPlPS6_PKS6_NS0_5tupleIJS9_S6_EEENSD_IJSA_SA_EEENS0_18inequality_wrapperIZN2at6native12_GLOBAL__N_124unique_dim_cuda_templateImEESt5tupleIJNSH_6TensorESM_SM_EERKSM_lbbbEUlllE0_EEPmJS6_EEE10hipError_tPvRmT3_T4_T5_T6_T7_T9_mT8_P12ihipStream_tbDpT10_ENKUlT_T0_E_clISt17integral_constantIbLb0EES1C_EEDaS17_S18_EUlS17_E_NS1_11comp_targetILNS1_3genE2ELNS1_11target_archE906ELNS1_3gpuE6ELNS1_3repE0EEENS1_30default_config_static_selectorELNS0_4arch9wavefront6targetE1EEEvT1_ ; -- Begin function _ZN7rocprim17ROCPRIM_400000_NS6detail17trampoline_kernelINS0_14default_configENS1_25partition_config_selectorILNS1_17partition_subalgoE8ElNS0_10empty_typeEbEEZZNS1_14partition_implILS5_8ELb0ES3_jPlPS6_PKS6_NS0_5tupleIJS9_S6_EEENSD_IJSA_SA_EEENS0_18inequality_wrapperIZN2at6native12_GLOBAL__N_124unique_dim_cuda_templateImEESt5tupleIJNSH_6TensorESM_SM_EERKSM_lbbbEUlllE0_EEPmJS6_EEE10hipError_tPvRmT3_T4_T5_T6_T7_T9_mT8_P12ihipStream_tbDpT10_ENKUlT_T0_E_clISt17integral_constantIbLb0EES1C_EEDaS17_S18_EUlS17_E_NS1_11comp_targetILNS1_3genE2ELNS1_11target_archE906ELNS1_3gpuE6ELNS1_3repE0EEENS1_30default_config_static_selectorELNS0_4arch9wavefront6targetE1EEEvT1_
	.p2align	8
	.type	_ZN7rocprim17ROCPRIM_400000_NS6detail17trampoline_kernelINS0_14default_configENS1_25partition_config_selectorILNS1_17partition_subalgoE8ElNS0_10empty_typeEbEEZZNS1_14partition_implILS5_8ELb0ES3_jPlPS6_PKS6_NS0_5tupleIJS9_S6_EEENSD_IJSA_SA_EEENS0_18inequality_wrapperIZN2at6native12_GLOBAL__N_124unique_dim_cuda_templateImEESt5tupleIJNSH_6TensorESM_SM_EERKSM_lbbbEUlllE0_EEPmJS6_EEE10hipError_tPvRmT3_T4_T5_T6_T7_T9_mT8_P12ihipStream_tbDpT10_ENKUlT_T0_E_clISt17integral_constantIbLb0EES1C_EEDaS17_S18_EUlS17_E_NS1_11comp_targetILNS1_3genE2ELNS1_11target_archE906ELNS1_3gpuE6ELNS1_3repE0EEENS1_30default_config_static_selectorELNS0_4arch9wavefront6targetE1EEEvT1_,@function
_ZN7rocprim17ROCPRIM_400000_NS6detail17trampoline_kernelINS0_14default_configENS1_25partition_config_selectorILNS1_17partition_subalgoE8ElNS0_10empty_typeEbEEZZNS1_14partition_implILS5_8ELb0ES3_jPlPS6_PKS6_NS0_5tupleIJS9_S6_EEENSD_IJSA_SA_EEENS0_18inequality_wrapperIZN2at6native12_GLOBAL__N_124unique_dim_cuda_templateImEESt5tupleIJNSH_6TensorESM_SM_EERKSM_lbbbEUlllE0_EEPmJS6_EEE10hipError_tPvRmT3_T4_T5_T6_T7_T9_mT8_P12ihipStream_tbDpT10_ENKUlT_T0_E_clISt17integral_constantIbLb0EES1C_EEDaS17_S18_EUlS17_E_NS1_11comp_targetILNS1_3genE2ELNS1_11target_archE906ELNS1_3gpuE6ELNS1_3repE0EEENS1_30default_config_static_selectorELNS0_4arch9wavefront6targetE1EEEvT1_: ; @_ZN7rocprim17ROCPRIM_400000_NS6detail17trampoline_kernelINS0_14default_configENS1_25partition_config_selectorILNS1_17partition_subalgoE8ElNS0_10empty_typeEbEEZZNS1_14partition_implILS5_8ELb0ES3_jPlPS6_PKS6_NS0_5tupleIJS9_S6_EEENSD_IJSA_SA_EEENS0_18inequality_wrapperIZN2at6native12_GLOBAL__N_124unique_dim_cuda_templateImEESt5tupleIJNSH_6TensorESM_SM_EERKSM_lbbbEUlllE0_EEPmJS6_EEE10hipError_tPvRmT3_T4_T5_T6_T7_T9_mT8_P12ihipStream_tbDpT10_ENKUlT_T0_E_clISt17integral_constantIbLb0EES1C_EEDaS17_S18_EUlS17_E_NS1_11comp_targetILNS1_3genE2ELNS1_11target_archE906ELNS1_3gpuE6ELNS1_3repE0EEENS1_30default_config_static_selectorELNS0_4arch9wavefront6targetE1EEEvT1_
; %bb.0:
	.section	.rodata,"a",@progbits
	.p2align	6, 0x0
	.amdhsa_kernel _ZN7rocprim17ROCPRIM_400000_NS6detail17trampoline_kernelINS0_14default_configENS1_25partition_config_selectorILNS1_17partition_subalgoE8ElNS0_10empty_typeEbEEZZNS1_14partition_implILS5_8ELb0ES3_jPlPS6_PKS6_NS0_5tupleIJS9_S6_EEENSD_IJSA_SA_EEENS0_18inequality_wrapperIZN2at6native12_GLOBAL__N_124unique_dim_cuda_templateImEESt5tupleIJNSH_6TensorESM_SM_EERKSM_lbbbEUlllE0_EEPmJS6_EEE10hipError_tPvRmT3_T4_T5_T6_T7_T9_mT8_P12ihipStream_tbDpT10_ENKUlT_T0_E_clISt17integral_constantIbLb0EES1C_EEDaS17_S18_EUlS17_E_NS1_11comp_targetILNS1_3genE2ELNS1_11target_archE906ELNS1_3gpuE6ELNS1_3repE0EEENS1_30default_config_static_selectorELNS0_4arch9wavefront6targetE1EEEvT1_
		.amdhsa_group_segment_fixed_size 0
		.amdhsa_private_segment_fixed_size 0
		.amdhsa_kernarg_size 120
		.amdhsa_user_sgpr_count 2
		.amdhsa_user_sgpr_dispatch_ptr 0
		.amdhsa_user_sgpr_queue_ptr 0
		.amdhsa_user_sgpr_kernarg_segment_ptr 1
		.amdhsa_user_sgpr_dispatch_id 0
		.amdhsa_user_sgpr_kernarg_preload_length 0
		.amdhsa_user_sgpr_kernarg_preload_offset 0
		.amdhsa_user_sgpr_private_segment_size 0
		.amdhsa_uses_dynamic_stack 0
		.amdhsa_enable_private_segment 0
		.amdhsa_system_sgpr_workgroup_id_x 1
		.amdhsa_system_sgpr_workgroup_id_y 0
		.amdhsa_system_sgpr_workgroup_id_z 0
		.amdhsa_system_sgpr_workgroup_info 0
		.amdhsa_system_vgpr_workitem_id 0
		.amdhsa_next_free_vgpr 1
		.amdhsa_next_free_sgpr 0
		.amdhsa_accum_offset 4
		.amdhsa_reserve_vcc 0
		.amdhsa_float_round_mode_32 0
		.amdhsa_float_round_mode_16_64 0
		.amdhsa_float_denorm_mode_32 3
		.amdhsa_float_denorm_mode_16_64 3
		.amdhsa_dx10_clamp 1
		.amdhsa_ieee_mode 1
		.amdhsa_fp16_overflow 0
		.amdhsa_tg_split 0
		.amdhsa_exception_fp_ieee_invalid_op 0
		.amdhsa_exception_fp_denorm_src 0
		.amdhsa_exception_fp_ieee_div_zero 0
		.amdhsa_exception_fp_ieee_overflow 0
		.amdhsa_exception_fp_ieee_underflow 0
		.amdhsa_exception_fp_ieee_inexact 0
		.amdhsa_exception_int_div_zero 0
	.end_amdhsa_kernel
	.section	.text._ZN7rocprim17ROCPRIM_400000_NS6detail17trampoline_kernelINS0_14default_configENS1_25partition_config_selectorILNS1_17partition_subalgoE8ElNS0_10empty_typeEbEEZZNS1_14partition_implILS5_8ELb0ES3_jPlPS6_PKS6_NS0_5tupleIJS9_S6_EEENSD_IJSA_SA_EEENS0_18inequality_wrapperIZN2at6native12_GLOBAL__N_124unique_dim_cuda_templateImEESt5tupleIJNSH_6TensorESM_SM_EERKSM_lbbbEUlllE0_EEPmJS6_EEE10hipError_tPvRmT3_T4_T5_T6_T7_T9_mT8_P12ihipStream_tbDpT10_ENKUlT_T0_E_clISt17integral_constantIbLb0EES1C_EEDaS17_S18_EUlS17_E_NS1_11comp_targetILNS1_3genE2ELNS1_11target_archE906ELNS1_3gpuE6ELNS1_3repE0EEENS1_30default_config_static_selectorELNS0_4arch9wavefront6targetE1EEEvT1_,"axG",@progbits,_ZN7rocprim17ROCPRIM_400000_NS6detail17trampoline_kernelINS0_14default_configENS1_25partition_config_selectorILNS1_17partition_subalgoE8ElNS0_10empty_typeEbEEZZNS1_14partition_implILS5_8ELb0ES3_jPlPS6_PKS6_NS0_5tupleIJS9_S6_EEENSD_IJSA_SA_EEENS0_18inequality_wrapperIZN2at6native12_GLOBAL__N_124unique_dim_cuda_templateImEESt5tupleIJNSH_6TensorESM_SM_EERKSM_lbbbEUlllE0_EEPmJS6_EEE10hipError_tPvRmT3_T4_T5_T6_T7_T9_mT8_P12ihipStream_tbDpT10_ENKUlT_T0_E_clISt17integral_constantIbLb0EES1C_EEDaS17_S18_EUlS17_E_NS1_11comp_targetILNS1_3genE2ELNS1_11target_archE906ELNS1_3gpuE6ELNS1_3repE0EEENS1_30default_config_static_selectorELNS0_4arch9wavefront6targetE1EEEvT1_,comdat
.Lfunc_end1667:
	.size	_ZN7rocprim17ROCPRIM_400000_NS6detail17trampoline_kernelINS0_14default_configENS1_25partition_config_selectorILNS1_17partition_subalgoE8ElNS0_10empty_typeEbEEZZNS1_14partition_implILS5_8ELb0ES3_jPlPS6_PKS6_NS0_5tupleIJS9_S6_EEENSD_IJSA_SA_EEENS0_18inequality_wrapperIZN2at6native12_GLOBAL__N_124unique_dim_cuda_templateImEESt5tupleIJNSH_6TensorESM_SM_EERKSM_lbbbEUlllE0_EEPmJS6_EEE10hipError_tPvRmT3_T4_T5_T6_T7_T9_mT8_P12ihipStream_tbDpT10_ENKUlT_T0_E_clISt17integral_constantIbLb0EES1C_EEDaS17_S18_EUlS17_E_NS1_11comp_targetILNS1_3genE2ELNS1_11target_archE906ELNS1_3gpuE6ELNS1_3repE0EEENS1_30default_config_static_selectorELNS0_4arch9wavefront6targetE1EEEvT1_, .Lfunc_end1667-_ZN7rocprim17ROCPRIM_400000_NS6detail17trampoline_kernelINS0_14default_configENS1_25partition_config_selectorILNS1_17partition_subalgoE8ElNS0_10empty_typeEbEEZZNS1_14partition_implILS5_8ELb0ES3_jPlPS6_PKS6_NS0_5tupleIJS9_S6_EEENSD_IJSA_SA_EEENS0_18inequality_wrapperIZN2at6native12_GLOBAL__N_124unique_dim_cuda_templateImEESt5tupleIJNSH_6TensorESM_SM_EERKSM_lbbbEUlllE0_EEPmJS6_EEE10hipError_tPvRmT3_T4_T5_T6_T7_T9_mT8_P12ihipStream_tbDpT10_ENKUlT_T0_E_clISt17integral_constantIbLb0EES1C_EEDaS17_S18_EUlS17_E_NS1_11comp_targetILNS1_3genE2ELNS1_11target_archE906ELNS1_3gpuE6ELNS1_3repE0EEENS1_30default_config_static_selectorELNS0_4arch9wavefront6targetE1EEEvT1_
                                        ; -- End function
	.set _ZN7rocprim17ROCPRIM_400000_NS6detail17trampoline_kernelINS0_14default_configENS1_25partition_config_selectorILNS1_17partition_subalgoE8ElNS0_10empty_typeEbEEZZNS1_14partition_implILS5_8ELb0ES3_jPlPS6_PKS6_NS0_5tupleIJS9_S6_EEENSD_IJSA_SA_EEENS0_18inequality_wrapperIZN2at6native12_GLOBAL__N_124unique_dim_cuda_templateImEESt5tupleIJNSH_6TensorESM_SM_EERKSM_lbbbEUlllE0_EEPmJS6_EEE10hipError_tPvRmT3_T4_T5_T6_T7_T9_mT8_P12ihipStream_tbDpT10_ENKUlT_T0_E_clISt17integral_constantIbLb0EES1C_EEDaS17_S18_EUlS17_E_NS1_11comp_targetILNS1_3genE2ELNS1_11target_archE906ELNS1_3gpuE6ELNS1_3repE0EEENS1_30default_config_static_selectorELNS0_4arch9wavefront6targetE1EEEvT1_.num_vgpr, 0
	.set _ZN7rocprim17ROCPRIM_400000_NS6detail17trampoline_kernelINS0_14default_configENS1_25partition_config_selectorILNS1_17partition_subalgoE8ElNS0_10empty_typeEbEEZZNS1_14partition_implILS5_8ELb0ES3_jPlPS6_PKS6_NS0_5tupleIJS9_S6_EEENSD_IJSA_SA_EEENS0_18inequality_wrapperIZN2at6native12_GLOBAL__N_124unique_dim_cuda_templateImEESt5tupleIJNSH_6TensorESM_SM_EERKSM_lbbbEUlllE0_EEPmJS6_EEE10hipError_tPvRmT3_T4_T5_T6_T7_T9_mT8_P12ihipStream_tbDpT10_ENKUlT_T0_E_clISt17integral_constantIbLb0EES1C_EEDaS17_S18_EUlS17_E_NS1_11comp_targetILNS1_3genE2ELNS1_11target_archE906ELNS1_3gpuE6ELNS1_3repE0EEENS1_30default_config_static_selectorELNS0_4arch9wavefront6targetE1EEEvT1_.num_agpr, 0
	.set _ZN7rocprim17ROCPRIM_400000_NS6detail17trampoline_kernelINS0_14default_configENS1_25partition_config_selectorILNS1_17partition_subalgoE8ElNS0_10empty_typeEbEEZZNS1_14partition_implILS5_8ELb0ES3_jPlPS6_PKS6_NS0_5tupleIJS9_S6_EEENSD_IJSA_SA_EEENS0_18inequality_wrapperIZN2at6native12_GLOBAL__N_124unique_dim_cuda_templateImEESt5tupleIJNSH_6TensorESM_SM_EERKSM_lbbbEUlllE0_EEPmJS6_EEE10hipError_tPvRmT3_T4_T5_T6_T7_T9_mT8_P12ihipStream_tbDpT10_ENKUlT_T0_E_clISt17integral_constantIbLb0EES1C_EEDaS17_S18_EUlS17_E_NS1_11comp_targetILNS1_3genE2ELNS1_11target_archE906ELNS1_3gpuE6ELNS1_3repE0EEENS1_30default_config_static_selectorELNS0_4arch9wavefront6targetE1EEEvT1_.numbered_sgpr, 0
	.set _ZN7rocprim17ROCPRIM_400000_NS6detail17trampoline_kernelINS0_14default_configENS1_25partition_config_selectorILNS1_17partition_subalgoE8ElNS0_10empty_typeEbEEZZNS1_14partition_implILS5_8ELb0ES3_jPlPS6_PKS6_NS0_5tupleIJS9_S6_EEENSD_IJSA_SA_EEENS0_18inequality_wrapperIZN2at6native12_GLOBAL__N_124unique_dim_cuda_templateImEESt5tupleIJNSH_6TensorESM_SM_EERKSM_lbbbEUlllE0_EEPmJS6_EEE10hipError_tPvRmT3_T4_T5_T6_T7_T9_mT8_P12ihipStream_tbDpT10_ENKUlT_T0_E_clISt17integral_constantIbLb0EES1C_EEDaS17_S18_EUlS17_E_NS1_11comp_targetILNS1_3genE2ELNS1_11target_archE906ELNS1_3gpuE6ELNS1_3repE0EEENS1_30default_config_static_selectorELNS0_4arch9wavefront6targetE1EEEvT1_.num_named_barrier, 0
	.set _ZN7rocprim17ROCPRIM_400000_NS6detail17trampoline_kernelINS0_14default_configENS1_25partition_config_selectorILNS1_17partition_subalgoE8ElNS0_10empty_typeEbEEZZNS1_14partition_implILS5_8ELb0ES3_jPlPS6_PKS6_NS0_5tupleIJS9_S6_EEENSD_IJSA_SA_EEENS0_18inequality_wrapperIZN2at6native12_GLOBAL__N_124unique_dim_cuda_templateImEESt5tupleIJNSH_6TensorESM_SM_EERKSM_lbbbEUlllE0_EEPmJS6_EEE10hipError_tPvRmT3_T4_T5_T6_T7_T9_mT8_P12ihipStream_tbDpT10_ENKUlT_T0_E_clISt17integral_constantIbLb0EES1C_EEDaS17_S18_EUlS17_E_NS1_11comp_targetILNS1_3genE2ELNS1_11target_archE906ELNS1_3gpuE6ELNS1_3repE0EEENS1_30default_config_static_selectorELNS0_4arch9wavefront6targetE1EEEvT1_.private_seg_size, 0
	.set _ZN7rocprim17ROCPRIM_400000_NS6detail17trampoline_kernelINS0_14default_configENS1_25partition_config_selectorILNS1_17partition_subalgoE8ElNS0_10empty_typeEbEEZZNS1_14partition_implILS5_8ELb0ES3_jPlPS6_PKS6_NS0_5tupleIJS9_S6_EEENSD_IJSA_SA_EEENS0_18inequality_wrapperIZN2at6native12_GLOBAL__N_124unique_dim_cuda_templateImEESt5tupleIJNSH_6TensorESM_SM_EERKSM_lbbbEUlllE0_EEPmJS6_EEE10hipError_tPvRmT3_T4_T5_T6_T7_T9_mT8_P12ihipStream_tbDpT10_ENKUlT_T0_E_clISt17integral_constantIbLb0EES1C_EEDaS17_S18_EUlS17_E_NS1_11comp_targetILNS1_3genE2ELNS1_11target_archE906ELNS1_3gpuE6ELNS1_3repE0EEENS1_30default_config_static_selectorELNS0_4arch9wavefront6targetE1EEEvT1_.uses_vcc, 0
	.set _ZN7rocprim17ROCPRIM_400000_NS6detail17trampoline_kernelINS0_14default_configENS1_25partition_config_selectorILNS1_17partition_subalgoE8ElNS0_10empty_typeEbEEZZNS1_14partition_implILS5_8ELb0ES3_jPlPS6_PKS6_NS0_5tupleIJS9_S6_EEENSD_IJSA_SA_EEENS0_18inequality_wrapperIZN2at6native12_GLOBAL__N_124unique_dim_cuda_templateImEESt5tupleIJNSH_6TensorESM_SM_EERKSM_lbbbEUlllE0_EEPmJS6_EEE10hipError_tPvRmT3_T4_T5_T6_T7_T9_mT8_P12ihipStream_tbDpT10_ENKUlT_T0_E_clISt17integral_constantIbLb0EES1C_EEDaS17_S18_EUlS17_E_NS1_11comp_targetILNS1_3genE2ELNS1_11target_archE906ELNS1_3gpuE6ELNS1_3repE0EEENS1_30default_config_static_selectorELNS0_4arch9wavefront6targetE1EEEvT1_.uses_flat_scratch, 0
	.set _ZN7rocprim17ROCPRIM_400000_NS6detail17trampoline_kernelINS0_14default_configENS1_25partition_config_selectorILNS1_17partition_subalgoE8ElNS0_10empty_typeEbEEZZNS1_14partition_implILS5_8ELb0ES3_jPlPS6_PKS6_NS0_5tupleIJS9_S6_EEENSD_IJSA_SA_EEENS0_18inequality_wrapperIZN2at6native12_GLOBAL__N_124unique_dim_cuda_templateImEESt5tupleIJNSH_6TensorESM_SM_EERKSM_lbbbEUlllE0_EEPmJS6_EEE10hipError_tPvRmT3_T4_T5_T6_T7_T9_mT8_P12ihipStream_tbDpT10_ENKUlT_T0_E_clISt17integral_constantIbLb0EES1C_EEDaS17_S18_EUlS17_E_NS1_11comp_targetILNS1_3genE2ELNS1_11target_archE906ELNS1_3gpuE6ELNS1_3repE0EEENS1_30default_config_static_selectorELNS0_4arch9wavefront6targetE1EEEvT1_.has_dyn_sized_stack, 0
	.set _ZN7rocprim17ROCPRIM_400000_NS6detail17trampoline_kernelINS0_14default_configENS1_25partition_config_selectorILNS1_17partition_subalgoE8ElNS0_10empty_typeEbEEZZNS1_14partition_implILS5_8ELb0ES3_jPlPS6_PKS6_NS0_5tupleIJS9_S6_EEENSD_IJSA_SA_EEENS0_18inequality_wrapperIZN2at6native12_GLOBAL__N_124unique_dim_cuda_templateImEESt5tupleIJNSH_6TensorESM_SM_EERKSM_lbbbEUlllE0_EEPmJS6_EEE10hipError_tPvRmT3_T4_T5_T6_T7_T9_mT8_P12ihipStream_tbDpT10_ENKUlT_T0_E_clISt17integral_constantIbLb0EES1C_EEDaS17_S18_EUlS17_E_NS1_11comp_targetILNS1_3genE2ELNS1_11target_archE906ELNS1_3gpuE6ELNS1_3repE0EEENS1_30default_config_static_selectorELNS0_4arch9wavefront6targetE1EEEvT1_.has_recursion, 0
	.set _ZN7rocprim17ROCPRIM_400000_NS6detail17trampoline_kernelINS0_14default_configENS1_25partition_config_selectorILNS1_17partition_subalgoE8ElNS0_10empty_typeEbEEZZNS1_14partition_implILS5_8ELb0ES3_jPlPS6_PKS6_NS0_5tupleIJS9_S6_EEENSD_IJSA_SA_EEENS0_18inequality_wrapperIZN2at6native12_GLOBAL__N_124unique_dim_cuda_templateImEESt5tupleIJNSH_6TensorESM_SM_EERKSM_lbbbEUlllE0_EEPmJS6_EEE10hipError_tPvRmT3_T4_T5_T6_T7_T9_mT8_P12ihipStream_tbDpT10_ENKUlT_T0_E_clISt17integral_constantIbLb0EES1C_EEDaS17_S18_EUlS17_E_NS1_11comp_targetILNS1_3genE2ELNS1_11target_archE906ELNS1_3gpuE6ELNS1_3repE0EEENS1_30default_config_static_selectorELNS0_4arch9wavefront6targetE1EEEvT1_.has_indirect_call, 0
	.section	.AMDGPU.csdata,"",@progbits
; Kernel info:
; codeLenInByte = 0
; TotalNumSgprs: 6
; NumVgprs: 0
; NumAgprs: 0
; TotalNumVgprs: 0
; ScratchSize: 0
; MemoryBound: 0
; FloatMode: 240
; IeeeMode: 1
; LDSByteSize: 0 bytes/workgroup (compile time only)
; SGPRBlocks: 0
; VGPRBlocks: 0
; NumSGPRsForWavesPerEU: 6
; NumVGPRsForWavesPerEU: 1
; AccumOffset: 4
; Occupancy: 8
; WaveLimiterHint : 0
; COMPUTE_PGM_RSRC2:SCRATCH_EN: 0
; COMPUTE_PGM_RSRC2:USER_SGPR: 2
; COMPUTE_PGM_RSRC2:TRAP_HANDLER: 0
; COMPUTE_PGM_RSRC2:TGID_X_EN: 1
; COMPUTE_PGM_RSRC2:TGID_Y_EN: 0
; COMPUTE_PGM_RSRC2:TGID_Z_EN: 0
; COMPUTE_PGM_RSRC2:TIDIG_COMP_CNT: 0
; COMPUTE_PGM_RSRC3_GFX90A:ACCUM_OFFSET: 0
; COMPUTE_PGM_RSRC3_GFX90A:TG_SPLIT: 0
	.section	.text._ZN7rocprim17ROCPRIM_400000_NS6detail17trampoline_kernelINS0_14default_configENS1_25partition_config_selectorILNS1_17partition_subalgoE8ElNS0_10empty_typeEbEEZZNS1_14partition_implILS5_8ELb0ES3_jPlPS6_PKS6_NS0_5tupleIJS9_S6_EEENSD_IJSA_SA_EEENS0_18inequality_wrapperIZN2at6native12_GLOBAL__N_124unique_dim_cuda_templateImEESt5tupleIJNSH_6TensorESM_SM_EERKSM_lbbbEUlllE0_EEPmJS6_EEE10hipError_tPvRmT3_T4_T5_T6_T7_T9_mT8_P12ihipStream_tbDpT10_ENKUlT_T0_E_clISt17integral_constantIbLb0EES1C_EEDaS17_S18_EUlS17_E_NS1_11comp_targetILNS1_3genE10ELNS1_11target_archE1200ELNS1_3gpuE4ELNS1_3repE0EEENS1_30default_config_static_selectorELNS0_4arch9wavefront6targetE1EEEvT1_,"axG",@progbits,_ZN7rocprim17ROCPRIM_400000_NS6detail17trampoline_kernelINS0_14default_configENS1_25partition_config_selectorILNS1_17partition_subalgoE8ElNS0_10empty_typeEbEEZZNS1_14partition_implILS5_8ELb0ES3_jPlPS6_PKS6_NS0_5tupleIJS9_S6_EEENSD_IJSA_SA_EEENS0_18inequality_wrapperIZN2at6native12_GLOBAL__N_124unique_dim_cuda_templateImEESt5tupleIJNSH_6TensorESM_SM_EERKSM_lbbbEUlllE0_EEPmJS6_EEE10hipError_tPvRmT3_T4_T5_T6_T7_T9_mT8_P12ihipStream_tbDpT10_ENKUlT_T0_E_clISt17integral_constantIbLb0EES1C_EEDaS17_S18_EUlS17_E_NS1_11comp_targetILNS1_3genE10ELNS1_11target_archE1200ELNS1_3gpuE4ELNS1_3repE0EEENS1_30default_config_static_selectorELNS0_4arch9wavefront6targetE1EEEvT1_,comdat
	.globl	_ZN7rocprim17ROCPRIM_400000_NS6detail17trampoline_kernelINS0_14default_configENS1_25partition_config_selectorILNS1_17partition_subalgoE8ElNS0_10empty_typeEbEEZZNS1_14partition_implILS5_8ELb0ES3_jPlPS6_PKS6_NS0_5tupleIJS9_S6_EEENSD_IJSA_SA_EEENS0_18inequality_wrapperIZN2at6native12_GLOBAL__N_124unique_dim_cuda_templateImEESt5tupleIJNSH_6TensorESM_SM_EERKSM_lbbbEUlllE0_EEPmJS6_EEE10hipError_tPvRmT3_T4_T5_T6_T7_T9_mT8_P12ihipStream_tbDpT10_ENKUlT_T0_E_clISt17integral_constantIbLb0EES1C_EEDaS17_S18_EUlS17_E_NS1_11comp_targetILNS1_3genE10ELNS1_11target_archE1200ELNS1_3gpuE4ELNS1_3repE0EEENS1_30default_config_static_selectorELNS0_4arch9wavefront6targetE1EEEvT1_ ; -- Begin function _ZN7rocprim17ROCPRIM_400000_NS6detail17trampoline_kernelINS0_14default_configENS1_25partition_config_selectorILNS1_17partition_subalgoE8ElNS0_10empty_typeEbEEZZNS1_14partition_implILS5_8ELb0ES3_jPlPS6_PKS6_NS0_5tupleIJS9_S6_EEENSD_IJSA_SA_EEENS0_18inequality_wrapperIZN2at6native12_GLOBAL__N_124unique_dim_cuda_templateImEESt5tupleIJNSH_6TensorESM_SM_EERKSM_lbbbEUlllE0_EEPmJS6_EEE10hipError_tPvRmT3_T4_T5_T6_T7_T9_mT8_P12ihipStream_tbDpT10_ENKUlT_T0_E_clISt17integral_constantIbLb0EES1C_EEDaS17_S18_EUlS17_E_NS1_11comp_targetILNS1_3genE10ELNS1_11target_archE1200ELNS1_3gpuE4ELNS1_3repE0EEENS1_30default_config_static_selectorELNS0_4arch9wavefront6targetE1EEEvT1_
	.p2align	8
	.type	_ZN7rocprim17ROCPRIM_400000_NS6detail17trampoline_kernelINS0_14default_configENS1_25partition_config_selectorILNS1_17partition_subalgoE8ElNS0_10empty_typeEbEEZZNS1_14partition_implILS5_8ELb0ES3_jPlPS6_PKS6_NS0_5tupleIJS9_S6_EEENSD_IJSA_SA_EEENS0_18inequality_wrapperIZN2at6native12_GLOBAL__N_124unique_dim_cuda_templateImEESt5tupleIJNSH_6TensorESM_SM_EERKSM_lbbbEUlllE0_EEPmJS6_EEE10hipError_tPvRmT3_T4_T5_T6_T7_T9_mT8_P12ihipStream_tbDpT10_ENKUlT_T0_E_clISt17integral_constantIbLb0EES1C_EEDaS17_S18_EUlS17_E_NS1_11comp_targetILNS1_3genE10ELNS1_11target_archE1200ELNS1_3gpuE4ELNS1_3repE0EEENS1_30default_config_static_selectorELNS0_4arch9wavefront6targetE1EEEvT1_,@function
_ZN7rocprim17ROCPRIM_400000_NS6detail17trampoline_kernelINS0_14default_configENS1_25partition_config_selectorILNS1_17partition_subalgoE8ElNS0_10empty_typeEbEEZZNS1_14partition_implILS5_8ELb0ES3_jPlPS6_PKS6_NS0_5tupleIJS9_S6_EEENSD_IJSA_SA_EEENS0_18inequality_wrapperIZN2at6native12_GLOBAL__N_124unique_dim_cuda_templateImEESt5tupleIJNSH_6TensorESM_SM_EERKSM_lbbbEUlllE0_EEPmJS6_EEE10hipError_tPvRmT3_T4_T5_T6_T7_T9_mT8_P12ihipStream_tbDpT10_ENKUlT_T0_E_clISt17integral_constantIbLb0EES1C_EEDaS17_S18_EUlS17_E_NS1_11comp_targetILNS1_3genE10ELNS1_11target_archE1200ELNS1_3gpuE4ELNS1_3repE0EEENS1_30default_config_static_selectorELNS0_4arch9wavefront6targetE1EEEvT1_: ; @_ZN7rocprim17ROCPRIM_400000_NS6detail17trampoline_kernelINS0_14default_configENS1_25partition_config_selectorILNS1_17partition_subalgoE8ElNS0_10empty_typeEbEEZZNS1_14partition_implILS5_8ELb0ES3_jPlPS6_PKS6_NS0_5tupleIJS9_S6_EEENSD_IJSA_SA_EEENS0_18inequality_wrapperIZN2at6native12_GLOBAL__N_124unique_dim_cuda_templateImEESt5tupleIJNSH_6TensorESM_SM_EERKSM_lbbbEUlllE0_EEPmJS6_EEE10hipError_tPvRmT3_T4_T5_T6_T7_T9_mT8_P12ihipStream_tbDpT10_ENKUlT_T0_E_clISt17integral_constantIbLb0EES1C_EEDaS17_S18_EUlS17_E_NS1_11comp_targetILNS1_3genE10ELNS1_11target_archE1200ELNS1_3gpuE4ELNS1_3repE0EEENS1_30default_config_static_selectorELNS0_4arch9wavefront6targetE1EEEvT1_
; %bb.0:
	.section	.rodata,"a",@progbits
	.p2align	6, 0x0
	.amdhsa_kernel _ZN7rocprim17ROCPRIM_400000_NS6detail17trampoline_kernelINS0_14default_configENS1_25partition_config_selectorILNS1_17partition_subalgoE8ElNS0_10empty_typeEbEEZZNS1_14partition_implILS5_8ELb0ES3_jPlPS6_PKS6_NS0_5tupleIJS9_S6_EEENSD_IJSA_SA_EEENS0_18inequality_wrapperIZN2at6native12_GLOBAL__N_124unique_dim_cuda_templateImEESt5tupleIJNSH_6TensorESM_SM_EERKSM_lbbbEUlllE0_EEPmJS6_EEE10hipError_tPvRmT3_T4_T5_T6_T7_T9_mT8_P12ihipStream_tbDpT10_ENKUlT_T0_E_clISt17integral_constantIbLb0EES1C_EEDaS17_S18_EUlS17_E_NS1_11comp_targetILNS1_3genE10ELNS1_11target_archE1200ELNS1_3gpuE4ELNS1_3repE0EEENS1_30default_config_static_selectorELNS0_4arch9wavefront6targetE1EEEvT1_
		.amdhsa_group_segment_fixed_size 0
		.amdhsa_private_segment_fixed_size 0
		.amdhsa_kernarg_size 120
		.amdhsa_user_sgpr_count 2
		.amdhsa_user_sgpr_dispatch_ptr 0
		.amdhsa_user_sgpr_queue_ptr 0
		.amdhsa_user_sgpr_kernarg_segment_ptr 1
		.amdhsa_user_sgpr_dispatch_id 0
		.amdhsa_user_sgpr_kernarg_preload_length 0
		.amdhsa_user_sgpr_kernarg_preload_offset 0
		.amdhsa_user_sgpr_private_segment_size 0
		.amdhsa_uses_dynamic_stack 0
		.amdhsa_enable_private_segment 0
		.amdhsa_system_sgpr_workgroup_id_x 1
		.amdhsa_system_sgpr_workgroup_id_y 0
		.amdhsa_system_sgpr_workgroup_id_z 0
		.amdhsa_system_sgpr_workgroup_info 0
		.amdhsa_system_vgpr_workitem_id 0
		.amdhsa_next_free_vgpr 1
		.amdhsa_next_free_sgpr 0
		.amdhsa_accum_offset 4
		.amdhsa_reserve_vcc 0
		.amdhsa_float_round_mode_32 0
		.amdhsa_float_round_mode_16_64 0
		.amdhsa_float_denorm_mode_32 3
		.amdhsa_float_denorm_mode_16_64 3
		.amdhsa_dx10_clamp 1
		.amdhsa_ieee_mode 1
		.amdhsa_fp16_overflow 0
		.amdhsa_tg_split 0
		.amdhsa_exception_fp_ieee_invalid_op 0
		.amdhsa_exception_fp_denorm_src 0
		.amdhsa_exception_fp_ieee_div_zero 0
		.amdhsa_exception_fp_ieee_overflow 0
		.amdhsa_exception_fp_ieee_underflow 0
		.amdhsa_exception_fp_ieee_inexact 0
		.amdhsa_exception_int_div_zero 0
	.end_amdhsa_kernel
	.section	.text._ZN7rocprim17ROCPRIM_400000_NS6detail17trampoline_kernelINS0_14default_configENS1_25partition_config_selectorILNS1_17partition_subalgoE8ElNS0_10empty_typeEbEEZZNS1_14partition_implILS5_8ELb0ES3_jPlPS6_PKS6_NS0_5tupleIJS9_S6_EEENSD_IJSA_SA_EEENS0_18inequality_wrapperIZN2at6native12_GLOBAL__N_124unique_dim_cuda_templateImEESt5tupleIJNSH_6TensorESM_SM_EERKSM_lbbbEUlllE0_EEPmJS6_EEE10hipError_tPvRmT3_T4_T5_T6_T7_T9_mT8_P12ihipStream_tbDpT10_ENKUlT_T0_E_clISt17integral_constantIbLb0EES1C_EEDaS17_S18_EUlS17_E_NS1_11comp_targetILNS1_3genE10ELNS1_11target_archE1200ELNS1_3gpuE4ELNS1_3repE0EEENS1_30default_config_static_selectorELNS0_4arch9wavefront6targetE1EEEvT1_,"axG",@progbits,_ZN7rocprim17ROCPRIM_400000_NS6detail17trampoline_kernelINS0_14default_configENS1_25partition_config_selectorILNS1_17partition_subalgoE8ElNS0_10empty_typeEbEEZZNS1_14partition_implILS5_8ELb0ES3_jPlPS6_PKS6_NS0_5tupleIJS9_S6_EEENSD_IJSA_SA_EEENS0_18inequality_wrapperIZN2at6native12_GLOBAL__N_124unique_dim_cuda_templateImEESt5tupleIJNSH_6TensorESM_SM_EERKSM_lbbbEUlllE0_EEPmJS6_EEE10hipError_tPvRmT3_T4_T5_T6_T7_T9_mT8_P12ihipStream_tbDpT10_ENKUlT_T0_E_clISt17integral_constantIbLb0EES1C_EEDaS17_S18_EUlS17_E_NS1_11comp_targetILNS1_3genE10ELNS1_11target_archE1200ELNS1_3gpuE4ELNS1_3repE0EEENS1_30default_config_static_selectorELNS0_4arch9wavefront6targetE1EEEvT1_,comdat
.Lfunc_end1668:
	.size	_ZN7rocprim17ROCPRIM_400000_NS6detail17trampoline_kernelINS0_14default_configENS1_25partition_config_selectorILNS1_17partition_subalgoE8ElNS0_10empty_typeEbEEZZNS1_14partition_implILS5_8ELb0ES3_jPlPS6_PKS6_NS0_5tupleIJS9_S6_EEENSD_IJSA_SA_EEENS0_18inequality_wrapperIZN2at6native12_GLOBAL__N_124unique_dim_cuda_templateImEESt5tupleIJNSH_6TensorESM_SM_EERKSM_lbbbEUlllE0_EEPmJS6_EEE10hipError_tPvRmT3_T4_T5_T6_T7_T9_mT8_P12ihipStream_tbDpT10_ENKUlT_T0_E_clISt17integral_constantIbLb0EES1C_EEDaS17_S18_EUlS17_E_NS1_11comp_targetILNS1_3genE10ELNS1_11target_archE1200ELNS1_3gpuE4ELNS1_3repE0EEENS1_30default_config_static_selectorELNS0_4arch9wavefront6targetE1EEEvT1_, .Lfunc_end1668-_ZN7rocprim17ROCPRIM_400000_NS6detail17trampoline_kernelINS0_14default_configENS1_25partition_config_selectorILNS1_17partition_subalgoE8ElNS0_10empty_typeEbEEZZNS1_14partition_implILS5_8ELb0ES3_jPlPS6_PKS6_NS0_5tupleIJS9_S6_EEENSD_IJSA_SA_EEENS0_18inequality_wrapperIZN2at6native12_GLOBAL__N_124unique_dim_cuda_templateImEESt5tupleIJNSH_6TensorESM_SM_EERKSM_lbbbEUlllE0_EEPmJS6_EEE10hipError_tPvRmT3_T4_T5_T6_T7_T9_mT8_P12ihipStream_tbDpT10_ENKUlT_T0_E_clISt17integral_constantIbLb0EES1C_EEDaS17_S18_EUlS17_E_NS1_11comp_targetILNS1_3genE10ELNS1_11target_archE1200ELNS1_3gpuE4ELNS1_3repE0EEENS1_30default_config_static_selectorELNS0_4arch9wavefront6targetE1EEEvT1_
                                        ; -- End function
	.set _ZN7rocprim17ROCPRIM_400000_NS6detail17trampoline_kernelINS0_14default_configENS1_25partition_config_selectorILNS1_17partition_subalgoE8ElNS0_10empty_typeEbEEZZNS1_14partition_implILS5_8ELb0ES3_jPlPS6_PKS6_NS0_5tupleIJS9_S6_EEENSD_IJSA_SA_EEENS0_18inequality_wrapperIZN2at6native12_GLOBAL__N_124unique_dim_cuda_templateImEESt5tupleIJNSH_6TensorESM_SM_EERKSM_lbbbEUlllE0_EEPmJS6_EEE10hipError_tPvRmT3_T4_T5_T6_T7_T9_mT8_P12ihipStream_tbDpT10_ENKUlT_T0_E_clISt17integral_constantIbLb0EES1C_EEDaS17_S18_EUlS17_E_NS1_11comp_targetILNS1_3genE10ELNS1_11target_archE1200ELNS1_3gpuE4ELNS1_3repE0EEENS1_30default_config_static_selectorELNS0_4arch9wavefront6targetE1EEEvT1_.num_vgpr, 0
	.set _ZN7rocprim17ROCPRIM_400000_NS6detail17trampoline_kernelINS0_14default_configENS1_25partition_config_selectorILNS1_17partition_subalgoE8ElNS0_10empty_typeEbEEZZNS1_14partition_implILS5_8ELb0ES3_jPlPS6_PKS6_NS0_5tupleIJS9_S6_EEENSD_IJSA_SA_EEENS0_18inequality_wrapperIZN2at6native12_GLOBAL__N_124unique_dim_cuda_templateImEESt5tupleIJNSH_6TensorESM_SM_EERKSM_lbbbEUlllE0_EEPmJS6_EEE10hipError_tPvRmT3_T4_T5_T6_T7_T9_mT8_P12ihipStream_tbDpT10_ENKUlT_T0_E_clISt17integral_constantIbLb0EES1C_EEDaS17_S18_EUlS17_E_NS1_11comp_targetILNS1_3genE10ELNS1_11target_archE1200ELNS1_3gpuE4ELNS1_3repE0EEENS1_30default_config_static_selectorELNS0_4arch9wavefront6targetE1EEEvT1_.num_agpr, 0
	.set _ZN7rocprim17ROCPRIM_400000_NS6detail17trampoline_kernelINS0_14default_configENS1_25partition_config_selectorILNS1_17partition_subalgoE8ElNS0_10empty_typeEbEEZZNS1_14partition_implILS5_8ELb0ES3_jPlPS6_PKS6_NS0_5tupleIJS9_S6_EEENSD_IJSA_SA_EEENS0_18inequality_wrapperIZN2at6native12_GLOBAL__N_124unique_dim_cuda_templateImEESt5tupleIJNSH_6TensorESM_SM_EERKSM_lbbbEUlllE0_EEPmJS6_EEE10hipError_tPvRmT3_T4_T5_T6_T7_T9_mT8_P12ihipStream_tbDpT10_ENKUlT_T0_E_clISt17integral_constantIbLb0EES1C_EEDaS17_S18_EUlS17_E_NS1_11comp_targetILNS1_3genE10ELNS1_11target_archE1200ELNS1_3gpuE4ELNS1_3repE0EEENS1_30default_config_static_selectorELNS0_4arch9wavefront6targetE1EEEvT1_.numbered_sgpr, 0
	.set _ZN7rocprim17ROCPRIM_400000_NS6detail17trampoline_kernelINS0_14default_configENS1_25partition_config_selectorILNS1_17partition_subalgoE8ElNS0_10empty_typeEbEEZZNS1_14partition_implILS5_8ELb0ES3_jPlPS6_PKS6_NS0_5tupleIJS9_S6_EEENSD_IJSA_SA_EEENS0_18inequality_wrapperIZN2at6native12_GLOBAL__N_124unique_dim_cuda_templateImEESt5tupleIJNSH_6TensorESM_SM_EERKSM_lbbbEUlllE0_EEPmJS6_EEE10hipError_tPvRmT3_T4_T5_T6_T7_T9_mT8_P12ihipStream_tbDpT10_ENKUlT_T0_E_clISt17integral_constantIbLb0EES1C_EEDaS17_S18_EUlS17_E_NS1_11comp_targetILNS1_3genE10ELNS1_11target_archE1200ELNS1_3gpuE4ELNS1_3repE0EEENS1_30default_config_static_selectorELNS0_4arch9wavefront6targetE1EEEvT1_.num_named_barrier, 0
	.set _ZN7rocprim17ROCPRIM_400000_NS6detail17trampoline_kernelINS0_14default_configENS1_25partition_config_selectorILNS1_17partition_subalgoE8ElNS0_10empty_typeEbEEZZNS1_14partition_implILS5_8ELb0ES3_jPlPS6_PKS6_NS0_5tupleIJS9_S6_EEENSD_IJSA_SA_EEENS0_18inequality_wrapperIZN2at6native12_GLOBAL__N_124unique_dim_cuda_templateImEESt5tupleIJNSH_6TensorESM_SM_EERKSM_lbbbEUlllE0_EEPmJS6_EEE10hipError_tPvRmT3_T4_T5_T6_T7_T9_mT8_P12ihipStream_tbDpT10_ENKUlT_T0_E_clISt17integral_constantIbLb0EES1C_EEDaS17_S18_EUlS17_E_NS1_11comp_targetILNS1_3genE10ELNS1_11target_archE1200ELNS1_3gpuE4ELNS1_3repE0EEENS1_30default_config_static_selectorELNS0_4arch9wavefront6targetE1EEEvT1_.private_seg_size, 0
	.set _ZN7rocprim17ROCPRIM_400000_NS6detail17trampoline_kernelINS0_14default_configENS1_25partition_config_selectorILNS1_17partition_subalgoE8ElNS0_10empty_typeEbEEZZNS1_14partition_implILS5_8ELb0ES3_jPlPS6_PKS6_NS0_5tupleIJS9_S6_EEENSD_IJSA_SA_EEENS0_18inequality_wrapperIZN2at6native12_GLOBAL__N_124unique_dim_cuda_templateImEESt5tupleIJNSH_6TensorESM_SM_EERKSM_lbbbEUlllE0_EEPmJS6_EEE10hipError_tPvRmT3_T4_T5_T6_T7_T9_mT8_P12ihipStream_tbDpT10_ENKUlT_T0_E_clISt17integral_constantIbLb0EES1C_EEDaS17_S18_EUlS17_E_NS1_11comp_targetILNS1_3genE10ELNS1_11target_archE1200ELNS1_3gpuE4ELNS1_3repE0EEENS1_30default_config_static_selectorELNS0_4arch9wavefront6targetE1EEEvT1_.uses_vcc, 0
	.set _ZN7rocprim17ROCPRIM_400000_NS6detail17trampoline_kernelINS0_14default_configENS1_25partition_config_selectorILNS1_17partition_subalgoE8ElNS0_10empty_typeEbEEZZNS1_14partition_implILS5_8ELb0ES3_jPlPS6_PKS6_NS0_5tupleIJS9_S6_EEENSD_IJSA_SA_EEENS0_18inequality_wrapperIZN2at6native12_GLOBAL__N_124unique_dim_cuda_templateImEESt5tupleIJNSH_6TensorESM_SM_EERKSM_lbbbEUlllE0_EEPmJS6_EEE10hipError_tPvRmT3_T4_T5_T6_T7_T9_mT8_P12ihipStream_tbDpT10_ENKUlT_T0_E_clISt17integral_constantIbLb0EES1C_EEDaS17_S18_EUlS17_E_NS1_11comp_targetILNS1_3genE10ELNS1_11target_archE1200ELNS1_3gpuE4ELNS1_3repE0EEENS1_30default_config_static_selectorELNS0_4arch9wavefront6targetE1EEEvT1_.uses_flat_scratch, 0
	.set _ZN7rocprim17ROCPRIM_400000_NS6detail17trampoline_kernelINS0_14default_configENS1_25partition_config_selectorILNS1_17partition_subalgoE8ElNS0_10empty_typeEbEEZZNS1_14partition_implILS5_8ELb0ES3_jPlPS6_PKS6_NS0_5tupleIJS9_S6_EEENSD_IJSA_SA_EEENS0_18inequality_wrapperIZN2at6native12_GLOBAL__N_124unique_dim_cuda_templateImEESt5tupleIJNSH_6TensorESM_SM_EERKSM_lbbbEUlllE0_EEPmJS6_EEE10hipError_tPvRmT3_T4_T5_T6_T7_T9_mT8_P12ihipStream_tbDpT10_ENKUlT_T0_E_clISt17integral_constantIbLb0EES1C_EEDaS17_S18_EUlS17_E_NS1_11comp_targetILNS1_3genE10ELNS1_11target_archE1200ELNS1_3gpuE4ELNS1_3repE0EEENS1_30default_config_static_selectorELNS0_4arch9wavefront6targetE1EEEvT1_.has_dyn_sized_stack, 0
	.set _ZN7rocprim17ROCPRIM_400000_NS6detail17trampoline_kernelINS0_14default_configENS1_25partition_config_selectorILNS1_17partition_subalgoE8ElNS0_10empty_typeEbEEZZNS1_14partition_implILS5_8ELb0ES3_jPlPS6_PKS6_NS0_5tupleIJS9_S6_EEENSD_IJSA_SA_EEENS0_18inequality_wrapperIZN2at6native12_GLOBAL__N_124unique_dim_cuda_templateImEESt5tupleIJNSH_6TensorESM_SM_EERKSM_lbbbEUlllE0_EEPmJS6_EEE10hipError_tPvRmT3_T4_T5_T6_T7_T9_mT8_P12ihipStream_tbDpT10_ENKUlT_T0_E_clISt17integral_constantIbLb0EES1C_EEDaS17_S18_EUlS17_E_NS1_11comp_targetILNS1_3genE10ELNS1_11target_archE1200ELNS1_3gpuE4ELNS1_3repE0EEENS1_30default_config_static_selectorELNS0_4arch9wavefront6targetE1EEEvT1_.has_recursion, 0
	.set _ZN7rocprim17ROCPRIM_400000_NS6detail17trampoline_kernelINS0_14default_configENS1_25partition_config_selectorILNS1_17partition_subalgoE8ElNS0_10empty_typeEbEEZZNS1_14partition_implILS5_8ELb0ES3_jPlPS6_PKS6_NS0_5tupleIJS9_S6_EEENSD_IJSA_SA_EEENS0_18inequality_wrapperIZN2at6native12_GLOBAL__N_124unique_dim_cuda_templateImEESt5tupleIJNSH_6TensorESM_SM_EERKSM_lbbbEUlllE0_EEPmJS6_EEE10hipError_tPvRmT3_T4_T5_T6_T7_T9_mT8_P12ihipStream_tbDpT10_ENKUlT_T0_E_clISt17integral_constantIbLb0EES1C_EEDaS17_S18_EUlS17_E_NS1_11comp_targetILNS1_3genE10ELNS1_11target_archE1200ELNS1_3gpuE4ELNS1_3repE0EEENS1_30default_config_static_selectorELNS0_4arch9wavefront6targetE1EEEvT1_.has_indirect_call, 0
	.section	.AMDGPU.csdata,"",@progbits
; Kernel info:
; codeLenInByte = 0
; TotalNumSgprs: 6
; NumVgprs: 0
; NumAgprs: 0
; TotalNumVgprs: 0
; ScratchSize: 0
; MemoryBound: 0
; FloatMode: 240
; IeeeMode: 1
; LDSByteSize: 0 bytes/workgroup (compile time only)
; SGPRBlocks: 0
; VGPRBlocks: 0
; NumSGPRsForWavesPerEU: 6
; NumVGPRsForWavesPerEU: 1
; AccumOffset: 4
; Occupancy: 8
; WaveLimiterHint : 0
; COMPUTE_PGM_RSRC2:SCRATCH_EN: 0
; COMPUTE_PGM_RSRC2:USER_SGPR: 2
; COMPUTE_PGM_RSRC2:TRAP_HANDLER: 0
; COMPUTE_PGM_RSRC2:TGID_X_EN: 1
; COMPUTE_PGM_RSRC2:TGID_Y_EN: 0
; COMPUTE_PGM_RSRC2:TGID_Z_EN: 0
; COMPUTE_PGM_RSRC2:TIDIG_COMP_CNT: 0
; COMPUTE_PGM_RSRC3_GFX90A:ACCUM_OFFSET: 0
; COMPUTE_PGM_RSRC3_GFX90A:TG_SPLIT: 0
	.section	.text._ZN7rocprim17ROCPRIM_400000_NS6detail17trampoline_kernelINS0_14default_configENS1_25partition_config_selectorILNS1_17partition_subalgoE8ElNS0_10empty_typeEbEEZZNS1_14partition_implILS5_8ELb0ES3_jPlPS6_PKS6_NS0_5tupleIJS9_S6_EEENSD_IJSA_SA_EEENS0_18inequality_wrapperIZN2at6native12_GLOBAL__N_124unique_dim_cuda_templateImEESt5tupleIJNSH_6TensorESM_SM_EERKSM_lbbbEUlllE0_EEPmJS6_EEE10hipError_tPvRmT3_T4_T5_T6_T7_T9_mT8_P12ihipStream_tbDpT10_ENKUlT_T0_E_clISt17integral_constantIbLb0EES1C_EEDaS17_S18_EUlS17_E_NS1_11comp_targetILNS1_3genE9ELNS1_11target_archE1100ELNS1_3gpuE3ELNS1_3repE0EEENS1_30default_config_static_selectorELNS0_4arch9wavefront6targetE1EEEvT1_,"axG",@progbits,_ZN7rocprim17ROCPRIM_400000_NS6detail17trampoline_kernelINS0_14default_configENS1_25partition_config_selectorILNS1_17partition_subalgoE8ElNS0_10empty_typeEbEEZZNS1_14partition_implILS5_8ELb0ES3_jPlPS6_PKS6_NS0_5tupleIJS9_S6_EEENSD_IJSA_SA_EEENS0_18inequality_wrapperIZN2at6native12_GLOBAL__N_124unique_dim_cuda_templateImEESt5tupleIJNSH_6TensorESM_SM_EERKSM_lbbbEUlllE0_EEPmJS6_EEE10hipError_tPvRmT3_T4_T5_T6_T7_T9_mT8_P12ihipStream_tbDpT10_ENKUlT_T0_E_clISt17integral_constantIbLb0EES1C_EEDaS17_S18_EUlS17_E_NS1_11comp_targetILNS1_3genE9ELNS1_11target_archE1100ELNS1_3gpuE3ELNS1_3repE0EEENS1_30default_config_static_selectorELNS0_4arch9wavefront6targetE1EEEvT1_,comdat
	.globl	_ZN7rocprim17ROCPRIM_400000_NS6detail17trampoline_kernelINS0_14default_configENS1_25partition_config_selectorILNS1_17partition_subalgoE8ElNS0_10empty_typeEbEEZZNS1_14partition_implILS5_8ELb0ES3_jPlPS6_PKS6_NS0_5tupleIJS9_S6_EEENSD_IJSA_SA_EEENS0_18inequality_wrapperIZN2at6native12_GLOBAL__N_124unique_dim_cuda_templateImEESt5tupleIJNSH_6TensorESM_SM_EERKSM_lbbbEUlllE0_EEPmJS6_EEE10hipError_tPvRmT3_T4_T5_T6_T7_T9_mT8_P12ihipStream_tbDpT10_ENKUlT_T0_E_clISt17integral_constantIbLb0EES1C_EEDaS17_S18_EUlS17_E_NS1_11comp_targetILNS1_3genE9ELNS1_11target_archE1100ELNS1_3gpuE3ELNS1_3repE0EEENS1_30default_config_static_selectorELNS0_4arch9wavefront6targetE1EEEvT1_ ; -- Begin function _ZN7rocprim17ROCPRIM_400000_NS6detail17trampoline_kernelINS0_14default_configENS1_25partition_config_selectorILNS1_17partition_subalgoE8ElNS0_10empty_typeEbEEZZNS1_14partition_implILS5_8ELb0ES3_jPlPS6_PKS6_NS0_5tupleIJS9_S6_EEENSD_IJSA_SA_EEENS0_18inequality_wrapperIZN2at6native12_GLOBAL__N_124unique_dim_cuda_templateImEESt5tupleIJNSH_6TensorESM_SM_EERKSM_lbbbEUlllE0_EEPmJS6_EEE10hipError_tPvRmT3_T4_T5_T6_T7_T9_mT8_P12ihipStream_tbDpT10_ENKUlT_T0_E_clISt17integral_constantIbLb0EES1C_EEDaS17_S18_EUlS17_E_NS1_11comp_targetILNS1_3genE9ELNS1_11target_archE1100ELNS1_3gpuE3ELNS1_3repE0EEENS1_30default_config_static_selectorELNS0_4arch9wavefront6targetE1EEEvT1_
	.p2align	8
	.type	_ZN7rocprim17ROCPRIM_400000_NS6detail17trampoline_kernelINS0_14default_configENS1_25partition_config_selectorILNS1_17partition_subalgoE8ElNS0_10empty_typeEbEEZZNS1_14partition_implILS5_8ELb0ES3_jPlPS6_PKS6_NS0_5tupleIJS9_S6_EEENSD_IJSA_SA_EEENS0_18inequality_wrapperIZN2at6native12_GLOBAL__N_124unique_dim_cuda_templateImEESt5tupleIJNSH_6TensorESM_SM_EERKSM_lbbbEUlllE0_EEPmJS6_EEE10hipError_tPvRmT3_T4_T5_T6_T7_T9_mT8_P12ihipStream_tbDpT10_ENKUlT_T0_E_clISt17integral_constantIbLb0EES1C_EEDaS17_S18_EUlS17_E_NS1_11comp_targetILNS1_3genE9ELNS1_11target_archE1100ELNS1_3gpuE3ELNS1_3repE0EEENS1_30default_config_static_selectorELNS0_4arch9wavefront6targetE1EEEvT1_,@function
_ZN7rocprim17ROCPRIM_400000_NS6detail17trampoline_kernelINS0_14default_configENS1_25partition_config_selectorILNS1_17partition_subalgoE8ElNS0_10empty_typeEbEEZZNS1_14partition_implILS5_8ELb0ES3_jPlPS6_PKS6_NS0_5tupleIJS9_S6_EEENSD_IJSA_SA_EEENS0_18inequality_wrapperIZN2at6native12_GLOBAL__N_124unique_dim_cuda_templateImEESt5tupleIJNSH_6TensorESM_SM_EERKSM_lbbbEUlllE0_EEPmJS6_EEE10hipError_tPvRmT3_T4_T5_T6_T7_T9_mT8_P12ihipStream_tbDpT10_ENKUlT_T0_E_clISt17integral_constantIbLb0EES1C_EEDaS17_S18_EUlS17_E_NS1_11comp_targetILNS1_3genE9ELNS1_11target_archE1100ELNS1_3gpuE3ELNS1_3repE0EEENS1_30default_config_static_selectorELNS0_4arch9wavefront6targetE1EEEvT1_: ; @_ZN7rocprim17ROCPRIM_400000_NS6detail17trampoline_kernelINS0_14default_configENS1_25partition_config_selectorILNS1_17partition_subalgoE8ElNS0_10empty_typeEbEEZZNS1_14partition_implILS5_8ELb0ES3_jPlPS6_PKS6_NS0_5tupleIJS9_S6_EEENSD_IJSA_SA_EEENS0_18inequality_wrapperIZN2at6native12_GLOBAL__N_124unique_dim_cuda_templateImEESt5tupleIJNSH_6TensorESM_SM_EERKSM_lbbbEUlllE0_EEPmJS6_EEE10hipError_tPvRmT3_T4_T5_T6_T7_T9_mT8_P12ihipStream_tbDpT10_ENKUlT_T0_E_clISt17integral_constantIbLb0EES1C_EEDaS17_S18_EUlS17_E_NS1_11comp_targetILNS1_3genE9ELNS1_11target_archE1100ELNS1_3gpuE3ELNS1_3repE0EEENS1_30default_config_static_selectorELNS0_4arch9wavefront6targetE1EEEvT1_
; %bb.0:
	.section	.rodata,"a",@progbits
	.p2align	6, 0x0
	.amdhsa_kernel _ZN7rocprim17ROCPRIM_400000_NS6detail17trampoline_kernelINS0_14default_configENS1_25partition_config_selectorILNS1_17partition_subalgoE8ElNS0_10empty_typeEbEEZZNS1_14partition_implILS5_8ELb0ES3_jPlPS6_PKS6_NS0_5tupleIJS9_S6_EEENSD_IJSA_SA_EEENS0_18inequality_wrapperIZN2at6native12_GLOBAL__N_124unique_dim_cuda_templateImEESt5tupleIJNSH_6TensorESM_SM_EERKSM_lbbbEUlllE0_EEPmJS6_EEE10hipError_tPvRmT3_T4_T5_T6_T7_T9_mT8_P12ihipStream_tbDpT10_ENKUlT_T0_E_clISt17integral_constantIbLb0EES1C_EEDaS17_S18_EUlS17_E_NS1_11comp_targetILNS1_3genE9ELNS1_11target_archE1100ELNS1_3gpuE3ELNS1_3repE0EEENS1_30default_config_static_selectorELNS0_4arch9wavefront6targetE1EEEvT1_
		.amdhsa_group_segment_fixed_size 0
		.amdhsa_private_segment_fixed_size 0
		.amdhsa_kernarg_size 120
		.amdhsa_user_sgpr_count 2
		.amdhsa_user_sgpr_dispatch_ptr 0
		.amdhsa_user_sgpr_queue_ptr 0
		.amdhsa_user_sgpr_kernarg_segment_ptr 1
		.amdhsa_user_sgpr_dispatch_id 0
		.amdhsa_user_sgpr_kernarg_preload_length 0
		.amdhsa_user_sgpr_kernarg_preload_offset 0
		.amdhsa_user_sgpr_private_segment_size 0
		.amdhsa_uses_dynamic_stack 0
		.amdhsa_enable_private_segment 0
		.amdhsa_system_sgpr_workgroup_id_x 1
		.amdhsa_system_sgpr_workgroup_id_y 0
		.amdhsa_system_sgpr_workgroup_id_z 0
		.amdhsa_system_sgpr_workgroup_info 0
		.amdhsa_system_vgpr_workitem_id 0
		.amdhsa_next_free_vgpr 1
		.amdhsa_next_free_sgpr 0
		.amdhsa_accum_offset 4
		.amdhsa_reserve_vcc 0
		.amdhsa_float_round_mode_32 0
		.amdhsa_float_round_mode_16_64 0
		.amdhsa_float_denorm_mode_32 3
		.amdhsa_float_denorm_mode_16_64 3
		.amdhsa_dx10_clamp 1
		.amdhsa_ieee_mode 1
		.amdhsa_fp16_overflow 0
		.amdhsa_tg_split 0
		.amdhsa_exception_fp_ieee_invalid_op 0
		.amdhsa_exception_fp_denorm_src 0
		.amdhsa_exception_fp_ieee_div_zero 0
		.amdhsa_exception_fp_ieee_overflow 0
		.amdhsa_exception_fp_ieee_underflow 0
		.amdhsa_exception_fp_ieee_inexact 0
		.amdhsa_exception_int_div_zero 0
	.end_amdhsa_kernel
	.section	.text._ZN7rocprim17ROCPRIM_400000_NS6detail17trampoline_kernelINS0_14default_configENS1_25partition_config_selectorILNS1_17partition_subalgoE8ElNS0_10empty_typeEbEEZZNS1_14partition_implILS5_8ELb0ES3_jPlPS6_PKS6_NS0_5tupleIJS9_S6_EEENSD_IJSA_SA_EEENS0_18inequality_wrapperIZN2at6native12_GLOBAL__N_124unique_dim_cuda_templateImEESt5tupleIJNSH_6TensorESM_SM_EERKSM_lbbbEUlllE0_EEPmJS6_EEE10hipError_tPvRmT3_T4_T5_T6_T7_T9_mT8_P12ihipStream_tbDpT10_ENKUlT_T0_E_clISt17integral_constantIbLb0EES1C_EEDaS17_S18_EUlS17_E_NS1_11comp_targetILNS1_3genE9ELNS1_11target_archE1100ELNS1_3gpuE3ELNS1_3repE0EEENS1_30default_config_static_selectorELNS0_4arch9wavefront6targetE1EEEvT1_,"axG",@progbits,_ZN7rocprim17ROCPRIM_400000_NS6detail17trampoline_kernelINS0_14default_configENS1_25partition_config_selectorILNS1_17partition_subalgoE8ElNS0_10empty_typeEbEEZZNS1_14partition_implILS5_8ELb0ES3_jPlPS6_PKS6_NS0_5tupleIJS9_S6_EEENSD_IJSA_SA_EEENS0_18inequality_wrapperIZN2at6native12_GLOBAL__N_124unique_dim_cuda_templateImEESt5tupleIJNSH_6TensorESM_SM_EERKSM_lbbbEUlllE0_EEPmJS6_EEE10hipError_tPvRmT3_T4_T5_T6_T7_T9_mT8_P12ihipStream_tbDpT10_ENKUlT_T0_E_clISt17integral_constantIbLb0EES1C_EEDaS17_S18_EUlS17_E_NS1_11comp_targetILNS1_3genE9ELNS1_11target_archE1100ELNS1_3gpuE3ELNS1_3repE0EEENS1_30default_config_static_selectorELNS0_4arch9wavefront6targetE1EEEvT1_,comdat
.Lfunc_end1669:
	.size	_ZN7rocprim17ROCPRIM_400000_NS6detail17trampoline_kernelINS0_14default_configENS1_25partition_config_selectorILNS1_17partition_subalgoE8ElNS0_10empty_typeEbEEZZNS1_14partition_implILS5_8ELb0ES3_jPlPS6_PKS6_NS0_5tupleIJS9_S6_EEENSD_IJSA_SA_EEENS0_18inequality_wrapperIZN2at6native12_GLOBAL__N_124unique_dim_cuda_templateImEESt5tupleIJNSH_6TensorESM_SM_EERKSM_lbbbEUlllE0_EEPmJS6_EEE10hipError_tPvRmT3_T4_T5_T6_T7_T9_mT8_P12ihipStream_tbDpT10_ENKUlT_T0_E_clISt17integral_constantIbLb0EES1C_EEDaS17_S18_EUlS17_E_NS1_11comp_targetILNS1_3genE9ELNS1_11target_archE1100ELNS1_3gpuE3ELNS1_3repE0EEENS1_30default_config_static_selectorELNS0_4arch9wavefront6targetE1EEEvT1_, .Lfunc_end1669-_ZN7rocprim17ROCPRIM_400000_NS6detail17trampoline_kernelINS0_14default_configENS1_25partition_config_selectorILNS1_17partition_subalgoE8ElNS0_10empty_typeEbEEZZNS1_14partition_implILS5_8ELb0ES3_jPlPS6_PKS6_NS0_5tupleIJS9_S6_EEENSD_IJSA_SA_EEENS0_18inequality_wrapperIZN2at6native12_GLOBAL__N_124unique_dim_cuda_templateImEESt5tupleIJNSH_6TensorESM_SM_EERKSM_lbbbEUlllE0_EEPmJS6_EEE10hipError_tPvRmT3_T4_T5_T6_T7_T9_mT8_P12ihipStream_tbDpT10_ENKUlT_T0_E_clISt17integral_constantIbLb0EES1C_EEDaS17_S18_EUlS17_E_NS1_11comp_targetILNS1_3genE9ELNS1_11target_archE1100ELNS1_3gpuE3ELNS1_3repE0EEENS1_30default_config_static_selectorELNS0_4arch9wavefront6targetE1EEEvT1_
                                        ; -- End function
	.set _ZN7rocprim17ROCPRIM_400000_NS6detail17trampoline_kernelINS0_14default_configENS1_25partition_config_selectorILNS1_17partition_subalgoE8ElNS0_10empty_typeEbEEZZNS1_14partition_implILS5_8ELb0ES3_jPlPS6_PKS6_NS0_5tupleIJS9_S6_EEENSD_IJSA_SA_EEENS0_18inequality_wrapperIZN2at6native12_GLOBAL__N_124unique_dim_cuda_templateImEESt5tupleIJNSH_6TensorESM_SM_EERKSM_lbbbEUlllE0_EEPmJS6_EEE10hipError_tPvRmT3_T4_T5_T6_T7_T9_mT8_P12ihipStream_tbDpT10_ENKUlT_T0_E_clISt17integral_constantIbLb0EES1C_EEDaS17_S18_EUlS17_E_NS1_11comp_targetILNS1_3genE9ELNS1_11target_archE1100ELNS1_3gpuE3ELNS1_3repE0EEENS1_30default_config_static_selectorELNS0_4arch9wavefront6targetE1EEEvT1_.num_vgpr, 0
	.set _ZN7rocprim17ROCPRIM_400000_NS6detail17trampoline_kernelINS0_14default_configENS1_25partition_config_selectorILNS1_17partition_subalgoE8ElNS0_10empty_typeEbEEZZNS1_14partition_implILS5_8ELb0ES3_jPlPS6_PKS6_NS0_5tupleIJS9_S6_EEENSD_IJSA_SA_EEENS0_18inequality_wrapperIZN2at6native12_GLOBAL__N_124unique_dim_cuda_templateImEESt5tupleIJNSH_6TensorESM_SM_EERKSM_lbbbEUlllE0_EEPmJS6_EEE10hipError_tPvRmT3_T4_T5_T6_T7_T9_mT8_P12ihipStream_tbDpT10_ENKUlT_T0_E_clISt17integral_constantIbLb0EES1C_EEDaS17_S18_EUlS17_E_NS1_11comp_targetILNS1_3genE9ELNS1_11target_archE1100ELNS1_3gpuE3ELNS1_3repE0EEENS1_30default_config_static_selectorELNS0_4arch9wavefront6targetE1EEEvT1_.num_agpr, 0
	.set _ZN7rocprim17ROCPRIM_400000_NS6detail17trampoline_kernelINS0_14default_configENS1_25partition_config_selectorILNS1_17partition_subalgoE8ElNS0_10empty_typeEbEEZZNS1_14partition_implILS5_8ELb0ES3_jPlPS6_PKS6_NS0_5tupleIJS9_S6_EEENSD_IJSA_SA_EEENS0_18inequality_wrapperIZN2at6native12_GLOBAL__N_124unique_dim_cuda_templateImEESt5tupleIJNSH_6TensorESM_SM_EERKSM_lbbbEUlllE0_EEPmJS6_EEE10hipError_tPvRmT3_T4_T5_T6_T7_T9_mT8_P12ihipStream_tbDpT10_ENKUlT_T0_E_clISt17integral_constantIbLb0EES1C_EEDaS17_S18_EUlS17_E_NS1_11comp_targetILNS1_3genE9ELNS1_11target_archE1100ELNS1_3gpuE3ELNS1_3repE0EEENS1_30default_config_static_selectorELNS0_4arch9wavefront6targetE1EEEvT1_.numbered_sgpr, 0
	.set _ZN7rocprim17ROCPRIM_400000_NS6detail17trampoline_kernelINS0_14default_configENS1_25partition_config_selectorILNS1_17partition_subalgoE8ElNS0_10empty_typeEbEEZZNS1_14partition_implILS5_8ELb0ES3_jPlPS6_PKS6_NS0_5tupleIJS9_S6_EEENSD_IJSA_SA_EEENS0_18inequality_wrapperIZN2at6native12_GLOBAL__N_124unique_dim_cuda_templateImEESt5tupleIJNSH_6TensorESM_SM_EERKSM_lbbbEUlllE0_EEPmJS6_EEE10hipError_tPvRmT3_T4_T5_T6_T7_T9_mT8_P12ihipStream_tbDpT10_ENKUlT_T0_E_clISt17integral_constantIbLb0EES1C_EEDaS17_S18_EUlS17_E_NS1_11comp_targetILNS1_3genE9ELNS1_11target_archE1100ELNS1_3gpuE3ELNS1_3repE0EEENS1_30default_config_static_selectorELNS0_4arch9wavefront6targetE1EEEvT1_.num_named_barrier, 0
	.set _ZN7rocprim17ROCPRIM_400000_NS6detail17trampoline_kernelINS0_14default_configENS1_25partition_config_selectorILNS1_17partition_subalgoE8ElNS0_10empty_typeEbEEZZNS1_14partition_implILS5_8ELb0ES3_jPlPS6_PKS6_NS0_5tupleIJS9_S6_EEENSD_IJSA_SA_EEENS0_18inequality_wrapperIZN2at6native12_GLOBAL__N_124unique_dim_cuda_templateImEESt5tupleIJNSH_6TensorESM_SM_EERKSM_lbbbEUlllE0_EEPmJS6_EEE10hipError_tPvRmT3_T4_T5_T6_T7_T9_mT8_P12ihipStream_tbDpT10_ENKUlT_T0_E_clISt17integral_constantIbLb0EES1C_EEDaS17_S18_EUlS17_E_NS1_11comp_targetILNS1_3genE9ELNS1_11target_archE1100ELNS1_3gpuE3ELNS1_3repE0EEENS1_30default_config_static_selectorELNS0_4arch9wavefront6targetE1EEEvT1_.private_seg_size, 0
	.set _ZN7rocprim17ROCPRIM_400000_NS6detail17trampoline_kernelINS0_14default_configENS1_25partition_config_selectorILNS1_17partition_subalgoE8ElNS0_10empty_typeEbEEZZNS1_14partition_implILS5_8ELb0ES3_jPlPS6_PKS6_NS0_5tupleIJS9_S6_EEENSD_IJSA_SA_EEENS0_18inequality_wrapperIZN2at6native12_GLOBAL__N_124unique_dim_cuda_templateImEESt5tupleIJNSH_6TensorESM_SM_EERKSM_lbbbEUlllE0_EEPmJS6_EEE10hipError_tPvRmT3_T4_T5_T6_T7_T9_mT8_P12ihipStream_tbDpT10_ENKUlT_T0_E_clISt17integral_constantIbLb0EES1C_EEDaS17_S18_EUlS17_E_NS1_11comp_targetILNS1_3genE9ELNS1_11target_archE1100ELNS1_3gpuE3ELNS1_3repE0EEENS1_30default_config_static_selectorELNS0_4arch9wavefront6targetE1EEEvT1_.uses_vcc, 0
	.set _ZN7rocprim17ROCPRIM_400000_NS6detail17trampoline_kernelINS0_14default_configENS1_25partition_config_selectorILNS1_17partition_subalgoE8ElNS0_10empty_typeEbEEZZNS1_14partition_implILS5_8ELb0ES3_jPlPS6_PKS6_NS0_5tupleIJS9_S6_EEENSD_IJSA_SA_EEENS0_18inequality_wrapperIZN2at6native12_GLOBAL__N_124unique_dim_cuda_templateImEESt5tupleIJNSH_6TensorESM_SM_EERKSM_lbbbEUlllE0_EEPmJS6_EEE10hipError_tPvRmT3_T4_T5_T6_T7_T9_mT8_P12ihipStream_tbDpT10_ENKUlT_T0_E_clISt17integral_constantIbLb0EES1C_EEDaS17_S18_EUlS17_E_NS1_11comp_targetILNS1_3genE9ELNS1_11target_archE1100ELNS1_3gpuE3ELNS1_3repE0EEENS1_30default_config_static_selectorELNS0_4arch9wavefront6targetE1EEEvT1_.uses_flat_scratch, 0
	.set _ZN7rocprim17ROCPRIM_400000_NS6detail17trampoline_kernelINS0_14default_configENS1_25partition_config_selectorILNS1_17partition_subalgoE8ElNS0_10empty_typeEbEEZZNS1_14partition_implILS5_8ELb0ES3_jPlPS6_PKS6_NS0_5tupleIJS9_S6_EEENSD_IJSA_SA_EEENS0_18inequality_wrapperIZN2at6native12_GLOBAL__N_124unique_dim_cuda_templateImEESt5tupleIJNSH_6TensorESM_SM_EERKSM_lbbbEUlllE0_EEPmJS6_EEE10hipError_tPvRmT3_T4_T5_T6_T7_T9_mT8_P12ihipStream_tbDpT10_ENKUlT_T0_E_clISt17integral_constantIbLb0EES1C_EEDaS17_S18_EUlS17_E_NS1_11comp_targetILNS1_3genE9ELNS1_11target_archE1100ELNS1_3gpuE3ELNS1_3repE0EEENS1_30default_config_static_selectorELNS0_4arch9wavefront6targetE1EEEvT1_.has_dyn_sized_stack, 0
	.set _ZN7rocprim17ROCPRIM_400000_NS6detail17trampoline_kernelINS0_14default_configENS1_25partition_config_selectorILNS1_17partition_subalgoE8ElNS0_10empty_typeEbEEZZNS1_14partition_implILS5_8ELb0ES3_jPlPS6_PKS6_NS0_5tupleIJS9_S6_EEENSD_IJSA_SA_EEENS0_18inequality_wrapperIZN2at6native12_GLOBAL__N_124unique_dim_cuda_templateImEESt5tupleIJNSH_6TensorESM_SM_EERKSM_lbbbEUlllE0_EEPmJS6_EEE10hipError_tPvRmT3_T4_T5_T6_T7_T9_mT8_P12ihipStream_tbDpT10_ENKUlT_T0_E_clISt17integral_constantIbLb0EES1C_EEDaS17_S18_EUlS17_E_NS1_11comp_targetILNS1_3genE9ELNS1_11target_archE1100ELNS1_3gpuE3ELNS1_3repE0EEENS1_30default_config_static_selectorELNS0_4arch9wavefront6targetE1EEEvT1_.has_recursion, 0
	.set _ZN7rocprim17ROCPRIM_400000_NS6detail17trampoline_kernelINS0_14default_configENS1_25partition_config_selectorILNS1_17partition_subalgoE8ElNS0_10empty_typeEbEEZZNS1_14partition_implILS5_8ELb0ES3_jPlPS6_PKS6_NS0_5tupleIJS9_S6_EEENSD_IJSA_SA_EEENS0_18inequality_wrapperIZN2at6native12_GLOBAL__N_124unique_dim_cuda_templateImEESt5tupleIJNSH_6TensorESM_SM_EERKSM_lbbbEUlllE0_EEPmJS6_EEE10hipError_tPvRmT3_T4_T5_T6_T7_T9_mT8_P12ihipStream_tbDpT10_ENKUlT_T0_E_clISt17integral_constantIbLb0EES1C_EEDaS17_S18_EUlS17_E_NS1_11comp_targetILNS1_3genE9ELNS1_11target_archE1100ELNS1_3gpuE3ELNS1_3repE0EEENS1_30default_config_static_selectorELNS0_4arch9wavefront6targetE1EEEvT1_.has_indirect_call, 0
	.section	.AMDGPU.csdata,"",@progbits
; Kernel info:
; codeLenInByte = 0
; TotalNumSgprs: 6
; NumVgprs: 0
; NumAgprs: 0
; TotalNumVgprs: 0
; ScratchSize: 0
; MemoryBound: 0
; FloatMode: 240
; IeeeMode: 1
; LDSByteSize: 0 bytes/workgroup (compile time only)
; SGPRBlocks: 0
; VGPRBlocks: 0
; NumSGPRsForWavesPerEU: 6
; NumVGPRsForWavesPerEU: 1
; AccumOffset: 4
; Occupancy: 8
; WaveLimiterHint : 0
; COMPUTE_PGM_RSRC2:SCRATCH_EN: 0
; COMPUTE_PGM_RSRC2:USER_SGPR: 2
; COMPUTE_PGM_RSRC2:TRAP_HANDLER: 0
; COMPUTE_PGM_RSRC2:TGID_X_EN: 1
; COMPUTE_PGM_RSRC2:TGID_Y_EN: 0
; COMPUTE_PGM_RSRC2:TGID_Z_EN: 0
; COMPUTE_PGM_RSRC2:TIDIG_COMP_CNT: 0
; COMPUTE_PGM_RSRC3_GFX90A:ACCUM_OFFSET: 0
; COMPUTE_PGM_RSRC3_GFX90A:TG_SPLIT: 0
	.section	.text._ZN7rocprim17ROCPRIM_400000_NS6detail17trampoline_kernelINS0_14default_configENS1_25partition_config_selectorILNS1_17partition_subalgoE8ElNS0_10empty_typeEbEEZZNS1_14partition_implILS5_8ELb0ES3_jPlPS6_PKS6_NS0_5tupleIJS9_S6_EEENSD_IJSA_SA_EEENS0_18inequality_wrapperIZN2at6native12_GLOBAL__N_124unique_dim_cuda_templateImEESt5tupleIJNSH_6TensorESM_SM_EERKSM_lbbbEUlllE0_EEPmJS6_EEE10hipError_tPvRmT3_T4_T5_T6_T7_T9_mT8_P12ihipStream_tbDpT10_ENKUlT_T0_E_clISt17integral_constantIbLb0EES1C_EEDaS17_S18_EUlS17_E_NS1_11comp_targetILNS1_3genE8ELNS1_11target_archE1030ELNS1_3gpuE2ELNS1_3repE0EEENS1_30default_config_static_selectorELNS0_4arch9wavefront6targetE1EEEvT1_,"axG",@progbits,_ZN7rocprim17ROCPRIM_400000_NS6detail17trampoline_kernelINS0_14default_configENS1_25partition_config_selectorILNS1_17partition_subalgoE8ElNS0_10empty_typeEbEEZZNS1_14partition_implILS5_8ELb0ES3_jPlPS6_PKS6_NS0_5tupleIJS9_S6_EEENSD_IJSA_SA_EEENS0_18inequality_wrapperIZN2at6native12_GLOBAL__N_124unique_dim_cuda_templateImEESt5tupleIJNSH_6TensorESM_SM_EERKSM_lbbbEUlllE0_EEPmJS6_EEE10hipError_tPvRmT3_T4_T5_T6_T7_T9_mT8_P12ihipStream_tbDpT10_ENKUlT_T0_E_clISt17integral_constantIbLb0EES1C_EEDaS17_S18_EUlS17_E_NS1_11comp_targetILNS1_3genE8ELNS1_11target_archE1030ELNS1_3gpuE2ELNS1_3repE0EEENS1_30default_config_static_selectorELNS0_4arch9wavefront6targetE1EEEvT1_,comdat
	.globl	_ZN7rocprim17ROCPRIM_400000_NS6detail17trampoline_kernelINS0_14default_configENS1_25partition_config_selectorILNS1_17partition_subalgoE8ElNS0_10empty_typeEbEEZZNS1_14partition_implILS5_8ELb0ES3_jPlPS6_PKS6_NS0_5tupleIJS9_S6_EEENSD_IJSA_SA_EEENS0_18inequality_wrapperIZN2at6native12_GLOBAL__N_124unique_dim_cuda_templateImEESt5tupleIJNSH_6TensorESM_SM_EERKSM_lbbbEUlllE0_EEPmJS6_EEE10hipError_tPvRmT3_T4_T5_T6_T7_T9_mT8_P12ihipStream_tbDpT10_ENKUlT_T0_E_clISt17integral_constantIbLb0EES1C_EEDaS17_S18_EUlS17_E_NS1_11comp_targetILNS1_3genE8ELNS1_11target_archE1030ELNS1_3gpuE2ELNS1_3repE0EEENS1_30default_config_static_selectorELNS0_4arch9wavefront6targetE1EEEvT1_ ; -- Begin function _ZN7rocprim17ROCPRIM_400000_NS6detail17trampoline_kernelINS0_14default_configENS1_25partition_config_selectorILNS1_17partition_subalgoE8ElNS0_10empty_typeEbEEZZNS1_14partition_implILS5_8ELb0ES3_jPlPS6_PKS6_NS0_5tupleIJS9_S6_EEENSD_IJSA_SA_EEENS0_18inequality_wrapperIZN2at6native12_GLOBAL__N_124unique_dim_cuda_templateImEESt5tupleIJNSH_6TensorESM_SM_EERKSM_lbbbEUlllE0_EEPmJS6_EEE10hipError_tPvRmT3_T4_T5_T6_T7_T9_mT8_P12ihipStream_tbDpT10_ENKUlT_T0_E_clISt17integral_constantIbLb0EES1C_EEDaS17_S18_EUlS17_E_NS1_11comp_targetILNS1_3genE8ELNS1_11target_archE1030ELNS1_3gpuE2ELNS1_3repE0EEENS1_30default_config_static_selectorELNS0_4arch9wavefront6targetE1EEEvT1_
	.p2align	8
	.type	_ZN7rocprim17ROCPRIM_400000_NS6detail17trampoline_kernelINS0_14default_configENS1_25partition_config_selectorILNS1_17partition_subalgoE8ElNS0_10empty_typeEbEEZZNS1_14partition_implILS5_8ELb0ES3_jPlPS6_PKS6_NS0_5tupleIJS9_S6_EEENSD_IJSA_SA_EEENS0_18inequality_wrapperIZN2at6native12_GLOBAL__N_124unique_dim_cuda_templateImEESt5tupleIJNSH_6TensorESM_SM_EERKSM_lbbbEUlllE0_EEPmJS6_EEE10hipError_tPvRmT3_T4_T5_T6_T7_T9_mT8_P12ihipStream_tbDpT10_ENKUlT_T0_E_clISt17integral_constantIbLb0EES1C_EEDaS17_S18_EUlS17_E_NS1_11comp_targetILNS1_3genE8ELNS1_11target_archE1030ELNS1_3gpuE2ELNS1_3repE0EEENS1_30default_config_static_selectorELNS0_4arch9wavefront6targetE1EEEvT1_,@function
_ZN7rocprim17ROCPRIM_400000_NS6detail17trampoline_kernelINS0_14default_configENS1_25partition_config_selectorILNS1_17partition_subalgoE8ElNS0_10empty_typeEbEEZZNS1_14partition_implILS5_8ELb0ES3_jPlPS6_PKS6_NS0_5tupleIJS9_S6_EEENSD_IJSA_SA_EEENS0_18inequality_wrapperIZN2at6native12_GLOBAL__N_124unique_dim_cuda_templateImEESt5tupleIJNSH_6TensorESM_SM_EERKSM_lbbbEUlllE0_EEPmJS6_EEE10hipError_tPvRmT3_T4_T5_T6_T7_T9_mT8_P12ihipStream_tbDpT10_ENKUlT_T0_E_clISt17integral_constantIbLb0EES1C_EEDaS17_S18_EUlS17_E_NS1_11comp_targetILNS1_3genE8ELNS1_11target_archE1030ELNS1_3gpuE2ELNS1_3repE0EEENS1_30default_config_static_selectorELNS0_4arch9wavefront6targetE1EEEvT1_: ; @_ZN7rocprim17ROCPRIM_400000_NS6detail17trampoline_kernelINS0_14default_configENS1_25partition_config_selectorILNS1_17partition_subalgoE8ElNS0_10empty_typeEbEEZZNS1_14partition_implILS5_8ELb0ES3_jPlPS6_PKS6_NS0_5tupleIJS9_S6_EEENSD_IJSA_SA_EEENS0_18inequality_wrapperIZN2at6native12_GLOBAL__N_124unique_dim_cuda_templateImEESt5tupleIJNSH_6TensorESM_SM_EERKSM_lbbbEUlllE0_EEPmJS6_EEE10hipError_tPvRmT3_T4_T5_T6_T7_T9_mT8_P12ihipStream_tbDpT10_ENKUlT_T0_E_clISt17integral_constantIbLb0EES1C_EEDaS17_S18_EUlS17_E_NS1_11comp_targetILNS1_3genE8ELNS1_11target_archE1030ELNS1_3gpuE2ELNS1_3repE0EEENS1_30default_config_static_selectorELNS0_4arch9wavefront6targetE1EEEvT1_
; %bb.0:
	.section	.rodata,"a",@progbits
	.p2align	6, 0x0
	.amdhsa_kernel _ZN7rocprim17ROCPRIM_400000_NS6detail17trampoline_kernelINS0_14default_configENS1_25partition_config_selectorILNS1_17partition_subalgoE8ElNS0_10empty_typeEbEEZZNS1_14partition_implILS5_8ELb0ES3_jPlPS6_PKS6_NS0_5tupleIJS9_S6_EEENSD_IJSA_SA_EEENS0_18inequality_wrapperIZN2at6native12_GLOBAL__N_124unique_dim_cuda_templateImEESt5tupleIJNSH_6TensorESM_SM_EERKSM_lbbbEUlllE0_EEPmJS6_EEE10hipError_tPvRmT3_T4_T5_T6_T7_T9_mT8_P12ihipStream_tbDpT10_ENKUlT_T0_E_clISt17integral_constantIbLb0EES1C_EEDaS17_S18_EUlS17_E_NS1_11comp_targetILNS1_3genE8ELNS1_11target_archE1030ELNS1_3gpuE2ELNS1_3repE0EEENS1_30default_config_static_selectorELNS0_4arch9wavefront6targetE1EEEvT1_
		.amdhsa_group_segment_fixed_size 0
		.amdhsa_private_segment_fixed_size 0
		.amdhsa_kernarg_size 120
		.amdhsa_user_sgpr_count 2
		.amdhsa_user_sgpr_dispatch_ptr 0
		.amdhsa_user_sgpr_queue_ptr 0
		.amdhsa_user_sgpr_kernarg_segment_ptr 1
		.amdhsa_user_sgpr_dispatch_id 0
		.amdhsa_user_sgpr_kernarg_preload_length 0
		.amdhsa_user_sgpr_kernarg_preload_offset 0
		.amdhsa_user_sgpr_private_segment_size 0
		.amdhsa_uses_dynamic_stack 0
		.amdhsa_enable_private_segment 0
		.amdhsa_system_sgpr_workgroup_id_x 1
		.amdhsa_system_sgpr_workgroup_id_y 0
		.amdhsa_system_sgpr_workgroup_id_z 0
		.amdhsa_system_sgpr_workgroup_info 0
		.amdhsa_system_vgpr_workitem_id 0
		.amdhsa_next_free_vgpr 1
		.amdhsa_next_free_sgpr 0
		.amdhsa_accum_offset 4
		.amdhsa_reserve_vcc 0
		.amdhsa_float_round_mode_32 0
		.amdhsa_float_round_mode_16_64 0
		.amdhsa_float_denorm_mode_32 3
		.amdhsa_float_denorm_mode_16_64 3
		.amdhsa_dx10_clamp 1
		.amdhsa_ieee_mode 1
		.amdhsa_fp16_overflow 0
		.amdhsa_tg_split 0
		.amdhsa_exception_fp_ieee_invalid_op 0
		.amdhsa_exception_fp_denorm_src 0
		.amdhsa_exception_fp_ieee_div_zero 0
		.amdhsa_exception_fp_ieee_overflow 0
		.amdhsa_exception_fp_ieee_underflow 0
		.amdhsa_exception_fp_ieee_inexact 0
		.amdhsa_exception_int_div_zero 0
	.end_amdhsa_kernel
	.section	.text._ZN7rocprim17ROCPRIM_400000_NS6detail17trampoline_kernelINS0_14default_configENS1_25partition_config_selectorILNS1_17partition_subalgoE8ElNS0_10empty_typeEbEEZZNS1_14partition_implILS5_8ELb0ES3_jPlPS6_PKS6_NS0_5tupleIJS9_S6_EEENSD_IJSA_SA_EEENS0_18inequality_wrapperIZN2at6native12_GLOBAL__N_124unique_dim_cuda_templateImEESt5tupleIJNSH_6TensorESM_SM_EERKSM_lbbbEUlllE0_EEPmJS6_EEE10hipError_tPvRmT3_T4_T5_T6_T7_T9_mT8_P12ihipStream_tbDpT10_ENKUlT_T0_E_clISt17integral_constantIbLb0EES1C_EEDaS17_S18_EUlS17_E_NS1_11comp_targetILNS1_3genE8ELNS1_11target_archE1030ELNS1_3gpuE2ELNS1_3repE0EEENS1_30default_config_static_selectorELNS0_4arch9wavefront6targetE1EEEvT1_,"axG",@progbits,_ZN7rocprim17ROCPRIM_400000_NS6detail17trampoline_kernelINS0_14default_configENS1_25partition_config_selectorILNS1_17partition_subalgoE8ElNS0_10empty_typeEbEEZZNS1_14partition_implILS5_8ELb0ES3_jPlPS6_PKS6_NS0_5tupleIJS9_S6_EEENSD_IJSA_SA_EEENS0_18inequality_wrapperIZN2at6native12_GLOBAL__N_124unique_dim_cuda_templateImEESt5tupleIJNSH_6TensorESM_SM_EERKSM_lbbbEUlllE0_EEPmJS6_EEE10hipError_tPvRmT3_T4_T5_T6_T7_T9_mT8_P12ihipStream_tbDpT10_ENKUlT_T0_E_clISt17integral_constantIbLb0EES1C_EEDaS17_S18_EUlS17_E_NS1_11comp_targetILNS1_3genE8ELNS1_11target_archE1030ELNS1_3gpuE2ELNS1_3repE0EEENS1_30default_config_static_selectorELNS0_4arch9wavefront6targetE1EEEvT1_,comdat
.Lfunc_end1670:
	.size	_ZN7rocprim17ROCPRIM_400000_NS6detail17trampoline_kernelINS0_14default_configENS1_25partition_config_selectorILNS1_17partition_subalgoE8ElNS0_10empty_typeEbEEZZNS1_14partition_implILS5_8ELb0ES3_jPlPS6_PKS6_NS0_5tupleIJS9_S6_EEENSD_IJSA_SA_EEENS0_18inequality_wrapperIZN2at6native12_GLOBAL__N_124unique_dim_cuda_templateImEESt5tupleIJNSH_6TensorESM_SM_EERKSM_lbbbEUlllE0_EEPmJS6_EEE10hipError_tPvRmT3_T4_T5_T6_T7_T9_mT8_P12ihipStream_tbDpT10_ENKUlT_T0_E_clISt17integral_constantIbLb0EES1C_EEDaS17_S18_EUlS17_E_NS1_11comp_targetILNS1_3genE8ELNS1_11target_archE1030ELNS1_3gpuE2ELNS1_3repE0EEENS1_30default_config_static_selectorELNS0_4arch9wavefront6targetE1EEEvT1_, .Lfunc_end1670-_ZN7rocprim17ROCPRIM_400000_NS6detail17trampoline_kernelINS0_14default_configENS1_25partition_config_selectorILNS1_17partition_subalgoE8ElNS0_10empty_typeEbEEZZNS1_14partition_implILS5_8ELb0ES3_jPlPS6_PKS6_NS0_5tupleIJS9_S6_EEENSD_IJSA_SA_EEENS0_18inequality_wrapperIZN2at6native12_GLOBAL__N_124unique_dim_cuda_templateImEESt5tupleIJNSH_6TensorESM_SM_EERKSM_lbbbEUlllE0_EEPmJS6_EEE10hipError_tPvRmT3_T4_T5_T6_T7_T9_mT8_P12ihipStream_tbDpT10_ENKUlT_T0_E_clISt17integral_constantIbLb0EES1C_EEDaS17_S18_EUlS17_E_NS1_11comp_targetILNS1_3genE8ELNS1_11target_archE1030ELNS1_3gpuE2ELNS1_3repE0EEENS1_30default_config_static_selectorELNS0_4arch9wavefront6targetE1EEEvT1_
                                        ; -- End function
	.set _ZN7rocprim17ROCPRIM_400000_NS6detail17trampoline_kernelINS0_14default_configENS1_25partition_config_selectorILNS1_17partition_subalgoE8ElNS0_10empty_typeEbEEZZNS1_14partition_implILS5_8ELb0ES3_jPlPS6_PKS6_NS0_5tupleIJS9_S6_EEENSD_IJSA_SA_EEENS0_18inequality_wrapperIZN2at6native12_GLOBAL__N_124unique_dim_cuda_templateImEESt5tupleIJNSH_6TensorESM_SM_EERKSM_lbbbEUlllE0_EEPmJS6_EEE10hipError_tPvRmT3_T4_T5_T6_T7_T9_mT8_P12ihipStream_tbDpT10_ENKUlT_T0_E_clISt17integral_constantIbLb0EES1C_EEDaS17_S18_EUlS17_E_NS1_11comp_targetILNS1_3genE8ELNS1_11target_archE1030ELNS1_3gpuE2ELNS1_3repE0EEENS1_30default_config_static_selectorELNS0_4arch9wavefront6targetE1EEEvT1_.num_vgpr, 0
	.set _ZN7rocprim17ROCPRIM_400000_NS6detail17trampoline_kernelINS0_14default_configENS1_25partition_config_selectorILNS1_17partition_subalgoE8ElNS0_10empty_typeEbEEZZNS1_14partition_implILS5_8ELb0ES3_jPlPS6_PKS6_NS0_5tupleIJS9_S6_EEENSD_IJSA_SA_EEENS0_18inequality_wrapperIZN2at6native12_GLOBAL__N_124unique_dim_cuda_templateImEESt5tupleIJNSH_6TensorESM_SM_EERKSM_lbbbEUlllE0_EEPmJS6_EEE10hipError_tPvRmT3_T4_T5_T6_T7_T9_mT8_P12ihipStream_tbDpT10_ENKUlT_T0_E_clISt17integral_constantIbLb0EES1C_EEDaS17_S18_EUlS17_E_NS1_11comp_targetILNS1_3genE8ELNS1_11target_archE1030ELNS1_3gpuE2ELNS1_3repE0EEENS1_30default_config_static_selectorELNS0_4arch9wavefront6targetE1EEEvT1_.num_agpr, 0
	.set _ZN7rocprim17ROCPRIM_400000_NS6detail17trampoline_kernelINS0_14default_configENS1_25partition_config_selectorILNS1_17partition_subalgoE8ElNS0_10empty_typeEbEEZZNS1_14partition_implILS5_8ELb0ES3_jPlPS6_PKS6_NS0_5tupleIJS9_S6_EEENSD_IJSA_SA_EEENS0_18inequality_wrapperIZN2at6native12_GLOBAL__N_124unique_dim_cuda_templateImEESt5tupleIJNSH_6TensorESM_SM_EERKSM_lbbbEUlllE0_EEPmJS6_EEE10hipError_tPvRmT3_T4_T5_T6_T7_T9_mT8_P12ihipStream_tbDpT10_ENKUlT_T0_E_clISt17integral_constantIbLb0EES1C_EEDaS17_S18_EUlS17_E_NS1_11comp_targetILNS1_3genE8ELNS1_11target_archE1030ELNS1_3gpuE2ELNS1_3repE0EEENS1_30default_config_static_selectorELNS0_4arch9wavefront6targetE1EEEvT1_.numbered_sgpr, 0
	.set _ZN7rocprim17ROCPRIM_400000_NS6detail17trampoline_kernelINS0_14default_configENS1_25partition_config_selectorILNS1_17partition_subalgoE8ElNS0_10empty_typeEbEEZZNS1_14partition_implILS5_8ELb0ES3_jPlPS6_PKS6_NS0_5tupleIJS9_S6_EEENSD_IJSA_SA_EEENS0_18inequality_wrapperIZN2at6native12_GLOBAL__N_124unique_dim_cuda_templateImEESt5tupleIJNSH_6TensorESM_SM_EERKSM_lbbbEUlllE0_EEPmJS6_EEE10hipError_tPvRmT3_T4_T5_T6_T7_T9_mT8_P12ihipStream_tbDpT10_ENKUlT_T0_E_clISt17integral_constantIbLb0EES1C_EEDaS17_S18_EUlS17_E_NS1_11comp_targetILNS1_3genE8ELNS1_11target_archE1030ELNS1_3gpuE2ELNS1_3repE0EEENS1_30default_config_static_selectorELNS0_4arch9wavefront6targetE1EEEvT1_.num_named_barrier, 0
	.set _ZN7rocprim17ROCPRIM_400000_NS6detail17trampoline_kernelINS0_14default_configENS1_25partition_config_selectorILNS1_17partition_subalgoE8ElNS0_10empty_typeEbEEZZNS1_14partition_implILS5_8ELb0ES3_jPlPS6_PKS6_NS0_5tupleIJS9_S6_EEENSD_IJSA_SA_EEENS0_18inequality_wrapperIZN2at6native12_GLOBAL__N_124unique_dim_cuda_templateImEESt5tupleIJNSH_6TensorESM_SM_EERKSM_lbbbEUlllE0_EEPmJS6_EEE10hipError_tPvRmT3_T4_T5_T6_T7_T9_mT8_P12ihipStream_tbDpT10_ENKUlT_T0_E_clISt17integral_constantIbLb0EES1C_EEDaS17_S18_EUlS17_E_NS1_11comp_targetILNS1_3genE8ELNS1_11target_archE1030ELNS1_3gpuE2ELNS1_3repE0EEENS1_30default_config_static_selectorELNS0_4arch9wavefront6targetE1EEEvT1_.private_seg_size, 0
	.set _ZN7rocprim17ROCPRIM_400000_NS6detail17trampoline_kernelINS0_14default_configENS1_25partition_config_selectorILNS1_17partition_subalgoE8ElNS0_10empty_typeEbEEZZNS1_14partition_implILS5_8ELb0ES3_jPlPS6_PKS6_NS0_5tupleIJS9_S6_EEENSD_IJSA_SA_EEENS0_18inequality_wrapperIZN2at6native12_GLOBAL__N_124unique_dim_cuda_templateImEESt5tupleIJNSH_6TensorESM_SM_EERKSM_lbbbEUlllE0_EEPmJS6_EEE10hipError_tPvRmT3_T4_T5_T6_T7_T9_mT8_P12ihipStream_tbDpT10_ENKUlT_T0_E_clISt17integral_constantIbLb0EES1C_EEDaS17_S18_EUlS17_E_NS1_11comp_targetILNS1_3genE8ELNS1_11target_archE1030ELNS1_3gpuE2ELNS1_3repE0EEENS1_30default_config_static_selectorELNS0_4arch9wavefront6targetE1EEEvT1_.uses_vcc, 0
	.set _ZN7rocprim17ROCPRIM_400000_NS6detail17trampoline_kernelINS0_14default_configENS1_25partition_config_selectorILNS1_17partition_subalgoE8ElNS0_10empty_typeEbEEZZNS1_14partition_implILS5_8ELb0ES3_jPlPS6_PKS6_NS0_5tupleIJS9_S6_EEENSD_IJSA_SA_EEENS0_18inequality_wrapperIZN2at6native12_GLOBAL__N_124unique_dim_cuda_templateImEESt5tupleIJNSH_6TensorESM_SM_EERKSM_lbbbEUlllE0_EEPmJS6_EEE10hipError_tPvRmT3_T4_T5_T6_T7_T9_mT8_P12ihipStream_tbDpT10_ENKUlT_T0_E_clISt17integral_constantIbLb0EES1C_EEDaS17_S18_EUlS17_E_NS1_11comp_targetILNS1_3genE8ELNS1_11target_archE1030ELNS1_3gpuE2ELNS1_3repE0EEENS1_30default_config_static_selectorELNS0_4arch9wavefront6targetE1EEEvT1_.uses_flat_scratch, 0
	.set _ZN7rocprim17ROCPRIM_400000_NS6detail17trampoline_kernelINS0_14default_configENS1_25partition_config_selectorILNS1_17partition_subalgoE8ElNS0_10empty_typeEbEEZZNS1_14partition_implILS5_8ELb0ES3_jPlPS6_PKS6_NS0_5tupleIJS9_S6_EEENSD_IJSA_SA_EEENS0_18inequality_wrapperIZN2at6native12_GLOBAL__N_124unique_dim_cuda_templateImEESt5tupleIJNSH_6TensorESM_SM_EERKSM_lbbbEUlllE0_EEPmJS6_EEE10hipError_tPvRmT3_T4_T5_T6_T7_T9_mT8_P12ihipStream_tbDpT10_ENKUlT_T0_E_clISt17integral_constantIbLb0EES1C_EEDaS17_S18_EUlS17_E_NS1_11comp_targetILNS1_3genE8ELNS1_11target_archE1030ELNS1_3gpuE2ELNS1_3repE0EEENS1_30default_config_static_selectorELNS0_4arch9wavefront6targetE1EEEvT1_.has_dyn_sized_stack, 0
	.set _ZN7rocprim17ROCPRIM_400000_NS6detail17trampoline_kernelINS0_14default_configENS1_25partition_config_selectorILNS1_17partition_subalgoE8ElNS0_10empty_typeEbEEZZNS1_14partition_implILS5_8ELb0ES3_jPlPS6_PKS6_NS0_5tupleIJS9_S6_EEENSD_IJSA_SA_EEENS0_18inequality_wrapperIZN2at6native12_GLOBAL__N_124unique_dim_cuda_templateImEESt5tupleIJNSH_6TensorESM_SM_EERKSM_lbbbEUlllE0_EEPmJS6_EEE10hipError_tPvRmT3_T4_T5_T6_T7_T9_mT8_P12ihipStream_tbDpT10_ENKUlT_T0_E_clISt17integral_constantIbLb0EES1C_EEDaS17_S18_EUlS17_E_NS1_11comp_targetILNS1_3genE8ELNS1_11target_archE1030ELNS1_3gpuE2ELNS1_3repE0EEENS1_30default_config_static_selectorELNS0_4arch9wavefront6targetE1EEEvT1_.has_recursion, 0
	.set _ZN7rocprim17ROCPRIM_400000_NS6detail17trampoline_kernelINS0_14default_configENS1_25partition_config_selectorILNS1_17partition_subalgoE8ElNS0_10empty_typeEbEEZZNS1_14partition_implILS5_8ELb0ES3_jPlPS6_PKS6_NS0_5tupleIJS9_S6_EEENSD_IJSA_SA_EEENS0_18inequality_wrapperIZN2at6native12_GLOBAL__N_124unique_dim_cuda_templateImEESt5tupleIJNSH_6TensorESM_SM_EERKSM_lbbbEUlllE0_EEPmJS6_EEE10hipError_tPvRmT3_T4_T5_T6_T7_T9_mT8_P12ihipStream_tbDpT10_ENKUlT_T0_E_clISt17integral_constantIbLb0EES1C_EEDaS17_S18_EUlS17_E_NS1_11comp_targetILNS1_3genE8ELNS1_11target_archE1030ELNS1_3gpuE2ELNS1_3repE0EEENS1_30default_config_static_selectorELNS0_4arch9wavefront6targetE1EEEvT1_.has_indirect_call, 0
	.section	.AMDGPU.csdata,"",@progbits
; Kernel info:
; codeLenInByte = 0
; TotalNumSgprs: 6
; NumVgprs: 0
; NumAgprs: 0
; TotalNumVgprs: 0
; ScratchSize: 0
; MemoryBound: 0
; FloatMode: 240
; IeeeMode: 1
; LDSByteSize: 0 bytes/workgroup (compile time only)
; SGPRBlocks: 0
; VGPRBlocks: 0
; NumSGPRsForWavesPerEU: 6
; NumVGPRsForWavesPerEU: 1
; AccumOffset: 4
; Occupancy: 8
; WaveLimiterHint : 0
; COMPUTE_PGM_RSRC2:SCRATCH_EN: 0
; COMPUTE_PGM_RSRC2:USER_SGPR: 2
; COMPUTE_PGM_RSRC2:TRAP_HANDLER: 0
; COMPUTE_PGM_RSRC2:TGID_X_EN: 1
; COMPUTE_PGM_RSRC2:TGID_Y_EN: 0
; COMPUTE_PGM_RSRC2:TGID_Z_EN: 0
; COMPUTE_PGM_RSRC2:TIDIG_COMP_CNT: 0
; COMPUTE_PGM_RSRC3_GFX90A:ACCUM_OFFSET: 0
; COMPUTE_PGM_RSRC3_GFX90A:TG_SPLIT: 0
	.section	.text._ZN7rocprim17ROCPRIM_400000_NS6detail17trampoline_kernelINS0_14default_configENS1_25partition_config_selectorILNS1_17partition_subalgoE8ElNS0_10empty_typeEbEEZZNS1_14partition_implILS5_8ELb0ES3_jPlPS6_PKS6_NS0_5tupleIJS9_S6_EEENSD_IJSA_SA_EEENS0_18inequality_wrapperIZN2at6native12_GLOBAL__N_124unique_dim_cuda_templateImEESt5tupleIJNSH_6TensorESM_SM_EERKSM_lbbbEUlllE0_EEPmJS6_EEE10hipError_tPvRmT3_T4_T5_T6_T7_T9_mT8_P12ihipStream_tbDpT10_ENKUlT_T0_E_clISt17integral_constantIbLb1EES1C_EEDaS17_S18_EUlS17_E_NS1_11comp_targetILNS1_3genE0ELNS1_11target_archE4294967295ELNS1_3gpuE0ELNS1_3repE0EEENS1_30default_config_static_selectorELNS0_4arch9wavefront6targetE1EEEvT1_,"axG",@progbits,_ZN7rocprim17ROCPRIM_400000_NS6detail17trampoline_kernelINS0_14default_configENS1_25partition_config_selectorILNS1_17partition_subalgoE8ElNS0_10empty_typeEbEEZZNS1_14partition_implILS5_8ELb0ES3_jPlPS6_PKS6_NS0_5tupleIJS9_S6_EEENSD_IJSA_SA_EEENS0_18inequality_wrapperIZN2at6native12_GLOBAL__N_124unique_dim_cuda_templateImEESt5tupleIJNSH_6TensorESM_SM_EERKSM_lbbbEUlllE0_EEPmJS6_EEE10hipError_tPvRmT3_T4_T5_T6_T7_T9_mT8_P12ihipStream_tbDpT10_ENKUlT_T0_E_clISt17integral_constantIbLb1EES1C_EEDaS17_S18_EUlS17_E_NS1_11comp_targetILNS1_3genE0ELNS1_11target_archE4294967295ELNS1_3gpuE0ELNS1_3repE0EEENS1_30default_config_static_selectorELNS0_4arch9wavefront6targetE1EEEvT1_,comdat
	.globl	_ZN7rocprim17ROCPRIM_400000_NS6detail17trampoline_kernelINS0_14default_configENS1_25partition_config_selectorILNS1_17partition_subalgoE8ElNS0_10empty_typeEbEEZZNS1_14partition_implILS5_8ELb0ES3_jPlPS6_PKS6_NS0_5tupleIJS9_S6_EEENSD_IJSA_SA_EEENS0_18inequality_wrapperIZN2at6native12_GLOBAL__N_124unique_dim_cuda_templateImEESt5tupleIJNSH_6TensorESM_SM_EERKSM_lbbbEUlllE0_EEPmJS6_EEE10hipError_tPvRmT3_T4_T5_T6_T7_T9_mT8_P12ihipStream_tbDpT10_ENKUlT_T0_E_clISt17integral_constantIbLb1EES1C_EEDaS17_S18_EUlS17_E_NS1_11comp_targetILNS1_3genE0ELNS1_11target_archE4294967295ELNS1_3gpuE0ELNS1_3repE0EEENS1_30default_config_static_selectorELNS0_4arch9wavefront6targetE1EEEvT1_ ; -- Begin function _ZN7rocprim17ROCPRIM_400000_NS6detail17trampoline_kernelINS0_14default_configENS1_25partition_config_selectorILNS1_17partition_subalgoE8ElNS0_10empty_typeEbEEZZNS1_14partition_implILS5_8ELb0ES3_jPlPS6_PKS6_NS0_5tupleIJS9_S6_EEENSD_IJSA_SA_EEENS0_18inequality_wrapperIZN2at6native12_GLOBAL__N_124unique_dim_cuda_templateImEESt5tupleIJNSH_6TensorESM_SM_EERKSM_lbbbEUlllE0_EEPmJS6_EEE10hipError_tPvRmT3_T4_T5_T6_T7_T9_mT8_P12ihipStream_tbDpT10_ENKUlT_T0_E_clISt17integral_constantIbLb1EES1C_EEDaS17_S18_EUlS17_E_NS1_11comp_targetILNS1_3genE0ELNS1_11target_archE4294967295ELNS1_3gpuE0ELNS1_3repE0EEENS1_30default_config_static_selectorELNS0_4arch9wavefront6targetE1EEEvT1_
	.p2align	8
	.type	_ZN7rocprim17ROCPRIM_400000_NS6detail17trampoline_kernelINS0_14default_configENS1_25partition_config_selectorILNS1_17partition_subalgoE8ElNS0_10empty_typeEbEEZZNS1_14partition_implILS5_8ELb0ES3_jPlPS6_PKS6_NS0_5tupleIJS9_S6_EEENSD_IJSA_SA_EEENS0_18inequality_wrapperIZN2at6native12_GLOBAL__N_124unique_dim_cuda_templateImEESt5tupleIJNSH_6TensorESM_SM_EERKSM_lbbbEUlllE0_EEPmJS6_EEE10hipError_tPvRmT3_T4_T5_T6_T7_T9_mT8_P12ihipStream_tbDpT10_ENKUlT_T0_E_clISt17integral_constantIbLb1EES1C_EEDaS17_S18_EUlS17_E_NS1_11comp_targetILNS1_3genE0ELNS1_11target_archE4294967295ELNS1_3gpuE0ELNS1_3repE0EEENS1_30default_config_static_selectorELNS0_4arch9wavefront6targetE1EEEvT1_,@function
_ZN7rocprim17ROCPRIM_400000_NS6detail17trampoline_kernelINS0_14default_configENS1_25partition_config_selectorILNS1_17partition_subalgoE8ElNS0_10empty_typeEbEEZZNS1_14partition_implILS5_8ELb0ES3_jPlPS6_PKS6_NS0_5tupleIJS9_S6_EEENSD_IJSA_SA_EEENS0_18inequality_wrapperIZN2at6native12_GLOBAL__N_124unique_dim_cuda_templateImEESt5tupleIJNSH_6TensorESM_SM_EERKSM_lbbbEUlllE0_EEPmJS6_EEE10hipError_tPvRmT3_T4_T5_T6_T7_T9_mT8_P12ihipStream_tbDpT10_ENKUlT_T0_E_clISt17integral_constantIbLb1EES1C_EEDaS17_S18_EUlS17_E_NS1_11comp_targetILNS1_3genE0ELNS1_11target_archE4294967295ELNS1_3gpuE0ELNS1_3repE0EEENS1_30default_config_static_selectorELNS0_4arch9wavefront6targetE1EEEvT1_: ; @_ZN7rocprim17ROCPRIM_400000_NS6detail17trampoline_kernelINS0_14default_configENS1_25partition_config_selectorILNS1_17partition_subalgoE8ElNS0_10empty_typeEbEEZZNS1_14partition_implILS5_8ELb0ES3_jPlPS6_PKS6_NS0_5tupleIJS9_S6_EEENSD_IJSA_SA_EEENS0_18inequality_wrapperIZN2at6native12_GLOBAL__N_124unique_dim_cuda_templateImEESt5tupleIJNSH_6TensorESM_SM_EERKSM_lbbbEUlllE0_EEPmJS6_EEE10hipError_tPvRmT3_T4_T5_T6_T7_T9_mT8_P12ihipStream_tbDpT10_ENKUlT_T0_E_clISt17integral_constantIbLb1EES1C_EEDaS17_S18_EUlS17_E_NS1_11comp_targetILNS1_3genE0ELNS1_11target_archE4294967295ELNS1_3gpuE0ELNS1_3repE0EEENS1_30default_config_static_selectorELNS0_4arch9wavefront6targetE1EEEvT1_
; %bb.0:
	s_endpgm
	.section	.rodata,"a",@progbits
	.p2align	6, 0x0
	.amdhsa_kernel _ZN7rocprim17ROCPRIM_400000_NS6detail17trampoline_kernelINS0_14default_configENS1_25partition_config_selectorILNS1_17partition_subalgoE8ElNS0_10empty_typeEbEEZZNS1_14partition_implILS5_8ELb0ES3_jPlPS6_PKS6_NS0_5tupleIJS9_S6_EEENSD_IJSA_SA_EEENS0_18inequality_wrapperIZN2at6native12_GLOBAL__N_124unique_dim_cuda_templateImEESt5tupleIJNSH_6TensorESM_SM_EERKSM_lbbbEUlllE0_EEPmJS6_EEE10hipError_tPvRmT3_T4_T5_T6_T7_T9_mT8_P12ihipStream_tbDpT10_ENKUlT_T0_E_clISt17integral_constantIbLb1EES1C_EEDaS17_S18_EUlS17_E_NS1_11comp_targetILNS1_3genE0ELNS1_11target_archE4294967295ELNS1_3gpuE0ELNS1_3repE0EEENS1_30default_config_static_selectorELNS0_4arch9wavefront6targetE1EEEvT1_
		.amdhsa_group_segment_fixed_size 0
		.amdhsa_private_segment_fixed_size 0
		.amdhsa_kernarg_size 136
		.amdhsa_user_sgpr_count 2
		.amdhsa_user_sgpr_dispatch_ptr 0
		.amdhsa_user_sgpr_queue_ptr 0
		.amdhsa_user_sgpr_kernarg_segment_ptr 1
		.amdhsa_user_sgpr_dispatch_id 0
		.amdhsa_user_sgpr_kernarg_preload_length 0
		.amdhsa_user_sgpr_kernarg_preload_offset 0
		.amdhsa_user_sgpr_private_segment_size 0
		.amdhsa_uses_dynamic_stack 0
		.amdhsa_enable_private_segment 0
		.amdhsa_system_sgpr_workgroup_id_x 1
		.amdhsa_system_sgpr_workgroup_id_y 0
		.amdhsa_system_sgpr_workgroup_id_z 0
		.amdhsa_system_sgpr_workgroup_info 0
		.amdhsa_system_vgpr_workitem_id 0
		.amdhsa_next_free_vgpr 1
		.amdhsa_next_free_sgpr 0
		.amdhsa_accum_offset 4
		.amdhsa_reserve_vcc 0
		.amdhsa_float_round_mode_32 0
		.amdhsa_float_round_mode_16_64 0
		.amdhsa_float_denorm_mode_32 3
		.amdhsa_float_denorm_mode_16_64 3
		.amdhsa_dx10_clamp 1
		.amdhsa_ieee_mode 1
		.amdhsa_fp16_overflow 0
		.amdhsa_tg_split 0
		.amdhsa_exception_fp_ieee_invalid_op 0
		.amdhsa_exception_fp_denorm_src 0
		.amdhsa_exception_fp_ieee_div_zero 0
		.amdhsa_exception_fp_ieee_overflow 0
		.amdhsa_exception_fp_ieee_underflow 0
		.amdhsa_exception_fp_ieee_inexact 0
		.amdhsa_exception_int_div_zero 0
	.end_amdhsa_kernel
	.section	.text._ZN7rocprim17ROCPRIM_400000_NS6detail17trampoline_kernelINS0_14default_configENS1_25partition_config_selectorILNS1_17partition_subalgoE8ElNS0_10empty_typeEbEEZZNS1_14partition_implILS5_8ELb0ES3_jPlPS6_PKS6_NS0_5tupleIJS9_S6_EEENSD_IJSA_SA_EEENS0_18inequality_wrapperIZN2at6native12_GLOBAL__N_124unique_dim_cuda_templateImEESt5tupleIJNSH_6TensorESM_SM_EERKSM_lbbbEUlllE0_EEPmJS6_EEE10hipError_tPvRmT3_T4_T5_T6_T7_T9_mT8_P12ihipStream_tbDpT10_ENKUlT_T0_E_clISt17integral_constantIbLb1EES1C_EEDaS17_S18_EUlS17_E_NS1_11comp_targetILNS1_3genE0ELNS1_11target_archE4294967295ELNS1_3gpuE0ELNS1_3repE0EEENS1_30default_config_static_selectorELNS0_4arch9wavefront6targetE1EEEvT1_,"axG",@progbits,_ZN7rocprim17ROCPRIM_400000_NS6detail17trampoline_kernelINS0_14default_configENS1_25partition_config_selectorILNS1_17partition_subalgoE8ElNS0_10empty_typeEbEEZZNS1_14partition_implILS5_8ELb0ES3_jPlPS6_PKS6_NS0_5tupleIJS9_S6_EEENSD_IJSA_SA_EEENS0_18inequality_wrapperIZN2at6native12_GLOBAL__N_124unique_dim_cuda_templateImEESt5tupleIJNSH_6TensorESM_SM_EERKSM_lbbbEUlllE0_EEPmJS6_EEE10hipError_tPvRmT3_T4_T5_T6_T7_T9_mT8_P12ihipStream_tbDpT10_ENKUlT_T0_E_clISt17integral_constantIbLb1EES1C_EEDaS17_S18_EUlS17_E_NS1_11comp_targetILNS1_3genE0ELNS1_11target_archE4294967295ELNS1_3gpuE0ELNS1_3repE0EEENS1_30default_config_static_selectorELNS0_4arch9wavefront6targetE1EEEvT1_,comdat
.Lfunc_end1671:
	.size	_ZN7rocprim17ROCPRIM_400000_NS6detail17trampoline_kernelINS0_14default_configENS1_25partition_config_selectorILNS1_17partition_subalgoE8ElNS0_10empty_typeEbEEZZNS1_14partition_implILS5_8ELb0ES3_jPlPS6_PKS6_NS0_5tupleIJS9_S6_EEENSD_IJSA_SA_EEENS0_18inequality_wrapperIZN2at6native12_GLOBAL__N_124unique_dim_cuda_templateImEESt5tupleIJNSH_6TensorESM_SM_EERKSM_lbbbEUlllE0_EEPmJS6_EEE10hipError_tPvRmT3_T4_T5_T6_T7_T9_mT8_P12ihipStream_tbDpT10_ENKUlT_T0_E_clISt17integral_constantIbLb1EES1C_EEDaS17_S18_EUlS17_E_NS1_11comp_targetILNS1_3genE0ELNS1_11target_archE4294967295ELNS1_3gpuE0ELNS1_3repE0EEENS1_30default_config_static_selectorELNS0_4arch9wavefront6targetE1EEEvT1_, .Lfunc_end1671-_ZN7rocprim17ROCPRIM_400000_NS6detail17trampoline_kernelINS0_14default_configENS1_25partition_config_selectorILNS1_17partition_subalgoE8ElNS0_10empty_typeEbEEZZNS1_14partition_implILS5_8ELb0ES3_jPlPS6_PKS6_NS0_5tupleIJS9_S6_EEENSD_IJSA_SA_EEENS0_18inequality_wrapperIZN2at6native12_GLOBAL__N_124unique_dim_cuda_templateImEESt5tupleIJNSH_6TensorESM_SM_EERKSM_lbbbEUlllE0_EEPmJS6_EEE10hipError_tPvRmT3_T4_T5_T6_T7_T9_mT8_P12ihipStream_tbDpT10_ENKUlT_T0_E_clISt17integral_constantIbLb1EES1C_EEDaS17_S18_EUlS17_E_NS1_11comp_targetILNS1_3genE0ELNS1_11target_archE4294967295ELNS1_3gpuE0ELNS1_3repE0EEENS1_30default_config_static_selectorELNS0_4arch9wavefront6targetE1EEEvT1_
                                        ; -- End function
	.set _ZN7rocprim17ROCPRIM_400000_NS6detail17trampoline_kernelINS0_14default_configENS1_25partition_config_selectorILNS1_17partition_subalgoE8ElNS0_10empty_typeEbEEZZNS1_14partition_implILS5_8ELb0ES3_jPlPS6_PKS6_NS0_5tupleIJS9_S6_EEENSD_IJSA_SA_EEENS0_18inequality_wrapperIZN2at6native12_GLOBAL__N_124unique_dim_cuda_templateImEESt5tupleIJNSH_6TensorESM_SM_EERKSM_lbbbEUlllE0_EEPmJS6_EEE10hipError_tPvRmT3_T4_T5_T6_T7_T9_mT8_P12ihipStream_tbDpT10_ENKUlT_T0_E_clISt17integral_constantIbLb1EES1C_EEDaS17_S18_EUlS17_E_NS1_11comp_targetILNS1_3genE0ELNS1_11target_archE4294967295ELNS1_3gpuE0ELNS1_3repE0EEENS1_30default_config_static_selectorELNS0_4arch9wavefront6targetE1EEEvT1_.num_vgpr, 0
	.set _ZN7rocprim17ROCPRIM_400000_NS6detail17trampoline_kernelINS0_14default_configENS1_25partition_config_selectorILNS1_17partition_subalgoE8ElNS0_10empty_typeEbEEZZNS1_14partition_implILS5_8ELb0ES3_jPlPS6_PKS6_NS0_5tupleIJS9_S6_EEENSD_IJSA_SA_EEENS0_18inequality_wrapperIZN2at6native12_GLOBAL__N_124unique_dim_cuda_templateImEESt5tupleIJNSH_6TensorESM_SM_EERKSM_lbbbEUlllE0_EEPmJS6_EEE10hipError_tPvRmT3_T4_T5_T6_T7_T9_mT8_P12ihipStream_tbDpT10_ENKUlT_T0_E_clISt17integral_constantIbLb1EES1C_EEDaS17_S18_EUlS17_E_NS1_11comp_targetILNS1_3genE0ELNS1_11target_archE4294967295ELNS1_3gpuE0ELNS1_3repE0EEENS1_30default_config_static_selectorELNS0_4arch9wavefront6targetE1EEEvT1_.num_agpr, 0
	.set _ZN7rocprim17ROCPRIM_400000_NS6detail17trampoline_kernelINS0_14default_configENS1_25partition_config_selectorILNS1_17partition_subalgoE8ElNS0_10empty_typeEbEEZZNS1_14partition_implILS5_8ELb0ES3_jPlPS6_PKS6_NS0_5tupleIJS9_S6_EEENSD_IJSA_SA_EEENS0_18inequality_wrapperIZN2at6native12_GLOBAL__N_124unique_dim_cuda_templateImEESt5tupleIJNSH_6TensorESM_SM_EERKSM_lbbbEUlllE0_EEPmJS6_EEE10hipError_tPvRmT3_T4_T5_T6_T7_T9_mT8_P12ihipStream_tbDpT10_ENKUlT_T0_E_clISt17integral_constantIbLb1EES1C_EEDaS17_S18_EUlS17_E_NS1_11comp_targetILNS1_3genE0ELNS1_11target_archE4294967295ELNS1_3gpuE0ELNS1_3repE0EEENS1_30default_config_static_selectorELNS0_4arch9wavefront6targetE1EEEvT1_.numbered_sgpr, 0
	.set _ZN7rocprim17ROCPRIM_400000_NS6detail17trampoline_kernelINS0_14default_configENS1_25partition_config_selectorILNS1_17partition_subalgoE8ElNS0_10empty_typeEbEEZZNS1_14partition_implILS5_8ELb0ES3_jPlPS6_PKS6_NS0_5tupleIJS9_S6_EEENSD_IJSA_SA_EEENS0_18inequality_wrapperIZN2at6native12_GLOBAL__N_124unique_dim_cuda_templateImEESt5tupleIJNSH_6TensorESM_SM_EERKSM_lbbbEUlllE0_EEPmJS6_EEE10hipError_tPvRmT3_T4_T5_T6_T7_T9_mT8_P12ihipStream_tbDpT10_ENKUlT_T0_E_clISt17integral_constantIbLb1EES1C_EEDaS17_S18_EUlS17_E_NS1_11comp_targetILNS1_3genE0ELNS1_11target_archE4294967295ELNS1_3gpuE0ELNS1_3repE0EEENS1_30default_config_static_selectorELNS0_4arch9wavefront6targetE1EEEvT1_.num_named_barrier, 0
	.set _ZN7rocprim17ROCPRIM_400000_NS6detail17trampoline_kernelINS0_14default_configENS1_25partition_config_selectorILNS1_17partition_subalgoE8ElNS0_10empty_typeEbEEZZNS1_14partition_implILS5_8ELb0ES3_jPlPS6_PKS6_NS0_5tupleIJS9_S6_EEENSD_IJSA_SA_EEENS0_18inequality_wrapperIZN2at6native12_GLOBAL__N_124unique_dim_cuda_templateImEESt5tupleIJNSH_6TensorESM_SM_EERKSM_lbbbEUlllE0_EEPmJS6_EEE10hipError_tPvRmT3_T4_T5_T6_T7_T9_mT8_P12ihipStream_tbDpT10_ENKUlT_T0_E_clISt17integral_constantIbLb1EES1C_EEDaS17_S18_EUlS17_E_NS1_11comp_targetILNS1_3genE0ELNS1_11target_archE4294967295ELNS1_3gpuE0ELNS1_3repE0EEENS1_30default_config_static_selectorELNS0_4arch9wavefront6targetE1EEEvT1_.private_seg_size, 0
	.set _ZN7rocprim17ROCPRIM_400000_NS6detail17trampoline_kernelINS0_14default_configENS1_25partition_config_selectorILNS1_17partition_subalgoE8ElNS0_10empty_typeEbEEZZNS1_14partition_implILS5_8ELb0ES3_jPlPS6_PKS6_NS0_5tupleIJS9_S6_EEENSD_IJSA_SA_EEENS0_18inequality_wrapperIZN2at6native12_GLOBAL__N_124unique_dim_cuda_templateImEESt5tupleIJNSH_6TensorESM_SM_EERKSM_lbbbEUlllE0_EEPmJS6_EEE10hipError_tPvRmT3_T4_T5_T6_T7_T9_mT8_P12ihipStream_tbDpT10_ENKUlT_T0_E_clISt17integral_constantIbLb1EES1C_EEDaS17_S18_EUlS17_E_NS1_11comp_targetILNS1_3genE0ELNS1_11target_archE4294967295ELNS1_3gpuE0ELNS1_3repE0EEENS1_30default_config_static_selectorELNS0_4arch9wavefront6targetE1EEEvT1_.uses_vcc, 0
	.set _ZN7rocprim17ROCPRIM_400000_NS6detail17trampoline_kernelINS0_14default_configENS1_25partition_config_selectorILNS1_17partition_subalgoE8ElNS0_10empty_typeEbEEZZNS1_14partition_implILS5_8ELb0ES3_jPlPS6_PKS6_NS0_5tupleIJS9_S6_EEENSD_IJSA_SA_EEENS0_18inequality_wrapperIZN2at6native12_GLOBAL__N_124unique_dim_cuda_templateImEESt5tupleIJNSH_6TensorESM_SM_EERKSM_lbbbEUlllE0_EEPmJS6_EEE10hipError_tPvRmT3_T4_T5_T6_T7_T9_mT8_P12ihipStream_tbDpT10_ENKUlT_T0_E_clISt17integral_constantIbLb1EES1C_EEDaS17_S18_EUlS17_E_NS1_11comp_targetILNS1_3genE0ELNS1_11target_archE4294967295ELNS1_3gpuE0ELNS1_3repE0EEENS1_30default_config_static_selectorELNS0_4arch9wavefront6targetE1EEEvT1_.uses_flat_scratch, 0
	.set _ZN7rocprim17ROCPRIM_400000_NS6detail17trampoline_kernelINS0_14default_configENS1_25partition_config_selectorILNS1_17partition_subalgoE8ElNS0_10empty_typeEbEEZZNS1_14partition_implILS5_8ELb0ES3_jPlPS6_PKS6_NS0_5tupleIJS9_S6_EEENSD_IJSA_SA_EEENS0_18inequality_wrapperIZN2at6native12_GLOBAL__N_124unique_dim_cuda_templateImEESt5tupleIJNSH_6TensorESM_SM_EERKSM_lbbbEUlllE0_EEPmJS6_EEE10hipError_tPvRmT3_T4_T5_T6_T7_T9_mT8_P12ihipStream_tbDpT10_ENKUlT_T0_E_clISt17integral_constantIbLb1EES1C_EEDaS17_S18_EUlS17_E_NS1_11comp_targetILNS1_3genE0ELNS1_11target_archE4294967295ELNS1_3gpuE0ELNS1_3repE0EEENS1_30default_config_static_selectorELNS0_4arch9wavefront6targetE1EEEvT1_.has_dyn_sized_stack, 0
	.set _ZN7rocprim17ROCPRIM_400000_NS6detail17trampoline_kernelINS0_14default_configENS1_25partition_config_selectorILNS1_17partition_subalgoE8ElNS0_10empty_typeEbEEZZNS1_14partition_implILS5_8ELb0ES3_jPlPS6_PKS6_NS0_5tupleIJS9_S6_EEENSD_IJSA_SA_EEENS0_18inequality_wrapperIZN2at6native12_GLOBAL__N_124unique_dim_cuda_templateImEESt5tupleIJNSH_6TensorESM_SM_EERKSM_lbbbEUlllE0_EEPmJS6_EEE10hipError_tPvRmT3_T4_T5_T6_T7_T9_mT8_P12ihipStream_tbDpT10_ENKUlT_T0_E_clISt17integral_constantIbLb1EES1C_EEDaS17_S18_EUlS17_E_NS1_11comp_targetILNS1_3genE0ELNS1_11target_archE4294967295ELNS1_3gpuE0ELNS1_3repE0EEENS1_30default_config_static_selectorELNS0_4arch9wavefront6targetE1EEEvT1_.has_recursion, 0
	.set _ZN7rocprim17ROCPRIM_400000_NS6detail17trampoline_kernelINS0_14default_configENS1_25partition_config_selectorILNS1_17partition_subalgoE8ElNS0_10empty_typeEbEEZZNS1_14partition_implILS5_8ELb0ES3_jPlPS6_PKS6_NS0_5tupleIJS9_S6_EEENSD_IJSA_SA_EEENS0_18inequality_wrapperIZN2at6native12_GLOBAL__N_124unique_dim_cuda_templateImEESt5tupleIJNSH_6TensorESM_SM_EERKSM_lbbbEUlllE0_EEPmJS6_EEE10hipError_tPvRmT3_T4_T5_T6_T7_T9_mT8_P12ihipStream_tbDpT10_ENKUlT_T0_E_clISt17integral_constantIbLb1EES1C_EEDaS17_S18_EUlS17_E_NS1_11comp_targetILNS1_3genE0ELNS1_11target_archE4294967295ELNS1_3gpuE0ELNS1_3repE0EEENS1_30default_config_static_selectorELNS0_4arch9wavefront6targetE1EEEvT1_.has_indirect_call, 0
	.section	.AMDGPU.csdata,"",@progbits
; Kernel info:
; codeLenInByte = 4
; TotalNumSgprs: 6
; NumVgprs: 0
; NumAgprs: 0
; TotalNumVgprs: 0
; ScratchSize: 0
; MemoryBound: 0
; FloatMode: 240
; IeeeMode: 1
; LDSByteSize: 0 bytes/workgroup (compile time only)
; SGPRBlocks: 0
; VGPRBlocks: 0
; NumSGPRsForWavesPerEU: 6
; NumVGPRsForWavesPerEU: 1
; AccumOffset: 4
; Occupancy: 8
; WaveLimiterHint : 0
; COMPUTE_PGM_RSRC2:SCRATCH_EN: 0
; COMPUTE_PGM_RSRC2:USER_SGPR: 2
; COMPUTE_PGM_RSRC2:TRAP_HANDLER: 0
; COMPUTE_PGM_RSRC2:TGID_X_EN: 1
; COMPUTE_PGM_RSRC2:TGID_Y_EN: 0
; COMPUTE_PGM_RSRC2:TGID_Z_EN: 0
; COMPUTE_PGM_RSRC2:TIDIG_COMP_CNT: 0
; COMPUTE_PGM_RSRC3_GFX90A:ACCUM_OFFSET: 0
; COMPUTE_PGM_RSRC3_GFX90A:TG_SPLIT: 0
	.section	.text._ZN7rocprim17ROCPRIM_400000_NS6detail17trampoline_kernelINS0_14default_configENS1_25partition_config_selectorILNS1_17partition_subalgoE8ElNS0_10empty_typeEbEEZZNS1_14partition_implILS5_8ELb0ES3_jPlPS6_PKS6_NS0_5tupleIJS9_S6_EEENSD_IJSA_SA_EEENS0_18inequality_wrapperIZN2at6native12_GLOBAL__N_124unique_dim_cuda_templateImEESt5tupleIJNSH_6TensorESM_SM_EERKSM_lbbbEUlllE0_EEPmJS6_EEE10hipError_tPvRmT3_T4_T5_T6_T7_T9_mT8_P12ihipStream_tbDpT10_ENKUlT_T0_E_clISt17integral_constantIbLb1EES1C_EEDaS17_S18_EUlS17_E_NS1_11comp_targetILNS1_3genE5ELNS1_11target_archE942ELNS1_3gpuE9ELNS1_3repE0EEENS1_30default_config_static_selectorELNS0_4arch9wavefront6targetE1EEEvT1_,"axG",@progbits,_ZN7rocprim17ROCPRIM_400000_NS6detail17trampoline_kernelINS0_14default_configENS1_25partition_config_selectorILNS1_17partition_subalgoE8ElNS0_10empty_typeEbEEZZNS1_14partition_implILS5_8ELb0ES3_jPlPS6_PKS6_NS0_5tupleIJS9_S6_EEENSD_IJSA_SA_EEENS0_18inequality_wrapperIZN2at6native12_GLOBAL__N_124unique_dim_cuda_templateImEESt5tupleIJNSH_6TensorESM_SM_EERKSM_lbbbEUlllE0_EEPmJS6_EEE10hipError_tPvRmT3_T4_T5_T6_T7_T9_mT8_P12ihipStream_tbDpT10_ENKUlT_T0_E_clISt17integral_constantIbLb1EES1C_EEDaS17_S18_EUlS17_E_NS1_11comp_targetILNS1_3genE5ELNS1_11target_archE942ELNS1_3gpuE9ELNS1_3repE0EEENS1_30default_config_static_selectorELNS0_4arch9wavefront6targetE1EEEvT1_,comdat
	.globl	_ZN7rocprim17ROCPRIM_400000_NS6detail17trampoline_kernelINS0_14default_configENS1_25partition_config_selectorILNS1_17partition_subalgoE8ElNS0_10empty_typeEbEEZZNS1_14partition_implILS5_8ELb0ES3_jPlPS6_PKS6_NS0_5tupleIJS9_S6_EEENSD_IJSA_SA_EEENS0_18inequality_wrapperIZN2at6native12_GLOBAL__N_124unique_dim_cuda_templateImEESt5tupleIJNSH_6TensorESM_SM_EERKSM_lbbbEUlllE0_EEPmJS6_EEE10hipError_tPvRmT3_T4_T5_T6_T7_T9_mT8_P12ihipStream_tbDpT10_ENKUlT_T0_E_clISt17integral_constantIbLb1EES1C_EEDaS17_S18_EUlS17_E_NS1_11comp_targetILNS1_3genE5ELNS1_11target_archE942ELNS1_3gpuE9ELNS1_3repE0EEENS1_30default_config_static_selectorELNS0_4arch9wavefront6targetE1EEEvT1_ ; -- Begin function _ZN7rocprim17ROCPRIM_400000_NS6detail17trampoline_kernelINS0_14default_configENS1_25partition_config_selectorILNS1_17partition_subalgoE8ElNS0_10empty_typeEbEEZZNS1_14partition_implILS5_8ELb0ES3_jPlPS6_PKS6_NS0_5tupleIJS9_S6_EEENSD_IJSA_SA_EEENS0_18inequality_wrapperIZN2at6native12_GLOBAL__N_124unique_dim_cuda_templateImEESt5tupleIJNSH_6TensorESM_SM_EERKSM_lbbbEUlllE0_EEPmJS6_EEE10hipError_tPvRmT3_T4_T5_T6_T7_T9_mT8_P12ihipStream_tbDpT10_ENKUlT_T0_E_clISt17integral_constantIbLb1EES1C_EEDaS17_S18_EUlS17_E_NS1_11comp_targetILNS1_3genE5ELNS1_11target_archE942ELNS1_3gpuE9ELNS1_3repE0EEENS1_30default_config_static_selectorELNS0_4arch9wavefront6targetE1EEEvT1_
	.p2align	8
	.type	_ZN7rocprim17ROCPRIM_400000_NS6detail17trampoline_kernelINS0_14default_configENS1_25partition_config_selectorILNS1_17partition_subalgoE8ElNS0_10empty_typeEbEEZZNS1_14partition_implILS5_8ELb0ES3_jPlPS6_PKS6_NS0_5tupleIJS9_S6_EEENSD_IJSA_SA_EEENS0_18inequality_wrapperIZN2at6native12_GLOBAL__N_124unique_dim_cuda_templateImEESt5tupleIJNSH_6TensorESM_SM_EERKSM_lbbbEUlllE0_EEPmJS6_EEE10hipError_tPvRmT3_T4_T5_T6_T7_T9_mT8_P12ihipStream_tbDpT10_ENKUlT_T0_E_clISt17integral_constantIbLb1EES1C_EEDaS17_S18_EUlS17_E_NS1_11comp_targetILNS1_3genE5ELNS1_11target_archE942ELNS1_3gpuE9ELNS1_3repE0EEENS1_30default_config_static_selectorELNS0_4arch9wavefront6targetE1EEEvT1_,@function
_ZN7rocprim17ROCPRIM_400000_NS6detail17trampoline_kernelINS0_14default_configENS1_25partition_config_selectorILNS1_17partition_subalgoE8ElNS0_10empty_typeEbEEZZNS1_14partition_implILS5_8ELb0ES3_jPlPS6_PKS6_NS0_5tupleIJS9_S6_EEENSD_IJSA_SA_EEENS0_18inequality_wrapperIZN2at6native12_GLOBAL__N_124unique_dim_cuda_templateImEESt5tupleIJNSH_6TensorESM_SM_EERKSM_lbbbEUlllE0_EEPmJS6_EEE10hipError_tPvRmT3_T4_T5_T6_T7_T9_mT8_P12ihipStream_tbDpT10_ENKUlT_T0_E_clISt17integral_constantIbLb1EES1C_EEDaS17_S18_EUlS17_E_NS1_11comp_targetILNS1_3genE5ELNS1_11target_archE942ELNS1_3gpuE9ELNS1_3repE0EEENS1_30default_config_static_selectorELNS0_4arch9wavefront6targetE1EEEvT1_: ; @_ZN7rocprim17ROCPRIM_400000_NS6detail17trampoline_kernelINS0_14default_configENS1_25partition_config_selectorILNS1_17partition_subalgoE8ElNS0_10empty_typeEbEEZZNS1_14partition_implILS5_8ELb0ES3_jPlPS6_PKS6_NS0_5tupleIJS9_S6_EEENSD_IJSA_SA_EEENS0_18inequality_wrapperIZN2at6native12_GLOBAL__N_124unique_dim_cuda_templateImEESt5tupleIJNSH_6TensorESM_SM_EERKSM_lbbbEUlllE0_EEPmJS6_EEE10hipError_tPvRmT3_T4_T5_T6_T7_T9_mT8_P12ihipStream_tbDpT10_ENKUlT_T0_E_clISt17integral_constantIbLb1EES1C_EEDaS17_S18_EUlS17_E_NS1_11comp_targetILNS1_3genE5ELNS1_11target_archE942ELNS1_3gpuE9ELNS1_3repE0EEENS1_30default_config_static_selectorELNS0_4arch9wavefront6targetE1EEEvT1_
; %bb.0:
	.section	.rodata,"a",@progbits
	.p2align	6, 0x0
	.amdhsa_kernel _ZN7rocprim17ROCPRIM_400000_NS6detail17trampoline_kernelINS0_14default_configENS1_25partition_config_selectorILNS1_17partition_subalgoE8ElNS0_10empty_typeEbEEZZNS1_14partition_implILS5_8ELb0ES3_jPlPS6_PKS6_NS0_5tupleIJS9_S6_EEENSD_IJSA_SA_EEENS0_18inequality_wrapperIZN2at6native12_GLOBAL__N_124unique_dim_cuda_templateImEESt5tupleIJNSH_6TensorESM_SM_EERKSM_lbbbEUlllE0_EEPmJS6_EEE10hipError_tPvRmT3_T4_T5_T6_T7_T9_mT8_P12ihipStream_tbDpT10_ENKUlT_T0_E_clISt17integral_constantIbLb1EES1C_EEDaS17_S18_EUlS17_E_NS1_11comp_targetILNS1_3genE5ELNS1_11target_archE942ELNS1_3gpuE9ELNS1_3repE0EEENS1_30default_config_static_selectorELNS0_4arch9wavefront6targetE1EEEvT1_
		.amdhsa_group_segment_fixed_size 0
		.amdhsa_private_segment_fixed_size 0
		.amdhsa_kernarg_size 136
		.amdhsa_user_sgpr_count 2
		.amdhsa_user_sgpr_dispatch_ptr 0
		.amdhsa_user_sgpr_queue_ptr 0
		.amdhsa_user_sgpr_kernarg_segment_ptr 1
		.amdhsa_user_sgpr_dispatch_id 0
		.amdhsa_user_sgpr_kernarg_preload_length 0
		.amdhsa_user_sgpr_kernarg_preload_offset 0
		.amdhsa_user_sgpr_private_segment_size 0
		.amdhsa_uses_dynamic_stack 0
		.amdhsa_enable_private_segment 0
		.amdhsa_system_sgpr_workgroup_id_x 1
		.amdhsa_system_sgpr_workgroup_id_y 0
		.amdhsa_system_sgpr_workgroup_id_z 0
		.amdhsa_system_sgpr_workgroup_info 0
		.amdhsa_system_vgpr_workitem_id 0
		.amdhsa_next_free_vgpr 1
		.amdhsa_next_free_sgpr 0
		.amdhsa_accum_offset 4
		.amdhsa_reserve_vcc 0
		.amdhsa_float_round_mode_32 0
		.amdhsa_float_round_mode_16_64 0
		.amdhsa_float_denorm_mode_32 3
		.amdhsa_float_denorm_mode_16_64 3
		.amdhsa_dx10_clamp 1
		.amdhsa_ieee_mode 1
		.amdhsa_fp16_overflow 0
		.amdhsa_tg_split 0
		.amdhsa_exception_fp_ieee_invalid_op 0
		.amdhsa_exception_fp_denorm_src 0
		.amdhsa_exception_fp_ieee_div_zero 0
		.amdhsa_exception_fp_ieee_overflow 0
		.amdhsa_exception_fp_ieee_underflow 0
		.amdhsa_exception_fp_ieee_inexact 0
		.amdhsa_exception_int_div_zero 0
	.end_amdhsa_kernel
	.section	.text._ZN7rocprim17ROCPRIM_400000_NS6detail17trampoline_kernelINS0_14default_configENS1_25partition_config_selectorILNS1_17partition_subalgoE8ElNS0_10empty_typeEbEEZZNS1_14partition_implILS5_8ELb0ES3_jPlPS6_PKS6_NS0_5tupleIJS9_S6_EEENSD_IJSA_SA_EEENS0_18inequality_wrapperIZN2at6native12_GLOBAL__N_124unique_dim_cuda_templateImEESt5tupleIJNSH_6TensorESM_SM_EERKSM_lbbbEUlllE0_EEPmJS6_EEE10hipError_tPvRmT3_T4_T5_T6_T7_T9_mT8_P12ihipStream_tbDpT10_ENKUlT_T0_E_clISt17integral_constantIbLb1EES1C_EEDaS17_S18_EUlS17_E_NS1_11comp_targetILNS1_3genE5ELNS1_11target_archE942ELNS1_3gpuE9ELNS1_3repE0EEENS1_30default_config_static_selectorELNS0_4arch9wavefront6targetE1EEEvT1_,"axG",@progbits,_ZN7rocprim17ROCPRIM_400000_NS6detail17trampoline_kernelINS0_14default_configENS1_25partition_config_selectorILNS1_17partition_subalgoE8ElNS0_10empty_typeEbEEZZNS1_14partition_implILS5_8ELb0ES3_jPlPS6_PKS6_NS0_5tupleIJS9_S6_EEENSD_IJSA_SA_EEENS0_18inequality_wrapperIZN2at6native12_GLOBAL__N_124unique_dim_cuda_templateImEESt5tupleIJNSH_6TensorESM_SM_EERKSM_lbbbEUlllE0_EEPmJS6_EEE10hipError_tPvRmT3_T4_T5_T6_T7_T9_mT8_P12ihipStream_tbDpT10_ENKUlT_T0_E_clISt17integral_constantIbLb1EES1C_EEDaS17_S18_EUlS17_E_NS1_11comp_targetILNS1_3genE5ELNS1_11target_archE942ELNS1_3gpuE9ELNS1_3repE0EEENS1_30default_config_static_selectorELNS0_4arch9wavefront6targetE1EEEvT1_,comdat
.Lfunc_end1672:
	.size	_ZN7rocprim17ROCPRIM_400000_NS6detail17trampoline_kernelINS0_14default_configENS1_25partition_config_selectorILNS1_17partition_subalgoE8ElNS0_10empty_typeEbEEZZNS1_14partition_implILS5_8ELb0ES3_jPlPS6_PKS6_NS0_5tupleIJS9_S6_EEENSD_IJSA_SA_EEENS0_18inequality_wrapperIZN2at6native12_GLOBAL__N_124unique_dim_cuda_templateImEESt5tupleIJNSH_6TensorESM_SM_EERKSM_lbbbEUlllE0_EEPmJS6_EEE10hipError_tPvRmT3_T4_T5_T6_T7_T9_mT8_P12ihipStream_tbDpT10_ENKUlT_T0_E_clISt17integral_constantIbLb1EES1C_EEDaS17_S18_EUlS17_E_NS1_11comp_targetILNS1_3genE5ELNS1_11target_archE942ELNS1_3gpuE9ELNS1_3repE0EEENS1_30default_config_static_selectorELNS0_4arch9wavefront6targetE1EEEvT1_, .Lfunc_end1672-_ZN7rocprim17ROCPRIM_400000_NS6detail17trampoline_kernelINS0_14default_configENS1_25partition_config_selectorILNS1_17partition_subalgoE8ElNS0_10empty_typeEbEEZZNS1_14partition_implILS5_8ELb0ES3_jPlPS6_PKS6_NS0_5tupleIJS9_S6_EEENSD_IJSA_SA_EEENS0_18inequality_wrapperIZN2at6native12_GLOBAL__N_124unique_dim_cuda_templateImEESt5tupleIJNSH_6TensorESM_SM_EERKSM_lbbbEUlllE0_EEPmJS6_EEE10hipError_tPvRmT3_T4_T5_T6_T7_T9_mT8_P12ihipStream_tbDpT10_ENKUlT_T0_E_clISt17integral_constantIbLb1EES1C_EEDaS17_S18_EUlS17_E_NS1_11comp_targetILNS1_3genE5ELNS1_11target_archE942ELNS1_3gpuE9ELNS1_3repE0EEENS1_30default_config_static_selectorELNS0_4arch9wavefront6targetE1EEEvT1_
                                        ; -- End function
	.set _ZN7rocprim17ROCPRIM_400000_NS6detail17trampoline_kernelINS0_14default_configENS1_25partition_config_selectorILNS1_17partition_subalgoE8ElNS0_10empty_typeEbEEZZNS1_14partition_implILS5_8ELb0ES3_jPlPS6_PKS6_NS0_5tupleIJS9_S6_EEENSD_IJSA_SA_EEENS0_18inequality_wrapperIZN2at6native12_GLOBAL__N_124unique_dim_cuda_templateImEESt5tupleIJNSH_6TensorESM_SM_EERKSM_lbbbEUlllE0_EEPmJS6_EEE10hipError_tPvRmT3_T4_T5_T6_T7_T9_mT8_P12ihipStream_tbDpT10_ENKUlT_T0_E_clISt17integral_constantIbLb1EES1C_EEDaS17_S18_EUlS17_E_NS1_11comp_targetILNS1_3genE5ELNS1_11target_archE942ELNS1_3gpuE9ELNS1_3repE0EEENS1_30default_config_static_selectorELNS0_4arch9wavefront6targetE1EEEvT1_.num_vgpr, 0
	.set _ZN7rocprim17ROCPRIM_400000_NS6detail17trampoline_kernelINS0_14default_configENS1_25partition_config_selectorILNS1_17partition_subalgoE8ElNS0_10empty_typeEbEEZZNS1_14partition_implILS5_8ELb0ES3_jPlPS6_PKS6_NS0_5tupleIJS9_S6_EEENSD_IJSA_SA_EEENS0_18inequality_wrapperIZN2at6native12_GLOBAL__N_124unique_dim_cuda_templateImEESt5tupleIJNSH_6TensorESM_SM_EERKSM_lbbbEUlllE0_EEPmJS6_EEE10hipError_tPvRmT3_T4_T5_T6_T7_T9_mT8_P12ihipStream_tbDpT10_ENKUlT_T0_E_clISt17integral_constantIbLb1EES1C_EEDaS17_S18_EUlS17_E_NS1_11comp_targetILNS1_3genE5ELNS1_11target_archE942ELNS1_3gpuE9ELNS1_3repE0EEENS1_30default_config_static_selectorELNS0_4arch9wavefront6targetE1EEEvT1_.num_agpr, 0
	.set _ZN7rocprim17ROCPRIM_400000_NS6detail17trampoline_kernelINS0_14default_configENS1_25partition_config_selectorILNS1_17partition_subalgoE8ElNS0_10empty_typeEbEEZZNS1_14partition_implILS5_8ELb0ES3_jPlPS6_PKS6_NS0_5tupleIJS9_S6_EEENSD_IJSA_SA_EEENS0_18inequality_wrapperIZN2at6native12_GLOBAL__N_124unique_dim_cuda_templateImEESt5tupleIJNSH_6TensorESM_SM_EERKSM_lbbbEUlllE0_EEPmJS6_EEE10hipError_tPvRmT3_T4_T5_T6_T7_T9_mT8_P12ihipStream_tbDpT10_ENKUlT_T0_E_clISt17integral_constantIbLb1EES1C_EEDaS17_S18_EUlS17_E_NS1_11comp_targetILNS1_3genE5ELNS1_11target_archE942ELNS1_3gpuE9ELNS1_3repE0EEENS1_30default_config_static_selectorELNS0_4arch9wavefront6targetE1EEEvT1_.numbered_sgpr, 0
	.set _ZN7rocprim17ROCPRIM_400000_NS6detail17trampoline_kernelINS0_14default_configENS1_25partition_config_selectorILNS1_17partition_subalgoE8ElNS0_10empty_typeEbEEZZNS1_14partition_implILS5_8ELb0ES3_jPlPS6_PKS6_NS0_5tupleIJS9_S6_EEENSD_IJSA_SA_EEENS0_18inequality_wrapperIZN2at6native12_GLOBAL__N_124unique_dim_cuda_templateImEESt5tupleIJNSH_6TensorESM_SM_EERKSM_lbbbEUlllE0_EEPmJS6_EEE10hipError_tPvRmT3_T4_T5_T6_T7_T9_mT8_P12ihipStream_tbDpT10_ENKUlT_T0_E_clISt17integral_constantIbLb1EES1C_EEDaS17_S18_EUlS17_E_NS1_11comp_targetILNS1_3genE5ELNS1_11target_archE942ELNS1_3gpuE9ELNS1_3repE0EEENS1_30default_config_static_selectorELNS0_4arch9wavefront6targetE1EEEvT1_.num_named_barrier, 0
	.set _ZN7rocprim17ROCPRIM_400000_NS6detail17trampoline_kernelINS0_14default_configENS1_25partition_config_selectorILNS1_17partition_subalgoE8ElNS0_10empty_typeEbEEZZNS1_14partition_implILS5_8ELb0ES3_jPlPS6_PKS6_NS0_5tupleIJS9_S6_EEENSD_IJSA_SA_EEENS0_18inequality_wrapperIZN2at6native12_GLOBAL__N_124unique_dim_cuda_templateImEESt5tupleIJNSH_6TensorESM_SM_EERKSM_lbbbEUlllE0_EEPmJS6_EEE10hipError_tPvRmT3_T4_T5_T6_T7_T9_mT8_P12ihipStream_tbDpT10_ENKUlT_T0_E_clISt17integral_constantIbLb1EES1C_EEDaS17_S18_EUlS17_E_NS1_11comp_targetILNS1_3genE5ELNS1_11target_archE942ELNS1_3gpuE9ELNS1_3repE0EEENS1_30default_config_static_selectorELNS0_4arch9wavefront6targetE1EEEvT1_.private_seg_size, 0
	.set _ZN7rocprim17ROCPRIM_400000_NS6detail17trampoline_kernelINS0_14default_configENS1_25partition_config_selectorILNS1_17partition_subalgoE8ElNS0_10empty_typeEbEEZZNS1_14partition_implILS5_8ELb0ES3_jPlPS6_PKS6_NS0_5tupleIJS9_S6_EEENSD_IJSA_SA_EEENS0_18inequality_wrapperIZN2at6native12_GLOBAL__N_124unique_dim_cuda_templateImEESt5tupleIJNSH_6TensorESM_SM_EERKSM_lbbbEUlllE0_EEPmJS6_EEE10hipError_tPvRmT3_T4_T5_T6_T7_T9_mT8_P12ihipStream_tbDpT10_ENKUlT_T0_E_clISt17integral_constantIbLb1EES1C_EEDaS17_S18_EUlS17_E_NS1_11comp_targetILNS1_3genE5ELNS1_11target_archE942ELNS1_3gpuE9ELNS1_3repE0EEENS1_30default_config_static_selectorELNS0_4arch9wavefront6targetE1EEEvT1_.uses_vcc, 0
	.set _ZN7rocprim17ROCPRIM_400000_NS6detail17trampoline_kernelINS0_14default_configENS1_25partition_config_selectorILNS1_17partition_subalgoE8ElNS0_10empty_typeEbEEZZNS1_14partition_implILS5_8ELb0ES3_jPlPS6_PKS6_NS0_5tupleIJS9_S6_EEENSD_IJSA_SA_EEENS0_18inequality_wrapperIZN2at6native12_GLOBAL__N_124unique_dim_cuda_templateImEESt5tupleIJNSH_6TensorESM_SM_EERKSM_lbbbEUlllE0_EEPmJS6_EEE10hipError_tPvRmT3_T4_T5_T6_T7_T9_mT8_P12ihipStream_tbDpT10_ENKUlT_T0_E_clISt17integral_constantIbLb1EES1C_EEDaS17_S18_EUlS17_E_NS1_11comp_targetILNS1_3genE5ELNS1_11target_archE942ELNS1_3gpuE9ELNS1_3repE0EEENS1_30default_config_static_selectorELNS0_4arch9wavefront6targetE1EEEvT1_.uses_flat_scratch, 0
	.set _ZN7rocprim17ROCPRIM_400000_NS6detail17trampoline_kernelINS0_14default_configENS1_25partition_config_selectorILNS1_17partition_subalgoE8ElNS0_10empty_typeEbEEZZNS1_14partition_implILS5_8ELb0ES3_jPlPS6_PKS6_NS0_5tupleIJS9_S6_EEENSD_IJSA_SA_EEENS0_18inequality_wrapperIZN2at6native12_GLOBAL__N_124unique_dim_cuda_templateImEESt5tupleIJNSH_6TensorESM_SM_EERKSM_lbbbEUlllE0_EEPmJS6_EEE10hipError_tPvRmT3_T4_T5_T6_T7_T9_mT8_P12ihipStream_tbDpT10_ENKUlT_T0_E_clISt17integral_constantIbLb1EES1C_EEDaS17_S18_EUlS17_E_NS1_11comp_targetILNS1_3genE5ELNS1_11target_archE942ELNS1_3gpuE9ELNS1_3repE0EEENS1_30default_config_static_selectorELNS0_4arch9wavefront6targetE1EEEvT1_.has_dyn_sized_stack, 0
	.set _ZN7rocprim17ROCPRIM_400000_NS6detail17trampoline_kernelINS0_14default_configENS1_25partition_config_selectorILNS1_17partition_subalgoE8ElNS0_10empty_typeEbEEZZNS1_14partition_implILS5_8ELb0ES3_jPlPS6_PKS6_NS0_5tupleIJS9_S6_EEENSD_IJSA_SA_EEENS0_18inequality_wrapperIZN2at6native12_GLOBAL__N_124unique_dim_cuda_templateImEESt5tupleIJNSH_6TensorESM_SM_EERKSM_lbbbEUlllE0_EEPmJS6_EEE10hipError_tPvRmT3_T4_T5_T6_T7_T9_mT8_P12ihipStream_tbDpT10_ENKUlT_T0_E_clISt17integral_constantIbLb1EES1C_EEDaS17_S18_EUlS17_E_NS1_11comp_targetILNS1_3genE5ELNS1_11target_archE942ELNS1_3gpuE9ELNS1_3repE0EEENS1_30default_config_static_selectorELNS0_4arch9wavefront6targetE1EEEvT1_.has_recursion, 0
	.set _ZN7rocprim17ROCPRIM_400000_NS6detail17trampoline_kernelINS0_14default_configENS1_25partition_config_selectorILNS1_17partition_subalgoE8ElNS0_10empty_typeEbEEZZNS1_14partition_implILS5_8ELb0ES3_jPlPS6_PKS6_NS0_5tupleIJS9_S6_EEENSD_IJSA_SA_EEENS0_18inequality_wrapperIZN2at6native12_GLOBAL__N_124unique_dim_cuda_templateImEESt5tupleIJNSH_6TensorESM_SM_EERKSM_lbbbEUlllE0_EEPmJS6_EEE10hipError_tPvRmT3_T4_T5_T6_T7_T9_mT8_P12ihipStream_tbDpT10_ENKUlT_T0_E_clISt17integral_constantIbLb1EES1C_EEDaS17_S18_EUlS17_E_NS1_11comp_targetILNS1_3genE5ELNS1_11target_archE942ELNS1_3gpuE9ELNS1_3repE0EEENS1_30default_config_static_selectorELNS0_4arch9wavefront6targetE1EEEvT1_.has_indirect_call, 0
	.section	.AMDGPU.csdata,"",@progbits
; Kernel info:
; codeLenInByte = 0
; TotalNumSgprs: 6
; NumVgprs: 0
; NumAgprs: 0
; TotalNumVgprs: 0
; ScratchSize: 0
; MemoryBound: 0
; FloatMode: 240
; IeeeMode: 1
; LDSByteSize: 0 bytes/workgroup (compile time only)
; SGPRBlocks: 0
; VGPRBlocks: 0
; NumSGPRsForWavesPerEU: 6
; NumVGPRsForWavesPerEU: 1
; AccumOffset: 4
; Occupancy: 8
; WaveLimiterHint : 0
; COMPUTE_PGM_RSRC2:SCRATCH_EN: 0
; COMPUTE_PGM_RSRC2:USER_SGPR: 2
; COMPUTE_PGM_RSRC2:TRAP_HANDLER: 0
; COMPUTE_PGM_RSRC2:TGID_X_EN: 1
; COMPUTE_PGM_RSRC2:TGID_Y_EN: 0
; COMPUTE_PGM_RSRC2:TGID_Z_EN: 0
; COMPUTE_PGM_RSRC2:TIDIG_COMP_CNT: 0
; COMPUTE_PGM_RSRC3_GFX90A:ACCUM_OFFSET: 0
; COMPUTE_PGM_RSRC3_GFX90A:TG_SPLIT: 0
	.section	.text._ZN7rocprim17ROCPRIM_400000_NS6detail17trampoline_kernelINS0_14default_configENS1_25partition_config_selectorILNS1_17partition_subalgoE8ElNS0_10empty_typeEbEEZZNS1_14partition_implILS5_8ELb0ES3_jPlPS6_PKS6_NS0_5tupleIJS9_S6_EEENSD_IJSA_SA_EEENS0_18inequality_wrapperIZN2at6native12_GLOBAL__N_124unique_dim_cuda_templateImEESt5tupleIJNSH_6TensorESM_SM_EERKSM_lbbbEUlllE0_EEPmJS6_EEE10hipError_tPvRmT3_T4_T5_T6_T7_T9_mT8_P12ihipStream_tbDpT10_ENKUlT_T0_E_clISt17integral_constantIbLb1EES1C_EEDaS17_S18_EUlS17_E_NS1_11comp_targetILNS1_3genE4ELNS1_11target_archE910ELNS1_3gpuE8ELNS1_3repE0EEENS1_30default_config_static_selectorELNS0_4arch9wavefront6targetE1EEEvT1_,"axG",@progbits,_ZN7rocprim17ROCPRIM_400000_NS6detail17trampoline_kernelINS0_14default_configENS1_25partition_config_selectorILNS1_17partition_subalgoE8ElNS0_10empty_typeEbEEZZNS1_14partition_implILS5_8ELb0ES3_jPlPS6_PKS6_NS0_5tupleIJS9_S6_EEENSD_IJSA_SA_EEENS0_18inequality_wrapperIZN2at6native12_GLOBAL__N_124unique_dim_cuda_templateImEESt5tupleIJNSH_6TensorESM_SM_EERKSM_lbbbEUlllE0_EEPmJS6_EEE10hipError_tPvRmT3_T4_T5_T6_T7_T9_mT8_P12ihipStream_tbDpT10_ENKUlT_T0_E_clISt17integral_constantIbLb1EES1C_EEDaS17_S18_EUlS17_E_NS1_11comp_targetILNS1_3genE4ELNS1_11target_archE910ELNS1_3gpuE8ELNS1_3repE0EEENS1_30default_config_static_selectorELNS0_4arch9wavefront6targetE1EEEvT1_,comdat
	.globl	_ZN7rocprim17ROCPRIM_400000_NS6detail17trampoline_kernelINS0_14default_configENS1_25partition_config_selectorILNS1_17partition_subalgoE8ElNS0_10empty_typeEbEEZZNS1_14partition_implILS5_8ELb0ES3_jPlPS6_PKS6_NS0_5tupleIJS9_S6_EEENSD_IJSA_SA_EEENS0_18inequality_wrapperIZN2at6native12_GLOBAL__N_124unique_dim_cuda_templateImEESt5tupleIJNSH_6TensorESM_SM_EERKSM_lbbbEUlllE0_EEPmJS6_EEE10hipError_tPvRmT3_T4_T5_T6_T7_T9_mT8_P12ihipStream_tbDpT10_ENKUlT_T0_E_clISt17integral_constantIbLb1EES1C_EEDaS17_S18_EUlS17_E_NS1_11comp_targetILNS1_3genE4ELNS1_11target_archE910ELNS1_3gpuE8ELNS1_3repE0EEENS1_30default_config_static_selectorELNS0_4arch9wavefront6targetE1EEEvT1_ ; -- Begin function _ZN7rocprim17ROCPRIM_400000_NS6detail17trampoline_kernelINS0_14default_configENS1_25partition_config_selectorILNS1_17partition_subalgoE8ElNS0_10empty_typeEbEEZZNS1_14partition_implILS5_8ELb0ES3_jPlPS6_PKS6_NS0_5tupleIJS9_S6_EEENSD_IJSA_SA_EEENS0_18inequality_wrapperIZN2at6native12_GLOBAL__N_124unique_dim_cuda_templateImEESt5tupleIJNSH_6TensorESM_SM_EERKSM_lbbbEUlllE0_EEPmJS6_EEE10hipError_tPvRmT3_T4_T5_T6_T7_T9_mT8_P12ihipStream_tbDpT10_ENKUlT_T0_E_clISt17integral_constantIbLb1EES1C_EEDaS17_S18_EUlS17_E_NS1_11comp_targetILNS1_3genE4ELNS1_11target_archE910ELNS1_3gpuE8ELNS1_3repE0EEENS1_30default_config_static_selectorELNS0_4arch9wavefront6targetE1EEEvT1_
	.p2align	8
	.type	_ZN7rocprim17ROCPRIM_400000_NS6detail17trampoline_kernelINS0_14default_configENS1_25partition_config_selectorILNS1_17partition_subalgoE8ElNS0_10empty_typeEbEEZZNS1_14partition_implILS5_8ELb0ES3_jPlPS6_PKS6_NS0_5tupleIJS9_S6_EEENSD_IJSA_SA_EEENS0_18inequality_wrapperIZN2at6native12_GLOBAL__N_124unique_dim_cuda_templateImEESt5tupleIJNSH_6TensorESM_SM_EERKSM_lbbbEUlllE0_EEPmJS6_EEE10hipError_tPvRmT3_T4_T5_T6_T7_T9_mT8_P12ihipStream_tbDpT10_ENKUlT_T0_E_clISt17integral_constantIbLb1EES1C_EEDaS17_S18_EUlS17_E_NS1_11comp_targetILNS1_3genE4ELNS1_11target_archE910ELNS1_3gpuE8ELNS1_3repE0EEENS1_30default_config_static_selectorELNS0_4arch9wavefront6targetE1EEEvT1_,@function
_ZN7rocprim17ROCPRIM_400000_NS6detail17trampoline_kernelINS0_14default_configENS1_25partition_config_selectorILNS1_17partition_subalgoE8ElNS0_10empty_typeEbEEZZNS1_14partition_implILS5_8ELb0ES3_jPlPS6_PKS6_NS0_5tupleIJS9_S6_EEENSD_IJSA_SA_EEENS0_18inequality_wrapperIZN2at6native12_GLOBAL__N_124unique_dim_cuda_templateImEESt5tupleIJNSH_6TensorESM_SM_EERKSM_lbbbEUlllE0_EEPmJS6_EEE10hipError_tPvRmT3_T4_T5_T6_T7_T9_mT8_P12ihipStream_tbDpT10_ENKUlT_T0_E_clISt17integral_constantIbLb1EES1C_EEDaS17_S18_EUlS17_E_NS1_11comp_targetILNS1_3genE4ELNS1_11target_archE910ELNS1_3gpuE8ELNS1_3repE0EEENS1_30default_config_static_selectorELNS0_4arch9wavefront6targetE1EEEvT1_: ; @_ZN7rocprim17ROCPRIM_400000_NS6detail17trampoline_kernelINS0_14default_configENS1_25partition_config_selectorILNS1_17partition_subalgoE8ElNS0_10empty_typeEbEEZZNS1_14partition_implILS5_8ELb0ES3_jPlPS6_PKS6_NS0_5tupleIJS9_S6_EEENSD_IJSA_SA_EEENS0_18inequality_wrapperIZN2at6native12_GLOBAL__N_124unique_dim_cuda_templateImEESt5tupleIJNSH_6TensorESM_SM_EERKSM_lbbbEUlllE0_EEPmJS6_EEE10hipError_tPvRmT3_T4_T5_T6_T7_T9_mT8_P12ihipStream_tbDpT10_ENKUlT_T0_E_clISt17integral_constantIbLb1EES1C_EEDaS17_S18_EUlS17_E_NS1_11comp_targetILNS1_3genE4ELNS1_11target_archE910ELNS1_3gpuE8ELNS1_3repE0EEENS1_30default_config_static_selectorELNS0_4arch9wavefront6targetE1EEEvT1_
; %bb.0:
	.section	.rodata,"a",@progbits
	.p2align	6, 0x0
	.amdhsa_kernel _ZN7rocprim17ROCPRIM_400000_NS6detail17trampoline_kernelINS0_14default_configENS1_25partition_config_selectorILNS1_17partition_subalgoE8ElNS0_10empty_typeEbEEZZNS1_14partition_implILS5_8ELb0ES3_jPlPS6_PKS6_NS0_5tupleIJS9_S6_EEENSD_IJSA_SA_EEENS0_18inequality_wrapperIZN2at6native12_GLOBAL__N_124unique_dim_cuda_templateImEESt5tupleIJNSH_6TensorESM_SM_EERKSM_lbbbEUlllE0_EEPmJS6_EEE10hipError_tPvRmT3_T4_T5_T6_T7_T9_mT8_P12ihipStream_tbDpT10_ENKUlT_T0_E_clISt17integral_constantIbLb1EES1C_EEDaS17_S18_EUlS17_E_NS1_11comp_targetILNS1_3genE4ELNS1_11target_archE910ELNS1_3gpuE8ELNS1_3repE0EEENS1_30default_config_static_selectorELNS0_4arch9wavefront6targetE1EEEvT1_
		.amdhsa_group_segment_fixed_size 0
		.amdhsa_private_segment_fixed_size 0
		.amdhsa_kernarg_size 136
		.amdhsa_user_sgpr_count 2
		.amdhsa_user_sgpr_dispatch_ptr 0
		.amdhsa_user_sgpr_queue_ptr 0
		.amdhsa_user_sgpr_kernarg_segment_ptr 1
		.amdhsa_user_sgpr_dispatch_id 0
		.amdhsa_user_sgpr_kernarg_preload_length 0
		.amdhsa_user_sgpr_kernarg_preload_offset 0
		.amdhsa_user_sgpr_private_segment_size 0
		.amdhsa_uses_dynamic_stack 0
		.amdhsa_enable_private_segment 0
		.amdhsa_system_sgpr_workgroup_id_x 1
		.amdhsa_system_sgpr_workgroup_id_y 0
		.amdhsa_system_sgpr_workgroup_id_z 0
		.amdhsa_system_sgpr_workgroup_info 0
		.amdhsa_system_vgpr_workitem_id 0
		.amdhsa_next_free_vgpr 1
		.amdhsa_next_free_sgpr 0
		.amdhsa_accum_offset 4
		.amdhsa_reserve_vcc 0
		.amdhsa_float_round_mode_32 0
		.amdhsa_float_round_mode_16_64 0
		.amdhsa_float_denorm_mode_32 3
		.amdhsa_float_denorm_mode_16_64 3
		.amdhsa_dx10_clamp 1
		.amdhsa_ieee_mode 1
		.amdhsa_fp16_overflow 0
		.amdhsa_tg_split 0
		.amdhsa_exception_fp_ieee_invalid_op 0
		.amdhsa_exception_fp_denorm_src 0
		.amdhsa_exception_fp_ieee_div_zero 0
		.amdhsa_exception_fp_ieee_overflow 0
		.amdhsa_exception_fp_ieee_underflow 0
		.amdhsa_exception_fp_ieee_inexact 0
		.amdhsa_exception_int_div_zero 0
	.end_amdhsa_kernel
	.section	.text._ZN7rocprim17ROCPRIM_400000_NS6detail17trampoline_kernelINS0_14default_configENS1_25partition_config_selectorILNS1_17partition_subalgoE8ElNS0_10empty_typeEbEEZZNS1_14partition_implILS5_8ELb0ES3_jPlPS6_PKS6_NS0_5tupleIJS9_S6_EEENSD_IJSA_SA_EEENS0_18inequality_wrapperIZN2at6native12_GLOBAL__N_124unique_dim_cuda_templateImEESt5tupleIJNSH_6TensorESM_SM_EERKSM_lbbbEUlllE0_EEPmJS6_EEE10hipError_tPvRmT3_T4_T5_T6_T7_T9_mT8_P12ihipStream_tbDpT10_ENKUlT_T0_E_clISt17integral_constantIbLb1EES1C_EEDaS17_S18_EUlS17_E_NS1_11comp_targetILNS1_3genE4ELNS1_11target_archE910ELNS1_3gpuE8ELNS1_3repE0EEENS1_30default_config_static_selectorELNS0_4arch9wavefront6targetE1EEEvT1_,"axG",@progbits,_ZN7rocprim17ROCPRIM_400000_NS6detail17trampoline_kernelINS0_14default_configENS1_25partition_config_selectorILNS1_17partition_subalgoE8ElNS0_10empty_typeEbEEZZNS1_14partition_implILS5_8ELb0ES3_jPlPS6_PKS6_NS0_5tupleIJS9_S6_EEENSD_IJSA_SA_EEENS0_18inequality_wrapperIZN2at6native12_GLOBAL__N_124unique_dim_cuda_templateImEESt5tupleIJNSH_6TensorESM_SM_EERKSM_lbbbEUlllE0_EEPmJS6_EEE10hipError_tPvRmT3_T4_T5_T6_T7_T9_mT8_P12ihipStream_tbDpT10_ENKUlT_T0_E_clISt17integral_constantIbLb1EES1C_EEDaS17_S18_EUlS17_E_NS1_11comp_targetILNS1_3genE4ELNS1_11target_archE910ELNS1_3gpuE8ELNS1_3repE0EEENS1_30default_config_static_selectorELNS0_4arch9wavefront6targetE1EEEvT1_,comdat
.Lfunc_end1673:
	.size	_ZN7rocprim17ROCPRIM_400000_NS6detail17trampoline_kernelINS0_14default_configENS1_25partition_config_selectorILNS1_17partition_subalgoE8ElNS0_10empty_typeEbEEZZNS1_14partition_implILS5_8ELb0ES3_jPlPS6_PKS6_NS0_5tupleIJS9_S6_EEENSD_IJSA_SA_EEENS0_18inequality_wrapperIZN2at6native12_GLOBAL__N_124unique_dim_cuda_templateImEESt5tupleIJNSH_6TensorESM_SM_EERKSM_lbbbEUlllE0_EEPmJS6_EEE10hipError_tPvRmT3_T4_T5_T6_T7_T9_mT8_P12ihipStream_tbDpT10_ENKUlT_T0_E_clISt17integral_constantIbLb1EES1C_EEDaS17_S18_EUlS17_E_NS1_11comp_targetILNS1_3genE4ELNS1_11target_archE910ELNS1_3gpuE8ELNS1_3repE0EEENS1_30default_config_static_selectorELNS0_4arch9wavefront6targetE1EEEvT1_, .Lfunc_end1673-_ZN7rocprim17ROCPRIM_400000_NS6detail17trampoline_kernelINS0_14default_configENS1_25partition_config_selectorILNS1_17partition_subalgoE8ElNS0_10empty_typeEbEEZZNS1_14partition_implILS5_8ELb0ES3_jPlPS6_PKS6_NS0_5tupleIJS9_S6_EEENSD_IJSA_SA_EEENS0_18inequality_wrapperIZN2at6native12_GLOBAL__N_124unique_dim_cuda_templateImEESt5tupleIJNSH_6TensorESM_SM_EERKSM_lbbbEUlllE0_EEPmJS6_EEE10hipError_tPvRmT3_T4_T5_T6_T7_T9_mT8_P12ihipStream_tbDpT10_ENKUlT_T0_E_clISt17integral_constantIbLb1EES1C_EEDaS17_S18_EUlS17_E_NS1_11comp_targetILNS1_3genE4ELNS1_11target_archE910ELNS1_3gpuE8ELNS1_3repE0EEENS1_30default_config_static_selectorELNS0_4arch9wavefront6targetE1EEEvT1_
                                        ; -- End function
	.set _ZN7rocprim17ROCPRIM_400000_NS6detail17trampoline_kernelINS0_14default_configENS1_25partition_config_selectorILNS1_17partition_subalgoE8ElNS0_10empty_typeEbEEZZNS1_14partition_implILS5_8ELb0ES3_jPlPS6_PKS6_NS0_5tupleIJS9_S6_EEENSD_IJSA_SA_EEENS0_18inequality_wrapperIZN2at6native12_GLOBAL__N_124unique_dim_cuda_templateImEESt5tupleIJNSH_6TensorESM_SM_EERKSM_lbbbEUlllE0_EEPmJS6_EEE10hipError_tPvRmT3_T4_T5_T6_T7_T9_mT8_P12ihipStream_tbDpT10_ENKUlT_T0_E_clISt17integral_constantIbLb1EES1C_EEDaS17_S18_EUlS17_E_NS1_11comp_targetILNS1_3genE4ELNS1_11target_archE910ELNS1_3gpuE8ELNS1_3repE0EEENS1_30default_config_static_selectorELNS0_4arch9wavefront6targetE1EEEvT1_.num_vgpr, 0
	.set _ZN7rocprim17ROCPRIM_400000_NS6detail17trampoline_kernelINS0_14default_configENS1_25partition_config_selectorILNS1_17partition_subalgoE8ElNS0_10empty_typeEbEEZZNS1_14partition_implILS5_8ELb0ES3_jPlPS6_PKS6_NS0_5tupleIJS9_S6_EEENSD_IJSA_SA_EEENS0_18inequality_wrapperIZN2at6native12_GLOBAL__N_124unique_dim_cuda_templateImEESt5tupleIJNSH_6TensorESM_SM_EERKSM_lbbbEUlllE0_EEPmJS6_EEE10hipError_tPvRmT3_T4_T5_T6_T7_T9_mT8_P12ihipStream_tbDpT10_ENKUlT_T0_E_clISt17integral_constantIbLb1EES1C_EEDaS17_S18_EUlS17_E_NS1_11comp_targetILNS1_3genE4ELNS1_11target_archE910ELNS1_3gpuE8ELNS1_3repE0EEENS1_30default_config_static_selectorELNS0_4arch9wavefront6targetE1EEEvT1_.num_agpr, 0
	.set _ZN7rocprim17ROCPRIM_400000_NS6detail17trampoline_kernelINS0_14default_configENS1_25partition_config_selectorILNS1_17partition_subalgoE8ElNS0_10empty_typeEbEEZZNS1_14partition_implILS5_8ELb0ES3_jPlPS6_PKS6_NS0_5tupleIJS9_S6_EEENSD_IJSA_SA_EEENS0_18inequality_wrapperIZN2at6native12_GLOBAL__N_124unique_dim_cuda_templateImEESt5tupleIJNSH_6TensorESM_SM_EERKSM_lbbbEUlllE0_EEPmJS6_EEE10hipError_tPvRmT3_T4_T5_T6_T7_T9_mT8_P12ihipStream_tbDpT10_ENKUlT_T0_E_clISt17integral_constantIbLb1EES1C_EEDaS17_S18_EUlS17_E_NS1_11comp_targetILNS1_3genE4ELNS1_11target_archE910ELNS1_3gpuE8ELNS1_3repE0EEENS1_30default_config_static_selectorELNS0_4arch9wavefront6targetE1EEEvT1_.numbered_sgpr, 0
	.set _ZN7rocprim17ROCPRIM_400000_NS6detail17trampoline_kernelINS0_14default_configENS1_25partition_config_selectorILNS1_17partition_subalgoE8ElNS0_10empty_typeEbEEZZNS1_14partition_implILS5_8ELb0ES3_jPlPS6_PKS6_NS0_5tupleIJS9_S6_EEENSD_IJSA_SA_EEENS0_18inequality_wrapperIZN2at6native12_GLOBAL__N_124unique_dim_cuda_templateImEESt5tupleIJNSH_6TensorESM_SM_EERKSM_lbbbEUlllE0_EEPmJS6_EEE10hipError_tPvRmT3_T4_T5_T6_T7_T9_mT8_P12ihipStream_tbDpT10_ENKUlT_T0_E_clISt17integral_constantIbLb1EES1C_EEDaS17_S18_EUlS17_E_NS1_11comp_targetILNS1_3genE4ELNS1_11target_archE910ELNS1_3gpuE8ELNS1_3repE0EEENS1_30default_config_static_selectorELNS0_4arch9wavefront6targetE1EEEvT1_.num_named_barrier, 0
	.set _ZN7rocprim17ROCPRIM_400000_NS6detail17trampoline_kernelINS0_14default_configENS1_25partition_config_selectorILNS1_17partition_subalgoE8ElNS0_10empty_typeEbEEZZNS1_14partition_implILS5_8ELb0ES3_jPlPS6_PKS6_NS0_5tupleIJS9_S6_EEENSD_IJSA_SA_EEENS0_18inequality_wrapperIZN2at6native12_GLOBAL__N_124unique_dim_cuda_templateImEESt5tupleIJNSH_6TensorESM_SM_EERKSM_lbbbEUlllE0_EEPmJS6_EEE10hipError_tPvRmT3_T4_T5_T6_T7_T9_mT8_P12ihipStream_tbDpT10_ENKUlT_T0_E_clISt17integral_constantIbLb1EES1C_EEDaS17_S18_EUlS17_E_NS1_11comp_targetILNS1_3genE4ELNS1_11target_archE910ELNS1_3gpuE8ELNS1_3repE0EEENS1_30default_config_static_selectorELNS0_4arch9wavefront6targetE1EEEvT1_.private_seg_size, 0
	.set _ZN7rocprim17ROCPRIM_400000_NS6detail17trampoline_kernelINS0_14default_configENS1_25partition_config_selectorILNS1_17partition_subalgoE8ElNS0_10empty_typeEbEEZZNS1_14partition_implILS5_8ELb0ES3_jPlPS6_PKS6_NS0_5tupleIJS9_S6_EEENSD_IJSA_SA_EEENS0_18inequality_wrapperIZN2at6native12_GLOBAL__N_124unique_dim_cuda_templateImEESt5tupleIJNSH_6TensorESM_SM_EERKSM_lbbbEUlllE0_EEPmJS6_EEE10hipError_tPvRmT3_T4_T5_T6_T7_T9_mT8_P12ihipStream_tbDpT10_ENKUlT_T0_E_clISt17integral_constantIbLb1EES1C_EEDaS17_S18_EUlS17_E_NS1_11comp_targetILNS1_3genE4ELNS1_11target_archE910ELNS1_3gpuE8ELNS1_3repE0EEENS1_30default_config_static_selectorELNS0_4arch9wavefront6targetE1EEEvT1_.uses_vcc, 0
	.set _ZN7rocprim17ROCPRIM_400000_NS6detail17trampoline_kernelINS0_14default_configENS1_25partition_config_selectorILNS1_17partition_subalgoE8ElNS0_10empty_typeEbEEZZNS1_14partition_implILS5_8ELb0ES3_jPlPS6_PKS6_NS0_5tupleIJS9_S6_EEENSD_IJSA_SA_EEENS0_18inequality_wrapperIZN2at6native12_GLOBAL__N_124unique_dim_cuda_templateImEESt5tupleIJNSH_6TensorESM_SM_EERKSM_lbbbEUlllE0_EEPmJS6_EEE10hipError_tPvRmT3_T4_T5_T6_T7_T9_mT8_P12ihipStream_tbDpT10_ENKUlT_T0_E_clISt17integral_constantIbLb1EES1C_EEDaS17_S18_EUlS17_E_NS1_11comp_targetILNS1_3genE4ELNS1_11target_archE910ELNS1_3gpuE8ELNS1_3repE0EEENS1_30default_config_static_selectorELNS0_4arch9wavefront6targetE1EEEvT1_.uses_flat_scratch, 0
	.set _ZN7rocprim17ROCPRIM_400000_NS6detail17trampoline_kernelINS0_14default_configENS1_25partition_config_selectorILNS1_17partition_subalgoE8ElNS0_10empty_typeEbEEZZNS1_14partition_implILS5_8ELb0ES3_jPlPS6_PKS6_NS0_5tupleIJS9_S6_EEENSD_IJSA_SA_EEENS0_18inequality_wrapperIZN2at6native12_GLOBAL__N_124unique_dim_cuda_templateImEESt5tupleIJNSH_6TensorESM_SM_EERKSM_lbbbEUlllE0_EEPmJS6_EEE10hipError_tPvRmT3_T4_T5_T6_T7_T9_mT8_P12ihipStream_tbDpT10_ENKUlT_T0_E_clISt17integral_constantIbLb1EES1C_EEDaS17_S18_EUlS17_E_NS1_11comp_targetILNS1_3genE4ELNS1_11target_archE910ELNS1_3gpuE8ELNS1_3repE0EEENS1_30default_config_static_selectorELNS0_4arch9wavefront6targetE1EEEvT1_.has_dyn_sized_stack, 0
	.set _ZN7rocprim17ROCPRIM_400000_NS6detail17trampoline_kernelINS0_14default_configENS1_25partition_config_selectorILNS1_17partition_subalgoE8ElNS0_10empty_typeEbEEZZNS1_14partition_implILS5_8ELb0ES3_jPlPS6_PKS6_NS0_5tupleIJS9_S6_EEENSD_IJSA_SA_EEENS0_18inequality_wrapperIZN2at6native12_GLOBAL__N_124unique_dim_cuda_templateImEESt5tupleIJNSH_6TensorESM_SM_EERKSM_lbbbEUlllE0_EEPmJS6_EEE10hipError_tPvRmT3_T4_T5_T6_T7_T9_mT8_P12ihipStream_tbDpT10_ENKUlT_T0_E_clISt17integral_constantIbLb1EES1C_EEDaS17_S18_EUlS17_E_NS1_11comp_targetILNS1_3genE4ELNS1_11target_archE910ELNS1_3gpuE8ELNS1_3repE0EEENS1_30default_config_static_selectorELNS0_4arch9wavefront6targetE1EEEvT1_.has_recursion, 0
	.set _ZN7rocprim17ROCPRIM_400000_NS6detail17trampoline_kernelINS0_14default_configENS1_25partition_config_selectorILNS1_17partition_subalgoE8ElNS0_10empty_typeEbEEZZNS1_14partition_implILS5_8ELb0ES3_jPlPS6_PKS6_NS0_5tupleIJS9_S6_EEENSD_IJSA_SA_EEENS0_18inequality_wrapperIZN2at6native12_GLOBAL__N_124unique_dim_cuda_templateImEESt5tupleIJNSH_6TensorESM_SM_EERKSM_lbbbEUlllE0_EEPmJS6_EEE10hipError_tPvRmT3_T4_T5_T6_T7_T9_mT8_P12ihipStream_tbDpT10_ENKUlT_T0_E_clISt17integral_constantIbLb1EES1C_EEDaS17_S18_EUlS17_E_NS1_11comp_targetILNS1_3genE4ELNS1_11target_archE910ELNS1_3gpuE8ELNS1_3repE0EEENS1_30default_config_static_selectorELNS0_4arch9wavefront6targetE1EEEvT1_.has_indirect_call, 0
	.section	.AMDGPU.csdata,"",@progbits
; Kernel info:
; codeLenInByte = 0
; TotalNumSgprs: 6
; NumVgprs: 0
; NumAgprs: 0
; TotalNumVgprs: 0
; ScratchSize: 0
; MemoryBound: 0
; FloatMode: 240
; IeeeMode: 1
; LDSByteSize: 0 bytes/workgroup (compile time only)
; SGPRBlocks: 0
; VGPRBlocks: 0
; NumSGPRsForWavesPerEU: 6
; NumVGPRsForWavesPerEU: 1
; AccumOffset: 4
; Occupancy: 8
; WaveLimiterHint : 0
; COMPUTE_PGM_RSRC2:SCRATCH_EN: 0
; COMPUTE_PGM_RSRC2:USER_SGPR: 2
; COMPUTE_PGM_RSRC2:TRAP_HANDLER: 0
; COMPUTE_PGM_RSRC2:TGID_X_EN: 1
; COMPUTE_PGM_RSRC2:TGID_Y_EN: 0
; COMPUTE_PGM_RSRC2:TGID_Z_EN: 0
; COMPUTE_PGM_RSRC2:TIDIG_COMP_CNT: 0
; COMPUTE_PGM_RSRC3_GFX90A:ACCUM_OFFSET: 0
; COMPUTE_PGM_RSRC3_GFX90A:TG_SPLIT: 0
	.section	.text._ZN7rocprim17ROCPRIM_400000_NS6detail17trampoline_kernelINS0_14default_configENS1_25partition_config_selectorILNS1_17partition_subalgoE8ElNS0_10empty_typeEbEEZZNS1_14partition_implILS5_8ELb0ES3_jPlPS6_PKS6_NS0_5tupleIJS9_S6_EEENSD_IJSA_SA_EEENS0_18inequality_wrapperIZN2at6native12_GLOBAL__N_124unique_dim_cuda_templateImEESt5tupleIJNSH_6TensorESM_SM_EERKSM_lbbbEUlllE0_EEPmJS6_EEE10hipError_tPvRmT3_T4_T5_T6_T7_T9_mT8_P12ihipStream_tbDpT10_ENKUlT_T0_E_clISt17integral_constantIbLb1EES1C_EEDaS17_S18_EUlS17_E_NS1_11comp_targetILNS1_3genE3ELNS1_11target_archE908ELNS1_3gpuE7ELNS1_3repE0EEENS1_30default_config_static_selectorELNS0_4arch9wavefront6targetE1EEEvT1_,"axG",@progbits,_ZN7rocprim17ROCPRIM_400000_NS6detail17trampoline_kernelINS0_14default_configENS1_25partition_config_selectorILNS1_17partition_subalgoE8ElNS0_10empty_typeEbEEZZNS1_14partition_implILS5_8ELb0ES3_jPlPS6_PKS6_NS0_5tupleIJS9_S6_EEENSD_IJSA_SA_EEENS0_18inequality_wrapperIZN2at6native12_GLOBAL__N_124unique_dim_cuda_templateImEESt5tupleIJNSH_6TensorESM_SM_EERKSM_lbbbEUlllE0_EEPmJS6_EEE10hipError_tPvRmT3_T4_T5_T6_T7_T9_mT8_P12ihipStream_tbDpT10_ENKUlT_T0_E_clISt17integral_constantIbLb1EES1C_EEDaS17_S18_EUlS17_E_NS1_11comp_targetILNS1_3genE3ELNS1_11target_archE908ELNS1_3gpuE7ELNS1_3repE0EEENS1_30default_config_static_selectorELNS0_4arch9wavefront6targetE1EEEvT1_,comdat
	.globl	_ZN7rocprim17ROCPRIM_400000_NS6detail17trampoline_kernelINS0_14default_configENS1_25partition_config_selectorILNS1_17partition_subalgoE8ElNS0_10empty_typeEbEEZZNS1_14partition_implILS5_8ELb0ES3_jPlPS6_PKS6_NS0_5tupleIJS9_S6_EEENSD_IJSA_SA_EEENS0_18inequality_wrapperIZN2at6native12_GLOBAL__N_124unique_dim_cuda_templateImEESt5tupleIJNSH_6TensorESM_SM_EERKSM_lbbbEUlllE0_EEPmJS6_EEE10hipError_tPvRmT3_T4_T5_T6_T7_T9_mT8_P12ihipStream_tbDpT10_ENKUlT_T0_E_clISt17integral_constantIbLb1EES1C_EEDaS17_S18_EUlS17_E_NS1_11comp_targetILNS1_3genE3ELNS1_11target_archE908ELNS1_3gpuE7ELNS1_3repE0EEENS1_30default_config_static_selectorELNS0_4arch9wavefront6targetE1EEEvT1_ ; -- Begin function _ZN7rocprim17ROCPRIM_400000_NS6detail17trampoline_kernelINS0_14default_configENS1_25partition_config_selectorILNS1_17partition_subalgoE8ElNS0_10empty_typeEbEEZZNS1_14partition_implILS5_8ELb0ES3_jPlPS6_PKS6_NS0_5tupleIJS9_S6_EEENSD_IJSA_SA_EEENS0_18inequality_wrapperIZN2at6native12_GLOBAL__N_124unique_dim_cuda_templateImEESt5tupleIJNSH_6TensorESM_SM_EERKSM_lbbbEUlllE0_EEPmJS6_EEE10hipError_tPvRmT3_T4_T5_T6_T7_T9_mT8_P12ihipStream_tbDpT10_ENKUlT_T0_E_clISt17integral_constantIbLb1EES1C_EEDaS17_S18_EUlS17_E_NS1_11comp_targetILNS1_3genE3ELNS1_11target_archE908ELNS1_3gpuE7ELNS1_3repE0EEENS1_30default_config_static_selectorELNS0_4arch9wavefront6targetE1EEEvT1_
	.p2align	8
	.type	_ZN7rocprim17ROCPRIM_400000_NS6detail17trampoline_kernelINS0_14default_configENS1_25partition_config_selectorILNS1_17partition_subalgoE8ElNS0_10empty_typeEbEEZZNS1_14partition_implILS5_8ELb0ES3_jPlPS6_PKS6_NS0_5tupleIJS9_S6_EEENSD_IJSA_SA_EEENS0_18inequality_wrapperIZN2at6native12_GLOBAL__N_124unique_dim_cuda_templateImEESt5tupleIJNSH_6TensorESM_SM_EERKSM_lbbbEUlllE0_EEPmJS6_EEE10hipError_tPvRmT3_T4_T5_T6_T7_T9_mT8_P12ihipStream_tbDpT10_ENKUlT_T0_E_clISt17integral_constantIbLb1EES1C_EEDaS17_S18_EUlS17_E_NS1_11comp_targetILNS1_3genE3ELNS1_11target_archE908ELNS1_3gpuE7ELNS1_3repE0EEENS1_30default_config_static_selectorELNS0_4arch9wavefront6targetE1EEEvT1_,@function
_ZN7rocprim17ROCPRIM_400000_NS6detail17trampoline_kernelINS0_14default_configENS1_25partition_config_selectorILNS1_17partition_subalgoE8ElNS0_10empty_typeEbEEZZNS1_14partition_implILS5_8ELb0ES3_jPlPS6_PKS6_NS0_5tupleIJS9_S6_EEENSD_IJSA_SA_EEENS0_18inequality_wrapperIZN2at6native12_GLOBAL__N_124unique_dim_cuda_templateImEESt5tupleIJNSH_6TensorESM_SM_EERKSM_lbbbEUlllE0_EEPmJS6_EEE10hipError_tPvRmT3_T4_T5_T6_T7_T9_mT8_P12ihipStream_tbDpT10_ENKUlT_T0_E_clISt17integral_constantIbLb1EES1C_EEDaS17_S18_EUlS17_E_NS1_11comp_targetILNS1_3genE3ELNS1_11target_archE908ELNS1_3gpuE7ELNS1_3repE0EEENS1_30default_config_static_selectorELNS0_4arch9wavefront6targetE1EEEvT1_: ; @_ZN7rocprim17ROCPRIM_400000_NS6detail17trampoline_kernelINS0_14default_configENS1_25partition_config_selectorILNS1_17partition_subalgoE8ElNS0_10empty_typeEbEEZZNS1_14partition_implILS5_8ELb0ES3_jPlPS6_PKS6_NS0_5tupleIJS9_S6_EEENSD_IJSA_SA_EEENS0_18inequality_wrapperIZN2at6native12_GLOBAL__N_124unique_dim_cuda_templateImEESt5tupleIJNSH_6TensorESM_SM_EERKSM_lbbbEUlllE0_EEPmJS6_EEE10hipError_tPvRmT3_T4_T5_T6_T7_T9_mT8_P12ihipStream_tbDpT10_ENKUlT_T0_E_clISt17integral_constantIbLb1EES1C_EEDaS17_S18_EUlS17_E_NS1_11comp_targetILNS1_3genE3ELNS1_11target_archE908ELNS1_3gpuE7ELNS1_3repE0EEENS1_30default_config_static_selectorELNS0_4arch9wavefront6targetE1EEEvT1_
; %bb.0:
	.section	.rodata,"a",@progbits
	.p2align	6, 0x0
	.amdhsa_kernel _ZN7rocprim17ROCPRIM_400000_NS6detail17trampoline_kernelINS0_14default_configENS1_25partition_config_selectorILNS1_17partition_subalgoE8ElNS0_10empty_typeEbEEZZNS1_14partition_implILS5_8ELb0ES3_jPlPS6_PKS6_NS0_5tupleIJS9_S6_EEENSD_IJSA_SA_EEENS0_18inequality_wrapperIZN2at6native12_GLOBAL__N_124unique_dim_cuda_templateImEESt5tupleIJNSH_6TensorESM_SM_EERKSM_lbbbEUlllE0_EEPmJS6_EEE10hipError_tPvRmT3_T4_T5_T6_T7_T9_mT8_P12ihipStream_tbDpT10_ENKUlT_T0_E_clISt17integral_constantIbLb1EES1C_EEDaS17_S18_EUlS17_E_NS1_11comp_targetILNS1_3genE3ELNS1_11target_archE908ELNS1_3gpuE7ELNS1_3repE0EEENS1_30default_config_static_selectorELNS0_4arch9wavefront6targetE1EEEvT1_
		.amdhsa_group_segment_fixed_size 0
		.amdhsa_private_segment_fixed_size 0
		.amdhsa_kernarg_size 136
		.amdhsa_user_sgpr_count 2
		.amdhsa_user_sgpr_dispatch_ptr 0
		.amdhsa_user_sgpr_queue_ptr 0
		.amdhsa_user_sgpr_kernarg_segment_ptr 1
		.amdhsa_user_sgpr_dispatch_id 0
		.amdhsa_user_sgpr_kernarg_preload_length 0
		.amdhsa_user_sgpr_kernarg_preload_offset 0
		.amdhsa_user_sgpr_private_segment_size 0
		.amdhsa_uses_dynamic_stack 0
		.amdhsa_enable_private_segment 0
		.amdhsa_system_sgpr_workgroup_id_x 1
		.amdhsa_system_sgpr_workgroup_id_y 0
		.amdhsa_system_sgpr_workgroup_id_z 0
		.amdhsa_system_sgpr_workgroup_info 0
		.amdhsa_system_vgpr_workitem_id 0
		.amdhsa_next_free_vgpr 1
		.amdhsa_next_free_sgpr 0
		.amdhsa_accum_offset 4
		.amdhsa_reserve_vcc 0
		.amdhsa_float_round_mode_32 0
		.amdhsa_float_round_mode_16_64 0
		.amdhsa_float_denorm_mode_32 3
		.amdhsa_float_denorm_mode_16_64 3
		.amdhsa_dx10_clamp 1
		.amdhsa_ieee_mode 1
		.amdhsa_fp16_overflow 0
		.amdhsa_tg_split 0
		.amdhsa_exception_fp_ieee_invalid_op 0
		.amdhsa_exception_fp_denorm_src 0
		.amdhsa_exception_fp_ieee_div_zero 0
		.amdhsa_exception_fp_ieee_overflow 0
		.amdhsa_exception_fp_ieee_underflow 0
		.amdhsa_exception_fp_ieee_inexact 0
		.amdhsa_exception_int_div_zero 0
	.end_amdhsa_kernel
	.section	.text._ZN7rocprim17ROCPRIM_400000_NS6detail17trampoline_kernelINS0_14default_configENS1_25partition_config_selectorILNS1_17partition_subalgoE8ElNS0_10empty_typeEbEEZZNS1_14partition_implILS5_8ELb0ES3_jPlPS6_PKS6_NS0_5tupleIJS9_S6_EEENSD_IJSA_SA_EEENS0_18inequality_wrapperIZN2at6native12_GLOBAL__N_124unique_dim_cuda_templateImEESt5tupleIJNSH_6TensorESM_SM_EERKSM_lbbbEUlllE0_EEPmJS6_EEE10hipError_tPvRmT3_T4_T5_T6_T7_T9_mT8_P12ihipStream_tbDpT10_ENKUlT_T0_E_clISt17integral_constantIbLb1EES1C_EEDaS17_S18_EUlS17_E_NS1_11comp_targetILNS1_3genE3ELNS1_11target_archE908ELNS1_3gpuE7ELNS1_3repE0EEENS1_30default_config_static_selectorELNS0_4arch9wavefront6targetE1EEEvT1_,"axG",@progbits,_ZN7rocprim17ROCPRIM_400000_NS6detail17trampoline_kernelINS0_14default_configENS1_25partition_config_selectorILNS1_17partition_subalgoE8ElNS0_10empty_typeEbEEZZNS1_14partition_implILS5_8ELb0ES3_jPlPS6_PKS6_NS0_5tupleIJS9_S6_EEENSD_IJSA_SA_EEENS0_18inequality_wrapperIZN2at6native12_GLOBAL__N_124unique_dim_cuda_templateImEESt5tupleIJNSH_6TensorESM_SM_EERKSM_lbbbEUlllE0_EEPmJS6_EEE10hipError_tPvRmT3_T4_T5_T6_T7_T9_mT8_P12ihipStream_tbDpT10_ENKUlT_T0_E_clISt17integral_constantIbLb1EES1C_EEDaS17_S18_EUlS17_E_NS1_11comp_targetILNS1_3genE3ELNS1_11target_archE908ELNS1_3gpuE7ELNS1_3repE0EEENS1_30default_config_static_selectorELNS0_4arch9wavefront6targetE1EEEvT1_,comdat
.Lfunc_end1674:
	.size	_ZN7rocprim17ROCPRIM_400000_NS6detail17trampoline_kernelINS0_14default_configENS1_25partition_config_selectorILNS1_17partition_subalgoE8ElNS0_10empty_typeEbEEZZNS1_14partition_implILS5_8ELb0ES3_jPlPS6_PKS6_NS0_5tupleIJS9_S6_EEENSD_IJSA_SA_EEENS0_18inequality_wrapperIZN2at6native12_GLOBAL__N_124unique_dim_cuda_templateImEESt5tupleIJNSH_6TensorESM_SM_EERKSM_lbbbEUlllE0_EEPmJS6_EEE10hipError_tPvRmT3_T4_T5_T6_T7_T9_mT8_P12ihipStream_tbDpT10_ENKUlT_T0_E_clISt17integral_constantIbLb1EES1C_EEDaS17_S18_EUlS17_E_NS1_11comp_targetILNS1_3genE3ELNS1_11target_archE908ELNS1_3gpuE7ELNS1_3repE0EEENS1_30default_config_static_selectorELNS0_4arch9wavefront6targetE1EEEvT1_, .Lfunc_end1674-_ZN7rocprim17ROCPRIM_400000_NS6detail17trampoline_kernelINS0_14default_configENS1_25partition_config_selectorILNS1_17partition_subalgoE8ElNS0_10empty_typeEbEEZZNS1_14partition_implILS5_8ELb0ES3_jPlPS6_PKS6_NS0_5tupleIJS9_S6_EEENSD_IJSA_SA_EEENS0_18inequality_wrapperIZN2at6native12_GLOBAL__N_124unique_dim_cuda_templateImEESt5tupleIJNSH_6TensorESM_SM_EERKSM_lbbbEUlllE0_EEPmJS6_EEE10hipError_tPvRmT3_T4_T5_T6_T7_T9_mT8_P12ihipStream_tbDpT10_ENKUlT_T0_E_clISt17integral_constantIbLb1EES1C_EEDaS17_S18_EUlS17_E_NS1_11comp_targetILNS1_3genE3ELNS1_11target_archE908ELNS1_3gpuE7ELNS1_3repE0EEENS1_30default_config_static_selectorELNS0_4arch9wavefront6targetE1EEEvT1_
                                        ; -- End function
	.set _ZN7rocprim17ROCPRIM_400000_NS6detail17trampoline_kernelINS0_14default_configENS1_25partition_config_selectorILNS1_17partition_subalgoE8ElNS0_10empty_typeEbEEZZNS1_14partition_implILS5_8ELb0ES3_jPlPS6_PKS6_NS0_5tupleIJS9_S6_EEENSD_IJSA_SA_EEENS0_18inequality_wrapperIZN2at6native12_GLOBAL__N_124unique_dim_cuda_templateImEESt5tupleIJNSH_6TensorESM_SM_EERKSM_lbbbEUlllE0_EEPmJS6_EEE10hipError_tPvRmT3_T4_T5_T6_T7_T9_mT8_P12ihipStream_tbDpT10_ENKUlT_T0_E_clISt17integral_constantIbLb1EES1C_EEDaS17_S18_EUlS17_E_NS1_11comp_targetILNS1_3genE3ELNS1_11target_archE908ELNS1_3gpuE7ELNS1_3repE0EEENS1_30default_config_static_selectorELNS0_4arch9wavefront6targetE1EEEvT1_.num_vgpr, 0
	.set _ZN7rocprim17ROCPRIM_400000_NS6detail17trampoline_kernelINS0_14default_configENS1_25partition_config_selectorILNS1_17partition_subalgoE8ElNS0_10empty_typeEbEEZZNS1_14partition_implILS5_8ELb0ES3_jPlPS6_PKS6_NS0_5tupleIJS9_S6_EEENSD_IJSA_SA_EEENS0_18inequality_wrapperIZN2at6native12_GLOBAL__N_124unique_dim_cuda_templateImEESt5tupleIJNSH_6TensorESM_SM_EERKSM_lbbbEUlllE0_EEPmJS6_EEE10hipError_tPvRmT3_T4_T5_T6_T7_T9_mT8_P12ihipStream_tbDpT10_ENKUlT_T0_E_clISt17integral_constantIbLb1EES1C_EEDaS17_S18_EUlS17_E_NS1_11comp_targetILNS1_3genE3ELNS1_11target_archE908ELNS1_3gpuE7ELNS1_3repE0EEENS1_30default_config_static_selectorELNS0_4arch9wavefront6targetE1EEEvT1_.num_agpr, 0
	.set _ZN7rocprim17ROCPRIM_400000_NS6detail17trampoline_kernelINS0_14default_configENS1_25partition_config_selectorILNS1_17partition_subalgoE8ElNS0_10empty_typeEbEEZZNS1_14partition_implILS5_8ELb0ES3_jPlPS6_PKS6_NS0_5tupleIJS9_S6_EEENSD_IJSA_SA_EEENS0_18inequality_wrapperIZN2at6native12_GLOBAL__N_124unique_dim_cuda_templateImEESt5tupleIJNSH_6TensorESM_SM_EERKSM_lbbbEUlllE0_EEPmJS6_EEE10hipError_tPvRmT3_T4_T5_T6_T7_T9_mT8_P12ihipStream_tbDpT10_ENKUlT_T0_E_clISt17integral_constantIbLb1EES1C_EEDaS17_S18_EUlS17_E_NS1_11comp_targetILNS1_3genE3ELNS1_11target_archE908ELNS1_3gpuE7ELNS1_3repE0EEENS1_30default_config_static_selectorELNS0_4arch9wavefront6targetE1EEEvT1_.numbered_sgpr, 0
	.set _ZN7rocprim17ROCPRIM_400000_NS6detail17trampoline_kernelINS0_14default_configENS1_25partition_config_selectorILNS1_17partition_subalgoE8ElNS0_10empty_typeEbEEZZNS1_14partition_implILS5_8ELb0ES3_jPlPS6_PKS6_NS0_5tupleIJS9_S6_EEENSD_IJSA_SA_EEENS0_18inequality_wrapperIZN2at6native12_GLOBAL__N_124unique_dim_cuda_templateImEESt5tupleIJNSH_6TensorESM_SM_EERKSM_lbbbEUlllE0_EEPmJS6_EEE10hipError_tPvRmT3_T4_T5_T6_T7_T9_mT8_P12ihipStream_tbDpT10_ENKUlT_T0_E_clISt17integral_constantIbLb1EES1C_EEDaS17_S18_EUlS17_E_NS1_11comp_targetILNS1_3genE3ELNS1_11target_archE908ELNS1_3gpuE7ELNS1_3repE0EEENS1_30default_config_static_selectorELNS0_4arch9wavefront6targetE1EEEvT1_.num_named_barrier, 0
	.set _ZN7rocprim17ROCPRIM_400000_NS6detail17trampoline_kernelINS0_14default_configENS1_25partition_config_selectorILNS1_17partition_subalgoE8ElNS0_10empty_typeEbEEZZNS1_14partition_implILS5_8ELb0ES3_jPlPS6_PKS6_NS0_5tupleIJS9_S6_EEENSD_IJSA_SA_EEENS0_18inequality_wrapperIZN2at6native12_GLOBAL__N_124unique_dim_cuda_templateImEESt5tupleIJNSH_6TensorESM_SM_EERKSM_lbbbEUlllE0_EEPmJS6_EEE10hipError_tPvRmT3_T4_T5_T6_T7_T9_mT8_P12ihipStream_tbDpT10_ENKUlT_T0_E_clISt17integral_constantIbLb1EES1C_EEDaS17_S18_EUlS17_E_NS1_11comp_targetILNS1_3genE3ELNS1_11target_archE908ELNS1_3gpuE7ELNS1_3repE0EEENS1_30default_config_static_selectorELNS0_4arch9wavefront6targetE1EEEvT1_.private_seg_size, 0
	.set _ZN7rocprim17ROCPRIM_400000_NS6detail17trampoline_kernelINS0_14default_configENS1_25partition_config_selectorILNS1_17partition_subalgoE8ElNS0_10empty_typeEbEEZZNS1_14partition_implILS5_8ELb0ES3_jPlPS6_PKS6_NS0_5tupleIJS9_S6_EEENSD_IJSA_SA_EEENS0_18inequality_wrapperIZN2at6native12_GLOBAL__N_124unique_dim_cuda_templateImEESt5tupleIJNSH_6TensorESM_SM_EERKSM_lbbbEUlllE0_EEPmJS6_EEE10hipError_tPvRmT3_T4_T5_T6_T7_T9_mT8_P12ihipStream_tbDpT10_ENKUlT_T0_E_clISt17integral_constantIbLb1EES1C_EEDaS17_S18_EUlS17_E_NS1_11comp_targetILNS1_3genE3ELNS1_11target_archE908ELNS1_3gpuE7ELNS1_3repE0EEENS1_30default_config_static_selectorELNS0_4arch9wavefront6targetE1EEEvT1_.uses_vcc, 0
	.set _ZN7rocprim17ROCPRIM_400000_NS6detail17trampoline_kernelINS0_14default_configENS1_25partition_config_selectorILNS1_17partition_subalgoE8ElNS0_10empty_typeEbEEZZNS1_14partition_implILS5_8ELb0ES3_jPlPS6_PKS6_NS0_5tupleIJS9_S6_EEENSD_IJSA_SA_EEENS0_18inequality_wrapperIZN2at6native12_GLOBAL__N_124unique_dim_cuda_templateImEESt5tupleIJNSH_6TensorESM_SM_EERKSM_lbbbEUlllE0_EEPmJS6_EEE10hipError_tPvRmT3_T4_T5_T6_T7_T9_mT8_P12ihipStream_tbDpT10_ENKUlT_T0_E_clISt17integral_constantIbLb1EES1C_EEDaS17_S18_EUlS17_E_NS1_11comp_targetILNS1_3genE3ELNS1_11target_archE908ELNS1_3gpuE7ELNS1_3repE0EEENS1_30default_config_static_selectorELNS0_4arch9wavefront6targetE1EEEvT1_.uses_flat_scratch, 0
	.set _ZN7rocprim17ROCPRIM_400000_NS6detail17trampoline_kernelINS0_14default_configENS1_25partition_config_selectorILNS1_17partition_subalgoE8ElNS0_10empty_typeEbEEZZNS1_14partition_implILS5_8ELb0ES3_jPlPS6_PKS6_NS0_5tupleIJS9_S6_EEENSD_IJSA_SA_EEENS0_18inequality_wrapperIZN2at6native12_GLOBAL__N_124unique_dim_cuda_templateImEESt5tupleIJNSH_6TensorESM_SM_EERKSM_lbbbEUlllE0_EEPmJS6_EEE10hipError_tPvRmT3_T4_T5_T6_T7_T9_mT8_P12ihipStream_tbDpT10_ENKUlT_T0_E_clISt17integral_constantIbLb1EES1C_EEDaS17_S18_EUlS17_E_NS1_11comp_targetILNS1_3genE3ELNS1_11target_archE908ELNS1_3gpuE7ELNS1_3repE0EEENS1_30default_config_static_selectorELNS0_4arch9wavefront6targetE1EEEvT1_.has_dyn_sized_stack, 0
	.set _ZN7rocprim17ROCPRIM_400000_NS6detail17trampoline_kernelINS0_14default_configENS1_25partition_config_selectorILNS1_17partition_subalgoE8ElNS0_10empty_typeEbEEZZNS1_14partition_implILS5_8ELb0ES3_jPlPS6_PKS6_NS0_5tupleIJS9_S6_EEENSD_IJSA_SA_EEENS0_18inequality_wrapperIZN2at6native12_GLOBAL__N_124unique_dim_cuda_templateImEESt5tupleIJNSH_6TensorESM_SM_EERKSM_lbbbEUlllE0_EEPmJS6_EEE10hipError_tPvRmT3_T4_T5_T6_T7_T9_mT8_P12ihipStream_tbDpT10_ENKUlT_T0_E_clISt17integral_constantIbLb1EES1C_EEDaS17_S18_EUlS17_E_NS1_11comp_targetILNS1_3genE3ELNS1_11target_archE908ELNS1_3gpuE7ELNS1_3repE0EEENS1_30default_config_static_selectorELNS0_4arch9wavefront6targetE1EEEvT1_.has_recursion, 0
	.set _ZN7rocprim17ROCPRIM_400000_NS6detail17trampoline_kernelINS0_14default_configENS1_25partition_config_selectorILNS1_17partition_subalgoE8ElNS0_10empty_typeEbEEZZNS1_14partition_implILS5_8ELb0ES3_jPlPS6_PKS6_NS0_5tupleIJS9_S6_EEENSD_IJSA_SA_EEENS0_18inequality_wrapperIZN2at6native12_GLOBAL__N_124unique_dim_cuda_templateImEESt5tupleIJNSH_6TensorESM_SM_EERKSM_lbbbEUlllE0_EEPmJS6_EEE10hipError_tPvRmT3_T4_T5_T6_T7_T9_mT8_P12ihipStream_tbDpT10_ENKUlT_T0_E_clISt17integral_constantIbLb1EES1C_EEDaS17_S18_EUlS17_E_NS1_11comp_targetILNS1_3genE3ELNS1_11target_archE908ELNS1_3gpuE7ELNS1_3repE0EEENS1_30default_config_static_selectorELNS0_4arch9wavefront6targetE1EEEvT1_.has_indirect_call, 0
	.section	.AMDGPU.csdata,"",@progbits
; Kernel info:
; codeLenInByte = 0
; TotalNumSgprs: 6
; NumVgprs: 0
; NumAgprs: 0
; TotalNumVgprs: 0
; ScratchSize: 0
; MemoryBound: 0
; FloatMode: 240
; IeeeMode: 1
; LDSByteSize: 0 bytes/workgroup (compile time only)
; SGPRBlocks: 0
; VGPRBlocks: 0
; NumSGPRsForWavesPerEU: 6
; NumVGPRsForWavesPerEU: 1
; AccumOffset: 4
; Occupancy: 8
; WaveLimiterHint : 0
; COMPUTE_PGM_RSRC2:SCRATCH_EN: 0
; COMPUTE_PGM_RSRC2:USER_SGPR: 2
; COMPUTE_PGM_RSRC2:TRAP_HANDLER: 0
; COMPUTE_PGM_RSRC2:TGID_X_EN: 1
; COMPUTE_PGM_RSRC2:TGID_Y_EN: 0
; COMPUTE_PGM_RSRC2:TGID_Z_EN: 0
; COMPUTE_PGM_RSRC2:TIDIG_COMP_CNT: 0
; COMPUTE_PGM_RSRC3_GFX90A:ACCUM_OFFSET: 0
; COMPUTE_PGM_RSRC3_GFX90A:TG_SPLIT: 0
	.section	.text._ZN7rocprim17ROCPRIM_400000_NS6detail17trampoline_kernelINS0_14default_configENS1_25partition_config_selectorILNS1_17partition_subalgoE8ElNS0_10empty_typeEbEEZZNS1_14partition_implILS5_8ELb0ES3_jPlPS6_PKS6_NS0_5tupleIJS9_S6_EEENSD_IJSA_SA_EEENS0_18inequality_wrapperIZN2at6native12_GLOBAL__N_124unique_dim_cuda_templateImEESt5tupleIJNSH_6TensorESM_SM_EERKSM_lbbbEUlllE0_EEPmJS6_EEE10hipError_tPvRmT3_T4_T5_T6_T7_T9_mT8_P12ihipStream_tbDpT10_ENKUlT_T0_E_clISt17integral_constantIbLb1EES1C_EEDaS17_S18_EUlS17_E_NS1_11comp_targetILNS1_3genE2ELNS1_11target_archE906ELNS1_3gpuE6ELNS1_3repE0EEENS1_30default_config_static_selectorELNS0_4arch9wavefront6targetE1EEEvT1_,"axG",@progbits,_ZN7rocprim17ROCPRIM_400000_NS6detail17trampoline_kernelINS0_14default_configENS1_25partition_config_selectorILNS1_17partition_subalgoE8ElNS0_10empty_typeEbEEZZNS1_14partition_implILS5_8ELb0ES3_jPlPS6_PKS6_NS0_5tupleIJS9_S6_EEENSD_IJSA_SA_EEENS0_18inequality_wrapperIZN2at6native12_GLOBAL__N_124unique_dim_cuda_templateImEESt5tupleIJNSH_6TensorESM_SM_EERKSM_lbbbEUlllE0_EEPmJS6_EEE10hipError_tPvRmT3_T4_T5_T6_T7_T9_mT8_P12ihipStream_tbDpT10_ENKUlT_T0_E_clISt17integral_constantIbLb1EES1C_EEDaS17_S18_EUlS17_E_NS1_11comp_targetILNS1_3genE2ELNS1_11target_archE906ELNS1_3gpuE6ELNS1_3repE0EEENS1_30default_config_static_selectorELNS0_4arch9wavefront6targetE1EEEvT1_,comdat
	.globl	_ZN7rocprim17ROCPRIM_400000_NS6detail17trampoline_kernelINS0_14default_configENS1_25partition_config_selectorILNS1_17partition_subalgoE8ElNS0_10empty_typeEbEEZZNS1_14partition_implILS5_8ELb0ES3_jPlPS6_PKS6_NS0_5tupleIJS9_S6_EEENSD_IJSA_SA_EEENS0_18inequality_wrapperIZN2at6native12_GLOBAL__N_124unique_dim_cuda_templateImEESt5tupleIJNSH_6TensorESM_SM_EERKSM_lbbbEUlllE0_EEPmJS6_EEE10hipError_tPvRmT3_T4_T5_T6_T7_T9_mT8_P12ihipStream_tbDpT10_ENKUlT_T0_E_clISt17integral_constantIbLb1EES1C_EEDaS17_S18_EUlS17_E_NS1_11comp_targetILNS1_3genE2ELNS1_11target_archE906ELNS1_3gpuE6ELNS1_3repE0EEENS1_30default_config_static_selectorELNS0_4arch9wavefront6targetE1EEEvT1_ ; -- Begin function _ZN7rocprim17ROCPRIM_400000_NS6detail17trampoline_kernelINS0_14default_configENS1_25partition_config_selectorILNS1_17partition_subalgoE8ElNS0_10empty_typeEbEEZZNS1_14partition_implILS5_8ELb0ES3_jPlPS6_PKS6_NS0_5tupleIJS9_S6_EEENSD_IJSA_SA_EEENS0_18inequality_wrapperIZN2at6native12_GLOBAL__N_124unique_dim_cuda_templateImEESt5tupleIJNSH_6TensorESM_SM_EERKSM_lbbbEUlllE0_EEPmJS6_EEE10hipError_tPvRmT3_T4_T5_T6_T7_T9_mT8_P12ihipStream_tbDpT10_ENKUlT_T0_E_clISt17integral_constantIbLb1EES1C_EEDaS17_S18_EUlS17_E_NS1_11comp_targetILNS1_3genE2ELNS1_11target_archE906ELNS1_3gpuE6ELNS1_3repE0EEENS1_30default_config_static_selectorELNS0_4arch9wavefront6targetE1EEEvT1_
	.p2align	8
	.type	_ZN7rocprim17ROCPRIM_400000_NS6detail17trampoline_kernelINS0_14default_configENS1_25partition_config_selectorILNS1_17partition_subalgoE8ElNS0_10empty_typeEbEEZZNS1_14partition_implILS5_8ELb0ES3_jPlPS6_PKS6_NS0_5tupleIJS9_S6_EEENSD_IJSA_SA_EEENS0_18inequality_wrapperIZN2at6native12_GLOBAL__N_124unique_dim_cuda_templateImEESt5tupleIJNSH_6TensorESM_SM_EERKSM_lbbbEUlllE0_EEPmJS6_EEE10hipError_tPvRmT3_T4_T5_T6_T7_T9_mT8_P12ihipStream_tbDpT10_ENKUlT_T0_E_clISt17integral_constantIbLb1EES1C_EEDaS17_S18_EUlS17_E_NS1_11comp_targetILNS1_3genE2ELNS1_11target_archE906ELNS1_3gpuE6ELNS1_3repE0EEENS1_30default_config_static_selectorELNS0_4arch9wavefront6targetE1EEEvT1_,@function
_ZN7rocprim17ROCPRIM_400000_NS6detail17trampoline_kernelINS0_14default_configENS1_25partition_config_selectorILNS1_17partition_subalgoE8ElNS0_10empty_typeEbEEZZNS1_14partition_implILS5_8ELb0ES3_jPlPS6_PKS6_NS0_5tupleIJS9_S6_EEENSD_IJSA_SA_EEENS0_18inequality_wrapperIZN2at6native12_GLOBAL__N_124unique_dim_cuda_templateImEESt5tupleIJNSH_6TensorESM_SM_EERKSM_lbbbEUlllE0_EEPmJS6_EEE10hipError_tPvRmT3_T4_T5_T6_T7_T9_mT8_P12ihipStream_tbDpT10_ENKUlT_T0_E_clISt17integral_constantIbLb1EES1C_EEDaS17_S18_EUlS17_E_NS1_11comp_targetILNS1_3genE2ELNS1_11target_archE906ELNS1_3gpuE6ELNS1_3repE0EEENS1_30default_config_static_selectorELNS0_4arch9wavefront6targetE1EEEvT1_: ; @_ZN7rocprim17ROCPRIM_400000_NS6detail17trampoline_kernelINS0_14default_configENS1_25partition_config_selectorILNS1_17partition_subalgoE8ElNS0_10empty_typeEbEEZZNS1_14partition_implILS5_8ELb0ES3_jPlPS6_PKS6_NS0_5tupleIJS9_S6_EEENSD_IJSA_SA_EEENS0_18inequality_wrapperIZN2at6native12_GLOBAL__N_124unique_dim_cuda_templateImEESt5tupleIJNSH_6TensorESM_SM_EERKSM_lbbbEUlllE0_EEPmJS6_EEE10hipError_tPvRmT3_T4_T5_T6_T7_T9_mT8_P12ihipStream_tbDpT10_ENKUlT_T0_E_clISt17integral_constantIbLb1EES1C_EEDaS17_S18_EUlS17_E_NS1_11comp_targetILNS1_3genE2ELNS1_11target_archE906ELNS1_3gpuE6ELNS1_3repE0EEENS1_30default_config_static_selectorELNS0_4arch9wavefront6targetE1EEEvT1_
; %bb.0:
	.section	.rodata,"a",@progbits
	.p2align	6, 0x0
	.amdhsa_kernel _ZN7rocprim17ROCPRIM_400000_NS6detail17trampoline_kernelINS0_14default_configENS1_25partition_config_selectorILNS1_17partition_subalgoE8ElNS0_10empty_typeEbEEZZNS1_14partition_implILS5_8ELb0ES3_jPlPS6_PKS6_NS0_5tupleIJS9_S6_EEENSD_IJSA_SA_EEENS0_18inequality_wrapperIZN2at6native12_GLOBAL__N_124unique_dim_cuda_templateImEESt5tupleIJNSH_6TensorESM_SM_EERKSM_lbbbEUlllE0_EEPmJS6_EEE10hipError_tPvRmT3_T4_T5_T6_T7_T9_mT8_P12ihipStream_tbDpT10_ENKUlT_T0_E_clISt17integral_constantIbLb1EES1C_EEDaS17_S18_EUlS17_E_NS1_11comp_targetILNS1_3genE2ELNS1_11target_archE906ELNS1_3gpuE6ELNS1_3repE0EEENS1_30default_config_static_selectorELNS0_4arch9wavefront6targetE1EEEvT1_
		.amdhsa_group_segment_fixed_size 0
		.amdhsa_private_segment_fixed_size 0
		.amdhsa_kernarg_size 136
		.amdhsa_user_sgpr_count 2
		.amdhsa_user_sgpr_dispatch_ptr 0
		.amdhsa_user_sgpr_queue_ptr 0
		.amdhsa_user_sgpr_kernarg_segment_ptr 1
		.amdhsa_user_sgpr_dispatch_id 0
		.amdhsa_user_sgpr_kernarg_preload_length 0
		.amdhsa_user_sgpr_kernarg_preload_offset 0
		.amdhsa_user_sgpr_private_segment_size 0
		.amdhsa_uses_dynamic_stack 0
		.amdhsa_enable_private_segment 0
		.amdhsa_system_sgpr_workgroup_id_x 1
		.amdhsa_system_sgpr_workgroup_id_y 0
		.amdhsa_system_sgpr_workgroup_id_z 0
		.amdhsa_system_sgpr_workgroup_info 0
		.amdhsa_system_vgpr_workitem_id 0
		.amdhsa_next_free_vgpr 1
		.amdhsa_next_free_sgpr 0
		.amdhsa_accum_offset 4
		.amdhsa_reserve_vcc 0
		.amdhsa_float_round_mode_32 0
		.amdhsa_float_round_mode_16_64 0
		.amdhsa_float_denorm_mode_32 3
		.amdhsa_float_denorm_mode_16_64 3
		.amdhsa_dx10_clamp 1
		.amdhsa_ieee_mode 1
		.amdhsa_fp16_overflow 0
		.amdhsa_tg_split 0
		.amdhsa_exception_fp_ieee_invalid_op 0
		.amdhsa_exception_fp_denorm_src 0
		.amdhsa_exception_fp_ieee_div_zero 0
		.amdhsa_exception_fp_ieee_overflow 0
		.amdhsa_exception_fp_ieee_underflow 0
		.amdhsa_exception_fp_ieee_inexact 0
		.amdhsa_exception_int_div_zero 0
	.end_amdhsa_kernel
	.section	.text._ZN7rocprim17ROCPRIM_400000_NS6detail17trampoline_kernelINS0_14default_configENS1_25partition_config_selectorILNS1_17partition_subalgoE8ElNS0_10empty_typeEbEEZZNS1_14partition_implILS5_8ELb0ES3_jPlPS6_PKS6_NS0_5tupleIJS9_S6_EEENSD_IJSA_SA_EEENS0_18inequality_wrapperIZN2at6native12_GLOBAL__N_124unique_dim_cuda_templateImEESt5tupleIJNSH_6TensorESM_SM_EERKSM_lbbbEUlllE0_EEPmJS6_EEE10hipError_tPvRmT3_T4_T5_T6_T7_T9_mT8_P12ihipStream_tbDpT10_ENKUlT_T0_E_clISt17integral_constantIbLb1EES1C_EEDaS17_S18_EUlS17_E_NS1_11comp_targetILNS1_3genE2ELNS1_11target_archE906ELNS1_3gpuE6ELNS1_3repE0EEENS1_30default_config_static_selectorELNS0_4arch9wavefront6targetE1EEEvT1_,"axG",@progbits,_ZN7rocprim17ROCPRIM_400000_NS6detail17trampoline_kernelINS0_14default_configENS1_25partition_config_selectorILNS1_17partition_subalgoE8ElNS0_10empty_typeEbEEZZNS1_14partition_implILS5_8ELb0ES3_jPlPS6_PKS6_NS0_5tupleIJS9_S6_EEENSD_IJSA_SA_EEENS0_18inequality_wrapperIZN2at6native12_GLOBAL__N_124unique_dim_cuda_templateImEESt5tupleIJNSH_6TensorESM_SM_EERKSM_lbbbEUlllE0_EEPmJS6_EEE10hipError_tPvRmT3_T4_T5_T6_T7_T9_mT8_P12ihipStream_tbDpT10_ENKUlT_T0_E_clISt17integral_constantIbLb1EES1C_EEDaS17_S18_EUlS17_E_NS1_11comp_targetILNS1_3genE2ELNS1_11target_archE906ELNS1_3gpuE6ELNS1_3repE0EEENS1_30default_config_static_selectorELNS0_4arch9wavefront6targetE1EEEvT1_,comdat
.Lfunc_end1675:
	.size	_ZN7rocprim17ROCPRIM_400000_NS6detail17trampoline_kernelINS0_14default_configENS1_25partition_config_selectorILNS1_17partition_subalgoE8ElNS0_10empty_typeEbEEZZNS1_14partition_implILS5_8ELb0ES3_jPlPS6_PKS6_NS0_5tupleIJS9_S6_EEENSD_IJSA_SA_EEENS0_18inequality_wrapperIZN2at6native12_GLOBAL__N_124unique_dim_cuda_templateImEESt5tupleIJNSH_6TensorESM_SM_EERKSM_lbbbEUlllE0_EEPmJS6_EEE10hipError_tPvRmT3_T4_T5_T6_T7_T9_mT8_P12ihipStream_tbDpT10_ENKUlT_T0_E_clISt17integral_constantIbLb1EES1C_EEDaS17_S18_EUlS17_E_NS1_11comp_targetILNS1_3genE2ELNS1_11target_archE906ELNS1_3gpuE6ELNS1_3repE0EEENS1_30default_config_static_selectorELNS0_4arch9wavefront6targetE1EEEvT1_, .Lfunc_end1675-_ZN7rocprim17ROCPRIM_400000_NS6detail17trampoline_kernelINS0_14default_configENS1_25partition_config_selectorILNS1_17partition_subalgoE8ElNS0_10empty_typeEbEEZZNS1_14partition_implILS5_8ELb0ES3_jPlPS6_PKS6_NS0_5tupleIJS9_S6_EEENSD_IJSA_SA_EEENS0_18inequality_wrapperIZN2at6native12_GLOBAL__N_124unique_dim_cuda_templateImEESt5tupleIJNSH_6TensorESM_SM_EERKSM_lbbbEUlllE0_EEPmJS6_EEE10hipError_tPvRmT3_T4_T5_T6_T7_T9_mT8_P12ihipStream_tbDpT10_ENKUlT_T0_E_clISt17integral_constantIbLb1EES1C_EEDaS17_S18_EUlS17_E_NS1_11comp_targetILNS1_3genE2ELNS1_11target_archE906ELNS1_3gpuE6ELNS1_3repE0EEENS1_30default_config_static_selectorELNS0_4arch9wavefront6targetE1EEEvT1_
                                        ; -- End function
	.set _ZN7rocprim17ROCPRIM_400000_NS6detail17trampoline_kernelINS0_14default_configENS1_25partition_config_selectorILNS1_17partition_subalgoE8ElNS0_10empty_typeEbEEZZNS1_14partition_implILS5_8ELb0ES3_jPlPS6_PKS6_NS0_5tupleIJS9_S6_EEENSD_IJSA_SA_EEENS0_18inequality_wrapperIZN2at6native12_GLOBAL__N_124unique_dim_cuda_templateImEESt5tupleIJNSH_6TensorESM_SM_EERKSM_lbbbEUlllE0_EEPmJS6_EEE10hipError_tPvRmT3_T4_T5_T6_T7_T9_mT8_P12ihipStream_tbDpT10_ENKUlT_T0_E_clISt17integral_constantIbLb1EES1C_EEDaS17_S18_EUlS17_E_NS1_11comp_targetILNS1_3genE2ELNS1_11target_archE906ELNS1_3gpuE6ELNS1_3repE0EEENS1_30default_config_static_selectorELNS0_4arch9wavefront6targetE1EEEvT1_.num_vgpr, 0
	.set _ZN7rocprim17ROCPRIM_400000_NS6detail17trampoline_kernelINS0_14default_configENS1_25partition_config_selectorILNS1_17partition_subalgoE8ElNS0_10empty_typeEbEEZZNS1_14partition_implILS5_8ELb0ES3_jPlPS6_PKS6_NS0_5tupleIJS9_S6_EEENSD_IJSA_SA_EEENS0_18inequality_wrapperIZN2at6native12_GLOBAL__N_124unique_dim_cuda_templateImEESt5tupleIJNSH_6TensorESM_SM_EERKSM_lbbbEUlllE0_EEPmJS6_EEE10hipError_tPvRmT3_T4_T5_T6_T7_T9_mT8_P12ihipStream_tbDpT10_ENKUlT_T0_E_clISt17integral_constantIbLb1EES1C_EEDaS17_S18_EUlS17_E_NS1_11comp_targetILNS1_3genE2ELNS1_11target_archE906ELNS1_3gpuE6ELNS1_3repE0EEENS1_30default_config_static_selectorELNS0_4arch9wavefront6targetE1EEEvT1_.num_agpr, 0
	.set _ZN7rocprim17ROCPRIM_400000_NS6detail17trampoline_kernelINS0_14default_configENS1_25partition_config_selectorILNS1_17partition_subalgoE8ElNS0_10empty_typeEbEEZZNS1_14partition_implILS5_8ELb0ES3_jPlPS6_PKS6_NS0_5tupleIJS9_S6_EEENSD_IJSA_SA_EEENS0_18inequality_wrapperIZN2at6native12_GLOBAL__N_124unique_dim_cuda_templateImEESt5tupleIJNSH_6TensorESM_SM_EERKSM_lbbbEUlllE0_EEPmJS6_EEE10hipError_tPvRmT3_T4_T5_T6_T7_T9_mT8_P12ihipStream_tbDpT10_ENKUlT_T0_E_clISt17integral_constantIbLb1EES1C_EEDaS17_S18_EUlS17_E_NS1_11comp_targetILNS1_3genE2ELNS1_11target_archE906ELNS1_3gpuE6ELNS1_3repE0EEENS1_30default_config_static_selectorELNS0_4arch9wavefront6targetE1EEEvT1_.numbered_sgpr, 0
	.set _ZN7rocprim17ROCPRIM_400000_NS6detail17trampoline_kernelINS0_14default_configENS1_25partition_config_selectorILNS1_17partition_subalgoE8ElNS0_10empty_typeEbEEZZNS1_14partition_implILS5_8ELb0ES3_jPlPS6_PKS6_NS0_5tupleIJS9_S6_EEENSD_IJSA_SA_EEENS0_18inequality_wrapperIZN2at6native12_GLOBAL__N_124unique_dim_cuda_templateImEESt5tupleIJNSH_6TensorESM_SM_EERKSM_lbbbEUlllE0_EEPmJS6_EEE10hipError_tPvRmT3_T4_T5_T6_T7_T9_mT8_P12ihipStream_tbDpT10_ENKUlT_T0_E_clISt17integral_constantIbLb1EES1C_EEDaS17_S18_EUlS17_E_NS1_11comp_targetILNS1_3genE2ELNS1_11target_archE906ELNS1_3gpuE6ELNS1_3repE0EEENS1_30default_config_static_selectorELNS0_4arch9wavefront6targetE1EEEvT1_.num_named_barrier, 0
	.set _ZN7rocprim17ROCPRIM_400000_NS6detail17trampoline_kernelINS0_14default_configENS1_25partition_config_selectorILNS1_17partition_subalgoE8ElNS0_10empty_typeEbEEZZNS1_14partition_implILS5_8ELb0ES3_jPlPS6_PKS6_NS0_5tupleIJS9_S6_EEENSD_IJSA_SA_EEENS0_18inequality_wrapperIZN2at6native12_GLOBAL__N_124unique_dim_cuda_templateImEESt5tupleIJNSH_6TensorESM_SM_EERKSM_lbbbEUlllE0_EEPmJS6_EEE10hipError_tPvRmT3_T4_T5_T6_T7_T9_mT8_P12ihipStream_tbDpT10_ENKUlT_T0_E_clISt17integral_constantIbLb1EES1C_EEDaS17_S18_EUlS17_E_NS1_11comp_targetILNS1_3genE2ELNS1_11target_archE906ELNS1_3gpuE6ELNS1_3repE0EEENS1_30default_config_static_selectorELNS0_4arch9wavefront6targetE1EEEvT1_.private_seg_size, 0
	.set _ZN7rocprim17ROCPRIM_400000_NS6detail17trampoline_kernelINS0_14default_configENS1_25partition_config_selectorILNS1_17partition_subalgoE8ElNS0_10empty_typeEbEEZZNS1_14partition_implILS5_8ELb0ES3_jPlPS6_PKS6_NS0_5tupleIJS9_S6_EEENSD_IJSA_SA_EEENS0_18inequality_wrapperIZN2at6native12_GLOBAL__N_124unique_dim_cuda_templateImEESt5tupleIJNSH_6TensorESM_SM_EERKSM_lbbbEUlllE0_EEPmJS6_EEE10hipError_tPvRmT3_T4_T5_T6_T7_T9_mT8_P12ihipStream_tbDpT10_ENKUlT_T0_E_clISt17integral_constantIbLb1EES1C_EEDaS17_S18_EUlS17_E_NS1_11comp_targetILNS1_3genE2ELNS1_11target_archE906ELNS1_3gpuE6ELNS1_3repE0EEENS1_30default_config_static_selectorELNS0_4arch9wavefront6targetE1EEEvT1_.uses_vcc, 0
	.set _ZN7rocprim17ROCPRIM_400000_NS6detail17trampoline_kernelINS0_14default_configENS1_25partition_config_selectorILNS1_17partition_subalgoE8ElNS0_10empty_typeEbEEZZNS1_14partition_implILS5_8ELb0ES3_jPlPS6_PKS6_NS0_5tupleIJS9_S6_EEENSD_IJSA_SA_EEENS0_18inequality_wrapperIZN2at6native12_GLOBAL__N_124unique_dim_cuda_templateImEESt5tupleIJNSH_6TensorESM_SM_EERKSM_lbbbEUlllE0_EEPmJS6_EEE10hipError_tPvRmT3_T4_T5_T6_T7_T9_mT8_P12ihipStream_tbDpT10_ENKUlT_T0_E_clISt17integral_constantIbLb1EES1C_EEDaS17_S18_EUlS17_E_NS1_11comp_targetILNS1_3genE2ELNS1_11target_archE906ELNS1_3gpuE6ELNS1_3repE0EEENS1_30default_config_static_selectorELNS0_4arch9wavefront6targetE1EEEvT1_.uses_flat_scratch, 0
	.set _ZN7rocprim17ROCPRIM_400000_NS6detail17trampoline_kernelINS0_14default_configENS1_25partition_config_selectorILNS1_17partition_subalgoE8ElNS0_10empty_typeEbEEZZNS1_14partition_implILS5_8ELb0ES3_jPlPS6_PKS6_NS0_5tupleIJS9_S6_EEENSD_IJSA_SA_EEENS0_18inequality_wrapperIZN2at6native12_GLOBAL__N_124unique_dim_cuda_templateImEESt5tupleIJNSH_6TensorESM_SM_EERKSM_lbbbEUlllE0_EEPmJS6_EEE10hipError_tPvRmT3_T4_T5_T6_T7_T9_mT8_P12ihipStream_tbDpT10_ENKUlT_T0_E_clISt17integral_constantIbLb1EES1C_EEDaS17_S18_EUlS17_E_NS1_11comp_targetILNS1_3genE2ELNS1_11target_archE906ELNS1_3gpuE6ELNS1_3repE0EEENS1_30default_config_static_selectorELNS0_4arch9wavefront6targetE1EEEvT1_.has_dyn_sized_stack, 0
	.set _ZN7rocprim17ROCPRIM_400000_NS6detail17trampoline_kernelINS0_14default_configENS1_25partition_config_selectorILNS1_17partition_subalgoE8ElNS0_10empty_typeEbEEZZNS1_14partition_implILS5_8ELb0ES3_jPlPS6_PKS6_NS0_5tupleIJS9_S6_EEENSD_IJSA_SA_EEENS0_18inequality_wrapperIZN2at6native12_GLOBAL__N_124unique_dim_cuda_templateImEESt5tupleIJNSH_6TensorESM_SM_EERKSM_lbbbEUlllE0_EEPmJS6_EEE10hipError_tPvRmT3_T4_T5_T6_T7_T9_mT8_P12ihipStream_tbDpT10_ENKUlT_T0_E_clISt17integral_constantIbLb1EES1C_EEDaS17_S18_EUlS17_E_NS1_11comp_targetILNS1_3genE2ELNS1_11target_archE906ELNS1_3gpuE6ELNS1_3repE0EEENS1_30default_config_static_selectorELNS0_4arch9wavefront6targetE1EEEvT1_.has_recursion, 0
	.set _ZN7rocprim17ROCPRIM_400000_NS6detail17trampoline_kernelINS0_14default_configENS1_25partition_config_selectorILNS1_17partition_subalgoE8ElNS0_10empty_typeEbEEZZNS1_14partition_implILS5_8ELb0ES3_jPlPS6_PKS6_NS0_5tupleIJS9_S6_EEENSD_IJSA_SA_EEENS0_18inequality_wrapperIZN2at6native12_GLOBAL__N_124unique_dim_cuda_templateImEESt5tupleIJNSH_6TensorESM_SM_EERKSM_lbbbEUlllE0_EEPmJS6_EEE10hipError_tPvRmT3_T4_T5_T6_T7_T9_mT8_P12ihipStream_tbDpT10_ENKUlT_T0_E_clISt17integral_constantIbLb1EES1C_EEDaS17_S18_EUlS17_E_NS1_11comp_targetILNS1_3genE2ELNS1_11target_archE906ELNS1_3gpuE6ELNS1_3repE0EEENS1_30default_config_static_selectorELNS0_4arch9wavefront6targetE1EEEvT1_.has_indirect_call, 0
	.section	.AMDGPU.csdata,"",@progbits
; Kernel info:
; codeLenInByte = 0
; TotalNumSgprs: 6
; NumVgprs: 0
; NumAgprs: 0
; TotalNumVgprs: 0
; ScratchSize: 0
; MemoryBound: 0
; FloatMode: 240
; IeeeMode: 1
; LDSByteSize: 0 bytes/workgroup (compile time only)
; SGPRBlocks: 0
; VGPRBlocks: 0
; NumSGPRsForWavesPerEU: 6
; NumVGPRsForWavesPerEU: 1
; AccumOffset: 4
; Occupancy: 8
; WaveLimiterHint : 0
; COMPUTE_PGM_RSRC2:SCRATCH_EN: 0
; COMPUTE_PGM_RSRC2:USER_SGPR: 2
; COMPUTE_PGM_RSRC2:TRAP_HANDLER: 0
; COMPUTE_PGM_RSRC2:TGID_X_EN: 1
; COMPUTE_PGM_RSRC2:TGID_Y_EN: 0
; COMPUTE_PGM_RSRC2:TGID_Z_EN: 0
; COMPUTE_PGM_RSRC2:TIDIG_COMP_CNT: 0
; COMPUTE_PGM_RSRC3_GFX90A:ACCUM_OFFSET: 0
; COMPUTE_PGM_RSRC3_GFX90A:TG_SPLIT: 0
	.section	.text._ZN7rocprim17ROCPRIM_400000_NS6detail17trampoline_kernelINS0_14default_configENS1_25partition_config_selectorILNS1_17partition_subalgoE8ElNS0_10empty_typeEbEEZZNS1_14partition_implILS5_8ELb0ES3_jPlPS6_PKS6_NS0_5tupleIJS9_S6_EEENSD_IJSA_SA_EEENS0_18inequality_wrapperIZN2at6native12_GLOBAL__N_124unique_dim_cuda_templateImEESt5tupleIJNSH_6TensorESM_SM_EERKSM_lbbbEUlllE0_EEPmJS6_EEE10hipError_tPvRmT3_T4_T5_T6_T7_T9_mT8_P12ihipStream_tbDpT10_ENKUlT_T0_E_clISt17integral_constantIbLb1EES1C_EEDaS17_S18_EUlS17_E_NS1_11comp_targetILNS1_3genE10ELNS1_11target_archE1200ELNS1_3gpuE4ELNS1_3repE0EEENS1_30default_config_static_selectorELNS0_4arch9wavefront6targetE1EEEvT1_,"axG",@progbits,_ZN7rocprim17ROCPRIM_400000_NS6detail17trampoline_kernelINS0_14default_configENS1_25partition_config_selectorILNS1_17partition_subalgoE8ElNS0_10empty_typeEbEEZZNS1_14partition_implILS5_8ELb0ES3_jPlPS6_PKS6_NS0_5tupleIJS9_S6_EEENSD_IJSA_SA_EEENS0_18inequality_wrapperIZN2at6native12_GLOBAL__N_124unique_dim_cuda_templateImEESt5tupleIJNSH_6TensorESM_SM_EERKSM_lbbbEUlllE0_EEPmJS6_EEE10hipError_tPvRmT3_T4_T5_T6_T7_T9_mT8_P12ihipStream_tbDpT10_ENKUlT_T0_E_clISt17integral_constantIbLb1EES1C_EEDaS17_S18_EUlS17_E_NS1_11comp_targetILNS1_3genE10ELNS1_11target_archE1200ELNS1_3gpuE4ELNS1_3repE0EEENS1_30default_config_static_selectorELNS0_4arch9wavefront6targetE1EEEvT1_,comdat
	.globl	_ZN7rocprim17ROCPRIM_400000_NS6detail17trampoline_kernelINS0_14default_configENS1_25partition_config_selectorILNS1_17partition_subalgoE8ElNS0_10empty_typeEbEEZZNS1_14partition_implILS5_8ELb0ES3_jPlPS6_PKS6_NS0_5tupleIJS9_S6_EEENSD_IJSA_SA_EEENS0_18inequality_wrapperIZN2at6native12_GLOBAL__N_124unique_dim_cuda_templateImEESt5tupleIJNSH_6TensorESM_SM_EERKSM_lbbbEUlllE0_EEPmJS6_EEE10hipError_tPvRmT3_T4_T5_T6_T7_T9_mT8_P12ihipStream_tbDpT10_ENKUlT_T0_E_clISt17integral_constantIbLb1EES1C_EEDaS17_S18_EUlS17_E_NS1_11comp_targetILNS1_3genE10ELNS1_11target_archE1200ELNS1_3gpuE4ELNS1_3repE0EEENS1_30default_config_static_selectorELNS0_4arch9wavefront6targetE1EEEvT1_ ; -- Begin function _ZN7rocprim17ROCPRIM_400000_NS6detail17trampoline_kernelINS0_14default_configENS1_25partition_config_selectorILNS1_17partition_subalgoE8ElNS0_10empty_typeEbEEZZNS1_14partition_implILS5_8ELb0ES3_jPlPS6_PKS6_NS0_5tupleIJS9_S6_EEENSD_IJSA_SA_EEENS0_18inequality_wrapperIZN2at6native12_GLOBAL__N_124unique_dim_cuda_templateImEESt5tupleIJNSH_6TensorESM_SM_EERKSM_lbbbEUlllE0_EEPmJS6_EEE10hipError_tPvRmT3_T4_T5_T6_T7_T9_mT8_P12ihipStream_tbDpT10_ENKUlT_T0_E_clISt17integral_constantIbLb1EES1C_EEDaS17_S18_EUlS17_E_NS1_11comp_targetILNS1_3genE10ELNS1_11target_archE1200ELNS1_3gpuE4ELNS1_3repE0EEENS1_30default_config_static_selectorELNS0_4arch9wavefront6targetE1EEEvT1_
	.p2align	8
	.type	_ZN7rocprim17ROCPRIM_400000_NS6detail17trampoline_kernelINS0_14default_configENS1_25partition_config_selectorILNS1_17partition_subalgoE8ElNS0_10empty_typeEbEEZZNS1_14partition_implILS5_8ELb0ES3_jPlPS6_PKS6_NS0_5tupleIJS9_S6_EEENSD_IJSA_SA_EEENS0_18inequality_wrapperIZN2at6native12_GLOBAL__N_124unique_dim_cuda_templateImEESt5tupleIJNSH_6TensorESM_SM_EERKSM_lbbbEUlllE0_EEPmJS6_EEE10hipError_tPvRmT3_T4_T5_T6_T7_T9_mT8_P12ihipStream_tbDpT10_ENKUlT_T0_E_clISt17integral_constantIbLb1EES1C_EEDaS17_S18_EUlS17_E_NS1_11comp_targetILNS1_3genE10ELNS1_11target_archE1200ELNS1_3gpuE4ELNS1_3repE0EEENS1_30default_config_static_selectorELNS0_4arch9wavefront6targetE1EEEvT1_,@function
_ZN7rocprim17ROCPRIM_400000_NS6detail17trampoline_kernelINS0_14default_configENS1_25partition_config_selectorILNS1_17partition_subalgoE8ElNS0_10empty_typeEbEEZZNS1_14partition_implILS5_8ELb0ES3_jPlPS6_PKS6_NS0_5tupleIJS9_S6_EEENSD_IJSA_SA_EEENS0_18inequality_wrapperIZN2at6native12_GLOBAL__N_124unique_dim_cuda_templateImEESt5tupleIJNSH_6TensorESM_SM_EERKSM_lbbbEUlllE0_EEPmJS6_EEE10hipError_tPvRmT3_T4_T5_T6_T7_T9_mT8_P12ihipStream_tbDpT10_ENKUlT_T0_E_clISt17integral_constantIbLb1EES1C_EEDaS17_S18_EUlS17_E_NS1_11comp_targetILNS1_3genE10ELNS1_11target_archE1200ELNS1_3gpuE4ELNS1_3repE0EEENS1_30default_config_static_selectorELNS0_4arch9wavefront6targetE1EEEvT1_: ; @_ZN7rocprim17ROCPRIM_400000_NS6detail17trampoline_kernelINS0_14default_configENS1_25partition_config_selectorILNS1_17partition_subalgoE8ElNS0_10empty_typeEbEEZZNS1_14partition_implILS5_8ELb0ES3_jPlPS6_PKS6_NS0_5tupleIJS9_S6_EEENSD_IJSA_SA_EEENS0_18inequality_wrapperIZN2at6native12_GLOBAL__N_124unique_dim_cuda_templateImEESt5tupleIJNSH_6TensorESM_SM_EERKSM_lbbbEUlllE0_EEPmJS6_EEE10hipError_tPvRmT3_T4_T5_T6_T7_T9_mT8_P12ihipStream_tbDpT10_ENKUlT_T0_E_clISt17integral_constantIbLb1EES1C_EEDaS17_S18_EUlS17_E_NS1_11comp_targetILNS1_3genE10ELNS1_11target_archE1200ELNS1_3gpuE4ELNS1_3repE0EEENS1_30default_config_static_selectorELNS0_4arch9wavefront6targetE1EEEvT1_
; %bb.0:
	.section	.rodata,"a",@progbits
	.p2align	6, 0x0
	.amdhsa_kernel _ZN7rocprim17ROCPRIM_400000_NS6detail17trampoline_kernelINS0_14default_configENS1_25partition_config_selectorILNS1_17partition_subalgoE8ElNS0_10empty_typeEbEEZZNS1_14partition_implILS5_8ELb0ES3_jPlPS6_PKS6_NS0_5tupleIJS9_S6_EEENSD_IJSA_SA_EEENS0_18inequality_wrapperIZN2at6native12_GLOBAL__N_124unique_dim_cuda_templateImEESt5tupleIJNSH_6TensorESM_SM_EERKSM_lbbbEUlllE0_EEPmJS6_EEE10hipError_tPvRmT3_T4_T5_T6_T7_T9_mT8_P12ihipStream_tbDpT10_ENKUlT_T0_E_clISt17integral_constantIbLb1EES1C_EEDaS17_S18_EUlS17_E_NS1_11comp_targetILNS1_3genE10ELNS1_11target_archE1200ELNS1_3gpuE4ELNS1_3repE0EEENS1_30default_config_static_selectorELNS0_4arch9wavefront6targetE1EEEvT1_
		.amdhsa_group_segment_fixed_size 0
		.amdhsa_private_segment_fixed_size 0
		.amdhsa_kernarg_size 136
		.amdhsa_user_sgpr_count 2
		.amdhsa_user_sgpr_dispatch_ptr 0
		.amdhsa_user_sgpr_queue_ptr 0
		.amdhsa_user_sgpr_kernarg_segment_ptr 1
		.amdhsa_user_sgpr_dispatch_id 0
		.amdhsa_user_sgpr_kernarg_preload_length 0
		.amdhsa_user_sgpr_kernarg_preload_offset 0
		.amdhsa_user_sgpr_private_segment_size 0
		.amdhsa_uses_dynamic_stack 0
		.amdhsa_enable_private_segment 0
		.amdhsa_system_sgpr_workgroup_id_x 1
		.amdhsa_system_sgpr_workgroup_id_y 0
		.amdhsa_system_sgpr_workgroup_id_z 0
		.amdhsa_system_sgpr_workgroup_info 0
		.amdhsa_system_vgpr_workitem_id 0
		.amdhsa_next_free_vgpr 1
		.amdhsa_next_free_sgpr 0
		.amdhsa_accum_offset 4
		.amdhsa_reserve_vcc 0
		.amdhsa_float_round_mode_32 0
		.amdhsa_float_round_mode_16_64 0
		.amdhsa_float_denorm_mode_32 3
		.amdhsa_float_denorm_mode_16_64 3
		.amdhsa_dx10_clamp 1
		.amdhsa_ieee_mode 1
		.amdhsa_fp16_overflow 0
		.amdhsa_tg_split 0
		.amdhsa_exception_fp_ieee_invalid_op 0
		.amdhsa_exception_fp_denorm_src 0
		.amdhsa_exception_fp_ieee_div_zero 0
		.amdhsa_exception_fp_ieee_overflow 0
		.amdhsa_exception_fp_ieee_underflow 0
		.amdhsa_exception_fp_ieee_inexact 0
		.amdhsa_exception_int_div_zero 0
	.end_amdhsa_kernel
	.section	.text._ZN7rocprim17ROCPRIM_400000_NS6detail17trampoline_kernelINS0_14default_configENS1_25partition_config_selectorILNS1_17partition_subalgoE8ElNS0_10empty_typeEbEEZZNS1_14partition_implILS5_8ELb0ES3_jPlPS6_PKS6_NS0_5tupleIJS9_S6_EEENSD_IJSA_SA_EEENS0_18inequality_wrapperIZN2at6native12_GLOBAL__N_124unique_dim_cuda_templateImEESt5tupleIJNSH_6TensorESM_SM_EERKSM_lbbbEUlllE0_EEPmJS6_EEE10hipError_tPvRmT3_T4_T5_T6_T7_T9_mT8_P12ihipStream_tbDpT10_ENKUlT_T0_E_clISt17integral_constantIbLb1EES1C_EEDaS17_S18_EUlS17_E_NS1_11comp_targetILNS1_3genE10ELNS1_11target_archE1200ELNS1_3gpuE4ELNS1_3repE0EEENS1_30default_config_static_selectorELNS0_4arch9wavefront6targetE1EEEvT1_,"axG",@progbits,_ZN7rocprim17ROCPRIM_400000_NS6detail17trampoline_kernelINS0_14default_configENS1_25partition_config_selectorILNS1_17partition_subalgoE8ElNS0_10empty_typeEbEEZZNS1_14partition_implILS5_8ELb0ES3_jPlPS6_PKS6_NS0_5tupleIJS9_S6_EEENSD_IJSA_SA_EEENS0_18inequality_wrapperIZN2at6native12_GLOBAL__N_124unique_dim_cuda_templateImEESt5tupleIJNSH_6TensorESM_SM_EERKSM_lbbbEUlllE0_EEPmJS6_EEE10hipError_tPvRmT3_T4_T5_T6_T7_T9_mT8_P12ihipStream_tbDpT10_ENKUlT_T0_E_clISt17integral_constantIbLb1EES1C_EEDaS17_S18_EUlS17_E_NS1_11comp_targetILNS1_3genE10ELNS1_11target_archE1200ELNS1_3gpuE4ELNS1_3repE0EEENS1_30default_config_static_selectorELNS0_4arch9wavefront6targetE1EEEvT1_,comdat
.Lfunc_end1676:
	.size	_ZN7rocprim17ROCPRIM_400000_NS6detail17trampoline_kernelINS0_14default_configENS1_25partition_config_selectorILNS1_17partition_subalgoE8ElNS0_10empty_typeEbEEZZNS1_14partition_implILS5_8ELb0ES3_jPlPS6_PKS6_NS0_5tupleIJS9_S6_EEENSD_IJSA_SA_EEENS0_18inequality_wrapperIZN2at6native12_GLOBAL__N_124unique_dim_cuda_templateImEESt5tupleIJNSH_6TensorESM_SM_EERKSM_lbbbEUlllE0_EEPmJS6_EEE10hipError_tPvRmT3_T4_T5_T6_T7_T9_mT8_P12ihipStream_tbDpT10_ENKUlT_T0_E_clISt17integral_constantIbLb1EES1C_EEDaS17_S18_EUlS17_E_NS1_11comp_targetILNS1_3genE10ELNS1_11target_archE1200ELNS1_3gpuE4ELNS1_3repE0EEENS1_30default_config_static_selectorELNS0_4arch9wavefront6targetE1EEEvT1_, .Lfunc_end1676-_ZN7rocprim17ROCPRIM_400000_NS6detail17trampoline_kernelINS0_14default_configENS1_25partition_config_selectorILNS1_17partition_subalgoE8ElNS0_10empty_typeEbEEZZNS1_14partition_implILS5_8ELb0ES3_jPlPS6_PKS6_NS0_5tupleIJS9_S6_EEENSD_IJSA_SA_EEENS0_18inequality_wrapperIZN2at6native12_GLOBAL__N_124unique_dim_cuda_templateImEESt5tupleIJNSH_6TensorESM_SM_EERKSM_lbbbEUlllE0_EEPmJS6_EEE10hipError_tPvRmT3_T4_T5_T6_T7_T9_mT8_P12ihipStream_tbDpT10_ENKUlT_T0_E_clISt17integral_constantIbLb1EES1C_EEDaS17_S18_EUlS17_E_NS1_11comp_targetILNS1_3genE10ELNS1_11target_archE1200ELNS1_3gpuE4ELNS1_3repE0EEENS1_30default_config_static_selectorELNS0_4arch9wavefront6targetE1EEEvT1_
                                        ; -- End function
	.set _ZN7rocprim17ROCPRIM_400000_NS6detail17trampoline_kernelINS0_14default_configENS1_25partition_config_selectorILNS1_17partition_subalgoE8ElNS0_10empty_typeEbEEZZNS1_14partition_implILS5_8ELb0ES3_jPlPS6_PKS6_NS0_5tupleIJS9_S6_EEENSD_IJSA_SA_EEENS0_18inequality_wrapperIZN2at6native12_GLOBAL__N_124unique_dim_cuda_templateImEESt5tupleIJNSH_6TensorESM_SM_EERKSM_lbbbEUlllE0_EEPmJS6_EEE10hipError_tPvRmT3_T4_T5_T6_T7_T9_mT8_P12ihipStream_tbDpT10_ENKUlT_T0_E_clISt17integral_constantIbLb1EES1C_EEDaS17_S18_EUlS17_E_NS1_11comp_targetILNS1_3genE10ELNS1_11target_archE1200ELNS1_3gpuE4ELNS1_3repE0EEENS1_30default_config_static_selectorELNS0_4arch9wavefront6targetE1EEEvT1_.num_vgpr, 0
	.set _ZN7rocprim17ROCPRIM_400000_NS6detail17trampoline_kernelINS0_14default_configENS1_25partition_config_selectorILNS1_17partition_subalgoE8ElNS0_10empty_typeEbEEZZNS1_14partition_implILS5_8ELb0ES3_jPlPS6_PKS6_NS0_5tupleIJS9_S6_EEENSD_IJSA_SA_EEENS0_18inequality_wrapperIZN2at6native12_GLOBAL__N_124unique_dim_cuda_templateImEESt5tupleIJNSH_6TensorESM_SM_EERKSM_lbbbEUlllE0_EEPmJS6_EEE10hipError_tPvRmT3_T4_T5_T6_T7_T9_mT8_P12ihipStream_tbDpT10_ENKUlT_T0_E_clISt17integral_constantIbLb1EES1C_EEDaS17_S18_EUlS17_E_NS1_11comp_targetILNS1_3genE10ELNS1_11target_archE1200ELNS1_3gpuE4ELNS1_3repE0EEENS1_30default_config_static_selectorELNS0_4arch9wavefront6targetE1EEEvT1_.num_agpr, 0
	.set _ZN7rocprim17ROCPRIM_400000_NS6detail17trampoline_kernelINS0_14default_configENS1_25partition_config_selectorILNS1_17partition_subalgoE8ElNS0_10empty_typeEbEEZZNS1_14partition_implILS5_8ELb0ES3_jPlPS6_PKS6_NS0_5tupleIJS9_S6_EEENSD_IJSA_SA_EEENS0_18inequality_wrapperIZN2at6native12_GLOBAL__N_124unique_dim_cuda_templateImEESt5tupleIJNSH_6TensorESM_SM_EERKSM_lbbbEUlllE0_EEPmJS6_EEE10hipError_tPvRmT3_T4_T5_T6_T7_T9_mT8_P12ihipStream_tbDpT10_ENKUlT_T0_E_clISt17integral_constantIbLb1EES1C_EEDaS17_S18_EUlS17_E_NS1_11comp_targetILNS1_3genE10ELNS1_11target_archE1200ELNS1_3gpuE4ELNS1_3repE0EEENS1_30default_config_static_selectorELNS0_4arch9wavefront6targetE1EEEvT1_.numbered_sgpr, 0
	.set _ZN7rocprim17ROCPRIM_400000_NS6detail17trampoline_kernelINS0_14default_configENS1_25partition_config_selectorILNS1_17partition_subalgoE8ElNS0_10empty_typeEbEEZZNS1_14partition_implILS5_8ELb0ES3_jPlPS6_PKS6_NS0_5tupleIJS9_S6_EEENSD_IJSA_SA_EEENS0_18inequality_wrapperIZN2at6native12_GLOBAL__N_124unique_dim_cuda_templateImEESt5tupleIJNSH_6TensorESM_SM_EERKSM_lbbbEUlllE0_EEPmJS6_EEE10hipError_tPvRmT3_T4_T5_T6_T7_T9_mT8_P12ihipStream_tbDpT10_ENKUlT_T0_E_clISt17integral_constantIbLb1EES1C_EEDaS17_S18_EUlS17_E_NS1_11comp_targetILNS1_3genE10ELNS1_11target_archE1200ELNS1_3gpuE4ELNS1_3repE0EEENS1_30default_config_static_selectorELNS0_4arch9wavefront6targetE1EEEvT1_.num_named_barrier, 0
	.set _ZN7rocprim17ROCPRIM_400000_NS6detail17trampoline_kernelINS0_14default_configENS1_25partition_config_selectorILNS1_17partition_subalgoE8ElNS0_10empty_typeEbEEZZNS1_14partition_implILS5_8ELb0ES3_jPlPS6_PKS6_NS0_5tupleIJS9_S6_EEENSD_IJSA_SA_EEENS0_18inequality_wrapperIZN2at6native12_GLOBAL__N_124unique_dim_cuda_templateImEESt5tupleIJNSH_6TensorESM_SM_EERKSM_lbbbEUlllE0_EEPmJS6_EEE10hipError_tPvRmT3_T4_T5_T6_T7_T9_mT8_P12ihipStream_tbDpT10_ENKUlT_T0_E_clISt17integral_constantIbLb1EES1C_EEDaS17_S18_EUlS17_E_NS1_11comp_targetILNS1_3genE10ELNS1_11target_archE1200ELNS1_3gpuE4ELNS1_3repE0EEENS1_30default_config_static_selectorELNS0_4arch9wavefront6targetE1EEEvT1_.private_seg_size, 0
	.set _ZN7rocprim17ROCPRIM_400000_NS6detail17trampoline_kernelINS0_14default_configENS1_25partition_config_selectorILNS1_17partition_subalgoE8ElNS0_10empty_typeEbEEZZNS1_14partition_implILS5_8ELb0ES3_jPlPS6_PKS6_NS0_5tupleIJS9_S6_EEENSD_IJSA_SA_EEENS0_18inequality_wrapperIZN2at6native12_GLOBAL__N_124unique_dim_cuda_templateImEESt5tupleIJNSH_6TensorESM_SM_EERKSM_lbbbEUlllE0_EEPmJS6_EEE10hipError_tPvRmT3_T4_T5_T6_T7_T9_mT8_P12ihipStream_tbDpT10_ENKUlT_T0_E_clISt17integral_constantIbLb1EES1C_EEDaS17_S18_EUlS17_E_NS1_11comp_targetILNS1_3genE10ELNS1_11target_archE1200ELNS1_3gpuE4ELNS1_3repE0EEENS1_30default_config_static_selectorELNS0_4arch9wavefront6targetE1EEEvT1_.uses_vcc, 0
	.set _ZN7rocprim17ROCPRIM_400000_NS6detail17trampoline_kernelINS0_14default_configENS1_25partition_config_selectorILNS1_17partition_subalgoE8ElNS0_10empty_typeEbEEZZNS1_14partition_implILS5_8ELb0ES3_jPlPS6_PKS6_NS0_5tupleIJS9_S6_EEENSD_IJSA_SA_EEENS0_18inequality_wrapperIZN2at6native12_GLOBAL__N_124unique_dim_cuda_templateImEESt5tupleIJNSH_6TensorESM_SM_EERKSM_lbbbEUlllE0_EEPmJS6_EEE10hipError_tPvRmT3_T4_T5_T6_T7_T9_mT8_P12ihipStream_tbDpT10_ENKUlT_T0_E_clISt17integral_constantIbLb1EES1C_EEDaS17_S18_EUlS17_E_NS1_11comp_targetILNS1_3genE10ELNS1_11target_archE1200ELNS1_3gpuE4ELNS1_3repE0EEENS1_30default_config_static_selectorELNS0_4arch9wavefront6targetE1EEEvT1_.uses_flat_scratch, 0
	.set _ZN7rocprim17ROCPRIM_400000_NS6detail17trampoline_kernelINS0_14default_configENS1_25partition_config_selectorILNS1_17partition_subalgoE8ElNS0_10empty_typeEbEEZZNS1_14partition_implILS5_8ELb0ES3_jPlPS6_PKS6_NS0_5tupleIJS9_S6_EEENSD_IJSA_SA_EEENS0_18inequality_wrapperIZN2at6native12_GLOBAL__N_124unique_dim_cuda_templateImEESt5tupleIJNSH_6TensorESM_SM_EERKSM_lbbbEUlllE0_EEPmJS6_EEE10hipError_tPvRmT3_T4_T5_T6_T7_T9_mT8_P12ihipStream_tbDpT10_ENKUlT_T0_E_clISt17integral_constantIbLb1EES1C_EEDaS17_S18_EUlS17_E_NS1_11comp_targetILNS1_3genE10ELNS1_11target_archE1200ELNS1_3gpuE4ELNS1_3repE0EEENS1_30default_config_static_selectorELNS0_4arch9wavefront6targetE1EEEvT1_.has_dyn_sized_stack, 0
	.set _ZN7rocprim17ROCPRIM_400000_NS6detail17trampoline_kernelINS0_14default_configENS1_25partition_config_selectorILNS1_17partition_subalgoE8ElNS0_10empty_typeEbEEZZNS1_14partition_implILS5_8ELb0ES3_jPlPS6_PKS6_NS0_5tupleIJS9_S6_EEENSD_IJSA_SA_EEENS0_18inequality_wrapperIZN2at6native12_GLOBAL__N_124unique_dim_cuda_templateImEESt5tupleIJNSH_6TensorESM_SM_EERKSM_lbbbEUlllE0_EEPmJS6_EEE10hipError_tPvRmT3_T4_T5_T6_T7_T9_mT8_P12ihipStream_tbDpT10_ENKUlT_T0_E_clISt17integral_constantIbLb1EES1C_EEDaS17_S18_EUlS17_E_NS1_11comp_targetILNS1_3genE10ELNS1_11target_archE1200ELNS1_3gpuE4ELNS1_3repE0EEENS1_30default_config_static_selectorELNS0_4arch9wavefront6targetE1EEEvT1_.has_recursion, 0
	.set _ZN7rocprim17ROCPRIM_400000_NS6detail17trampoline_kernelINS0_14default_configENS1_25partition_config_selectorILNS1_17partition_subalgoE8ElNS0_10empty_typeEbEEZZNS1_14partition_implILS5_8ELb0ES3_jPlPS6_PKS6_NS0_5tupleIJS9_S6_EEENSD_IJSA_SA_EEENS0_18inequality_wrapperIZN2at6native12_GLOBAL__N_124unique_dim_cuda_templateImEESt5tupleIJNSH_6TensorESM_SM_EERKSM_lbbbEUlllE0_EEPmJS6_EEE10hipError_tPvRmT3_T4_T5_T6_T7_T9_mT8_P12ihipStream_tbDpT10_ENKUlT_T0_E_clISt17integral_constantIbLb1EES1C_EEDaS17_S18_EUlS17_E_NS1_11comp_targetILNS1_3genE10ELNS1_11target_archE1200ELNS1_3gpuE4ELNS1_3repE0EEENS1_30default_config_static_selectorELNS0_4arch9wavefront6targetE1EEEvT1_.has_indirect_call, 0
	.section	.AMDGPU.csdata,"",@progbits
; Kernel info:
; codeLenInByte = 0
; TotalNumSgprs: 6
; NumVgprs: 0
; NumAgprs: 0
; TotalNumVgprs: 0
; ScratchSize: 0
; MemoryBound: 0
; FloatMode: 240
; IeeeMode: 1
; LDSByteSize: 0 bytes/workgroup (compile time only)
; SGPRBlocks: 0
; VGPRBlocks: 0
; NumSGPRsForWavesPerEU: 6
; NumVGPRsForWavesPerEU: 1
; AccumOffset: 4
; Occupancy: 8
; WaveLimiterHint : 0
; COMPUTE_PGM_RSRC2:SCRATCH_EN: 0
; COMPUTE_PGM_RSRC2:USER_SGPR: 2
; COMPUTE_PGM_RSRC2:TRAP_HANDLER: 0
; COMPUTE_PGM_RSRC2:TGID_X_EN: 1
; COMPUTE_PGM_RSRC2:TGID_Y_EN: 0
; COMPUTE_PGM_RSRC2:TGID_Z_EN: 0
; COMPUTE_PGM_RSRC2:TIDIG_COMP_CNT: 0
; COMPUTE_PGM_RSRC3_GFX90A:ACCUM_OFFSET: 0
; COMPUTE_PGM_RSRC3_GFX90A:TG_SPLIT: 0
	.section	.text._ZN7rocprim17ROCPRIM_400000_NS6detail17trampoline_kernelINS0_14default_configENS1_25partition_config_selectorILNS1_17partition_subalgoE8ElNS0_10empty_typeEbEEZZNS1_14partition_implILS5_8ELb0ES3_jPlPS6_PKS6_NS0_5tupleIJS9_S6_EEENSD_IJSA_SA_EEENS0_18inequality_wrapperIZN2at6native12_GLOBAL__N_124unique_dim_cuda_templateImEESt5tupleIJNSH_6TensorESM_SM_EERKSM_lbbbEUlllE0_EEPmJS6_EEE10hipError_tPvRmT3_T4_T5_T6_T7_T9_mT8_P12ihipStream_tbDpT10_ENKUlT_T0_E_clISt17integral_constantIbLb1EES1C_EEDaS17_S18_EUlS17_E_NS1_11comp_targetILNS1_3genE9ELNS1_11target_archE1100ELNS1_3gpuE3ELNS1_3repE0EEENS1_30default_config_static_selectorELNS0_4arch9wavefront6targetE1EEEvT1_,"axG",@progbits,_ZN7rocprim17ROCPRIM_400000_NS6detail17trampoline_kernelINS0_14default_configENS1_25partition_config_selectorILNS1_17partition_subalgoE8ElNS0_10empty_typeEbEEZZNS1_14partition_implILS5_8ELb0ES3_jPlPS6_PKS6_NS0_5tupleIJS9_S6_EEENSD_IJSA_SA_EEENS0_18inequality_wrapperIZN2at6native12_GLOBAL__N_124unique_dim_cuda_templateImEESt5tupleIJNSH_6TensorESM_SM_EERKSM_lbbbEUlllE0_EEPmJS6_EEE10hipError_tPvRmT3_T4_T5_T6_T7_T9_mT8_P12ihipStream_tbDpT10_ENKUlT_T0_E_clISt17integral_constantIbLb1EES1C_EEDaS17_S18_EUlS17_E_NS1_11comp_targetILNS1_3genE9ELNS1_11target_archE1100ELNS1_3gpuE3ELNS1_3repE0EEENS1_30default_config_static_selectorELNS0_4arch9wavefront6targetE1EEEvT1_,comdat
	.globl	_ZN7rocprim17ROCPRIM_400000_NS6detail17trampoline_kernelINS0_14default_configENS1_25partition_config_selectorILNS1_17partition_subalgoE8ElNS0_10empty_typeEbEEZZNS1_14partition_implILS5_8ELb0ES3_jPlPS6_PKS6_NS0_5tupleIJS9_S6_EEENSD_IJSA_SA_EEENS0_18inequality_wrapperIZN2at6native12_GLOBAL__N_124unique_dim_cuda_templateImEESt5tupleIJNSH_6TensorESM_SM_EERKSM_lbbbEUlllE0_EEPmJS6_EEE10hipError_tPvRmT3_T4_T5_T6_T7_T9_mT8_P12ihipStream_tbDpT10_ENKUlT_T0_E_clISt17integral_constantIbLb1EES1C_EEDaS17_S18_EUlS17_E_NS1_11comp_targetILNS1_3genE9ELNS1_11target_archE1100ELNS1_3gpuE3ELNS1_3repE0EEENS1_30default_config_static_selectorELNS0_4arch9wavefront6targetE1EEEvT1_ ; -- Begin function _ZN7rocprim17ROCPRIM_400000_NS6detail17trampoline_kernelINS0_14default_configENS1_25partition_config_selectorILNS1_17partition_subalgoE8ElNS0_10empty_typeEbEEZZNS1_14partition_implILS5_8ELb0ES3_jPlPS6_PKS6_NS0_5tupleIJS9_S6_EEENSD_IJSA_SA_EEENS0_18inequality_wrapperIZN2at6native12_GLOBAL__N_124unique_dim_cuda_templateImEESt5tupleIJNSH_6TensorESM_SM_EERKSM_lbbbEUlllE0_EEPmJS6_EEE10hipError_tPvRmT3_T4_T5_T6_T7_T9_mT8_P12ihipStream_tbDpT10_ENKUlT_T0_E_clISt17integral_constantIbLb1EES1C_EEDaS17_S18_EUlS17_E_NS1_11comp_targetILNS1_3genE9ELNS1_11target_archE1100ELNS1_3gpuE3ELNS1_3repE0EEENS1_30default_config_static_selectorELNS0_4arch9wavefront6targetE1EEEvT1_
	.p2align	8
	.type	_ZN7rocprim17ROCPRIM_400000_NS6detail17trampoline_kernelINS0_14default_configENS1_25partition_config_selectorILNS1_17partition_subalgoE8ElNS0_10empty_typeEbEEZZNS1_14partition_implILS5_8ELb0ES3_jPlPS6_PKS6_NS0_5tupleIJS9_S6_EEENSD_IJSA_SA_EEENS0_18inequality_wrapperIZN2at6native12_GLOBAL__N_124unique_dim_cuda_templateImEESt5tupleIJNSH_6TensorESM_SM_EERKSM_lbbbEUlllE0_EEPmJS6_EEE10hipError_tPvRmT3_T4_T5_T6_T7_T9_mT8_P12ihipStream_tbDpT10_ENKUlT_T0_E_clISt17integral_constantIbLb1EES1C_EEDaS17_S18_EUlS17_E_NS1_11comp_targetILNS1_3genE9ELNS1_11target_archE1100ELNS1_3gpuE3ELNS1_3repE0EEENS1_30default_config_static_selectorELNS0_4arch9wavefront6targetE1EEEvT1_,@function
_ZN7rocprim17ROCPRIM_400000_NS6detail17trampoline_kernelINS0_14default_configENS1_25partition_config_selectorILNS1_17partition_subalgoE8ElNS0_10empty_typeEbEEZZNS1_14partition_implILS5_8ELb0ES3_jPlPS6_PKS6_NS0_5tupleIJS9_S6_EEENSD_IJSA_SA_EEENS0_18inequality_wrapperIZN2at6native12_GLOBAL__N_124unique_dim_cuda_templateImEESt5tupleIJNSH_6TensorESM_SM_EERKSM_lbbbEUlllE0_EEPmJS6_EEE10hipError_tPvRmT3_T4_T5_T6_T7_T9_mT8_P12ihipStream_tbDpT10_ENKUlT_T0_E_clISt17integral_constantIbLb1EES1C_EEDaS17_S18_EUlS17_E_NS1_11comp_targetILNS1_3genE9ELNS1_11target_archE1100ELNS1_3gpuE3ELNS1_3repE0EEENS1_30default_config_static_selectorELNS0_4arch9wavefront6targetE1EEEvT1_: ; @_ZN7rocprim17ROCPRIM_400000_NS6detail17trampoline_kernelINS0_14default_configENS1_25partition_config_selectorILNS1_17partition_subalgoE8ElNS0_10empty_typeEbEEZZNS1_14partition_implILS5_8ELb0ES3_jPlPS6_PKS6_NS0_5tupleIJS9_S6_EEENSD_IJSA_SA_EEENS0_18inequality_wrapperIZN2at6native12_GLOBAL__N_124unique_dim_cuda_templateImEESt5tupleIJNSH_6TensorESM_SM_EERKSM_lbbbEUlllE0_EEPmJS6_EEE10hipError_tPvRmT3_T4_T5_T6_T7_T9_mT8_P12ihipStream_tbDpT10_ENKUlT_T0_E_clISt17integral_constantIbLb1EES1C_EEDaS17_S18_EUlS17_E_NS1_11comp_targetILNS1_3genE9ELNS1_11target_archE1100ELNS1_3gpuE3ELNS1_3repE0EEENS1_30default_config_static_selectorELNS0_4arch9wavefront6targetE1EEEvT1_
; %bb.0:
	.section	.rodata,"a",@progbits
	.p2align	6, 0x0
	.amdhsa_kernel _ZN7rocprim17ROCPRIM_400000_NS6detail17trampoline_kernelINS0_14default_configENS1_25partition_config_selectorILNS1_17partition_subalgoE8ElNS0_10empty_typeEbEEZZNS1_14partition_implILS5_8ELb0ES3_jPlPS6_PKS6_NS0_5tupleIJS9_S6_EEENSD_IJSA_SA_EEENS0_18inequality_wrapperIZN2at6native12_GLOBAL__N_124unique_dim_cuda_templateImEESt5tupleIJNSH_6TensorESM_SM_EERKSM_lbbbEUlllE0_EEPmJS6_EEE10hipError_tPvRmT3_T4_T5_T6_T7_T9_mT8_P12ihipStream_tbDpT10_ENKUlT_T0_E_clISt17integral_constantIbLb1EES1C_EEDaS17_S18_EUlS17_E_NS1_11comp_targetILNS1_3genE9ELNS1_11target_archE1100ELNS1_3gpuE3ELNS1_3repE0EEENS1_30default_config_static_selectorELNS0_4arch9wavefront6targetE1EEEvT1_
		.amdhsa_group_segment_fixed_size 0
		.amdhsa_private_segment_fixed_size 0
		.amdhsa_kernarg_size 136
		.amdhsa_user_sgpr_count 2
		.amdhsa_user_sgpr_dispatch_ptr 0
		.amdhsa_user_sgpr_queue_ptr 0
		.amdhsa_user_sgpr_kernarg_segment_ptr 1
		.amdhsa_user_sgpr_dispatch_id 0
		.amdhsa_user_sgpr_kernarg_preload_length 0
		.amdhsa_user_sgpr_kernarg_preload_offset 0
		.amdhsa_user_sgpr_private_segment_size 0
		.amdhsa_uses_dynamic_stack 0
		.amdhsa_enable_private_segment 0
		.amdhsa_system_sgpr_workgroup_id_x 1
		.amdhsa_system_sgpr_workgroup_id_y 0
		.amdhsa_system_sgpr_workgroup_id_z 0
		.amdhsa_system_sgpr_workgroup_info 0
		.amdhsa_system_vgpr_workitem_id 0
		.amdhsa_next_free_vgpr 1
		.amdhsa_next_free_sgpr 0
		.amdhsa_accum_offset 4
		.amdhsa_reserve_vcc 0
		.amdhsa_float_round_mode_32 0
		.amdhsa_float_round_mode_16_64 0
		.amdhsa_float_denorm_mode_32 3
		.amdhsa_float_denorm_mode_16_64 3
		.amdhsa_dx10_clamp 1
		.amdhsa_ieee_mode 1
		.amdhsa_fp16_overflow 0
		.amdhsa_tg_split 0
		.amdhsa_exception_fp_ieee_invalid_op 0
		.amdhsa_exception_fp_denorm_src 0
		.amdhsa_exception_fp_ieee_div_zero 0
		.amdhsa_exception_fp_ieee_overflow 0
		.amdhsa_exception_fp_ieee_underflow 0
		.amdhsa_exception_fp_ieee_inexact 0
		.amdhsa_exception_int_div_zero 0
	.end_amdhsa_kernel
	.section	.text._ZN7rocprim17ROCPRIM_400000_NS6detail17trampoline_kernelINS0_14default_configENS1_25partition_config_selectorILNS1_17partition_subalgoE8ElNS0_10empty_typeEbEEZZNS1_14partition_implILS5_8ELb0ES3_jPlPS6_PKS6_NS0_5tupleIJS9_S6_EEENSD_IJSA_SA_EEENS0_18inequality_wrapperIZN2at6native12_GLOBAL__N_124unique_dim_cuda_templateImEESt5tupleIJNSH_6TensorESM_SM_EERKSM_lbbbEUlllE0_EEPmJS6_EEE10hipError_tPvRmT3_T4_T5_T6_T7_T9_mT8_P12ihipStream_tbDpT10_ENKUlT_T0_E_clISt17integral_constantIbLb1EES1C_EEDaS17_S18_EUlS17_E_NS1_11comp_targetILNS1_3genE9ELNS1_11target_archE1100ELNS1_3gpuE3ELNS1_3repE0EEENS1_30default_config_static_selectorELNS0_4arch9wavefront6targetE1EEEvT1_,"axG",@progbits,_ZN7rocprim17ROCPRIM_400000_NS6detail17trampoline_kernelINS0_14default_configENS1_25partition_config_selectorILNS1_17partition_subalgoE8ElNS0_10empty_typeEbEEZZNS1_14partition_implILS5_8ELb0ES3_jPlPS6_PKS6_NS0_5tupleIJS9_S6_EEENSD_IJSA_SA_EEENS0_18inequality_wrapperIZN2at6native12_GLOBAL__N_124unique_dim_cuda_templateImEESt5tupleIJNSH_6TensorESM_SM_EERKSM_lbbbEUlllE0_EEPmJS6_EEE10hipError_tPvRmT3_T4_T5_T6_T7_T9_mT8_P12ihipStream_tbDpT10_ENKUlT_T0_E_clISt17integral_constantIbLb1EES1C_EEDaS17_S18_EUlS17_E_NS1_11comp_targetILNS1_3genE9ELNS1_11target_archE1100ELNS1_3gpuE3ELNS1_3repE0EEENS1_30default_config_static_selectorELNS0_4arch9wavefront6targetE1EEEvT1_,comdat
.Lfunc_end1677:
	.size	_ZN7rocprim17ROCPRIM_400000_NS6detail17trampoline_kernelINS0_14default_configENS1_25partition_config_selectorILNS1_17partition_subalgoE8ElNS0_10empty_typeEbEEZZNS1_14partition_implILS5_8ELb0ES3_jPlPS6_PKS6_NS0_5tupleIJS9_S6_EEENSD_IJSA_SA_EEENS0_18inequality_wrapperIZN2at6native12_GLOBAL__N_124unique_dim_cuda_templateImEESt5tupleIJNSH_6TensorESM_SM_EERKSM_lbbbEUlllE0_EEPmJS6_EEE10hipError_tPvRmT3_T4_T5_T6_T7_T9_mT8_P12ihipStream_tbDpT10_ENKUlT_T0_E_clISt17integral_constantIbLb1EES1C_EEDaS17_S18_EUlS17_E_NS1_11comp_targetILNS1_3genE9ELNS1_11target_archE1100ELNS1_3gpuE3ELNS1_3repE0EEENS1_30default_config_static_selectorELNS0_4arch9wavefront6targetE1EEEvT1_, .Lfunc_end1677-_ZN7rocprim17ROCPRIM_400000_NS6detail17trampoline_kernelINS0_14default_configENS1_25partition_config_selectorILNS1_17partition_subalgoE8ElNS0_10empty_typeEbEEZZNS1_14partition_implILS5_8ELb0ES3_jPlPS6_PKS6_NS0_5tupleIJS9_S6_EEENSD_IJSA_SA_EEENS0_18inequality_wrapperIZN2at6native12_GLOBAL__N_124unique_dim_cuda_templateImEESt5tupleIJNSH_6TensorESM_SM_EERKSM_lbbbEUlllE0_EEPmJS6_EEE10hipError_tPvRmT3_T4_T5_T6_T7_T9_mT8_P12ihipStream_tbDpT10_ENKUlT_T0_E_clISt17integral_constantIbLb1EES1C_EEDaS17_S18_EUlS17_E_NS1_11comp_targetILNS1_3genE9ELNS1_11target_archE1100ELNS1_3gpuE3ELNS1_3repE0EEENS1_30default_config_static_selectorELNS0_4arch9wavefront6targetE1EEEvT1_
                                        ; -- End function
	.set _ZN7rocprim17ROCPRIM_400000_NS6detail17trampoline_kernelINS0_14default_configENS1_25partition_config_selectorILNS1_17partition_subalgoE8ElNS0_10empty_typeEbEEZZNS1_14partition_implILS5_8ELb0ES3_jPlPS6_PKS6_NS0_5tupleIJS9_S6_EEENSD_IJSA_SA_EEENS0_18inequality_wrapperIZN2at6native12_GLOBAL__N_124unique_dim_cuda_templateImEESt5tupleIJNSH_6TensorESM_SM_EERKSM_lbbbEUlllE0_EEPmJS6_EEE10hipError_tPvRmT3_T4_T5_T6_T7_T9_mT8_P12ihipStream_tbDpT10_ENKUlT_T0_E_clISt17integral_constantIbLb1EES1C_EEDaS17_S18_EUlS17_E_NS1_11comp_targetILNS1_3genE9ELNS1_11target_archE1100ELNS1_3gpuE3ELNS1_3repE0EEENS1_30default_config_static_selectorELNS0_4arch9wavefront6targetE1EEEvT1_.num_vgpr, 0
	.set _ZN7rocprim17ROCPRIM_400000_NS6detail17trampoline_kernelINS0_14default_configENS1_25partition_config_selectorILNS1_17partition_subalgoE8ElNS0_10empty_typeEbEEZZNS1_14partition_implILS5_8ELb0ES3_jPlPS6_PKS6_NS0_5tupleIJS9_S6_EEENSD_IJSA_SA_EEENS0_18inequality_wrapperIZN2at6native12_GLOBAL__N_124unique_dim_cuda_templateImEESt5tupleIJNSH_6TensorESM_SM_EERKSM_lbbbEUlllE0_EEPmJS6_EEE10hipError_tPvRmT3_T4_T5_T6_T7_T9_mT8_P12ihipStream_tbDpT10_ENKUlT_T0_E_clISt17integral_constantIbLb1EES1C_EEDaS17_S18_EUlS17_E_NS1_11comp_targetILNS1_3genE9ELNS1_11target_archE1100ELNS1_3gpuE3ELNS1_3repE0EEENS1_30default_config_static_selectorELNS0_4arch9wavefront6targetE1EEEvT1_.num_agpr, 0
	.set _ZN7rocprim17ROCPRIM_400000_NS6detail17trampoline_kernelINS0_14default_configENS1_25partition_config_selectorILNS1_17partition_subalgoE8ElNS0_10empty_typeEbEEZZNS1_14partition_implILS5_8ELb0ES3_jPlPS6_PKS6_NS0_5tupleIJS9_S6_EEENSD_IJSA_SA_EEENS0_18inequality_wrapperIZN2at6native12_GLOBAL__N_124unique_dim_cuda_templateImEESt5tupleIJNSH_6TensorESM_SM_EERKSM_lbbbEUlllE0_EEPmJS6_EEE10hipError_tPvRmT3_T4_T5_T6_T7_T9_mT8_P12ihipStream_tbDpT10_ENKUlT_T0_E_clISt17integral_constantIbLb1EES1C_EEDaS17_S18_EUlS17_E_NS1_11comp_targetILNS1_3genE9ELNS1_11target_archE1100ELNS1_3gpuE3ELNS1_3repE0EEENS1_30default_config_static_selectorELNS0_4arch9wavefront6targetE1EEEvT1_.numbered_sgpr, 0
	.set _ZN7rocprim17ROCPRIM_400000_NS6detail17trampoline_kernelINS0_14default_configENS1_25partition_config_selectorILNS1_17partition_subalgoE8ElNS0_10empty_typeEbEEZZNS1_14partition_implILS5_8ELb0ES3_jPlPS6_PKS6_NS0_5tupleIJS9_S6_EEENSD_IJSA_SA_EEENS0_18inequality_wrapperIZN2at6native12_GLOBAL__N_124unique_dim_cuda_templateImEESt5tupleIJNSH_6TensorESM_SM_EERKSM_lbbbEUlllE0_EEPmJS6_EEE10hipError_tPvRmT3_T4_T5_T6_T7_T9_mT8_P12ihipStream_tbDpT10_ENKUlT_T0_E_clISt17integral_constantIbLb1EES1C_EEDaS17_S18_EUlS17_E_NS1_11comp_targetILNS1_3genE9ELNS1_11target_archE1100ELNS1_3gpuE3ELNS1_3repE0EEENS1_30default_config_static_selectorELNS0_4arch9wavefront6targetE1EEEvT1_.num_named_barrier, 0
	.set _ZN7rocprim17ROCPRIM_400000_NS6detail17trampoline_kernelINS0_14default_configENS1_25partition_config_selectorILNS1_17partition_subalgoE8ElNS0_10empty_typeEbEEZZNS1_14partition_implILS5_8ELb0ES3_jPlPS6_PKS6_NS0_5tupleIJS9_S6_EEENSD_IJSA_SA_EEENS0_18inequality_wrapperIZN2at6native12_GLOBAL__N_124unique_dim_cuda_templateImEESt5tupleIJNSH_6TensorESM_SM_EERKSM_lbbbEUlllE0_EEPmJS6_EEE10hipError_tPvRmT3_T4_T5_T6_T7_T9_mT8_P12ihipStream_tbDpT10_ENKUlT_T0_E_clISt17integral_constantIbLb1EES1C_EEDaS17_S18_EUlS17_E_NS1_11comp_targetILNS1_3genE9ELNS1_11target_archE1100ELNS1_3gpuE3ELNS1_3repE0EEENS1_30default_config_static_selectorELNS0_4arch9wavefront6targetE1EEEvT1_.private_seg_size, 0
	.set _ZN7rocprim17ROCPRIM_400000_NS6detail17trampoline_kernelINS0_14default_configENS1_25partition_config_selectorILNS1_17partition_subalgoE8ElNS0_10empty_typeEbEEZZNS1_14partition_implILS5_8ELb0ES3_jPlPS6_PKS6_NS0_5tupleIJS9_S6_EEENSD_IJSA_SA_EEENS0_18inequality_wrapperIZN2at6native12_GLOBAL__N_124unique_dim_cuda_templateImEESt5tupleIJNSH_6TensorESM_SM_EERKSM_lbbbEUlllE0_EEPmJS6_EEE10hipError_tPvRmT3_T4_T5_T6_T7_T9_mT8_P12ihipStream_tbDpT10_ENKUlT_T0_E_clISt17integral_constantIbLb1EES1C_EEDaS17_S18_EUlS17_E_NS1_11comp_targetILNS1_3genE9ELNS1_11target_archE1100ELNS1_3gpuE3ELNS1_3repE0EEENS1_30default_config_static_selectorELNS0_4arch9wavefront6targetE1EEEvT1_.uses_vcc, 0
	.set _ZN7rocprim17ROCPRIM_400000_NS6detail17trampoline_kernelINS0_14default_configENS1_25partition_config_selectorILNS1_17partition_subalgoE8ElNS0_10empty_typeEbEEZZNS1_14partition_implILS5_8ELb0ES3_jPlPS6_PKS6_NS0_5tupleIJS9_S6_EEENSD_IJSA_SA_EEENS0_18inequality_wrapperIZN2at6native12_GLOBAL__N_124unique_dim_cuda_templateImEESt5tupleIJNSH_6TensorESM_SM_EERKSM_lbbbEUlllE0_EEPmJS6_EEE10hipError_tPvRmT3_T4_T5_T6_T7_T9_mT8_P12ihipStream_tbDpT10_ENKUlT_T0_E_clISt17integral_constantIbLb1EES1C_EEDaS17_S18_EUlS17_E_NS1_11comp_targetILNS1_3genE9ELNS1_11target_archE1100ELNS1_3gpuE3ELNS1_3repE0EEENS1_30default_config_static_selectorELNS0_4arch9wavefront6targetE1EEEvT1_.uses_flat_scratch, 0
	.set _ZN7rocprim17ROCPRIM_400000_NS6detail17trampoline_kernelINS0_14default_configENS1_25partition_config_selectorILNS1_17partition_subalgoE8ElNS0_10empty_typeEbEEZZNS1_14partition_implILS5_8ELb0ES3_jPlPS6_PKS6_NS0_5tupleIJS9_S6_EEENSD_IJSA_SA_EEENS0_18inequality_wrapperIZN2at6native12_GLOBAL__N_124unique_dim_cuda_templateImEESt5tupleIJNSH_6TensorESM_SM_EERKSM_lbbbEUlllE0_EEPmJS6_EEE10hipError_tPvRmT3_T4_T5_T6_T7_T9_mT8_P12ihipStream_tbDpT10_ENKUlT_T0_E_clISt17integral_constantIbLb1EES1C_EEDaS17_S18_EUlS17_E_NS1_11comp_targetILNS1_3genE9ELNS1_11target_archE1100ELNS1_3gpuE3ELNS1_3repE0EEENS1_30default_config_static_selectorELNS0_4arch9wavefront6targetE1EEEvT1_.has_dyn_sized_stack, 0
	.set _ZN7rocprim17ROCPRIM_400000_NS6detail17trampoline_kernelINS0_14default_configENS1_25partition_config_selectorILNS1_17partition_subalgoE8ElNS0_10empty_typeEbEEZZNS1_14partition_implILS5_8ELb0ES3_jPlPS6_PKS6_NS0_5tupleIJS9_S6_EEENSD_IJSA_SA_EEENS0_18inequality_wrapperIZN2at6native12_GLOBAL__N_124unique_dim_cuda_templateImEESt5tupleIJNSH_6TensorESM_SM_EERKSM_lbbbEUlllE0_EEPmJS6_EEE10hipError_tPvRmT3_T4_T5_T6_T7_T9_mT8_P12ihipStream_tbDpT10_ENKUlT_T0_E_clISt17integral_constantIbLb1EES1C_EEDaS17_S18_EUlS17_E_NS1_11comp_targetILNS1_3genE9ELNS1_11target_archE1100ELNS1_3gpuE3ELNS1_3repE0EEENS1_30default_config_static_selectorELNS0_4arch9wavefront6targetE1EEEvT1_.has_recursion, 0
	.set _ZN7rocprim17ROCPRIM_400000_NS6detail17trampoline_kernelINS0_14default_configENS1_25partition_config_selectorILNS1_17partition_subalgoE8ElNS0_10empty_typeEbEEZZNS1_14partition_implILS5_8ELb0ES3_jPlPS6_PKS6_NS0_5tupleIJS9_S6_EEENSD_IJSA_SA_EEENS0_18inequality_wrapperIZN2at6native12_GLOBAL__N_124unique_dim_cuda_templateImEESt5tupleIJNSH_6TensorESM_SM_EERKSM_lbbbEUlllE0_EEPmJS6_EEE10hipError_tPvRmT3_T4_T5_T6_T7_T9_mT8_P12ihipStream_tbDpT10_ENKUlT_T0_E_clISt17integral_constantIbLb1EES1C_EEDaS17_S18_EUlS17_E_NS1_11comp_targetILNS1_3genE9ELNS1_11target_archE1100ELNS1_3gpuE3ELNS1_3repE0EEENS1_30default_config_static_selectorELNS0_4arch9wavefront6targetE1EEEvT1_.has_indirect_call, 0
	.section	.AMDGPU.csdata,"",@progbits
; Kernel info:
; codeLenInByte = 0
; TotalNumSgprs: 6
; NumVgprs: 0
; NumAgprs: 0
; TotalNumVgprs: 0
; ScratchSize: 0
; MemoryBound: 0
; FloatMode: 240
; IeeeMode: 1
; LDSByteSize: 0 bytes/workgroup (compile time only)
; SGPRBlocks: 0
; VGPRBlocks: 0
; NumSGPRsForWavesPerEU: 6
; NumVGPRsForWavesPerEU: 1
; AccumOffset: 4
; Occupancy: 8
; WaveLimiterHint : 0
; COMPUTE_PGM_RSRC2:SCRATCH_EN: 0
; COMPUTE_PGM_RSRC2:USER_SGPR: 2
; COMPUTE_PGM_RSRC2:TRAP_HANDLER: 0
; COMPUTE_PGM_RSRC2:TGID_X_EN: 1
; COMPUTE_PGM_RSRC2:TGID_Y_EN: 0
; COMPUTE_PGM_RSRC2:TGID_Z_EN: 0
; COMPUTE_PGM_RSRC2:TIDIG_COMP_CNT: 0
; COMPUTE_PGM_RSRC3_GFX90A:ACCUM_OFFSET: 0
; COMPUTE_PGM_RSRC3_GFX90A:TG_SPLIT: 0
	.section	.text._ZN7rocprim17ROCPRIM_400000_NS6detail17trampoline_kernelINS0_14default_configENS1_25partition_config_selectorILNS1_17partition_subalgoE8ElNS0_10empty_typeEbEEZZNS1_14partition_implILS5_8ELb0ES3_jPlPS6_PKS6_NS0_5tupleIJS9_S6_EEENSD_IJSA_SA_EEENS0_18inequality_wrapperIZN2at6native12_GLOBAL__N_124unique_dim_cuda_templateImEESt5tupleIJNSH_6TensorESM_SM_EERKSM_lbbbEUlllE0_EEPmJS6_EEE10hipError_tPvRmT3_T4_T5_T6_T7_T9_mT8_P12ihipStream_tbDpT10_ENKUlT_T0_E_clISt17integral_constantIbLb1EES1C_EEDaS17_S18_EUlS17_E_NS1_11comp_targetILNS1_3genE8ELNS1_11target_archE1030ELNS1_3gpuE2ELNS1_3repE0EEENS1_30default_config_static_selectorELNS0_4arch9wavefront6targetE1EEEvT1_,"axG",@progbits,_ZN7rocprim17ROCPRIM_400000_NS6detail17trampoline_kernelINS0_14default_configENS1_25partition_config_selectorILNS1_17partition_subalgoE8ElNS0_10empty_typeEbEEZZNS1_14partition_implILS5_8ELb0ES3_jPlPS6_PKS6_NS0_5tupleIJS9_S6_EEENSD_IJSA_SA_EEENS0_18inequality_wrapperIZN2at6native12_GLOBAL__N_124unique_dim_cuda_templateImEESt5tupleIJNSH_6TensorESM_SM_EERKSM_lbbbEUlllE0_EEPmJS6_EEE10hipError_tPvRmT3_T4_T5_T6_T7_T9_mT8_P12ihipStream_tbDpT10_ENKUlT_T0_E_clISt17integral_constantIbLb1EES1C_EEDaS17_S18_EUlS17_E_NS1_11comp_targetILNS1_3genE8ELNS1_11target_archE1030ELNS1_3gpuE2ELNS1_3repE0EEENS1_30default_config_static_selectorELNS0_4arch9wavefront6targetE1EEEvT1_,comdat
	.globl	_ZN7rocprim17ROCPRIM_400000_NS6detail17trampoline_kernelINS0_14default_configENS1_25partition_config_selectorILNS1_17partition_subalgoE8ElNS0_10empty_typeEbEEZZNS1_14partition_implILS5_8ELb0ES3_jPlPS6_PKS6_NS0_5tupleIJS9_S6_EEENSD_IJSA_SA_EEENS0_18inequality_wrapperIZN2at6native12_GLOBAL__N_124unique_dim_cuda_templateImEESt5tupleIJNSH_6TensorESM_SM_EERKSM_lbbbEUlllE0_EEPmJS6_EEE10hipError_tPvRmT3_T4_T5_T6_T7_T9_mT8_P12ihipStream_tbDpT10_ENKUlT_T0_E_clISt17integral_constantIbLb1EES1C_EEDaS17_S18_EUlS17_E_NS1_11comp_targetILNS1_3genE8ELNS1_11target_archE1030ELNS1_3gpuE2ELNS1_3repE0EEENS1_30default_config_static_selectorELNS0_4arch9wavefront6targetE1EEEvT1_ ; -- Begin function _ZN7rocprim17ROCPRIM_400000_NS6detail17trampoline_kernelINS0_14default_configENS1_25partition_config_selectorILNS1_17partition_subalgoE8ElNS0_10empty_typeEbEEZZNS1_14partition_implILS5_8ELb0ES3_jPlPS6_PKS6_NS0_5tupleIJS9_S6_EEENSD_IJSA_SA_EEENS0_18inequality_wrapperIZN2at6native12_GLOBAL__N_124unique_dim_cuda_templateImEESt5tupleIJNSH_6TensorESM_SM_EERKSM_lbbbEUlllE0_EEPmJS6_EEE10hipError_tPvRmT3_T4_T5_T6_T7_T9_mT8_P12ihipStream_tbDpT10_ENKUlT_T0_E_clISt17integral_constantIbLb1EES1C_EEDaS17_S18_EUlS17_E_NS1_11comp_targetILNS1_3genE8ELNS1_11target_archE1030ELNS1_3gpuE2ELNS1_3repE0EEENS1_30default_config_static_selectorELNS0_4arch9wavefront6targetE1EEEvT1_
	.p2align	8
	.type	_ZN7rocprim17ROCPRIM_400000_NS6detail17trampoline_kernelINS0_14default_configENS1_25partition_config_selectorILNS1_17partition_subalgoE8ElNS0_10empty_typeEbEEZZNS1_14partition_implILS5_8ELb0ES3_jPlPS6_PKS6_NS0_5tupleIJS9_S6_EEENSD_IJSA_SA_EEENS0_18inequality_wrapperIZN2at6native12_GLOBAL__N_124unique_dim_cuda_templateImEESt5tupleIJNSH_6TensorESM_SM_EERKSM_lbbbEUlllE0_EEPmJS6_EEE10hipError_tPvRmT3_T4_T5_T6_T7_T9_mT8_P12ihipStream_tbDpT10_ENKUlT_T0_E_clISt17integral_constantIbLb1EES1C_EEDaS17_S18_EUlS17_E_NS1_11comp_targetILNS1_3genE8ELNS1_11target_archE1030ELNS1_3gpuE2ELNS1_3repE0EEENS1_30default_config_static_selectorELNS0_4arch9wavefront6targetE1EEEvT1_,@function
_ZN7rocprim17ROCPRIM_400000_NS6detail17trampoline_kernelINS0_14default_configENS1_25partition_config_selectorILNS1_17partition_subalgoE8ElNS0_10empty_typeEbEEZZNS1_14partition_implILS5_8ELb0ES3_jPlPS6_PKS6_NS0_5tupleIJS9_S6_EEENSD_IJSA_SA_EEENS0_18inequality_wrapperIZN2at6native12_GLOBAL__N_124unique_dim_cuda_templateImEESt5tupleIJNSH_6TensorESM_SM_EERKSM_lbbbEUlllE0_EEPmJS6_EEE10hipError_tPvRmT3_T4_T5_T6_T7_T9_mT8_P12ihipStream_tbDpT10_ENKUlT_T0_E_clISt17integral_constantIbLb1EES1C_EEDaS17_S18_EUlS17_E_NS1_11comp_targetILNS1_3genE8ELNS1_11target_archE1030ELNS1_3gpuE2ELNS1_3repE0EEENS1_30default_config_static_selectorELNS0_4arch9wavefront6targetE1EEEvT1_: ; @_ZN7rocprim17ROCPRIM_400000_NS6detail17trampoline_kernelINS0_14default_configENS1_25partition_config_selectorILNS1_17partition_subalgoE8ElNS0_10empty_typeEbEEZZNS1_14partition_implILS5_8ELb0ES3_jPlPS6_PKS6_NS0_5tupleIJS9_S6_EEENSD_IJSA_SA_EEENS0_18inequality_wrapperIZN2at6native12_GLOBAL__N_124unique_dim_cuda_templateImEESt5tupleIJNSH_6TensorESM_SM_EERKSM_lbbbEUlllE0_EEPmJS6_EEE10hipError_tPvRmT3_T4_T5_T6_T7_T9_mT8_P12ihipStream_tbDpT10_ENKUlT_T0_E_clISt17integral_constantIbLb1EES1C_EEDaS17_S18_EUlS17_E_NS1_11comp_targetILNS1_3genE8ELNS1_11target_archE1030ELNS1_3gpuE2ELNS1_3repE0EEENS1_30default_config_static_selectorELNS0_4arch9wavefront6targetE1EEEvT1_
; %bb.0:
	.section	.rodata,"a",@progbits
	.p2align	6, 0x0
	.amdhsa_kernel _ZN7rocprim17ROCPRIM_400000_NS6detail17trampoline_kernelINS0_14default_configENS1_25partition_config_selectorILNS1_17partition_subalgoE8ElNS0_10empty_typeEbEEZZNS1_14partition_implILS5_8ELb0ES3_jPlPS6_PKS6_NS0_5tupleIJS9_S6_EEENSD_IJSA_SA_EEENS0_18inequality_wrapperIZN2at6native12_GLOBAL__N_124unique_dim_cuda_templateImEESt5tupleIJNSH_6TensorESM_SM_EERKSM_lbbbEUlllE0_EEPmJS6_EEE10hipError_tPvRmT3_T4_T5_T6_T7_T9_mT8_P12ihipStream_tbDpT10_ENKUlT_T0_E_clISt17integral_constantIbLb1EES1C_EEDaS17_S18_EUlS17_E_NS1_11comp_targetILNS1_3genE8ELNS1_11target_archE1030ELNS1_3gpuE2ELNS1_3repE0EEENS1_30default_config_static_selectorELNS0_4arch9wavefront6targetE1EEEvT1_
		.amdhsa_group_segment_fixed_size 0
		.amdhsa_private_segment_fixed_size 0
		.amdhsa_kernarg_size 136
		.amdhsa_user_sgpr_count 2
		.amdhsa_user_sgpr_dispatch_ptr 0
		.amdhsa_user_sgpr_queue_ptr 0
		.amdhsa_user_sgpr_kernarg_segment_ptr 1
		.amdhsa_user_sgpr_dispatch_id 0
		.amdhsa_user_sgpr_kernarg_preload_length 0
		.amdhsa_user_sgpr_kernarg_preload_offset 0
		.amdhsa_user_sgpr_private_segment_size 0
		.amdhsa_uses_dynamic_stack 0
		.amdhsa_enable_private_segment 0
		.amdhsa_system_sgpr_workgroup_id_x 1
		.amdhsa_system_sgpr_workgroup_id_y 0
		.amdhsa_system_sgpr_workgroup_id_z 0
		.amdhsa_system_sgpr_workgroup_info 0
		.amdhsa_system_vgpr_workitem_id 0
		.amdhsa_next_free_vgpr 1
		.amdhsa_next_free_sgpr 0
		.amdhsa_accum_offset 4
		.amdhsa_reserve_vcc 0
		.amdhsa_float_round_mode_32 0
		.amdhsa_float_round_mode_16_64 0
		.amdhsa_float_denorm_mode_32 3
		.amdhsa_float_denorm_mode_16_64 3
		.amdhsa_dx10_clamp 1
		.amdhsa_ieee_mode 1
		.amdhsa_fp16_overflow 0
		.amdhsa_tg_split 0
		.amdhsa_exception_fp_ieee_invalid_op 0
		.amdhsa_exception_fp_denorm_src 0
		.amdhsa_exception_fp_ieee_div_zero 0
		.amdhsa_exception_fp_ieee_overflow 0
		.amdhsa_exception_fp_ieee_underflow 0
		.amdhsa_exception_fp_ieee_inexact 0
		.amdhsa_exception_int_div_zero 0
	.end_amdhsa_kernel
	.section	.text._ZN7rocprim17ROCPRIM_400000_NS6detail17trampoline_kernelINS0_14default_configENS1_25partition_config_selectorILNS1_17partition_subalgoE8ElNS0_10empty_typeEbEEZZNS1_14partition_implILS5_8ELb0ES3_jPlPS6_PKS6_NS0_5tupleIJS9_S6_EEENSD_IJSA_SA_EEENS0_18inequality_wrapperIZN2at6native12_GLOBAL__N_124unique_dim_cuda_templateImEESt5tupleIJNSH_6TensorESM_SM_EERKSM_lbbbEUlllE0_EEPmJS6_EEE10hipError_tPvRmT3_T4_T5_T6_T7_T9_mT8_P12ihipStream_tbDpT10_ENKUlT_T0_E_clISt17integral_constantIbLb1EES1C_EEDaS17_S18_EUlS17_E_NS1_11comp_targetILNS1_3genE8ELNS1_11target_archE1030ELNS1_3gpuE2ELNS1_3repE0EEENS1_30default_config_static_selectorELNS0_4arch9wavefront6targetE1EEEvT1_,"axG",@progbits,_ZN7rocprim17ROCPRIM_400000_NS6detail17trampoline_kernelINS0_14default_configENS1_25partition_config_selectorILNS1_17partition_subalgoE8ElNS0_10empty_typeEbEEZZNS1_14partition_implILS5_8ELb0ES3_jPlPS6_PKS6_NS0_5tupleIJS9_S6_EEENSD_IJSA_SA_EEENS0_18inequality_wrapperIZN2at6native12_GLOBAL__N_124unique_dim_cuda_templateImEESt5tupleIJNSH_6TensorESM_SM_EERKSM_lbbbEUlllE0_EEPmJS6_EEE10hipError_tPvRmT3_T4_T5_T6_T7_T9_mT8_P12ihipStream_tbDpT10_ENKUlT_T0_E_clISt17integral_constantIbLb1EES1C_EEDaS17_S18_EUlS17_E_NS1_11comp_targetILNS1_3genE8ELNS1_11target_archE1030ELNS1_3gpuE2ELNS1_3repE0EEENS1_30default_config_static_selectorELNS0_4arch9wavefront6targetE1EEEvT1_,comdat
.Lfunc_end1678:
	.size	_ZN7rocprim17ROCPRIM_400000_NS6detail17trampoline_kernelINS0_14default_configENS1_25partition_config_selectorILNS1_17partition_subalgoE8ElNS0_10empty_typeEbEEZZNS1_14partition_implILS5_8ELb0ES3_jPlPS6_PKS6_NS0_5tupleIJS9_S6_EEENSD_IJSA_SA_EEENS0_18inequality_wrapperIZN2at6native12_GLOBAL__N_124unique_dim_cuda_templateImEESt5tupleIJNSH_6TensorESM_SM_EERKSM_lbbbEUlllE0_EEPmJS6_EEE10hipError_tPvRmT3_T4_T5_T6_T7_T9_mT8_P12ihipStream_tbDpT10_ENKUlT_T0_E_clISt17integral_constantIbLb1EES1C_EEDaS17_S18_EUlS17_E_NS1_11comp_targetILNS1_3genE8ELNS1_11target_archE1030ELNS1_3gpuE2ELNS1_3repE0EEENS1_30default_config_static_selectorELNS0_4arch9wavefront6targetE1EEEvT1_, .Lfunc_end1678-_ZN7rocprim17ROCPRIM_400000_NS6detail17trampoline_kernelINS0_14default_configENS1_25partition_config_selectorILNS1_17partition_subalgoE8ElNS0_10empty_typeEbEEZZNS1_14partition_implILS5_8ELb0ES3_jPlPS6_PKS6_NS0_5tupleIJS9_S6_EEENSD_IJSA_SA_EEENS0_18inequality_wrapperIZN2at6native12_GLOBAL__N_124unique_dim_cuda_templateImEESt5tupleIJNSH_6TensorESM_SM_EERKSM_lbbbEUlllE0_EEPmJS6_EEE10hipError_tPvRmT3_T4_T5_T6_T7_T9_mT8_P12ihipStream_tbDpT10_ENKUlT_T0_E_clISt17integral_constantIbLb1EES1C_EEDaS17_S18_EUlS17_E_NS1_11comp_targetILNS1_3genE8ELNS1_11target_archE1030ELNS1_3gpuE2ELNS1_3repE0EEENS1_30default_config_static_selectorELNS0_4arch9wavefront6targetE1EEEvT1_
                                        ; -- End function
	.set _ZN7rocprim17ROCPRIM_400000_NS6detail17trampoline_kernelINS0_14default_configENS1_25partition_config_selectorILNS1_17partition_subalgoE8ElNS0_10empty_typeEbEEZZNS1_14partition_implILS5_8ELb0ES3_jPlPS6_PKS6_NS0_5tupleIJS9_S6_EEENSD_IJSA_SA_EEENS0_18inequality_wrapperIZN2at6native12_GLOBAL__N_124unique_dim_cuda_templateImEESt5tupleIJNSH_6TensorESM_SM_EERKSM_lbbbEUlllE0_EEPmJS6_EEE10hipError_tPvRmT3_T4_T5_T6_T7_T9_mT8_P12ihipStream_tbDpT10_ENKUlT_T0_E_clISt17integral_constantIbLb1EES1C_EEDaS17_S18_EUlS17_E_NS1_11comp_targetILNS1_3genE8ELNS1_11target_archE1030ELNS1_3gpuE2ELNS1_3repE0EEENS1_30default_config_static_selectorELNS0_4arch9wavefront6targetE1EEEvT1_.num_vgpr, 0
	.set _ZN7rocprim17ROCPRIM_400000_NS6detail17trampoline_kernelINS0_14default_configENS1_25partition_config_selectorILNS1_17partition_subalgoE8ElNS0_10empty_typeEbEEZZNS1_14partition_implILS5_8ELb0ES3_jPlPS6_PKS6_NS0_5tupleIJS9_S6_EEENSD_IJSA_SA_EEENS0_18inequality_wrapperIZN2at6native12_GLOBAL__N_124unique_dim_cuda_templateImEESt5tupleIJNSH_6TensorESM_SM_EERKSM_lbbbEUlllE0_EEPmJS6_EEE10hipError_tPvRmT3_T4_T5_T6_T7_T9_mT8_P12ihipStream_tbDpT10_ENKUlT_T0_E_clISt17integral_constantIbLb1EES1C_EEDaS17_S18_EUlS17_E_NS1_11comp_targetILNS1_3genE8ELNS1_11target_archE1030ELNS1_3gpuE2ELNS1_3repE0EEENS1_30default_config_static_selectorELNS0_4arch9wavefront6targetE1EEEvT1_.num_agpr, 0
	.set _ZN7rocprim17ROCPRIM_400000_NS6detail17trampoline_kernelINS0_14default_configENS1_25partition_config_selectorILNS1_17partition_subalgoE8ElNS0_10empty_typeEbEEZZNS1_14partition_implILS5_8ELb0ES3_jPlPS6_PKS6_NS0_5tupleIJS9_S6_EEENSD_IJSA_SA_EEENS0_18inequality_wrapperIZN2at6native12_GLOBAL__N_124unique_dim_cuda_templateImEESt5tupleIJNSH_6TensorESM_SM_EERKSM_lbbbEUlllE0_EEPmJS6_EEE10hipError_tPvRmT3_T4_T5_T6_T7_T9_mT8_P12ihipStream_tbDpT10_ENKUlT_T0_E_clISt17integral_constantIbLb1EES1C_EEDaS17_S18_EUlS17_E_NS1_11comp_targetILNS1_3genE8ELNS1_11target_archE1030ELNS1_3gpuE2ELNS1_3repE0EEENS1_30default_config_static_selectorELNS0_4arch9wavefront6targetE1EEEvT1_.numbered_sgpr, 0
	.set _ZN7rocprim17ROCPRIM_400000_NS6detail17trampoline_kernelINS0_14default_configENS1_25partition_config_selectorILNS1_17partition_subalgoE8ElNS0_10empty_typeEbEEZZNS1_14partition_implILS5_8ELb0ES3_jPlPS6_PKS6_NS0_5tupleIJS9_S6_EEENSD_IJSA_SA_EEENS0_18inequality_wrapperIZN2at6native12_GLOBAL__N_124unique_dim_cuda_templateImEESt5tupleIJNSH_6TensorESM_SM_EERKSM_lbbbEUlllE0_EEPmJS6_EEE10hipError_tPvRmT3_T4_T5_T6_T7_T9_mT8_P12ihipStream_tbDpT10_ENKUlT_T0_E_clISt17integral_constantIbLb1EES1C_EEDaS17_S18_EUlS17_E_NS1_11comp_targetILNS1_3genE8ELNS1_11target_archE1030ELNS1_3gpuE2ELNS1_3repE0EEENS1_30default_config_static_selectorELNS0_4arch9wavefront6targetE1EEEvT1_.num_named_barrier, 0
	.set _ZN7rocprim17ROCPRIM_400000_NS6detail17trampoline_kernelINS0_14default_configENS1_25partition_config_selectorILNS1_17partition_subalgoE8ElNS0_10empty_typeEbEEZZNS1_14partition_implILS5_8ELb0ES3_jPlPS6_PKS6_NS0_5tupleIJS9_S6_EEENSD_IJSA_SA_EEENS0_18inequality_wrapperIZN2at6native12_GLOBAL__N_124unique_dim_cuda_templateImEESt5tupleIJNSH_6TensorESM_SM_EERKSM_lbbbEUlllE0_EEPmJS6_EEE10hipError_tPvRmT3_T4_T5_T6_T7_T9_mT8_P12ihipStream_tbDpT10_ENKUlT_T0_E_clISt17integral_constantIbLb1EES1C_EEDaS17_S18_EUlS17_E_NS1_11comp_targetILNS1_3genE8ELNS1_11target_archE1030ELNS1_3gpuE2ELNS1_3repE0EEENS1_30default_config_static_selectorELNS0_4arch9wavefront6targetE1EEEvT1_.private_seg_size, 0
	.set _ZN7rocprim17ROCPRIM_400000_NS6detail17trampoline_kernelINS0_14default_configENS1_25partition_config_selectorILNS1_17partition_subalgoE8ElNS0_10empty_typeEbEEZZNS1_14partition_implILS5_8ELb0ES3_jPlPS6_PKS6_NS0_5tupleIJS9_S6_EEENSD_IJSA_SA_EEENS0_18inequality_wrapperIZN2at6native12_GLOBAL__N_124unique_dim_cuda_templateImEESt5tupleIJNSH_6TensorESM_SM_EERKSM_lbbbEUlllE0_EEPmJS6_EEE10hipError_tPvRmT3_T4_T5_T6_T7_T9_mT8_P12ihipStream_tbDpT10_ENKUlT_T0_E_clISt17integral_constantIbLb1EES1C_EEDaS17_S18_EUlS17_E_NS1_11comp_targetILNS1_3genE8ELNS1_11target_archE1030ELNS1_3gpuE2ELNS1_3repE0EEENS1_30default_config_static_selectorELNS0_4arch9wavefront6targetE1EEEvT1_.uses_vcc, 0
	.set _ZN7rocprim17ROCPRIM_400000_NS6detail17trampoline_kernelINS0_14default_configENS1_25partition_config_selectorILNS1_17partition_subalgoE8ElNS0_10empty_typeEbEEZZNS1_14partition_implILS5_8ELb0ES3_jPlPS6_PKS6_NS0_5tupleIJS9_S6_EEENSD_IJSA_SA_EEENS0_18inequality_wrapperIZN2at6native12_GLOBAL__N_124unique_dim_cuda_templateImEESt5tupleIJNSH_6TensorESM_SM_EERKSM_lbbbEUlllE0_EEPmJS6_EEE10hipError_tPvRmT3_T4_T5_T6_T7_T9_mT8_P12ihipStream_tbDpT10_ENKUlT_T0_E_clISt17integral_constantIbLb1EES1C_EEDaS17_S18_EUlS17_E_NS1_11comp_targetILNS1_3genE8ELNS1_11target_archE1030ELNS1_3gpuE2ELNS1_3repE0EEENS1_30default_config_static_selectorELNS0_4arch9wavefront6targetE1EEEvT1_.uses_flat_scratch, 0
	.set _ZN7rocprim17ROCPRIM_400000_NS6detail17trampoline_kernelINS0_14default_configENS1_25partition_config_selectorILNS1_17partition_subalgoE8ElNS0_10empty_typeEbEEZZNS1_14partition_implILS5_8ELb0ES3_jPlPS6_PKS6_NS0_5tupleIJS9_S6_EEENSD_IJSA_SA_EEENS0_18inequality_wrapperIZN2at6native12_GLOBAL__N_124unique_dim_cuda_templateImEESt5tupleIJNSH_6TensorESM_SM_EERKSM_lbbbEUlllE0_EEPmJS6_EEE10hipError_tPvRmT3_T4_T5_T6_T7_T9_mT8_P12ihipStream_tbDpT10_ENKUlT_T0_E_clISt17integral_constantIbLb1EES1C_EEDaS17_S18_EUlS17_E_NS1_11comp_targetILNS1_3genE8ELNS1_11target_archE1030ELNS1_3gpuE2ELNS1_3repE0EEENS1_30default_config_static_selectorELNS0_4arch9wavefront6targetE1EEEvT1_.has_dyn_sized_stack, 0
	.set _ZN7rocprim17ROCPRIM_400000_NS6detail17trampoline_kernelINS0_14default_configENS1_25partition_config_selectorILNS1_17partition_subalgoE8ElNS0_10empty_typeEbEEZZNS1_14partition_implILS5_8ELb0ES3_jPlPS6_PKS6_NS0_5tupleIJS9_S6_EEENSD_IJSA_SA_EEENS0_18inequality_wrapperIZN2at6native12_GLOBAL__N_124unique_dim_cuda_templateImEESt5tupleIJNSH_6TensorESM_SM_EERKSM_lbbbEUlllE0_EEPmJS6_EEE10hipError_tPvRmT3_T4_T5_T6_T7_T9_mT8_P12ihipStream_tbDpT10_ENKUlT_T0_E_clISt17integral_constantIbLb1EES1C_EEDaS17_S18_EUlS17_E_NS1_11comp_targetILNS1_3genE8ELNS1_11target_archE1030ELNS1_3gpuE2ELNS1_3repE0EEENS1_30default_config_static_selectorELNS0_4arch9wavefront6targetE1EEEvT1_.has_recursion, 0
	.set _ZN7rocprim17ROCPRIM_400000_NS6detail17trampoline_kernelINS0_14default_configENS1_25partition_config_selectorILNS1_17partition_subalgoE8ElNS0_10empty_typeEbEEZZNS1_14partition_implILS5_8ELb0ES3_jPlPS6_PKS6_NS0_5tupleIJS9_S6_EEENSD_IJSA_SA_EEENS0_18inequality_wrapperIZN2at6native12_GLOBAL__N_124unique_dim_cuda_templateImEESt5tupleIJNSH_6TensorESM_SM_EERKSM_lbbbEUlllE0_EEPmJS6_EEE10hipError_tPvRmT3_T4_T5_T6_T7_T9_mT8_P12ihipStream_tbDpT10_ENKUlT_T0_E_clISt17integral_constantIbLb1EES1C_EEDaS17_S18_EUlS17_E_NS1_11comp_targetILNS1_3genE8ELNS1_11target_archE1030ELNS1_3gpuE2ELNS1_3repE0EEENS1_30default_config_static_selectorELNS0_4arch9wavefront6targetE1EEEvT1_.has_indirect_call, 0
	.section	.AMDGPU.csdata,"",@progbits
; Kernel info:
; codeLenInByte = 0
; TotalNumSgprs: 6
; NumVgprs: 0
; NumAgprs: 0
; TotalNumVgprs: 0
; ScratchSize: 0
; MemoryBound: 0
; FloatMode: 240
; IeeeMode: 1
; LDSByteSize: 0 bytes/workgroup (compile time only)
; SGPRBlocks: 0
; VGPRBlocks: 0
; NumSGPRsForWavesPerEU: 6
; NumVGPRsForWavesPerEU: 1
; AccumOffset: 4
; Occupancy: 8
; WaveLimiterHint : 0
; COMPUTE_PGM_RSRC2:SCRATCH_EN: 0
; COMPUTE_PGM_RSRC2:USER_SGPR: 2
; COMPUTE_PGM_RSRC2:TRAP_HANDLER: 0
; COMPUTE_PGM_RSRC2:TGID_X_EN: 1
; COMPUTE_PGM_RSRC2:TGID_Y_EN: 0
; COMPUTE_PGM_RSRC2:TGID_Z_EN: 0
; COMPUTE_PGM_RSRC2:TIDIG_COMP_CNT: 0
; COMPUTE_PGM_RSRC3_GFX90A:ACCUM_OFFSET: 0
; COMPUTE_PGM_RSRC3_GFX90A:TG_SPLIT: 0
	.section	.text._ZN7rocprim17ROCPRIM_400000_NS6detail17trampoline_kernelINS0_14default_configENS1_25partition_config_selectorILNS1_17partition_subalgoE8ElNS0_10empty_typeEbEEZZNS1_14partition_implILS5_8ELb0ES3_jPlPS6_PKS6_NS0_5tupleIJS9_S6_EEENSD_IJSA_SA_EEENS0_18inequality_wrapperIZN2at6native12_GLOBAL__N_124unique_dim_cuda_templateImEESt5tupleIJNSH_6TensorESM_SM_EERKSM_lbbbEUlllE0_EEPmJS6_EEE10hipError_tPvRmT3_T4_T5_T6_T7_T9_mT8_P12ihipStream_tbDpT10_ENKUlT_T0_E_clISt17integral_constantIbLb1EES1B_IbLb0EEEEDaS17_S18_EUlS17_E_NS1_11comp_targetILNS1_3genE0ELNS1_11target_archE4294967295ELNS1_3gpuE0ELNS1_3repE0EEENS1_30default_config_static_selectorELNS0_4arch9wavefront6targetE1EEEvT1_,"axG",@progbits,_ZN7rocprim17ROCPRIM_400000_NS6detail17trampoline_kernelINS0_14default_configENS1_25partition_config_selectorILNS1_17partition_subalgoE8ElNS0_10empty_typeEbEEZZNS1_14partition_implILS5_8ELb0ES3_jPlPS6_PKS6_NS0_5tupleIJS9_S6_EEENSD_IJSA_SA_EEENS0_18inequality_wrapperIZN2at6native12_GLOBAL__N_124unique_dim_cuda_templateImEESt5tupleIJNSH_6TensorESM_SM_EERKSM_lbbbEUlllE0_EEPmJS6_EEE10hipError_tPvRmT3_T4_T5_T6_T7_T9_mT8_P12ihipStream_tbDpT10_ENKUlT_T0_E_clISt17integral_constantIbLb1EES1B_IbLb0EEEEDaS17_S18_EUlS17_E_NS1_11comp_targetILNS1_3genE0ELNS1_11target_archE4294967295ELNS1_3gpuE0ELNS1_3repE0EEENS1_30default_config_static_selectorELNS0_4arch9wavefront6targetE1EEEvT1_,comdat
	.globl	_ZN7rocprim17ROCPRIM_400000_NS6detail17trampoline_kernelINS0_14default_configENS1_25partition_config_selectorILNS1_17partition_subalgoE8ElNS0_10empty_typeEbEEZZNS1_14partition_implILS5_8ELb0ES3_jPlPS6_PKS6_NS0_5tupleIJS9_S6_EEENSD_IJSA_SA_EEENS0_18inequality_wrapperIZN2at6native12_GLOBAL__N_124unique_dim_cuda_templateImEESt5tupleIJNSH_6TensorESM_SM_EERKSM_lbbbEUlllE0_EEPmJS6_EEE10hipError_tPvRmT3_T4_T5_T6_T7_T9_mT8_P12ihipStream_tbDpT10_ENKUlT_T0_E_clISt17integral_constantIbLb1EES1B_IbLb0EEEEDaS17_S18_EUlS17_E_NS1_11comp_targetILNS1_3genE0ELNS1_11target_archE4294967295ELNS1_3gpuE0ELNS1_3repE0EEENS1_30default_config_static_selectorELNS0_4arch9wavefront6targetE1EEEvT1_ ; -- Begin function _ZN7rocprim17ROCPRIM_400000_NS6detail17trampoline_kernelINS0_14default_configENS1_25partition_config_selectorILNS1_17partition_subalgoE8ElNS0_10empty_typeEbEEZZNS1_14partition_implILS5_8ELb0ES3_jPlPS6_PKS6_NS0_5tupleIJS9_S6_EEENSD_IJSA_SA_EEENS0_18inequality_wrapperIZN2at6native12_GLOBAL__N_124unique_dim_cuda_templateImEESt5tupleIJNSH_6TensorESM_SM_EERKSM_lbbbEUlllE0_EEPmJS6_EEE10hipError_tPvRmT3_T4_T5_T6_T7_T9_mT8_P12ihipStream_tbDpT10_ENKUlT_T0_E_clISt17integral_constantIbLb1EES1B_IbLb0EEEEDaS17_S18_EUlS17_E_NS1_11comp_targetILNS1_3genE0ELNS1_11target_archE4294967295ELNS1_3gpuE0ELNS1_3repE0EEENS1_30default_config_static_selectorELNS0_4arch9wavefront6targetE1EEEvT1_
	.p2align	8
	.type	_ZN7rocprim17ROCPRIM_400000_NS6detail17trampoline_kernelINS0_14default_configENS1_25partition_config_selectorILNS1_17partition_subalgoE8ElNS0_10empty_typeEbEEZZNS1_14partition_implILS5_8ELb0ES3_jPlPS6_PKS6_NS0_5tupleIJS9_S6_EEENSD_IJSA_SA_EEENS0_18inequality_wrapperIZN2at6native12_GLOBAL__N_124unique_dim_cuda_templateImEESt5tupleIJNSH_6TensorESM_SM_EERKSM_lbbbEUlllE0_EEPmJS6_EEE10hipError_tPvRmT3_T4_T5_T6_T7_T9_mT8_P12ihipStream_tbDpT10_ENKUlT_T0_E_clISt17integral_constantIbLb1EES1B_IbLb0EEEEDaS17_S18_EUlS17_E_NS1_11comp_targetILNS1_3genE0ELNS1_11target_archE4294967295ELNS1_3gpuE0ELNS1_3repE0EEENS1_30default_config_static_selectorELNS0_4arch9wavefront6targetE1EEEvT1_,@function
_ZN7rocprim17ROCPRIM_400000_NS6detail17trampoline_kernelINS0_14default_configENS1_25partition_config_selectorILNS1_17partition_subalgoE8ElNS0_10empty_typeEbEEZZNS1_14partition_implILS5_8ELb0ES3_jPlPS6_PKS6_NS0_5tupleIJS9_S6_EEENSD_IJSA_SA_EEENS0_18inequality_wrapperIZN2at6native12_GLOBAL__N_124unique_dim_cuda_templateImEESt5tupleIJNSH_6TensorESM_SM_EERKSM_lbbbEUlllE0_EEPmJS6_EEE10hipError_tPvRmT3_T4_T5_T6_T7_T9_mT8_P12ihipStream_tbDpT10_ENKUlT_T0_E_clISt17integral_constantIbLb1EES1B_IbLb0EEEEDaS17_S18_EUlS17_E_NS1_11comp_targetILNS1_3genE0ELNS1_11target_archE4294967295ELNS1_3gpuE0ELNS1_3repE0EEENS1_30default_config_static_selectorELNS0_4arch9wavefront6targetE1EEEvT1_: ; @_ZN7rocprim17ROCPRIM_400000_NS6detail17trampoline_kernelINS0_14default_configENS1_25partition_config_selectorILNS1_17partition_subalgoE8ElNS0_10empty_typeEbEEZZNS1_14partition_implILS5_8ELb0ES3_jPlPS6_PKS6_NS0_5tupleIJS9_S6_EEENSD_IJSA_SA_EEENS0_18inequality_wrapperIZN2at6native12_GLOBAL__N_124unique_dim_cuda_templateImEESt5tupleIJNSH_6TensorESM_SM_EERKSM_lbbbEUlllE0_EEPmJS6_EEE10hipError_tPvRmT3_T4_T5_T6_T7_T9_mT8_P12ihipStream_tbDpT10_ENKUlT_T0_E_clISt17integral_constantIbLb1EES1B_IbLb0EEEEDaS17_S18_EUlS17_E_NS1_11comp_targetILNS1_3genE0ELNS1_11target_archE4294967295ELNS1_3gpuE0ELNS1_3repE0EEENS1_30default_config_static_selectorELNS0_4arch9wavefront6targetE1EEEvT1_
; %bb.0:
	s_endpgm
	.section	.rodata,"a",@progbits
	.p2align	6, 0x0
	.amdhsa_kernel _ZN7rocprim17ROCPRIM_400000_NS6detail17trampoline_kernelINS0_14default_configENS1_25partition_config_selectorILNS1_17partition_subalgoE8ElNS0_10empty_typeEbEEZZNS1_14partition_implILS5_8ELb0ES3_jPlPS6_PKS6_NS0_5tupleIJS9_S6_EEENSD_IJSA_SA_EEENS0_18inequality_wrapperIZN2at6native12_GLOBAL__N_124unique_dim_cuda_templateImEESt5tupleIJNSH_6TensorESM_SM_EERKSM_lbbbEUlllE0_EEPmJS6_EEE10hipError_tPvRmT3_T4_T5_T6_T7_T9_mT8_P12ihipStream_tbDpT10_ENKUlT_T0_E_clISt17integral_constantIbLb1EES1B_IbLb0EEEEDaS17_S18_EUlS17_E_NS1_11comp_targetILNS1_3genE0ELNS1_11target_archE4294967295ELNS1_3gpuE0ELNS1_3repE0EEENS1_30default_config_static_selectorELNS0_4arch9wavefront6targetE1EEEvT1_
		.amdhsa_group_segment_fixed_size 0
		.amdhsa_private_segment_fixed_size 0
		.amdhsa_kernarg_size 120
		.amdhsa_user_sgpr_count 2
		.amdhsa_user_sgpr_dispatch_ptr 0
		.amdhsa_user_sgpr_queue_ptr 0
		.amdhsa_user_sgpr_kernarg_segment_ptr 1
		.amdhsa_user_sgpr_dispatch_id 0
		.amdhsa_user_sgpr_kernarg_preload_length 0
		.amdhsa_user_sgpr_kernarg_preload_offset 0
		.amdhsa_user_sgpr_private_segment_size 0
		.amdhsa_uses_dynamic_stack 0
		.amdhsa_enable_private_segment 0
		.amdhsa_system_sgpr_workgroup_id_x 1
		.amdhsa_system_sgpr_workgroup_id_y 0
		.amdhsa_system_sgpr_workgroup_id_z 0
		.amdhsa_system_sgpr_workgroup_info 0
		.amdhsa_system_vgpr_workitem_id 0
		.amdhsa_next_free_vgpr 1
		.amdhsa_next_free_sgpr 0
		.amdhsa_accum_offset 4
		.amdhsa_reserve_vcc 0
		.amdhsa_float_round_mode_32 0
		.amdhsa_float_round_mode_16_64 0
		.amdhsa_float_denorm_mode_32 3
		.amdhsa_float_denorm_mode_16_64 3
		.amdhsa_dx10_clamp 1
		.amdhsa_ieee_mode 1
		.amdhsa_fp16_overflow 0
		.amdhsa_tg_split 0
		.amdhsa_exception_fp_ieee_invalid_op 0
		.amdhsa_exception_fp_denorm_src 0
		.amdhsa_exception_fp_ieee_div_zero 0
		.amdhsa_exception_fp_ieee_overflow 0
		.amdhsa_exception_fp_ieee_underflow 0
		.amdhsa_exception_fp_ieee_inexact 0
		.amdhsa_exception_int_div_zero 0
	.end_amdhsa_kernel
	.section	.text._ZN7rocprim17ROCPRIM_400000_NS6detail17trampoline_kernelINS0_14default_configENS1_25partition_config_selectorILNS1_17partition_subalgoE8ElNS0_10empty_typeEbEEZZNS1_14partition_implILS5_8ELb0ES3_jPlPS6_PKS6_NS0_5tupleIJS9_S6_EEENSD_IJSA_SA_EEENS0_18inequality_wrapperIZN2at6native12_GLOBAL__N_124unique_dim_cuda_templateImEESt5tupleIJNSH_6TensorESM_SM_EERKSM_lbbbEUlllE0_EEPmJS6_EEE10hipError_tPvRmT3_T4_T5_T6_T7_T9_mT8_P12ihipStream_tbDpT10_ENKUlT_T0_E_clISt17integral_constantIbLb1EES1B_IbLb0EEEEDaS17_S18_EUlS17_E_NS1_11comp_targetILNS1_3genE0ELNS1_11target_archE4294967295ELNS1_3gpuE0ELNS1_3repE0EEENS1_30default_config_static_selectorELNS0_4arch9wavefront6targetE1EEEvT1_,"axG",@progbits,_ZN7rocprim17ROCPRIM_400000_NS6detail17trampoline_kernelINS0_14default_configENS1_25partition_config_selectorILNS1_17partition_subalgoE8ElNS0_10empty_typeEbEEZZNS1_14partition_implILS5_8ELb0ES3_jPlPS6_PKS6_NS0_5tupleIJS9_S6_EEENSD_IJSA_SA_EEENS0_18inequality_wrapperIZN2at6native12_GLOBAL__N_124unique_dim_cuda_templateImEESt5tupleIJNSH_6TensorESM_SM_EERKSM_lbbbEUlllE0_EEPmJS6_EEE10hipError_tPvRmT3_T4_T5_T6_T7_T9_mT8_P12ihipStream_tbDpT10_ENKUlT_T0_E_clISt17integral_constantIbLb1EES1B_IbLb0EEEEDaS17_S18_EUlS17_E_NS1_11comp_targetILNS1_3genE0ELNS1_11target_archE4294967295ELNS1_3gpuE0ELNS1_3repE0EEENS1_30default_config_static_selectorELNS0_4arch9wavefront6targetE1EEEvT1_,comdat
.Lfunc_end1679:
	.size	_ZN7rocprim17ROCPRIM_400000_NS6detail17trampoline_kernelINS0_14default_configENS1_25partition_config_selectorILNS1_17partition_subalgoE8ElNS0_10empty_typeEbEEZZNS1_14partition_implILS5_8ELb0ES3_jPlPS6_PKS6_NS0_5tupleIJS9_S6_EEENSD_IJSA_SA_EEENS0_18inequality_wrapperIZN2at6native12_GLOBAL__N_124unique_dim_cuda_templateImEESt5tupleIJNSH_6TensorESM_SM_EERKSM_lbbbEUlllE0_EEPmJS6_EEE10hipError_tPvRmT3_T4_T5_T6_T7_T9_mT8_P12ihipStream_tbDpT10_ENKUlT_T0_E_clISt17integral_constantIbLb1EES1B_IbLb0EEEEDaS17_S18_EUlS17_E_NS1_11comp_targetILNS1_3genE0ELNS1_11target_archE4294967295ELNS1_3gpuE0ELNS1_3repE0EEENS1_30default_config_static_selectorELNS0_4arch9wavefront6targetE1EEEvT1_, .Lfunc_end1679-_ZN7rocprim17ROCPRIM_400000_NS6detail17trampoline_kernelINS0_14default_configENS1_25partition_config_selectorILNS1_17partition_subalgoE8ElNS0_10empty_typeEbEEZZNS1_14partition_implILS5_8ELb0ES3_jPlPS6_PKS6_NS0_5tupleIJS9_S6_EEENSD_IJSA_SA_EEENS0_18inequality_wrapperIZN2at6native12_GLOBAL__N_124unique_dim_cuda_templateImEESt5tupleIJNSH_6TensorESM_SM_EERKSM_lbbbEUlllE0_EEPmJS6_EEE10hipError_tPvRmT3_T4_T5_T6_T7_T9_mT8_P12ihipStream_tbDpT10_ENKUlT_T0_E_clISt17integral_constantIbLb1EES1B_IbLb0EEEEDaS17_S18_EUlS17_E_NS1_11comp_targetILNS1_3genE0ELNS1_11target_archE4294967295ELNS1_3gpuE0ELNS1_3repE0EEENS1_30default_config_static_selectorELNS0_4arch9wavefront6targetE1EEEvT1_
                                        ; -- End function
	.set _ZN7rocprim17ROCPRIM_400000_NS6detail17trampoline_kernelINS0_14default_configENS1_25partition_config_selectorILNS1_17partition_subalgoE8ElNS0_10empty_typeEbEEZZNS1_14partition_implILS5_8ELb0ES3_jPlPS6_PKS6_NS0_5tupleIJS9_S6_EEENSD_IJSA_SA_EEENS0_18inequality_wrapperIZN2at6native12_GLOBAL__N_124unique_dim_cuda_templateImEESt5tupleIJNSH_6TensorESM_SM_EERKSM_lbbbEUlllE0_EEPmJS6_EEE10hipError_tPvRmT3_T4_T5_T6_T7_T9_mT8_P12ihipStream_tbDpT10_ENKUlT_T0_E_clISt17integral_constantIbLb1EES1B_IbLb0EEEEDaS17_S18_EUlS17_E_NS1_11comp_targetILNS1_3genE0ELNS1_11target_archE4294967295ELNS1_3gpuE0ELNS1_3repE0EEENS1_30default_config_static_selectorELNS0_4arch9wavefront6targetE1EEEvT1_.num_vgpr, 0
	.set _ZN7rocprim17ROCPRIM_400000_NS6detail17trampoline_kernelINS0_14default_configENS1_25partition_config_selectorILNS1_17partition_subalgoE8ElNS0_10empty_typeEbEEZZNS1_14partition_implILS5_8ELb0ES3_jPlPS6_PKS6_NS0_5tupleIJS9_S6_EEENSD_IJSA_SA_EEENS0_18inequality_wrapperIZN2at6native12_GLOBAL__N_124unique_dim_cuda_templateImEESt5tupleIJNSH_6TensorESM_SM_EERKSM_lbbbEUlllE0_EEPmJS6_EEE10hipError_tPvRmT3_T4_T5_T6_T7_T9_mT8_P12ihipStream_tbDpT10_ENKUlT_T0_E_clISt17integral_constantIbLb1EES1B_IbLb0EEEEDaS17_S18_EUlS17_E_NS1_11comp_targetILNS1_3genE0ELNS1_11target_archE4294967295ELNS1_3gpuE0ELNS1_3repE0EEENS1_30default_config_static_selectorELNS0_4arch9wavefront6targetE1EEEvT1_.num_agpr, 0
	.set _ZN7rocprim17ROCPRIM_400000_NS6detail17trampoline_kernelINS0_14default_configENS1_25partition_config_selectorILNS1_17partition_subalgoE8ElNS0_10empty_typeEbEEZZNS1_14partition_implILS5_8ELb0ES3_jPlPS6_PKS6_NS0_5tupleIJS9_S6_EEENSD_IJSA_SA_EEENS0_18inequality_wrapperIZN2at6native12_GLOBAL__N_124unique_dim_cuda_templateImEESt5tupleIJNSH_6TensorESM_SM_EERKSM_lbbbEUlllE0_EEPmJS6_EEE10hipError_tPvRmT3_T4_T5_T6_T7_T9_mT8_P12ihipStream_tbDpT10_ENKUlT_T0_E_clISt17integral_constantIbLb1EES1B_IbLb0EEEEDaS17_S18_EUlS17_E_NS1_11comp_targetILNS1_3genE0ELNS1_11target_archE4294967295ELNS1_3gpuE0ELNS1_3repE0EEENS1_30default_config_static_selectorELNS0_4arch9wavefront6targetE1EEEvT1_.numbered_sgpr, 0
	.set _ZN7rocprim17ROCPRIM_400000_NS6detail17trampoline_kernelINS0_14default_configENS1_25partition_config_selectorILNS1_17partition_subalgoE8ElNS0_10empty_typeEbEEZZNS1_14partition_implILS5_8ELb0ES3_jPlPS6_PKS6_NS0_5tupleIJS9_S6_EEENSD_IJSA_SA_EEENS0_18inequality_wrapperIZN2at6native12_GLOBAL__N_124unique_dim_cuda_templateImEESt5tupleIJNSH_6TensorESM_SM_EERKSM_lbbbEUlllE0_EEPmJS6_EEE10hipError_tPvRmT3_T4_T5_T6_T7_T9_mT8_P12ihipStream_tbDpT10_ENKUlT_T0_E_clISt17integral_constantIbLb1EES1B_IbLb0EEEEDaS17_S18_EUlS17_E_NS1_11comp_targetILNS1_3genE0ELNS1_11target_archE4294967295ELNS1_3gpuE0ELNS1_3repE0EEENS1_30default_config_static_selectorELNS0_4arch9wavefront6targetE1EEEvT1_.num_named_barrier, 0
	.set _ZN7rocprim17ROCPRIM_400000_NS6detail17trampoline_kernelINS0_14default_configENS1_25partition_config_selectorILNS1_17partition_subalgoE8ElNS0_10empty_typeEbEEZZNS1_14partition_implILS5_8ELb0ES3_jPlPS6_PKS6_NS0_5tupleIJS9_S6_EEENSD_IJSA_SA_EEENS0_18inequality_wrapperIZN2at6native12_GLOBAL__N_124unique_dim_cuda_templateImEESt5tupleIJNSH_6TensorESM_SM_EERKSM_lbbbEUlllE0_EEPmJS6_EEE10hipError_tPvRmT3_T4_T5_T6_T7_T9_mT8_P12ihipStream_tbDpT10_ENKUlT_T0_E_clISt17integral_constantIbLb1EES1B_IbLb0EEEEDaS17_S18_EUlS17_E_NS1_11comp_targetILNS1_3genE0ELNS1_11target_archE4294967295ELNS1_3gpuE0ELNS1_3repE0EEENS1_30default_config_static_selectorELNS0_4arch9wavefront6targetE1EEEvT1_.private_seg_size, 0
	.set _ZN7rocprim17ROCPRIM_400000_NS6detail17trampoline_kernelINS0_14default_configENS1_25partition_config_selectorILNS1_17partition_subalgoE8ElNS0_10empty_typeEbEEZZNS1_14partition_implILS5_8ELb0ES3_jPlPS6_PKS6_NS0_5tupleIJS9_S6_EEENSD_IJSA_SA_EEENS0_18inequality_wrapperIZN2at6native12_GLOBAL__N_124unique_dim_cuda_templateImEESt5tupleIJNSH_6TensorESM_SM_EERKSM_lbbbEUlllE0_EEPmJS6_EEE10hipError_tPvRmT3_T4_T5_T6_T7_T9_mT8_P12ihipStream_tbDpT10_ENKUlT_T0_E_clISt17integral_constantIbLb1EES1B_IbLb0EEEEDaS17_S18_EUlS17_E_NS1_11comp_targetILNS1_3genE0ELNS1_11target_archE4294967295ELNS1_3gpuE0ELNS1_3repE0EEENS1_30default_config_static_selectorELNS0_4arch9wavefront6targetE1EEEvT1_.uses_vcc, 0
	.set _ZN7rocprim17ROCPRIM_400000_NS6detail17trampoline_kernelINS0_14default_configENS1_25partition_config_selectorILNS1_17partition_subalgoE8ElNS0_10empty_typeEbEEZZNS1_14partition_implILS5_8ELb0ES3_jPlPS6_PKS6_NS0_5tupleIJS9_S6_EEENSD_IJSA_SA_EEENS0_18inequality_wrapperIZN2at6native12_GLOBAL__N_124unique_dim_cuda_templateImEESt5tupleIJNSH_6TensorESM_SM_EERKSM_lbbbEUlllE0_EEPmJS6_EEE10hipError_tPvRmT3_T4_T5_T6_T7_T9_mT8_P12ihipStream_tbDpT10_ENKUlT_T0_E_clISt17integral_constantIbLb1EES1B_IbLb0EEEEDaS17_S18_EUlS17_E_NS1_11comp_targetILNS1_3genE0ELNS1_11target_archE4294967295ELNS1_3gpuE0ELNS1_3repE0EEENS1_30default_config_static_selectorELNS0_4arch9wavefront6targetE1EEEvT1_.uses_flat_scratch, 0
	.set _ZN7rocprim17ROCPRIM_400000_NS6detail17trampoline_kernelINS0_14default_configENS1_25partition_config_selectorILNS1_17partition_subalgoE8ElNS0_10empty_typeEbEEZZNS1_14partition_implILS5_8ELb0ES3_jPlPS6_PKS6_NS0_5tupleIJS9_S6_EEENSD_IJSA_SA_EEENS0_18inequality_wrapperIZN2at6native12_GLOBAL__N_124unique_dim_cuda_templateImEESt5tupleIJNSH_6TensorESM_SM_EERKSM_lbbbEUlllE0_EEPmJS6_EEE10hipError_tPvRmT3_T4_T5_T6_T7_T9_mT8_P12ihipStream_tbDpT10_ENKUlT_T0_E_clISt17integral_constantIbLb1EES1B_IbLb0EEEEDaS17_S18_EUlS17_E_NS1_11comp_targetILNS1_3genE0ELNS1_11target_archE4294967295ELNS1_3gpuE0ELNS1_3repE0EEENS1_30default_config_static_selectorELNS0_4arch9wavefront6targetE1EEEvT1_.has_dyn_sized_stack, 0
	.set _ZN7rocprim17ROCPRIM_400000_NS6detail17trampoline_kernelINS0_14default_configENS1_25partition_config_selectorILNS1_17partition_subalgoE8ElNS0_10empty_typeEbEEZZNS1_14partition_implILS5_8ELb0ES3_jPlPS6_PKS6_NS0_5tupleIJS9_S6_EEENSD_IJSA_SA_EEENS0_18inequality_wrapperIZN2at6native12_GLOBAL__N_124unique_dim_cuda_templateImEESt5tupleIJNSH_6TensorESM_SM_EERKSM_lbbbEUlllE0_EEPmJS6_EEE10hipError_tPvRmT3_T4_T5_T6_T7_T9_mT8_P12ihipStream_tbDpT10_ENKUlT_T0_E_clISt17integral_constantIbLb1EES1B_IbLb0EEEEDaS17_S18_EUlS17_E_NS1_11comp_targetILNS1_3genE0ELNS1_11target_archE4294967295ELNS1_3gpuE0ELNS1_3repE0EEENS1_30default_config_static_selectorELNS0_4arch9wavefront6targetE1EEEvT1_.has_recursion, 0
	.set _ZN7rocprim17ROCPRIM_400000_NS6detail17trampoline_kernelINS0_14default_configENS1_25partition_config_selectorILNS1_17partition_subalgoE8ElNS0_10empty_typeEbEEZZNS1_14partition_implILS5_8ELb0ES3_jPlPS6_PKS6_NS0_5tupleIJS9_S6_EEENSD_IJSA_SA_EEENS0_18inequality_wrapperIZN2at6native12_GLOBAL__N_124unique_dim_cuda_templateImEESt5tupleIJNSH_6TensorESM_SM_EERKSM_lbbbEUlllE0_EEPmJS6_EEE10hipError_tPvRmT3_T4_T5_T6_T7_T9_mT8_P12ihipStream_tbDpT10_ENKUlT_T0_E_clISt17integral_constantIbLb1EES1B_IbLb0EEEEDaS17_S18_EUlS17_E_NS1_11comp_targetILNS1_3genE0ELNS1_11target_archE4294967295ELNS1_3gpuE0ELNS1_3repE0EEENS1_30default_config_static_selectorELNS0_4arch9wavefront6targetE1EEEvT1_.has_indirect_call, 0
	.section	.AMDGPU.csdata,"",@progbits
; Kernel info:
; codeLenInByte = 4
; TotalNumSgprs: 6
; NumVgprs: 0
; NumAgprs: 0
; TotalNumVgprs: 0
; ScratchSize: 0
; MemoryBound: 0
; FloatMode: 240
; IeeeMode: 1
; LDSByteSize: 0 bytes/workgroup (compile time only)
; SGPRBlocks: 0
; VGPRBlocks: 0
; NumSGPRsForWavesPerEU: 6
; NumVGPRsForWavesPerEU: 1
; AccumOffset: 4
; Occupancy: 8
; WaveLimiterHint : 0
; COMPUTE_PGM_RSRC2:SCRATCH_EN: 0
; COMPUTE_PGM_RSRC2:USER_SGPR: 2
; COMPUTE_PGM_RSRC2:TRAP_HANDLER: 0
; COMPUTE_PGM_RSRC2:TGID_X_EN: 1
; COMPUTE_PGM_RSRC2:TGID_Y_EN: 0
; COMPUTE_PGM_RSRC2:TGID_Z_EN: 0
; COMPUTE_PGM_RSRC2:TIDIG_COMP_CNT: 0
; COMPUTE_PGM_RSRC3_GFX90A:ACCUM_OFFSET: 0
; COMPUTE_PGM_RSRC3_GFX90A:TG_SPLIT: 0
	.section	.text._ZN7rocprim17ROCPRIM_400000_NS6detail17trampoline_kernelINS0_14default_configENS1_25partition_config_selectorILNS1_17partition_subalgoE8ElNS0_10empty_typeEbEEZZNS1_14partition_implILS5_8ELb0ES3_jPlPS6_PKS6_NS0_5tupleIJS9_S6_EEENSD_IJSA_SA_EEENS0_18inequality_wrapperIZN2at6native12_GLOBAL__N_124unique_dim_cuda_templateImEESt5tupleIJNSH_6TensorESM_SM_EERKSM_lbbbEUlllE0_EEPmJS6_EEE10hipError_tPvRmT3_T4_T5_T6_T7_T9_mT8_P12ihipStream_tbDpT10_ENKUlT_T0_E_clISt17integral_constantIbLb1EES1B_IbLb0EEEEDaS17_S18_EUlS17_E_NS1_11comp_targetILNS1_3genE5ELNS1_11target_archE942ELNS1_3gpuE9ELNS1_3repE0EEENS1_30default_config_static_selectorELNS0_4arch9wavefront6targetE1EEEvT1_,"axG",@progbits,_ZN7rocprim17ROCPRIM_400000_NS6detail17trampoline_kernelINS0_14default_configENS1_25partition_config_selectorILNS1_17partition_subalgoE8ElNS0_10empty_typeEbEEZZNS1_14partition_implILS5_8ELb0ES3_jPlPS6_PKS6_NS0_5tupleIJS9_S6_EEENSD_IJSA_SA_EEENS0_18inequality_wrapperIZN2at6native12_GLOBAL__N_124unique_dim_cuda_templateImEESt5tupleIJNSH_6TensorESM_SM_EERKSM_lbbbEUlllE0_EEPmJS6_EEE10hipError_tPvRmT3_T4_T5_T6_T7_T9_mT8_P12ihipStream_tbDpT10_ENKUlT_T0_E_clISt17integral_constantIbLb1EES1B_IbLb0EEEEDaS17_S18_EUlS17_E_NS1_11comp_targetILNS1_3genE5ELNS1_11target_archE942ELNS1_3gpuE9ELNS1_3repE0EEENS1_30default_config_static_selectorELNS0_4arch9wavefront6targetE1EEEvT1_,comdat
	.globl	_ZN7rocprim17ROCPRIM_400000_NS6detail17trampoline_kernelINS0_14default_configENS1_25partition_config_selectorILNS1_17partition_subalgoE8ElNS0_10empty_typeEbEEZZNS1_14partition_implILS5_8ELb0ES3_jPlPS6_PKS6_NS0_5tupleIJS9_S6_EEENSD_IJSA_SA_EEENS0_18inequality_wrapperIZN2at6native12_GLOBAL__N_124unique_dim_cuda_templateImEESt5tupleIJNSH_6TensorESM_SM_EERKSM_lbbbEUlllE0_EEPmJS6_EEE10hipError_tPvRmT3_T4_T5_T6_T7_T9_mT8_P12ihipStream_tbDpT10_ENKUlT_T0_E_clISt17integral_constantIbLb1EES1B_IbLb0EEEEDaS17_S18_EUlS17_E_NS1_11comp_targetILNS1_3genE5ELNS1_11target_archE942ELNS1_3gpuE9ELNS1_3repE0EEENS1_30default_config_static_selectorELNS0_4arch9wavefront6targetE1EEEvT1_ ; -- Begin function _ZN7rocprim17ROCPRIM_400000_NS6detail17trampoline_kernelINS0_14default_configENS1_25partition_config_selectorILNS1_17partition_subalgoE8ElNS0_10empty_typeEbEEZZNS1_14partition_implILS5_8ELb0ES3_jPlPS6_PKS6_NS0_5tupleIJS9_S6_EEENSD_IJSA_SA_EEENS0_18inequality_wrapperIZN2at6native12_GLOBAL__N_124unique_dim_cuda_templateImEESt5tupleIJNSH_6TensorESM_SM_EERKSM_lbbbEUlllE0_EEPmJS6_EEE10hipError_tPvRmT3_T4_T5_T6_T7_T9_mT8_P12ihipStream_tbDpT10_ENKUlT_T0_E_clISt17integral_constantIbLb1EES1B_IbLb0EEEEDaS17_S18_EUlS17_E_NS1_11comp_targetILNS1_3genE5ELNS1_11target_archE942ELNS1_3gpuE9ELNS1_3repE0EEENS1_30default_config_static_selectorELNS0_4arch9wavefront6targetE1EEEvT1_
	.p2align	8
	.type	_ZN7rocprim17ROCPRIM_400000_NS6detail17trampoline_kernelINS0_14default_configENS1_25partition_config_selectorILNS1_17partition_subalgoE8ElNS0_10empty_typeEbEEZZNS1_14partition_implILS5_8ELb0ES3_jPlPS6_PKS6_NS0_5tupleIJS9_S6_EEENSD_IJSA_SA_EEENS0_18inequality_wrapperIZN2at6native12_GLOBAL__N_124unique_dim_cuda_templateImEESt5tupleIJNSH_6TensorESM_SM_EERKSM_lbbbEUlllE0_EEPmJS6_EEE10hipError_tPvRmT3_T4_T5_T6_T7_T9_mT8_P12ihipStream_tbDpT10_ENKUlT_T0_E_clISt17integral_constantIbLb1EES1B_IbLb0EEEEDaS17_S18_EUlS17_E_NS1_11comp_targetILNS1_3genE5ELNS1_11target_archE942ELNS1_3gpuE9ELNS1_3repE0EEENS1_30default_config_static_selectorELNS0_4arch9wavefront6targetE1EEEvT1_,@function
_ZN7rocprim17ROCPRIM_400000_NS6detail17trampoline_kernelINS0_14default_configENS1_25partition_config_selectorILNS1_17partition_subalgoE8ElNS0_10empty_typeEbEEZZNS1_14partition_implILS5_8ELb0ES3_jPlPS6_PKS6_NS0_5tupleIJS9_S6_EEENSD_IJSA_SA_EEENS0_18inequality_wrapperIZN2at6native12_GLOBAL__N_124unique_dim_cuda_templateImEESt5tupleIJNSH_6TensorESM_SM_EERKSM_lbbbEUlllE0_EEPmJS6_EEE10hipError_tPvRmT3_T4_T5_T6_T7_T9_mT8_P12ihipStream_tbDpT10_ENKUlT_T0_E_clISt17integral_constantIbLb1EES1B_IbLb0EEEEDaS17_S18_EUlS17_E_NS1_11comp_targetILNS1_3genE5ELNS1_11target_archE942ELNS1_3gpuE9ELNS1_3repE0EEENS1_30default_config_static_selectorELNS0_4arch9wavefront6targetE1EEEvT1_: ; @_ZN7rocprim17ROCPRIM_400000_NS6detail17trampoline_kernelINS0_14default_configENS1_25partition_config_selectorILNS1_17partition_subalgoE8ElNS0_10empty_typeEbEEZZNS1_14partition_implILS5_8ELb0ES3_jPlPS6_PKS6_NS0_5tupleIJS9_S6_EEENSD_IJSA_SA_EEENS0_18inequality_wrapperIZN2at6native12_GLOBAL__N_124unique_dim_cuda_templateImEESt5tupleIJNSH_6TensorESM_SM_EERKSM_lbbbEUlllE0_EEPmJS6_EEE10hipError_tPvRmT3_T4_T5_T6_T7_T9_mT8_P12ihipStream_tbDpT10_ENKUlT_T0_E_clISt17integral_constantIbLb1EES1B_IbLb0EEEEDaS17_S18_EUlS17_E_NS1_11comp_targetILNS1_3genE5ELNS1_11target_archE942ELNS1_3gpuE9ELNS1_3repE0EEENS1_30default_config_static_selectorELNS0_4arch9wavefront6targetE1EEEvT1_
; %bb.0:
	.section	.rodata,"a",@progbits
	.p2align	6, 0x0
	.amdhsa_kernel _ZN7rocprim17ROCPRIM_400000_NS6detail17trampoline_kernelINS0_14default_configENS1_25partition_config_selectorILNS1_17partition_subalgoE8ElNS0_10empty_typeEbEEZZNS1_14partition_implILS5_8ELb0ES3_jPlPS6_PKS6_NS0_5tupleIJS9_S6_EEENSD_IJSA_SA_EEENS0_18inequality_wrapperIZN2at6native12_GLOBAL__N_124unique_dim_cuda_templateImEESt5tupleIJNSH_6TensorESM_SM_EERKSM_lbbbEUlllE0_EEPmJS6_EEE10hipError_tPvRmT3_T4_T5_T6_T7_T9_mT8_P12ihipStream_tbDpT10_ENKUlT_T0_E_clISt17integral_constantIbLb1EES1B_IbLb0EEEEDaS17_S18_EUlS17_E_NS1_11comp_targetILNS1_3genE5ELNS1_11target_archE942ELNS1_3gpuE9ELNS1_3repE0EEENS1_30default_config_static_selectorELNS0_4arch9wavefront6targetE1EEEvT1_
		.amdhsa_group_segment_fixed_size 0
		.amdhsa_private_segment_fixed_size 0
		.amdhsa_kernarg_size 120
		.amdhsa_user_sgpr_count 2
		.amdhsa_user_sgpr_dispatch_ptr 0
		.amdhsa_user_sgpr_queue_ptr 0
		.amdhsa_user_sgpr_kernarg_segment_ptr 1
		.amdhsa_user_sgpr_dispatch_id 0
		.amdhsa_user_sgpr_kernarg_preload_length 0
		.amdhsa_user_sgpr_kernarg_preload_offset 0
		.amdhsa_user_sgpr_private_segment_size 0
		.amdhsa_uses_dynamic_stack 0
		.amdhsa_enable_private_segment 0
		.amdhsa_system_sgpr_workgroup_id_x 1
		.amdhsa_system_sgpr_workgroup_id_y 0
		.amdhsa_system_sgpr_workgroup_id_z 0
		.amdhsa_system_sgpr_workgroup_info 0
		.amdhsa_system_vgpr_workitem_id 0
		.amdhsa_next_free_vgpr 1
		.amdhsa_next_free_sgpr 0
		.amdhsa_accum_offset 4
		.amdhsa_reserve_vcc 0
		.amdhsa_float_round_mode_32 0
		.amdhsa_float_round_mode_16_64 0
		.amdhsa_float_denorm_mode_32 3
		.amdhsa_float_denorm_mode_16_64 3
		.amdhsa_dx10_clamp 1
		.amdhsa_ieee_mode 1
		.amdhsa_fp16_overflow 0
		.amdhsa_tg_split 0
		.amdhsa_exception_fp_ieee_invalid_op 0
		.amdhsa_exception_fp_denorm_src 0
		.amdhsa_exception_fp_ieee_div_zero 0
		.amdhsa_exception_fp_ieee_overflow 0
		.amdhsa_exception_fp_ieee_underflow 0
		.amdhsa_exception_fp_ieee_inexact 0
		.amdhsa_exception_int_div_zero 0
	.end_amdhsa_kernel
	.section	.text._ZN7rocprim17ROCPRIM_400000_NS6detail17trampoline_kernelINS0_14default_configENS1_25partition_config_selectorILNS1_17partition_subalgoE8ElNS0_10empty_typeEbEEZZNS1_14partition_implILS5_8ELb0ES3_jPlPS6_PKS6_NS0_5tupleIJS9_S6_EEENSD_IJSA_SA_EEENS0_18inequality_wrapperIZN2at6native12_GLOBAL__N_124unique_dim_cuda_templateImEESt5tupleIJNSH_6TensorESM_SM_EERKSM_lbbbEUlllE0_EEPmJS6_EEE10hipError_tPvRmT3_T4_T5_T6_T7_T9_mT8_P12ihipStream_tbDpT10_ENKUlT_T0_E_clISt17integral_constantIbLb1EES1B_IbLb0EEEEDaS17_S18_EUlS17_E_NS1_11comp_targetILNS1_3genE5ELNS1_11target_archE942ELNS1_3gpuE9ELNS1_3repE0EEENS1_30default_config_static_selectorELNS0_4arch9wavefront6targetE1EEEvT1_,"axG",@progbits,_ZN7rocprim17ROCPRIM_400000_NS6detail17trampoline_kernelINS0_14default_configENS1_25partition_config_selectorILNS1_17partition_subalgoE8ElNS0_10empty_typeEbEEZZNS1_14partition_implILS5_8ELb0ES3_jPlPS6_PKS6_NS0_5tupleIJS9_S6_EEENSD_IJSA_SA_EEENS0_18inequality_wrapperIZN2at6native12_GLOBAL__N_124unique_dim_cuda_templateImEESt5tupleIJNSH_6TensorESM_SM_EERKSM_lbbbEUlllE0_EEPmJS6_EEE10hipError_tPvRmT3_T4_T5_T6_T7_T9_mT8_P12ihipStream_tbDpT10_ENKUlT_T0_E_clISt17integral_constantIbLb1EES1B_IbLb0EEEEDaS17_S18_EUlS17_E_NS1_11comp_targetILNS1_3genE5ELNS1_11target_archE942ELNS1_3gpuE9ELNS1_3repE0EEENS1_30default_config_static_selectorELNS0_4arch9wavefront6targetE1EEEvT1_,comdat
.Lfunc_end1680:
	.size	_ZN7rocprim17ROCPRIM_400000_NS6detail17trampoline_kernelINS0_14default_configENS1_25partition_config_selectorILNS1_17partition_subalgoE8ElNS0_10empty_typeEbEEZZNS1_14partition_implILS5_8ELb0ES3_jPlPS6_PKS6_NS0_5tupleIJS9_S6_EEENSD_IJSA_SA_EEENS0_18inequality_wrapperIZN2at6native12_GLOBAL__N_124unique_dim_cuda_templateImEESt5tupleIJNSH_6TensorESM_SM_EERKSM_lbbbEUlllE0_EEPmJS6_EEE10hipError_tPvRmT3_T4_T5_T6_T7_T9_mT8_P12ihipStream_tbDpT10_ENKUlT_T0_E_clISt17integral_constantIbLb1EES1B_IbLb0EEEEDaS17_S18_EUlS17_E_NS1_11comp_targetILNS1_3genE5ELNS1_11target_archE942ELNS1_3gpuE9ELNS1_3repE0EEENS1_30default_config_static_selectorELNS0_4arch9wavefront6targetE1EEEvT1_, .Lfunc_end1680-_ZN7rocprim17ROCPRIM_400000_NS6detail17trampoline_kernelINS0_14default_configENS1_25partition_config_selectorILNS1_17partition_subalgoE8ElNS0_10empty_typeEbEEZZNS1_14partition_implILS5_8ELb0ES3_jPlPS6_PKS6_NS0_5tupleIJS9_S6_EEENSD_IJSA_SA_EEENS0_18inequality_wrapperIZN2at6native12_GLOBAL__N_124unique_dim_cuda_templateImEESt5tupleIJNSH_6TensorESM_SM_EERKSM_lbbbEUlllE0_EEPmJS6_EEE10hipError_tPvRmT3_T4_T5_T6_T7_T9_mT8_P12ihipStream_tbDpT10_ENKUlT_T0_E_clISt17integral_constantIbLb1EES1B_IbLb0EEEEDaS17_S18_EUlS17_E_NS1_11comp_targetILNS1_3genE5ELNS1_11target_archE942ELNS1_3gpuE9ELNS1_3repE0EEENS1_30default_config_static_selectorELNS0_4arch9wavefront6targetE1EEEvT1_
                                        ; -- End function
	.set _ZN7rocprim17ROCPRIM_400000_NS6detail17trampoline_kernelINS0_14default_configENS1_25partition_config_selectorILNS1_17partition_subalgoE8ElNS0_10empty_typeEbEEZZNS1_14partition_implILS5_8ELb0ES3_jPlPS6_PKS6_NS0_5tupleIJS9_S6_EEENSD_IJSA_SA_EEENS0_18inequality_wrapperIZN2at6native12_GLOBAL__N_124unique_dim_cuda_templateImEESt5tupleIJNSH_6TensorESM_SM_EERKSM_lbbbEUlllE0_EEPmJS6_EEE10hipError_tPvRmT3_T4_T5_T6_T7_T9_mT8_P12ihipStream_tbDpT10_ENKUlT_T0_E_clISt17integral_constantIbLb1EES1B_IbLb0EEEEDaS17_S18_EUlS17_E_NS1_11comp_targetILNS1_3genE5ELNS1_11target_archE942ELNS1_3gpuE9ELNS1_3repE0EEENS1_30default_config_static_selectorELNS0_4arch9wavefront6targetE1EEEvT1_.num_vgpr, 0
	.set _ZN7rocprim17ROCPRIM_400000_NS6detail17trampoline_kernelINS0_14default_configENS1_25partition_config_selectorILNS1_17partition_subalgoE8ElNS0_10empty_typeEbEEZZNS1_14partition_implILS5_8ELb0ES3_jPlPS6_PKS6_NS0_5tupleIJS9_S6_EEENSD_IJSA_SA_EEENS0_18inequality_wrapperIZN2at6native12_GLOBAL__N_124unique_dim_cuda_templateImEESt5tupleIJNSH_6TensorESM_SM_EERKSM_lbbbEUlllE0_EEPmJS6_EEE10hipError_tPvRmT3_T4_T5_T6_T7_T9_mT8_P12ihipStream_tbDpT10_ENKUlT_T0_E_clISt17integral_constantIbLb1EES1B_IbLb0EEEEDaS17_S18_EUlS17_E_NS1_11comp_targetILNS1_3genE5ELNS1_11target_archE942ELNS1_3gpuE9ELNS1_3repE0EEENS1_30default_config_static_selectorELNS0_4arch9wavefront6targetE1EEEvT1_.num_agpr, 0
	.set _ZN7rocprim17ROCPRIM_400000_NS6detail17trampoline_kernelINS0_14default_configENS1_25partition_config_selectorILNS1_17partition_subalgoE8ElNS0_10empty_typeEbEEZZNS1_14partition_implILS5_8ELb0ES3_jPlPS6_PKS6_NS0_5tupleIJS9_S6_EEENSD_IJSA_SA_EEENS0_18inequality_wrapperIZN2at6native12_GLOBAL__N_124unique_dim_cuda_templateImEESt5tupleIJNSH_6TensorESM_SM_EERKSM_lbbbEUlllE0_EEPmJS6_EEE10hipError_tPvRmT3_T4_T5_T6_T7_T9_mT8_P12ihipStream_tbDpT10_ENKUlT_T0_E_clISt17integral_constantIbLb1EES1B_IbLb0EEEEDaS17_S18_EUlS17_E_NS1_11comp_targetILNS1_3genE5ELNS1_11target_archE942ELNS1_3gpuE9ELNS1_3repE0EEENS1_30default_config_static_selectorELNS0_4arch9wavefront6targetE1EEEvT1_.numbered_sgpr, 0
	.set _ZN7rocprim17ROCPRIM_400000_NS6detail17trampoline_kernelINS0_14default_configENS1_25partition_config_selectorILNS1_17partition_subalgoE8ElNS0_10empty_typeEbEEZZNS1_14partition_implILS5_8ELb0ES3_jPlPS6_PKS6_NS0_5tupleIJS9_S6_EEENSD_IJSA_SA_EEENS0_18inequality_wrapperIZN2at6native12_GLOBAL__N_124unique_dim_cuda_templateImEESt5tupleIJNSH_6TensorESM_SM_EERKSM_lbbbEUlllE0_EEPmJS6_EEE10hipError_tPvRmT3_T4_T5_T6_T7_T9_mT8_P12ihipStream_tbDpT10_ENKUlT_T0_E_clISt17integral_constantIbLb1EES1B_IbLb0EEEEDaS17_S18_EUlS17_E_NS1_11comp_targetILNS1_3genE5ELNS1_11target_archE942ELNS1_3gpuE9ELNS1_3repE0EEENS1_30default_config_static_selectorELNS0_4arch9wavefront6targetE1EEEvT1_.num_named_barrier, 0
	.set _ZN7rocprim17ROCPRIM_400000_NS6detail17trampoline_kernelINS0_14default_configENS1_25partition_config_selectorILNS1_17partition_subalgoE8ElNS0_10empty_typeEbEEZZNS1_14partition_implILS5_8ELb0ES3_jPlPS6_PKS6_NS0_5tupleIJS9_S6_EEENSD_IJSA_SA_EEENS0_18inequality_wrapperIZN2at6native12_GLOBAL__N_124unique_dim_cuda_templateImEESt5tupleIJNSH_6TensorESM_SM_EERKSM_lbbbEUlllE0_EEPmJS6_EEE10hipError_tPvRmT3_T4_T5_T6_T7_T9_mT8_P12ihipStream_tbDpT10_ENKUlT_T0_E_clISt17integral_constantIbLb1EES1B_IbLb0EEEEDaS17_S18_EUlS17_E_NS1_11comp_targetILNS1_3genE5ELNS1_11target_archE942ELNS1_3gpuE9ELNS1_3repE0EEENS1_30default_config_static_selectorELNS0_4arch9wavefront6targetE1EEEvT1_.private_seg_size, 0
	.set _ZN7rocprim17ROCPRIM_400000_NS6detail17trampoline_kernelINS0_14default_configENS1_25partition_config_selectorILNS1_17partition_subalgoE8ElNS0_10empty_typeEbEEZZNS1_14partition_implILS5_8ELb0ES3_jPlPS6_PKS6_NS0_5tupleIJS9_S6_EEENSD_IJSA_SA_EEENS0_18inequality_wrapperIZN2at6native12_GLOBAL__N_124unique_dim_cuda_templateImEESt5tupleIJNSH_6TensorESM_SM_EERKSM_lbbbEUlllE0_EEPmJS6_EEE10hipError_tPvRmT3_T4_T5_T6_T7_T9_mT8_P12ihipStream_tbDpT10_ENKUlT_T0_E_clISt17integral_constantIbLb1EES1B_IbLb0EEEEDaS17_S18_EUlS17_E_NS1_11comp_targetILNS1_3genE5ELNS1_11target_archE942ELNS1_3gpuE9ELNS1_3repE0EEENS1_30default_config_static_selectorELNS0_4arch9wavefront6targetE1EEEvT1_.uses_vcc, 0
	.set _ZN7rocprim17ROCPRIM_400000_NS6detail17trampoline_kernelINS0_14default_configENS1_25partition_config_selectorILNS1_17partition_subalgoE8ElNS0_10empty_typeEbEEZZNS1_14partition_implILS5_8ELb0ES3_jPlPS6_PKS6_NS0_5tupleIJS9_S6_EEENSD_IJSA_SA_EEENS0_18inequality_wrapperIZN2at6native12_GLOBAL__N_124unique_dim_cuda_templateImEESt5tupleIJNSH_6TensorESM_SM_EERKSM_lbbbEUlllE0_EEPmJS6_EEE10hipError_tPvRmT3_T4_T5_T6_T7_T9_mT8_P12ihipStream_tbDpT10_ENKUlT_T0_E_clISt17integral_constantIbLb1EES1B_IbLb0EEEEDaS17_S18_EUlS17_E_NS1_11comp_targetILNS1_3genE5ELNS1_11target_archE942ELNS1_3gpuE9ELNS1_3repE0EEENS1_30default_config_static_selectorELNS0_4arch9wavefront6targetE1EEEvT1_.uses_flat_scratch, 0
	.set _ZN7rocprim17ROCPRIM_400000_NS6detail17trampoline_kernelINS0_14default_configENS1_25partition_config_selectorILNS1_17partition_subalgoE8ElNS0_10empty_typeEbEEZZNS1_14partition_implILS5_8ELb0ES3_jPlPS6_PKS6_NS0_5tupleIJS9_S6_EEENSD_IJSA_SA_EEENS0_18inequality_wrapperIZN2at6native12_GLOBAL__N_124unique_dim_cuda_templateImEESt5tupleIJNSH_6TensorESM_SM_EERKSM_lbbbEUlllE0_EEPmJS6_EEE10hipError_tPvRmT3_T4_T5_T6_T7_T9_mT8_P12ihipStream_tbDpT10_ENKUlT_T0_E_clISt17integral_constantIbLb1EES1B_IbLb0EEEEDaS17_S18_EUlS17_E_NS1_11comp_targetILNS1_3genE5ELNS1_11target_archE942ELNS1_3gpuE9ELNS1_3repE0EEENS1_30default_config_static_selectorELNS0_4arch9wavefront6targetE1EEEvT1_.has_dyn_sized_stack, 0
	.set _ZN7rocprim17ROCPRIM_400000_NS6detail17trampoline_kernelINS0_14default_configENS1_25partition_config_selectorILNS1_17partition_subalgoE8ElNS0_10empty_typeEbEEZZNS1_14partition_implILS5_8ELb0ES3_jPlPS6_PKS6_NS0_5tupleIJS9_S6_EEENSD_IJSA_SA_EEENS0_18inequality_wrapperIZN2at6native12_GLOBAL__N_124unique_dim_cuda_templateImEESt5tupleIJNSH_6TensorESM_SM_EERKSM_lbbbEUlllE0_EEPmJS6_EEE10hipError_tPvRmT3_T4_T5_T6_T7_T9_mT8_P12ihipStream_tbDpT10_ENKUlT_T0_E_clISt17integral_constantIbLb1EES1B_IbLb0EEEEDaS17_S18_EUlS17_E_NS1_11comp_targetILNS1_3genE5ELNS1_11target_archE942ELNS1_3gpuE9ELNS1_3repE0EEENS1_30default_config_static_selectorELNS0_4arch9wavefront6targetE1EEEvT1_.has_recursion, 0
	.set _ZN7rocprim17ROCPRIM_400000_NS6detail17trampoline_kernelINS0_14default_configENS1_25partition_config_selectorILNS1_17partition_subalgoE8ElNS0_10empty_typeEbEEZZNS1_14partition_implILS5_8ELb0ES3_jPlPS6_PKS6_NS0_5tupleIJS9_S6_EEENSD_IJSA_SA_EEENS0_18inequality_wrapperIZN2at6native12_GLOBAL__N_124unique_dim_cuda_templateImEESt5tupleIJNSH_6TensorESM_SM_EERKSM_lbbbEUlllE0_EEPmJS6_EEE10hipError_tPvRmT3_T4_T5_T6_T7_T9_mT8_P12ihipStream_tbDpT10_ENKUlT_T0_E_clISt17integral_constantIbLb1EES1B_IbLb0EEEEDaS17_S18_EUlS17_E_NS1_11comp_targetILNS1_3genE5ELNS1_11target_archE942ELNS1_3gpuE9ELNS1_3repE0EEENS1_30default_config_static_selectorELNS0_4arch9wavefront6targetE1EEEvT1_.has_indirect_call, 0
	.section	.AMDGPU.csdata,"",@progbits
; Kernel info:
; codeLenInByte = 0
; TotalNumSgprs: 6
; NumVgprs: 0
; NumAgprs: 0
; TotalNumVgprs: 0
; ScratchSize: 0
; MemoryBound: 0
; FloatMode: 240
; IeeeMode: 1
; LDSByteSize: 0 bytes/workgroup (compile time only)
; SGPRBlocks: 0
; VGPRBlocks: 0
; NumSGPRsForWavesPerEU: 6
; NumVGPRsForWavesPerEU: 1
; AccumOffset: 4
; Occupancy: 8
; WaveLimiterHint : 0
; COMPUTE_PGM_RSRC2:SCRATCH_EN: 0
; COMPUTE_PGM_RSRC2:USER_SGPR: 2
; COMPUTE_PGM_RSRC2:TRAP_HANDLER: 0
; COMPUTE_PGM_RSRC2:TGID_X_EN: 1
; COMPUTE_PGM_RSRC2:TGID_Y_EN: 0
; COMPUTE_PGM_RSRC2:TGID_Z_EN: 0
; COMPUTE_PGM_RSRC2:TIDIG_COMP_CNT: 0
; COMPUTE_PGM_RSRC3_GFX90A:ACCUM_OFFSET: 0
; COMPUTE_PGM_RSRC3_GFX90A:TG_SPLIT: 0
	.section	.text._ZN7rocprim17ROCPRIM_400000_NS6detail17trampoline_kernelINS0_14default_configENS1_25partition_config_selectorILNS1_17partition_subalgoE8ElNS0_10empty_typeEbEEZZNS1_14partition_implILS5_8ELb0ES3_jPlPS6_PKS6_NS0_5tupleIJS9_S6_EEENSD_IJSA_SA_EEENS0_18inequality_wrapperIZN2at6native12_GLOBAL__N_124unique_dim_cuda_templateImEESt5tupleIJNSH_6TensorESM_SM_EERKSM_lbbbEUlllE0_EEPmJS6_EEE10hipError_tPvRmT3_T4_T5_T6_T7_T9_mT8_P12ihipStream_tbDpT10_ENKUlT_T0_E_clISt17integral_constantIbLb1EES1B_IbLb0EEEEDaS17_S18_EUlS17_E_NS1_11comp_targetILNS1_3genE4ELNS1_11target_archE910ELNS1_3gpuE8ELNS1_3repE0EEENS1_30default_config_static_selectorELNS0_4arch9wavefront6targetE1EEEvT1_,"axG",@progbits,_ZN7rocprim17ROCPRIM_400000_NS6detail17trampoline_kernelINS0_14default_configENS1_25partition_config_selectorILNS1_17partition_subalgoE8ElNS0_10empty_typeEbEEZZNS1_14partition_implILS5_8ELb0ES3_jPlPS6_PKS6_NS0_5tupleIJS9_S6_EEENSD_IJSA_SA_EEENS0_18inequality_wrapperIZN2at6native12_GLOBAL__N_124unique_dim_cuda_templateImEESt5tupleIJNSH_6TensorESM_SM_EERKSM_lbbbEUlllE0_EEPmJS6_EEE10hipError_tPvRmT3_T4_T5_T6_T7_T9_mT8_P12ihipStream_tbDpT10_ENKUlT_T0_E_clISt17integral_constantIbLb1EES1B_IbLb0EEEEDaS17_S18_EUlS17_E_NS1_11comp_targetILNS1_3genE4ELNS1_11target_archE910ELNS1_3gpuE8ELNS1_3repE0EEENS1_30default_config_static_selectorELNS0_4arch9wavefront6targetE1EEEvT1_,comdat
	.globl	_ZN7rocprim17ROCPRIM_400000_NS6detail17trampoline_kernelINS0_14default_configENS1_25partition_config_selectorILNS1_17partition_subalgoE8ElNS0_10empty_typeEbEEZZNS1_14partition_implILS5_8ELb0ES3_jPlPS6_PKS6_NS0_5tupleIJS9_S6_EEENSD_IJSA_SA_EEENS0_18inequality_wrapperIZN2at6native12_GLOBAL__N_124unique_dim_cuda_templateImEESt5tupleIJNSH_6TensorESM_SM_EERKSM_lbbbEUlllE0_EEPmJS6_EEE10hipError_tPvRmT3_T4_T5_T6_T7_T9_mT8_P12ihipStream_tbDpT10_ENKUlT_T0_E_clISt17integral_constantIbLb1EES1B_IbLb0EEEEDaS17_S18_EUlS17_E_NS1_11comp_targetILNS1_3genE4ELNS1_11target_archE910ELNS1_3gpuE8ELNS1_3repE0EEENS1_30default_config_static_selectorELNS0_4arch9wavefront6targetE1EEEvT1_ ; -- Begin function _ZN7rocprim17ROCPRIM_400000_NS6detail17trampoline_kernelINS0_14default_configENS1_25partition_config_selectorILNS1_17partition_subalgoE8ElNS0_10empty_typeEbEEZZNS1_14partition_implILS5_8ELb0ES3_jPlPS6_PKS6_NS0_5tupleIJS9_S6_EEENSD_IJSA_SA_EEENS0_18inequality_wrapperIZN2at6native12_GLOBAL__N_124unique_dim_cuda_templateImEESt5tupleIJNSH_6TensorESM_SM_EERKSM_lbbbEUlllE0_EEPmJS6_EEE10hipError_tPvRmT3_T4_T5_T6_T7_T9_mT8_P12ihipStream_tbDpT10_ENKUlT_T0_E_clISt17integral_constantIbLb1EES1B_IbLb0EEEEDaS17_S18_EUlS17_E_NS1_11comp_targetILNS1_3genE4ELNS1_11target_archE910ELNS1_3gpuE8ELNS1_3repE0EEENS1_30default_config_static_selectorELNS0_4arch9wavefront6targetE1EEEvT1_
	.p2align	8
	.type	_ZN7rocprim17ROCPRIM_400000_NS6detail17trampoline_kernelINS0_14default_configENS1_25partition_config_selectorILNS1_17partition_subalgoE8ElNS0_10empty_typeEbEEZZNS1_14partition_implILS5_8ELb0ES3_jPlPS6_PKS6_NS0_5tupleIJS9_S6_EEENSD_IJSA_SA_EEENS0_18inequality_wrapperIZN2at6native12_GLOBAL__N_124unique_dim_cuda_templateImEESt5tupleIJNSH_6TensorESM_SM_EERKSM_lbbbEUlllE0_EEPmJS6_EEE10hipError_tPvRmT3_T4_T5_T6_T7_T9_mT8_P12ihipStream_tbDpT10_ENKUlT_T0_E_clISt17integral_constantIbLb1EES1B_IbLb0EEEEDaS17_S18_EUlS17_E_NS1_11comp_targetILNS1_3genE4ELNS1_11target_archE910ELNS1_3gpuE8ELNS1_3repE0EEENS1_30default_config_static_selectorELNS0_4arch9wavefront6targetE1EEEvT1_,@function
_ZN7rocprim17ROCPRIM_400000_NS6detail17trampoline_kernelINS0_14default_configENS1_25partition_config_selectorILNS1_17partition_subalgoE8ElNS0_10empty_typeEbEEZZNS1_14partition_implILS5_8ELb0ES3_jPlPS6_PKS6_NS0_5tupleIJS9_S6_EEENSD_IJSA_SA_EEENS0_18inequality_wrapperIZN2at6native12_GLOBAL__N_124unique_dim_cuda_templateImEESt5tupleIJNSH_6TensorESM_SM_EERKSM_lbbbEUlllE0_EEPmJS6_EEE10hipError_tPvRmT3_T4_T5_T6_T7_T9_mT8_P12ihipStream_tbDpT10_ENKUlT_T0_E_clISt17integral_constantIbLb1EES1B_IbLb0EEEEDaS17_S18_EUlS17_E_NS1_11comp_targetILNS1_3genE4ELNS1_11target_archE910ELNS1_3gpuE8ELNS1_3repE0EEENS1_30default_config_static_selectorELNS0_4arch9wavefront6targetE1EEEvT1_: ; @_ZN7rocprim17ROCPRIM_400000_NS6detail17trampoline_kernelINS0_14default_configENS1_25partition_config_selectorILNS1_17partition_subalgoE8ElNS0_10empty_typeEbEEZZNS1_14partition_implILS5_8ELb0ES3_jPlPS6_PKS6_NS0_5tupleIJS9_S6_EEENSD_IJSA_SA_EEENS0_18inequality_wrapperIZN2at6native12_GLOBAL__N_124unique_dim_cuda_templateImEESt5tupleIJNSH_6TensorESM_SM_EERKSM_lbbbEUlllE0_EEPmJS6_EEE10hipError_tPvRmT3_T4_T5_T6_T7_T9_mT8_P12ihipStream_tbDpT10_ENKUlT_T0_E_clISt17integral_constantIbLb1EES1B_IbLb0EEEEDaS17_S18_EUlS17_E_NS1_11comp_targetILNS1_3genE4ELNS1_11target_archE910ELNS1_3gpuE8ELNS1_3repE0EEENS1_30default_config_static_selectorELNS0_4arch9wavefront6targetE1EEEvT1_
; %bb.0:
	.section	.rodata,"a",@progbits
	.p2align	6, 0x0
	.amdhsa_kernel _ZN7rocprim17ROCPRIM_400000_NS6detail17trampoline_kernelINS0_14default_configENS1_25partition_config_selectorILNS1_17partition_subalgoE8ElNS0_10empty_typeEbEEZZNS1_14partition_implILS5_8ELb0ES3_jPlPS6_PKS6_NS0_5tupleIJS9_S6_EEENSD_IJSA_SA_EEENS0_18inequality_wrapperIZN2at6native12_GLOBAL__N_124unique_dim_cuda_templateImEESt5tupleIJNSH_6TensorESM_SM_EERKSM_lbbbEUlllE0_EEPmJS6_EEE10hipError_tPvRmT3_T4_T5_T6_T7_T9_mT8_P12ihipStream_tbDpT10_ENKUlT_T0_E_clISt17integral_constantIbLb1EES1B_IbLb0EEEEDaS17_S18_EUlS17_E_NS1_11comp_targetILNS1_3genE4ELNS1_11target_archE910ELNS1_3gpuE8ELNS1_3repE0EEENS1_30default_config_static_selectorELNS0_4arch9wavefront6targetE1EEEvT1_
		.amdhsa_group_segment_fixed_size 0
		.amdhsa_private_segment_fixed_size 0
		.amdhsa_kernarg_size 120
		.amdhsa_user_sgpr_count 2
		.amdhsa_user_sgpr_dispatch_ptr 0
		.amdhsa_user_sgpr_queue_ptr 0
		.amdhsa_user_sgpr_kernarg_segment_ptr 1
		.amdhsa_user_sgpr_dispatch_id 0
		.amdhsa_user_sgpr_kernarg_preload_length 0
		.amdhsa_user_sgpr_kernarg_preload_offset 0
		.amdhsa_user_sgpr_private_segment_size 0
		.amdhsa_uses_dynamic_stack 0
		.amdhsa_enable_private_segment 0
		.amdhsa_system_sgpr_workgroup_id_x 1
		.amdhsa_system_sgpr_workgroup_id_y 0
		.amdhsa_system_sgpr_workgroup_id_z 0
		.amdhsa_system_sgpr_workgroup_info 0
		.amdhsa_system_vgpr_workitem_id 0
		.amdhsa_next_free_vgpr 1
		.amdhsa_next_free_sgpr 0
		.amdhsa_accum_offset 4
		.amdhsa_reserve_vcc 0
		.amdhsa_float_round_mode_32 0
		.amdhsa_float_round_mode_16_64 0
		.amdhsa_float_denorm_mode_32 3
		.amdhsa_float_denorm_mode_16_64 3
		.amdhsa_dx10_clamp 1
		.amdhsa_ieee_mode 1
		.amdhsa_fp16_overflow 0
		.amdhsa_tg_split 0
		.amdhsa_exception_fp_ieee_invalid_op 0
		.amdhsa_exception_fp_denorm_src 0
		.amdhsa_exception_fp_ieee_div_zero 0
		.amdhsa_exception_fp_ieee_overflow 0
		.amdhsa_exception_fp_ieee_underflow 0
		.amdhsa_exception_fp_ieee_inexact 0
		.amdhsa_exception_int_div_zero 0
	.end_amdhsa_kernel
	.section	.text._ZN7rocprim17ROCPRIM_400000_NS6detail17trampoline_kernelINS0_14default_configENS1_25partition_config_selectorILNS1_17partition_subalgoE8ElNS0_10empty_typeEbEEZZNS1_14partition_implILS5_8ELb0ES3_jPlPS6_PKS6_NS0_5tupleIJS9_S6_EEENSD_IJSA_SA_EEENS0_18inequality_wrapperIZN2at6native12_GLOBAL__N_124unique_dim_cuda_templateImEESt5tupleIJNSH_6TensorESM_SM_EERKSM_lbbbEUlllE0_EEPmJS6_EEE10hipError_tPvRmT3_T4_T5_T6_T7_T9_mT8_P12ihipStream_tbDpT10_ENKUlT_T0_E_clISt17integral_constantIbLb1EES1B_IbLb0EEEEDaS17_S18_EUlS17_E_NS1_11comp_targetILNS1_3genE4ELNS1_11target_archE910ELNS1_3gpuE8ELNS1_3repE0EEENS1_30default_config_static_selectorELNS0_4arch9wavefront6targetE1EEEvT1_,"axG",@progbits,_ZN7rocprim17ROCPRIM_400000_NS6detail17trampoline_kernelINS0_14default_configENS1_25partition_config_selectorILNS1_17partition_subalgoE8ElNS0_10empty_typeEbEEZZNS1_14partition_implILS5_8ELb0ES3_jPlPS6_PKS6_NS0_5tupleIJS9_S6_EEENSD_IJSA_SA_EEENS0_18inequality_wrapperIZN2at6native12_GLOBAL__N_124unique_dim_cuda_templateImEESt5tupleIJNSH_6TensorESM_SM_EERKSM_lbbbEUlllE0_EEPmJS6_EEE10hipError_tPvRmT3_T4_T5_T6_T7_T9_mT8_P12ihipStream_tbDpT10_ENKUlT_T0_E_clISt17integral_constantIbLb1EES1B_IbLb0EEEEDaS17_S18_EUlS17_E_NS1_11comp_targetILNS1_3genE4ELNS1_11target_archE910ELNS1_3gpuE8ELNS1_3repE0EEENS1_30default_config_static_selectorELNS0_4arch9wavefront6targetE1EEEvT1_,comdat
.Lfunc_end1681:
	.size	_ZN7rocprim17ROCPRIM_400000_NS6detail17trampoline_kernelINS0_14default_configENS1_25partition_config_selectorILNS1_17partition_subalgoE8ElNS0_10empty_typeEbEEZZNS1_14partition_implILS5_8ELb0ES3_jPlPS6_PKS6_NS0_5tupleIJS9_S6_EEENSD_IJSA_SA_EEENS0_18inequality_wrapperIZN2at6native12_GLOBAL__N_124unique_dim_cuda_templateImEESt5tupleIJNSH_6TensorESM_SM_EERKSM_lbbbEUlllE0_EEPmJS6_EEE10hipError_tPvRmT3_T4_T5_T6_T7_T9_mT8_P12ihipStream_tbDpT10_ENKUlT_T0_E_clISt17integral_constantIbLb1EES1B_IbLb0EEEEDaS17_S18_EUlS17_E_NS1_11comp_targetILNS1_3genE4ELNS1_11target_archE910ELNS1_3gpuE8ELNS1_3repE0EEENS1_30default_config_static_selectorELNS0_4arch9wavefront6targetE1EEEvT1_, .Lfunc_end1681-_ZN7rocprim17ROCPRIM_400000_NS6detail17trampoline_kernelINS0_14default_configENS1_25partition_config_selectorILNS1_17partition_subalgoE8ElNS0_10empty_typeEbEEZZNS1_14partition_implILS5_8ELb0ES3_jPlPS6_PKS6_NS0_5tupleIJS9_S6_EEENSD_IJSA_SA_EEENS0_18inequality_wrapperIZN2at6native12_GLOBAL__N_124unique_dim_cuda_templateImEESt5tupleIJNSH_6TensorESM_SM_EERKSM_lbbbEUlllE0_EEPmJS6_EEE10hipError_tPvRmT3_T4_T5_T6_T7_T9_mT8_P12ihipStream_tbDpT10_ENKUlT_T0_E_clISt17integral_constantIbLb1EES1B_IbLb0EEEEDaS17_S18_EUlS17_E_NS1_11comp_targetILNS1_3genE4ELNS1_11target_archE910ELNS1_3gpuE8ELNS1_3repE0EEENS1_30default_config_static_selectorELNS0_4arch9wavefront6targetE1EEEvT1_
                                        ; -- End function
	.set _ZN7rocprim17ROCPRIM_400000_NS6detail17trampoline_kernelINS0_14default_configENS1_25partition_config_selectorILNS1_17partition_subalgoE8ElNS0_10empty_typeEbEEZZNS1_14partition_implILS5_8ELb0ES3_jPlPS6_PKS6_NS0_5tupleIJS9_S6_EEENSD_IJSA_SA_EEENS0_18inequality_wrapperIZN2at6native12_GLOBAL__N_124unique_dim_cuda_templateImEESt5tupleIJNSH_6TensorESM_SM_EERKSM_lbbbEUlllE0_EEPmJS6_EEE10hipError_tPvRmT3_T4_T5_T6_T7_T9_mT8_P12ihipStream_tbDpT10_ENKUlT_T0_E_clISt17integral_constantIbLb1EES1B_IbLb0EEEEDaS17_S18_EUlS17_E_NS1_11comp_targetILNS1_3genE4ELNS1_11target_archE910ELNS1_3gpuE8ELNS1_3repE0EEENS1_30default_config_static_selectorELNS0_4arch9wavefront6targetE1EEEvT1_.num_vgpr, 0
	.set _ZN7rocprim17ROCPRIM_400000_NS6detail17trampoline_kernelINS0_14default_configENS1_25partition_config_selectorILNS1_17partition_subalgoE8ElNS0_10empty_typeEbEEZZNS1_14partition_implILS5_8ELb0ES3_jPlPS6_PKS6_NS0_5tupleIJS9_S6_EEENSD_IJSA_SA_EEENS0_18inequality_wrapperIZN2at6native12_GLOBAL__N_124unique_dim_cuda_templateImEESt5tupleIJNSH_6TensorESM_SM_EERKSM_lbbbEUlllE0_EEPmJS6_EEE10hipError_tPvRmT3_T4_T5_T6_T7_T9_mT8_P12ihipStream_tbDpT10_ENKUlT_T0_E_clISt17integral_constantIbLb1EES1B_IbLb0EEEEDaS17_S18_EUlS17_E_NS1_11comp_targetILNS1_3genE4ELNS1_11target_archE910ELNS1_3gpuE8ELNS1_3repE0EEENS1_30default_config_static_selectorELNS0_4arch9wavefront6targetE1EEEvT1_.num_agpr, 0
	.set _ZN7rocprim17ROCPRIM_400000_NS6detail17trampoline_kernelINS0_14default_configENS1_25partition_config_selectorILNS1_17partition_subalgoE8ElNS0_10empty_typeEbEEZZNS1_14partition_implILS5_8ELb0ES3_jPlPS6_PKS6_NS0_5tupleIJS9_S6_EEENSD_IJSA_SA_EEENS0_18inequality_wrapperIZN2at6native12_GLOBAL__N_124unique_dim_cuda_templateImEESt5tupleIJNSH_6TensorESM_SM_EERKSM_lbbbEUlllE0_EEPmJS6_EEE10hipError_tPvRmT3_T4_T5_T6_T7_T9_mT8_P12ihipStream_tbDpT10_ENKUlT_T0_E_clISt17integral_constantIbLb1EES1B_IbLb0EEEEDaS17_S18_EUlS17_E_NS1_11comp_targetILNS1_3genE4ELNS1_11target_archE910ELNS1_3gpuE8ELNS1_3repE0EEENS1_30default_config_static_selectorELNS0_4arch9wavefront6targetE1EEEvT1_.numbered_sgpr, 0
	.set _ZN7rocprim17ROCPRIM_400000_NS6detail17trampoline_kernelINS0_14default_configENS1_25partition_config_selectorILNS1_17partition_subalgoE8ElNS0_10empty_typeEbEEZZNS1_14partition_implILS5_8ELb0ES3_jPlPS6_PKS6_NS0_5tupleIJS9_S6_EEENSD_IJSA_SA_EEENS0_18inequality_wrapperIZN2at6native12_GLOBAL__N_124unique_dim_cuda_templateImEESt5tupleIJNSH_6TensorESM_SM_EERKSM_lbbbEUlllE0_EEPmJS6_EEE10hipError_tPvRmT3_T4_T5_T6_T7_T9_mT8_P12ihipStream_tbDpT10_ENKUlT_T0_E_clISt17integral_constantIbLb1EES1B_IbLb0EEEEDaS17_S18_EUlS17_E_NS1_11comp_targetILNS1_3genE4ELNS1_11target_archE910ELNS1_3gpuE8ELNS1_3repE0EEENS1_30default_config_static_selectorELNS0_4arch9wavefront6targetE1EEEvT1_.num_named_barrier, 0
	.set _ZN7rocprim17ROCPRIM_400000_NS6detail17trampoline_kernelINS0_14default_configENS1_25partition_config_selectorILNS1_17partition_subalgoE8ElNS0_10empty_typeEbEEZZNS1_14partition_implILS5_8ELb0ES3_jPlPS6_PKS6_NS0_5tupleIJS9_S6_EEENSD_IJSA_SA_EEENS0_18inequality_wrapperIZN2at6native12_GLOBAL__N_124unique_dim_cuda_templateImEESt5tupleIJNSH_6TensorESM_SM_EERKSM_lbbbEUlllE0_EEPmJS6_EEE10hipError_tPvRmT3_T4_T5_T6_T7_T9_mT8_P12ihipStream_tbDpT10_ENKUlT_T0_E_clISt17integral_constantIbLb1EES1B_IbLb0EEEEDaS17_S18_EUlS17_E_NS1_11comp_targetILNS1_3genE4ELNS1_11target_archE910ELNS1_3gpuE8ELNS1_3repE0EEENS1_30default_config_static_selectorELNS0_4arch9wavefront6targetE1EEEvT1_.private_seg_size, 0
	.set _ZN7rocprim17ROCPRIM_400000_NS6detail17trampoline_kernelINS0_14default_configENS1_25partition_config_selectorILNS1_17partition_subalgoE8ElNS0_10empty_typeEbEEZZNS1_14partition_implILS5_8ELb0ES3_jPlPS6_PKS6_NS0_5tupleIJS9_S6_EEENSD_IJSA_SA_EEENS0_18inequality_wrapperIZN2at6native12_GLOBAL__N_124unique_dim_cuda_templateImEESt5tupleIJNSH_6TensorESM_SM_EERKSM_lbbbEUlllE0_EEPmJS6_EEE10hipError_tPvRmT3_T4_T5_T6_T7_T9_mT8_P12ihipStream_tbDpT10_ENKUlT_T0_E_clISt17integral_constantIbLb1EES1B_IbLb0EEEEDaS17_S18_EUlS17_E_NS1_11comp_targetILNS1_3genE4ELNS1_11target_archE910ELNS1_3gpuE8ELNS1_3repE0EEENS1_30default_config_static_selectorELNS0_4arch9wavefront6targetE1EEEvT1_.uses_vcc, 0
	.set _ZN7rocprim17ROCPRIM_400000_NS6detail17trampoline_kernelINS0_14default_configENS1_25partition_config_selectorILNS1_17partition_subalgoE8ElNS0_10empty_typeEbEEZZNS1_14partition_implILS5_8ELb0ES3_jPlPS6_PKS6_NS0_5tupleIJS9_S6_EEENSD_IJSA_SA_EEENS0_18inequality_wrapperIZN2at6native12_GLOBAL__N_124unique_dim_cuda_templateImEESt5tupleIJNSH_6TensorESM_SM_EERKSM_lbbbEUlllE0_EEPmJS6_EEE10hipError_tPvRmT3_T4_T5_T6_T7_T9_mT8_P12ihipStream_tbDpT10_ENKUlT_T0_E_clISt17integral_constantIbLb1EES1B_IbLb0EEEEDaS17_S18_EUlS17_E_NS1_11comp_targetILNS1_3genE4ELNS1_11target_archE910ELNS1_3gpuE8ELNS1_3repE0EEENS1_30default_config_static_selectorELNS0_4arch9wavefront6targetE1EEEvT1_.uses_flat_scratch, 0
	.set _ZN7rocprim17ROCPRIM_400000_NS6detail17trampoline_kernelINS0_14default_configENS1_25partition_config_selectorILNS1_17partition_subalgoE8ElNS0_10empty_typeEbEEZZNS1_14partition_implILS5_8ELb0ES3_jPlPS6_PKS6_NS0_5tupleIJS9_S6_EEENSD_IJSA_SA_EEENS0_18inequality_wrapperIZN2at6native12_GLOBAL__N_124unique_dim_cuda_templateImEESt5tupleIJNSH_6TensorESM_SM_EERKSM_lbbbEUlllE0_EEPmJS6_EEE10hipError_tPvRmT3_T4_T5_T6_T7_T9_mT8_P12ihipStream_tbDpT10_ENKUlT_T0_E_clISt17integral_constantIbLb1EES1B_IbLb0EEEEDaS17_S18_EUlS17_E_NS1_11comp_targetILNS1_3genE4ELNS1_11target_archE910ELNS1_3gpuE8ELNS1_3repE0EEENS1_30default_config_static_selectorELNS0_4arch9wavefront6targetE1EEEvT1_.has_dyn_sized_stack, 0
	.set _ZN7rocprim17ROCPRIM_400000_NS6detail17trampoline_kernelINS0_14default_configENS1_25partition_config_selectorILNS1_17partition_subalgoE8ElNS0_10empty_typeEbEEZZNS1_14partition_implILS5_8ELb0ES3_jPlPS6_PKS6_NS0_5tupleIJS9_S6_EEENSD_IJSA_SA_EEENS0_18inequality_wrapperIZN2at6native12_GLOBAL__N_124unique_dim_cuda_templateImEESt5tupleIJNSH_6TensorESM_SM_EERKSM_lbbbEUlllE0_EEPmJS6_EEE10hipError_tPvRmT3_T4_T5_T6_T7_T9_mT8_P12ihipStream_tbDpT10_ENKUlT_T0_E_clISt17integral_constantIbLb1EES1B_IbLb0EEEEDaS17_S18_EUlS17_E_NS1_11comp_targetILNS1_3genE4ELNS1_11target_archE910ELNS1_3gpuE8ELNS1_3repE0EEENS1_30default_config_static_selectorELNS0_4arch9wavefront6targetE1EEEvT1_.has_recursion, 0
	.set _ZN7rocprim17ROCPRIM_400000_NS6detail17trampoline_kernelINS0_14default_configENS1_25partition_config_selectorILNS1_17partition_subalgoE8ElNS0_10empty_typeEbEEZZNS1_14partition_implILS5_8ELb0ES3_jPlPS6_PKS6_NS0_5tupleIJS9_S6_EEENSD_IJSA_SA_EEENS0_18inequality_wrapperIZN2at6native12_GLOBAL__N_124unique_dim_cuda_templateImEESt5tupleIJNSH_6TensorESM_SM_EERKSM_lbbbEUlllE0_EEPmJS6_EEE10hipError_tPvRmT3_T4_T5_T6_T7_T9_mT8_P12ihipStream_tbDpT10_ENKUlT_T0_E_clISt17integral_constantIbLb1EES1B_IbLb0EEEEDaS17_S18_EUlS17_E_NS1_11comp_targetILNS1_3genE4ELNS1_11target_archE910ELNS1_3gpuE8ELNS1_3repE0EEENS1_30default_config_static_selectorELNS0_4arch9wavefront6targetE1EEEvT1_.has_indirect_call, 0
	.section	.AMDGPU.csdata,"",@progbits
; Kernel info:
; codeLenInByte = 0
; TotalNumSgprs: 6
; NumVgprs: 0
; NumAgprs: 0
; TotalNumVgprs: 0
; ScratchSize: 0
; MemoryBound: 0
; FloatMode: 240
; IeeeMode: 1
; LDSByteSize: 0 bytes/workgroup (compile time only)
; SGPRBlocks: 0
; VGPRBlocks: 0
; NumSGPRsForWavesPerEU: 6
; NumVGPRsForWavesPerEU: 1
; AccumOffset: 4
; Occupancy: 8
; WaveLimiterHint : 0
; COMPUTE_PGM_RSRC2:SCRATCH_EN: 0
; COMPUTE_PGM_RSRC2:USER_SGPR: 2
; COMPUTE_PGM_RSRC2:TRAP_HANDLER: 0
; COMPUTE_PGM_RSRC2:TGID_X_EN: 1
; COMPUTE_PGM_RSRC2:TGID_Y_EN: 0
; COMPUTE_PGM_RSRC2:TGID_Z_EN: 0
; COMPUTE_PGM_RSRC2:TIDIG_COMP_CNT: 0
; COMPUTE_PGM_RSRC3_GFX90A:ACCUM_OFFSET: 0
; COMPUTE_PGM_RSRC3_GFX90A:TG_SPLIT: 0
	.section	.text._ZN7rocprim17ROCPRIM_400000_NS6detail17trampoline_kernelINS0_14default_configENS1_25partition_config_selectorILNS1_17partition_subalgoE8ElNS0_10empty_typeEbEEZZNS1_14partition_implILS5_8ELb0ES3_jPlPS6_PKS6_NS0_5tupleIJS9_S6_EEENSD_IJSA_SA_EEENS0_18inequality_wrapperIZN2at6native12_GLOBAL__N_124unique_dim_cuda_templateImEESt5tupleIJNSH_6TensorESM_SM_EERKSM_lbbbEUlllE0_EEPmJS6_EEE10hipError_tPvRmT3_T4_T5_T6_T7_T9_mT8_P12ihipStream_tbDpT10_ENKUlT_T0_E_clISt17integral_constantIbLb1EES1B_IbLb0EEEEDaS17_S18_EUlS17_E_NS1_11comp_targetILNS1_3genE3ELNS1_11target_archE908ELNS1_3gpuE7ELNS1_3repE0EEENS1_30default_config_static_selectorELNS0_4arch9wavefront6targetE1EEEvT1_,"axG",@progbits,_ZN7rocprim17ROCPRIM_400000_NS6detail17trampoline_kernelINS0_14default_configENS1_25partition_config_selectorILNS1_17partition_subalgoE8ElNS0_10empty_typeEbEEZZNS1_14partition_implILS5_8ELb0ES3_jPlPS6_PKS6_NS0_5tupleIJS9_S6_EEENSD_IJSA_SA_EEENS0_18inequality_wrapperIZN2at6native12_GLOBAL__N_124unique_dim_cuda_templateImEESt5tupleIJNSH_6TensorESM_SM_EERKSM_lbbbEUlllE0_EEPmJS6_EEE10hipError_tPvRmT3_T4_T5_T6_T7_T9_mT8_P12ihipStream_tbDpT10_ENKUlT_T0_E_clISt17integral_constantIbLb1EES1B_IbLb0EEEEDaS17_S18_EUlS17_E_NS1_11comp_targetILNS1_3genE3ELNS1_11target_archE908ELNS1_3gpuE7ELNS1_3repE0EEENS1_30default_config_static_selectorELNS0_4arch9wavefront6targetE1EEEvT1_,comdat
	.globl	_ZN7rocprim17ROCPRIM_400000_NS6detail17trampoline_kernelINS0_14default_configENS1_25partition_config_selectorILNS1_17partition_subalgoE8ElNS0_10empty_typeEbEEZZNS1_14partition_implILS5_8ELb0ES3_jPlPS6_PKS6_NS0_5tupleIJS9_S6_EEENSD_IJSA_SA_EEENS0_18inequality_wrapperIZN2at6native12_GLOBAL__N_124unique_dim_cuda_templateImEESt5tupleIJNSH_6TensorESM_SM_EERKSM_lbbbEUlllE0_EEPmJS6_EEE10hipError_tPvRmT3_T4_T5_T6_T7_T9_mT8_P12ihipStream_tbDpT10_ENKUlT_T0_E_clISt17integral_constantIbLb1EES1B_IbLb0EEEEDaS17_S18_EUlS17_E_NS1_11comp_targetILNS1_3genE3ELNS1_11target_archE908ELNS1_3gpuE7ELNS1_3repE0EEENS1_30default_config_static_selectorELNS0_4arch9wavefront6targetE1EEEvT1_ ; -- Begin function _ZN7rocprim17ROCPRIM_400000_NS6detail17trampoline_kernelINS0_14default_configENS1_25partition_config_selectorILNS1_17partition_subalgoE8ElNS0_10empty_typeEbEEZZNS1_14partition_implILS5_8ELb0ES3_jPlPS6_PKS6_NS0_5tupleIJS9_S6_EEENSD_IJSA_SA_EEENS0_18inequality_wrapperIZN2at6native12_GLOBAL__N_124unique_dim_cuda_templateImEESt5tupleIJNSH_6TensorESM_SM_EERKSM_lbbbEUlllE0_EEPmJS6_EEE10hipError_tPvRmT3_T4_T5_T6_T7_T9_mT8_P12ihipStream_tbDpT10_ENKUlT_T0_E_clISt17integral_constantIbLb1EES1B_IbLb0EEEEDaS17_S18_EUlS17_E_NS1_11comp_targetILNS1_3genE3ELNS1_11target_archE908ELNS1_3gpuE7ELNS1_3repE0EEENS1_30default_config_static_selectorELNS0_4arch9wavefront6targetE1EEEvT1_
	.p2align	8
	.type	_ZN7rocprim17ROCPRIM_400000_NS6detail17trampoline_kernelINS0_14default_configENS1_25partition_config_selectorILNS1_17partition_subalgoE8ElNS0_10empty_typeEbEEZZNS1_14partition_implILS5_8ELb0ES3_jPlPS6_PKS6_NS0_5tupleIJS9_S6_EEENSD_IJSA_SA_EEENS0_18inequality_wrapperIZN2at6native12_GLOBAL__N_124unique_dim_cuda_templateImEESt5tupleIJNSH_6TensorESM_SM_EERKSM_lbbbEUlllE0_EEPmJS6_EEE10hipError_tPvRmT3_T4_T5_T6_T7_T9_mT8_P12ihipStream_tbDpT10_ENKUlT_T0_E_clISt17integral_constantIbLb1EES1B_IbLb0EEEEDaS17_S18_EUlS17_E_NS1_11comp_targetILNS1_3genE3ELNS1_11target_archE908ELNS1_3gpuE7ELNS1_3repE0EEENS1_30default_config_static_selectorELNS0_4arch9wavefront6targetE1EEEvT1_,@function
_ZN7rocprim17ROCPRIM_400000_NS6detail17trampoline_kernelINS0_14default_configENS1_25partition_config_selectorILNS1_17partition_subalgoE8ElNS0_10empty_typeEbEEZZNS1_14partition_implILS5_8ELb0ES3_jPlPS6_PKS6_NS0_5tupleIJS9_S6_EEENSD_IJSA_SA_EEENS0_18inequality_wrapperIZN2at6native12_GLOBAL__N_124unique_dim_cuda_templateImEESt5tupleIJNSH_6TensorESM_SM_EERKSM_lbbbEUlllE0_EEPmJS6_EEE10hipError_tPvRmT3_T4_T5_T6_T7_T9_mT8_P12ihipStream_tbDpT10_ENKUlT_T0_E_clISt17integral_constantIbLb1EES1B_IbLb0EEEEDaS17_S18_EUlS17_E_NS1_11comp_targetILNS1_3genE3ELNS1_11target_archE908ELNS1_3gpuE7ELNS1_3repE0EEENS1_30default_config_static_selectorELNS0_4arch9wavefront6targetE1EEEvT1_: ; @_ZN7rocprim17ROCPRIM_400000_NS6detail17trampoline_kernelINS0_14default_configENS1_25partition_config_selectorILNS1_17partition_subalgoE8ElNS0_10empty_typeEbEEZZNS1_14partition_implILS5_8ELb0ES3_jPlPS6_PKS6_NS0_5tupleIJS9_S6_EEENSD_IJSA_SA_EEENS0_18inequality_wrapperIZN2at6native12_GLOBAL__N_124unique_dim_cuda_templateImEESt5tupleIJNSH_6TensorESM_SM_EERKSM_lbbbEUlllE0_EEPmJS6_EEE10hipError_tPvRmT3_T4_T5_T6_T7_T9_mT8_P12ihipStream_tbDpT10_ENKUlT_T0_E_clISt17integral_constantIbLb1EES1B_IbLb0EEEEDaS17_S18_EUlS17_E_NS1_11comp_targetILNS1_3genE3ELNS1_11target_archE908ELNS1_3gpuE7ELNS1_3repE0EEENS1_30default_config_static_selectorELNS0_4arch9wavefront6targetE1EEEvT1_
; %bb.0:
	.section	.rodata,"a",@progbits
	.p2align	6, 0x0
	.amdhsa_kernel _ZN7rocprim17ROCPRIM_400000_NS6detail17trampoline_kernelINS0_14default_configENS1_25partition_config_selectorILNS1_17partition_subalgoE8ElNS0_10empty_typeEbEEZZNS1_14partition_implILS5_8ELb0ES3_jPlPS6_PKS6_NS0_5tupleIJS9_S6_EEENSD_IJSA_SA_EEENS0_18inequality_wrapperIZN2at6native12_GLOBAL__N_124unique_dim_cuda_templateImEESt5tupleIJNSH_6TensorESM_SM_EERKSM_lbbbEUlllE0_EEPmJS6_EEE10hipError_tPvRmT3_T4_T5_T6_T7_T9_mT8_P12ihipStream_tbDpT10_ENKUlT_T0_E_clISt17integral_constantIbLb1EES1B_IbLb0EEEEDaS17_S18_EUlS17_E_NS1_11comp_targetILNS1_3genE3ELNS1_11target_archE908ELNS1_3gpuE7ELNS1_3repE0EEENS1_30default_config_static_selectorELNS0_4arch9wavefront6targetE1EEEvT1_
		.amdhsa_group_segment_fixed_size 0
		.amdhsa_private_segment_fixed_size 0
		.amdhsa_kernarg_size 120
		.amdhsa_user_sgpr_count 2
		.amdhsa_user_sgpr_dispatch_ptr 0
		.amdhsa_user_sgpr_queue_ptr 0
		.amdhsa_user_sgpr_kernarg_segment_ptr 1
		.amdhsa_user_sgpr_dispatch_id 0
		.amdhsa_user_sgpr_kernarg_preload_length 0
		.amdhsa_user_sgpr_kernarg_preload_offset 0
		.amdhsa_user_sgpr_private_segment_size 0
		.amdhsa_uses_dynamic_stack 0
		.amdhsa_enable_private_segment 0
		.amdhsa_system_sgpr_workgroup_id_x 1
		.amdhsa_system_sgpr_workgroup_id_y 0
		.amdhsa_system_sgpr_workgroup_id_z 0
		.amdhsa_system_sgpr_workgroup_info 0
		.amdhsa_system_vgpr_workitem_id 0
		.amdhsa_next_free_vgpr 1
		.amdhsa_next_free_sgpr 0
		.amdhsa_accum_offset 4
		.amdhsa_reserve_vcc 0
		.amdhsa_float_round_mode_32 0
		.amdhsa_float_round_mode_16_64 0
		.amdhsa_float_denorm_mode_32 3
		.amdhsa_float_denorm_mode_16_64 3
		.amdhsa_dx10_clamp 1
		.amdhsa_ieee_mode 1
		.amdhsa_fp16_overflow 0
		.amdhsa_tg_split 0
		.amdhsa_exception_fp_ieee_invalid_op 0
		.amdhsa_exception_fp_denorm_src 0
		.amdhsa_exception_fp_ieee_div_zero 0
		.amdhsa_exception_fp_ieee_overflow 0
		.amdhsa_exception_fp_ieee_underflow 0
		.amdhsa_exception_fp_ieee_inexact 0
		.amdhsa_exception_int_div_zero 0
	.end_amdhsa_kernel
	.section	.text._ZN7rocprim17ROCPRIM_400000_NS6detail17trampoline_kernelINS0_14default_configENS1_25partition_config_selectorILNS1_17partition_subalgoE8ElNS0_10empty_typeEbEEZZNS1_14partition_implILS5_8ELb0ES3_jPlPS6_PKS6_NS0_5tupleIJS9_S6_EEENSD_IJSA_SA_EEENS0_18inequality_wrapperIZN2at6native12_GLOBAL__N_124unique_dim_cuda_templateImEESt5tupleIJNSH_6TensorESM_SM_EERKSM_lbbbEUlllE0_EEPmJS6_EEE10hipError_tPvRmT3_T4_T5_T6_T7_T9_mT8_P12ihipStream_tbDpT10_ENKUlT_T0_E_clISt17integral_constantIbLb1EES1B_IbLb0EEEEDaS17_S18_EUlS17_E_NS1_11comp_targetILNS1_3genE3ELNS1_11target_archE908ELNS1_3gpuE7ELNS1_3repE0EEENS1_30default_config_static_selectorELNS0_4arch9wavefront6targetE1EEEvT1_,"axG",@progbits,_ZN7rocprim17ROCPRIM_400000_NS6detail17trampoline_kernelINS0_14default_configENS1_25partition_config_selectorILNS1_17partition_subalgoE8ElNS0_10empty_typeEbEEZZNS1_14partition_implILS5_8ELb0ES3_jPlPS6_PKS6_NS0_5tupleIJS9_S6_EEENSD_IJSA_SA_EEENS0_18inequality_wrapperIZN2at6native12_GLOBAL__N_124unique_dim_cuda_templateImEESt5tupleIJNSH_6TensorESM_SM_EERKSM_lbbbEUlllE0_EEPmJS6_EEE10hipError_tPvRmT3_T4_T5_T6_T7_T9_mT8_P12ihipStream_tbDpT10_ENKUlT_T0_E_clISt17integral_constantIbLb1EES1B_IbLb0EEEEDaS17_S18_EUlS17_E_NS1_11comp_targetILNS1_3genE3ELNS1_11target_archE908ELNS1_3gpuE7ELNS1_3repE0EEENS1_30default_config_static_selectorELNS0_4arch9wavefront6targetE1EEEvT1_,comdat
.Lfunc_end1682:
	.size	_ZN7rocprim17ROCPRIM_400000_NS6detail17trampoline_kernelINS0_14default_configENS1_25partition_config_selectorILNS1_17partition_subalgoE8ElNS0_10empty_typeEbEEZZNS1_14partition_implILS5_8ELb0ES3_jPlPS6_PKS6_NS0_5tupleIJS9_S6_EEENSD_IJSA_SA_EEENS0_18inequality_wrapperIZN2at6native12_GLOBAL__N_124unique_dim_cuda_templateImEESt5tupleIJNSH_6TensorESM_SM_EERKSM_lbbbEUlllE0_EEPmJS6_EEE10hipError_tPvRmT3_T4_T5_T6_T7_T9_mT8_P12ihipStream_tbDpT10_ENKUlT_T0_E_clISt17integral_constantIbLb1EES1B_IbLb0EEEEDaS17_S18_EUlS17_E_NS1_11comp_targetILNS1_3genE3ELNS1_11target_archE908ELNS1_3gpuE7ELNS1_3repE0EEENS1_30default_config_static_selectorELNS0_4arch9wavefront6targetE1EEEvT1_, .Lfunc_end1682-_ZN7rocprim17ROCPRIM_400000_NS6detail17trampoline_kernelINS0_14default_configENS1_25partition_config_selectorILNS1_17partition_subalgoE8ElNS0_10empty_typeEbEEZZNS1_14partition_implILS5_8ELb0ES3_jPlPS6_PKS6_NS0_5tupleIJS9_S6_EEENSD_IJSA_SA_EEENS0_18inequality_wrapperIZN2at6native12_GLOBAL__N_124unique_dim_cuda_templateImEESt5tupleIJNSH_6TensorESM_SM_EERKSM_lbbbEUlllE0_EEPmJS6_EEE10hipError_tPvRmT3_T4_T5_T6_T7_T9_mT8_P12ihipStream_tbDpT10_ENKUlT_T0_E_clISt17integral_constantIbLb1EES1B_IbLb0EEEEDaS17_S18_EUlS17_E_NS1_11comp_targetILNS1_3genE3ELNS1_11target_archE908ELNS1_3gpuE7ELNS1_3repE0EEENS1_30default_config_static_selectorELNS0_4arch9wavefront6targetE1EEEvT1_
                                        ; -- End function
	.set _ZN7rocprim17ROCPRIM_400000_NS6detail17trampoline_kernelINS0_14default_configENS1_25partition_config_selectorILNS1_17partition_subalgoE8ElNS0_10empty_typeEbEEZZNS1_14partition_implILS5_8ELb0ES3_jPlPS6_PKS6_NS0_5tupleIJS9_S6_EEENSD_IJSA_SA_EEENS0_18inequality_wrapperIZN2at6native12_GLOBAL__N_124unique_dim_cuda_templateImEESt5tupleIJNSH_6TensorESM_SM_EERKSM_lbbbEUlllE0_EEPmJS6_EEE10hipError_tPvRmT3_T4_T5_T6_T7_T9_mT8_P12ihipStream_tbDpT10_ENKUlT_T0_E_clISt17integral_constantIbLb1EES1B_IbLb0EEEEDaS17_S18_EUlS17_E_NS1_11comp_targetILNS1_3genE3ELNS1_11target_archE908ELNS1_3gpuE7ELNS1_3repE0EEENS1_30default_config_static_selectorELNS0_4arch9wavefront6targetE1EEEvT1_.num_vgpr, 0
	.set _ZN7rocprim17ROCPRIM_400000_NS6detail17trampoline_kernelINS0_14default_configENS1_25partition_config_selectorILNS1_17partition_subalgoE8ElNS0_10empty_typeEbEEZZNS1_14partition_implILS5_8ELb0ES3_jPlPS6_PKS6_NS0_5tupleIJS9_S6_EEENSD_IJSA_SA_EEENS0_18inequality_wrapperIZN2at6native12_GLOBAL__N_124unique_dim_cuda_templateImEESt5tupleIJNSH_6TensorESM_SM_EERKSM_lbbbEUlllE0_EEPmJS6_EEE10hipError_tPvRmT3_T4_T5_T6_T7_T9_mT8_P12ihipStream_tbDpT10_ENKUlT_T0_E_clISt17integral_constantIbLb1EES1B_IbLb0EEEEDaS17_S18_EUlS17_E_NS1_11comp_targetILNS1_3genE3ELNS1_11target_archE908ELNS1_3gpuE7ELNS1_3repE0EEENS1_30default_config_static_selectorELNS0_4arch9wavefront6targetE1EEEvT1_.num_agpr, 0
	.set _ZN7rocprim17ROCPRIM_400000_NS6detail17trampoline_kernelINS0_14default_configENS1_25partition_config_selectorILNS1_17partition_subalgoE8ElNS0_10empty_typeEbEEZZNS1_14partition_implILS5_8ELb0ES3_jPlPS6_PKS6_NS0_5tupleIJS9_S6_EEENSD_IJSA_SA_EEENS0_18inequality_wrapperIZN2at6native12_GLOBAL__N_124unique_dim_cuda_templateImEESt5tupleIJNSH_6TensorESM_SM_EERKSM_lbbbEUlllE0_EEPmJS6_EEE10hipError_tPvRmT3_T4_T5_T6_T7_T9_mT8_P12ihipStream_tbDpT10_ENKUlT_T0_E_clISt17integral_constantIbLb1EES1B_IbLb0EEEEDaS17_S18_EUlS17_E_NS1_11comp_targetILNS1_3genE3ELNS1_11target_archE908ELNS1_3gpuE7ELNS1_3repE0EEENS1_30default_config_static_selectorELNS0_4arch9wavefront6targetE1EEEvT1_.numbered_sgpr, 0
	.set _ZN7rocprim17ROCPRIM_400000_NS6detail17trampoline_kernelINS0_14default_configENS1_25partition_config_selectorILNS1_17partition_subalgoE8ElNS0_10empty_typeEbEEZZNS1_14partition_implILS5_8ELb0ES3_jPlPS6_PKS6_NS0_5tupleIJS9_S6_EEENSD_IJSA_SA_EEENS0_18inequality_wrapperIZN2at6native12_GLOBAL__N_124unique_dim_cuda_templateImEESt5tupleIJNSH_6TensorESM_SM_EERKSM_lbbbEUlllE0_EEPmJS6_EEE10hipError_tPvRmT3_T4_T5_T6_T7_T9_mT8_P12ihipStream_tbDpT10_ENKUlT_T0_E_clISt17integral_constantIbLb1EES1B_IbLb0EEEEDaS17_S18_EUlS17_E_NS1_11comp_targetILNS1_3genE3ELNS1_11target_archE908ELNS1_3gpuE7ELNS1_3repE0EEENS1_30default_config_static_selectorELNS0_4arch9wavefront6targetE1EEEvT1_.num_named_barrier, 0
	.set _ZN7rocprim17ROCPRIM_400000_NS6detail17trampoline_kernelINS0_14default_configENS1_25partition_config_selectorILNS1_17partition_subalgoE8ElNS0_10empty_typeEbEEZZNS1_14partition_implILS5_8ELb0ES3_jPlPS6_PKS6_NS0_5tupleIJS9_S6_EEENSD_IJSA_SA_EEENS0_18inequality_wrapperIZN2at6native12_GLOBAL__N_124unique_dim_cuda_templateImEESt5tupleIJNSH_6TensorESM_SM_EERKSM_lbbbEUlllE0_EEPmJS6_EEE10hipError_tPvRmT3_T4_T5_T6_T7_T9_mT8_P12ihipStream_tbDpT10_ENKUlT_T0_E_clISt17integral_constantIbLb1EES1B_IbLb0EEEEDaS17_S18_EUlS17_E_NS1_11comp_targetILNS1_3genE3ELNS1_11target_archE908ELNS1_3gpuE7ELNS1_3repE0EEENS1_30default_config_static_selectorELNS0_4arch9wavefront6targetE1EEEvT1_.private_seg_size, 0
	.set _ZN7rocprim17ROCPRIM_400000_NS6detail17trampoline_kernelINS0_14default_configENS1_25partition_config_selectorILNS1_17partition_subalgoE8ElNS0_10empty_typeEbEEZZNS1_14partition_implILS5_8ELb0ES3_jPlPS6_PKS6_NS0_5tupleIJS9_S6_EEENSD_IJSA_SA_EEENS0_18inequality_wrapperIZN2at6native12_GLOBAL__N_124unique_dim_cuda_templateImEESt5tupleIJNSH_6TensorESM_SM_EERKSM_lbbbEUlllE0_EEPmJS6_EEE10hipError_tPvRmT3_T4_T5_T6_T7_T9_mT8_P12ihipStream_tbDpT10_ENKUlT_T0_E_clISt17integral_constantIbLb1EES1B_IbLb0EEEEDaS17_S18_EUlS17_E_NS1_11comp_targetILNS1_3genE3ELNS1_11target_archE908ELNS1_3gpuE7ELNS1_3repE0EEENS1_30default_config_static_selectorELNS0_4arch9wavefront6targetE1EEEvT1_.uses_vcc, 0
	.set _ZN7rocprim17ROCPRIM_400000_NS6detail17trampoline_kernelINS0_14default_configENS1_25partition_config_selectorILNS1_17partition_subalgoE8ElNS0_10empty_typeEbEEZZNS1_14partition_implILS5_8ELb0ES3_jPlPS6_PKS6_NS0_5tupleIJS9_S6_EEENSD_IJSA_SA_EEENS0_18inequality_wrapperIZN2at6native12_GLOBAL__N_124unique_dim_cuda_templateImEESt5tupleIJNSH_6TensorESM_SM_EERKSM_lbbbEUlllE0_EEPmJS6_EEE10hipError_tPvRmT3_T4_T5_T6_T7_T9_mT8_P12ihipStream_tbDpT10_ENKUlT_T0_E_clISt17integral_constantIbLb1EES1B_IbLb0EEEEDaS17_S18_EUlS17_E_NS1_11comp_targetILNS1_3genE3ELNS1_11target_archE908ELNS1_3gpuE7ELNS1_3repE0EEENS1_30default_config_static_selectorELNS0_4arch9wavefront6targetE1EEEvT1_.uses_flat_scratch, 0
	.set _ZN7rocprim17ROCPRIM_400000_NS6detail17trampoline_kernelINS0_14default_configENS1_25partition_config_selectorILNS1_17partition_subalgoE8ElNS0_10empty_typeEbEEZZNS1_14partition_implILS5_8ELb0ES3_jPlPS6_PKS6_NS0_5tupleIJS9_S6_EEENSD_IJSA_SA_EEENS0_18inequality_wrapperIZN2at6native12_GLOBAL__N_124unique_dim_cuda_templateImEESt5tupleIJNSH_6TensorESM_SM_EERKSM_lbbbEUlllE0_EEPmJS6_EEE10hipError_tPvRmT3_T4_T5_T6_T7_T9_mT8_P12ihipStream_tbDpT10_ENKUlT_T0_E_clISt17integral_constantIbLb1EES1B_IbLb0EEEEDaS17_S18_EUlS17_E_NS1_11comp_targetILNS1_3genE3ELNS1_11target_archE908ELNS1_3gpuE7ELNS1_3repE0EEENS1_30default_config_static_selectorELNS0_4arch9wavefront6targetE1EEEvT1_.has_dyn_sized_stack, 0
	.set _ZN7rocprim17ROCPRIM_400000_NS6detail17trampoline_kernelINS0_14default_configENS1_25partition_config_selectorILNS1_17partition_subalgoE8ElNS0_10empty_typeEbEEZZNS1_14partition_implILS5_8ELb0ES3_jPlPS6_PKS6_NS0_5tupleIJS9_S6_EEENSD_IJSA_SA_EEENS0_18inequality_wrapperIZN2at6native12_GLOBAL__N_124unique_dim_cuda_templateImEESt5tupleIJNSH_6TensorESM_SM_EERKSM_lbbbEUlllE0_EEPmJS6_EEE10hipError_tPvRmT3_T4_T5_T6_T7_T9_mT8_P12ihipStream_tbDpT10_ENKUlT_T0_E_clISt17integral_constantIbLb1EES1B_IbLb0EEEEDaS17_S18_EUlS17_E_NS1_11comp_targetILNS1_3genE3ELNS1_11target_archE908ELNS1_3gpuE7ELNS1_3repE0EEENS1_30default_config_static_selectorELNS0_4arch9wavefront6targetE1EEEvT1_.has_recursion, 0
	.set _ZN7rocprim17ROCPRIM_400000_NS6detail17trampoline_kernelINS0_14default_configENS1_25partition_config_selectorILNS1_17partition_subalgoE8ElNS0_10empty_typeEbEEZZNS1_14partition_implILS5_8ELb0ES3_jPlPS6_PKS6_NS0_5tupleIJS9_S6_EEENSD_IJSA_SA_EEENS0_18inequality_wrapperIZN2at6native12_GLOBAL__N_124unique_dim_cuda_templateImEESt5tupleIJNSH_6TensorESM_SM_EERKSM_lbbbEUlllE0_EEPmJS6_EEE10hipError_tPvRmT3_T4_T5_T6_T7_T9_mT8_P12ihipStream_tbDpT10_ENKUlT_T0_E_clISt17integral_constantIbLb1EES1B_IbLb0EEEEDaS17_S18_EUlS17_E_NS1_11comp_targetILNS1_3genE3ELNS1_11target_archE908ELNS1_3gpuE7ELNS1_3repE0EEENS1_30default_config_static_selectorELNS0_4arch9wavefront6targetE1EEEvT1_.has_indirect_call, 0
	.section	.AMDGPU.csdata,"",@progbits
; Kernel info:
; codeLenInByte = 0
; TotalNumSgprs: 6
; NumVgprs: 0
; NumAgprs: 0
; TotalNumVgprs: 0
; ScratchSize: 0
; MemoryBound: 0
; FloatMode: 240
; IeeeMode: 1
; LDSByteSize: 0 bytes/workgroup (compile time only)
; SGPRBlocks: 0
; VGPRBlocks: 0
; NumSGPRsForWavesPerEU: 6
; NumVGPRsForWavesPerEU: 1
; AccumOffset: 4
; Occupancy: 8
; WaveLimiterHint : 0
; COMPUTE_PGM_RSRC2:SCRATCH_EN: 0
; COMPUTE_PGM_RSRC2:USER_SGPR: 2
; COMPUTE_PGM_RSRC2:TRAP_HANDLER: 0
; COMPUTE_PGM_RSRC2:TGID_X_EN: 1
; COMPUTE_PGM_RSRC2:TGID_Y_EN: 0
; COMPUTE_PGM_RSRC2:TGID_Z_EN: 0
; COMPUTE_PGM_RSRC2:TIDIG_COMP_CNT: 0
; COMPUTE_PGM_RSRC3_GFX90A:ACCUM_OFFSET: 0
; COMPUTE_PGM_RSRC3_GFX90A:TG_SPLIT: 0
	.section	.text._ZN7rocprim17ROCPRIM_400000_NS6detail17trampoline_kernelINS0_14default_configENS1_25partition_config_selectorILNS1_17partition_subalgoE8ElNS0_10empty_typeEbEEZZNS1_14partition_implILS5_8ELb0ES3_jPlPS6_PKS6_NS0_5tupleIJS9_S6_EEENSD_IJSA_SA_EEENS0_18inequality_wrapperIZN2at6native12_GLOBAL__N_124unique_dim_cuda_templateImEESt5tupleIJNSH_6TensorESM_SM_EERKSM_lbbbEUlllE0_EEPmJS6_EEE10hipError_tPvRmT3_T4_T5_T6_T7_T9_mT8_P12ihipStream_tbDpT10_ENKUlT_T0_E_clISt17integral_constantIbLb1EES1B_IbLb0EEEEDaS17_S18_EUlS17_E_NS1_11comp_targetILNS1_3genE2ELNS1_11target_archE906ELNS1_3gpuE6ELNS1_3repE0EEENS1_30default_config_static_selectorELNS0_4arch9wavefront6targetE1EEEvT1_,"axG",@progbits,_ZN7rocprim17ROCPRIM_400000_NS6detail17trampoline_kernelINS0_14default_configENS1_25partition_config_selectorILNS1_17partition_subalgoE8ElNS0_10empty_typeEbEEZZNS1_14partition_implILS5_8ELb0ES3_jPlPS6_PKS6_NS0_5tupleIJS9_S6_EEENSD_IJSA_SA_EEENS0_18inequality_wrapperIZN2at6native12_GLOBAL__N_124unique_dim_cuda_templateImEESt5tupleIJNSH_6TensorESM_SM_EERKSM_lbbbEUlllE0_EEPmJS6_EEE10hipError_tPvRmT3_T4_T5_T6_T7_T9_mT8_P12ihipStream_tbDpT10_ENKUlT_T0_E_clISt17integral_constantIbLb1EES1B_IbLb0EEEEDaS17_S18_EUlS17_E_NS1_11comp_targetILNS1_3genE2ELNS1_11target_archE906ELNS1_3gpuE6ELNS1_3repE0EEENS1_30default_config_static_selectorELNS0_4arch9wavefront6targetE1EEEvT1_,comdat
	.globl	_ZN7rocprim17ROCPRIM_400000_NS6detail17trampoline_kernelINS0_14default_configENS1_25partition_config_selectorILNS1_17partition_subalgoE8ElNS0_10empty_typeEbEEZZNS1_14partition_implILS5_8ELb0ES3_jPlPS6_PKS6_NS0_5tupleIJS9_S6_EEENSD_IJSA_SA_EEENS0_18inequality_wrapperIZN2at6native12_GLOBAL__N_124unique_dim_cuda_templateImEESt5tupleIJNSH_6TensorESM_SM_EERKSM_lbbbEUlllE0_EEPmJS6_EEE10hipError_tPvRmT3_T4_T5_T6_T7_T9_mT8_P12ihipStream_tbDpT10_ENKUlT_T0_E_clISt17integral_constantIbLb1EES1B_IbLb0EEEEDaS17_S18_EUlS17_E_NS1_11comp_targetILNS1_3genE2ELNS1_11target_archE906ELNS1_3gpuE6ELNS1_3repE0EEENS1_30default_config_static_selectorELNS0_4arch9wavefront6targetE1EEEvT1_ ; -- Begin function _ZN7rocprim17ROCPRIM_400000_NS6detail17trampoline_kernelINS0_14default_configENS1_25partition_config_selectorILNS1_17partition_subalgoE8ElNS0_10empty_typeEbEEZZNS1_14partition_implILS5_8ELb0ES3_jPlPS6_PKS6_NS0_5tupleIJS9_S6_EEENSD_IJSA_SA_EEENS0_18inequality_wrapperIZN2at6native12_GLOBAL__N_124unique_dim_cuda_templateImEESt5tupleIJNSH_6TensorESM_SM_EERKSM_lbbbEUlllE0_EEPmJS6_EEE10hipError_tPvRmT3_T4_T5_T6_T7_T9_mT8_P12ihipStream_tbDpT10_ENKUlT_T0_E_clISt17integral_constantIbLb1EES1B_IbLb0EEEEDaS17_S18_EUlS17_E_NS1_11comp_targetILNS1_3genE2ELNS1_11target_archE906ELNS1_3gpuE6ELNS1_3repE0EEENS1_30default_config_static_selectorELNS0_4arch9wavefront6targetE1EEEvT1_
	.p2align	8
	.type	_ZN7rocprim17ROCPRIM_400000_NS6detail17trampoline_kernelINS0_14default_configENS1_25partition_config_selectorILNS1_17partition_subalgoE8ElNS0_10empty_typeEbEEZZNS1_14partition_implILS5_8ELb0ES3_jPlPS6_PKS6_NS0_5tupleIJS9_S6_EEENSD_IJSA_SA_EEENS0_18inequality_wrapperIZN2at6native12_GLOBAL__N_124unique_dim_cuda_templateImEESt5tupleIJNSH_6TensorESM_SM_EERKSM_lbbbEUlllE0_EEPmJS6_EEE10hipError_tPvRmT3_T4_T5_T6_T7_T9_mT8_P12ihipStream_tbDpT10_ENKUlT_T0_E_clISt17integral_constantIbLb1EES1B_IbLb0EEEEDaS17_S18_EUlS17_E_NS1_11comp_targetILNS1_3genE2ELNS1_11target_archE906ELNS1_3gpuE6ELNS1_3repE0EEENS1_30default_config_static_selectorELNS0_4arch9wavefront6targetE1EEEvT1_,@function
_ZN7rocprim17ROCPRIM_400000_NS6detail17trampoline_kernelINS0_14default_configENS1_25partition_config_selectorILNS1_17partition_subalgoE8ElNS0_10empty_typeEbEEZZNS1_14partition_implILS5_8ELb0ES3_jPlPS6_PKS6_NS0_5tupleIJS9_S6_EEENSD_IJSA_SA_EEENS0_18inequality_wrapperIZN2at6native12_GLOBAL__N_124unique_dim_cuda_templateImEESt5tupleIJNSH_6TensorESM_SM_EERKSM_lbbbEUlllE0_EEPmJS6_EEE10hipError_tPvRmT3_T4_T5_T6_T7_T9_mT8_P12ihipStream_tbDpT10_ENKUlT_T0_E_clISt17integral_constantIbLb1EES1B_IbLb0EEEEDaS17_S18_EUlS17_E_NS1_11comp_targetILNS1_3genE2ELNS1_11target_archE906ELNS1_3gpuE6ELNS1_3repE0EEENS1_30default_config_static_selectorELNS0_4arch9wavefront6targetE1EEEvT1_: ; @_ZN7rocprim17ROCPRIM_400000_NS6detail17trampoline_kernelINS0_14default_configENS1_25partition_config_selectorILNS1_17partition_subalgoE8ElNS0_10empty_typeEbEEZZNS1_14partition_implILS5_8ELb0ES3_jPlPS6_PKS6_NS0_5tupleIJS9_S6_EEENSD_IJSA_SA_EEENS0_18inequality_wrapperIZN2at6native12_GLOBAL__N_124unique_dim_cuda_templateImEESt5tupleIJNSH_6TensorESM_SM_EERKSM_lbbbEUlllE0_EEPmJS6_EEE10hipError_tPvRmT3_T4_T5_T6_T7_T9_mT8_P12ihipStream_tbDpT10_ENKUlT_T0_E_clISt17integral_constantIbLb1EES1B_IbLb0EEEEDaS17_S18_EUlS17_E_NS1_11comp_targetILNS1_3genE2ELNS1_11target_archE906ELNS1_3gpuE6ELNS1_3repE0EEENS1_30default_config_static_selectorELNS0_4arch9wavefront6targetE1EEEvT1_
; %bb.0:
	.section	.rodata,"a",@progbits
	.p2align	6, 0x0
	.amdhsa_kernel _ZN7rocprim17ROCPRIM_400000_NS6detail17trampoline_kernelINS0_14default_configENS1_25partition_config_selectorILNS1_17partition_subalgoE8ElNS0_10empty_typeEbEEZZNS1_14partition_implILS5_8ELb0ES3_jPlPS6_PKS6_NS0_5tupleIJS9_S6_EEENSD_IJSA_SA_EEENS0_18inequality_wrapperIZN2at6native12_GLOBAL__N_124unique_dim_cuda_templateImEESt5tupleIJNSH_6TensorESM_SM_EERKSM_lbbbEUlllE0_EEPmJS6_EEE10hipError_tPvRmT3_T4_T5_T6_T7_T9_mT8_P12ihipStream_tbDpT10_ENKUlT_T0_E_clISt17integral_constantIbLb1EES1B_IbLb0EEEEDaS17_S18_EUlS17_E_NS1_11comp_targetILNS1_3genE2ELNS1_11target_archE906ELNS1_3gpuE6ELNS1_3repE0EEENS1_30default_config_static_selectorELNS0_4arch9wavefront6targetE1EEEvT1_
		.amdhsa_group_segment_fixed_size 0
		.amdhsa_private_segment_fixed_size 0
		.amdhsa_kernarg_size 120
		.amdhsa_user_sgpr_count 2
		.amdhsa_user_sgpr_dispatch_ptr 0
		.amdhsa_user_sgpr_queue_ptr 0
		.amdhsa_user_sgpr_kernarg_segment_ptr 1
		.amdhsa_user_sgpr_dispatch_id 0
		.amdhsa_user_sgpr_kernarg_preload_length 0
		.amdhsa_user_sgpr_kernarg_preload_offset 0
		.amdhsa_user_sgpr_private_segment_size 0
		.amdhsa_uses_dynamic_stack 0
		.amdhsa_enable_private_segment 0
		.amdhsa_system_sgpr_workgroup_id_x 1
		.amdhsa_system_sgpr_workgroup_id_y 0
		.amdhsa_system_sgpr_workgroup_id_z 0
		.amdhsa_system_sgpr_workgroup_info 0
		.amdhsa_system_vgpr_workitem_id 0
		.amdhsa_next_free_vgpr 1
		.amdhsa_next_free_sgpr 0
		.amdhsa_accum_offset 4
		.amdhsa_reserve_vcc 0
		.amdhsa_float_round_mode_32 0
		.amdhsa_float_round_mode_16_64 0
		.amdhsa_float_denorm_mode_32 3
		.amdhsa_float_denorm_mode_16_64 3
		.amdhsa_dx10_clamp 1
		.amdhsa_ieee_mode 1
		.amdhsa_fp16_overflow 0
		.amdhsa_tg_split 0
		.amdhsa_exception_fp_ieee_invalid_op 0
		.amdhsa_exception_fp_denorm_src 0
		.amdhsa_exception_fp_ieee_div_zero 0
		.amdhsa_exception_fp_ieee_overflow 0
		.amdhsa_exception_fp_ieee_underflow 0
		.amdhsa_exception_fp_ieee_inexact 0
		.amdhsa_exception_int_div_zero 0
	.end_amdhsa_kernel
	.section	.text._ZN7rocprim17ROCPRIM_400000_NS6detail17trampoline_kernelINS0_14default_configENS1_25partition_config_selectorILNS1_17partition_subalgoE8ElNS0_10empty_typeEbEEZZNS1_14partition_implILS5_8ELb0ES3_jPlPS6_PKS6_NS0_5tupleIJS9_S6_EEENSD_IJSA_SA_EEENS0_18inequality_wrapperIZN2at6native12_GLOBAL__N_124unique_dim_cuda_templateImEESt5tupleIJNSH_6TensorESM_SM_EERKSM_lbbbEUlllE0_EEPmJS6_EEE10hipError_tPvRmT3_T4_T5_T6_T7_T9_mT8_P12ihipStream_tbDpT10_ENKUlT_T0_E_clISt17integral_constantIbLb1EES1B_IbLb0EEEEDaS17_S18_EUlS17_E_NS1_11comp_targetILNS1_3genE2ELNS1_11target_archE906ELNS1_3gpuE6ELNS1_3repE0EEENS1_30default_config_static_selectorELNS0_4arch9wavefront6targetE1EEEvT1_,"axG",@progbits,_ZN7rocprim17ROCPRIM_400000_NS6detail17trampoline_kernelINS0_14default_configENS1_25partition_config_selectorILNS1_17partition_subalgoE8ElNS0_10empty_typeEbEEZZNS1_14partition_implILS5_8ELb0ES3_jPlPS6_PKS6_NS0_5tupleIJS9_S6_EEENSD_IJSA_SA_EEENS0_18inequality_wrapperIZN2at6native12_GLOBAL__N_124unique_dim_cuda_templateImEESt5tupleIJNSH_6TensorESM_SM_EERKSM_lbbbEUlllE0_EEPmJS6_EEE10hipError_tPvRmT3_T4_T5_T6_T7_T9_mT8_P12ihipStream_tbDpT10_ENKUlT_T0_E_clISt17integral_constantIbLb1EES1B_IbLb0EEEEDaS17_S18_EUlS17_E_NS1_11comp_targetILNS1_3genE2ELNS1_11target_archE906ELNS1_3gpuE6ELNS1_3repE0EEENS1_30default_config_static_selectorELNS0_4arch9wavefront6targetE1EEEvT1_,comdat
.Lfunc_end1683:
	.size	_ZN7rocprim17ROCPRIM_400000_NS6detail17trampoline_kernelINS0_14default_configENS1_25partition_config_selectorILNS1_17partition_subalgoE8ElNS0_10empty_typeEbEEZZNS1_14partition_implILS5_8ELb0ES3_jPlPS6_PKS6_NS0_5tupleIJS9_S6_EEENSD_IJSA_SA_EEENS0_18inequality_wrapperIZN2at6native12_GLOBAL__N_124unique_dim_cuda_templateImEESt5tupleIJNSH_6TensorESM_SM_EERKSM_lbbbEUlllE0_EEPmJS6_EEE10hipError_tPvRmT3_T4_T5_T6_T7_T9_mT8_P12ihipStream_tbDpT10_ENKUlT_T0_E_clISt17integral_constantIbLb1EES1B_IbLb0EEEEDaS17_S18_EUlS17_E_NS1_11comp_targetILNS1_3genE2ELNS1_11target_archE906ELNS1_3gpuE6ELNS1_3repE0EEENS1_30default_config_static_selectorELNS0_4arch9wavefront6targetE1EEEvT1_, .Lfunc_end1683-_ZN7rocprim17ROCPRIM_400000_NS6detail17trampoline_kernelINS0_14default_configENS1_25partition_config_selectorILNS1_17partition_subalgoE8ElNS0_10empty_typeEbEEZZNS1_14partition_implILS5_8ELb0ES3_jPlPS6_PKS6_NS0_5tupleIJS9_S6_EEENSD_IJSA_SA_EEENS0_18inequality_wrapperIZN2at6native12_GLOBAL__N_124unique_dim_cuda_templateImEESt5tupleIJNSH_6TensorESM_SM_EERKSM_lbbbEUlllE0_EEPmJS6_EEE10hipError_tPvRmT3_T4_T5_T6_T7_T9_mT8_P12ihipStream_tbDpT10_ENKUlT_T0_E_clISt17integral_constantIbLb1EES1B_IbLb0EEEEDaS17_S18_EUlS17_E_NS1_11comp_targetILNS1_3genE2ELNS1_11target_archE906ELNS1_3gpuE6ELNS1_3repE0EEENS1_30default_config_static_selectorELNS0_4arch9wavefront6targetE1EEEvT1_
                                        ; -- End function
	.set _ZN7rocprim17ROCPRIM_400000_NS6detail17trampoline_kernelINS0_14default_configENS1_25partition_config_selectorILNS1_17partition_subalgoE8ElNS0_10empty_typeEbEEZZNS1_14partition_implILS5_8ELb0ES3_jPlPS6_PKS6_NS0_5tupleIJS9_S6_EEENSD_IJSA_SA_EEENS0_18inequality_wrapperIZN2at6native12_GLOBAL__N_124unique_dim_cuda_templateImEESt5tupleIJNSH_6TensorESM_SM_EERKSM_lbbbEUlllE0_EEPmJS6_EEE10hipError_tPvRmT3_T4_T5_T6_T7_T9_mT8_P12ihipStream_tbDpT10_ENKUlT_T0_E_clISt17integral_constantIbLb1EES1B_IbLb0EEEEDaS17_S18_EUlS17_E_NS1_11comp_targetILNS1_3genE2ELNS1_11target_archE906ELNS1_3gpuE6ELNS1_3repE0EEENS1_30default_config_static_selectorELNS0_4arch9wavefront6targetE1EEEvT1_.num_vgpr, 0
	.set _ZN7rocprim17ROCPRIM_400000_NS6detail17trampoline_kernelINS0_14default_configENS1_25partition_config_selectorILNS1_17partition_subalgoE8ElNS0_10empty_typeEbEEZZNS1_14partition_implILS5_8ELb0ES3_jPlPS6_PKS6_NS0_5tupleIJS9_S6_EEENSD_IJSA_SA_EEENS0_18inequality_wrapperIZN2at6native12_GLOBAL__N_124unique_dim_cuda_templateImEESt5tupleIJNSH_6TensorESM_SM_EERKSM_lbbbEUlllE0_EEPmJS6_EEE10hipError_tPvRmT3_T4_T5_T6_T7_T9_mT8_P12ihipStream_tbDpT10_ENKUlT_T0_E_clISt17integral_constantIbLb1EES1B_IbLb0EEEEDaS17_S18_EUlS17_E_NS1_11comp_targetILNS1_3genE2ELNS1_11target_archE906ELNS1_3gpuE6ELNS1_3repE0EEENS1_30default_config_static_selectorELNS0_4arch9wavefront6targetE1EEEvT1_.num_agpr, 0
	.set _ZN7rocprim17ROCPRIM_400000_NS6detail17trampoline_kernelINS0_14default_configENS1_25partition_config_selectorILNS1_17partition_subalgoE8ElNS0_10empty_typeEbEEZZNS1_14partition_implILS5_8ELb0ES3_jPlPS6_PKS6_NS0_5tupleIJS9_S6_EEENSD_IJSA_SA_EEENS0_18inequality_wrapperIZN2at6native12_GLOBAL__N_124unique_dim_cuda_templateImEESt5tupleIJNSH_6TensorESM_SM_EERKSM_lbbbEUlllE0_EEPmJS6_EEE10hipError_tPvRmT3_T4_T5_T6_T7_T9_mT8_P12ihipStream_tbDpT10_ENKUlT_T0_E_clISt17integral_constantIbLb1EES1B_IbLb0EEEEDaS17_S18_EUlS17_E_NS1_11comp_targetILNS1_3genE2ELNS1_11target_archE906ELNS1_3gpuE6ELNS1_3repE0EEENS1_30default_config_static_selectorELNS0_4arch9wavefront6targetE1EEEvT1_.numbered_sgpr, 0
	.set _ZN7rocprim17ROCPRIM_400000_NS6detail17trampoline_kernelINS0_14default_configENS1_25partition_config_selectorILNS1_17partition_subalgoE8ElNS0_10empty_typeEbEEZZNS1_14partition_implILS5_8ELb0ES3_jPlPS6_PKS6_NS0_5tupleIJS9_S6_EEENSD_IJSA_SA_EEENS0_18inequality_wrapperIZN2at6native12_GLOBAL__N_124unique_dim_cuda_templateImEESt5tupleIJNSH_6TensorESM_SM_EERKSM_lbbbEUlllE0_EEPmJS6_EEE10hipError_tPvRmT3_T4_T5_T6_T7_T9_mT8_P12ihipStream_tbDpT10_ENKUlT_T0_E_clISt17integral_constantIbLb1EES1B_IbLb0EEEEDaS17_S18_EUlS17_E_NS1_11comp_targetILNS1_3genE2ELNS1_11target_archE906ELNS1_3gpuE6ELNS1_3repE0EEENS1_30default_config_static_selectorELNS0_4arch9wavefront6targetE1EEEvT1_.num_named_barrier, 0
	.set _ZN7rocprim17ROCPRIM_400000_NS6detail17trampoline_kernelINS0_14default_configENS1_25partition_config_selectorILNS1_17partition_subalgoE8ElNS0_10empty_typeEbEEZZNS1_14partition_implILS5_8ELb0ES3_jPlPS6_PKS6_NS0_5tupleIJS9_S6_EEENSD_IJSA_SA_EEENS0_18inequality_wrapperIZN2at6native12_GLOBAL__N_124unique_dim_cuda_templateImEESt5tupleIJNSH_6TensorESM_SM_EERKSM_lbbbEUlllE0_EEPmJS6_EEE10hipError_tPvRmT3_T4_T5_T6_T7_T9_mT8_P12ihipStream_tbDpT10_ENKUlT_T0_E_clISt17integral_constantIbLb1EES1B_IbLb0EEEEDaS17_S18_EUlS17_E_NS1_11comp_targetILNS1_3genE2ELNS1_11target_archE906ELNS1_3gpuE6ELNS1_3repE0EEENS1_30default_config_static_selectorELNS0_4arch9wavefront6targetE1EEEvT1_.private_seg_size, 0
	.set _ZN7rocprim17ROCPRIM_400000_NS6detail17trampoline_kernelINS0_14default_configENS1_25partition_config_selectorILNS1_17partition_subalgoE8ElNS0_10empty_typeEbEEZZNS1_14partition_implILS5_8ELb0ES3_jPlPS6_PKS6_NS0_5tupleIJS9_S6_EEENSD_IJSA_SA_EEENS0_18inequality_wrapperIZN2at6native12_GLOBAL__N_124unique_dim_cuda_templateImEESt5tupleIJNSH_6TensorESM_SM_EERKSM_lbbbEUlllE0_EEPmJS6_EEE10hipError_tPvRmT3_T4_T5_T6_T7_T9_mT8_P12ihipStream_tbDpT10_ENKUlT_T0_E_clISt17integral_constantIbLb1EES1B_IbLb0EEEEDaS17_S18_EUlS17_E_NS1_11comp_targetILNS1_3genE2ELNS1_11target_archE906ELNS1_3gpuE6ELNS1_3repE0EEENS1_30default_config_static_selectorELNS0_4arch9wavefront6targetE1EEEvT1_.uses_vcc, 0
	.set _ZN7rocprim17ROCPRIM_400000_NS6detail17trampoline_kernelINS0_14default_configENS1_25partition_config_selectorILNS1_17partition_subalgoE8ElNS0_10empty_typeEbEEZZNS1_14partition_implILS5_8ELb0ES3_jPlPS6_PKS6_NS0_5tupleIJS9_S6_EEENSD_IJSA_SA_EEENS0_18inequality_wrapperIZN2at6native12_GLOBAL__N_124unique_dim_cuda_templateImEESt5tupleIJNSH_6TensorESM_SM_EERKSM_lbbbEUlllE0_EEPmJS6_EEE10hipError_tPvRmT3_T4_T5_T6_T7_T9_mT8_P12ihipStream_tbDpT10_ENKUlT_T0_E_clISt17integral_constantIbLb1EES1B_IbLb0EEEEDaS17_S18_EUlS17_E_NS1_11comp_targetILNS1_3genE2ELNS1_11target_archE906ELNS1_3gpuE6ELNS1_3repE0EEENS1_30default_config_static_selectorELNS0_4arch9wavefront6targetE1EEEvT1_.uses_flat_scratch, 0
	.set _ZN7rocprim17ROCPRIM_400000_NS6detail17trampoline_kernelINS0_14default_configENS1_25partition_config_selectorILNS1_17partition_subalgoE8ElNS0_10empty_typeEbEEZZNS1_14partition_implILS5_8ELb0ES3_jPlPS6_PKS6_NS0_5tupleIJS9_S6_EEENSD_IJSA_SA_EEENS0_18inequality_wrapperIZN2at6native12_GLOBAL__N_124unique_dim_cuda_templateImEESt5tupleIJNSH_6TensorESM_SM_EERKSM_lbbbEUlllE0_EEPmJS6_EEE10hipError_tPvRmT3_T4_T5_T6_T7_T9_mT8_P12ihipStream_tbDpT10_ENKUlT_T0_E_clISt17integral_constantIbLb1EES1B_IbLb0EEEEDaS17_S18_EUlS17_E_NS1_11comp_targetILNS1_3genE2ELNS1_11target_archE906ELNS1_3gpuE6ELNS1_3repE0EEENS1_30default_config_static_selectorELNS0_4arch9wavefront6targetE1EEEvT1_.has_dyn_sized_stack, 0
	.set _ZN7rocprim17ROCPRIM_400000_NS6detail17trampoline_kernelINS0_14default_configENS1_25partition_config_selectorILNS1_17partition_subalgoE8ElNS0_10empty_typeEbEEZZNS1_14partition_implILS5_8ELb0ES3_jPlPS6_PKS6_NS0_5tupleIJS9_S6_EEENSD_IJSA_SA_EEENS0_18inequality_wrapperIZN2at6native12_GLOBAL__N_124unique_dim_cuda_templateImEESt5tupleIJNSH_6TensorESM_SM_EERKSM_lbbbEUlllE0_EEPmJS6_EEE10hipError_tPvRmT3_T4_T5_T6_T7_T9_mT8_P12ihipStream_tbDpT10_ENKUlT_T0_E_clISt17integral_constantIbLb1EES1B_IbLb0EEEEDaS17_S18_EUlS17_E_NS1_11comp_targetILNS1_3genE2ELNS1_11target_archE906ELNS1_3gpuE6ELNS1_3repE0EEENS1_30default_config_static_selectorELNS0_4arch9wavefront6targetE1EEEvT1_.has_recursion, 0
	.set _ZN7rocprim17ROCPRIM_400000_NS6detail17trampoline_kernelINS0_14default_configENS1_25partition_config_selectorILNS1_17partition_subalgoE8ElNS0_10empty_typeEbEEZZNS1_14partition_implILS5_8ELb0ES3_jPlPS6_PKS6_NS0_5tupleIJS9_S6_EEENSD_IJSA_SA_EEENS0_18inequality_wrapperIZN2at6native12_GLOBAL__N_124unique_dim_cuda_templateImEESt5tupleIJNSH_6TensorESM_SM_EERKSM_lbbbEUlllE0_EEPmJS6_EEE10hipError_tPvRmT3_T4_T5_T6_T7_T9_mT8_P12ihipStream_tbDpT10_ENKUlT_T0_E_clISt17integral_constantIbLb1EES1B_IbLb0EEEEDaS17_S18_EUlS17_E_NS1_11comp_targetILNS1_3genE2ELNS1_11target_archE906ELNS1_3gpuE6ELNS1_3repE0EEENS1_30default_config_static_selectorELNS0_4arch9wavefront6targetE1EEEvT1_.has_indirect_call, 0
	.section	.AMDGPU.csdata,"",@progbits
; Kernel info:
; codeLenInByte = 0
; TotalNumSgprs: 6
; NumVgprs: 0
; NumAgprs: 0
; TotalNumVgprs: 0
; ScratchSize: 0
; MemoryBound: 0
; FloatMode: 240
; IeeeMode: 1
; LDSByteSize: 0 bytes/workgroup (compile time only)
; SGPRBlocks: 0
; VGPRBlocks: 0
; NumSGPRsForWavesPerEU: 6
; NumVGPRsForWavesPerEU: 1
; AccumOffset: 4
; Occupancy: 8
; WaveLimiterHint : 0
; COMPUTE_PGM_RSRC2:SCRATCH_EN: 0
; COMPUTE_PGM_RSRC2:USER_SGPR: 2
; COMPUTE_PGM_RSRC2:TRAP_HANDLER: 0
; COMPUTE_PGM_RSRC2:TGID_X_EN: 1
; COMPUTE_PGM_RSRC2:TGID_Y_EN: 0
; COMPUTE_PGM_RSRC2:TGID_Z_EN: 0
; COMPUTE_PGM_RSRC2:TIDIG_COMP_CNT: 0
; COMPUTE_PGM_RSRC3_GFX90A:ACCUM_OFFSET: 0
; COMPUTE_PGM_RSRC3_GFX90A:TG_SPLIT: 0
	.section	.text._ZN7rocprim17ROCPRIM_400000_NS6detail17trampoline_kernelINS0_14default_configENS1_25partition_config_selectorILNS1_17partition_subalgoE8ElNS0_10empty_typeEbEEZZNS1_14partition_implILS5_8ELb0ES3_jPlPS6_PKS6_NS0_5tupleIJS9_S6_EEENSD_IJSA_SA_EEENS0_18inequality_wrapperIZN2at6native12_GLOBAL__N_124unique_dim_cuda_templateImEESt5tupleIJNSH_6TensorESM_SM_EERKSM_lbbbEUlllE0_EEPmJS6_EEE10hipError_tPvRmT3_T4_T5_T6_T7_T9_mT8_P12ihipStream_tbDpT10_ENKUlT_T0_E_clISt17integral_constantIbLb1EES1B_IbLb0EEEEDaS17_S18_EUlS17_E_NS1_11comp_targetILNS1_3genE10ELNS1_11target_archE1200ELNS1_3gpuE4ELNS1_3repE0EEENS1_30default_config_static_selectorELNS0_4arch9wavefront6targetE1EEEvT1_,"axG",@progbits,_ZN7rocprim17ROCPRIM_400000_NS6detail17trampoline_kernelINS0_14default_configENS1_25partition_config_selectorILNS1_17partition_subalgoE8ElNS0_10empty_typeEbEEZZNS1_14partition_implILS5_8ELb0ES3_jPlPS6_PKS6_NS0_5tupleIJS9_S6_EEENSD_IJSA_SA_EEENS0_18inequality_wrapperIZN2at6native12_GLOBAL__N_124unique_dim_cuda_templateImEESt5tupleIJNSH_6TensorESM_SM_EERKSM_lbbbEUlllE0_EEPmJS6_EEE10hipError_tPvRmT3_T4_T5_T6_T7_T9_mT8_P12ihipStream_tbDpT10_ENKUlT_T0_E_clISt17integral_constantIbLb1EES1B_IbLb0EEEEDaS17_S18_EUlS17_E_NS1_11comp_targetILNS1_3genE10ELNS1_11target_archE1200ELNS1_3gpuE4ELNS1_3repE0EEENS1_30default_config_static_selectorELNS0_4arch9wavefront6targetE1EEEvT1_,comdat
	.globl	_ZN7rocprim17ROCPRIM_400000_NS6detail17trampoline_kernelINS0_14default_configENS1_25partition_config_selectorILNS1_17partition_subalgoE8ElNS0_10empty_typeEbEEZZNS1_14partition_implILS5_8ELb0ES3_jPlPS6_PKS6_NS0_5tupleIJS9_S6_EEENSD_IJSA_SA_EEENS0_18inequality_wrapperIZN2at6native12_GLOBAL__N_124unique_dim_cuda_templateImEESt5tupleIJNSH_6TensorESM_SM_EERKSM_lbbbEUlllE0_EEPmJS6_EEE10hipError_tPvRmT3_T4_T5_T6_T7_T9_mT8_P12ihipStream_tbDpT10_ENKUlT_T0_E_clISt17integral_constantIbLb1EES1B_IbLb0EEEEDaS17_S18_EUlS17_E_NS1_11comp_targetILNS1_3genE10ELNS1_11target_archE1200ELNS1_3gpuE4ELNS1_3repE0EEENS1_30default_config_static_selectorELNS0_4arch9wavefront6targetE1EEEvT1_ ; -- Begin function _ZN7rocprim17ROCPRIM_400000_NS6detail17trampoline_kernelINS0_14default_configENS1_25partition_config_selectorILNS1_17partition_subalgoE8ElNS0_10empty_typeEbEEZZNS1_14partition_implILS5_8ELb0ES3_jPlPS6_PKS6_NS0_5tupleIJS9_S6_EEENSD_IJSA_SA_EEENS0_18inequality_wrapperIZN2at6native12_GLOBAL__N_124unique_dim_cuda_templateImEESt5tupleIJNSH_6TensorESM_SM_EERKSM_lbbbEUlllE0_EEPmJS6_EEE10hipError_tPvRmT3_T4_T5_T6_T7_T9_mT8_P12ihipStream_tbDpT10_ENKUlT_T0_E_clISt17integral_constantIbLb1EES1B_IbLb0EEEEDaS17_S18_EUlS17_E_NS1_11comp_targetILNS1_3genE10ELNS1_11target_archE1200ELNS1_3gpuE4ELNS1_3repE0EEENS1_30default_config_static_selectorELNS0_4arch9wavefront6targetE1EEEvT1_
	.p2align	8
	.type	_ZN7rocprim17ROCPRIM_400000_NS6detail17trampoline_kernelINS0_14default_configENS1_25partition_config_selectorILNS1_17partition_subalgoE8ElNS0_10empty_typeEbEEZZNS1_14partition_implILS5_8ELb0ES3_jPlPS6_PKS6_NS0_5tupleIJS9_S6_EEENSD_IJSA_SA_EEENS0_18inequality_wrapperIZN2at6native12_GLOBAL__N_124unique_dim_cuda_templateImEESt5tupleIJNSH_6TensorESM_SM_EERKSM_lbbbEUlllE0_EEPmJS6_EEE10hipError_tPvRmT3_T4_T5_T6_T7_T9_mT8_P12ihipStream_tbDpT10_ENKUlT_T0_E_clISt17integral_constantIbLb1EES1B_IbLb0EEEEDaS17_S18_EUlS17_E_NS1_11comp_targetILNS1_3genE10ELNS1_11target_archE1200ELNS1_3gpuE4ELNS1_3repE0EEENS1_30default_config_static_selectorELNS0_4arch9wavefront6targetE1EEEvT1_,@function
_ZN7rocprim17ROCPRIM_400000_NS6detail17trampoline_kernelINS0_14default_configENS1_25partition_config_selectorILNS1_17partition_subalgoE8ElNS0_10empty_typeEbEEZZNS1_14partition_implILS5_8ELb0ES3_jPlPS6_PKS6_NS0_5tupleIJS9_S6_EEENSD_IJSA_SA_EEENS0_18inequality_wrapperIZN2at6native12_GLOBAL__N_124unique_dim_cuda_templateImEESt5tupleIJNSH_6TensorESM_SM_EERKSM_lbbbEUlllE0_EEPmJS6_EEE10hipError_tPvRmT3_T4_T5_T6_T7_T9_mT8_P12ihipStream_tbDpT10_ENKUlT_T0_E_clISt17integral_constantIbLb1EES1B_IbLb0EEEEDaS17_S18_EUlS17_E_NS1_11comp_targetILNS1_3genE10ELNS1_11target_archE1200ELNS1_3gpuE4ELNS1_3repE0EEENS1_30default_config_static_selectorELNS0_4arch9wavefront6targetE1EEEvT1_: ; @_ZN7rocprim17ROCPRIM_400000_NS6detail17trampoline_kernelINS0_14default_configENS1_25partition_config_selectorILNS1_17partition_subalgoE8ElNS0_10empty_typeEbEEZZNS1_14partition_implILS5_8ELb0ES3_jPlPS6_PKS6_NS0_5tupleIJS9_S6_EEENSD_IJSA_SA_EEENS0_18inequality_wrapperIZN2at6native12_GLOBAL__N_124unique_dim_cuda_templateImEESt5tupleIJNSH_6TensorESM_SM_EERKSM_lbbbEUlllE0_EEPmJS6_EEE10hipError_tPvRmT3_T4_T5_T6_T7_T9_mT8_P12ihipStream_tbDpT10_ENKUlT_T0_E_clISt17integral_constantIbLb1EES1B_IbLb0EEEEDaS17_S18_EUlS17_E_NS1_11comp_targetILNS1_3genE10ELNS1_11target_archE1200ELNS1_3gpuE4ELNS1_3repE0EEENS1_30default_config_static_selectorELNS0_4arch9wavefront6targetE1EEEvT1_
; %bb.0:
	.section	.rodata,"a",@progbits
	.p2align	6, 0x0
	.amdhsa_kernel _ZN7rocprim17ROCPRIM_400000_NS6detail17trampoline_kernelINS0_14default_configENS1_25partition_config_selectorILNS1_17partition_subalgoE8ElNS0_10empty_typeEbEEZZNS1_14partition_implILS5_8ELb0ES3_jPlPS6_PKS6_NS0_5tupleIJS9_S6_EEENSD_IJSA_SA_EEENS0_18inequality_wrapperIZN2at6native12_GLOBAL__N_124unique_dim_cuda_templateImEESt5tupleIJNSH_6TensorESM_SM_EERKSM_lbbbEUlllE0_EEPmJS6_EEE10hipError_tPvRmT3_T4_T5_T6_T7_T9_mT8_P12ihipStream_tbDpT10_ENKUlT_T0_E_clISt17integral_constantIbLb1EES1B_IbLb0EEEEDaS17_S18_EUlS17_E_NS1_11comp_targetILNS1_3genE10ELNS1_11target_archE1200ELNS1_3gpuE4ELNS1_3repE0EEENS1_30default_config_static_selectorELNS0_4arch9wavefront6targetE1EEEvT1_
		.amdhsa_group_segment_fixed_size 0
		.amdhsa_private_segment_fixed_size 0
		.amdhsa_kernarg_size 120
		.amdhsa_user_sgpr_count 2
		.amdhsa_user_sgpr_dispatch_ptr 0
		.amdhsa_user_sgpr_queue_ptr 0
		.amdhsa_user_sgpr_kernarg_segment_ptr 1
		.amdhsa_user_sgpr_dispatch_id 0
		.amdhsa_user_sgpr_kernarg_preload_length 0
		.amdhsa_user_sgpr_kernarg_preload_offset 0
		.amdhsa_user_sgpr_private_segment_size 0
		.amdhsa_uses_dynamic_stack 0
		.amdhsa_enable_private_segment 0
		.amdhsa_system_sgpr_workgroup_id_x 1
		.amdhsa_system_sgpr_workgroup_id_y 0
		.amdhsa_system_sgpr_workgroup_id_z 0
		.amdhsa_system_sgpr_workgroup_info 0
		.amdhsa_system_vgpr_workitem_id 0
		.amdhsa_next_free_vgpr 1
		.amdhsa_next_free_sgpr 0
		.amdhsa_accum_offset 4
		.amdhsa_reserve_vcc 0
		.amdhsa_float_round_mode_32 0
		.amdhsa_float_round_mode_16_64 0
		.amdhsa_float_denorm_mode_32 3
		.amdhsa_float_denorm_mode_16_64 3
		.amdhsa_dx10_clamp 1
		.amdhsa_ieee_mode 1
		.amdhsa_fp16_overflow 0
		.amdhsa_tg_split 0
		.amdhsa_exception_fp_ieee_invalid_op 0
		.amdhsa_exception_fp_denorm_src 0
		.amdhsa_exception_fp_ieee_div_zero 0
		.amdhsa_exception_fp_ieee_overflow 0
		.amdhsa_exception_fp_ieee_underflow 0
		.amdhsa_exception_fp_ieee_inexact 0
		.amdhsa_exception_int_div_zero 0
	.end_amdhsa_kernel
	.section	.text._ZN7rocprim17ROCPRIM_400000_NS6detail17trampoline_kernelINS0_14default_configENS1_25partition_config_selectorILNS1_17partition_subalgoE8ElNS0_10empty_typeEbEEZZNS1_14partition_implILS5_8ELb0ES3_jPlPS6_PKS6_NS0_5tupleIJS9_S6_EEENSD_IJSA_SA_EEENS0_18inequality_wrapperIZN2at6native12_GLOBAL__N_124unique_dim_cuda_templateImEESt5tupleIJNSH_6TensorESM_SM_EERKSM_lbbbEUlllE0_EEPmJS6_EEE10hipError_tPvRmT3_T4_T5_T6_T7_T9_mT8_P12ihipStream_tbDpT10_ENKUlT_T0_E_clISt17integral_constantIbLb1EES1B_IbLb0EEEEDaS17_S18_EUlS17_E_NS1_11comp_targetILNS1_3genE10ELNS1_11target_archE1200ELNS1_3gpuE4ELNS1_3repE0EEENS1_30default_config_static_selectorELNS0_4arch9wavefront6targetE1EEEvT1_,"axG",@progbits,_ZN7rocprim17ROCPRIM_400000_NS6detail17trampoline_kernelINS0_14default_configENS1_25partition_config_selectorILNS1_17partition_subalgoE8ElNS0_10empty_typeEbEEZZNS1_14partition_implILS5_8ELb0ES3_jPlPS6_PKS6_NS0_5tupleIJS9_S6_EEENSD_IJSA_SA_EEENS0_18inequality_wrapperIZN2at6native12_GLOBAL__N_124unique_dim_cuda_templateImEESt5tupleIJNSH_6TensorESM_SM_EERKSM_lbbbEUlllE0_EEPmJS6_EEE10hipError_tPvRmT3_T4_T5_T6_T7_T9_mT8_P12ihipStream_tbDpT10_ENKUlT_T0_E_clISt17integral_constantIbLb1EES1B_IbLb0EEEEDaS17_S18_EUlS17_E_NS1_11comp_targetILNS1_3genE10ELNS1_11target_archE1200ELNS1_3gpuE4ELNS1_3repE0EEENS1_30default_config_static_selectorELNS0_4arch9wavefront6targetE1EEEvT1_,comdat
.Lfunc_end1684:
	.size	_ZN7rocprim17ROCPRIM_400000_NS6detail17trampoline_kernelINS0_14default_configENS1_25partition_config_selectorILNS1_17partition_subalgoE8ElNS0_10empty_typeEbEEZZNS1_14partition_implILS5_8ELb0ES3_jPlPS6_PKS6_NS0_5tupleIJS9_S6_EEENSD_IJSA_SA_EEENS0_18inequality_wrapperIZN2at6native12_GLOBAL__N_124unique_dim_cuda_templateImEESt5tupleIJNSH_6TensorESM_SM_EERKSM_lbbbEUlllE0_EEPmJS6_EEE10hipError_tPvRmT3_T4_T5_T6_T7_T9_mT8_P12ihipStream_tbDpT10_ENKUlT_T0_E_clISt17integral_constantIbLb1EES1B_IbLb0EEEEDaS17_S18_EUlS17_E_NS1_11comp_targetILNS1_3genE10ELNS1_11target_archE1200ELNS1_3gpuE4ELNS1_3repE0EEENS1_30default_config_static_selectorELNS0_4arch9wavefront6targetE1EEEvT1_, .Lfunc_end1684-_ZN7rocprim17ROCPRIM_400000_NS6detail17trampoline_kernelINS0_14default_configENS1_25partition_config_selectorILNS1_17partition_subalgoE8ElNS0_10empty_typeEbEEZZNS1_14partition_implILS5_8ELb0ES3_jPlPS6_PKS6_NS0_5tupleIJS9_S6_EEENSD_IJSA_SA_EEENS0_18inequality_wrapperIZN2at6native12_GLOBAL__N_124unique_dim_cuda_templateImEESt5tupleIJNSH_6TensorESM_SM_EERKSM_lbbbEUlllE0_EEPmJS6_EEE10hipError_tPvRmT3_T4_T5_T6_T7_T9_mT8_P12ihipStream_tbDpT10_ENKUlT_T0_E_clISt17integral_constantIbLb1EES1B_IbLb0EEEEDaS17_S18_EUlS17_E_NS1_11comp_targetILNS1_3genE10ELNS1_11target_archE1200ELNS1_3gpuE4ELNS1_3repE0EEENS1_30default_config_static_selectorELNS0_4arch9wavefront6targetE1EEEvT1_
                                        ; -- End function
	.set _ZN7rocprim17ROCPRIM_400000_NS6detail17trampoline_kernelINS0_14default_configENS1_25partition_config_selectorILNS1_17partition_subalgoE8ElNS0_10empty_typeEbEEZZNS1_14partition_implILS5_8ELb0ES3_jPlPS6_PKS6_NS0_5tupleIJS9_S6_EEENSD_IJSA_SA_EEENS0_18inequality_wrapperIZN2at6native12_GLOBAL__N_124unique_dim_cuda_templateImEESt5tupleIJNSH_6TensorESM_SM_EERKSM_lbbbEUlllE0_EEPmJS6_EEE10hipError_tPvRmT3_T4_T5_T6_T7_T9_mT8_P12ihipStream_tbDpT10_ENKUlT_T0_E_clISt17integral_constantIbLb1EES1B_IbLb0EEEEDaS17_S18_EUlS17_E_NS1_11comp_targetILNS1_3genE10ELNS1_11target_archE1200ELNS1_3gpuE4ELNS1_3repE0EEENS1_30default_config_static_selectorELNS0_4arch9wavefront6targetE1EEEvT1_.num_vgpr, 0
	.set _ZN7rocprim17ROCPRIM_400000_NS6detail17trampoline_kernelINS0_14default_configENS1_25partition_config_selectorILNS1_17partition_subalgoE8ElNS0_10empty_typeEbEEZZNS1_14partition_implILS5_8ELb0ES3_jPlPS6_PKS6_NS0_5tupleIJS9_S6_EEENSD_IJSA_SA_EEENS0_18inequality_wrapperIZN2at6native12_GLOBAL__N_124unique_dim_cuda_templateImEESt5tupleIJNSH_6TensorESM_SM_EERKSM_lbbbEUlllE0_EEPmJS6_EEE10hipError_tPvRmT3_T4_T5_T6_T7_T9_mT8_P12ihipStream_tbDpT10_ENKUlT_T0_E_clISt17integral_constantIbLb1EES1B_IbLb0EEEEDaS17_S18_EUlS17_E_NS1_11comp_targetILNS1_3genE10ELNS1_11target_archE1200ELNS1_3gpuE4ELNS1_3repE0EEENS1_30default_config_static_selectorELNS0_4arch9wavefront6targetE1EEEvT1_.num_agpr, 0
	.set _ZN7rocprim17ROCPRIM_400000_NS6detail17trampoline_kernelINS0_14default_configENS1_25partition_config_selectorILNS1_17partition_subalgoE8ElNS0_10empty_typeEbEEZZNS1_14partition_implILS5_8ELb0ES3_jPlPS6_PKS6_NS0_5tupleIJS9_S6_EEENSD_IJSA_SA_EEENS0_18inequality_wrapperIZN2at6native12_GLOBAL__N_124unique_dim_cuda_templateImEESt5tupleIJNSH_6TensorESM_SM_EERKSM_lbbbEUlllE0_EEPmJS6_EEE10hipError_tPvRmT3_T4_T5_T6_T7_T9_mT8_P12ihipStream_tbDpT10_ENKUlT_T0_E_clISt17integral_constantIbLb1EES1B_IbLb0EEEEDaS17_S18_EUlS17_E_NS1_11comp_targetILNS1_3genE10ELNS1_11target_archE1200ELNS1_3gpuE4ELNS1_3repE0EEENS1_30default_config_static_selectorELNS0_4arch9wavefront6targetE1EEEvT1_.numbered_sgpr, 0
	.set _ZN7rocprim17ROCPRIM_400000_NS6detail17trampoline_kernelINS0_14default_configENS1_25partition_config_selectorILNS1_17partition_subalgoE8ElNS0_10empty_typeEbEEZZNS1_14partition_implILS5_8ELb0ES3_jPlPS6_PKS6_NS0_5tupleIJS9_S6_EEENSD_IJSA_SA_EEENS0_18inequality_wrapperIZN2at6native12_GLOBAL__N_124unique_dim_cuda_templateImEESt5tupleIJNSH_6TensorESM_SM_EERKSM_lbbbEUlllE0_EEPmJS6_EEE10hipError_tPvRmT3_T4_T5_T6_T7_T9_mT8_P12ihipStream_tbDpT10_ENKUlT_T0_E_clISt17integral_constantIbLb1EES1B_IbLb0EEEEDaS17_S18_EUlS17_E_NS1_11comp_targetILNS1_3genE10ELNS1_11target_archE1200ELNS1_3gpuE4ELNS1_3repE0EEENS1_30default_config_static_selectorELNS0_4arch9wavefront6targetE1EEEvT1_.num_named_barrier, 0
	.set _ZN7rocprim17ROCPRIM_400000_NS6detail17trampoline_kernelINS0_14default_configENS1_25partition_config_selectorILNS1_17partition_subalgoE8ElNS0_10empty_typeEbEEZZNS1_14partition_implILS5_8ELb0ES3_jPlPS6_PKS6_NS0_5tupleIJS9_S6_EEENSD_IJSA_SA_EEENS0_18inequality_wrapperIZN2at6native12_GLOBAL__N_124unique_dim_cuda_templateImEESt5tupleIJNSH_6TensorESM_SM_EERKSM_lbbbEUlllE0_EEPmJS6_EEE10hipError_tPvRmT3_T4_T5_T6_T7_T9_mT8_P12ihipStream_tbDpT10_ENKUlT_T0_E_clISt17integral_constantIbLb1EES1B_IbLb0EEEEDaS17_S18_EUlS17_E_NS1_11comp_targetILNS1_3genE10ELNS1_11target_archE1200ELNS1_3gpuE4ELNS1_3repE0EEENS1_30default_config_static_selectorELNS0_4arch9wavefront6targetE1EEEvT1_.private_seg_size, 0
	.set _ZN7rocprim17ROCPRIM_400000_NS6detail17trampoline_kernelINS0_14default_configENS1_25partition_config_selectorILNS1_17partition_subalgoE8ElNS0_10empty_typeEbEEZZNS1_14partition_implILS5_8ELb0ES3_jPlPS6_PKS6_NS0_5tupleIJS9_S6_EEENSD_IJSA_SA_EEENS0_18inequality_wrapperIZN2at6native12_GLOBAL__N_124unique_dim_cuda_templateImEESt5tupleIJNSH_6TensorESM_SM_EERKSM_lbbbEUlllE0_EEPmJS6_EEE10hipError_tPvRmT3_T4_T5_T6_T7_T9_mT8_P12ihipStream_tbDpT10_ENKUlT_T0_E_clISt17integral_constantIbLb1EES1B_IbLb0EEEEDaS17_S18_EUlS17_E_NS1_11comp_targetILNS1_3genE10ELNS1_11target_archE1200ELNS1_3gpuE4ELNS1_3repE0EEENS1_30default_config_static_selectorELNS0_4arch9wavefront6targetE1EEEvT1_.uses_vcc, 0
	.set _ZN7rocprim17ROCPRIM_400000_NS6detail17trampoline_kernelINS0_14default_configENS1_25partition_config_selectorILNS1_17partition_subalgoE8ElNS0_10empty_typeEbEEZZNS1_14partition_implILS5_8ELb0ES3_jPlPS6_PKS6_NS0_5tupleIJS9_S6_EEENSD_IJSA_SA_EEENS0_18inequality_wrapperIZN2at6native12_GLOBAL__N_124unique_dim_cuda_templateImEESt5tupleIJNSH_6TensorESM_SM_EERKSM_lbbbEUlllE0_EEPmJS6_EEE10hipError_tPvRmT3_T4_T5_T6_T7_T9_mT8_P12ihipStream_tbDpT10_ENKUlT_T0_E_clISt17integral_constantIbLb1EES1B_IbLb0EEEEDaS17_S18_EUlS17_E_NS1_11comp_targetILNS1_3genE10ELNS1_11target_archE1200ELNS1_3gpuE4ELNS1_3repE0EEENS1_30default_config_static_selectorELNS0_4arch9wavefront6targetE1EEEvT1_.uses_flat_scratch, 0
	.set _ZN7rocprim17ROCPRIM_400000_NS6detail17trampoline_kernelINS0_14default_configENS1_25partition_config_selectorILNS1_17partition_subalgoE8ElNS0_10empty_typeEbEEZZNS1_14partition_implILS5_8ELb0ES3_jPlPS6_PKS6_NS0_5tupleIJS9_S6_EEENSD_IJSA_SA_EEENS0_18inequality_wrapperIZN2at6native12_GLOBAL__N_124unique_dim_cuda_templateImEESt5tupleIJNSH_6TensorESM_SM_EERKSM_lbbbEUlllE0_EEPmJS6_EEE10hipError_tPvRmT3_T4_T5_T6_T7_T9_mT8_P12ihipStream_tbDpT10_ENKUlT_T0_E_clISt17integral_constantIbLb1EES1B_IbLb0EEEEDaS17_S18_EUlS17_E_NS1_11comp_targetILNS1_3genE10ELNS1_11target_archE1200ELNS1_3gpuE4ELNS1_3repE0EEENS1_30default_config_static_selectorELNS0_4arch9wavefront6targetE1EEEvT1_.has_dyn_sized_stack, 0
	.set _ZN7rocprim17ROCPRIM_400000_NS6detail17trampoline_kernelINS0_14default_configENS1_25partition_config_selectorILNS1_17partition_subalgoE8ElNS0_10empty_typeEbEEZZNS1_14partition_implILS5_8ELb0ES3_jPlPS6_PKS6_NS0_5tupleIJS9_S6_EEENSD_IJSA_SA_EEENS0_18inequality_wrapperIZN2at6native12_GLOBAL__N_124unique_dim_cuda_templateImEESt5tupleIJNSH_6TensorESM_SM_EERKSM_lbbbEUlllE0_EEPmJS6_EEE10hipError_tPvRmT3_T4_T5_T6_T7_T9_mT8_P12ihipStream_tbDpT10_ENKUlT_T0_E_clISt17integral_constantIbLb1EES1B_IbLb0EEEEDaS17_S18_EUlS17_E_NS1_11comp_targetILNS1_3genE10ELNS1_11target_archE1200ELNS1_3gpuE4ELNS1_3repE0EEENS1_30default_config_static_selectorELNS0_4arch9wavefront6targetE1EEEvT1_.has_recursion, 0
	.set _ZN7rocprim17ROCPRIM_400000_NS6detail17trampoline_kernelINS0_14default_configENS1_25partition_config_selectorILNS1_17partition_subalgoE8ElNS0_10empty_typeEbEEZZNS1_14partition_implILS5_8ELb0ES3_jPlPS6_PKS6_NS0_5tupleIJS9_S6_EEENSD_IJSA_SA_EEENS0_18inequality_wrapperIZN2at6native12_GLOBAL__N_124unique_dim_cuda_templateImEESt5tupleIJNSH_6TensorESM_SM_EERKSM_lbbbEUlllE0_EEPmJS6_EEE10hipError_tPvRmT3_T4_T5_T6_T7_T9_mT8_P12ihipStream_tbDpT10_ENKUlT_T0_E_clISt17integral_constantIbLb1EES1B_IbLb0EEEEDaS17_S18_EUlS17_E_NS1_11comp_targetILNS1_3genE10ELNS1_11target_archE1200ELNS1_3gpuE4ELNS1_3repE0EEENS1_30default_config_static_selectorELNS0_4arch9wavefront6targetE1EEEvT1_.has_indirect_call, 0
	.section	.AMDGPU.csdata,"",@progbits
; Kernel info:
; codeLenInByte = 0
; TotalNumSgprs: 6
; NumVgprs: 0
; NumAgprs: 0
; TotalNumVgprs: 0
; ScratchSize: 0
; MemoryBound: 0
; FloatMode: 240
; IeeeMode: 1
; LDSByteSize: 0 bytes/workgroup (compile time only)
; SGPRBlocks: 0
; VGPRBlocks: 0
; NumSGPRsForWavesPerEU: 6
; NumVGPRsForWavesPerEU: 1
; AccumOffset: 4
; Occupancy: 8
; WaveLimiterHint : 0
; COMPUTE_PGM_RSRC2:SCRATCH_EN: 0
; COMPUTE_PGM_RSRC2:USER_SGPR: 2
; COMPUTE_PGM_RSRC2:TRAP_HANDLER: 0
; COMPUTE_PGM_RSRC2:TGID_X_EN: 1
; COMPUTE_PGM_RSRC2:TGID_Y_EN: 0
; COMPUTE_PGM_RSRC2:TGID_Z_EN: 0
; COMPUTE_PGM_RSRC2:TIDIG_COMP_CNT: 0
; COMPUTE_PGM_RSRC3_GFX90A:ACCUM_OFFSET: 0
; COMPUTE_PGM_RSRC3_GFX90A:TG_SPLIT: 0
	.section	.text._ZN7rocprim17ROCPRIM_400000_NS6detail17trampoline_kernelINS0_14default_configENS1_25partition_config_selectorILNS1_17partition_subalgoE8ElNS0_10empty_typeEbEEZZNS1_14partition_implILS5_8ELb0ES3_jPlPS6_PKS6_NS0_5tupleIJS9_S6_EEENSD_IJSA_SA_EEENS0_18inequality_wrapperIZN2at6native12_GLOBAL__N_124unique_dim_cuda_templateImEESt5tupleIJNSH_6TensorESM_SM_EERKSM_lbbbEUlllE0_EEPmJS6_EEE10hipError_tPvRmT3_T4_T5_T6_T7_T9_mT8_P12ihipStream_tbDpT10_ENKUlT_T0_E_clISt17integral_constantIbLb1EES1B_IbLb0EEEEDaS17_S18_EUlS17_E_NS1_11comp_targetILNS1_3genE9ELNS1_11target_archE1100ELNS1_3gpuE3ELNS1_3repE0EEENS1_30default_config_static_selectorELNS0_4arch9wavefront6targetE1EEEvT1_,"axG",@progbits,_ZN7rocprim17ROCPRIM_400000_NS6detail17trampoline_kernelINS0_14default_configENS1_25partition_config_selectorILNS1_17partition_subalgoE8ElNS0_10empty_typeEbEEZZNS1_14partition_implILS5_8ELb0ES3_jPlPS6_PKS6_NS0_5tupleIJS9_S6_EEENSD_IJSA_SA_EEENS0_18inequality_wrapperIZN2at6native12_GLOBAL__N_124unique_dim_cuda_templateImEESt5tupleIJNSH_6TensorESM_SM_EERKSM_lbbbEUlllE0_EEPmJS6_EEE10hipError_tPvRmT3_T4_T5_T6_T7_T9_mT8_P12ihipStream_tbDpT10_ENKUlT_T0_E_clISt17integral_constantIbLb1EES1B_IbLb0EEEEDaS17_S18_EUlS17_E_NS1_11comp_targetILNS1_3genE9ELNS1_11target_archE1100ELNS1_3gpuE3ELNS1_3repE0EEENS1_30default_config_static_selectorELNS0_4arch9wavefront6targetE1EEEvT1_,comdat
	.globl	_ZN7rocprim17ROCPRIM_400000_NS6detail17trampoline_kernelINS0_14default_configENS1_25partition_config_selectorILNS1_17partition_subalgoE8ElNS0_10empty_typeEbEEZZNS1_14partition_implILS5_8ELb0ES3_jPlPS6_PKS6_NS0_5tupleIJS9_S6_EEENSD_IJSA_SA_EEENS0_18inequality_wrapperIZN2at6native12_GLOBAL__N_124unique_dim_cuda_templateImEESt5tupleIJNSH_6TensorESM_SM_EERKSM_lbbbEUlllE0_EEPmJS6_EEE10hipError_tPvRmT3_T4_T5_T6_T7_T9_mT8_P12ihipStream_tbDpT10_ENKUlT_T0_E_clISt17integral_constantIbLb1EES1B_IbLb0EEEEDaS17_S18_EUlS17_E_NS1_11comp_targetILNS1_3genE9ELNS1_11target_archE1100ELNS1_3gpuE3ELNS1_3repE0EEENS1_30default_config_static_selectorELNS0_4arch9wavefront6targetE1EEEvT1_ ; -- Begin function _ZN7rocprim17ROCPRIM_400000_NS6detail17trampoline_kernelINS0_14default_configENS1_25partition_config_selectorILNS1_17partition_subalgoE8ElNS0_10empty_typeEbEEZZNS1_14partition_implILS5_8ELb0ES3_jPlPS6_PKS6_NS0_5tupleIJS9_S6_EEENSD_IJSA_SA_EEENS0_18inequality_wrapperIZN2at6native12_GLOBAL__N_124unique_dim_cuda_templateImEESt5tupleIJNSH_6TensorESM_SM_EERKSM_lbbbEUlllE0_EEPmJS6_EEE10hipError_tPvRmT3_T4_T5_T6_T7_T9_mT8_P12ihipStream_tbDpT10_ENKUlT_T0_E_clISt17integral_constantIbLb1EES1B_IbLb0EEEEDaS17_S18_EUlS17_E_NS1_11comp_targetILNS1_3genE9ELNS1_11target_archE1100ELNS1_3gpuE3ELNS1_3repE0EEENS1_30default_config_static_selectorELNS0_4arch9wavefront6targetE1EEEvT1_
	.p2align	8
	.type	_ZN7rocprim17ROCPRIM_400000_NS6detail17trampoline_kernelINS0_14default_configENS1_25partition_config_selectorILNS1_17partition_subalgoE8ElNS0_10empty_typeEbEEZZNS1_14partition_implILS5_8ELb0ES3_jPlPS6_PKS6_NS0_5tupleIJS9_S6_EEENSD_IJSA_SA_EEENS0_18inequality_wrapperIZN2at6native12_GLOBAL__N_124unique_dim_cuda_templateImEESt5tupleIJNSH_6TensorESM_SM_EERKSM_lbbbEUlllE0_EEPmJS6_EEE10hipError_tPvRmT3_T4_T5_T6_T7_T9_mT8_P12ihipStream_tbDpT10_ENKUlT_T0_E_clISt17integral_constantIbLb1EES1B_IbLb0EEEEDaS17_S18_EUlS17_E_NS1_11comp_targetILNS1_3genE9ELNS1_11target_archE1100ELNS1_3gpuE3ELNS1_3repE0EEENS1_30default_config_static_selectorELNS0_4arch9wavefront6targetE1EEEvT1_,@function
_ZN7rocprim17ROCPRIM_400000_NS6detail17trampoline_kernelINS0_14default_configENS1_25partition_config_selectorILNS1_17partition_subalgoE8ElNS0_10empty_typeEbEEZZNS1_14partition_implILS5_8ELb0ES3_jPlPS6_PKS6_NS0_5tupleIJS9_S6_EEENSD_IJSA_SA_EEENS0_18inequality_wrapperIZN2at6native12_GLOBAL__N_124unique_dim_cuda_templateImEESt5tupleIJNSH_6TensorESM_SM_EERKSM_lbbbEUlllE0_EEPmJS6_EEE10hipError_tPvRmT3_T4_T5_T6_T7_T9_mT8_P12ihipStream_tbDpT10_ENKUlT_T0_E_clISt17integral_constantIbLb1EES1B_IbLb0EEEEDaS17_S18_EUlS17_E_NS1_11comp_targetILNS1_3genE9ELNS1_11target_archE1100ELNS1_3gpuE3ELNS1_3repE0EEENS1_30default_config_static_selectorELNS0_4arch9wavefront6targetE1EEEvT1_: ; @_ZN7rocprim17ROCPRIM_400000_NS6detail17trampoline_kernelINS0_14default_configENS1_25partition_config_selectorILNS1_17partition_subalgoE8ElNS0_10empty_typeEbEEZZNS1_14partition_implILS5_8ELb0ES3_jPlPS6_PKS6_NS0_5tupleIJS9_S6_EEENSD_IJSA_SA_EEENS0_18inequality_wrapperIZN2at6native12_GLOBAL__N_124unique_dim_cuda_templateImEESt5tupleIJNSH_6TensorESM_SM_EERKSM_lbbbEUlllE0_EEPmJS6_EEE10hipError_tPvRmT3_T4_T5_T6_T7_T9_mT8_P12ihipStream_tbDpT10_ENKUlT_T0_E_clISt17integral_constantIbLb1EES1B_IbLb0EEEEDaS17_S18_EUlS17_E_NS1_11comp_targetILNS1_3genE9ELNS1_11target_archE1100ELNS1_3gpuE3ELNS1_3repE0EEENS1_30default_config_static_selectorELNS0_4arch9wavefront6targetE1EEEvT1_
; %bb.0:
	.section	.rodata,"a",@progbits
	.p2align	6, 0x0
	.amdhsa_kernel _ZN7rocprim17ROCPRIM_400000_NS6detail17trampoline_kernelINS0_14default_configENS1_25partition_config_selectorILNS1_17partition_subalgoE8ElNS0_10empty_typeEbEEZZNS1_14partition_implILS5_8ELb0ES3_jPlPS6_PKS6_NS0_5tupleIJS9_S6_EEENSD_IJSA_SA_EEENS0_18inequality_wrapperIZN2at6native12_GLOBAL__N_124unique_dim_cuda_templateImEESt5tupleIJNSH_6TensorESM_SM_EERKSM_lbbbEUlllE0_EEPmJS6_EEE10hipError_tPvRmT3_T4_T5_T6_T7_T9_mT8_P12ihipStream_tbDpT10_ENKUlT_T0_E_clISt17integral_constantIbLb1EES1B_IbLb0EEEEDaS17_S18_EUlS17_E_NS1_11comp_targetILNS1_3genE9ELNS1_11target_archE1100ELNS1_3gpuE3ELNS1_3repE0EEENS1_30default_config_static_selectorELNS0_4arch9wavefront6targetE1EEEvT1_
		.amdhsa_group_segment_fixed_size 0
		.amdhsa_private_segment_fixed_size 0
		.amdhsa_kernarg_size 120
		.amdhsa_user_sgpr_count 2
		.amdhsa_user_sgpr_dispatch_ptr 0
		.amdhsa_user_sgpr_queue_ptr 0
		.amdhsa_user_sgpr_kernarg_segment_ptr 1
		.amdhsa_user_sgpr_dispatch_id 0
		.amdhsa_user_sgpr_kernarg_preload_length 0
		.amdhsa_user_sgpr_kernarg_preload_offset 0
		.amdhsa_user_sgpr_private_segment_size 0
		.amdhsa_uses_dynamic_stack 0
		.amdhsa_enable_private_segment 0
		.amdhsa_system_sgpr_workgroup_id_x 1
		.amdhsa_system_sgpr_workgroup_id_y 0
		.amdhsa_system_sgpr_workgroup_id_z 0
		.amdhsa_system_sgpr_workgroup_info 0
		.amdhsa_system_vgpr_workitem_id 0
		.amdhsa_next_free_vgpr 1
		.amdhsa_next_free_sgpr 0
		.amdhsa_accum_offset 4
		.amdhsa_reserve_vcc 0
		.amdhsa_float_round_mode_32 0
		.amdhsa_float_round_mode_16_64 0
		.amdhsa_float_denorm_mode_32 3
		.amdhsa_float_denorm_mode_16_64 3
		.amdhsa_dx10_clamp 1
		.amdhsa_ieee_mode 1
		.amdhsa_fp16_overflow 0
		.amdhsa_tg_split 0
		.amdhsa_exception_fp_ieee_invalid_op 0
		.amdhsa_exception_fp_denorm_src 0
		.amdhsa_exception_fp_ieee_div_zero 0
		.amdhsa_exception_fp_ieee_overflow 0
		.amdhsa_exception_fp_ieee_underflow 0
		.amdhsa_exception_fp_ieee_inexact 0
		.amdhsa_exception_int_div_zero 0
	.end_amdhsa_kernel
	.section	.text._ZN7rocprim17ROCPRIM_400000_NS6detail17trampoline_kernelINS0_14default_configENS1_25partition_config_selectorILNS1_17partition_subalgoE8ElNS0_10empty_typeEbEEZZNS1_14partition_implILS5_8ELb0ES3_jPlPS6_PKS6_NS0_5tupleIJS9_S6_EEENSD_IJSA_SA_EEENS0_18inequality_wrapperIZN2at6native12_GLOBAL__N_124unique_dim_cuda_templateImEESt5tupleIJNSH_6TensorESM_SM_EERKSM_lbbbEUlllE0_EEPmJS6_EEE10hipError_tPvRmT3_T4_T5_T6_T7_T9_mT8_P12ihipStream_tbDpT10_ENKUlT_T0_E_clISt17integral_constantIbLb1EES1B_IbLb0EEEEDaS17_S18_EUlS17_E_NS1_11comp_targetILNS1_3genE9ELNS1_11target_archE1100ELNS1_3gpuE3ELNS1_3repE0EEENS1_30default_config_static_selectorELNS0_4arch9wavefront6targetE1EEEvT1_,"axG",@progbits,_ZN7rocprim17ROCPRIM_400000_NS6detail17trampoline_kernelINS0_14default_configENS1_25partition_config_selectorILNS1_17partition_subalgoE8ElNS0_10empty_typeEbEEZZNS1_14partition_implILS5_8ELb0ES3_jPlPS6_PKS6_NS0_5tupleIJS9_S6_EEENSD_IJSA_SA_EEENS0_18inequality_wrapperIZN2at6native12_GLOBAL__N_124unique_dim_cuda_templateImEESt5tupleIJNSH_6TensorESM_SM_EERKSM_lbbbEUlllE0_EEPmJS6_EEE10hipError_tPvRmT3_T4_T5_T6_T7_T9_mT8_P12ihipStream_tbDpT10_ENKUlT_T0_E_clISt17integral_constantIbLb1EES1B_IbLb0EEEEDaS17_S18_EUlS17_E_NS1_11comp_targetILNS1_3genE9ELNS1_11target_archE1100ELNS1_3gpuE3ELNS1_3repE0EEENS1_30default_config_static_selectorELNS0_4arch9wavefront6targetE1EEEvT1_,comdat
.Lfunc_end1685:
	.size	_ZN7rocprim17ROCPRIM_400000_NS6detail17trampoline_kernelINS0_14default_configENS1_25partition_config_selectorILNS1_17partition_subalgoE8ElNS0_10empty_typeEbEEZZNS1_14partition_implILS5_8ELb0ES3_jPlPS6_PKS6_NS0_5tupleIJS9_S6_EEENSD_IJSA_SA_EEENS0_18inequality_wrapperIZN2at6native12_GLOBAL__N_124unique_dim_cuda_templateImEESt5tupleIJNSH_6TensorESM_SM_EERKSM_lbbbEUlllE0_EEPmJS6_EEE10hipError_tPvRmT3_T4_T5_T6_T7_T9_mT8_P12ihipStream_tbDpT10_ENKUlT_T0_E_clISt17integral_constantIbLb1EES1B_IbLb0EEEEDaS17_S18_EUlS17_E_NS1_11comp_targetILNS1_3genE9ELNS1_11target_archE1100ELNS1_3gpuE3ELNS1_3repE0EEENS1_30default_config_static_selectorELNS0_4arch9wavefront6targetE1EEEvT1_, .Lfunc_end1685-_ZN7rocprim17ROCPRIM_400000_NS6detail17trampoline_kernelINS0_14default_configENS1_25partition_config_selectorILNS1_17partition_subalgoE8ElNS0_10empty_typeEbEEZZNS1_14partition_implILS5_8ELb0ES3_jPlPS6_PKS6_NS0_5tupleIJS9_S6_EEENSD_IJSA_SA_EEENS0_18inequality_wrapperIZN2at6native12_GLOBAL__N_124unique_dim_cuda_templateImEESt5tupleIJNSH_6TensorESM_SM_EERKSM_lbbbEUlllE0_EEPmJS6_EEE10hipError_tPvRmT3_T4_T5_T6_T7_T9_mT8_P12ihipStream_tbDpT10_ENKUlT_T0_E_clISt17integral_constantIbLb1EES1B_IbLb0EEEEDaS17_S18_EUlS17_E_NS1_11comp_targetILNS1_3genE9ELNS1_11target_archE1100ELNS1_3gpuE3ELNS1_3repE0EEENS1_30default_config_static_selectorELNS0_4arch9wavefront6targetE1EEEvT1_
                                        ; -- End function
	.set _ZN7rocprim17ROCPRIM_400000_NS6detail17trampoline_kernelINS0_14default_configENS1_25partition_config_selectorILNS1_17partition_subalgoE8ElNS0_10empty_typeEbEEZZNS1_14partition_implILS5_8ELb0ES3_jPlPS6_PKS6_NS0_5tupleIJS9_S6_EEENSD_IJSA_SA_EEENS0_18inequality_wrapperIZN2at6native12_GLOBAL__N_124unique_dim_cuda_templateImEESt5tupleIJNSH_6TensorESM_SM_EERKSM_lbbbEUlllE0_EEPmJS6_EEE10hipError_tPvRmT3_T4_T5_T6_T7_T9_mT8_P12ihipStream_tbDpT10_ENKUlT_T0_E_clISt17integral_constantIbLb1EES1B_IbLb0EEEEDaS17_S18_EUlS17_E_NS1_11comp_targetILNS1_3genE9ELNS1_11target_archE1100ELNS1_3gpuE3ELNS1_3repE0EEENS1_30default_config_static_selectorELNS0_4arch9wavefront6targetE1EEEvT1_.num_vgpr, 0
	.set _ZN7rocprim17ROCPRIM_400000_NS6detail17trampoline_kernelINS0_14default_configENS1_25partition_config_selectorILNS1_17partition_subalgoE8ElNS0_10empty_typeEbEEZZNS1_14partition_implILS5_8ELb0ES3_jPlPS6_PKS6_NS0_5tupleIJS9_S6_EEENSD_IJSA_SA_EEENS0_18inequality_wrapperIZN2at6native12_GLOBAL__N_124unique_dim_cuda_templateImEESt5tupleIJNSH_6TensorESM_SM_EERKSM_lbbbEUlllE0_EEPmJS6_EEE10hipError_tPvRmT3_T4_T5_T6_T7_T9_mT8_P12ihipStream_tbDpT10_ENKUlT_T0_E_clISt17integral_constantIbLb1EES1B_IbLb0EEEEDaS17_S18_EUlS17_E_NS1_11comp_targetILNS1_3genE9ELNS1_11target_archE1100ELNS1_3gpuE3ELNS1_3repE0EEENS1_30default_config_static_selectorELNS0_4arch9wavefront6targetE1EEEvT1_.num_agpr, 0
	.set _ZN7rocprim17ROCPRIM_400000_NS6detail17trampoline_kernelINS0_14default_configENS1_25partition_config_selectorILNS1_17partition_subalgoE8ElNS0_10empty_typeEbEEZZNS1_14partition_implILS5_8ELb0ES3_jPlPS6_PKS6_NS0_5tupleIJS9_S6_EEENSD_IJSA_SA_EEENS0_18inequality_wrapperIZN2at6native12_GLOBAL__N_124unique_dim_cuda_templateImEESt5tupleIJNSH_6TensorESM_SM_EERKSM_lbbbEUlllE0_EEPmJS6_EEE10hipError_tPvRmT3_T4_T5_T6_T7_T9_mT8_P12ihipStream_tbDpT10_ENKUlT_T0_E_clISt17integral_constantIbLb1EES1B_IbLb0EEEEDaS17_S18_EUlS17_E_NS1_11comp_targetILNS1_3genE9ELNS1_11target_archE1100ELNS1_3gpuE3ELNS1_3repE0EEENS1_30default_config_static_selectorELNS0_4arch9wavefront6targetE1EEEvT1_.numbered_sgpr, 0
	.set _ZN7rocprim17ROCPRIM_400000_NS6detail17trampoline_kernelINS0_14default_configENS1_25partition_config_selectorILNS1_17partition_subalgoE8ElNS0_10empty_typeEbEEZZNS1_14partition_implILS5_8ELb0ES3_jPlPS6_PKS6_NS0_5tupleIJS9_S6_EEENSD_IJSA_SA_EEENS0_18inequality_wrapperIZN2at6native12_GLOBAL__N_124unique_dim_cuda_templateImEESt5tupleIJNSH_6TensorESM_SM_EERKSM_lbbbEUlllE0_EEPmJS6_EEE10hipError_tPvRmT3_T4_T5_T6_T7_T9_mT8_P12ihipStream_tbDpT10_ENKUlT_T0_E_clISt17integral_constantIbLb1EES1B_IbLb0EEEEDaS17_S18_EUlS17_E_NS1_11comp_targetILNS1_3genE9ELNS1_11target_archE1100ELNS1_3gpuE3ELNS1_3repE0EEENS1_30default_config_static_selectorELNS0_4arch9wavefront6targetE1EEEvT1_.num_named_barrier, 0
	.set _ZN7rocprim17ROCPRIM_400000_NS6detail17trampoline_kernelINS0_14default_configENS1_25partition_config_selectorILNS1_17partition_subalgoE8ElNS0_10empty_typeEbEEZZNS1_14partition_implILS5_8ELb0ES3_jPlPS6_PKS6_NS0_5tupleIJS9_S6_EEENSD_IJSA_SA_EEENS0_18inequality_wrapperIZN2at6native12_GLOBAL__N_124unique_dim_cuda_templateImEESt5tupleIJNSH_6TensorESM_SM_EERKSM_lbbbEUlllE0_EEPmJS6_EEE10hipError_tPvRmT3_T4_T5_T6_T7_T9_mT8_P12ihipStream_tbDpT10_ENKUlT_T0_E_clISt17integral_constantIbLb1EES1B_IbLb0EEEEDaS17_S18_EUlS17_E_NS1_11comp_targetILNS1_3genE9ELNS1_11target_archE1100ELNS1_3gpuE3ELNS1_3repE0EEENS1_30default_config_static_selectorELNS0_4arch9wavefront6targetE1EEEvT1_.private_seg_size, 0
	.set _ZN7rocprim17ROCPRIM_400000_NS6detail17trampoline_kernelINS0_14default_configENS1_25partition_config_selectorILNS1_17partition_subalgoE8ElNS0_10empty_typeEbEEZZNS1_14partition_implILS5_8ELb0ES3_jPlPS6_PKS6_NS0_5tupleIJS9_S6_EEENSD_IJSA_SA_EEENS0_18inequality_wrapperIZN2at6native12_GLOBAL__N_124unique_dim_cuda_templateImEESt5tupleIJNSH_6TensorESM_SM_EERKSM_lbbbEUlllE0_EEPmJS6_EEE10hipError_tPvRmT3_T4_T5_T6_T7_T9_mT8_P12ihipStream_tbDpT10_ENKUlT_T0_E_clISt17integral_constantIbLb1EES1B_IbLb0EEEEDaS17_S18_EUlS17_E_NS1_11comp_targetILNS1_3genE9ELNS1_11target_archE1100ELNS1_3gpuE3ELNS1_3repE0EEENS1_30default_config_static_selectorELNS0_4arch9wavefront6targetE1EEEvT1_.uses_vcc, 0
	.set _ZN7rocprim17ROCPRIM_400000_NS6detail17trampoline_kernelINS0_14default_configENS1_25partition_config_selectorILNS1_17partition_subalgoE8ElNS0_10empty_typeEbEEZZNS1_14partition_implILS5_8ELb0ES3_jPlPS6_PKS6_NS0_5tupleIJS9_S6_EEENSD_IJSA_SA_EEENS0_18inequality_wrapperIZN2at6native12_GLOBAL__N_124unique_dim_cuda_templateImEESt5tupleIJNSH_6TensorESM_SM_EERKSM_lbbbEUlllE0_EEPmJS6_EEE10hipError_tPvRmT3_T4_T5_T6_T7_T9_mT8_P12ihipStream_tbDpT10_ENKUlT_T0_E_clISt17integral_constantIbLb1EES1B_IbLb0EEEEDaS17_S18_EUlS17_E_NS1_11comp_targetILNS1_3genE9ELNS1_11target_archE1100ELNS1_3gpuE3ELNS1_3repE0EEENS1_30default_config_static_selectorELNS0_4arch9wavefront6targetE1EEEvT1_.uses_flat_scratch, 0
	.set _ZN7rocprim17ROCPRIM_400000_NS6detail17trampoline_kernelINS0_14default_configENS1_25partition_config_selectorILNS1_17partition_subalgoE8ElNS0_10empty_typeEbEEZZNS1_14partition_implILS5_8ELb0ES3_jPlPS6_PKS6_NS0_5tupleIJS9_S6_EEENSD_IJSA_SA_EEENS0_18inequality_wrapperIZN2at6native12_GLOBAL__N_124unique_dim_cuda_templateImEESt5tupleIJNSH_6TensorESM_SM_EERKSM_lbbbEUlllE0_EEPmJS6_EEE10hipError_tPvRmT3_T4_T5_T6_T7_T9_mT8_P12ihipStream_tbDpT10_ENKUlT_T0_E_clISt17integral_constantIbLb1EES1B_IbLb0EEEEDaS17_S18_EUlS17_E_NS1_11comp_targetILNS1_3genE9ELNS1_11target_archE1100ELNS1_3gpuE3ELNS1_3repE0EEENS1_30default_config_static_selectorELNS0_4arch9wavefront6targetE1EEEvT1_.has_dyn_sized_stack, 0
	.set _ZN7rocprim17ROCPRIM_400000_NS6detail17trampoline_kernelINS0_14default_configENS1_25partition_config_selectorILNS1_17partition_subalgoE8ElNS0_10empty_typeEbEEZZNS1_14partition_implILS5_8ELb0ES3_jPlPS6_PKS6_NS0_5tupleIJS9_S6_EEENSD_IJSA_SA_EEENS0_18inequality_wrapperIZN2at6native12_GLOBAL__N_124unique_dim_cuda_templateImEESt5tupleIJNSH_6TensorESM_SM_EERKSM_lbbbEUlllE0_EEPmJS6_EEE10hipError_tPvRmT3_T4_T5_T6_T7_T9_mT8_P12ihipStream_tbDpT10_ENKUlT_T0_E_clISt17integral_constantIbLb1EES1B_IbLb0EEEEDaS17_S18_EUlS17_E_NS1_11comp_targetILNS1_3genE9ELNS1_11target_archE1100ELNS1_3gpuE3ELNS1_3repE0EEENS1_30default_config_static_selectorELNS0_4arch9wavefront6targetE1EEEvT1_.has_recursion, 0
	.set _ZN7rocprim17ROCPRIM_400000_NS6detail17trampoline_kernelINS0_14default_configENS1_25partition_config_selectorILNS1_17partition_subalgoE8ElNS0_10empty_typeEbEEZZNS1_14partition_implILS5_8ELb0ES3_jPlPS6_PKS6_NS0_5tupleIJS9_S6_EEENSD_IJSA_SA_EEENS0_18inequality_wrapperIZN2at6native12_GLOBAL__N_124unique_dim_cuda_templateImEESt5tupleIJNSH_6TensorESM_SM_EERKSM_lbbbEUlllE0_EEPmJS6_EEE10hipError_tPvRmT3_T4_T5_T6_T7_T9_mT8_P12ihipStream_tbDpT10_ENKUlT_T0_E_clISt17integral_constantIbLb1EES1B_IbLb0EEEEDaS17_S18_EUlS17_E_NS1_11comp_targetILNS1_3genE9ELNS1_11target_archE1100ELNS1_3gpuE3ELNS1_3repE0EEENS1_30default_config_static_selectorELNS0_4arch9wavefront6targetE1EEEvT1_.has_indirect_call, 0
	.section	.AMDGPU.csdata,"",@progbits
; Kernel info:
; codeLenInByte = 0
; TotalNumSgprs: 6
; NumVgprs: 0
; NumAgprs: 0
; TotalNumVgprs: 0
; ScratchSize: 0
; MemoryBound: 0
; FloatMode: 240
; IeeeMode: 1
; LDSByteSize: 0 bytes/workgroup (compile time only)
; SGPRBlocks: 0
; VGPRBlocks: 0
; NumSGPRsForWavesPerEU: 6
; NumVGPRsForWavesPerEU: 1
; AccumOffset: 4
; Occupancy: 8
; WaveLimiterHint : 0
; COMPUTE_PGM_RSRC2:SCRATCH_EN: 0
; COMPUTE_PGM_RSRC2:USER_SGPR: 2
; COMPUTE_PGM_RSRC2:TRAP_HANDLER: 0
; COMPUTE_PGM_RSRC2:TGID_X_EN: 1
; COMPUTE_PGM_RSRC2:TGID_Y_EN: 0
; COMPUTE_PGM_RSRC2:TGID_Z_EN: 0
; COMPUTE_PGM_RSRC2:TIDIG_COMP_CNT: 0
; COMPUTE_PGM_RSRC3_GFX90A:ACCUM_OFFSET: 0
; COMPUTE_PGM_RSRC3_GFX90A:TG_SPLIT: 0
	.section	.text._ZN7rocprim17ROCPRIM_400000_NS6detail17trampoline_kernelINS0_14default_configENS1_25partition_config_selectorILNS1_17partition_subalgoE8ElNS0_10empty_typeEbEEZZNS1_14partition_implILS5_8ELb0ES3_jPlPS6_PKS6_NS0_5tupleIJS9_S6_EEENSD_IJSA_SA_EEENS0_18inequality_wrapperIZN2at6native12_GLOBAL__N_124unique_dim_cuda_templateImEESt5tupleIJNSH_6TensorESM_SM_EERKSM_lbbbEUlllE0_EEPmJS6_EEE10hipError_tPvRmT3_T4_T5_T6_T7_T9_mT8_P12ihipStream_tbDpT10_ENKUlT_T0_E_clISt17integral_constantIbLb1EES1B_IbLb0EEEEDaS17_S18_EUlS17_E_NS1_11comp_targetILNS1_3genE8ELNS1_11target_archE1030ELNS1_3gpuE2ELNS1_3repE0EEENS1_30default_config_static_selectorELNS0_4arch9wavefront6targetE1EEEvT1_,"axG",@progbits,_ZN7rocprim17ROCPRIM_400000_NS6detail17trampoline_kernelINS0_14default_configENS1_25partition_config_selectorILNS1_17partition_subalgoE8ElNS0_10empty_typeEbEEZZNS1_14partition_implILS5_8ELb0ES3_jPlPS6_PKS6_NS0_5tupleIJS9_S6_EEENSD_IJSA_SA_EEENS0_18inequality_wrapperIZN2at6native12_GLOBAL__N_124unique_dim_cuda_templateImEESt5tupleIJNSH_6TensorESM_SM_EERKSM_lbbbEUlllE0_EEPmJS6_EEE10hipError_tPvRmT3_T4_T5_T6_T7_T9_mT8_P12ihipStream_tbDpT10_ENKUlT_T0_E_clISt17integral_constantIbLb1EES1B_IbLb0EEEEDaS17_S18_EUlS17_E_NS1_11comp_targetILNS1_3genE8ELNS1_11target_archE1030ELNS1_3gpuE2ELNS1_3repE0EEENS1_30default_config_static_selectorELNS0_4arch9wavefront6targetE1EEEvT1_,comdat
	.globl	_ZN7rocprim17ROCPRIM_400000_NS6detail17trampoline_kernelINS0_14default_configENS1_25partition_config_selectorILNS1_17partition_subalgoE8ElNS0_10empty_typeEbEEZZNS1_14partition_implILS5_8ELb0ES3_jPlPS6_PKS6_NS0_5tupleIJS9_S6_EEENSD_IJSA_SA_EEENS0_18inequality_wrapperIZN2at6native12_GLOBAL__N_124unique_dim_cuda_templateImEESt5tupleIJNSH_6TensorESM_SM_EERKSM_lbbbEUlllE0_EEPmJS6_EEE10hipError_tPvRmT3_T4_T5_T6_T7_T9_mT8_P12ihipStream_tbDpT10_ENKUlT_T0_E_clISt17integral_constantIbLb1EES1B_IbLb0EEEEDaS17_S18_EUlS17_E_NS1_11comp_targetILNS1_3genE8ELNS1_11target_archE1030ELNS1_3gpuE2ELNS1_3repE0EEENS1_30default_config_static_selectorELNS0_4arch9wavefront6targetE1EEEvT1_ ; -- Begin function _ZN7rocprim17ROCPRIM_400000_NS6detail17trampoline_kernelINS0_14default_configENS1_25partition_config_selectorILNS1_17partition_subalgoE8ElNS0_10empty_typeEbEEZZNS1_14partition_implILS5_8ELb0ES3_jPlPS6_PKS6_NS0_5tupleIJS9_S6_EEENSD_IJSA_SA_EEENS0_18inequality_wrapperIZN2at6native12_GLOBAL__N_124unique_dim_cuda_templateImEESt5tupleIJNSH_6TensorESM_SM_EERKSM_lbbbEUlllE0_EEPmJS6_EEE10hipError_tPvRmT3_T4_T5_T6_T7_T9_mT8_P12ihipStream_tbDpT10_ENKUlT_T0_E_clISt17integral_constantIbLb1EES1B_IbLb0EEEEDaS17_S18_EUlS17_E_NS1_11comp_targetILNS1_3genE8ELNS1_11target_archE1030ELNS1_3gpuE2ELNS1_3repE0EEENS1_30default_config_static_selectorELNS0_4arch9wavefront6targetE1EEEvT1_
	.p2align	8
	.type	_ZN7rocprim17ROCPRIM_400000_NS6detail17trampoline_kernelINS0_14default_configENS1_25partition_config_selectorILNS1_17partition_subalgoE8ElNS0_10empty_typeEbEEZZNS1_14partition_implILS5_8ELb0ES3_jPlPS6_PKS6_NS0_5tupleIJS9_S6_EEENSD_IJSA_SA_EEENS0_18inequality_wrapperIZN2at6native12_GLOBAL__N_124unique_dim_cuda_templateImEESt5tupleIJNSH_6TensorESM_SM_EERKSM_lbbbEUlllE0_EEPmJS6_EEE10hipError_tPvRmT3_T4_T5_T6_T7_T9_mT8_P12ihipStream_tbDpT10_ENKUlT_T0_E_clISt17integral_constantIbLb1EES1B_IbLb0EEEEDaS17_S18_EUlS17_E_NS1_11comp_targetILNS1_3genE8ELNS1_11target_archE1030ELNS1_3gpuE2ELNS1_3repE0EEENS1_30default_config_static_selectorELNS0_4arch9wavefront6targetE1EEEvT1_,@function
_ZN7rocprim17ROCPRIM_400000_NS6detail17trampoline_kernelINS0_14default_configENS1_25partition_config_selectorILNS1_17partition_subalgoE8ElNS0_10empty_typeEbEEZZNS1_14partition_implILS5_8ELb0ES3_jPlPS6_PKS6_NS0_5tupleIJS9_S6_EEENSD_IJSA_SA_EEENS0_18inequality_wrapperIZN2at6native12_GLOBAL__N_124unique_dim_cuda_templateImEESt5tupleIJNSH_6TensorESM_SM_EERKSM_lbbbEUlllE0_EEPmJS6_EEE10hipError_tPvRmT3_T4_T5_T6_T7_T9_mT8_P12ihipStream_tbDpT10_ENKUlT_T0_E_clISt17integral_constantIbLb1EES1B_IbLb0EEEEDaS17_S18_EUlS17_E_NS1_11comp_targetILNS1_3genE8ELNS1_11target_archE1030ELNS1_3gpuE2ELNS1_3repE0EEENS1_30default_config_static_selectorELNS0_4arch9wavefront6targetE1EEEvT1_: ; @_ZN7rocprim17ROCPRIM_400000_NS6detail17trampoline_kernelINS0_14default_configENS1_25partition_config_selectorILNS1_17partition_subalgoE8ElNS0_10empty_typeEbEEZZNS1_14partition_implILS5_8ELb0ES3_jPlPS6_PKS6_NS0_5tupleIJS9_S6_EEENSD_IJSA_SA_EEENS0_18inequality_wrapperIZN2at6native12_GLOBAL__N_124unique_dim_cuda_templateImEESt5tupleIJNSH_6TensorESM_SM_EERKSM_lbbbEUlllE0_EEPmJS6_EEE10hipError_tPvRmT3_T4_T5_T6_T7_T9_mT8_P12ihipStream_tbDpT10_ENKUlT_T0_E_clISt17integral_constantIbLb1EES1B_IbLb0EEEEDaS17_S18_EUlS17_E_NS1_11comp_targetILNS1_3genE8ELNS1_11target_archE1030ELNS1_3gpuE2ELNS1_3repE0EEENS1_30default_config_static_selectorELNS0_4arch9wavefront6targetE1EEEvT1_
; %bb.0:
	.section	.rodata,"a",@progbits
	.p2align	6, 0x0
	.amdhsa_kernel _ZN7rocprim17ROCPRIM_400000_NS6detail17trampoline_kernelINS0_14default_configENS1_25partition_config_selectorILNS1_17partition_subalgoE8ElNS0_10empty_typeEbEEZZNS1_14partition_implILS5_8ELb0ES3_jPlPS6_PKS6_NS0_5tupleIJS9_S6_EEENSD_IJSA_SA_EEENS0_18inequality_wrapperIZN2at6native12_GLOBAL__N_124unique_dim_cuda_templateImEESt5tupleIJNSH_6TensorESM_SM_EERKSM_lbbbEUlllE0_EEPmJS6_EEE10hipError_tPvRmT3_T4_T5_T6_T7_T9_mT8_P12ihipStream_tbDpT10_ENKUlT_T0_E_clISt17integral_constantIbLb1EES1B_IbLb0EEEEDaS17_S18_EUlS17_E_NS1_11comp_targetILNS1_3genE8ELNS1_11target_archE1030ELNS1_3gpuE2ELNS1_3repE0EEENS1_30default_config_static_selectorELNS0_4arch9wavefront6targetE1EEEvT1_
		.amdhsa_group_segment_fixed_size 0
		.amdhsa_private_segment_fixed_size 0
		.amdhsa_kernarg_size 120
		.amdhsa_user_sgpr_count 2
		.amdhsa_user_sgpr_dispatch_ptr 0
		.amdhsa_user_sgpr_queue_ptr 0
		.amdhsa_user_sgpr_kernarg_segment_ptr 1
		.amdhsa_user_sgpr_dispatch_id 0
		.amdhsa_user_sgpr_kernarg_preload_length 0
		.amdhsa_user_sgpr_kernarg_preload_offset 0
		.amdhsa_user_sgpr_private_segment_size 0
		.amdhsa_uses_dynamic_stack 0
		.amdhsa_enable_private_segment 0
		.amdhsa_system_sgpr_workgroup_id_x 1
		.amdhsa_system_sgpr_workgroup_id_y 0
		.amdhsa_system_sgpr_workgroup_id_z 0
		.amdhsa_system_sgpr_workgroup_info 0
		.amdhsa_system_vgpr_workitem_id 0
		.amdhsa_next_free_vgpr 1
		.amdhsa_next_free_sgpr 0
		.amdhsa_accum_offset 4
		.amdhsa_reserve_vcc 0
		.amdhsa_float_round_mode_32 0
		.amdhsa_float_round_mode_16_64 0
		.amdhsa_float_denorm_mode_32 3
		.amdhsa_float_denorm_mode_16_64 3
		.amdhsa_dx10_clamp 1
		.amdhsa_ieee_mode 1
		.amdhsa_fp16_overflow 0
		.amdhsa_tg_split 0
		.amdhsa_exception_fp_ieee_invalid_op 0
		.amdhsa_exception_fp_denorm_src 0
		.amdhsa_exception_fp_ieee_div_zero 0
		.amdhsa_exception_fp_ieee_overflow 0
		.amdhsa_exception_fp_ieee_underflow 0
		.amdhsa_exception_fp_ieee_inexact 0
		.amdhsa_exception_int_div_zero 0
	.end_amdhsa_kernel
	.section	.text._ZN7rocprim17ROCPRIM_400000_NS6detail17trampoline_kernelINS0_14default_configENS1_25partition_config_selectorILNS1_17partition_subalgoE8ElNS0_10empty_typeEbEEZZNS1_14partition_implILS5_8ELb0ES3_jPlPS6_PKS6_NS0_5tupleIJS9_S6_EEENSD_IJSA_SA_EEENS0_18inequality_wrapperIZN2at6native12_GLOBAL__N_124unique_dim_cuda_templateImEESt5tupleIJNSH_6TensorESM_SM_EERKSM_lbbbEUlllE0_EEPmJS6_EEE10hipError_tPvRmT3_T4_T5_T6_T7_T9_mT8_P12ihipStream_tbDpT10_ENKUlT_T0_E_clISt17integral_constantIbLb1EES1B_IbLb0EEEEDaS17_S18_EUlS17_E_NS1_11comp_targetILNS1_3genE8ELNS1_11target_archE1030ELNS1_3gpuE2ELNS1_3repE0EEENS1_30default_config_static_selectorELNS0_4arch9wavefront6targetE1EEEvT1_,"axG",@progbits,_ZN7rocprim17ROCPRIM_400000_NS6detail17trampoline_kernelINS0_14default_configENS1_25partition_config_selectorILNS1_17partition_subalgoE8ElNS0_10empty_typeEbEEZZNS1_14partition_implILS5_8ELb0ES3_jPlPS6_PKS6_NS0_5tupleIJS9_S6_EEENSD_IJSA_SA_EEENS0_18inequality_wrapperIZN2at6native12_GLOBAL__N_124unique_dim_cuda_templateImEESt5tupleIJNSH_6TensorESM_SM_EERKSM_lbbbEUlllE0_EEPmJS6_EEE10hipError_tPvRmT3_T4_T5_T6_T7_T9_mT8_P12ihipStream_tbDpT10_ENKUlT_T0_E_clISt17integral_constantIbLb1EES1B_IbLb0EEEEDaS17_S18_EUlS17_E_NS1_11comp_targetILNS1_3genE8ELNS1_11target_archE1030ELNS1_3gpuE2ELNS1_3repE0EEENS1_30default_config_static_selectorELNS0_4arch9wavefront6targetE1EEEvT1_,comdat
.Lfunc_end1686:
	.size	_ZN7rocprim17ROCPRIM_400000_NS6detail17trampoline_kernelINS0_14default_configENS1_25partition_config_selectorILNS1_17partition_subalgoE8ElNS0_10empty_typeEbEEZZNS1_14partition_implILS5_8ELb0ES3_jPlPS6_PKS6_NS0_5tupleIJS9_S6_EEENSD_IJSA_SA_EEENS0_18inequality_wrapperIZN2at6native12_GLOBAL__N_124unique_dim_cuda_templateImEESt5tupleIJNSH_6TensorESM_SM_EERKSM_lbbbEUlllE0_EEPmJS6_EEE10hipError_tPvRmT3_T4_T5_T6_T7_T9_mT8_P12ihipStream_tbDpT10_ENKUlT_T0_E_clISt17integral_constantIbLb1EES1B_IbLb0EEEEDaS17_S18_EUlS17_E_NS1_11comp_targetILNS1_3genE8ELNS1_11target_archE1030ELNS1_3gpuE2ELNS1_3repE0EEENS1_30default_config_static_selectorELNS0_4arch9wavefront6targetE1EEEvT1_, .Lfunc_end1686-_ZN7rocprim17ROCPRIM_400000_NS6detail17trampoline_kernelINS0_14default_configENS1_25partition_config_selectorILNS1_17partition_subalgoE8ElNS0_10empty_typeEbEEZZNS1_14partition_implILS5_8ELb0ES3_jPlPS6_PKS6_NS0_5tupleIJS9_S6_EEENSD_IJSA_SA_EEENS0_18inequality_wrapperIZN2at6native12_GLOBAL__N_124unique_dim_cuda_templateImEESt5tupleIJNSH_6TensorESM_SM_EERKSM_lbbbEUlllE0_EEPmJS6_EEE10hipError_tPvRmT3_T4_T5_T6_T7_T9_mT8_P12ihipStream_tbDpT10_ENKUlT_T0_E_clISt17integral_constantIbLb1EES1B_IbLb0EEEEDaS17_S18_EUlS17_E_NS1_11comp_targetILNS1_3genE8ELNS1_11target_archE1030ELNS1_3gpuE2ELNS1_3repE0EEENS1_30default_config_static_selectorELNS0_4arch9wavefront6targetE1EEEvT1_
                                        ; -- End function
	.set _ZN7rocprim17ROCPRIM_400000_NS6detail17trampoline_kernelINS0_14default_configENS1_25partition_config_selectorILNS1_17partition_subalgoE8ElNS0_10empty_typeEbEEZZNS1_14partition_implILS5_8ELb0ES3_jPlPS6_PKS6_NS0_5tupleIJS9_S6_EEENSD_IJSA_SA_EEENS0_18inequality_wrapperIZN2at6native12_GLOBAL__N_124unique_dim_cuda_templateImEESt5tupleIJNSH_6TensorESM_SM_EERKSM_lbbbEUlllE0_EEPmJS6_EEE10hipError_tPvRmT3_T4_T5_T6_T7_T9_mT8_P12ihipStream_tbDpT10_ENKUlT_T0_E_clISt17integral_constantIbLb1EES1B_IbLb0EEEEDaS17_S18_EUlS17_E_NS1_11comp_targetILNS1_3genE8ELNS1_11target_archE1030ELNS1_3gpuE2ELNS1_3repE0EEENS1_30default_config_static_selectorELNS0_4arch9wavefront6targetE1EEEvT1_.num_vgpr, 0
	.set _ZN7rocprim17ROCPRIM_400000_NS6detail17trampoline_kernelINS0_14default_configENS1_25partition_config_selectorILNS1_17partition_subalgoE8ElNS0_10empty_typeEbEEZZNS1_14partition_implILS5_8ELb0ES3_jPlPS6_PKS6_NS0_5tupleIJS9_S6_EEENSD_IJSA_SA_EEENS0_18inequality_wrapperIZN2at6native12_GLOBAL__N_124unique_dim_cuda_templateImEESt5tupleIJNSH_6TensorESM_SM_EERKSM_lbbbEUlllE0_EEPmJS6_EEE10hipError_tPvRmT3_T4_T5_T6_T7_T9_mT8_P12ihipStream_tbDpT10_ENKUlT_T0_E_clISt17integral_constantIbLb1EES1B_IbLb0EEEEDaS17_S18_EUlS17_E_NS1_11comp_targetILNS1_3genE8ELNS1_11target_archE1030ELNS1_3gpuE2ELNS1_3repE0EEENS1_30default_config_static_selectorELNS0_4arch9wavefront6targetE1EEEvT1_.num_agpr, 0
	.set _ZN7rocprim17ROCPRIM_400000_NS6detail17trampoline_kernelINS0_14default_configENS1_25partition_config_selectorILNS1_17partition_subalgoE8ElNS0_10empty_typeEbEEZZNS1_14partition_implILS5_8ELb0ES3_jPlPS6_PKS6_NS0_5tupleIJS9_S6_EEENSD_IJSA_SA_EEENS0_18inequality_wrapperIZN2at6native12_GLOBAL__N_124unique_dim_cuda_templateImEESt5tupleIJNSH_6TensorESM_SM_EERKSM_lbbbEUlllE0_EEPmJS6_EEE10hipError_tPvRmT3_T4_T5_T6_T7_T9_mT8_P12ihipStream_tbDpT10_ENKUlT_T0_E_clISt17integral_constantIbLb1EES1B_IbLb0EEEEDaS17_S18_EUlS17_E_NS1_11comp_targetILNS1_3genE8ELNS1_11target_archE1030ELNS1_3gpuE2ELNS1_3repE0EEENS1_30default_config_static_selectorELNS0_4arch9wavefront6targetE1EEEvT1_.numbered_sgpr, 0
	.set _ZN7rocprim17ROCPRIM_400000_NS6detail17trampoline_kernelINS0_14default_configENS1_25partition_config_selectorILNS1_17partition_subalgoE8ElNS0_10empty_typeEbEEZZNS1_14partition_implILS5_8ELb0ES3_jPlPS6_PKS6_NS0_5tupleIJS9_S6_EEENSD_IJSA_SA_EEENS0_18inequality_wrapperIZN2at6native12_GLOBAL__N_124unique_dim_cuda_templateImEESt5tupleIJNSH_6TensorESM_SM_EERKSM_lbbbEUlllE0_EEPmJS6_EEE10hipError_tPvRmT3_T4_T5_T6_T7_T9_mT8_P12ihipStream_tbDpT10_ENKUlT_T0_E_clISt17integral_constantIbLb1EES1B_IbLb0EEEEDaS17_S18_EUlS17_E_NS1_11comp_targetILNS1_3genE8ELNS1_11target_archE1030ELNS1_3gpuE2ELNS1_3repE0EEENS1_30default_config_static_selectorELNS0_4arch9wavefront6targetE1EEEvT1_.num_named_barrier, 0
	.set _ZN7rocprim17ROCPRIM_400000_NS6detail17trampoline_kernelINS0_14default_configENS1_25partition_config_selectorILNS1_17partition_subalgoE8ElNS0_10empty_typeEbEEZZNS1_14partition_implILS5_8ELb0ES3_jPlPS6_PKS6_NS0_5tupleIJS9_S6_EEENSD_IJSA_SA_EEENS0_18inequality_wrapperIZN2at6native12_GLOBAL__N_124unique_dim_cuda_templateImEESt5tupleIJNSH_6TensorESM_SM_EERKSM_lbbbEUlllE0_EEPmJS6_EEE10hipError_tPvRmT3_T4_T5_T6_T7_T9_mT8_P12ihipStream_tbDpT10_ENKUlT_T0_E_clISt17integral_constantIbLb1EES1B_IbLb0EEEEDaS17_S18_EUlS17_E_NS1_11comp_targetILNS1_3genE8ELNS1_11target_archE1030ELNS1_3gpuE2ELNS1_3repE0EEENS1_30default_config_static_selectorELNS0_4arch9wavefront6targetE1EEEvT1_.private_seg_size, 0
	.set _ZN7rocprim17ROCPRIM_400000_NS6detail17trampoline_kernelINS0_14default_configENS1_25partition_config_selectorILNS1_17partition_subalgoE8ElNS0_10empty_typeEbEEZZNS1_14partition_implILS5_8ELb0ES3_jPlPS6_PKS6_NS0_5tupleIJS9_S6_EEENSD_IJSA_SA_EEENS0_18inequality_wrapperIZN2at6native12_GLOBAL__N_124unique_dim_cuda_templateImEESt5tupleIJNSH_6TensorESM_SM_EERKSM_lbbbEUlllE0_EEPmJS6_EEE10hipError_tPvRmT3_T4_T5_T6_T7_T9_mT8_P12ihipStream_tbDpT10_ENKUlT_T0_E_clISt17integral_constantIbLb1EES1B_IbLb0EEEEDaS17_S18_EUlS17_E_NS1_11comp_targetILNS1_3genE8ELNS1_11target_archE1030ELNS1_3gpuE2ELNS1_3repE0EEENS1_30default_config_static_selectorELNS0_4arch9wavefront6targetE1EEEvT1_.uses_vcc, 0
	.set _ZN7rocprim17ROCPRIM_400000_NS6detail17trampoline_kernelINS0_14default_configENS1_25partition_config_selectorILNS1_17partition_subalgoE8ElNS0_10empty_typeEbEEZZNS1_14partition_implILS5_8ELb0ES3_jPlPS6_PKS6_NS0_5tupleIJS9_S6_EEENSD_IJSA_SA_EEENS0_18inequality_wrapperIZN2at6native12_GLOBAL__N_124unique_dim_cuda_templateImEESt5tupleIJNSH_6TensorESM_SM_EERKSM_lbbbEUlllE0_EEPmJS6_EEE10hipError_tPvRmT3_T4_T5_T6_T7_T9_mT8_P12ihipStream_tbDpT10_ENKUlT_T0_E_clISt17integral_constantIbLb1EES1B_IbLb0EEEEDaS17_S18_EUlS17_E_NS1_11comp_targetILNS1_3genE8ELNS1_11target_archE1030ELNS1_3gpuE2ELNS1_3repE0EEENS1_30default_config_static_selectorELNS0_4arch9wavefront6targetE1EEEvT1_.uses_flat_scratch, 0
	.set _ZN7rocprim17ROCPRIM_400000_NS6detail17trampoline_kernelINS0_14default_configENS1_25partition_config_selectorILNS1_17partition_subalgoE8ElNS0_10empty_typeEbEEZZNS1_14partition_implILS5_8ELb0ES3_jPlPS6_PKS6_NS0_5tupleIJS9_S6_EEENSD_IJSA_SA_EEENS0_18inequality_wrapperIZN2at6native12_GLOBAL__N_124unique_dim_cuda_templateImEESt5tupleIJNSH_6TensorESM_SM_EERKSM_lbbbEUlllE0_EEPmJS6_EEE10hipError_tPvRmT3_T4_T5_T6_T7_T9_mT8_P12ihipStream_tbDpT10_ENKUlT_T0_E_clISt17integral_constantIbLb1EES1B_IbLb0EEEEDaS17_S18_EUlS17_E_NS1_11comp_targetILNS1_3genE8ELNS1_11target_archE1030ELNS1_3gpuE2ELNS1_3repE0EEENS1_30default_config_static_selectorELNS0_4arch9wavefront6targetE1EEEvT1_.has_dyn_sized_stack, 0
	.set _ZN7rocprim17ROCPRIM_400000_NS6detail17trampoline_kernelINS0_14default_configENS1_25partition_config_selectorILNS1_17partition_subalgoE8ElNS0_10empty_typeEbEEZZNS1_14partition_implILS5_8ELb0ES3_jPlPS6_PKS6_NS0_5tupleIJS9_S6_EEENSD_IJSA_SA_EEENS0_18inequality_wrapperIZN2at6native12_GLOBAL__N_124unique_dim_cuda_templateImEESt5tupleIJNSH_6TensorESM_SM_EERKSM_lbbbEUlllE0_EEPmJS6_EEE10hipError_tPvRmT3_T4_T5_T6_T7_T9_mT8_P12ihipStream_tbDpT10_ENKUlT_T0_E_clISt17integral_constantIbLb1EES1B_IbLb0EEEEDaS17_S18_EUlS17_E_NS1_11comp_targetILNS1_3genE8ELNS1_11target_archE1030ELNS1_3gpuE2ELNS1_3repE0EEENS1_30default_config_static_selectorELNS0_4arch9wavefront6targetE1EEEvT1_.has_recursion, 0
	.set _ZN7rocprim17ROCPRIM_400000_NS6detail17trampoline_kernelINS0_14default_configENS1_25partition_config_selectorILNS1_17partition_subalgoE8ElNS0_10empty_typeEbEEZZNS1_14partition_implILS5_8ELb0ES3_jPlPS6_PKS6_NS0_5tupleIJS9_S6_EEENSD_IJSA_SA_EEENS0_18inequality_wrapperIZN2at6native12_GLOBAL__N_124unique_dim_cuda_templateImEESt5tupleIJNSH_6TensorESM_SM_EERKSM_lbbbEUlllE0_EEPmJS6_EEE10hipError_tPvRmT3_T4_T5_T6_T7_T9_mT8_P12ihipStream_tbDpT10_ENKUlT_T0_E_clISt17integral_constantIbLb1EES1B_IbLb0EEEEDaS17_S18_EUlS17_E_NS1_11comp_targetILNS1_3genE8ELNS1_11target_archE1030ELNS1_3gpuE2ELNS1_3repE0EEENS1_30default_config_static_selectorELNS0_4arch9wavefront6targetE1EEEvT1_.has_indirect_call, 0
	.section	.AMDGPU.csdata,"",@progbits
; Kernel info:
; codeLenInByte = 0
; TotalNumSgprs: 6
; NumVgprs: 0
; NumAgprs: 0
; TotalNumVgprs: 0
; ScratchSize: 0
; MemoryBound: 0
; FloatMode: 240
; IeeeMode: 1
; LDSByteSize: 0 bytes/workgroup (compile time only)
; SGPRBlocks: 0
; VGPRBlocks: 0
; NumSGPRsForWavesPerEU: 6
; NumVGPRsForWavesPerEU: 1
; AccumOffset: 4
; Occupancy: 8
; WaveLimiterHint : 0
; COMPUTE_PGM_RSRC2:SCRATCH_EN: 0
; COMPUTE_PGM_RSRC2:USER_SGPR: 2
; COMPUTE_PGM_RSRC2:TRAP_HANDLER: 0
; COMPUTE_PGM_RSRC2:TGID_X_EN: 1
; COMPUTE_PGM_RSRC2:TGID_Y_EN: 0
; COMPUTE_PGM_RSRC2:TGID_Z_EN: 0
; COMPUTE_PGM_RSRC2:TIDIG_COMP_CNT: 0
; COMPUTE_PGM_RSRC3_GFX90A:ACCUM_OFFSET: 0
; COMPUTE_PGM_RSRC3_GFX90A:TG_SPLIT: 0
	.section	.text._ZN7rocprim17ROCPRIM_400000_NS6detail17trampoline_kernelINS0_14default_configENS1_25partition_config_selectorILNS1_17partition_subalgoE8ElNS0_10empty_typeEbEEZZNS1_14partition_implILS5_8ELb0ES3_jPlPS6_PKS6_NS0_5tupleIJS9_S6_EEENSD_IJSA_SA_EEENS0_18inequality_wrapperIZN2at6native12_GLOBAL__N_124unique_dim_cuda_templateImEESt5tupleIJNSH_6TensorESM_SM_EERKSM_lbbbEUlllE0_EEPmJS6_EEE10hipError_tPvRmT3_T4_T5_T6_T7_T9_mT8_P12ihipStream_tbDpT10_ENKUlT_T0_E_clISt17integral_constantIbLb0EES1B_IbLb1EEEEDaS17_S18_EUlS17_E_NS1_11comp_targetILNS1_3genE0ELNS1_11target_archE4294967295ELNS1_3gpuE0ELNS1_3repE0EEENS1_30default_config_static_selectorELNS0_4arch9wavefront6targetE1EEEvT1_,"axG",@progbits,_ZN7rocprim17ROCPRIM_400000_NS6detail17trampoline_kernelINS0_14default_configENS1_25partition_config_selectorILNS1_17partition_subalgoE8ElNS0_10empty_typeEbEEZZNS1_14partition_implILS5_8ELb0ES3_jPlPS6_PKS6_NS0_5tupleIJS9_S6_EEENSD_IJSA_SA_EEENS0_18inequality_wrapperIZN2at6native12_GLOBAL__N_124unique_dim_cuda_templateImEESt5tupleIJNSH_6TensorESM_SM_EERKSM_lbbbEUlllE0_EEPmJS6_EEE10hipError_tPvRmT3_T4_T5_T6_T7_T9_mT8_P12ihipStream_tbDpT10_ENKUlT_T0_E_clISt17integral_constantIbLb0EES1B_IbLb1EEEEDaS17_S18_EUlS17_E_NS1_11comp_targetILNS1_3genE0ELNS1_11target_archE4294967295ELNS1_3gpuE0ELNS1_3repE0EEENS1_30default_config_static_selectorELNS0_4arch9wavefront6targetE1EEEvT1_,comdat
	.globl	_ZN7rocprim17ROCPRIM_400000_NS6detail17trampoline_kernelINS0_14default_configENS1_25partition_config_selectorILNS1_17partition_subalgoE8ElNS0_10empty_typeEbEEZZNS1_14partition_implILS5_8ELb0ES3_jPlPS6_PKS6_NS0_5tupleIJS9_S6_EEENSD_IJSA_SA_EEENS0_18inequality_wrapperIZN2at6native12_GLOBAL__N_124unique_dim_cuda_templateImEESt5tupleIJNSH_6TensorESM_SM_EERKSM_lbbbEUlllE0_EEPmJS6_EEE10hipError_tPvRmT3_T4_T5_T6_T7_T9_mT8_P12ihipStream_tbDpT10_ENKUlT_T0_E_clISt17integral_constantIbLb0EES1B_IbLb1EEEEDaS17_S18_EUlS17_E_NS1_11comp_targetILNS1_3genE0ELNS1_11target_archE4294967295ELNS1_3gpuE0ELNS1_3repE0EEENS1_30default_config_static_selectorELNS0_4arch9wavefront6targetE1EEEvT1_ ; -- Begin function _ZN7rocprim17ROCPRIM_400000_NS6detail17trampoline_kernelINS0_14default_configENS1_25partition_config_selectorILNS1_17partition_subalgoE8ElNS0_10empty_typeEbEEZZNS1_14partition_implILS5_8ELb0ES3_jPlPS6_PKS6_NS0_5tupleIJS9_S6_EEENSD_IJSA_SA_EEENS0_18inequality_wrapperIZN2at6native12_GLOBAL__N_124unique_dim_cuda_templateImEESt5tupleIJNSH_6TensorESM_SM_EERKSM_lbbbEUlllE0_EEPmJS6_EEE10hipError_tPvRmT3_T4_T5_T6_T7_T9_mT8_P12ihipStream_tbDpT10_ENKUlT_T0_E_clISt17integral_constantIbLb0EES1B_IbLb1EEEEDaS17_S18_EUlS17_E_NS1_11comp_targetILNS1_3genE0ELNS1_11target_archE4294967295ELNS1_3gpuE0ELNS1_3repE0EEENS1_30default_config_static_selectorELNS0_4arch9wavefront6targetE1EEEvT1_
	.p2align	8
	.type	_ZN7rocprim17ROCPRIM_400000_NS6detail17trampoline_kernelINS0_14default_configENS1_25partition_config_selectorILNS1_17partition_subalgoE8ElNS0_10empty_typeEbEEZZNS1_14partition_implILS5_8ELb0ES3_jPlPS6_PKS6_NS0_5tupleIJS9_S6_EEENSD_IJSA_SA_EEENS0_18inequality_wrapperIZN2at6native12_GLOBAL__N_124unique_dim_cuda_templateImEESt5tupleIJNSH_6TensorESM_SM_EERKSM_lbbbEUlllE0_EEPmJS6_EEE10hipError_tPvRmT3_T4_T5_T6_T7_T9_mT8_P12ihipStream_tbDpT10_ENKUlT_T0_E_clISt17integral_constantIbLb0EES1B_IbLb1EEEEDaS17_S18_EUlS17_E_NS1_11comp_targetILNS1_3genE0ELNS1_11target_archE4294967295ELNS1_3gpuE0ELNS1_3repE0EEENS1_30default_config_static_selectorELNS0_4arch9wavefront6targetE1EEEvT1_,@function
_ZN7rocprim17ROCPRIM_400000_NS6detail17trampoline_kernelINS0_14default_configENS1_25partition_config_selectorILNS1_17partition_subalgoE8ElNS0_10empty_typeEbEEZZNS1_14partition_implILS5_8ELb0ES3_jPlPS6_PKS6_NS0_5tupleIJS9_S6_EEENSD_IJSA_SA_EEENS0_18inequality_wrapperIZN2at6native12_GLOBAL__N_124unique_dim_cuda_templateImEESt5tupleIJNSH_6TensorESM_SM_EERKSM_lbbbEUlllE0_EEPmJS6_EEE10hipError_tPvRmT3_T4_T5_T6_T7_T9_mT8_P12ihipStream_tbDpT10_ENKUlT_T0_E_clISt17integral_constantIbLb0EES1B_IbLb1EEEEDaS17_S18_EUlS17_E_NS1_11comp_targetILNS1_3genE0ELNS1_11target_archE4294967295ELNS1_3gpuE0ELNS1_3repE0EEENS1_30default_config_static_selectorELNS0_4arch9wavefront6targetE1EEEvT1_: ; @_ZN7rocprim17ROCPRIM_400000_NS6detail17trampoline_kernelINS0_14default_configENS1_25partition_config_selectorILNS1_17partition_subalgoE8ElNS0_10empty_typeEbEEZZNS1_14partition_implILS5_8ELb0ES3_jPlPS6_PKS6_NS0_5tupleIJS9_S6_EEENSD_IJSA_SA_EEENS0_18inequality_wrapperIZN2at6native12_GLOBAL__N_124unique_dim_cuda_templateImEESt5tupleIJNSH_6TensorESM_SM_EERKSM_lbbbEUlllE0_EEPmJS6_EEE10hipError_tPvRmT3_T4_T5_T6_T7_T9_mT8_P12ihipStream_tbDpT10_ENKUlT_T0_E_clISt17integral_constantIbLb0EES1B_IbLb1EEEEDaS17_S18_EUlS17_E_NS1_11comp_targetILNS1_3genE0ELNS1_11target_archE4294967295ELNS1_3gpuE0ELNS1_3repE0EEENS1_30default_config_static_selectorELNS0_4arch9wavefront6targetE1EEEvT1_
; %bb.0:
	s_load_dwordx2 s[34:35], s[0:1], 0x28
	s_load_dwordx8 s[20:27], s[0:1], 0x40
	s_load_dwordx4 s[28:31], s[0:1], 0x60
	v_cmp_ne_u32_e64 s[2:3], 0, v0
	v_cmp_eq_u32_e64 s[18:19], 0, v0
	s_and_saveexec_b64 s[4:5], s[18:19]
	s_cbranch_execz .LBB1687_4
; %bb.1:
	s_mov_b64 s[8:9], exec
	v_mbcnt_lo_u32_b32 v1, s8, 0
	v_mbcnt_hi_u32_b32 v1, s9, v1
	v_cmp_eq_u32_e32 vcc, 0, v1
                                        ; implicit-def: $vgpr2
	s_and_saveexec_b64 s[6:7], vcc
	s_cbranch_execz .LBB1687_3
; %bb.2:
	s_load_dwordx2 s[10:11], s[0:1], 0x78
	s_bcnt1_i32_b64 s8, s[8:9]
	v_mov_b32_e32 v2, 0
	v_mov_b32_e32 v3, s8
	s_waitcnt lgkmcnt(0)
	global_atomic_add v2, v2, v3, s[10:11] sc0
.LBB1687_3:
	s_or_b64 exec, exec, s[6:7]
	s_waitcnt vmcnt(0)
	v_readfirstlane_b32 s6, v2
	v_mov_b32_e32 v2, 0
	s_nop 0
	v_add_u32_e32 v1, s6, v1
	ds_write_b32 v2, v1
.LBB1687_4:
	s_or_b64 exec, exec, s[4:5]
	v_mov_b32_e32 v3, 0
	s_load_dwordx4 s[4:7], s[0:1], 0x8
	s_load_dword s8, s[0:1], 0x70
	s_waitcnt lgkmcnt(0)
	s_barrier
	ds_read_b32 v1, v3
	s_waitcnt lgkmcnt(0)
	s_barrier
	global_load_dwordx2 v[4:5], v3, s[22:23]
	s_lshl_b64 s[10:11], s[6:7], 3
	s_mul_i32 s9, s8, 0xe00
	s_add_u32 s4, s4, s10
	s_addc_u32 s5, s5, s11
	s_add_i32 s10, s8, -1
	s_add_i32 s8, s9, s6
	s_sub_i32 s50, s24, s8
	s_add_u32 s8, s6, s9
	s_addc_u32 s9, s7, 0
	v_readfirstlane_b32 s33, v1
	v_mov_b64_e32 v[6:7], s[8:9]
	s_cmp_eq_u32 s33, s10
	s_movk_i32 s12, 0xe00
	v_cmp_le_u64_e32 vcc, s[24:25], v[6:7]
	s_cselect_b64 s[24:25], -1, 0
	v_mul_lo_u32 v2, v1, s12
	s_and_b64 s[8:9], vcc, s[24:25]
	v_lshlrev_b64 v[6:7], 3, v[2:3]
	s_xor_b64 s[36:37], s[8:9], -1
	s_mov_b64 s[0:1], -1
	v_lshlrev_b32_e32 v18, 3, v0
	v_lshl_add_u64 v[20:21], s[4:5], 0, v[6:7]
	s_and_b64 vcc, exec, s[36:37]
	s_waitcnt vmcnt(0)
	v_readfirstlane_b32 s22, v4
	v_readfirstlane_b32 s23, v5
	s_cbranch_vccz .LBB1687_6
; %bb.5:
	v_lshlrev_b32_e32 v2, 3, v0
	v_lshl_add_u64 v[4:5], v[20:21], 0, v[2:3]
	v_add_co_u32_e32 v8, vcc, 0x1000, v4
	v_readfirstlane_b32 s0, v20
	s_nop 0
	v_addc_co_u32_e32 v9, vcc, 0, v5, vcc
	v_add_co_u32_e32 v10, vcc, 0x2000, v4
	v_readfirstlane_b32 s1, v21
	s_nop 0
	v_addc_co_u32_e32 v11, vcc, 0, v5, vcc
	v_add_co_u32_e32 v12, vcc, 0x3000, v4
	s_nop 1
	v_addc_co_u32_e32 v13, vcc, 0, v5, vcc
	v_add_co_u32_e32 v14, vcc, 0x4000, v4
	global_load_dwordx2 v[6:7], v2, s[0:1]
	s_nop 0
	v_addc_co_u32_e32 v15, vcc, 0, v5, vcc
	global_load_dwordx2 v[16:17], v[8:9], off
	global_load_dwordx2 v[22:23], v[10:11], off
	;; [unrolled: 1-line block ×4, first 2 shown]
	v_add_co_u32_e32 v8, vcc, 0x5000, v4
	s_mov_b64 s[0:1], 0
	s_nop 0
	v_addc_co_u32_e32 v9, vcc, 0, v5, vcc
	v_add_co_u32_e32 v4, vcc, 0x6000, v4
	s_nop 1
	v_addc_co_u32_e32 v5, vcc, 0, v5, vcc
	global_load_dwordx2 v[10:11], v[8:9], off
	global_load_dwordx2 v[12:13], v[4:5], off
	s_waitcnt vmcnt(5)
	ds_write2st64_b64 v2, v[6:7], v[16:17] offset1:8
	s_waitcnt vmcnt(3)
	ds_write2st64_b64 v2, v[22:23], v[24:25] offset0:16 offset1:24
	s_waitcnt vmcnt(1)
	ds_write2st64_b64 v2, v[26:27], v[10:11] offset0:32 offset1:40
	s_waitcnt vmcnt(0)
	ds_write_b64 v2, v[12:13] offset:24576
	s_waitcnt lgkmcnt(0)
	s_barrier
.LBB1687_6:
	s_andn2_b64 vcc, exec, s[0:1]
	s_addk_i32 s50, 0xe00
	s_cbranch_vccnz .LBB1687_22
; %bb.7:
	v_mov_b32_e32 v2, 0
	v_cmp_gt_u32_e32 vcc, s50, v0
	v_mov_b32_e32 v3, v2
	v_mov_b32_e32 v4, v2
	;; [unrolled: 1-line block ×13, first 2 shown]
	s_and_saveexec_b64 s[0:1], vcc
	s_cbranch_execz .LBB1687_9
; %bb.8:
	v_lshlrev_b32_e32 v1, 3, v0
	v_readfirstlane_b32 s4, v20
	v_readfirstlane_b32 s5, v21
	v_mov_b32_e32 v6, v2
	v_mov_b32_e32 v7, v2
	;; [unrolled: 1-line block ×5, first 2 shown]
	global_load_dwordx2 v[4:5], v1, s[4:5]
	v_mov_b32_e32 v11, v2
	v_mov_b32_e32 v12, v2
	;; [unrolled: 1-line block ×7, first 2 shown]
	s_waitcnt vmcnt(0)
	v_mov_b64_e32 v[2:3], v[4:5]
	v_mov_b64_e32 v[4:5], v[6:7]
	;; [unrolled: 1-line block ×8, first 2 shown]
.LBB1687_9:
	s_or_b64 exec, exec, s[0:1]
	v_or_b32_e32 v1, 0x200, v0
	v_cmp_gt_u32_e32 vcc, s50, v1
	s_and_saveexec_b64 s[0:1], vcc
	s_cbranch_execz .LBB1687_11
; %bb.10:
	v_lshlrev_b32_e32 v1, 3, v1
	v_readfirstlane_b32 s4, v20
	v_readfirstlane_b32 s5, v21
	s_nop 4
	global_load_dwordx2 v[4:5], v1, s[4:5]
.LBB1687_11:
	s_or_b64 exec, exec, s[0:1]
	v_or_b32_e32 v1, 0x400, v0
	v_cmp_gt_u32_e32 vcc, s50, v1
	s_and_saveexec_b64 s[0:1], vcc
	s_cbranch_execz .LBB1687_13
; %bb.12:
	v_lshlrev_b32_e32 v1, 3, v1
	v_readfirstlane_b32 s4, v20
	v_readfirstlane_b32 s5, v21
	s_nop 4
	global_load_dwordx2 v[6:7], v1, s[4:5]
.LBB1687_13:
	;; [unrolled: 12-line block ×6, first 2 shown]
	s_or_b64 exec, exec, s[0:1]
	v_lshlrev_b32_e32 v1, 3, v0
	s_waitcnt vmcnt(0)
	ds_write2st64_b64 v1, v[2:3], v[4:5] offset1:8
	ds_write2st64_b64 v1, v[6:7], v[8:9] offset0:16 offset1:24
	ds_write2st64_b64 v1, v[10:11], v[12:13] offset0:32 offset1:40
	ds_write_b64 v1, v[14:15] offset:24576
	s_waitcnt lgkmcnt(0)
	s_barrier
.LBB1687_22:
	v_mul_u32_u24_e32 v1, 7, v0
	v_lshlrev_b32_e32 v26, 3, v1
	ds_read2_b64 v[10:13], v26 offset1:1
	ds_read2_b64 v[6:9], v26 offset0:2 offset1:3
	ds_read2_b64 v[2:5], v26 offset0:4 offset1:5
	ds_read_b64 v[14:15], v26 offset:48
	s_cmp_lg_u32 s33, 0
	s_cselect_b64 s[16:17], -1, 0
	s_cmp_lg_u64 s[6:7], 0
	s_cselect_b64 s[0:1], -1, 0
	s_or_b64 s[0:1], s[0:1], s[16:17]
	s_mov_b64 s[10:11], 0
	s_and_b64 vcc, exec, s[0:1]
	v_cmp_gt_i64_e64 s[4:5], s[26:27], 0
	s_waitcnt lgkmcnt(0)
	s_barrier
	s_cbranch_vccz .LBB1687_38
; %bb.23:
	global_load_dwordx2 v[20:21], v[20:21], off offset:-8
	v_cndmask_b32_e64 v16, 0, 1, s[4:5]
	v_lshlrev_b32_e32 v27, 3, v0
	s_mov_b64 s[0:1], 0
	s_and_b64 vcc, exec, s[36:37]
	v_cmp_ne_u32_e64 s[4:5], 1, v16
	ds_write_b64 v27, v[14:15]
	s_cbranch_vccz .LBB1687_40
; %bb.24:
	s_and_b64 vcc, exec, s[4:5]
	s_cbranch_vccnz .LBB1687_41
; %bb.25:
	v_mul_lo_u32 v19, v5, s26
	v_mul_lo_u32 v22, v4, s27
	v_mad_u64_u32 v[16:17], s[0:1], v4, s26, 0
	v_add3_u32 v17, v17, v22, v19
	v_mul_lo_u32 v19, v15, s26
	v_mul_lo_u32 v24, v14, s27
	v_mad_u64_u32 v[22:23], s[0:1], v14, s26, 0
	s_add_u32 s10, s26, -1
	v_lshl_add_u64 v[16:17], v[16:17], 3, s[28:29]
	v_add3_u32 v23, v23, v24, v19
	s_addc_u32 s11, s27, -1
	v_lshl_add_u64 v[22:23], v[22:23], 3, s[28:29]
	s_mov_b64 s[12:13], 0
	s_mov_b64 s[14:15], s[10:11]
	v_mov_b64_e32 v[24:25], v[16:17]
                                        ; implicit-def: $sgpr6_sgpr7
.LBB1687_26:                            ; =>This Inner Loop Header: Depth=1
	global_load_dwordx2 v[28:29], v[24:25], off
	global_load_dwordx2 v[30:31], v[22:23], off
	s_add_u32 s0, s14, -1
	s_addc_u32 s1, s15, -1
	s_cmp_eq_u64 s[14:15], 0
	s_mov_b64 s[14:15], s[0:1]
	s_cselect_b64 s[38:39], -1, 0
	v_lshl_add_u64 v[24:25], v[24:25], 0, 8
	v_lshl_add_u64 v[22:23], v[22:23], 0, 8
	s_waitcnt vmcnt(0)
	v_cmp_ne_u64_e64 s[0:1], v[28:29], v[30:31]
	s_or_b64 s[0:1], s[0:1], s[38:39]
	s_and_b64 s[0:1], exec, s[0:1]
	v_cmp_eq_u64_e32 vcc, v[28:29], v[30:31]
	s_or_b64 s[12:13], s[0:1], s[12:13]
	s_andn2_b64 s[0:1], s[6:7], exec
	s_and_b64 s[6:7], vcc, exec
	s_or_b64 s[6:7], s[0:1], s[6:7]
	s_andn2_b64 exec, exec, s[12:13]
	s_cbranch_execnz .LBB1687_26
; %bb.27:
	s_or_b64 exec, exec, s[12:13]
	v_mul_lo_u32 v19, v3, s26
	v_mul_lo_u32 v24, v2, s27
	v_mad_u64_u32 v[22:23], s[0:1], v2, s26, 0
	v_add3_u32 v23, v23, v24, v19
	v_lshl_add_u64 v[22:23], v[22:23], 3, s[28:29]
	s_mov_b64 s[14:15], 0
	s_mov_b64 s[38:39], s[10:11]
	v_mov_b64_e32 v[24:25], v[22:23]
                                        ; implicit-def: $sgpr12_sgpr13
.LBB1687_28:                            ; =>This Inner Loop Header: Depth=1
	global_load_dwordx2 v[28:29], v[24:25], off
	global_load_dwordx2 v[30:31], v[16:17], off
	s_add_u32 s0, s38, -1
	s_addc_u32 s1, s39, -1
	s_cmp_eq_u64 s[38:39], 0
	s_mov_b64 s[38:39], s[0:1]
	s_cselect_b64 s[40:41], -1, 0
	v_lshl_add_u64 v[24:25], v[24:25], 0, 8
	v_lshl_add_u64 v[16:17], v[16:17], 0, 8
	s_waitcnt vmcnt(0)
	v_cmp_ne_u64_e64 s[0:1], v[28:29], v[30:31]
	s_or_b64 s[0:1], s[0:1], s[40:41]
	s_and_b64 s[0:1], exec, s[0:1]
	v_cmp_eq_u64_e32 vcc, v[28:29], v[30:31]
	s_or_b64 s[14:15], s[0:1], s[14:15]
	s_andn2_b64 s[0:1], s[12:13], exec
	s_and_b64 s[12:13], vcc, exec
	s_or_b64 s[12:13], s[0:1], s[12:13]
	s_andn2_b64 exec, exec, s[14:15]
	s_cbranch_execnz .LBB1687_28
; %bb.29:
	s_or_b64 exec, exec, s[14:15]
	v_mul_lo_u32 v19, v9, s26
	v_mul_lo_u32 v24, v8, s27
	v_mad_u64_u32 v[16:17], s[0:1], v8, s26, 0
	v_add3_u32 v17, v17, v24, v19
	v_lshl_add_u64 v[16:17], v[16:17], 3, s[28:29]
	s_mov_b64 s[38:39], 0
	s_mov_b64 s[40:41], s[10:11]
	v_mov_b64_e32 v[24:25], v[16:17]
                                        ; implicit-def: $sgpr14_sgpr15
.LBB1687_30:                            ; =>This Inner Loop Header: Depth=1
	global_load_dwordx2 v[28:29], v[24:25], off
	global_load_dwordx2 v[30:31], v[22:23], off
	s_add_u32 s0, s40, -1
	s_addc_u32 s1, s41, -1
	s_cmp_eq_u64 s[40:41], 0
	s_mov_b64 s[40:41], s[0:1]
	s_cselect_b64 s[42:43], -1, 0
	v_lshl_add_u64 v[24:25], v[24:25], 0, 8
	v_lshl_add_u64 v[22:23], v[22:23], 0, 8
	s_waitcnt vmcnt(0)
	v_cmp_ne_u64_e64 s[0:1], v[28:29], v[30:31]
	s_or_b64 s[0:1], s[0:1], s[42:43]
	s_and_b64 s[0:1], exec, s[0:1]
	v_cmp_eq_u64_e32 vcc, v[28:29], v[30:31]
	s_or_b64 s[38:39], s[0:1], s[38:39]
	s_andn2_b64 s[0:1], s[14:15], exec
	s_and_b64 s[14:15], vcc, exec
	s_or_b64 s[14:15], s[0:1], s[14:15]
	s_andn2_b64 exec, exec, s[38:39]
	s_cbranch_execnz .LBB1687_30
; %bb.31:
	s_or_b64 exec, exec, s[38:39]
	v_mul_lo_u32 v19, v7, s26
	v_mul_lo_u32 v24, v6, s27
	v_mad_u64_u32 v[22:23], s[0:1], v6, s26, 0
	v_add3_u32 v23, v23, v24, v19
	v_lshl_add_u64 v[22:23], v[22:23], 3, s[28:29]
	s_mov_b64 s[40:41], 0
	s_mov_b64 s[42:43], s[10:11]
	v_mov_b64_e32 v[24:25], v[22:23]
                                        ; implicit-def: $sgpr38_sgpr39
.LBB1687_32:                            ; =>This Inner Loop Header: Depth=1
	global_load_dwordx2 v[28:29], v[24:25], off
	global_load_dwordx2 v[30:31], v[16:17], off
	s_add_u32 s0, s42, -1
	s_addc_u32 s1, s43, -1
	s_cmp_eq_u64 s[42:43], 0
	s_mov_b64 s[42:43], s[0:1]
	s_cselect_b64 s[44:45], -1, 0
	v_lshl_add_u64 v[24:25], v[24:25], 0, 8
	v_lshl_add_u64 v[16:17], v[16:17], 0, 8
	s_waitcnt vmcnt(0)
	v_cmp_ne_u64_e64 s[0:1], v[28:29], v[30:31]
	s_or_b64 s[0:1], s[0:1], s[44:45]
	s_and_b64 s[0:1], exec, s[0:1]
	v_cmp_eq_u64_e32 vcc, v[28:29], v[30:31]
	s_or_b64 s[40:41], s[0:1], s[40:41]
	s_andn2_b64 s[0:1], s[38:39], exec
	s_and_b64 s[38:39], vcc, exec
	s_or_b64 s[38:39], s[0:1], s[38:39]
	s_andn2_b64 exec, exec, s[40:41]
	s_cbranch_execnz .LBB1687_32
; %bb.33:
	s_or_b64 exec, exec, s[40:41]
	v_mul_lo_u32 v19, v13, s26
	v_mul_lo_u32 v24, v12, s27
	v_mad_u64_u32 v[16:17], s[0:1], v12, s26, 0
	v_add3_u32 v17, v17, v24, v19
	v_lshl_add_u64 v[16:17], v[16:17], 3, s[28:29]
	s_mov_b64 s[42:43], 0
	s_mov_b64 s[44:45], s[10:11]
	v_mov_b64_e32 v[24:25], v[16:17]
                                        ; implicit-def: $sgpr40_sgpr41
.LBB1687_34:                            ; =>This Inner Loop Header: Depth=1
	global_load_dwordx2 v[28:29], v[24:25], off
	global_load_dwordx2 v[30:31], v[22:23], off
	s_add_u32 s0, s44, -1
	s_addc_u32 s1, s45, -1
	s_cmp_eq_u64 s[44:45], 0
	s_mov_b64 s[44:45], s[0:1]
	s_cselect_b64 s[46:47], -1, 0
	v_lshl_add_u64 v[24:25], v[24:25], 0, 8
	v_lshl_add_u64 v[22:23], v[22:23], 0, 8
	s_waitcnt vmcnt(0)
	v_cmp_ne_u64_e64 s[0:1], v[28:29], v[30:31]
	s_or_b64 s[0:1], s[0:1], s[46:47]
	s_and_b64 s[0:1], exec, s[0:1]
	v_cmp_eq_u64_e32 vcc, v[28:29], v[30:31]
	s_or_b64 s[42:43], s[0:1], s[42:43]
	s_andn2_b64 s[0:1], s[40:41], exec
	s_and_b64 s[40:41], vcc, exec
	s_or_b64 s[40:41], s[0:1], s[40:41]
	s_andn2_b64 exec, exec, s[42:43]
	s_cbranch_execnz .LBB1687_34
; %bb.35:
	s_or_b64 exec, exec, s[42:43]
	v_mul_lo_u32 v19, v11, s26
	v_mul_lo_u32 v24, v10, s27
	v_mad_u64_u32 v[22:23], s[0:1], v10, s26, 0
	v_add3_u32 v23, v23, v24, v19
	v_lshl_add_u64 v[22:23], v[22:23], 3, s[28:29]
	s_mov_b64 s[44:45], 0
                                        ; implicit-def: $sgpr42_sgpr43
.LBB1687_36:                            ; =>This Inner Loop Header: Depth=1
	global_load_dwordx2 v[24:25], v[22:23], off
	global_load_dwordx2 v[28:29], v[16:17], off
	s_add_u32 s0, s10, -1
	s_addc_u32 s1, s11, -1
	s_cmp_eq_u64 s[10:11], 0
	s_mov_b64 s[10:11], s[0:1]
	s_cselect_b64 s[46:47], -1, 0
	v_lshl_add_u64 v[22:23], v[22:23], 0, 8
	v_lshl_add_u64 v[16:17], v[16:17], 0, 8
	s_waitcnt vmcnt(0)
	v_cmp_ne_u64_e64 s[0:1], v[24:25], v[28:29]
	s_or_b64 s[0:1], s[0:1], s[46:47]
	s_and_b64 s[0:1], exec, s[0:1]
	v_cmp_eq_u64_e32 vcc, v[24:25], v[28:29]
	s_or_b64 s[44:45], s[0:1], s[44:45]
	s_andn2_b64 s[0:1], s[42:43], exec
	s_and_b64 s[42:43], vcc, exec
	s_or_b64 s[42:43], s[0:1], s[42:43]
	s_andn2_b64 exec, exec, s[44:45]
	s_cbranch_execnz .LBB1687_36
; %bb.37:
	s_or_b64 exec, exec, s[44:45]
	s_xor_b64 s[0:1], s[12:13], -1
	v_cndmask_b32_e64 v40, 0, 1, s[0:1]
	s_xor_b64 s[0:1], s[38:39], -1
	v_cndmask_b32_e64 v16, 0, 1, s[0:1]
	v_lshlrev_b16_e32 v16, 8, v16
	s_xor_b64 s[0:1], s[6:7], -1
	v_lshrrev_b32_e32 v16, 8, v16
	v_mov_b32_e32 v22, 1
	s_xor_b64 s[6:7], s[40:41], -1
	v_cndmask_b32_e64 v19, 0, 1, s[0:1]
	s_xor_b64 s[0:1], s[14:15], -1
	v_and_b32_sdwa v16, v16, v22 dst_sel:BYTE_1 dst_unused:UNUSED_PAD src0_sel:DWORD src1_sel:DWORD
	v_cndmask_b32_e64 v22, 0, 1, s[6:7]
	v_cndmask_b32_e64 v17, 0, 1, s[0:1]
	s_xor_b64 s[0:1], s[42:43], -1
	v_or_b32_sdwa v24, v22, v16 dst_sel:WORD_1 dst_unused:UNUSED_PAD src0_sel:DWORD src1_sel:DWORD
	s_branch .LBB1687_42
.LBB1687_38:
                                        ; implicit-def: $sgpr0_sgpr1
                                        ; implicit-def: $vgpr19
                                        ; implicit-def: $vgpr40
                                        ; implicit-def: $vgpr17
                                        ; implicit-def: $vgpr22
	s_branch .LBB1687_95
.LBB1687_39:
                                        ; implicit-def: $vgpr42
                                        ; implicit-def: $vgpr41
                                        ; implicit-def: $vgpr20
	s_branch .LBB1687_164
.LBB1687_40:
                                        ; implicit-def: $sgpr0_sgpr1
                                        ; implicit-def: $vgpr19
                                        ; implicit-def: $vgpr40
                                        ; implicit-def: $vgpr17
                                        ; implicit-def: $vgpr22
	s_cbranch_execnz .LBB1687_49
	s_branch .LBB1687_94
.LBB1687_41:
	v_mov_b32_e32 v24, 0
	v_mov_b32_e32 v19, 0
	;; [unrolled: 1-line block ×4, first 2 shown]
.LBB1687_42:
	s_waitcnt vmcnt(0)
	v_mov_b64_e32 v[22:23], v[20:21]
	s_waitcnt lgkmcnt(0)
	s_barrier
	s_and_saveexec_b64 s[6:7], s[2:3]
; %bb.43:
	v_add_u32_e32 v16, -8, v27
	ds_read_b64 v[22:23], v16
; %bb.44:
	s_or_b64 exec, exec, s[6:7]
	v_cndmask_b32_e64 v25, 0, 1, s[0:1]
	v_lshrrev_b32_e32 v16, 16, v24
	s_mov_b32 s0, 0xc0c0304
	v_perm_b32 v16, v16, v24, s0
	v_lshlrev_b16_e32 v25, 8, v25
	s_movk_i32 s0, 0xff
	v_bitop3_b16 v24, v24, v25, s0 bitop3:0xec
	v_and_b32_e32 v28, 0xffff, v24
	s_mov_b64 s[6:7], 0
	s_and_b64 vcc, exec, s[4:5]
	s_mov_b64 s[0:1], 0
	s_cbranch_vccnz .LBB1687_48
; %bb.45:
	s_waitcnt lgkmcnt(0)
	v_mul_lo_u32 v24, v23, s26
	v_mul_lo_u32 v25, v22, s27
	v_mad_u64_u32 v[22:23], s[0:1], v22, s26, 0
	v_add3_u32 v23, v23, v25, v24
	v_mul_lo_u32 v29, v11, s26
	v_mul_lo_u32 v30, v10, s27
	v_mad_u64_u32 v[24:25], s[0:1], v10, s26, 0
	v_add3_u32 v25, v25, v30, v29
	s_add_u32 s14, s26, -1
	v_lshl_add_u64 v[22:23], v[22:23], 3, s[28:29]
	v_lshl_add_u64 v[24:25], v[24:25], 3, s[28:29]
	s_addc_u32 s15, s27, -1
	s_mov_b64 s[10:11], 0
                                        ; implicit-def: $sgpr12_sgpr13
.LBB1687_46:                            ; =>This Inner Loop Header: Depth=1
	global_load_dwordx2 v[30:31], v[22:23], off
	global_load_dwordx2 v[32:33], v[24:25], off
	s_add_u32 s0, s14, -1
	s_addc_u32 s1, s15, -1
	s_cmp_eq_u64 s[14:15], 0
	s_mov_b64 s[14:15], s[0:1]
	s_cselect_b64 s[38:39], -1, 0
	v_lshl_add_u64 v[22:23], v[22:23], 0, 8
	v_lshl_add_u64 v[24:25], v[24:25], 0, 8
	s_waitcnt vmcnt(0)
	v_cmp_ne_u64_e64 s[0:1], v[30:31], v[32:33]
	s_or_b64 s[0:1], s[0:1], s[38:39]
	s_and_b64 s[0:1], exec, s[0:1]
	v_cmp_eq_u64_e32 vcc, v[30:31], v[32:33]
	s_or_b64 s[10:11], s[0:1], s[10:11]
	s_andn2_b64 s[0:1], s[12:13], exec
	s_and_b64 s[12:13], vcc, exec
	s_or_b64 s[12:13], s[0:1], s[12:13]
	s_andn2_b64 exec, exec, s[10:11]
	s_cbranch_execnz .LBB1687_46
; %bb.47:
	s_or_b64 exec, exec, s[10:11]
	s_xor_b64 s[0:1], s[12:13], -1
.LBB1687_48:
	s_waitcnt lgkmcnt(0)
	v_lshl_or_b32 v22, v16, 16, v28
	s_and_b64 vcc, exec, s[6:7]
	s_cbranch_vccz .LBB1687_94
.LBB1687_49:
	v_add_u32_e32 v16, 6, v1
	v_cmp_gt_u32_e32 vcc, s50, v16
	s_mov_b64 s[10:11], 0
	s_mov_b64 s[6:7], 0
	s_and_saveexec_b64 s[12:13], vcc
	s_cbranch_execz .LBB1687_55
; %bb.50:
	s_and_b64 vcc, exec, s[4:5]
	s_mov_b64 s[0:1], 0
	s_cbranch_vccnz .LBB1687_54
; %bb.51:
	v_mul_lo_u32 v19, v5, s26
	v_mul_lo_u32 v22, v4, s27
	v_mad_u64_u32 v[16:17], s[0:1], v4, s26, 0
	v_add3_u32 v17, v17, v22, v19
	v_mul_lo_u32 v19, v15, s26
	v_mul_lo_u32 v24, v14, s27
	v_mad_u64_u32 v[22:23], s[0:1], v14, s26, 0
	v_add3_u32 v23, v23, v24, v19
	s_add_u32 s38, s26, -1
	v_lshl_add_u64 v[16:17], v[16:17], 3, s[28:29]
	v_lshl_add_u64 v[22:23], v[22:23], 3, s[28:29]
	s_addc_u32 s39, s27, -1
                                        ; implicit-def: $sgpr14_sgpr15
.LBB1687_52:                            ; =>This Inner Loop Header: Depth=1
	global_load_dwordx2 v[24:25], v[16:17], off
	global_load_dwordx2 v[28:29], v[22:23], off
	s_add_u32 s0, s38, -1
	s_addc_u32 s1, s39, -1
	s_cmp_eq_u64 s[38:39], 0
	s_mov_b64 s[38:39], s[0:1]
	s_cselect_b64 s[40:41], -1, 0
	v_lshl_add_u64 v[16:17], v[16:17], 0, 8
	v_lshl_add_u64 v[22:23], v[22:23], 0, 8
	s_waitcnt vmcnt(0)
	v_cmp_ne_u64_e64 s[0:1], v[24:25], v[28:29]
	s_or_b64 s[0:1], s[0:1], s[40:41]
	s_and_b64 s[0:1], exec, s[0:1]
	v_cmp_eq_u64_e32 vcc, v[24:25], v[28:29]
	s_or_b64 s[6:7], s[0:1], s[6:7]
	s_andn2_b64 s[0:1], s[14:15], exec
	s_and_b64 s[14:15], vcc, exec
	s_or_b64 s[14:15], s[0:1], s[14:15]
	s_andn2_b64 exec, exec, s[6:7]
	s_cbranch_execnz .LBB1687_52
; %bb.53:
	s_or_b64 exec, exec, s[6:7]
	s_xor_b64 s[0:1], s[14:15], -1
.LBB1687_54:
	s_and_b64 s[6:7], s[0:1], exec
.LBB1687_55:
	s_or_b64 exec, exec, s[12:13]
	v_add_u32_e32 v16, 5, v1
	v_cmp_gt_u32_e32 vcc, s50, v16
	s_and_saveexec_b64 s[12:13], vcc
	s_cbranch_execz .LBB1687_61
; %bb.56:
	s_and_b64 vcc, exec, s[4:5]
	s_mov_b64 s[0:1], 0
	s_cbranch_vccnz .LBB1687_60
; %bb.57:
	v_mul_lo_u32 v19, v3, s26
	v_mul_lo_u32 v22, v2, s27
	v_mad_u64_u32 v[16:17], s[0:1], v2, s26, 0
	v_add3_u32 v17, v17, v22, v19
	v_mul_lo_u32 v19, v5, s26
	v_mul_lo_u32 v24, v4, s27
	v_mad_u64_u32 v[22:23], s[0:1], v4, s26, 0
	v_add3_u32 v23, v23, v24, v19
	s_add_u32 s38, s26, -1
	v_lshl_add_u64 v[16:17], v[16:17], 3, s[28:29]
	v_lshl_add_u64 v[22:23], v[22:23], 3, s[28:29]
	s_addc_u32 s39, s27, -1
	s_mov_b64 s[10:11], 0
                                        ; implicit-def: $sgpr14_sgpr15
.LBB1687_58:                            ; =>This Inner Loop Header: Depth=1
	global_load_dwordx2 v[24:25], v[16:17], off
	global_load_dwordx2 v[28:29], v[22:23], off
	s_add_u32 s0, s38, -1
	s_addc_u32 s1, s39, -1
	s_cmp_eq_u64 s[38:39], 0
	s_mov_b64 s[38:39], s[0:1]
	s_cselect_b64 s[40:41], -1, 0
	v_lshl_add_u64 v[16:17], v[16:17], 0, 8
	v_lshl_add_u64 v[22:23], v[22:23], 0, 8
	s_waitcnt vmcnt(0)
	v_cmp_ne_u64_e64 s[0:1], v[24:25], v[28:29]
	s_or_b64 s[0:1], s[0:1], s[40:41]
	s_and_b64 s[0:1], exec, s[0:1]
	v_cmp_eq_u64_e32 vcc, v[24:25], v[28:29]
	s_or_b64 s[10:11], s[0:1], s[10:11]
	s_andn2_b64 s[0:1], s[14:15], exec
	s_and_b64 s[14:15], vcc, exec
	s_or_b64 s[14:15], s[0:1], s[14:15]
	s_andn2_b64 exec, exec, s[10:11]
	s_cbranch_execnz .LBB1687_58
; %bb.59:
	s_or_b64 exec, exec, s[10:11]
	s_xor_b64 s[0:1], s[14:15], -1
.LBB1687_60:
	s_and_b64 s[10:11], s[0:1], exec
.LBB1687_61:
	s_or_b64 exec, exec, s[12:13]
	v_add_u32_e32 v16, 4, v1
	v_cmp_gt_u32_e32 vcc, s50, v16
	s_mov_b64 s[14:15], 0
	s_mov_b64 s[12:13], 0
	s_and_saveexec_b64 s[38:39], vcc
	s_cbranch_execz .LBB1687_67
; %bb.62:
	s_and_b64 vcc, exec, s[4:5]
	s_mov_b64 s[0:1], 0
	s_cbranch_vccnz .LBB1687_66
; %bb.63:
	v_mul_lo_u32 v19, v9, s26
	v_mul_lo_u32 v22, v8, s27
	v_mad_u64_u32 v[16:17], s[0:1], v8, s26, 0
	v_add3_u32 v17, v17, v22, v19
	v_mul_lo_u32 v19, v3, s26
	v_mul_lo_u32 v24, v2, s27
	v_mad_u64_u32 v[22:23], s[0:1], v2, s26, 0
	v_add3_u32 v23, v23, v24, v19
	s_add_u32 s42, s26, -1
	v_lshl_add_u64 v[16:17], v[16:17], 3, s[28:29]
	v_lshl_add_u64 v[22:23], v[22:23], 3, s[28:29]
	s_addc_u32 s43, s27, -1
                                        ; implicit-def: $sgpr40_sgpr41
.LBB1687_64:                            ; =>This Inner Loop Header: Depth=1
	global_load_dwordx2 v[24:25], v[16:17], off
	global_load_dwordx2 v[28:29], v[22:23], off
	s_add_u32 s0, s42, -1
	s_addc_u32 s1, s43, -1
	s_cmp_eq_u64 s[42:43], 0
	s_mov_b64 s[42:43], s[0:1]
	s_cselect_b64 s[44:45], -1, 0
	v_lshl_add_u64 v[16:17], v[16:17], 0, 8
	v_lshl_add_u64 v[22:23], v[22:23], 0, 8
	s_waitcnt vmcnt(0)
	v_cmp_ne_u64_e64 s[0:1], v[24:25], v[28:29]
	s_or_b64 s[0:1], s[0:1], s[44:45]
	s_and_b64 s[0:1], exec, s[0:1]
	v_cmp_eq_u64_e32 vcc, v[24:25], v[28:29]
	s_or_b64 s[12:13], s[0:1], s[12:13]
	s_andn2_b64 s[0:1], s[40:41], exec
	s_and_b64 s[40:41], vcc, exec
	s_or_b64 s[40:41], s[0:1], s[40:41]
	s_andn2_b64 exec, exec, s[12:13]
	s_cbranch_execnz .LBB1687_64
; %bb.65:
	s_or_b64 exec, exec, s[12:13]
	s_xor_b64 s[0:1], s[40:41], -1
.LBB1687_66:
	s_and_b64 s[12:13], s[0:1], exec
.LBB1687_67:
	s_or_b64 exec, exec, s[38:39]
	v_add_u32_e32 v16, 3, v1
	v_cmp_gt_u32_e32 vcc, s50, v16
	s_and_saveexec_b64 s[38:39], vcc
	s_cbranch_execz .LBB1687_73
; %bb.68:
	s_and_b64 vcc, exec, s[4:5]
	s_mov_b64 s[0:1], 0
	s_cbranch_vccnz .LBB1687_72
; %bb.69:
	v_mul_lo_u32 v19, v7, s26
	v_mul_lo_u32 v22, v6, s27
	v_mad_u64_u32 v[16:17], s[0:1], v6, s26, 0
	v_add3_u32 v17, v17, v22, v19
	v_mul_lo_u32 v19, v9, s26
	v_mul_lo_u32 v24, v8, s27
	v_mad_u64_u32 v[22:23], s[0:1], v8, s26, 0
	v_add3_u32 v23, v23, v24, v19
	s_add_u32 s42, s26, -1
	v_lshl_add_u64 v[16:17], v[16:17], 3, s[28:29]
	v_lshl_add_u64 v[22:23], v[22:23], 3, s[28:29]
	s_addc_u32 s43, s27, -1
	s_mov_b64 s[14:15], 0
                                        ; implicit-def: $sgpr40_sgpr41
.LBB1687_70:                            ; =>This Inner Loop Header: Depth=1
	global_load_dwordx2 v[24:25], v[16:17], off
	global_load_dwordx2 v[28:29], v[22:23], off
	s_add_u32 s0, s42, -1
	s_addc_u32 s1, s43, -1
	s_cmp_eq_u64 s[42:43], 0
	s_mov_b64 s[42:43], s[0:1]
	s_cselect_b64 s[44:45], -1, 0
	v_lshl_add_u64 v[16:17], v[16:17], 0, 8
	v_lshl_add_u64 v[22:23], v[22:23], 0, 8
	s_waitcnt vmcnt(0)
	v_cmp_ne_u64_e64 s[0:1], v[24:25], v[28:29]
	s_or_b64 s[0:1], s[0:1], s[44:45]
	s_and_b64 s[0:1], exec, s[0:1]
	v_cmp_eq_u64_e32 vcc, v[24:25], v[28:29]
	s_or_b64 s[14:15], s[0:1], s[14:15]
	s_andn2_b64 s[0:1], s[40:41], exec
	s_and_b64 s[40:41], vcc, exec
	s_or_b64 s[40:41], s[0:1], s[40:41]
	s_andn2_b64 exec, exec, s[14:15]
	s_cbranch_execnz .LBB1687_70
; %bb.71:
	s_or_b64 exec, exec, s[14:15]
	s_xor_b64 s[0:1], s[40:41], -1
.LBB1687_72:
	s_and_b64 s[14:15], s[0:1], exec
.LBB1687_73:
	s_or_b64 exec, exec, s[38:39]
	v_add_u32_e32 v16, 2, v1
	v_cmp_gt_u32_e32 vcc, s50, v16
	s_mov_b64 s[38:39], 0
	s_mov_b64 s[40:41], 0
	s_and_saveexec_b64 s[42:43], vcc
	s_cbranch_execz .LBB1687_79
; %bb.74:
	s_and_b64 vcc, exec, s[4:5]
	s_mov_b64 s[0:1], 0
	s_cbranch_vccnz .LBB1687_78
; %bb.75:
	v_mul_lo_u32 v19, v13, s26
	v_mul_lo_u32 v22, v12, s27
	v_mad_u64_u32 v[16:17], s[0:1], v12, s26, 0
	v_add3_u32 v17, v17, v22, v19
	v_mul_lo_u32 v19, v7, s26
	v_mul_lo_u32 v24, v6, s27
	v_mad_u64_u32 v[22:23], s[0:1], v6, s26, 0
	v_add3_u32 v23, v23, v24, v19
	s_add_u32 s46, s26, -1
	v_lshl_add_u64 v[16:17], v[16:17], 3, s[28:29]
	v_lshl_add_u64 v[22:23], v[22:23], 3, s[28:29]
	s_addc_u32 s47, s27, -1
                                        ; implicit-def: $sgpr44_sgpr45
.LBB1687_76:                            ; =>This Inner Loop Header: Depth=1
	global_load_dwordx2 v[24:25], v[16:17], off
	global_load_dwordx2 v[28:29], v[22:23], off
	s_add_u32 s0, s46, -1
	s_addc_u32 s1, s47, -1
	s_cmp_eq_u64 s[46:47], 0
	s_mov_b64 s[46:47], s[0:1]
	s_cselect_b64 s[48:49], -1, 0
	v_lshl_add_u64 v[16:17], v[16:17], 0, 8
	v_lshl_add_u64 v[22:23], v[22:23], 0, 8
	s_waitcnt vmcnt(0)
	v_cmp_ne_u64_e64 s[0:1], v[24:25], v[28:29]
	s_or_b64 s[0:1], s[0:1], s[48:49]
	s_and_b64 s[0:1], exec, s[0:1]
	v_cmp_eq_u64_e32 vcc, v[24:25], v[28:29]
	s_or_b64 s[40:41], s[0:1], s[40:41]
	s_andn2_b64 s[0:1], s[44:45], exec
	s_and_b64 s[44:45], vcc, exec
	s_or_b64 s[44:45], s[0:1], s[44:45]
	s_andn2_b64 exec, exec, s[40:41]
	s_cbranch_execnz .LBB1687_76
; %bb.77:
	s_or_b64 exec, exec, s[40:41]
	s_xor_b64 s[0:1], s[44:45], -1
.LBB1687_78:
	s_and_b64 s[40:41], s[0:1], exec
.LBB1687_79:
	s_or_b64 exec, exec, s[42:43]
	v_add_u32_e32 v16, 1, v1
	v_cmp_gt_u32_e32 vcc, s50, v16
	s_and_saveexec_b64 s[42:43], vcc
	s_cbranch_execz .LBB1687_85
; %bb.80:
	s_and_b64 vcc, exec, s[4:5]
	s_mov_b64 s[0:1], 0
	s_cbranch_vccnz .LBB1687_84
; %bb.81:
	v_mul_lo_u32 v19, v11, s26
	v_mul_lo_u32 v22, v10, s27
	v_mad_u64_u32 v[16:17], s[0:1], v10, s26, 0
	v_add3_u32 v17, v17, v22, v19
	v_mul_lo_u32 v19, v13, s26
	v_mul_lo_u32 v24, v12, s27
	v_mad_u64_u32 v[22:23], s[0:1], v12, s26, 0
	v_add3_u32 v23, v23, v24, v19
	s_add_u32 s46, s26, -1
	v_lshl_add_u64 v[16:17], v[16:17], 3, s[28:29]
	v_lshl_add_u64 v[22:23], v[22:23], 3, s[28:29]
	s_addc_u32 s47, s27, -1
	s_mov_b64 s[38:39], 0
                                        ; implicit-def: $sgpr44_sgpr45
.LBB1687_82:                            ; =>This Inner Loop Header: Depth=1
	global_load_dwordx2 v[24:25], v[16:17], off
	global_load_dwordx2 v[28:29], v[22:23], off
	s_add_u32 s0, s46, -1
	s_addc_u32 s1, s47, -1
	s_cmp_eq_u64 s[46:47], 0
	s_mov_b64 s[46:47], s[0:1]
	s_cselect_b64 s[48:49], -1, 0
	v_lshl_add_u64 v[16:17], v[16:17], 0, 8
	v_lshl_add_u64 v[22:23], v[22:23], 0, 8
	s_waitcnt vmcnt(0)
	v_cmp_ne_u64_e64 s[0:1], v[24:25], v[28:29]
	s_or_b64 s[0:1], s[0:1], s[48:49]
	s_and_b64 s[0:1], exec, s[0:1]
	v_cmp_eq_u64_e32 vcc, v[24:25], v[28:29]
	s_or_b64 s[38:39], s[0:1], s[38:39]
	s_andn2_b64 s[0:1], s[44:45], exec
	s_and_b64 s[44:45], vcc, exec
	s_or_b64 s[44:45], s[0:1], s[44:45]
	s_andn2_b64 exec, exec, s[38:39]
	s_cbranch_execnz .LBB1687_82
; %bb.83:
	s_or_b64 exec, exec, s[38:39]
	s_xor_b64 s[0:1], s[44:45], -1
.LBB1687_84:
	s_and_b64 s[38:39], s[0:1], exec
.LBB1687_85:
	s_or_b64 exec, exec, s[42:43]
	s_waitcnt lgkmcnt(0)
	s_barrier
	s_and_saveexec_b64 s[0:1], s[2:3]
	s_cbranch_execz .LBB1687_87
; %bb.86:
	v_add_u32_e32 v16, -8, v27
	s_waitcnt vmcnt(0)
	ds_read_b64 v[20:21], v16
.LBB1687_87:
	s_or_b64 exec, exec, s[0:1]
	v_cndmask_b32_e64 v17, 0, 1, s[14:15]
	v_cndmask_b32_e64 v16, 0, 1, s[40:41]
	v_cndmask_b32_e64 v19, 0, 1, s[38:39]
	v_lshlrev_b16_e32 v17, 8, v17
	v_cmp_gt_u32_e32 vcc, s50, v1
	v_lshlrev_b16_e32 v22, 8, v19
	v_or_b32_sdwa v23, v16, v17 dst_sel:WORD_1 dst_unused:UNUSED_PAD src0_sel:DWORD src1_sel:DWORD
	s_mov_b64 s[0:1], 0
	s_and_saveexec_b64 s[14:15], vcc
	s_cbranch_execz .LBB1687_93
; %bb.88:
	s_and_b64 vcc, exec, s[4:5]
	s_cbranch_vccnz .LBB1687_92
; %bb.89:
	s_waitcnt vmcnt(0) lgkmcnt(0)
	v_mul_lo_u32 v19, v21, s26
	v_mul_lo_u32 v21, v20, s27
	v_mad_u64_u32 v[16:17], s[0:1], v20, s26, 0
	v_add3_u32 v17, v17, v21, v19
	v_mul_lo_u32 v19, v11, s26
	v_mul_lo_u32 v24, v10, s27
	v_mad_u64_u32 v[20:21], s[0:1], v10, s26, 0
	v_add3_u32 v21, v21, v24, v19
	s_add_u32 s40, s26, -1
	v_lshl_add_u64 v[16:17], v[16:17], 3, s[28:29]
	v_lshl_add_u64 v[20:21], v[20:21], 3, s[28:29]
	s_addc_u32 s41, s27, -1
	s_mov_b64 s[4:5], 0
                                        ; implicit-def: $sgpr38_sgpr39
.LBB1687_90:                            ; =>This Inner Loop Header: Depth=1
	global_load_dwordx2 v[24:25], v[16:17], off
	global_load_dwordx2 v[28:29], v[20:21], off
	s_add_u32 s0, s40, -1
	s_addc_u32 s1, s41, -1
	s_cmp_eq_u64 s[40:41], 0
	s_mov_b64 s[40:41], s[0:1]
	s_cselect_b64 s[42:43], -1, 0
	v_lshl_add_u64 v[16:17], v[16:17], 0, 8
	v_lshl_add_u64 v[20:21], v[20:21], 0, 8
	s_waitcnt vmcnt(0)
	v_cmp_ne_u64_e64 s[0:1], v[24:25], v[28:29]
	s_or_b64 s[0:1], s[0:1], s[42:43]
	s_and_b64 s[0:1], exec, s[0:1]
	v_cmp_eq_u64_e32 vcc, v[24:25], v[28:29]
	s_or_b64 s[4:5], s[0:1], s[4:5]
	s_andn2_b64 s[0:1], s[38:39], exec
	s_and_b64 s[38:39], vcc, exec
	s_or_b64 s[38:39], s[0:1], s[38:39]
	s_andn2_b64 exec, exec, s[4:5]
	s_cbranch_execnz .LBB1687_90
; %bb.91:
	s_or_b64 exec, exec, s[4:5]
	s_xor_b64 s[0:1], s[38:39], -1
.LBB1687_92:
	s_and_b64 s[0:1], s[0:1], exec
.LBB1687_93:
	s_or_b64 exec, exec, s[14:15]
	v_cndmask_b32_e64 v17, 0, 1, s[12:13]
	v_cndmask_b32_e64 v40, 0, 1, s[10:11]
	;; [unrolled: 1-line block ×3, first 2 shown]
	v_or_b32_e32 v22, v22, v23
.LBB1687_94:
	s_mov_b64 s[10:11], -1
	s_cbranch_execnz .LBB1687_39
.LBB1687_95:
	s_movk_i32 s0, 0xffd0
	v_mad_i32_i24 v26, v0, s0, v26
	s_mov_b64 s[0:1], 0
	v_cmp_gt_i64_e64 s[6:7], s[26:27], 0
	s_and_b64 vcc, exec, s[36:37]
	ds_write_b64 v26, v[14:15]
	s_cbranch_vccz .LBB1687_110
; %bb.96:
	v_cndmask_b32_e64 v16, 0, 1, s[6:7]
	v_cmp_ne_u32_e64 s[4:5], 1, v16
	s_andn2_b64 vcc, exec, s[6:7]
	s_cbranch_vccnz .LBB1687_111
; %bb.97:
	v_mul_lo_u32 v19, v5, s26
	s_waitcnt vmcnt(0) lgkmcnt(1)
	v_mul_lo_u32 v20, v4, s27
	v_mad_u64_u32 v[16:17], s[0:1], v4, s26, 0
	v_add3_u32 v17, v17, v20, v19
	v_mul_lo_u32 v19, v15, s26
	v_mul_lo_u32 v22, v14, s27
	v_mad_u64_u32 v[20:21], s[0:1], v14, s26, 0
	s_add_u32 s14, s26, -1
	v_lshl_add_u64 v[16:17], v[16:17], 3, s[28:29]
	v_add3_u32 v21, v21, v22, v19
	s_addc_u32 s15, s27, -1
	v_lshl_add_u64 v[20:21], v[20:21], 3, s[28:29]
	s_mov_b64 s[38:39], 0
	s_mov_b64 s[40:41], s[14:15]
	v_mov_b64_e32 v[22:23], v[16:17]
                                        ; implicit-def: $sgpr12_sgpr13
.LBB1687_98:                            ; =>This Inner Loop Header: Depth=1
	global_load_dwordx2 v[24:25], v[22:23], off
	global_load_dwordx2 v[28:29], v[20:21], off
	s_add_u32 s0, s40, -1
	s_addc_u32 s1, s41, -1
	s_cmp_eq_u64 s[40:41], 0
	s_mov_b64 s[40:41], s[0:1]
	s_cselect_b64 s[42:43], -1, 0
	v_lshl_add_u64 v[22:23], v[22:23], 0, 8
	v_lshl_add_u64 v[20:21], v[20:21], 0, 8
	s_waitcnt vmcnt(0)
	v_cmp_ne_u64_e64 s[0:1], v[24:25], v[28:29]
	s_or_b64 s[0:1], s[0:1], s[42:43]
	s_and_b64 s[0:1], exec, s[0:1]
	v_cmp_eq_u64_e32 vcc, v[24:25], v[28:29]
	s_or_b64 s[38:39], s[0:1], s[38:39]
	s_andn2_b64 s[0:1], s[12:13], exec
	s_and_b64 s[12:13], vcc, exec
	s_or_b64 s[12:13], s[0:1], s[12:13]
	s_andn2_b64 exec, exec, s[38:39]
	s_cbranch_execnz .LBB1687_98
; %bb.99:
	s_or_b64 exec, exec, s[38:39]
	v_mul_lo_u32 v19, v3, s26
	v_mul_lo_u32 v22, v2, s27
	v_mad_u64_u32 v[20:21], s[0:1], v2, s26, 0
	v_add3_u32 v21, v21, v22, v19
	v_lshl_add_u64 v[20:21], v[20:21], 3, s[28:29]
	s_mov_b64 s[40:41], 0
	s_mov_b64 s[42:43], s[14:15]
	v_mov_b64_e32 v[22:23], v[20:21]
                                        ; implicit-def: $sgpr38_sgpr39
.LBB1687_100:                           ; =>This Inner Loop Header: Depth=1
	global_load_dwordx2 v[24:25], v[22:23], off
	global_load_dwordx2 v[28:29], v[16:17], off
	s_add_u32 s0, s42, -1
	s_addc_u32 s1, s43, -1
	s_cmp_eq_u64 s[42:43], 0
	s_mov_b64 s[42:43], s[0:1]
	s_cselect_b64 s[44:45], -1, 0
	v_lshl_add_u64 v[22:23], v[22:23], 0, 8
	v_lshl_add_u64 v[16:17], v[16:17], 0, 8
	s_waitcnt vmcnt(0)
	v_cmp_ne_u64_e64 s[0:1], v[24:25], v[28:29]
	s_or_b64 s[0:1], s[0:1], s[44:45]
	s_and_b64 s[0:1], exec, s[0:1]
	v_cmp_eq_u64_e32 vcc, v[24:25], v[28:29]
	s_or_b64 s[40:41], s[0:1], s[40:41]
	s_andn2_b64 s[0:1], s[38:39], exec
	s_and_b64 s[38:39], vcc, exec
	s_or_b64 s[38:39], s[0:1], s[38:39]
	s_andn2_b64 exec, exec, s[40:41]
	s_cbranch_execnz .LBB1687_100
; %bb.101:
	s_or_b64 exec, exec, s[40:41]
	v_mul_lo_u32 v19, v9, s26
	v_mul_lo_u32 v22, v8, s27
	v_mad_u64_u32 v[16:17], s[0:1], v8, s26, 0
	v_add3_u32 v17, v17, v22, v19
	v_lshl_add_u64 v[16:17], v[16:17], 3, s[28:29]
	s_mov_b64 s[42:43], 0
	s_mov_b64 s[44:45], s[14:15]
	v_mov_b64_e32 v[22:23], v[16:17]
                                        ; implicit-def: $sgpr40_sgpr41
.LBB1687_102:                           ; =>This Inner Loop Header: Depth=1
	global_load_dwordx2 v[24:25], v[22:23], off
	global_load_dwordx2 v[28:29], v[20:21], off
	s_add_u32 s0, s44, -1
	s_addc_u32 s1, s45, -1
	s_cmp_eq_u64 s[44:45], 0
	s_mov_b64 s[44:45], s[0:1]
	s_cselect_b64 s[46:47], -1, 0
	v_lshl_add_u64 v[22:23], v[22:23], 0, 8
	v_lshl_add_u64 v[20:21], v[20:21], 0, 8
	s_waitcnt vmcnt(0)
	v_cmp_ne_u64_e64 s[0:1], v[24:25], v[28:29]
	s_or_b64 s[0:1], s[0:1], s[46:47]
	s_and_b64 s[0:1], exec, s[0:1]
	v_cmp_eq_u64_e32 vcc, v[24:25], v[28:29]
	s_or_b64 s[42:43], s[0:1], s[42:43]
	s_andn2_b64 s[0:1], s[40:41], exec
	s_and_b64 s[40:41], vcc, exec
	s_or_b64 s[40:41], s[0:1], s[40:41]
	s_andn2_b64 exec, exec, s[42:43]
	s_cbranch_execnz .LBB1687_102
; %bb.103:
	s_or_b64 exec, exec, s[42:43]
	v_mul_lo_u32 v19, v7, s26
	v_mul_lo_u32 v22, v6, s27
	v_mad_u64_u32 v[20:21], s[0:1], v6, s26, 0
	v_add3_u32 v21, v21, v22, v19
	v_lshl_add_u64 v[20:21], v[20:21], 3, s[28:29]
	s_mov_b64 s[44:45], 0
	s_mov_b64 s[46:47], s[14:15]
	v_mov_b64_e32 v[22:23], v[20:21]
                                        ; implicit-def: $sgpr42_sgpr43
.LBB1687_104:                           ; =>This Inner Loop Header: Depth=1
	global_load_dwordx2 v[24:25], v[22:23], off
	global_load_dwordx2 v[28:29], v[16:17], off
	s_add_u32 s0, s46, -1
	s_addc_u32 s1, s47, -1
	s_cmp_eq_u64 s[46:47], 0
	s_mov_b64 s[46:47], s[0:1]
	s_cselect_b64 s[48:49], -1, 0
	v_lshl_add_u64 v[22:23], v[22:23], 0, 8
	v_lshl_add_u64 v[16:17], v[16:17], 0, 8
	s_waitcnt vmcnt(0)
	v_cmp_ne_u64_e64 s[0:1], v[24:25], v[28:29]
	s_or_b64 s[0:1], s[0:1], s[48:49]
	s_and_b64 s[0:1], exec, s[0:1]
	v_cmp_eq_u64_e32 vcc, v[24:25], v[28:29]
	s_or_b64 s[44:45], s[0:1], s[44:45]
	s_andn2_b64 s[0:1], s[42:43], exec
	s_and_b64 s[42:43], vcc, exec
	s_or_b64 s[42:43], s[0:1], s[42:43]
	s_andn2_b64 exec, exec, s[44:45]
	s_cbranch_execnz .LBB1687_104
; %bb.105:
	s_or_b64 exec, exec, s[44:45]
	v_mul_lo_u32 v19, v13, s26
	v_mul_lo_u32 v22, v12, s27
	v_mad_u64_u32 v[16:17], s[0:1], v12, s26, 0
	v_add3_u32 v17, v17, v22, v19
	v_lshl_add_u64 v[16:17], v[16:17], 3, s[28:29]
	s_mov_b64 s[46:47], 0
	s_mov_b64 s[48:49], s[14:15]
	v_mov_b64_e32 v[22:23], v[16:17]
                                        ; implicit-def: $sgpr44_sgpr45
.LBB1687_106:                           ; =>This Inner Loop Header: Depth=1
	global_load_dwordx2 v[24:25], v[22:23], off
	global_load_dwordx2 v[28:29], v[20:21], off
	s_add_u32 s0, s48, -1
	s_addc_u32 s1, s49, -1
	s_cmp_eq_u64 s[48:49], 0
	s_mov_b64 s[48:49], s[0:1]
	s_cselect_b64 s[52:53], -1, 0
	v_lshl_add_u64 v[22:23], v[22:23], 0, 8
	v_lshl_add_u64 v[20:21], v[20:21], 0, 8
	s_waitcnt vmcnt(0)
	v_cmp_ne_u64_e64 s[0:1], v[24:25], v[28:29]
	s_or_b64 s[0:1], s[0:1], s[52:53]
	s_and_b64 s[0:1], exec, s[0:1]
	v_cmp_eq_u64_e32 vcc, v[24:25], v[28:29]
	s_or_b64 s[46:47], s[0:1], s[46:47]
	s_andn2_b64 s[0:1], s[44:45], exec
	s_and_b64 s[44:45], vcc, exec
	s_or_b64 s[44:45], s[0:1], s[44:45]
	s_andn2_b64 exec, exec, s[46:47]
	s_cbranch_execnz .LBB1687_106
; %bb.107:
	s_or_b64 exec, exec, s[46:47]
	v_mul_lo_u32 v19, v11, s26
	v_mul_lo_u32 v22, v10, s27
	v_mad_u64_u32 v[20:21], s[0:1], v10, s26, 0
	v_add3_u32 v21, v21, v22, v19
	v_lshl_add_u64 v[20:21], v[20:21], 3, s[28:29]
	s_mov_b64 s[48:49], 0
                                        ; implicit-def: $sgpr46_sgpr47
.LBB1687_108:                           ; =>This Inner Loop Header: Depth=1
	global_load_dwordx2 v[22:23], v[20:21], off
	global_load_dwordx2 v[24:25], v[16:17], off
	s_add_u32 s0, s14, -1
	s_addc_u32 s1, s15, -1
	s_cmp_eq_u64 s[14:15], 0
	s_mov_b64 s[14:15], s[0:1]
	s_cselect_b64 s[52:53], -1, 0
	v_lshl_add_u64 v[20:21], v[20:21], 0, 8
	v_lshl_add_u64 v[16:17], v[16:17], 0, 8
	s_waitcnt vmcnt(0)
	v_cmp_ne_u64_e64 s[0:1], v[22:23], v[24:25]
	s_or_b64 s[0:1], s[0:1], s[52:53]
	s_and_b64 s[0:1], exec, s[0:1]
	v_cmp_eq_u64_e32 vcc, v[22:23], v[24:25]
	s_or_b64 s[48:49], s[0:1], s[48:49]
	s_andn2_b64 s[0:1], s[46:47], exec
	s_and_b64 s[46:47], vcc, exec
	s_or_b64 s[46:47], s[0:1], s[46:47]
	s_andn2_b64 exec, exec, s[48:49]
	s_cbranch_execnz .LBB1687_108
; %bb.109:
	s_or_b64 exec, exec, s[48:49]
	s_xor_b64 s[0:1], s[38:39], -1
	v_cndmask_b32_e64 v40, 0, 1, s[0:1]
	s_xor_b64 s[0:1], s[42:43], -1
	v_cndmask_b32_e64 v16, 0, 1, s[0:1]
	v_lshlrev_b16_e32 v16, 8, v16
	s_xor_b64 s[0:1], s[12:13], -1
	v_lshrrev_b32_e32 v16, 8, v16
	v_mov_b32_e32 v20, 1
	s_xor_b64 s[12:13], s[44:45], -1
	v_cndmask_b32_e64 v19, 0, 1, s[0:1]
	s_xor_b64 s[0:1], s[40:41], -1
	v_and_b32_sdwa v16, v16, v20 dst_sel:BYTE_1 dst_unused:UNUSED_PAD src0_sel:DWORD src1_sel:DWORD
	v_cndmask_b32_e64 v20, 0, 1, s[12:13]
	v_cndmask_b32_e64 v17, 0, 1, s[0:1]
	s_xor_b64 s[0:1], s[46:47], -1
	v_or_b32_sdwa v16, v20, v16 dst_sel:WORD_1 dst_unused:UNUSED_PAD src0_sel:DWORD src1_sel:DWORD
	s_branch .LBB1687_112
.LBB1687_110:
                                        ; implicit-def: $sgpr0_sgpr1
                                        ; implicit-def: $vgpr19
                                        ; implicit-def: $vgpr40
                                        ; implicit-def: $vgpr17
                                        ; implicit-def: $vgpr22
                                        ; implicit-def: $vgpr42
                                        ; implicit-def: $vgpr41
                                        ; implicit-def: $vgpr20
	s_cbranch_execnz .LBB1687_119
	s_branch .LBB1687_164
.LBB1687_111:
	v_mov_b32_e32 v16, 0
	v_mov_b32_e32 v19, 0
	;; [unrolled: 1-line block ×4, first 2 shown]
.LBB1687_112:
	v_lshrrev_b32_e32 v41, 16, v16
	s_waitcnt vmcnt(0) lgkmcnt(1)
	v_lshrrev_b32_e32 v20, 24, v16
	v_cndmask_b32_e64 v42, 0, 1, s[0:1]
	v_mov_b32_e32 v16, 1
	s_waitcnt lgkmcnt(0)
	s_barrier
                                        ; implicit-def: $sgpr0_sgpr1
                                        ; implicit-def: $vgpr22
	s_and_saveexec_b64 s[12:13], s[2:3]
	s_xor_b64 s[12:13], exec, s[12:13]
	s_cbranch_execz .LBB1687_118
; %bb.113:
	v_lshlrev_b16_e32 v21, 8, v20
	s_movk_i32 s0, 0xff
	v_bitop3_b16 v21, v41, v21, s0 bitop3:0xec
	v_lshlrev_b16_e32 v22, 8, v42
	v_lshlrev_b32_e32 v21, 16, v21
	v_or_b32_e32 v22, 1, v22
	v_or_b32_sdwa v21, v22, v21 dst_sel:DWORD dst_unused:UNUSED_PAD src0_sel:WORD_0 src1_sel:DWORD
	s_mov_b32 s40, 0x3020104
	s_and_b64 vcc, exec, s[4:5]
	s_mov_b64 s[0:1], 0
	s_cbranch_vccnz .LBB1687_117
; %bb.114:
	v_add_u32_e32 v22, -8, v26
	ds_read_b64 v[22:23], v22
	v_mul_lo_u32 v27, v11, s26
	v_mul_lo_u32 v28, v10, s27
	s_add_u32 s38, s26, -1
	s_addc_u32 s39, s27, -1
	s_waitcnt lgkmcnt(0)
	v_mul_lo_u32 v24, v23, s26
	v_mul_lo_u32 v25, v22, s27
	v_mad_u64_u32 v[22:23], s[0:1], v22, s26, 0
	v_add3_u32 v23, v23, v25, v24
	v_mad_u64_u32 v[24:25], s[0:1], v10, s26, 0
	v_add3_u32 v25, v25, v28, v27
	v_lshl_add_u64 v[22:23], v[22:23], 3, s[28:29]
	v_lshl_add_u64 v[24:25], v[24:25], 3, s[28:29]
	s_mov_b64 s[4:5], 0
                                        ; implicit-def: $sgpr14_sgpr15
.LBB1687_115:                           ; =>This Inner Loop Header: Depth=1
	global_load_dwordx2 v[28:29], v[22:23], off
	global_load_dwordx2 v[30:31], v[24:25], off
	s_add_u32 s0, s38, -1
	s_addc_u32 s1, s39, -1
	s_cmp_eq_u64 s[38:39], 0
	s_mov_b64 s[38:39], s[0:1]
	s_cselect_b64 s[42:43], -1, 0
	v_lshl_add_u64 v[22:23], v[22:23], 0, 8
	v_lshl_add_u64 v[24:25], v[24:25], 0, 8
	s_waitcnt vmcnt(0)
	v_cmp_ne_u64_e64 s[0:1], v[28:29], v[30:31]
	s_or_b64 s[0:1], s[0:1], s[42:43]
	s_and_b64 s[0:1], exec, s[0:1]
	v_cmp_eq_u64_e32 vcc, v[28:29], v[30:31]
	s_or_b64 s[4:5], s[0:1], s[4:5]
	s_andn2_b64 s[0:1], s[14:15], exec
	s_and_b64 s[14:15], vcc, exec
	s_or_b64 s[14:15], s[0:1], s[14:15]
	s_andn2_b64 exec, exec, s[4:5]
	s_cbranch_execnz .LBB1687_115
; %bb.116:
	s_or_b64 exec, exec, s[4:5]
	s_xor_b64 s[0:1], s[14:15], -1
.LBB1687_117:
	v_perm_b32 v22, v21, v21, s40
	s_or_b64 s[10:11], s[10:11], exec
.LBB1687_118:
	s_or_b64 exec, exec, s[12:13]
	s_branch .LBB1687_164
.LBB1687_119:
	v_add_u32_e32 v16, 6, v1
	v_cmp_gt_u32_e32 vcc, s50, v16
	s_mov_b64 s[12:13], 0
	s_mov_b64 s[4:5], 0
	s_and_saveexec_b64 s[14:15], vcc
	s_cbranch_execz .LBB1687_125
; %bb.120:
	s_andn2_b64 vcc, exec, s[6:7]
	s_mov_b64 s[0:1], 0
	s_cbranch_vccnz .LBB1687_124
; %bb.121:
	v_mul_lo_u32 v19, v5, s26
	s_waitcnt vmcnt(0) lgkmcnt(1)
	v_mul_lo_u32 v20, v4, s27
	v_mad_u64_u32 v[16:17], s[0:1], v4, s26, 0
	v_add3_u32 v17, v17, v20, v19
	v_mul_lo_u32 v19, v15, s26
	v_mul_lo_u32 v22, v14, s27
	v_mad_u64_u32 v[20:21], s[0:1], v14, s26, 0
	v_add3_u32 v21, v21, v22, v19
	s_add_u32 s40, s26, -1
	v_lshl_add_u64 v[16:17], v[16:17], 3, s[28:29]
	v_lshl_add_u64 v[20:21], v[20:21], 3, s[28:29]
	s_addc_u32 s41, s27, -1
                                        ; implicit-def: $sgpr38_sgpr39
.LBB1687_122:                           ; =>This Inner Loop Header: Depth=1
	global_load_dwordx2 v[22:23], v[16:17], off
	global_load_dwordx2 v[24:25], v[20:21], off
	s_add_u32 s0, s40, -1
	s_addc_u32 s1, s41, -1
	s_cmp_eq_u64 s[40:41], 0
	s_mov_b64 s[40:41], s[0:1]
	s_cselect_b64 s[42:43], -1, 0
	v_lshl_add_u64 v[16:17], v[16:17], 0, 8
	v_lshl_add_u64 v[20:21], v[20:21], 0, 8
	s_waitcnt vmcnt(0)
	v_cmp_ne_u64_e64 s[0:1], v[22:23], v[24:25]
	s_or_b64 s[0:1], s[0:1], s[42:43]
	s_and_b64 s[0:1], exec, s[0:1]
	v_cmp_eq_u64_e32 vcc, v[22:23], v[24:25]
	s_or_b64 s[4:5], s[0:1], s[4:5]
	s_andn2_b64 s[0:1], s[38:39], exec
	s_and_b64 s[38:39], vcc, exec
	s_or_b64 s[38:39], s[0:1], s[38:39]
	s_andn2_b64 exec, exec, s[4:5]
	s_cbranch_execnz .LBB1687_122
; %bb.123:
	s_or_b64 exec, exec, s[4:5]
	s_xor_b64 s[0:1], s[38:39], -1
.LBB1687_124:
	s_and_b64 s[4:5], s[0:1], exec
.LBB1687_125:
	s_or_b64 exec, exec, s[14:15]
	v_add_u32_e32 v16, 5, v1
	v_cmp_gt_u32_e32 vcc, s50, v16
	s_and_saveexec_b64 s[14:15], vcc
	s_cbranch_execz .LBB1687_131
; %bb.126:
	s_andn2_b64 vcc, exec, s[6:7]
	s_mov_b64 s[0:1], 0
	s_cbranch_vccnz .LBB1687_130
; %bb.127:
	v_mul_lo_u32 v19, v3, s26
	s_waitcnt vmcnt(0) lgkmcnt(1)
	v_mul_lo_u32 v20, v2, s27
	v_mad_u64_u32 v[16:17], s[0:1], v2, s26, 0
	v_add3_u32 v17, v17, v20, v19
	v_mul_lo_u32 v19, v5, s26
	v_mul_lo_u32 v22, v4, s27
	v_mad_u64_u32 v[20:21], s[0:1], v4, s26, 0
	v_add3_u32 v21, v21, v22, v19
	s_add_u32 s40, s26, -1
	v_lshl_add_u64 v[16:17], v[16:17], 3, s[28:29]
	v_lshl_add_u64 v[20:21], v[20:21], 3, s[28:29]
	s_addc_u32 s41, s27, -1
	s_mov_b64 s[12:13], 0
                                        ; implicit-def: $sgpr38_sgpr39
.LBB1687_128:                           ; =>This Inner Loop Header: Depth=1
	global_load_dwordx2 v[22:23], v[16:17], off
	global_load_dwordx2 v[24:25], v[20:21], off
	s_add_u32 s0, s40, -1
	s_addc_u32 s1, s41, -1
	s_cmp_eq_u64 s[40:41], 0
	s_mov_b64 s[40:41], s[0:1]
	s_cselect_b64 s[42:43], -1, 0
	v_lshl_add_u64 v[16:17], v[16:17], 0, 8
	v_lshl_add_u64 v[20:21], v[20:21], 0, 8
	s_waitcnt vmcnt(0)
	v_cmp_ne_u64_e64 s[0:1], v[22:23], v[24:25]
	s_or_b64 s[0:1], s[0:1], s[42:43]
	s_and_b64 s[0:1], exec, s[0:1]
	v_cmp_eq_u64_e32 vcc, v[22:23], v[24:25]
	s_or_b64 s[12:13], s[0:1], s[12:13]
	s_andn2_b64 s[0:1], s[38:39], exec
	s_and_b64 s[38:39], vcc, exec
	s_or_b64 s[38:39], s[0:1], s[38:39]
	s_andn2_b64 exec, exec, s[12:13]
	s_cbranch_execnz .LBB1687_128
; %bb.129:
	s_or_b64 exec, exec, s[12:13]
	s_xor_b64 s[0:1], s[38:39], -1
.LBB1687_130:
	s_and_b64 s[12:13], s[0:1], exec
.LBB1687_131:
	s_or_b64 exec, exec, s[14:15]
	v_add_u32_e32 v16, 4, v1
	v_cmp_gt_u32_e32 vcc, s50, v16
	s_mov_b64 s[14:15], 0
	s_mov_b64 s[38:39], 0
	s_and_saveexec_b64 s[40:41], vcc
	s_cbranch_execz .LBB1687_137
; %bb.132:
	s_andn2_b64 vcc, exec, s[6:7]
	s_mov_b64 s[0:1], 0
	s_cbranch_vccnz .LBB1687_136
; %bb.133:
	v_mul_lo_u32 v19, v9, s26
	s_waitcnt vmcnt(0) lgkmcnt(1)
	v_mul_lo_u32 v20, v8, s27
	v_mad_u64_u32 v[16:17], s[0:1], v8, s26, 0
	v_add3_u32 v17, v17, v20, v19
	v_mul_lo_u32 v19, v3, s26
	v_mul_lo_u32 v22, v2, s27
	v_mad_u64_u32 v[20:21], s[0:1], v2, s26, 0
	v_add3_u32 v21, v21, v22, v19
	s_add_u32 s44, s26, -1
	v_lshl_add_u64 v[16:17], v[16:17], 3, s[28:29]
	v_lshl_add_u64 v[20:21], v[20:21], 3, s[28:29]
	s_addc_u32 s45, s27, -1
                                        ; implicit-def: $sgpr42_sgpr43
.LBB1687_134:                           ; =>This Inner Loop Header: Depth=1
	global_load_dwordx2 v[22:23], v[16:17], off
	global_load_dwordx2 v[24:25], v[20:21], off
	s_add_u32 s0, s44, -1
	s_addc_u32 s1, s45, -1
	s_cmp_eq_u64 s[44:45], 0
	s_mov_b64 s[44:45], s[0:1]
	s_cselect_b64 s[46:47], -1, 0
	v_lshl_add_u64 v[16:17], v[16:17], 0, 8
	v_lshl_add_u64 v[20:21], v[20:21], 0, 8
	s_waitcnt vmcnt(0)
	v_cmp_ne_u64_e64 s[0:1], v[22:23], v[24:25]
	s_or_b64 s[0:1], s[0:1], s[46:47]
	s_and_b64 s[0:1], exec, s[0:1]
	v_cmp_eq_u64_e32 vcc, v[22:23], v[24:25]
	s_or_b64 s[38:39], s[0:1], s[38:39]
	s_andn2_b64 s[0:1], s[42:43], exec
	s_and_b64 s[42:43], vcc, exec
	s_or_b64 s[42:43], s[0:1], s[42:43]
	s_andn2_b64 exec, exec, s[38:39]
	s_cbranch_execnz .LBB1687_134
; %bb.135:
	s_or_b64 exec, exec, s[38:39]
	s_xor_b64 s[0:1], s[42:43], -1
.LBB1687_136:
	s_and_b64 s[38:39], s[0:1], exec
.LBB1687_137:
	s_or_b64 exec, exec, s[40:41]
	v_add_u32_e32 v16, 3, v1
	v_cmp_gt_u32_e32 vcc, s50, v16
	s_and_saveexec_b64 s[40:41], vcc
	s_cbranch_execz .LBB1687_143
; %bb.138:
	s_andn2_b64 vcc, exec, s[6:7]
	s_mov_b64 s[0:1], 0
	s_cbranch_vccnz .LBB1687_142
; %bb.139:
	v_mul_lo_u32 v19, v7, s26
	s_waitcnt vmcnt(0) lgkmcnt(1)
	v_mul_lo_u32 v20, v6, s27
	v_mad_u64_u32 v[16:17], s[0:1], v6, s26, 0
	v_add3_u32 v17, v17, v20, v19
	v_mul_lo_u32 v19, v9, s26
	v_mul_lo_u32 v22, v8, s27
	v_mad_u64_u32 v[20:21], s[0:1], v8, s26, 0
	v_add3_u32 v21, v21, v22, v19
	s_add_u32 s44, s26, -1
	v_lshl_add_u64 v[16:17], v[16:17], 3, s[28:29]
	v_lshl_add_u64 v[20:21], v[20:21], 3, s[28:29]
	s_addc_u32 s45, s27, -1
	s_mov_b64 s[14:15], 0
                                        ; implicit-def: $sgpr42_sgpr43
.LBB1687_140:                           ; =>This Inner Loop Header: Depth=1
	global_load_dwordx2 v[22:23], v[16:17], off
	global_load_dwordx2 v[24:25], v[20:21], off
	s_add_u32 s0, s44, -1
	s_addc_u32 s1, s45, -1
	s_cmp_eq_u64 s[44:45], 0
	s_mov_b64 s[44:45], s[0:1]
	s_cselect_b64 s[46:47], -1, 0
	v_lshl_add_u64 v[16:17], v[16:17], 0, 8
	v_lshl_add_u64 v[20:21], v[20:21], 0, 8
	s_waitcnt vmcnt(0)
	v_cmp_ne_u64_e64 s[0:1], v[22:23], v[24:25]
	s_or_b64 s[0:1], s[0:1], s[46:47]
	s_and_b64 s[0:1], exec, s[0:1]
	v_cmp_eq_u64_e32 vcc, v[22:23], v[24:25]
	s_or_b64 s[14:15], s[0:1], s[14:15]
	s_andn2_b64 s[0:1], s[42:43], exec
	s_and_b64 s[42:43], vcc, exec
	s_or_b64 s[42:43], s[0:1], s[42:43]
	s_andn2_b64 exec, exec, s[14:15]
	s_cbranch_execnz .LBB1687_140
; %bb.141:
	s_or_b64 exec, exec, s[14:15]
	s_xor_b64 s[0:1], s[42:43], -1
.LBB1687_142:
	s_and_b64 s[14:15], s[0:1], exec
.LBB1687_143:
	s_or_b64 exec, exec, s[40:41]
	v_add_u32_e32 v16, 2, v1
	v_cmp_gt_u32_e32 vcc, s50, v16
	s_mov_b64 s[40:41], 0
	s_mov_b64 s[42:43], 0
	s_and_saveexec_b64 s[44:45], vcc
	s_cbranch_execz .LBB1687_149
; %bb.144:
	s_andn2_b64 vcc, exec, s[6:7]
	s_mov_b64 s[0:1], 0
	s_cbranch_vccnz .LBB1687_148
; %bb.145:
	v_mul_lo_u32 v19, v13, s26
	s_waitcnt vmcnt(0) lgkmcnt(1)
	v_mul_lo_u32 v20, v12, s27
	v_mad_u64_u32 v[16:17], s[0:1], v12, s26, 0
	v_add3_u32 v17, v17, v20, v19
	v_mul_lo_u32 v19, v7, s26
	v_mul_lo_u32 v22, v6, s27
	v_mad_u64_u32 v[20:21], s[0:1], v6, s26, 0
	v_add3_u32 v21, v21, v22, v19
	s_add_u32 s48, s26, -1
	v_lshl_add_u64 v[16:17], v[16:17], 3, s[28:29]
	v_lshl_add_u64 v[20:21], v[20:21], 3, s[28:29]
	s_addc_u32 s49, s27, -1
                                        ; implicit-def: $sgpr46_sgpr47
.LBB1687_146:                           ; =>This Inner Loop Header: Depth=1
	global_load_dwordx2 v[22:23], v[16:17], off
	global_load_dwordx2 v[24:25], v[20:21], off
	s_add_u32 s0, s48, -1
	s_addc_u32 s1, s49, -1
	s_cmp_eq_u64 s[48:49], 0
	s_mov_b64 s[48:49], s[0:1]
	s_cselect_b64 s[52:53], -1, 0
	v_lshl_add_u64 v[16:17], v[16:17], 0, 8
	v_lshl_add_u64 v[20:21], v[20:21], 0, 8
	s_waitcnt vmcnt(0)
	v_cmp_ne_u64_e64 s[0:1], v[22:23], v[24:25]
	s_or_b64 s[0:1], s[0:1], s[52:53]
	s_and_b64 s[0:1], exec, s[0:1]
	v_cmp_eq_u64_e32 vcc, v[22:23], v[24:25]
	s_or_b64 s[42:43], s[0:1], s[42:43]
	s_andn2_b64 s[0:1], s[46:47], exec
	s_and_b64 s[46:47], vcc, exec
	s_or_b64 s[46:47], s[0:1], s[46:47]
	s_andn2_b64 exec, exec, s[42:43]
	s_cbranch_execnz .LBB1687_146
; %bb.147:
	s_or_b64 exec, exec, s[42:43]
	s_xor_b64 s[0:1], s[46:47], -1
.LBB1687_148:
	s_and_b64 s[42:43], s[0:1], exec
.LBB1687_149:
	s_or_b64 exec, exec, s[44:45]
	v_add_u32_e32 v16, 1, v1
	v_cmp_gt_u32_e32 vcc, s50, v16
	s_and_saveexec_b64 s[44:45], vcc
	s_cbranch_execz .LBB1687_155
; %bb.150:
	s_andn2_b64 vcc, exec, s[6:7]
	s_mov_b64 s[0:1], 0
	s_cbranch_vccnz .LBB1687_154
; %bb.151:
	v_mul_lo_u32 v19, v11, s26
	s_waitcnt vmcnt(0) lgkmcnt(1)
	v_mul_lo_u32 v20, v10, s27
	v_mad_u64_u32 v[16:17], s[0:1], v10, s26, 0
	v_add3_u32 v17, v17, v20, v19
	v_mul_lo_u32 v19, v13, s26
	v_mul_lo_u32 v22, v12, s27
	v_mad_u64_u32 v[20:21], s[0:1], v12, s26, 0
	v_add3_u32 v21, v21, v22, v19
	s_add_u32 s48, s26, -1
	v_lshl_add_u64 v[16:17], v[16:17], 3, s[28:29]
	v_lshl_add_u64 v[20:21], v[20:21], 3, s[28:29]
	s_addc_u32 s49, s27, -1
	s_mov_b64 s[40:41], 0
                                        ; implicit-def: $sgpr46_sgpr47
.LBB1687_152:                           ; =>This Inner Loop Header: Depth=1
	global_load_dwordx2 v[22:23], v[16:17], off
	global_load_dwordx2 v[24:25], v[20:21], off
	s_add_u32 s0, s48, -1
	s_addc_u32 s1, s49, -1
	s_cmp_eq_u64 s[48:49], 0
	s_mov_b64 s[48:49], s[0:1]
	s_cselect_b64 s[52:53], -1, 0
	v_lshl_add_u64 v[16:17], v[16:17], 0, 8
	v_lshl_add_u64 v[20:21], v[20:21], 0, 8
	s_waitcnt vmcnt(0)
	v_cmp_ne_u64_e64 s[0:1], v[22:23], v[24:25]
	s_or_b64 s[0:1], s[0:1], s[52:53]
	s_and_b64 s[0:1], exec, s[0:1]
	v_cmp_eq_u64_e32 vcc, v[22:23], v[24:25]
	s_or_b64 s[40:41], s[0:1], s[40:41]
	s_andn2_b64 s[0:1], s[46:47], exec
	s_and_b64 s[46:47], vcc, exec
	s_or_b64 s[46:47], s[0:1], s[46:47]
	s_andn2_b64 exec, exec, s[40:41]
	s_cbranch_execnz .LBB1687_152
; %bb.153:
	s_or_b64 exec, exec, s[40:41]
	s_xor_b64 s[0:1], s[46:47], -1
.LBB1687_154:
	s_and_b64 s[40:41], s[0:1], exec
.LBB1687_155:
	s_or_b64 exec, exec, s[44:45]
	v_cndmask_b32_e64 v17, 0, 1, s[38:39]
	v_cndmask_b32_e64 v40, 0, 1, s[12:13]
	;; [unrolled: 1-line block ×4, first 2 shown]
	s_waitcnt vmcnt(0) lgkmcnt(1)
	v_cndmask_b32_e64 v20, 0, 1, s[14:15]
	v_cndmask_b32_e64 v42, 0, 1, s[40:41]
	v_mov_b32_e32 v16, 1
	s_waitcnt lgkmcnt(0)
	s_barrier
                                        ; implicit-def: $sgpr0_sgpr1
                                        ; implicit-def: $vgpr22
	s_and_saveexec_b64 s[4:5], s[2:3]
	s_cbranch_execz .LBB1687_163
; %bb.156:
	v_lshlrev_b16_e32 v21, 8, v42
	v_lshlrev_b16_e32 v22, 8, v20
	v_or_b32_e32 v21, 1, v21
	v_or_b32_sdwa v22, v41, v22 dst_sel:WORD_1 dst_unused:UNUSED_PAD src0_sel:DWORD src1_sel:DWORD
	v_cmp_gt_u32_e32 vcc, s50, v1
	v_or_b32_sdwa v21, v21, v22 dst_sel:DWORD dst_unused:UNUSED_PAD src0_sel:WORD_0 src1_sel:DWORD
	s_mov_b32 s38, 0x3020104
	s_mov_b64 s[0:1], 0
	s_and_saveexec_b64 s[2:3], vcc
	s_cbranch_execz .LBB1687_162
; %bb.157:
	s_andn2_b64 vcc, exec, s[6:7]
	s_cbranch_vccnz .LBB1687_161
; %bb.158:
	v_add_u32_e32 v22, -8, v26
	ds_read_b64 v[22:23], v22
	v_mul_lo_u32 v26, v11, s26
	v_mul_lo_u32 v27, v10, s27
	s_add_u32 s14, s26, -1
	s_addc_u32 s15, s27, -1
	s_waitcnt lgkmcnt(0)
	v_mul_lo_u32 v24, v23, s26
	v_mul_lo_u32 v25, v22, s27
	v_mad_u64_u32 v[22:23], s[0:1], v22, s26, 0
	v_add3_u32 v23, v23, v25, v24
	v_mad_u64_u32 v[24:25], s[0:1], v10, s26, 0
	v_add3_u32 v25, v25, v27, v26
	v_lshl_add_u64 v[22:23], v[22:23], 3, s[28:29]
	v_lshl_add_u64 v[24:25], v[24:25], 3, s[28:29]
	s_mov_b64 s[6:7], 0
                                        ; implicit-def: $sgpr12_sgpr13
.LBB1687_159:                           ; =>This Inner Loop Header: Depth=1
	global_load_dwordx2 v[26:27], v[22:23], off
	global_load_dwordx2 v[28:29], v[24:25], off
	s_add_u32 s0, s14, -1
	s_addc_u32 s1, s15, -1
	s_cmp_eq_u64 s[14:15], 0
	s_mov_b64 s[14:15], s[0:1]
	s_cselect_b64 s[26:27], -1, 0
	v_lshl_add_u64 v[22:23], v[22:23], 0, 8
	v_lshl_add_u64 v[24:25], v[24:25], 0, 8
	s_waitcnt vmcnt(0)
	v_cmp_ne_u64_e64 s[0:1], v[26:27], v[28:29]
	s_or_b64 s[0:1], s[0:1], s[26:27]
	s_and_b64 s[0:1], exec, s[0:1]
	v_cmp_eq_u64_e32 vcc, v[26:27], v[28:29]
	s_or_b64 s[6:7], s[0:1], s[6:7]
	s_andn2_b64 s[0:1], s[12:13], exec
	s_and_b64 s[12:13], vcc, exec
	s_or_b64 s[12:13], s[0:1], s[12:13]
	s_andn2_b64 exec, exec, s[6:7]
	s_cbranch_execnz .LBB1687_159
; %bb.160:
	s_or_b64 exec, exec, s[6:7]
	s_xor_b64 s[0:1], s[12:13], -1
.LBB1687_161:
	s_and_b64 s[0:1], s[0:1], exec
.LBB1687_162:
	s_or_b64 exec, exec, s[2:3]
	v_perm_b32 v22, v21, v21, s38
	s_or_b64 s[10:11], s[10:11], exec
.LBB1687_163:
	s_or_b64 exec, exec, s[4:5]
.LBB1687_164:
	s_and_saveexec_b64 s[2:3], s[10:11]
	s_cbranch_execz .LBB1687_166
; %bb.165:
	s_waitcnt vmcnt(0) lgkmcnt(0)
	v_lshrrev_b32_e32 v20, 24, v22
	v_lshrrev_b32_e32 v41, 16, v22
	v_lshrrev_b32_e32 v42, 8, v22
	v_cndmask_b32_e64 v16, 0, 1, s[0:1]
.LBB1687_166:
	s_or_b64 exec, exec, s[2:3]
	s_andn2_b64 vcc, exec, s[8:9]
	s_cbranch_vccnz .LBB1687_170
; %bb.167:
	s_mov_b32 s0, 0xc0c0004
	s_waitcnt vmcnt(0) lgkmcnt(0)
	v_perm_b32 v20, v41, v20, s0
	v_perm_b32 v16, v16, v42, s0
	v_lshlrev_b32_e32 v20, 16, v20
	v_or_b32_e32 v16, v16, v20
	v_cmp_gt_u32_e32 vcc, s50, v1
	v_add_u32_e32 v22, 1, v1
	v_perm_b32 v17, v17, v40, s0
	v_cndmask_b32_e32 v20, v20, v16, vcc
	v_and_b32_e32 v20, 0xffff00ff, v20
	v_cmp_gt_u32_e32 vcc, s50, v22
	v_add_u32_e32 v22, 2, v1
	s_mov_b32 s0, 0x40c0100
	v_cndmask_b32_e32 v20, v20, v16, vcc
	v_lshrrev_b32_e32 v23, 24, v20
	v_and_b32_e32 v19, 0xff, v19
	v_perm_b32 v20, v23, v20, s0
	v_cmp_gt_u32_e32 vcc, s50, v22
	v_lshlrev_b32_e32 v19, 16, v19
	v_add_u32_e32 v22, 3, v1
	v_cndmask_b32_e32 v20, v20, v16, vcc
	s_mov_b32 s0, 0xffff00
	v_or_b32_e32 v21, v17, v19
	v_and_b32_e32 v20, 0xffffff, v20
	v_cmp_gt_u32_e32 vcc, s50, v22
	v_bitop3_b32 v17, v17, s0, v19 bitop3:0xc8
	v_add_u32_e32 v19, 4, v1
	v_cndmask_b32_e32 v20, v20, v16, vcc
	v_cmp_gt_u32_e32 vcc, s50, v19
	v_add_u32_e32 v19, 5, v1
	v_cmp_gt_u32_e64 s[0:1], s50, v19
	v_cndmask_b32_e32 v17, v17, v21, vcc
	v_and_b32_e32 v17, 0xffff00ff, v17
	s_or_b64 vcc, s[0:1], vcc
	v_cndmask_b32_e64 v17, v17, v21, s[0:1]
	v_cndmask_b32_e32 v16, v20, v16, vcc
	v_add_u32_e32 v1, 6, v1
	v_lshrrev_b32_e32 v41, 16, v16
	v_lshrrev_b32_e32 v42, 8, v16
	v_lshrrev_b64 v[20:21], 24, v[16:17]
	v_lshrrev_b32_e32 v19, 16, v17
	v_lshrrev_b32_e32 v40, 8, v17
	v_cmp_le_u32_e32 vcc, s50, v1
	s_and_saveexec_b64 s[0:1], vcc
; %bb.168:
	v_mov_b32_e32 v19, 0
; %bb.169:
	s_or_b64 exec, exec, s[0:1]
.LBB1687_170:
	v_and_b32_e32 v1, 0xff, v16
	s_waitcnt vmcnt(0) lgkmcnt(0)
	v_and_b32_e32 v21, 0xff, v42
	v_and_b32_e32 v33, 0xff, v41
	;; [unrolled: 1-line block ×4, first 2 shown]
	v_add3_u32 v23, v21, v1, v33
	v_and_b32_e32 v39, 0xff, v40
	v_and_b32_e32 v22, 0xff, v19
	v_add3_u32 v23, v23, v35, v37
	v_add3_u32 v45, v23, v39, v22
	v_mbcnt_lo_u32_b32 v22, -1, 0
	v_mbcnt_hi_u32_b32 v43, -1, v22
	v_and_b32_e32 v22, 15, v43
	v_cmp_eq_u32_e64 s[14:15], 0, v22
	v_cmp_lt_u32_e64 s[12:13], 1, v22
	v_cmp_lt_u32_e64 s[10:11], 3, v22
	;; [unrolled: 1-line block ×3, first 2 shown]
	v_and_b32_e32 v22, 16, v43
	v_cmp_eq_u32_e64 s[6:7], 0, v22
	v_or_b32_e32 v22, 63, v0
	v_cmp_lt_u32_e64 s[2:3], 31, v43
	v_lshrrev_b32_e32 v44, 6, v0
	v_cmp_eq_u32_e64 s[4:5], v0, v22
	s_and_b64 vcc, exec, s[16:17]
	s_barrier
	s_cbranch_vccz .LBB1687_192
; %bb.171:
	v_mov_b32_dpp v22, v45 row_shr:1 row_mask:0xf bank_mask:0xf
	v_cndmask_b32_e64 v22, v22, 0, s[14:15]
	v_add_u32_e32 v22, v22, v45
	s_nop 1
	v_mov_b32_dpp v23, v22 row_shr:2 row_mask:0xf bank_mask:0xf
	v_cndmask_b32_e64 v23, 0, v23, s[12:13]
	v_add_u32_e32 v22, v22, v23
	s_nop 1
	;; [unrolled: 4-line block ×4, first 2 shown]
	v_mov_b32_dpp v23, v22 row_bcast:15 row_mask:0xf bank_mask:0xf
	v_cndmask_b32_e64 v23, v23, 0, s[6:7]
	v_add_u32_e32 v22, v22, v23
	s_nop 1
	v_mov_b32_dpp v23, v22 row_bcast:31 row_mask:0xf bank_mask:0xf
	v_cndmask_b32_e64 v23, 0, v23, s[2:3]
	v_add_u32_e32 v22, v22, v23
	s_and_saveexec_b64 s[0:1], s[4:5]
; %bb.172:
	v_lshlrev_b32_e32 v23, 2, v44
	ds_write_b32 v23, v22
; %bb.173:
	s_or_b64 exec, exec, s[0:1]
	v_cmp_gt_u32_e32 vcc, 8, v0
	s_waitcnt lgkmcnt(0)
	s_barrier
	s_and_saveexec_b64 s[0:1], vcc
	s_cbranch_execz .LBB1687_175
; %bb.174:
	v_lshlrev_b32_e32 v23, 2, v0
	ds_read_b32 v24, v23
	v_and_b32_e32 v25, 7, v43
	v_cmp_ne_u32_e32 vcc, 0, v25
	s_waitcnt lgkmcnt(0)
	v_mov_b32_dpp v26, v24 row_shr:1 row_mask:0xf bank_mask:0xf
	v_cndmask_b32_e32 v26, 0, v26, vcc
	v_add_u32_e32 v24, v26, v24
	v_cmp_lt_u32_e32 vcc, 1, v25
	s_nop 0
	v_mov_b32_dpp v26, v24 row_shr:2 row_mask:0xf bank_mask:0xf
	v_cndmask_b32_e32 v26, 0, v26, vcc
	v_add_u32_e32 v24, v24, v26
	v_cmp_lt_u32_e32 vcc, 3, v25
	s_nop 0
	v_mov_b32_dpp v26, v24 row_shr:4 row_mask:0xf bank_mask:0xf
	v_cndmask_b32_e32 v25, 0, v26, vcc
	v_add_u32_e32 v24, v24, v25
	ds_write_b32 v23, v24
.LBB1687_175:
	s_or_b64 exec, exec, s[0:1]
	v_cmp_gt_u32_e32 vcc, 64, v0
	v_cmp_lt_u32_e64 s[0:1], 63, v0
	s_waitcnt lgkmcnt(0)
	s_barrier
                                        ; implicit-def: $vgpr32
	s_and_saveexec_b64 s[16:17], s[0:1]
	s_cbranch_execz .LBB1687_177
; %bb.176:
	v_lshl_add_u32 v23, v44, 2, -4
	ds_read_b32 v32, v23
	s_waitcnt lgkmcnt(0)
	v_add_u32_e32 v22, v32, v22
.LBB1687_177:
	s_or_b64 exec, exec, s[16:17]
	v_subrev_co_u32_e64 v23, s[16:17], 1, v43
	v_and_b32_e32 v24, 64, v43
	v_cmp_lt_i32_e64 s[0:1], v23, v24
	s_nop 1
	v_cndmask_b32_e64 v23, v23, v43, s[0:1]
	v_lshlrev_b32_e32 v23, 2, v23
	ds_bpermute_b32 v34, v23, v22
	s_and_saveexec_b64 s[0:1], vcc
	s_cbranch_execz .LBB1687_197
; %bb.178:
	v_mov_b32_e32 v29, 0
	ds_read_b32 v22, v29 offset:28
	s_and_saveexec_b64 s[26:27], s[16:17]
	s_cbranch_execz .LBB1687_180
; %bb.179:
	s_add_i32 s28, s33, 64
	s_mov_b32 s29, 0
	s_lshl_b64 s[28:29], s[28:29], 3
	s_add_u32 s28, s30, s28
	v_mov_b32_e32 v23, 1
	s_addc_u32 s29, s31, s29
	s_waitcnt lgkmcnt(0)
	global_store_dwordx2 v29, v[22:23], s[28:29] sc1
.LBB1687_180:
	s_or_b64 exec, exec, s[26:27]
	v_xad_u32 v24, v43, -1, s33
	v_add_u32_e32 v28, 64, v24
	v_lshl_add_u64 v[30:31], v[28:29], 3, s[30:31]
	global_load_dwordx2 v[26:27], v[30:31], off sc1
	s_waitcnt vmcnt(0)
	v_cmp_eq_u16_sdwa s[28:29], v27, v29 src0_sel:BYTE_0 src1_sel:DWORD
	s_and_saveexec_b64 s[26:27], s[28:29]
	s_cbranch_execz .LBB1687_184
; %bb.181:
	s_mov_b64 s[28:29], 0
	v_mov_b32_e32 v23, 0
.LBB1687_182:                           ; =>This Inner Loop Header: Depth=1
	global_load_dwordx2 v[26:27], v[30:31], off sc1
	s_waitcnt vmcnt(0)
	v_cmp_ne_u16_sdwa s[38:39], v27, v23 src0_sel:BYTE_0 src1_sel:DWORD
	s_or_b64 s[28:29], s[38:39], s[28:29]
	s_andn2_b64 exec, exec, s[28:29]
	s_cbranch_execnz .LBB1687_182
; %bb.183:
	s_or_b64 exec, exec, s[28:29]
.LBB1687_184:
	s_or_b64 exec, exec, s[26:27]
	v_and_b32_e32 v38, 63, v43
	v_mov_b32_e32 v36, 2
	v_cmp_ne_u32_e32 vcc, 63, v38
	v_cmp_eq_u16_sdwa s[26:27], v27, v36 src0_sel:BYTE_0 src1_sel:DWORD
	v_lshlrev_b64 v[28:29], v43, -1
	v_addc_co_u32_e32 v30, vcc, 0, v43, vcc
	v_and_b32_e32 v23, s27, v29
	v_lshlrev_b32_e32 v46, 2, v30
	v_or_b32_e32 v23, 0x80000000, v23
	ds_bpermute_b32 v30, v46, v26
	v_and_b32_e32 v25, s26, v28
	v_ffbl_b32_e32 v23, v23
	v_add_u32_e32 v23, 32, v23
	v_ffbl_b32_e32 v25, v25
	v_min_u32_e32 v23, v25, v23
	v_cmp_lt_u32_e32 vcc, v38, v23
	v_add_u32_e32 v48, 2, v38
	v_add_u32_e32 v50, 4, v38
	s_waitcnt lgkmcnt(0)
	v_cndmask_b32_e32 v25, 0, v30, vcc
	v_cmp_gt_u32_e32 vcc, 62, v38
	v_add_u32_e32 v25, v25, v26
	v_add_u32_e32 v52, 8, v38
	v_cndmask_b32_e64 v26, 0, 2, vcc
	v_add_lshl_u32 v47, v26, v43, 2
	ds_bpermute_b32 v26, v47, v25
	v_cmp_le_u32_e32 vcc, v48, v23
	v_add_u32_e32 v54, 16, v38
	v_add_u32_e32 v56, 32, v38
	s_waitcnt lgkmcnt(0)
	v_cndmask_b32_e32 v26, 0, v26, vcc
	v_cmp_gt_u32_e32 vcc, 60, v38
	v_add_u32_e32 v25, v25, v26
	s_nop 0
	v_cndmask_b32_e64 v26, 0, 4, vcc
	v_add_lshl_u32 v49, v26, v43, 2
	ds_bpermute_b32 v26, v49, v25
	v_cmp_le_u32_e32 vcc, v50, v23
	s_waitcnt lgkmcnt(0)
	s_nop 0
	v_cndmask_b32_e32 v26, 0, v26, vcc
	v_cmp_gt_u32_e32 vcc, 56, v38
	v_add_u32_e32 v25, v25, v26
	s_nop 0
	v_cndmask_b32_e64 v26, 0, 8, vcc
	v_add_lshl_u32 v51, v26, v43, 2
	ds_bpermute_b32 v26, v51, v25
	v_cmp_le_u32_e32 vcc, v52, v23
	s_waitcnt lgkmcnt(0)
	s_nop 0
	;; [unrolled: 10-line block ×3, first 2 shown]
	v_cndmask_b32_e32 v26, 0, v26, vcc
	v_add_u32_e32 v25, v25, v26
	v_mov_b32_e32 v26, 0x80
	v_lshl_or_b32 v55, v43, 2, v26
	ds_bpermute_b32 v26, v55, v25
	v_cmp_le_u32_e32 vcc, v56, v23
	s_waitcnt lgkmcnt(0)
	s_nop 0
	v_cndmask_b32_e32 v23, 0, v26, vcc
	v_add_u32_e32 v26, v25, v23
	v_mov_b32_e32 v25, 0
	s_branch .LBB1687_187
.LBB1687_185:                           ;   in Loop: Header=BB1687_187 Depth=1
	s_or_b64 exec, exec, s[26:27]
	v_cmp_eq_u16_sdwa s[26:27], v27, v36 src0_sel:BYTE_0 src1_sel:DWORD
	ds_bpermute_b32 v57, v46, v26
	v_subrev_u32_e32 v24, 64, v24
	v_and_b32_e32 v30, s27, v29
	v_or_b32_e32 v30, 0x80000000, v30
	v_and_b32_e32 v31, s26, v28
	v_ffbl_b32_e32 v30, v30
	v_add_u32_e32 v30, 32, v30
	v_ffbl_b32_e32 v31, v31
	v_min_u32_e32 v30, v31, v30
	v_cmp_lt_u32_e32 vcc, v38, v30
	s_mov_b64 s[26:27], 0
	s_waitcnt lgkmcnt(0)
	v_cndmask_b32_e32 v31, 0, v57, vcc
	v_add_u32_e32 v26, v31, v26
	ds_bpermute_b32 v31, v47, v26
	v_cmp_le_u32_e32 vcc, v48, v30
	s_waitcnt lgkmcnt(0)
	s_nop 0
	v_cndmask_b32_e32 v31, 0, v31, vcc
	v_add_u32_e32 v26, v26, v31
	ds_bpermute_b32 v31, v49, v26
	v_cmp_le_u32_e32 vcc, v50, v30
	s_waitcnt lgkmcnt(0)
	s_nop 0
	;; [unrolled: 6-line block ×5, first 2 shown]
	v_cndmask_b32_e32 v30, 0, v31, vcc
	v_add3_u32 v26, v30, v23, v26
.LBB1687_186:                           ;   in Loop: Header=BB1687_187 Depth=1
	s_and_b64 vcc, exec, s[26:27]
	s_cbranch_vccnz .LBB1687_193
.LBB1687_187:                           ; =>This Loop Header: Depth=1
                                        ;     Child Loop BB1687_190 Depth 2
	v_cmp_ne_u16_sdwa s[26:27], v27, v36 src0_sel:BYTE_0 src1_sel:DWORD
	v_mov_b32_e32 v23, v26
	s_cmp_lg_u64 s[26:27], exec
	s_mov_b64 s[26:27], -1
                                        ; implicit-def: $vgpr26
                                        ; implicit-def: $vgpr27
	s_cbranch_scc1 .LBB1687_186
; %bb.188:                              ;   in Loop: Header=BB1687_187 Depth=1
	v_lshl_add_u64 v[30:31], v[24:25], 3, s[30:31]
	global_load_dwordx2 v[26:27], v[30:31], off sc1
	s_waitcnt vmcnt(0)
	v_cmp_eq_u16_sdwa s[28:29], v27, v25 src0_sel:BYTE_0 src1_sel:DWORD
	s_and_saveexec_b64 s[26:27], s[28:29]
	s_cbranch_execz .LBB1687_185
; %bb.189:                              ;   in Loop: Header=BB1687_187 Depth=1
	s_mov_b64 s[28:29], 0
.LBB1687_190:                           ;   Parent Loop BB1687_187 Depth=1
                                        ; =>  This Inner Loop Header: Depth=2
	global_load_dwordx2 v[26:27], v[30:31], off sc1
	s_waitcnt vmcnt(0)
	v_cmp_ne_u16_sdwa s[38:39], v27, v25 src0_sel:BYTE_0 src1_sel:DWORD
	s_or_b64 s[28:29], s[38:39], s[28:29]
	s_andn2_b64 exec, exec, s[28:29]
	s_cbranch_execnz .LBB1687_190
; %bb.191:                              ;   in Loop: Header=BB1687_187 Depth=1
	s_or_b64 exec, exec, s[28:29]
	s_branch .LBB1687_185
.LBB1687_192:
                                        ; implicit-def: $vgpr26
                                        ; implicit-def: $vgpr28
                                        ; implicit-def: $vgpr30
                                        ; implicit-def: $vgpr32
                                        ; implicit-def: $vgpr34
                                        ; implicit-def: $vgpr36
                                        ; implicit-def: $vgpr38
                                        ; implicit-def: $vgpr24
                                        ; implicit-def: $vgpr22
	s_cbranch_execnz .LBB1687_198
	s_branch .LBB1687_207
.LBB1687_193:
	s_and_saveexec_b64 s[26:27], s[16:17]
	s_cbranch_execz .LBB1687_195
; %bb.194:
	s_add_i32 s28, s33, 64
	s_mov_b32 s29, 0
	s_lshl_b64 s[28:29], s[28:29], 3
	s_add_u32 s28, s30, s28
	v_add_u32_e32 v24, v23, v22
	v_mov_b32_e32 v25, 2
	s_addc_u32 s29, s31, s29
	v_mov_b32_e32 v26, 0
	global_store_dwordx2 v26, v[24:25], s[28:29] sc1
	ds_write_b64 v26, v[22:23] offset:28672
.LBB1687_195:
	s_or_b64 exec, exec, s[26:27]
	s_and_b64 exec, exec, s[18:19]
; %bb.196:
	v_mov_b32_e32 v22, 0
	ds_write_b32 v22, v23 offset:28
.LBB1687_197:
	s_or_b64 exec, exec, s[0:1]
	v_mov_b32_e32 v22, 0
	s_waitcnt lgkmcnt(0)
	s_barrier
	ds_read_b32 v23, v22 offset:28
	v_cndmask_b32_e64 v24, v34, v32, s[16:17]
	v_cndmask_b32_e64 v24, v24, 0, s[18:19]
	s_waitcnt lgkmcnt(0)
	s_barrier
	v_add_u32_e32 v38, v23, v24
	v_add_u32_e32 v36, v38, v1
	ds_read_b64 v[22:23], v22 offset:28672
	v_add_u32_e32 v34, v36, v21
	v_add_u32_e32 v32, v34, v33
	;; [unrolled: 1-line block ×5, first 2 shown]
	s_waitcnt lgkmcnt(0)
	v_mov_b32_e32 v24, v23
	s_branch .LBB1687_207
.LBB1687_198:
	v_mov_b32_dpp v22, v45 row_shr:1 row_mask:0xf bank_mask:0xf
	v_cndmask_b32_e64 v22, v22, 0, s[14:15]
	v_add_u32_e32 v22, v22, v45
	s_nop 1
	v_mov_b32_dpp v23, v22 row_shr:2 row_mask:0xf bank_mask:0xf
	v_cndmask_b32_e64 v23, 0, v23, s[12:13]
	v_add_u32_e32 v22, v22, v23
	s_nop 1
	;; [unrolled: 4-line block ×4, first 2 shown]
	v_mov_b32_dpp v23, v22 row_bcast:15 row_mask:0xf bank_mask:0xf
	v_cndmask_b32_e64 v23, v23, 0, s[6:7]
	v_add_u32_e32 v22, v22, v23
	s_nop 1
	v_mov_b32_dpp v23, v22 row_bcast:31 row_mask:0xf bank_mask:0xf
	v_cndmask_b32_e64 v23, 0, v23, s[2:3]
	v_add_u32_e32 v22, v22, v23
	s_and_saveexec_b64 s[0:1], s[4:5]
; %bb.199:
	v_lshlrev_b32_e32 v23, 2, v44
	ds_write_b32 v23, v22
; %bb.200:
	s_or_b64 exec, exec, s[0:1]
	v_cmp_gt_u32_e32 vcc, 8, v0
	s_waitcnt lgkmcnt(0)
	s_barrier
	s_and_saveexec_b64 s[0:1], vcc
	s_cbranch_execz .LBB1687_202
; %bb.201:
	v_lshlrev_b32_e32 v23, 2, v0
	ds_read_b32 v24, v23
	v_and_b32_e32 v25, 7, v43
	v_cmp_ne_u32_e32 vcc, 0, v25
	s_waitcnt lgkmcnt(0)
	v_mov_b32_dpp v26, v24 row_shr:1 row_mask:0xf bank_mask:0xf
	v_cndmask_b32_e32 v26, 0, v26, vcc
	v_add_u32_e32 v24, v26, v24
	v_cmp_lt_u32_e32 vcc, 1, v25
	s_nop 0
	v_mov_b32_dpp v26, v24 row_shr:2 row_mask:0xf bank_mask:0xf
	v_cndmask_b32_e32 v26, 0, v26, vcc
	v_add_u32_e32 v24, v24, v26
	v_cmp_lt_u32_e32 vcc, 3, v25
	s_nop 0
	v_mov_b32_dpp v26, v24 row_shr:4 row_mask:0xf bank_mask:0xf
	v_cndmask_b32_e32 v25, 0, v26, vcc
	v_add_u32_e32 v24, v24, v25
	ds_write_b32 v23, v24
.LBB1687_202:
	s_or_b64 exec, exec, s[0:1]
	v_cmp_lt_u32_e32 vcc, 63, v0
	v_mov_b32_e32 v23, 0
	v_mov_b32_e32 v24, 0
	s_waitcnt lgkmcnt(0)
	s_barrier
	s_and_saveexec_b64 s[0:1], vcc
; %bb.203:
	v_lshl_add_u32 v24, v44, 2, -4
	ds_read_b32 v24, v24
; %bb.204:
	s_or_b64 exec, exec, s[0:1]
	v_subrev_co_u32_e32 v25, vcc, 1, v43
	v_and_b32_e32 v26, 64, v43
	v_cmp_lt_i32_e64 s[0:1], v25, v26
	s_waitcnt lgkmcnt(0)
	v_add_u32_e32 v22, v24, v22
	v_cndmask_b32_e64 v25, v25, v43, s[0:1]
	v_lshlrev_b32_e32 v25, 2, v25
	ds_bpermute_b32 v25, v25, v22
	ds_read_b32 v22, v23 offset:28
	s_and_saveexec_b64 s[0:1], s[18:19]
	s_cbranch_execz .LBB1687_206
; %bb.205:
	v_mov_b32_e32 v26, 0
	v_mov_b32_e32 v23, 2
	s_waitcnt lgkmcnt(0)
	global_store_dwordx2 v26, v[22:23], s[30:31] offset:512 sc1
.LBB1687_206:
	s_or_b64 exec, exec, s[0:1]
	s_waitcnt lgkmcnt(1)
	v_cndmask_b32_e32 v23, v25, v24, vcc
	v_cndmask_b32_e64 v38, v23, 0, s[18:19]
	v_add_u32_e32 v36, v38, v1
	v_add_u32_e32 v34, v36, v21
	v_add_u32_e32 v32, v34, v33
	v_add_u32_e32 v30, v32, v35
	v_add_u32_e32 v28, v30, v37
	v_add_u32_e32 v26, v28, v39
	s_waitcnt lgkmcnt(0)
	s_barrier
	v_mov_b32_e32 v24, 0
.LBB1687_207:
	s_movk_i32 s0, 0x201
	v_cmp_gt_u32_e32 vcc, s0, v22
	v_and_b32_e32 v1, 1, v16
	s_mov_b64 s[2:3], -1
	v_cmp_eq_u32_e64 s[0:1], 1, v1
	s_cbranch_vccnz .LBB1687_211
; %bb.208:
	s_and_b64 vcc, exec, s[2:3]
	s_cbranch_vccnz .LBB1687_226
.LBB1687_209:
	s_and_b64 s[0:1], s[18:19], s[24:25]
	s_and_saveexec_b64 s[2:3], s[0:1]
	s_cbranch_execnz .LBB1687_243
.LBB1687_210:
	s_endpgm
.LBB1687_211:
	v_add_u32_e32 v16, v24, v22
	v_cmp_lt_u32_e32 vcc, v38, v16
	s_or_b64 s[2:3], s[36:37], vcc
	s_and_b64 s[2:3], s[2:3], s[0:1]
	s_and_saveexec_b64 s[0:1], s[2:3]
	s_cbranch_execz .LBB1687_213
; %bb.212:
	s_lshl_b64 s[2:3], s[22:23], 3
	s_add_u32 s2, s34, s2
	s_addc_u32 s3, s35, s3
	v_mov_b32_e32 v39, 0
	v_lshl_add_u64 v[44:45], v[38:39], 3, s[2:3]
	global_store_dwordx2 v[44:45], v[10:11], off
.LBB1687_213:
	s_or_b64 exec, exec, s[0:1]
	v_cmp_lt_u32_e32 vcc, v36, v16
	v_and_b32_e32 v21, 1, v42
	s_or_b64 s[0:1], s[36:37], vcc
	v_cmp_eq_u32_e32 vcc, 1, v21
	s_and_b64 s[2:3], s[0:1], vcc
	s_and_saveexec_b64 s[0:1], s[2:3]
	s_cbranch_execz .LBB1687_215
; %bb.214:
	s_lshl_b64 s[2:3], s[22:23], 3
	s_add_u32 s2, s34, s2
	s_addc_u32 s3, s35, s3
	v_mov_b32_e32 v37, 0
	v_lshl_add_u64 v[44:45], v[36:37], 3, s[2:3]
	global_store_dwordx2 v[44:45], v[12:13], off
.LBB1687_215:
	s_or_b64 exec, exec, s[0:1]
	v_cmp_lt_u32_e32 vcc, v34, v16
	v_and_b32_e32 v21, 1, v41
	s_or_b64 s[0:1], s[36:37], vcc
	v_cmp_eq_u32_e32 vcc, 1, v21
	s_and_b64 s[2:3], s[0:1], vcc
	;; [unrolled: 16-line block ×6, first 2 shown]
	s_and_saveexec_b64 s[0:1], s[2:3]
	s_cbranch_execz .LBB1687_225
; %bb.224:
	s_lshl_b64 s[2:3], s[22:23], 3
	s_add_u32 s2, s34, s2
	s_addc_u32 s3, s35, s3
	v_mov_b32_e32 v27, 0
	v_lshl_add_u64 v[44:45], v[26:27], 3, s[2:3]
	global_store_dwordx2 v[44:45], v[14:15], off
.LBB1687_225:
	s_or_b64 exec, exec, s[0:1]
	s_branch .LBB1687_209
.LBB1687_226:
	v_cmp_eq_u32_e32 vcc, 1, v1
	s_and_saveexec_b64 s[0:1], vcc
; %bb.227:
	v_sub_u32_e32 v1, v38, v24
	v_lshlrev_b32_e32 v1, 3, v1
	ds_write_b64 v1, v[10:11]
; %bb.228:
	s_or_b64 exec, exec, s[0:1]
	v_and_b32_e32 v1, 1, v42
	v_cmp_eq_u32_e32 vcc, 1, v1
	s_and_saveexec_b64 s[0:1], vcc
; %bb.229:
	v_sub_u32_e32 v1, v36, v24
	v_lshlrev_b32_e32 v1, 3, v1
	ds_write_b64 v1, v[12:13]
; %bb.230:
	s_or_b64 exec, exec, s[0:1]
	v_and_b32_e32 v1, 1, v41
	;; [unrolled: 9-line block ×6, first 2 shown]
	v_cmp_eq_u32_e32 vcc, 1, v1
	s_and_saveexec_b64 s[0:1], vcc
; %bb.239:
	v_sub_u32_e32 v1, v26, v24
	v_lshlrev_b32_e32 v1, 3, v1
	ds_write_b64 v1, v[14:15]
; %bb.240:
	s_or_b64 exec, exec, s[0:1]
	v_mov_b32_e32 v25, 0
	s_lshl_b64 s[0:1], s[22:23], 3
	v_lshlrev_b64 v[2:3], 3, v[24:25]
	v_lshl_add_u64 v[2:3], s[0:1], 0, v[2:3]
	v_mov_b32_e32 v19, v25
	v_lshl_add_u64 v[2:3], s[34:35], 0, v[2:3]
	v_lshl_add_u64 v[2:3], v[2:3], 0, v[18:19]
	s_mov_b64 s[0:1], 0
	s_mov_b64 s[2:3], 0x1000
	s_waitcnt lgkmcnt(0)
	s_barrier
.LBB1687_241:                           ; =>This Inner Loop Header: Depth=1
	ds_read_b64 v[4:5], v18
	v_add_u32_e32 v0, 0x200, v0
	v_cmp_ge_u32_e32 vcc, v0, v22
	v_add_u32_e32 v18, 0x1000, v18
	s_or_b64 s[0:1], vcc, s[0:1]
	s_waitcnt lgkmcnt(0)
	global_store_dwordx2 v[2:3], v[4:5], off
	v_lshl_add_u64 v[2:3], v[2:3], 0, s[2:3]
	s_andn2_b64 exec, exec, s[0:1]
	s_cbranch_execnz .LBB1687_241
; %bb.242:
	s_or_b64 exec, exec, s[0:1]
	s_and_b64 s[0:1], s[18:19], s[24:25]
	s_and_saveexec_b64 s[2:3], s[0:1]
	s_cbranch_execz .LBB1687_210
.LBB1687_243:
	v_mov_b32_e32 v23, 0
	v_lshl_add_u64 v[0:1], s[22:23], 0, v[22:23]
	v_mov_b32_e32 v25, v23
	v_lshl_add_u64 v[0:1], v[0:1], 0, v[24:25]
	global_store_dwordx2 v23, v[0:1], s[20:21]
	s_endpgm
	.section	.rodata,"a",@progbits
	.p2align	6, 0x0
	.amdhsa_kernel _ZN7rocprim17ROCPRIM_400000_NS6detail17trampoline_kernelINS0_14default_configENS1_25partition_config_selectorILNS1_17partition_subalgoE8ElNS0_10empty_typeEbEEZZNS1_14partition_implILS5_8ELb0ES3_jPlPS6_PKS6_NS0_5tupleIJS9_S6_EEENSD_IJSA_SA_EEENS0_18inequality_wrapperIZN2at6native12_GLOBAL__N_124unique_dim_cuda_templateImEESt5tupleIJNSH_6TensorESM_SM_EERKSM_lbbbEUlllE0_EEPmJS6_EEE10hipError_tPvRmT3_T4_T5_T6_T7_T9_mT8_P12ihipStream_tbDpT10_ENKUlT_T0_E_clISt17integral_constantIbLb0EES1B_IbLb1EEEEDaS17_S18_EUlS17_E_NS1_11comp_targetILNS1_3genE0ELNS1_11target_archE4294967295ELNS1_3gpuE0ELNS1_3repE0EEENS1_30default_config_static_selectorELNS0_4arch9wavefront6targetE1EEEvT1_
		.amdhsa_group_segment_fixed_size 28680
		.amdhsa_private_segment_fixed_size 0
		.amdhsa_kernarg_size 136
		.amdhsa_user_sgpr_count 2
		.amdhsa_user_sgpr_dispatch_ptr 0
		.amdhsa_user_sgpr_queue_ptr 0
		.amdhsa_user_sgpr_kernarg_segment_ptr 1
		.amdhsa_user_sgpr_dispatch_id 0
		.amdhsa_user_sgpr_kernarg_preload_length 0
		.amdhsa_user_sgpr_kernarg_preload_offset 0
		.amdhsa_user_sgpr_private_segment_size 0
		.amdhsa_uses_dynamic_stack 0
		.amdhsa_enable_private_segment 0
		.amdhsa_system_sgpr_workgroup_id_x 1
		.amdhsa_system_sgpr_workgroup_id_y 0
		.amdhsa_system_sgpr_workgroup_id_z 0
		.amdhsa_system_sgpr_workgroup_info 0
		.amdhsa_system_vgpr_workitem_id 0
		.amdhsa_next_free_vgpr 58
		.amdhsa_next_free_sgpr 54
		.amdhsa_accum_offset 60
		.amdhsa_reserve_vcc 1
		.amdhsa_float_round_mode_32 0
		.amdhsa_float_round_mode_16_64 0
		.amdhsa_float_denorm_mode_32 3
		.amdhsa_float_denorm_mode_16_64 3
		.amdhsa_dx10_clamp 1
		.amdhsa_ieee_mode 1
		.amdhsa_fp16_overflow 0
		.amdhsa_tg_split 0
		.amdhsa_exception_fp_ieee_invalid_op 0
		.amdhsa_exception_fp_denorm_src 0
		.amdhsa_exception_fp_ieee_div_zero 0
		.amdhsa_exception_fp_ieee_overflow 0
		.amdhsa_exception_fp_ieee_underflow 0
		.amdhsa_exception_fp_ieee_inexact 0
		.amdhsa_exception_int_div_zero 0
	.end_amdhsa_kernel
	.section	.text._ZN7rocprim17ROCPRIM_400000_NS6detail17trampoline_kernelINS0_14default_configENS1_25partition_config_selectorILNS1_17partition_subalgoE8ElNS0_10empty_typeEbEEZZNS1_14partition_implILS5_8ELb0ES3_jPlPS6_PKS6_NS0_5tupleIJS9_S6_EEENSD_IJSA_SA_EEENS0_18inequality_wrapperIZN2at6native12_GLOBAL__N_124unique_dim_cuda_templateImEESt5tupleIJNSH_6TensorESM_SM_EERKSM_lbbbEUlllE0_EEPmJS6_EEE10hipError_tPvRmT3_T4_T5_T6_T7_T9_mT8_P12ihipStream_tbDpT10_ENKUlT_T0_E_clISt17integral_constantIbLb0EES1B_IbLb1EEEEDaS17_S18_EUlS17_E_NS1_11comp_targetILNS1_3genE0ELNS1_11target_archE4294967295ELNS1_3gpuE0ELNS1_3repE0EEENS1_30default_config_static_selectorELNS0_4arch9wavefront6targetE1EEEvT1_,"axG",@progbits,_ZN7rocprim17ROCPRIM_400000_NS6detail17trampoline_kernelINS0_14default_configENS1_25partition_config_selectorILNS1_17partition_subalgoE8ElNS0_10empty_typeEbEEZZNS1_14partition_implILS5_8ELb0ES3_jPlPS6_PKS6_NS0_5tupleIJS9_S6_EEENSD_IJSA_SA_EEENS0_18inequality_wrapperIZN2at6native12_GLOBAL__N_124unique_dim_cuda_templateImEESt5tupleIJNSH_6TensorESM_SM_EERKSM_lbbbEUlllE0_EEPmJS6_EEE10hipError_tPvRmT3_T4_T5_T6_T7_T9_mT8_P12ihipStream_tbDpT10_ENKUlT_T0_E_clISt17integral_constantIbLb0EES1B_IbLb1EEEEDaS17_S18_EUlS17_E_NS1_11comp_targetILNS1_3genE0ELNS1_11target_archE4294967295ELNS1_3gpuE0ELNS1_3repE0EEENS1_30default_config_static_selectorELNS0_4arch9wavefront6targetE1EEEvT1_,comdat
.Lfunc_end1687:
	.size	_ZN7rocprim17ROCPRIM_400000_NS6detail17trampoline_kernelINS0_14default_configENS1_25partition_config_selectorILNS1_17partition_subalgoE8ElNS0_10empty_typeEbEEZZNS1_14partition_implILS5_8ELb0ES3_jPlPS6_PKS6_NS0_5tupleIJS9_S6_EEENSD_IJSA_SA_EEENS0_18inequality_wrapperIZN2at6native12_GLOBAL__N_124unique_dim_cuda_templateImEESt5tupleIJNSH_6TensorESM_SM_EERKSM_lbbbEUlllE0_EEPmJS6_EEE10hipError_tPvRmT3_T4_T5_T6_T7_T9_mT8_P12ihipStream_tbDpT10_ENKUlT_T0_E_clISt17integral_constantIbLb0EES1B_IbLb1EEEEDaS17_S18_EUlS17_E_NS1_11comp_targetILNS1_3genE0ELNS1_11target_archE4294967295ELNS1_3gpuE0ELNS1_3repE0EEENS1_30default_config_static_selectorELNS0_4arch9wavefront6targetE1EEEvT1_, .Lfunc_end1687-_ZN7rocprim17ROCPRIM_400000_NS6detail17trampoline_kernelINS0_14default_configENS1_25partition_config_selectorILNS1_17partition_subalgoE8ElNS0_10empty_typeEbEEZZNS1_14partition_implILS5_8ELb0ES3_jPlPS6_PKS6_NS0_5tupleIJS9_S6_EEENSD_IJSA_SA_EEENS0_18inequality_wrapperIZN2at6native12_GLOBAL__N_124unique_dim_cuda_templateImEESt5tupleIJNSH_6TensorESM_SM_EERKSM_lbbbEUlllE0_EEPmJS6_EEE10hipError_tPvRmT3_T4_T5_T6_T7_T9_mT8_P12ihipStream_tbDpT10_ENKUlT_T0_E_clISt17integral_constantIbLb0EES1B_IbLb1EEEEDaS17_S18_EUlS17_E_NS1_11comp_targetILNS1_3genE0ELNS1_11target_archE4294967295ELNS1_3gpuE0ELNS1_3repE0EEENS1_30default_config_static_selectorELNS0_4arch9wavefront6targetE1EEEvT1_
                                        ; -- End function
	.set _ZN7rocprim17ROCPRIM_400000_NS6detail17trampoline_kernelINS0_14default_configENS1_25partition_config_selectorILNS1_17partition_subalgoE8ElNS0_10empty_typeEbEEZZNS1_14partition_implILS5_8ELb0ES3_jPlPS6_PKS6_NS0_5tupleIJS9_S6_EEENSD_IJSA_SA_EEENS0_18inequality_wrapperIZN2at6native12_GLOBAL__N_124unique_dim_cuda_templateImEESt5tupleIJNSH_6TensorESM_SM_EERKSM_lbbbEUlllE0_EEPmJS6_EEE10hipError_tPvRmT3_T4_T5_T6_T7_T9_mT8_P12ihipStream_tbDpT10_ENKUlT_T0_E_clISt17integral_constantIbLb0EES1B_IbLb1EEEEDaS17_S18_EUlS17_E_NS1_11comp_targetILNS1_3genE0ELNS1_11target_archE4294967295ELNS1_3gpuE0ELNS1_3repE0EEENS1_30default_config_static_selectorELNS0_4arch9wavefront6targetE1EEEvT1_.num_vgpr, 58
	.set _ZN7rocprim17ROCPRIM_400000_NS6detail17trampoline_kernelINS0_14default_configENS1_25partition_config_selectorILNS1_17partition_subalgoE8ElNS0_10empty_typeEbEEZZNS1_14partition_implILS5_8ELb0ES3_jPlPS6_PKS6_NS0_5tupleIJS9_S6_EEENSD_IJSA_SA_EEENS0_18inequality_wrapperIZN2at6native12_GLOBAL__N_124unique_dim_cuda_templateImEESt5tupleIJNSH_6TensorESM_SM_EERKSM_lbbbEUlllE0_EEPmJS6_EEE10hipError_tPvRmT3_T4_T5_T6_T7_T9_mT8_P12ihipStream_tbDpT10_ENKUlT_T0_E_clISt17integral_constantIbLb0EES1B_IbLb1EEEEDaS17_S18_EUlS17_E_NS1_11comp_targetILNS1_3genE0ELNS1_11target_archE4294967295ELNS1_3gpuE0ELNS1_3repE0EEENS1_30default_config_static_selectorELNS0_4arch9wavefront6targetE1EEEvT1_.num_agpr, 0
	.set _ZN7rocprim17ROCPRIM_400000_NS6detail17trampoline_kernelINS0_14default_configENS1_25partition_config_selectorILNS1_17partition_subalgoE8ElNS0_10empty_typeEbEEZZNS1_14partition_implILS5_8ELb0ES3_jPlPS6_PKS6_NS0_5tupleIJS9_S6_EEENSD_IJSA_SA_EEENS0_18inequality_wrapperIZN2at6native12_GLOBAL__N_124unique_dim_cuda_templateImEESt5tupleIJNSH_6TensorESM_SM_EERKSM_lbbbEUlllE0_EEPmJS6_EEE10hipError_tPvRmT3_T4_T5_T6_T7_T9_mT8_P12ihipStream_tbDpT10_ENKUlT_T0_E_clISt17integral_constantIbLb0EES1B_IbLb1EEEEDaS17_S18_EUlS17_E_NS1_11comp_targetILNS1_3genE0ELNS1_11target_archE4294967295ELNS1_3gpuE0ELNS1_3repE0EEENS1_30default_config_static_selectorELNS0_4arch9wavefront6targetE1EEEvT1_.numbered_sgpr, 54
	.set _ZN7rocprim17ROCPRIM_400000_NS6detail17trampoline_kernelINS0_14default_configENS1_25partition_config_selectorILNS1_17partition_subalgoE8ElNS0_10empty_typeEbEEZZNS1_14partition_implILS5_8ELb0ES3_jPlPS6_PKS6_NS0_5tupleIJS9_S6_EEENSD_IJSA_SA_EEENS0_18inequality_wrapperIZN2at6native12_GLOBAL__N_124unique_dim_cuda_templateImEESt5tupleIJNSH_6TensorESM_SM_EERKSM_lbbbEUlllE0_EEPmJS6_EEE10hipError_tPvRmT3_T4_T5_T6_T7_T9_mT8_P12ihipStream_tbDpT10_ENKUlT_T0_E_clISt17integral_constantIbLb0EES1B_IbLb1EEEEDaS17_S18_EUlS17_E_NS1_11comp_targetILNS1_3genE0ELNS1_11target_archE4294967295ELNS1_3gpuE0ELNS1_3repE0EEENS1_30default_config_static_selectorELNS0_4arch9wavefront6targetE1EEEvT1_.num_named_barrier, 0
	.set _ZN7rocprim17ROCPRIM_400000_NS6detail17trampoline_kernelINS0_14default_configENS1_25partition_config_selectorILNS1_17partition_subalgoE8ElNS0_10empty_typeEbEEZZNS1_14partition_implILS5_8ELb0ES3_jPlPS6_PKS6_NS0_5tupleIJS9_S6_EEENSD_IJSA_SA_EEENS0_18inequality_wrapperIZN2at6native12_GLOBAL__N_124unique_dim_cuda_templateImEESt5tupleIJNSH_6TensorESM_SM_EERKSM_lbbbEUlllE0_EEPmJS6_EEE10hipError_tPvRmT3_T4_T5_T6_T7_T9_mT8_P12ihipStream_tbDpT10_ENKUlT_T0_E_clISt17integral_constantIbLb0EES1B_IbLb1EEEEDaS17_S18_EUlS17_E_NS1_11comp_targetILNS1_3genE0ELNS1_11target_archE4294967295ELNS1_3gpuE0ELNS1_3repE0EEENS1_30default_config_static_selectorELNS0_4arch9wavefront6targetE1EEEvT1_.private_seg_size, 0
	.set _ZN7rocprim17ROCPRIM_400000_NS6detail17trampoline_kernelINS0_14default_configENS1_25partition_config_selectorILNS1_17partition_subalgoE8ElNS0_10empty_typeEbEEZZNS1_14partition_implILS5_8ELb0ES3_jPlPS6_PKS6_NS0_5tupleIJS9_S6_EEENSD_IJSA_SA_EEENS0_18inequality_wrapperIZN2at6native12_GLOBAL__N_124unique_dim_cuda_templateImEESt5tupleIJNSH_6TensorESM_SM_EERKSM_lbbbEUlllE0_EEPmJS6_EEE10hipError_tPvRmT3_T4_T5_T6_T7_T9_mT8_P12ihipStream_tbDpT10_ENKUlT_T0_E_clISt17integral_constantIbLb0EES1B_IbLb1EEEEDaS17_S18_EUlS17_E_NS1_11comp_targetILNS1_3genE0ELNS1_11target_archE4294967295ELNS1_3gpuE0ELNS1_3repE0EEENS1_30default_config_static_selectorELNS0_4arch9wavefront6targetE1EEEvT1_.uses_vcc, 1
	.set _ZN7rocprim17ROCPRIM_400000_NS6detail17trampoline_kernelINS0_14default_configENS1_25partition_config_selectorILNS1_17partition_subalgoE8ElNS0_10empty_typeEbEEZZNS1_14partition_implILS5_8ELb0ES3_jPlPS6_PKS6_NS0_5tupleIJS9_S6_EEENSD_IJSA_SA_EEENS0_18inequality_wrapperIZN2at6native12_GLOBAL__N_124unique_dim_cuda_templateImEESt5tupleIJNSH_6TensorESM_SM_EERKSM_lbbbEUlllE0_EEPmJS6_EEE10hipError_tPvRmT3_T4_T5_T6_T7_T9_mT8_P12ihipStream_tbDpT10_ENKUlT_T0_E_clISt17integral_constantIbLb0EES1B_IbLb1EEEEDaS17_S18_EUlS17_E_NS1_11comp_targetILNS1_3genE0ELNS1_11target_archE4294967295ELNS1_3gpuE0ELNS1_3repE0EEENS1_30default_config_static_selectorELNS0_4arch9wavefront6targetE1EEEvT1_.uses_flat_scratch, 0
	.set _ZN7rocprim17ROCPRIM_400000_NS6detail17trampoline_kernelINS0_14default_configENS1_25partition_config_selectorILNS1_17partition_subalgoE8ElNS0_10empty_typeEbEEZZNS1_14partition_implILS5_8ELb0ES3_jPlPS6_PKS6_NS0_5tupleIJS9_S6_EEENSD_IJSA_SA_EEENS0_18inequality_wrapperIZN2at6native12_GLOBAL__N_124unique_dim_cuda_templateImEESt5tupleIJNSH_6TensorESM_SM_EERKSM_lbbbEUlllE0_EEPmJS6_EEE10hipError_tPvRmT3_T4_T5_T6_T7_T9_mT8_P12ihipStream_tbDpT10_ENKUlT_T0_E_clISt17integral_constantIbLb0EES1B_IbLb1EEEEDaS17_S18_EUlS17_E_NS1_11comp_targetILNS1_3genE0ELNS1_11target_archE4294967295ELNS1_3gpuE0ELNS1_3repE0EEENS1_30default_config_static_selectorELNS0_4arch9wavefront6targetE1EEEvT1_.has_dyn_sized_stack, 0
	.set _ZN7rocprim17ROCPRIM_400000_NS6detail17trampoline_kernelINS0_14default_configENS1_25partition_config_selectorILNS1_17partition_subalgoE8ElNS0_10empty_typeEbEEZZNS1_14partition_implILS5_8ELb0ES3_jPlPS6_PKS6_NS0_5tupleIJS9_S6_EEENSD_IJSA_SA_EEENS0_18inequality_wrapperIZN2at6native12_GLOBAL__N_124unique_dim_cuda_templateImEESt5tupleIJNSH_6TensorESM_SM_EERKSM_lbbbEUlllE0_EEPmJS6_EEE10hipError_tPvRmT3_T4_T5_T6_T7_T9_mT8_P12ihipStream_tbDpT10_ENKUlT_T0_E_clISt17integral_constantIbLb0EES1B_IbLb1EEEEDaS17_S18_EUlS17_E_NS1_11comp_targetILNS1_3genE0ELNS1_11target_archE4294967295ELNS1_3gpuE0ELNS1_3repE0EEENS1_30default_config_static_selectorELNS0_4arch9wavefront6targetE1EEEvT1_.has_recursion, 0
	.set _ZN7rocprim17ROCPRIM_400000_NS6detail17trampoline_kernelINS0_14default_configENS1_25partition_config_selectorILNS1_17partition_subalgoE8ElNS0_10empty_typeEbEEZZNS1_14partition_implILS5_8ELb0ES3_jPlPS6_PKS6_NS0_5tupleIJS9_S6_EEENSD_IJSA_SA_EEENS0_18inequality_wrapperIZN2at6native12_GLOBAL__N_124unique_dim_cuda_templateImEESt5tupleIJNSH_6TensorESM_SM_EERKSM_lbbbEUlllE0_EEPmJS6_EEE10hipError_tPvRmT3_T4_T5_T6_T7_T9_mT8_P12ihipStream_tbDpT10_ENKUlT_T0_E_clISt17integral_constantIbLb0EES1B_IbLb1EEEEDaS17_S18_EUlS17_E_NS1_11comp_targetILNS1_3genE0ELNS1_11target_archE4294967295ELNS1_3gpuE0ELNS1_3repE0EEENS1_30default_config_static_selectorELNS0_4arch9wavefront6targetE1EEEvT1_.has_indirect_call, 0
	.section	.AMDGPU.csdata,"",@progbits
; Kernel info:
; codeLenInByte = 11008
; TotalNumSgprs: 60
; NumVgprs: 58
; NumAgprs: 0
; TotalNumVgprs: 58
; ScratchSize: 0
; MemoryBound: 0
; FloatMode: 240
; IeeeMode: 1
; LDSByteSize: 28680 bytes/workgroup (compile time only)
; SGPRBlocks: 7
; VGPRBlocks: 7
; NumSGPRsForWavesPerEU: 60
; NumVGPRsForWavesPerEU: 58
; AccumOffset: 60
; Occupancy: 8
; WaveLimiterHint : 1
; COMPUTE_PGM_RSRC2:SCRATCH_EN: 0
; COMPUTE_PGM_RSRC2:USER_SGPR: 2
; COMPUTE_PGM_RSRC2:TRAP_HANDLER: 0
; COMPUTE_PGM_RSRC2:TGID_X_EN: 1
; COMPUTE_PGM_RSRC2:TGID_Y_EN: 0
; COMPUTE_PGM_RSRC2:TGID_Z_EN: 0
; COMPUTE_PGM_RSRC2:TIDIG_COMP_CNT: 0
; COMPUTE_PGM_RSRC3_GFX90A:ACCUM_OFFSET: 14
; COMPUTE_PGM_RSRC3_GFX90A:TG_SPLIT: 0
	.section	.text._ZN7rocprim17ROCPRIM_400000_NS6detail17trampoline_kernelINS0_14default_configENS1_25partition_config_selectorILNS1_17partition_subalgoE8ElNS0_10empty_typeEbEEZZNS1_14partition_implILS5_8ELb0ES3_jPlPS6_PKS6_NS0_5tupleIJS9_S6_EEENSD_IJSA_SA_EEENS0_18inequality_wrapperIZN2at6native12_GLOBAL__N_124unique_dim_cuda_templateImEESt5tupleIJNSH_6TensorESM_SM_EERKSM_lbbbEUlllE0_EEPmJS6_EEE10hipError_tPvRmT3_T4_T5_T6_T7_T9_mT8_P12ihipStream_tbDpT10_ENKUlT_T0_E_clISt17integral_constantIbLb0EES1B_IbLb1EEEEDaS17_S18_EUlS17_E_NS1_11comp_targetILNS1_3genE5ELNS1_11target_archE942ELNS1_3gpuE9ELNS1_3repE0EEENS1_30default_config_static_selectorELNS0_4arch9wavefront6targetE1EEEvT1_,"axG",@progbits,_ZN7rocprim17ROCPRIM_400000_NS6detail17trampoline_kernelINS0_14default_configENS1_25partition_config_selectorILNS1_17partition_subalgoE8ElNS0_10empty_typeEbEEZZNS1_14partition_implILS5_8ELb0ES3_jPlPS6_PKS6_NS0_5tupleIJS9_S6_EEENSD_IJSA_SA_EEENS0_18inequality_wrapperIZN2at6native12_GLOBAL__N_124unique_dim_cuda_templateImEESt5tupleIJNSH_6TensorESM_SM_EERKSM_lbbbEUlllE0_EEPmJS6_EEE10hipError_tPvRmT3_T4_T5_T6_T7_T9_mT8_P12ihipStream_tbDpT10_ENKUlT_T0_E_clISt17integral_constantIbLb0EES1B_IbLb1EEEEDaS17_S18_EUlS17_E_NS1_11comp_targetILNS1_3genE5ELNS1_11target_archE942ELNS1_3gpuE9ELNS1_3repE0EEENS1_30default_config_static_selectorELNS0_4arch9wavefront6targetE1EEEvT1_,comdat
	.globl	_ZN7rocprim17ROCPRIM_400000_NS6detail17trampoline_kernelINS0_14default_configENS1_25partition_config_selectorILNS1_17partition_subalgoE8ElNS0_10empty_typeEbEEZZNS1_14partition_implILS5_8ELb0ES3_jPlPS6_PKS6_NS0_5tupleIJS9_S6_EEENSD_IJSA_SA_EEENS0_18inequality_wrapperIZN2at6native12_GLOBAL__N_124unique_dim_cuda_templateImEESt5tupleIJNSH_6TensorESM_SM_EERKSM_lbbbEUlllE0_EEPmJS6_EEE10hipError_tPvRmT3_T4_T5_T6_T7_T9_mT8_P12ihipStream_tbDpT10_ENKUlT_T0_E_clISt17integral_constantIbLb0EES1B_IbLb1EEEEDaS17_S18_EUlS17_E_NS1_11comp_targetILNS1_3genE5ELNS1_11target_archE942ELNS1_3gpuE9ELNS1_3repE0EEENS1_30default_config_static_selectorELNS0_4arch9wavefront6targetE1EEEvT1_ ; -- Begin function _ZN7rocprim17ROCPRIM_400000_NS6detail17trampoline_kernelINS0_14default_configENS1_25partition_config_selectorILNS1_17partition_subalgoE8ElNS0_10empty_typeEbEEZZNS1_14partition_implILS5_8ELb0ES3_jPlPS6_PKS6_NS0_5tupleIJS9_S6_EEENSD_IJSA_SA_EEENS0_18inequality_wrapperIZN2at6native12_GLOBAL__N_124unique_dim_cuda_templateImEESt5tupleIJNSH_6TensorESM_SM_EERKSM_lbbbEUlllE0_EEPmJS6_EEE10hipError_tPvRmT3_T4_T5_T6_T7_T9_mT8_P12ihipStream_tbDpT10_ENKUlT_T0_E_clISt17integral_constantIbLb0EES1B_IbLb1EEEEDaS17_S18_EUlS17_E_NS1_11comp_targetILNS1_3genE5ELNS1_11target_archE942ELNS1_3gpuE9ELNS1_3repE0EEENS1_30default_config_static_selectorELNS0_4arch9wavefront6targetE1EEEvT1_
	.p2align	8
	.type	_ZN7rocprim17ROCPRIM_400000_NS6detail17trampoline_kernelINS0_14default_configENS1_25partition_config_selectorILNS1_17partition_subalgoE8ElNS0_10empty_typeEbEEZZNS1_14partition_implILS5_8ELb0ES3_jPlPS6_PKS6_NS0_5tupleIJS9_S6_EEENSD_IJSA_SA_EEENS0_18inequality_wrapperIZN2at6native12_GLOBAL__N_124unique_dim_cuda_templateImEESt5tupleIJNSH_6TensorESM_SM_EERKSM_lbbbEUlllE0_EEPmJS6_EEE10hipError_tPvRmT3_T4_T5_T6_T7_T9_mT8_P12ihipStream_tbDpT10_ENKUlT_T0_E_clISt17integral_constantIbLb0EES1B_IbLb1EEEEDaS17_S18_EUlS17_E_NS1_11comp_targetILNS1_3genE5ELNS1_11target_archE942ELNS1_3gpuE9ELNS1_3repE0EEENS1_30default_config_static_selectorELNS0_4arch9wavefront6targetE1EEEvT1_,@function
_ZN7rocprim17ROCPRIM_400000_NS6detail17trampoline_kernelINS0_14default_configENS1_25partition_config_selectorILNS1_17partition_subalgoE8ElNS0_10empty_typeEbEEZZNS1_14partition_implILS5_8ELb0ES3_jPlPS6_PKS6_NS0_5tupleIJS9_S6_EEENSD_IJSA_SA_EEENS0_18inequality_wrapperIZN2at6native12_GLOBAL__N_124unique_dim_cuda_templateImEESt5tupleIJNSH_6TensorESM_SM_EERKSM_lbbbEUlllE0_EEPmJS6_EEE10hipError_tPvRmT3_T4_T5_T6_T7_T9_mT8_P12ihipStream_tbDpT10_ENKUlT_T0_E_clISt17integral_constantIbLb0EES1B_IbLb1EEEEDaS17_S18_EUlS17_E_NS1_11comp_targetILNS1_3genE5ELNS1_11target_archE942ELNS1_3gpuE9ELNS1_3repE0EEENS1_30default_config_static_selectorELNS0_4arch9wavefront6targetE1EEEvT1_: ; @_ZN7rocprim17ROCPRIM_400000_NS6detail17trampoline_kernelINS0_14default_configENS1_25partition_config_selectorILNS1_17partition_subalgoE8ElNS0_10empty_typeEbEEZZNS1_14partition_implILS5_8ELb0ES3_jPlPS6_PKS6_NS0_5tupleIJS9_S6_EEENSD_IJSA_SA_EEENS0_18inequality_wrapperIZN2at6native12_GLOBAL__N_124unique_dim_cuda_templateImEESt5tupleIJNSH_6TensorESM_SM_EERKSM_lbbbEUlllE0_EEPmJS6_EEE10hipError_tPvRmT3_T4_T5_T6_T7_T9_mT8_P12ihipStream_tbDpT10_ENKUlT_T0_E_clISt17integral_constantIbLb0EES1B_IbLb1EEEEDaS17_S18_EUlS17_E_NS1_11comp_targetILNS1_3genE5ELNS1_11target_archE942ELNS1_3gpuE9ELNS1_3repE0EEENS1_30default_config_static_selectorELNS0_4arch9wavefront6targetE1EEEvT1_
; %bb.0:
	.section	.rodata,"a",@progbits
	.p2align	6, 0x0
	.amdhsa_kernel _ZN7rocprim17ROCPRIM_400000_NS6detail17trampoline_kernelINS0_14default_configENS1_25partition_config_selectorILNS1_17partition_subalgoE8ElNS0_10empty_typeEbEEZZNS1_14partition_implILS5_8ELb0ES3_jPlPS6_PKS6_NS0_5tupleIJS9_S6_EEENSD_IJSA_SA_EEENS0_18inequality_wrapperIZN2at6native12_GLOBAL__N_124unique_dim_cuda_templateImEESt5tupleIJNSH_6TensorESM_SM_EERKSM_lbbbEUlllE0_EEPmJS6_EEE10hipError_tPvRmT3_T4_T5_T6_T7_T9_mT8_P12ihipStream_tbDpT10_ENKUlT_T0_E_clISt17integral_constantIbLb0EES1B_IbLb1EEEEDaS17_S18_EUlS17_E_NS1_11comp_targetILNS1_3genE5ELNS1_11target_archE942ELNS1_3gpuE9ELNS1_3repE0EEENS1_30default_config_static_selectorELNS0_4arch9wavefront6targetE1EEEvT1_
		.amdhsa_group_segment_fixed_size 0
		.amdhsa_private_segment_fixed_size 0
		.amdhsa_kernarg_size 136
		.amdhsa_user_sgpr_count 2
		.amdhsa_user_sgpr_dispatch_ptr 0
		.amdhsa_user_sgpr_queue_ptr 0
		.amdhsa_user_sgpr_kernarg_segment_ptr 1
		.amdhsa_user_sgpr_dispatch_id 0
		.amdhsa_user_sgpr_kernarg_preload_length 0
		.amdhsa_user_sgpr_kernarg_preload_offset 0
		.amdhsa_user_sgpr_private_segment_size 0
		.amdhsa_uses_dynamic_stack 0
		.amdhsa_enable_private_segment 0
		.amdhsa_system_sgpr_workgroup_id_x 1
		.amdhsa_system_sgpr_workgroup_id_y 0
		.amdhsa_system_sgpr_workgroup_id_z 0
		.amdhsa_system_sgpr_workgroup_info 0
		.amdhsa_system_vgpr_workitem_id 0
		.amdhsa_next_free_vgpr 1
		.amdhsa_next_free_sgpr 0
		.amdhsa_accum_offset 4
		.amdhsa_reserve_vcc 0
		.amdhsa_float_round_mode_32 0
		.amdhsa_float_round_mode_16_64 0
		.amdhsa_float_denorm_mode_32 3
		.amdhsa_float_denorm_mode_16_64 3
		.amdhsa_dx10_clamp 1
		.amdhsa_ieee_mode 1
		.amdhsa_fp16_overflow 0
		.amdhsa_tg_split 0
		.amdhsa_exception_fp_ieee_invalid_op 0
		.amdhsa_exception_fp_denorm_src 0
		.amdhsa_exception_fp_ieee_div_zero 0
		.amdhsa_exception_fp_ieee_overflow 0
		.amdhsa_exception_fp_ieee_underflow 0
		.amdhsa_exception_fp_ieee_inexact 0
		.amdhsa_exception_int_div_zero 0
	.end_amdhsa_kernel
	.section	.text._ZN7rocprim17ROCPRIM_400000_NS6detail17trampoline_kernelINS0_14default_configENS1_25partition_config_selectorILNS1_17partition_subalgoE8ElNS0_10empty_typeEbEEZZNS1_14partition_implILS5_8ELb0ES3_jPlPS6_PKS6_NS0_5tupleIJS9_S6_EEENSD_IJSA_SA_EEENS0_18inequality_wrapperIZN2at6native12_GLOBAL__N_124unique_dim_cuda_templateImEESt5tupleIJNSH_6TensorESM_SM_EERKSM_lbbbEUlllE0_EEPmJS6_EEE10hipError_tPvRmT3_T4_T5_T6_T7_T9_mT8_P12ihipStream_tbDpT10_ENKUlT_T0_E_clISt17integral_constantIbLb0EES1B_IbLb1EEEEDaS17_S18_EUlS17_E_NS1_11comp_targetILNS1_3genE5ELNS1_11target_archE942ELNS1_3gpuE9ELNS1_3repE0EEENS1_30default_config_static_selectorELNS0_4arch9wavefront6targetE1EEEvT1_,"axG",@progbits,_ZN7rocprim17ROCPRIM_400000_NS6detail17trampoline_kernelINS0_14default_configENS1_25partition_config_selectorILNS1_17partition_subalgoE8ElNS0_10empty_typeEbEEZZNS1_14partition_implILS5_8ELb0ES3_jPlPS6_PKS6_NS0_5tupleIJS9_S6_EEENSD_IJSA_SA_EEENS0_18inequality_wrapperIZN2at6native12_GLOBAL__N_124unique_dim_cuda_templateImEESt5tupleIJNSH_6TensorESM_SM_EERKSM_lbbbEUlllE0_EEPmJS6_EEE10hipError_tPvRmT3_T4_T5_T6_T7_T9_mT8_P12ihipStream_tbDpT10_ENKUlT_T0_E_clISt17integral_constantIbLb0EES1B_IbLb1EEEEDaS17_S18_EUlS17_E_NS1_11comp_targetILNS1_3genE5ELNS1_11target_archE942ELNS1_3gpuE9ELNS1_3repE0EEENS1_30default_config_static_selectorELNS0_4arch9wavefront6targetE1EEEvT1_,comdat
.Lfunc_end1688:
	.size	_ZN7rocprim17ROCPRIM_400000_NS6detail17trampoline_kernelINS0_14default_configENS1_25partition_config_selectorILNS1_17partition_subalgoE8ElNS0_10empty_typeEbEEZZNS1_14partition_implILS5_8ELb0ES3_jPlPS6_PKS6_NS0_5tupleIJS9_S6_EEENSD_IJSA_SA_EEENS0_18inequality_wrapperIZN2at6native12_GLOBAL__N_124unique_dim_cuda_templateImEESt5tupleIJNSH_6TensorESM_SM_EERKSM_lbbbEUlllE0_EEPmJS6_EEE10hipError_tPvRmT3_T4_T5_T6_T7_T9_mT8_P12ihipStream_tbDpT10_ENKUlT_T0_E_clISt17integral_constantIbLb0EES1B_IbLb1EEEEDaS17_S18_EUlS17_E_NS1_11comp_targetILNS1_3genE5ELNS1_11target_archE942ELNS1_3gpuE9ELNS1_3repE0EEENS1_30default_config_static_selectorELNS0_4arch9wavefront6targetE1EEEvT1_, .Lfunc_end1688-_ZN7rocprim17ROCPRIM_400000_NS6detail17trampoline_kernelINS0_14default_configENS1_25partition_config_selectorILNS1_17partition_subalgoE8ElNS0_10empty_typeEbEEZZNS1_14partition_implILS5_8ELb0ES3_jPlPS6_PKS6_NS0_5tupleIJS9_S6_EEENSD_IJSA_SA_EEENS0_18inequality_wrapperIZN2at6native12_GLOBAL__N_124unique_dim_cuda_templateImEESt5tupleIJNSH_6TensorESM_SM_EERKSM_lbbbEUlllE0_EEPmJS6_EEE10hipError_tPvRmT3_T4_T5_T6_T7_T9_mT8_P12ihipStream_tbDpT10_ENKUlT_T0_E_clISt17integral_constantIbLb0EES1B_IbLb1EEEEDaS17_S18_EUlS17_E_NS1_11comp_targetILNS1_3genE5ELNS1_11target_archE942ELNS1_3gpuE9ELNS1_3repE0EEENS1_30default_config_static_selectorELNS0_4arch9wavefront6targetE1EEEvT1_
                                        ; -- End function
	.set _ZN7rocprim17ROCPRIM_400000_NS6detail17trampoline_kernelINS0_14default_configENS1_25partition_config_selectorILNS1_17partition_subalgoE8ElNS0_10empty_typeEbEEZZNS1_14partition_implILS5_8ELb0ES3_jPlPS6_PKS6_NS0_5tupleIJS9_S6_EEENSD_IJSA_SA_EEENS0_18inequality_wrapperIZN2at6native12_GLOBAL__N_124unique_dim_cuda_templateImEESt5tupleIJNSH_6TensorESM_SM_EERKSM_lbbbEUlllE0_EEPmJS6_EEE10hipError_tPvRmT3_T4_T5_T6_T7_T9_mT8_P12ihipStream_tbDpT10_ENKUlT_T0_E_clISt17integral_constantIbLb0EES1B_IbLb1EEEEDaS17_S18_EUlS17_E_NS1_11comp_targetILNS1_3genE5ELNS1_11target_archE942ELNS1_3gpuE9ELNS1_3repE0EEENS1_30default_config_static_selectorELNS0_4arch9wavefront6targetE1EEEvT1_.num_vgpr, 0
	.set _ZN7rocprim17ROCPRIM_400000_NS6detail17trampoline_kernelINS0_14default_configENS1_25partition_config_selectorILNS1_17partition_subalgoE8ElNS0_10empty_typeEbEEZZNS1_14partition_implILS5_8ELb0ES3_jPlPS6_PKS6_NS0_5tupleIJS9_S6_EEENSD_IJSA_SA_EEENS0_18inequality_wrapperIZN2at6native12_GLOBAL__N_124unique_dim_cuda_templateImEESt5tupleIJNSH_6TensorESM_SM_EERKSM_lbbbEUlllE0_EEPmJS6_EEE10hipError_tPvRmT3_T4_T5_T6_T7_T9_mT8_P12ihipStream_tbDpT10_ENKUlT_T0_E_clISt17integral_constantIbLb0EES1B_IbLb1EEEEDaS17_S18_EUlS17_E_NS1_11comp_targetILNS1_3genE5ELNS1_11target_archE942ELNS1_3gpuE9ELNS1_3repE0EEENS1_30default_config_static_selectorELNS0_4arch9wavefront6targetE1EEEvT1_.num_agpr, 0
	.set _ZN7rocprim17ROCPRIM_400000_NS6detail17trampoline_kernelINS0_14default_configENS1_25partition_config_selectorILNS1_17partition_subalgoE8ElNS0_10empty_typeEbEEZZNS1_14partition_implILS5_8ELb0ES3_jPlPS6_PKS6_NS0_5tupleIJS9_S6_EEENSD_IJSA_SA_EEENS0_18inequality_wrapperIZN2at6native12_GLOBAL__N_124unique_dim_cuda_templateImEESt5tupleIJNSH_6TensorESM_SM_EERKSM_lbbbEUlllE0_EEPmJS6_EEE10hipError_tPvRmT3_T4_T5_T6_T7_T9_mT8_P12ihipStream_tbDpT10_ENKUlT_T0_E_clISt17integral_constantIbLb0EES1B_IbLb1EEEEDaS17_S18_EUlS17_E_NS1_11comp_targetILNS1_3genE5ELNS1_11target_archE942ELNS1_3gpuE9ELNS1_3repE0EEENS1_30default_config_static_selectorELNS0_4arch9wavefront6targetE1EEEvT1_.numbered_sgpr, 0
	.set _ZN7rocprim17ROCPRIM_400000_NS6detail17trampoline_kernelINS0_14default_configENS1_25partition_config_selectorILNS1_17partition_subalgoE8ElNS0_10empty_typeEbEEZZNS1_14partition_implILS5_8ELb0ES3_jPlPS6_PKS6_NS0_5tupleIJS9_S6_EEENSD_IJSA_SA_EEENS0_18inequality_wrapperIZN2at6native12_GLOBAL__N_124unique_dim_cuda_templateImEESt5tupleIJNSH_6TensorESM_SM_EERKSM_lbbbEUlllE0_EEPmJS6_EEE10hipError_tPvRmT3_T4_T5_T6_T7_T9_mT8_P12ihipStream_tbDpT10_ENKUlT_T0_E_clISt17integral_constantIbLb0EES1B_IbLb1EEEEDaS17_S18_EUlS17_E_NS1_11comp_targetILNS1_3genE5ELNS1_11target_archE942ELNS1_3gpuE9ELNS1_3repE0EEENS1_30default_config_static_selectorELNS0_4arch9wavefront6targetE1EEEvT1_.num_named_barrier, 0
	.set _ZN7rocprim17ROCPRIM_400000_NS6detail17trampoline_kernelINS0_14default_configENS1_25partition_config_selectorILNS1_17partition_subalgoE8ElNS0_10empty_typeEbEEZZNS1_14partition_implILS5_8ELb0ES3_jPlPS6_PKS6_NS0_5tupleIJS9_S6_EEENSD_IJSA_SA_EEENS0_18inequality_wrapperIZN2at6native12_GLOBAL__N_124unique_dim_cuda_templateImEESt5tupleIJNSH_6TensorESM_SM_EERKSM_lbbbEUlllE0_EEPmJS6_EEE10hipError_tPvRmT3_T4_T5_T6_T7_T9_mT8_P12ihipStream_tbDpT10_ENKUlT_T0_E_clISt17integral_constantIbLb0EES1B_IbLb1EEEEDaS17_S18_EUlS17_E_NS1_11comp_targetILNS1_3genE5ELNS1_11target_archE942ELNS1_3gpuE9ELNS1_3repE0EEENS1_30default_config_static_selectorELNS0_4arch9wavefront6targetE1EEEvT1_.private_seg_size, 0
	.set _ZN7rocprim17ROCPRIM_400000_NS6detail17trampoline_kernelINS0_14default_configENS1_25partition_config_selectorILNS1_17partition_subalgoE8ElNS0_10empty_typeEbEEZZNS1_14partition_implILS5_8ELb0ES3_jPlPS6_PKS6_NS0_5tupleIJS9_S6_EEENSD_IJSA_SA_EEENS0_18inequality_wrapperIZN2at6native12_GLOBAL__N_124unique_dim_cuda_templateImEESt5tupleIJNSH_6TensorESM_SM_EERKSM_lbbbEUlllE0_EEPmJS6_EEE10hipError_tPvRmT3_T4_T5_T6_T7_T9_mT8_P12ihipStream_tbDpT10_ENKUlT_T0_E_clISt17integral_constantIbLb0EES1B_IbLb1EEEEDaS17_S18_EUlS17_E_NS1_11comp_targetILNS1_3genE5ELNS1_11target_archE942ELNS1_3gpuE9ELNS1_3repE0EEENS1_30default_config_static_selectorELNS0_4arch9wavefront6targetE1EEEvT1_.uses_vcc, 0
	.set _ZN7rocprim17ROCPRIM_400000_NS6detail17trampoline_kernelINS0_14default_configENS1_25partition_config_selectorILNS1_17partition_subalgoE8ElNS0_10empty_typeEbEEZZNS1_14partition_implILS5_8ELb0ES3_jPlPS6_PKS6_NS0_5tupleIJS9_S6_EEENSD_IJSA_SA_EEENS0_18inequality_wrapperIZN2at6native12_GLOBAL__N_124unique_dim_cuda_templateImEESt5tupleIJNSH_6TensorESM_SM_EERKSM_lbbbEUlllE0_EEPmJS6_EEE10hipError_tPvRmT3_T4_T5_T6_T7_T9_mT8_P12ihipStream_tbDpT10_ENKUlT_T0_E_clISt17integral_constantIbLb0EES1B_IbLb1EEEEDaS17_S18_EUlS17_E_NS1_11comp_targetILNS1_3genE5ELNS1_11target_archE942ELNS1_3gpuE9ELNS1_3repE0EEENS1_30default_config_static_selectorELNS0_4arch9wavefront6targetE1EEEvT1_.uses_flat_scratch, 0
	.set _ZN7rocprim17ROCPRIM_400000_NS6detail17trampoline_kernelINS0_14default_configENS1_25partition_config_selectorILNS1_17partition_subalgoE8ElNS0_10empty_typeEbEEZZNS1_14partition_implILS5_8ELb0ES3_jPlPS6_PKS6_NS0_5tupleIJS9_S6_EEENSD_IJSA_SA_EEENS0_18inequality_wrapperIZN2at6native12_GLOBAL__N_124unique_dim_cuda_templateImEESt5tupleIJNSH_6TensorESM_SM_EERKSM_lbbbEUlllE0_EEPmJS6_EEE10hipError_tPvRmT3_T4_T5_T6_T7_T9_mT8_P12ihipStream_tbDpT10_ENKUlT_T0_E_clISt17integral_constantIbLb0EES1B_IbLb1EEEEDaS17_S18_EUlS17_E_NS1_11comp_targetILNS1_3genE5ELNS1_11target_archE942ELNS1_3gpuE9ELNS1_3repE0EEENS1_30default_config_static_selectorELNS0_4arch9wavefront6targetE1EEEvT1_.has_dyn_sized_stack, 0
	.set _ZN7rocprim17ROCPRIM_400000_NS6detail17trampoline_kernelINS0_14default_configENS1_25partition_config_selectorILNS1_17partition_subalgoE8ElNS0_10empty_typeEbEEZZNS1_14partition_implILS5_8ELb0ES3_jPlPS6_PKS6_NS0_5tupleIJS9_S6_EEENSD_IJSA_SA_EEENS0_18inequality_wrapperIZN2at6native12_GLOBAL__N_124unique_dim_cuda_templateImEESt5tupleIJNSH_6TensorESM_SM_EERKSM_lbbbEUlllE0_EEPmJS6_EEE10hipError_tPvRmT3_T4_T5_T6_T7_T9_mT8_P12ihipStream_tbDpT10_ENKUlT_T0_E_clISt17integral_constantIbLb0EES1B_IbLb1EEEEDaS17_S18_EUlS17_E_NS1_11comp_targetILNS1_3genE5ELNS1_11target_archE942ELNS1_3gpuE9ELNS1_3repE0EEENS1_30default_config_static_selectorELNS0_4arch9wavefront6targetE1EEEvT1_.has_recursion, 0
	.set _ZN7rocprim17ROCPRIM_400000_NS6detail17trampoline_kernelINS0_14default_configENS1_25partition_config_selectorILNS1_17partition_subalgoE8ElNS0_10empty_typeEbEEZZNS1_14partition_implILS5_8ELb0ES3_jPlPS6_PKS6_NS0_5tupleIJS9_S6_EEENSD_IJSA_SA_EEENS0_18inequality_wrapperIZN2at6native12_GLOBAL__N_124unique_dim_cuda_templateImEESt5tupleIJNSH_6TensorESM_SM_EERKSM_lbbbEUlllE0_EEPmJS6_EEE10hipError_tPvRmT3_T4_T5_T6_T7_T9_mT8_P12ihipStream_tbDpT10_ENKUlT_T0_E_clISt17integral_constantIbLb0EES1B_IbLb1EEEEDaS17_S18_EUlS17_E_NS1_11comp_targetILNS1_3genE5ELNS1_11target_archE942ELNS1_3gpuE9ELNS1_3repE0EEENS1_30default_config_static_selectorELNS0_4arch9wavefront6targetE1EEEvT1_.has_indirect_call, 0
	.section	.AMDGPU.csdata,"",@progbits
; Kernel info:
; codeLenInByte = 0
; TotalNumSgprs: 6
; NumVgprs: 0
; NumAgprs: 0
; TotalNumVgprs: 0
; ScratchSize: 0
; MemoryBound: 0
; FloatMode: 240
; IeeeMode: 1
; LDSByteSize: 0 bytes/workgroup (compile time only)
; SGPRBlocks: 0
; VGPRBlocks: 0
; NumSGPRsForWavesPerEU: 6
; NumVGPRsForWavesPerEU: 1
; AccumOffset: 4
; Occupancy: 8
; WaveLimiterHint : 0
; COMPUTE_PGM_RSRC2:SCRATCH_EN: 0
; COMPUTE_PGM_RSRC2:USER_SGPR: 2
; COMPUTE_PGM_RSRC2:TRAP_HANDLER: 0
; COMPUTE_PGM_RSRC2:TGID_X_EN: 1
; COMPUTE_PGM_RSRC2:TGID_Y_EN: 0
; COMPUTE_PGM_RSRC2:TGID_Z_EN: 0
; COMPUTE_PGM_RSRC2:TIDIG_COMP_CNT: 0
; COMPUTE_PGM_RSRC3_GFX90A:ACCUM_OFFSET: 0
; COMPUTE_PGM_RSRC3_GFX90A:TG_SPLIT: 0
	.section	.text._ZN7rocprim17ROCPRIM_400000_NS6detail17trampoline_kernelINS0_14default_configENS1_25partition_config_selectorILNS1_17partition_subalgoE8ElNS0_10empty_typeEbEEZZNS1_14partition_implILS5_8ELb0ES3_jPlPS6_PKS6_NS0_5tupleIJS9_S6_EEENSD_IJSA_SA_EEENS0_18inequality_wrapperIZN2at6native12_GLOBAL__N_124unique_dim_cuda_templateImEESt5tupleIJNSH_6TensorESM_SM_EERKSM_lbbbEUlllE0_EEPmJS6_EEE10hipError_tPvRmT3_T4_T5_T6_T7_T9_mT8_P12ihipStream_tbDpT10_ENKUlT_T0_E_clISt17integral_constantIbLb0EES1B_IbLb1EEEEDaS17_S18_EUlS17_E_NS1_11comp_targetILNS1_3genE4ELNS1_11target_archE910ELNS1_3gpuE8ELNS1_3repE0EEENS1_30default_config_static_selectorELNS0_4arch9wavefront6targetE1EEEvT1_,"axG",@progbits,_ZN7rocprim17ROCPRIM_400000_NS6detail17trampoline_kernelINS0_14default_configENS1_25partition_config_selectorILNS1_17partition_subalgoE8ElNS0_10empty_typeEbEEZZNS1_14partition_implILS5_8ELb0ES3_jPlPS6_PKS6_NS0_5tupleIJS9_S6_EEENSD_IJSA_SA_EEENS0_18inequality_wrapperIZN2at6native12_GLOBAL__N_124unique_dim_cuda_templateImEESt5tupleIJNSH_6TensorESM_SM_EERKSM_lbbbEUlllE0_EEPmJS6_EEE10hipError_tPvRmT3_T4_T5_T6_T7_T9_mT8_P12ihipStream_tbDpT10_ENKUlT_T0_E_clISt17integral_constantIbLb0EES1B_IbLb1EEEEDaS17_S18_EUlS17_E_NS1_11comp_targetILNS1_3genE4ELNS1_11target_archE910ELNS1_3gpuE8ELNS1_3repE0EEENS1_30default_config_static_selectorELNS0_4arch9wavefront6targetE1EEEvT1_,comdat
	.globl	_ZN7rocprim17ROCPRIM_400000_NS6detail17trampoline_kernelINS0_14default_configENS1_25partition_config_selectorILNS1_17partition_subalgoE8ElNS0_10empty_typeEbEEZZNS1_14partition_implILS5_8ELb0ES3_jPlPS6_PKS6_NS0_5tupleIJS9_S6_EEENSD_IJSA_SA_EEENS0_18inequality_wrapperIZN2at6native12_GLOBAL__N_124unique_dim_cuda_templateImEESt5tupleIJNSH_6TensorESM_SM_EERKSM_lbbbEUlllE0_EEPmJS6_EEE10hipError_tPvRmT3_T4_T5_T6_T7_T9_mT8_P12ihipStream_tbDpT10_ENKUlT_T0_E_clISt17integral_constantIbLb0EES1B_IbLb1EEEEDaS17_S18_EUlS17_E_NS1_11comp_targetILNS1_3genE4ELNS1_11target_archE910ELNS1_3gpuE8ELNS1_3repE0EEENS1_30default_config_static_selectorELNS0_4arch9wavefront6targetE1EEEvT1_ ; -- Begin function _ZN7rocprim17ROCPRIM_400000_NS6detail17trampoline_kernelINS0_14default_configENS1_25partition_config_selectorILNS1_17partition_subalgoE8ElNS0_10empty_typeEbEEZZNS1_14partition_implILS5_8ELb0ES3_jPlPS6_PKS6_NS0_5tupleIJS9_S6_EEENSD_IJSA_SA_EEENS0_18inequality_wrapperIZN2at6native12_GLOBAL__N_124unique_dim_cuda_templateImEESt5tupleIJNSH_6TensorESM_SM_EERKSM_lbbbEUlllE0_EEPmJS6_EEE10hipError_tPvRmT3_T4_T5_T6_T7_T9_mT8_P12ihipStream_tbDpT10_ENKUlT_T0_E_clISt17integral_constantIbLb0EES1B_IbLb1EEEEDaS17_S18_EUlS17_E_NS1_11comp_targetILNS1_3genE4ELNS1_11target_archE910ELNS1_3gpuE8ELNS1_3repE0EEENS1_30default_config_static_selectorELNS0_4arch9wavefront6targetE1EEEvT1_
	.p2align	8
	.type	_ZN7rocprim17ROCPRIM_400000_NS6detail17trampoline_kernelINS0_14default_configENS1_25partition_config_selectorILNS1_17partition_subalgoE8ElNS0_10empty_typeEbEEZZNS1_14partition_implILS5_8ELb0ES3_jPlPS6_PKS6_NS0_5tupleIJS9_S6_EEENSD_IJSA_SA_EEENS0_18inequality_wrapperIZN2at6native12_GLOBAL__N_124unique_dim_cuda_templateImEESt5tupleIJNSH_6TensorESM_SM_EERKSM_lbbbEUlllE0_EEPmJS6_EEE10hipError_tPvRmT3_T4_T5_T6_T7_T9_mT8_P12ihipStream_tbDpT10_ENKUlT_T0_E_clISt17integral_constantIbLb0EES1B_IbLb1EEEEDaS17_S18_EUlS17_E_NS1_11comp_targetILNS1_3genE4ELNS1_11target_archE910ELNS1_3gpuE8ELNS1_3repE0EEENS1_30default_config_static_selectorELNS0_4arch9wavefront6targetE1EEEvT1_,@function
_ZN7rocprim17ROCPRIM_400000_NS6detail17trampoline_kernelINS0_14default_configENS1_25partition_config_selectorILNS1_17partition_subalgoE8ElNS0_10empty_typeEbEEZZNS1_14partition_implILS5_8ELb0ES3_jPlPS6_PKS6_NS0_5tupleIJS9_S6_EEENSD_IJSA_SA_EEENS0_18inequality_wrapperIZN2at6native12_GLOBAL__N_124unique_dim_cuda_templateImEESt5tupleIJNSH_6TensorESM_SM_EERKSM_lbbbEUlllE0_EEPmJS6_EEE10hipError_tPvRmT3_T4_T5_T6_T7_T9_mT8_P12ihipStream_tbDpT10_ENKUlT_T0_E_clISt17integral_constantIbLb0EES1B_IbLb1EEEEDaS17_S18_EUlS17_E_NS1_11comp_targetILNS1_3genE4ELNS1_11target_archE910ELNS1_3gpuE8ELNS1_3repE0EEENS1_30default_config_static_selectorELNS0_4arch9wavefront6targetE1EEEvT1_: ; @_ZN7rocprim17ROCPRIM_400000_NS6detail17trampoline_kernelINS0_14default_configENS1_25partition_config_selectorILNS1_17partition_subalgoE8ElNS0_10empty_typeEbEEZZNS1_14partition_implILS5_8ELb0ES3_jPlPS6_PKS6_NS0_5tupleIJS9_S6_EEENSD_IJSA_SA_EEENS0_18inequality_wrapperIZN2at6native12_GLOBAL__N_124unique_dim_cuda_templateImEESt5tupleIJNSH_6TensorESM_SM_EERKSM_lbbbEUlllE0_EEPmJS6_EEE10hipError_tPvRmT3_T4_T5_T6_T7_T9_mT8_P12ihipStream_tbDpT10_ENKUlT_T0_E_clISt17integral_constantIbLb0EES1B_IbLb1EEEEDaS17_S18_EUlS17_E_NS1_11comp_targetILNS1_3genE4ELNS1_11target_archE910ELNS1_3gpuE8ELNS1_3repE0EEENS1_30default_config_static_selectorELNS0_4arch9wavefront6targetE1EEEvT1_
; %bb.0:
	.section	.rodata,"a",@progbits
	.p2align	6, 0x0
	.amdhsa_kernel _ZN7rocprim17ROCPRIM_400000_NS6detail17trampoline_kernelINS0_14default_configENS1_25partition_config_selectorILNS1_17partition_subalgoE8ElNS0_10empty_typeEbEEZZNS1_14partition_implILS5_8ELb0ES3_jPlPS6_PKS6_NS0_5tupleIJS9_S6_EEENSD_IJSA_SA_EEENS0_18inequality_wrapperIZN2at6native12_GLOBAL__N_124unique_dim_cuda_templateImEESt5tupleIJNSH_6TensorESM_SM_EERKSM_lbbbEUlllE0_EEPmJS6_EEE10hipError_tPvRmT3_T4_T5_T6_T7_T9_mT8_P12ihipStream_tbDpT10_ENKUlT_T0_E_clISt17integral_constantIbLb0EES1B_IbLb1EEEEDaS17_S18_EUlS17_E_NS1_11comp_targetILNS1_3genE4ELNS1_11target_archE910ELNS1_3gpuE8ELNS1_3repE0EEENS1_30default_config_static_selectorELNS0_4arch9wavefront6targetE1EEEvT1_
		.amdhsa_group_segment_fixed_size 0
		.amdhsa_private_segment_fixed_size 0
		.amdhsa_kernarg_size 136
		.amdhsa_user_sgpr_count 2
		.amdhsa_user_sgpr_dispatch_ptr 0
		.amdhsa_user_sgpr_queue_ptr 0
		.amdhsa_user_sgpr_kernarg_segment_ptr 1
		.amdhsa_user_sgpr_dispatch_id 0
		.amdhsa_user_sgpr_kernarg_preload_length 0
		.amdhsa_user_sgpr_kernarg_preload_offset 0
		.amdhsa_user_sgpr_private_segment_size 0
		.amdhsa_uses_dynamic_stack 0
		.amdhsa_enable_private_segment 0
		.amdhsa_system_sgpr_workgroup_id_x 1
		.amdhsa_system_sgpr_workgroup_id_y 0
		.amdhsa_system_sgpr_workgroup_id_z 0
		.amdhsa_system_sgpr_workgroup_info 0
		.amdhsa_system_vgpr_workitem_id 0
		.amdhsa_next_free_vgpr 1
		.amdhsa_next_free_sgpr 0
		.amdhsa_accum_offset 4
		.amdhsa_reserve_vcc 0
		.amdhsa_float_round_mode_32 0
		.amdhsa_float_round_mode_16_64 0
		.amdhsa_float_denorm_mode_32 3
		.amdhsa_float_denorm_mode_16_64 3
		.amdhsa_dx10_clamp 1
		.amdhsa_ieee_mode 1
		.amdhsa_fp16_overflow 0
		.amdhsa_tg_split 0
		.amdhsa_exception_fp_ieee_invalid_op 0
		.amdhsa_exception_fp_denorm_src 0
		.amdhsa_exception_fp_ieee_div_zero 0
		.amdhsa_exception_fp_ieee_overflow 0
		.amdhsa_exception_fp_ieee_underflow 0
		.amdhsa_exception_fp_ieee_inexact 0
		.amdhsa_exception_int_div_zero 0
	.end_amdhsa_kernel
	.section	.text._ZN7rocprim17ROCPRIM_400000_NS6detail17trampoline_kernelINS0_14default_configENS1_25partition_config_selectorILNS1_17partition_subalgoE8ElNS0_10empty_typeEbEEZZNS1_14partition_implILS5_8ELb0ES3_jPlPS6_PKS6_NS0_5tupleIJS9_S6_EEENSD_IJSA_SA_EEENS0_18inequality_wrapperIZN2at6native12_GLOBAL__N_124unique_dim_cuda_templateImEESt5tupleIJNSH_6TensorESM_SM_EERKSM_lbbbEUlllE0_EEPmJS6_EEE10hipError_tPvRmT3_T4_T5_T6_T7_T9_mT8_P12ihipStream_tbDpT10_ENKUlT_T0_E_clISt17integral_constantIbLb0EES1B_IbLb1EEEEDaS17_S18_EUlS17_E_NS1_11comp_targetILNS1_3genE4ELNS1_11target_archE910ELNS1_3gpuE8ELNS1_3repE0EEENS1_30default_config_static_selectorELNS0_4arch9wavefront6targetE1EEEvT1_,"axG",@progbits,_ZN7rocprim17ROCPRIM_400000_NS6detail17trampoline_kernelINS0_14default_configENS1_25partition_config_selectorILNS1_17partition_subalgoE8ElNS0_10empty_typeEbEEZZNS1_14partition_implILS5_8ELb0ES3_jPlPS6_PKS6_NS0_5tupleIJS9_S6_EEENSD_IJSA_SA_EEENS0_18inequality_wrapperIZN2at6native12_GLOBAL__N_124unique_dim_cuda_templateImEESt5tupleIJNSH_6TensorESM_SM_EERKSM_lbbbEUlllE0_EEPmJS6_EEE10hipError_tPvRmT3_T4_T5_T6_T7_T9_mT8_P12ihipStream_tbDpT10_ENKUlT_T0_E_clISt17integral_constantIbLb0EES1B_IbLb1EEEEDaS17_S18_EUlS17_E_NS1_11comp_targetILNS1_3genE4ELNS1_11target_archE910ELNS1_3gpuE8ELNS1_3repE0EEENS1_30default_config_static_selectorELNS0_4arch9wavefront6targetE1EEEvT1_,comdat
.Lfunc_end1689:
	.size	_ZN7rocprim17ROCPRIM_400000_NS6detail17trampoline_kernelINS0_14default_configENS1_25partition_config_selectorILNS1_17partition_subalgoE8ElNS0_10empty_typeEbEEZZNS1_14partition_implILS5_8ELb0ES3_jPlPS6_PKS6_NS0_5tupleIJS9_S6_EEENSD_IJSA_SA_EEENS0_18inequality_wrapperIZN2at6native12_GLOBAL__N_124unique_dim_cuda_templateImEESt5tupleIJNSH_6TensorESM_SM_EERKSM_lbbbEUlllE0_EEPmJS6_EEE10hipError_tPvRmT3_T4_T5_T6_T7_T9_mT8_P12ihipStream_tbDpT10_ENKUlT_T0_E_clISt17integral_constantIbLb0EES1B_IbLb1EEEEDaS17_S18_EUlS17_E_NS1_11comp_targetILNS1_3genE4ELNS1_11target_archE910ELNS1_3gpuE8ELNS1_3repE0EEENS1_30default_config_static_selectorELNS0_4arch9wavefront6targetE1EEEvT1_, .Lfunc_end1689-_ZN7rocprim17ROCPRIM_400000_NS6detail17trampoline_kernelINS0_14default_configENS1_25partition_config_selectorILNS1_17partition_subalgoE8ElNS0_10empty_typeEbEEZZNS1_14partition_implILS5_8ELb0ES3_jPlPS6_PKS6_NS0_5tupleIJS9_S6_EEENSD_IJSA_SA_EEENS0_18inequality_wrapperIZN2at6native12_GLOBAL__N_124unique_dim_cuda_templateImEESt5tupleIJNSH_6TensorESM_SM_EERKSM_lbbbEUlllE0_EEPmJS6_EEE10hipError_tPvRmT3_T4_T5_T6_T7_T9_mT8_P12ihipStream_tbDpT10_ENKUlT_T0_E_clISt17integral_constantIbLb0EES1B_IbLb1EEEEDaS17_S18_EUlS17_E_NS1_11comp_targetILNS1_3genE4ELNS1_11target_archE910ELNS1_3gpuE8ELNS1_3repE0EEENS1_30default_config_static_selectorELNS0_4arch9wavefront6targetE1EEEvT1_
                                        ; -- End function
	.set _ZN7rocprim17ROCPRIM_400000_NS6detail17trampoline_kernelINS0_14default_configENS1_25partition_config_selectorILNS1_17partition_subalgoE8ElNS0_10empty_typeEbEEZZNS1_14partition_implILS5_8ELb0ES3_jPlPS6_PKS6_NS0_5tupleIJS9_S6_EEENSD_IJSA_SA_EEENS0_18inequality_wrapperIZN2at6native12_GLOBAL__N_124unique_dim_cuda_templateImEESt5tupleIJNSH_6TensorESM_SM_EERKSM_lbbbEUlllE0_EEPmJS6_EEE10hipError_tPvRmT3_T4_T5_T6_T7_T9_mT8_P12ihipStream_tbDpT10_ENKUlT_T0_E_clISt17integral_constantIbLb0EES1B_IbLb1EEEEDaS17_S18_EUlS17_E_NS1_11comp_targetILNS1_3genE4ELNS1_11target_archE910ELNS1_3gpuE8ELNS1_3repE0EEENS1_30default_config_static_selectorELNS0_4arch9wavefront6targetE1EEEvT1_.num_vgpr, 0
	.set _ZN7rocprim17ROCPRIM_400000_NS6detail17trampoline_kernelINS0_14default_configENS1_25partition_config_selectorILNS1_17partition_subalgoE8ElNS0_10empty_typeEbEEZZNS1_14partition_implILS5_8ELb0ES3_jPlPS6_PKS6_NS0_5tupleIJS9_S6_EEENSD_IJSA_SA_EEENS0_18inequality_wrapperIZN2at6native12_GLOBAL__N_124unique_dim_cuda_templateImEESt5tupleIJNSH_6TensorESM_SM_EERKSM_lbbbEUlllE0_EEPmJS6_EEE10hipError_tPvRmT3_T4_T5_T6_T7_T9_mT8_P12ihipStream_tbDpT10_ENKUlT_T0_E_clISt17integral_constantIbLb0EES1B_IbLb1EEEEDaS17_S18_EUlS17_E_NS1_11comp_targetILNS1_3genE4ELNS1_11target_archE910ELNS1_3gpuE8ELNS1_3repE0EEENS1_30default_config_static_selectorELNS0_4arch9wavefront6targetE1EEEvT1_.num_agpr, 0
	.set _ZN7rocprim17ROCPRIM_400000_NS6detail17trampoline_kernelINS0_14default_configENS1_25partition_config_selectorILNS1_17partition_subalgoE8ElNS0_10empty_typeEbEEZZNS1_14partition_implILS5_8ELb0ES3_jPlPS6_PKS6_NS0_5tupleIJS9_S6_EEENSD_IJSA_SA_EEENS0_18inequality_wrapperIZN2at6native12_GLOBAL__N_124unique_dim_cuda_templateImEESt5tupleIJNSH_6TensorESM_SM_EERKSM_lbbbEUlllE0_EEPmJS6_EEE10hipError_tPvRmT3_T4_T5_T6_T7_T9_mT8_P12ihipStream_tbDpT10_ENKUlT_T0_E_clISt17integral_constantIbLb0EES1B_IbLb1EEEEDaS17_S18_EUlS17_E_NS1_11comp_targetILNS1_3genE4ELNS1_11target_archE910ELNS1_3gpuE8ELNS1_3repE0EEENS1_30default_config_static_selectorELNS0_4arch9wavefront6targetE1EEEvT1_.numbered_sgpr, 0
	.set _ZN7rocprim17ROCPRIM_400000_NS6detail17trampoline_kernelINS0_14default_configENS1_25partition_config_selectorILNS1_17partition_subalgoE8ElNS0_10empty_typeEbEEZZNS1_14partition_implILS5_8ELb0ES3_jPlPS6_PKS6_NS0_5tupleIJS9_S6_EEENSD_IJSA_SA_EEENS0_18inequality_wrapperIZN2at6native12_GLOBAL__N_124unique_dim_cuda_templateImEESt5tupleIJNSH_6TensorESM_SM_EERKSM_lbbbEUlllE0_EEPmJS6_EEE10hipError_tPvRmT3_T4_T5_T6_T7_T9_mT8_P12ihipStream_tbDpT10_ENKUlT_T0_E_clISt17integral_constantIbLb0EES1B_IbLb1EEEEDaS17_S18_EUlS17_E_NS1_11comp_targetILNS1_3genE4ELNS1_11target_archE910ELNS1_3gpuE8ELNS1_3repE0EEENS1_30default_config_static_selectorELNS0_4arch9wavefront6targetE1EEEvT1_.num_named_barrier, 0
	.set _ZN7rocprim17ROCPRIM_400000_NS6detail17trampoline_kernelINS0_14default_configENS1_25partition_config_selectorILNS1_17partition_subalgoE8ElNS0_10empty_typeEbEEZZNS1_14partition_implILS5_8ELb0ES3_jPlPS6_PKS6_NS0_5tupleIJS9_S6_EEENSD_IJSA_SA_EEENS0_18inequality_wrapperIZN2at6native12_GLOBAL__N_124unique_dim_cuda_templateImEESt5tupleIJNSH_6TensorESM_SM_EERKSM_lbbbEUlllE0_EEPmJS6_EEE10hipError_tPvRmT3_T4_T5_T6_T7_T9_mT8_P12ihipStream_tbDpT10_ENKUlT_T0_E_clISt17integral_constantIbLb0EES1B_IbLb1EEEEDaS17_S18_EUlS17_E_NS1_11comp_targetILNS1_3genE4ELNS1_11target_archE910ELNS1_3gpuE8ELNS1_3repE0EEENS1_30default_config_static_selectorELNS0_4arch9wavefront6targetE1EEEvT1_.private_seg_size, 0
	.set _ZN7rocprim17ROCPRIM_400000_NS6detail17trampoline_kernelINS0_14default_configENS1_25partition_config_selectorILNS1_17partition_subalgoE8ElNS0_10empty_typeEbEEZZNS1_14partition_implILS5_8ELb0ES3_jPlPS6_PKS6_NS0_5tupleIJS9_S6_EEENSD_IJSA_SA_EEENS0_18inequality_wrapperIZN2at6native12_GLOBAL__N_124unique_dim_cuda_templateImEESt5tupleIJNSH_6TensorESM_SM_EERKSM_lbbbEUlllE0_EEPmJS6_EEE10hipError_tPvRmT3_T4_T5_T6_T7_T9_mT8_P12ihipStream_tbDpT10_ENKUlT_T0_E_clISt17integral_constantIbLb0EES1B_IbLb1EEEEDaS17_S18_EUlS17_E_NS1_11comp_targetILNS1_3genE4ELNS1_11target_archE910ELNS1_3gpuE8ELNS1_3repE0EEENS1_30default_config_static_selectorELNS0_4arch9wavefront6targetE1EEEvT1_.uses_vcc, 0
	.set _ZN7rocprim17ROCPRIM_400000_NS6detail17trampoline_kernelINS0_14default_configENS1_25partition_config_selectorILNS1_17partition_subalgoE8ElNS0_10empty_typeEbEEZZNS1_14partition_implILS5_8ELb0ES3_jPlPS6_PKS6_NS0_5tupleIJS9_S6_EEENSD_IJSA_SA_EEENS0_18inequality_wrapperIZN2at6native12_GLOBAL__N_124unique_dim_cuda_templateImEESt5tupleIJNSH_6TensorESM_SM_EERKSM_lbbbEUlllE0_EEPmJS6_EEE10hipError_tPvRmT3_T4_T5_T6_T7_T9_mT8_P12ihipStream_tbDpT10_ENKUlT_T0_E_clISt17integral_constantIbLb0EES1B_IbLb1EEEEDaS17_S18_EUlS17_E_NS1_11comp_targetILNS1_3genE4ELNS1_11target_archE910ELNS1_3gpuE8ELNS1_3repE0EEENS1_30default_config_static_selectorELNS0_4arch9wavefront6targetE1EEEvT1_.uses_flat_scratch, 0
	.set _ZN7rocprim17ROCPRIM_400000_NS6detail17trampoline_kernelINS0_14default_configENS1_25partition_config_selectorILNS1_17partition_subalgoE8ElNS0_10empty_typeEbEEZZNS1_14partition_implILS5_8ELb0ES3_jPlPS6_PKS6_NS0_5tupleIJS9_S6_EEENSD_IJSA_SA_EEENS0_18inequality_wrapperIZN2at6native12_GLOBAL__N_124unique_dim_cuda_templateImEESt5tupleIJNSH_6TensorESM_SM_EERKSM_lbbbEUlllE0_EEPmJS6_EEE10hipError_tPvRmT3_T4_T5_T6_T7_T9_mT8_P12ihipStream_tbDpT10_ENKUlT_T0_E_clISt17integral_constantIbLb0EES1B_IbLb1EEEEDaS17_S18_EUlS17_E_NS1_11comp_targetILNS1_3genE4ELNS1_11target_archE910ELNS1_3gpuE8ELNS1_3repE0EEENS1_30default_config_static_selectorELNS0_4arch9wavefront6targetE1EEEvT1_.has_dyn_sized_stack, 0
	.set _ZN7rocprim17ROCPRIM_400000_NS6detail17trampoline_kernelINS0_14default_configENS1_25partition_config_selectorILNS1_17partition_subalgoE8ElNS0_10empty_typeEbEEZZNS1_14partition_implILS5_8ELb0ES3_jPlPS6_PKS6_NS0_5tupleIJS9_S6_EEENSD_IJSA_SA_EEENS0_18inequality_wrapperIZN2at6native12_GLOBAL__N_124unique_dim_cuda_templateImEESt5tupleIJNSH_6TensorESM_SM_EERKSM_lbbbEUlllE0_EEPmJS6_EEE10hipError_tPvRmT3_T4_T5_T6_T7_T9_mT8_P12ihipStream_tbDpT10_ENKUlT_T0_E_clISt17integral_constantIbLb0EES1B_IbLb1EEEEDaS17_S18_EUlS17_E_NS1_11comp_targetILNS1_3genE4ELNS1_11target_archE910ELNS1_3gpuE8ELNS1_3repE0EEENS1_30default_config_static_selectorELNS0_4arch9wavefront6targetE1EEEvT1_.has_recursion, 0
	.set _ZN7rocprim17ROCPRIM_400000_NS6detail17trampoline_kernelINS0_14default_configENS1_25partition_config_selectorILNS1_17partition_subalgoE8ElNS0_10empty_typeEbEEZZNS1_14partition_implILS5_8ELb0ES3_jPlPS6_PKS6_NS0_5tupleIJS9_S6_EEENSD_IJSA_SA_EEENS0_18inequality_wrapperIZN2at6native12_GLOBAL__N_124unique_dim_cuda_templateImEESt5tupleIJNSH_6TensorESM_SM_EERKSM_lbbbEUlllE0_EEPmJS6_EEE10hipError_tPvRmT3_T4_T5_T6_T7_T9_mT8_P12ihipStream_tbDpT10_ENKUlT_T0_E_clISt17integral_constantIbLb0EES1B_IbLb1EEEEDaS17_S18_EUlS17_E_NS1_11comp_targetILNS1_3genE4ELNS1_11target_archE910ELNS1_3gpuE8ELNS1_3repE0EEENS1_30default_config_static_selectorELNS0_4arch9wavefront6targetE1EEEvT1_.has_indirect_call, 0
	.section	.AMDGPU.csdata,"",@progbits
; Kernel info:
; codeLenInByte = 0
; TotalNumSgprs: 6
; NumVgprs: 0
; NumAgprs: 0
; TotalNumVgprs: 0
; ScratchSize: 0
; MemoryBound: 0
; FloatMode: 240
; IeeeMode: 1
; LDSByteSize: 0 bytes/workgroup (compile time only)
; SGPRBlocks: 0
; VGPRBlocks: 0
; NumSGPRsForWavesPerEU: 6
; NumVGPRsForWavesPerEU: 1
; AccumOffset: 4
; Occupancy: 8
; WaveLimiterHint : 0
; COMPUTE_PGM_RSRC2:SCRATCH_EN: 0
; COMPUTE_PGM_RSRC2:USER_SGPR: 2
; COMPUTE_PGM_RSRC2:TRAP_HANDLER: 0
; COMPUTE_PGM_RSRC2:TGID_X_EN: 1
; COMPUTE_PGM_RSRC2:TGID_Y_EN: 0
; COMPUTE_PGM_RSRC2:TGID_Z_EN: 0
; COMPUTE_PGM_RSRC2:TIDIG_COMP_CNT: 0
; COMPUTE_PGM_RSRC3_GFX90A:ACCUM_OFFSET: 0
; COMPUTE_PGM_RSRC3_GFX90A:TG_SPLIT: 0
	.section	.text._ZN7rocprim17ROCPRIM_400000_NS6detail17trampoline_kernelINS0_14default_configENS1_25partition_config_selectorILNS1_17partition_subalgoE8ElNS0_10empty_typeEbEEZZNS1_14partition_implILS5_8ELb0ES3_jPlPS6_PKS6_NS0_5tupleIJS9_S6_EEENSD_IJSA_SA_EEENS0_18inequality_wrapperIZN2at6native12_GLOBAL__N_124unique_dim_cuda_templateImEESt5tupleIJNSH_6TensorESM_SM_EERKSM_lbbbEUlllE0_EEPmJS6_EEE10hipError_tPvRmT3_T4_T5_T6_T7_T9_mT8_P12ihipStream_tbDpT10_ENKUlT_T0_E_clISt17integral_constantIbLb0EES1B_IbLb1EEEEDaS17_S18_EUlS17_E_NS1_11comp_targetILNS1_3genE3ELNS1_11target_archE908ELNS1_3gpuE7ELNS1_3repE0EEENS1_30default_config_static_selectorELNS0_4arch9wavefront6targetE1EEEvT1_,"axG",@progbits,_ZN7rocprim17ROCPRIM_400000_NS6detail17trampoline_kernelINS0_14default_configENS1_25partition_config_selectorILNS1_17partition_subalgoE8ElNS0_10empty_typeEbEEZZNS1_14partition_implILS5_8ELb0ES3_jPlPS6_PKS6_NS0_5tupleIJS9_S6_EEENSD_IJSA_SA_EEENS0_18inequality_wrapperIZN2at6native12_GLOBAL__N_124unique_dim_cuda_templateImEESt5tupleIJNSH_6TensorESM_SM_EERKSM_lbbbEUlllE0_EEPmJS6_EEE10hipError_tPvRmT3_T4_T5_T6_T7_T9_mT8_P12ihipStream_tbDpT10_ENKUlT_T0_E_clISt17integral_constantIbLb0EES1B_IbLb1EEEEDaS17_S18_EUlS17_E_NS1_11comp_targetILNS1_3genE3ELNS1_11target_archE908ELNS1_3gpuE7ELNS1_3repE0EEENS1_30default_config_static_selectorELNS0_4arch9wavefront6targetE1EEEvT1_,comdat
	.globl	_ZN7rocprim17ROCPRIM_400000_NS6detail17trampoline_kernelINS0_14default_configENS1_25partition_config_selectorILNS1_17partition_subalgoE8ElNS0_10empty_typeEbEEZZNS1_14partition_implILS5_8ELb0ES3_jPlPS6_PKS6_NS0_5tupleIJS9_S6_EEENSD_IJSA_SA_EEENS0_18inequality_wrapperIZN2at6native12_GLOBAL__N_124unique_dim_cuda_templateImEESt5tupleIJNSH_6TensorESM_SM_EERKSM_lbbbEUlllE0_EEPmJS6_EEE10hipError_tPvRmT3_T4_T5_T6_T7_T9_mT8_P12ihipStream_tbDpT10_ENKUlT_T0_E_clISt17integral_constantIbLb0EES1B_IbLb1EEEEDaS17_S18_EUlS17_E_NS1_11comp_targetILNS1_3genE3ELNS1_11target_archE908ELNS1_3gpuE7ELNS1_3repE0EEENS1_30default_config_static_selectorELNS0_4arch9wavefront6targetE1EEEvT1_ ; -- Begin function _ZN7rocprim17ROCPRIM_400000_NS6detail17trampoline_kernelINS0_14default_configENS1_25partition_config_selectorILNS1_17partition_subalgoE8ElNS0_10empty_typeEbEEZZNS1_14partition_implILS5_8ELb0ES3_jPlPS6_PKS6_NS0_5tupleIJS9_S6_EEENSD_IJSA_SA_EEENS0_18inequality_wrapperIZN2at6native12_GLOBAL__N_124unique_dim_cuda_templateImEESt5tupleIJNSH_6TensorESM_SM_EERKSM_lbbbEUlllE0_EEPmJS6_EEE10hipError_tPvRmT3_T4_T5_T6_T7_T9_mT8_P12ihipStream_tbDpT10_ENKUlT_T0_E_clISt17integral_constantIbLb0EES1B_IbLb1EEEEDaS17_S18_EUlS17_E_NS1_11comp_targetILNS1_3genE3ELNS1_11target_archE908ELNS1_3gpuE7ELNS1_3repE0EEENS1_30default_config_static_selectorELNS0_4arch9wavefront6targetE1EEEvT1_
	.p2align	8
	.type	_ZN7rocprim17ROCPRIM_400000_NS6detail17trampoline_kernelINS0_14default_configENS1_25partition_config_selectorILNS1_17partition_subalgoE8ElNS0_10empty_typeEbEEZZNS1_14partition_implILS5_8ELb0ES3_jPlPS6_PKS6_NS0_5tupleIJS9_S6_EEENSD_IJSA_SA_EEENS0_18inequality_wrapperIZN2at6native12_GLOBAL__N_124unique_dim_cuda_templateImEESt5tupleIJNSH_6TensorESM_SM_EERKSM_lbbbEUlllE0_EEPmJS6_EEE10hipError_tPvRmT3_T4_T5_T6_T7_T9_mT8_P12ihipStream_tbDpT10_ENKUlT_T0_E_clISt17integral_constantIbLb0EES1B_IbLb1EEEEDaS17_S18_EUlS17_E_NS1_11comp_targetILNS1_3genE3ELNS1_11target_archE908ELNS1_3gpuE7ELNS1_3repE0EEENS1_30default_config_static_selectorELNS0_4arch9wavefront6targetE1EEEvT1_,@function
_ZN7rocprim17ROCPRIM_400000_NS6detail17trampoline_kernelINS0_14default_configENS1_25partition_config_selectorILNS1_17partition_subalgoE8ElNS0_10empty_typeEbEEZZNS1_14partition_implILS5_8ELb0ES3_jPlPS6_PKS6_NS0_5tupleIJS9_S6_EEENSD_IJSA_SA_EEENS0_18inequality_wrapperIZN2at6native12_GLOBAL__N_124unique_dim_cuda_templateImEESt5tupleIJNSH_6TensorESM_SM_EERKSM_lbbbEUlllE0_EEPmJS6_EEE10hipError_tPvRmT3_T4_T5_T6_T7_T9_mT8_P12ihipStream_tbDpT10_ENKUlT_T0_E_clISt17integral_constantIbLb0EES1B_IbLb1EEEEDaS17_S18_EUlS17_E_NS1_11comp_targetILNS1_3genE3ELNS1_11target_archE908ELNS1_3gpuE7ELNS1_3repE0EEENS1_30default_config_static_selectorELNS0_4arch9wavefront6targetE1EEEvT1_: ; @_ZN7rocprim17ROCPRIM_400000_NS6detail17trampoline_kernelINS0_14default_configENS1_25partition_config_selectorILNS1_17partition_subalgoE8ElNS0_10empty_typeEbEEZZNS1_14partition_implILS5_8ELb0ES3_jPlPS6_PKS6_NS0_5tupleIJS9_S6_EEENSD_IJSA_SA_EEENS0_18inequality_wrapperIZN2at6native12_GLOBAL__N_124unique_dim_cuda_templateImEESt5tupleIJNSH_6TensorESM_SM_EERKSM_lbbbEUlllE0_EEPmJS6_EEE10hipError_tPvRmT3_T4_T5_T6_T7_T9_mT8_P12ihipStream_tbDpT10_ENKUlT_T0_E_clISt17integral_constantIbLb0EES1B_IbLb1EEEEDaS17_S18_EUlS17_E_NS1_11comp_targetILNS1_3genE3ELNS1_11target_archE908ELNS1_3gpuE7ELNS1_3repE0EEENS1_30default_config_static_selectorELNS0_4arch9wavefront6targetE1EEEvT1_
; %bb.0:
	.section	.rodata,"a",@progbits
	.p2align	6, 0x0
	.amdhsa_kernel _ZN7rocprim17ROCPRIM_400000_NS6detail17trampoline_kernelINS0_14default_configENS1_25partition_config_selectorILNS1_17partition_subalgoE8ElNS0_10empty_typeEbEEZZNS1_14partition_implILS5_8ELb0ES3_jPlPS6_PKS6_NS0_5tupleIJS9_S6_EEENSD_IJSA_SA_EEENS0_18inequality_wrapperIZN2at6native12_GLOBAL__N_124unique_dim_cuda_templateImEESt5tupleIJNSH_6TensorESM_SM_EERKSM_lbbbEUlllE0_EEPmJS6_EEE10hipError_tPvRmT3_T4_T5_T6_T7_T9_mT8_P12ihipStream_tbDpT10_ENKUlT_T0_E_clISt17integral_constantIbLb0EES1B_IbLb1EEEEDaS17_S18_EUlS17_E_NS1_11comp_targetILNS1_3genE3ELNS1_11target_archE908ELNS1_3gpuE7ELNS1_3repE0EEENS1_30default_config_static_selectorELNS0_4arch9wavefront6targetE1EEEvT1_
		.amdhsa_group_segment_fixed_size 0
		.amdhsa_private_segment_fixed_size 0
		.amdhsa_kernarg_size 136
		.amdhsa_user_sgpr_count 2
		.amdhsa_user_sgpr_dispatch_ptr 0
		.amdhsa_user_sgpr_queue_ptr 0
		.amdhsa_user_sgpr_kernarg_segment_ptr 1
		.amdhsa_user_sgpr_dispatch_id 0
		.amdhsa_user_sgpr_kernarg_preload_length 0
		.amdhsa_user_sgpr_kernarg_preload_offset 0
		.amdhsa_user_sgpr_private_segment_size 0
		.amdhsa_uses_dynamic_stack 0
		.amdhsa_enable_private_segment 0
		.amdhsa_system_sgpr_workgroup_id_x 1
		.amdhsa_system_sgpr_workgroup_id_y 0
		.amdhsa_system_sgpr_workgroup_id_z 0
		.amdhsa_system_sgpr_workgroup_info 0
		.amdhsa_system_vgpr_workitem_id 0
		.amdhsa_next_free_vgpr 1
		.amdhsa_next_free_sgpr 0
		.amdhsa_accum_offset 4
		.amdhsa_reserve_vcc 0
		.amdhsa_float_round_mode_32 0
		.amdhsa_float_round_mode_16_64 0
		.amdhsa_float_denorm_mode_32 3
		.amdhsa_float_denorm_mode_16_64 3
		.amdhsa_dx10_clamp 1
		.amdhsa_ieee_mode 1
		.amdhsa_fp16_overflow 0
		.amdhsa_tg_split 0
		.amdhsa_exception_fp_ieee_invalid_op 0
		.amdhsa_exception_fp_denorm_src 0
		.amdhsa_exception_fp_ieee_div_zero 0
		.amdhsa_exception_fp_ieee_overflow 0
		.amdhsa_exception_fp_ieee_underflow 0
		.amdhsa_exception_fp_ieee_inexact 0
		.amdhsa_exception_int_div_zero 0
	.end_amdhsa_kernel
	.section	.text._ZN7rocprim17ROCPRIM_400000_NS6detail17trampoline_kernelINS0_14default_configENS1_25partition_config_selectorILNS1_17partition_subalgoE8ElNS0_10empty_typeEbEEZZNS1_14partition_implILS5_8ELb0ES3_jPlPS6_PKS6_NS0_5tupleIJS9_S6_EEENSD_IJSA_SA_EEENS0_18inequality_wrapperIZN2at6native12_GLOBAL__N_124unique_dim_cuda_templateImEESt5tupleIJNSH_6TensorESM_SM_EERKSM_lbbbEUlllE0_EEPmJS6_EEE10hipError_tPvRmT3_T4_T5_T6_T7_T9_mT8_P12ihipStream_tbDpT10_ENKUlT_T0_E_clISt17integral_constantIbLb0EES1B_IbLb1EEEEDaS17_S18_EUlS17_E_NS1_11comp_targetILNS1_3genE3ELNS1_11target_archE908ELNS1_3gpuE7ELNS1_3repE0EEENS1_30default_config_static_selectorELNS0_4arch9wavefront6targetE1EEEvT1_,"axG",@progbits,_ZN7rocprim17ROCPRIM_400000_NS6detail17trampoline_kernelINS0_14default_configENS1_25partition_config_selectorILNS1_17partition_subalgoE8ElNS0_10empty_typeEbEEZZNS1_14partition_implILS5_8ELb0ES3_jPlPS6_PKS6_NS0_5tupleIJS9_S6_EEENSD_IJSA_SA_EEENS0_18inequality_wrapperIZN2at6native12_GLOBAL__N_124unique_dim_cuda_templateImEESt5tupleIJNSH_6TensorESM_SM_EERKSM_lbbbEUlllE0_EEPmJS6_EEE10hipError_tPvRmT3_T4_T5_T6_T7_T9_mT8_P12ihipStream_tbDpT10_ENKUlT_T0_E_clISt17integral_constantIbLb0EES1B_IbLb1EEEEDaS17_S18_EUlS17_E_NS1_11comp_targetILNS1_3genE3ELNS1_11target_archE908ELNS1_3gpuE7ELNS1_3repE0EEENS1_30default_config_static_selectorELNS0_4arch9wavefront6targetE1EEEvT1_,comdat
.Lfunc_end1690:
	.size	_ZN7rocprim17ROCPRIM_400000_NS6detail17trampoline_kernelINS0_14default_configENS1_25partition_config_selectorILNS1_17partition_subalgoE8ElNS0_10empty_typeEbEEZZNS1_14partition_implILS5_8ELb0ES3_jPlPS6_PKS6_NS0_5tupleIJS9_S6_EEENSD_IJSA_SA_EEENS0_18inequality_wrapperIZN2at6native12_GLOBAL__N_124unique_dim_cuda_templateImEESt5tupleIJNSH_6TensorESM_SM_EERKSM_lbbbEUlllE0_EEPmJS6_EEE10hipError_tPvRmT3_T4_T5_T6_T7_T9_mT8_P12ihipStream_tbDpT10_ENKUlT_T0_E_clISt17integral_constantIbLb0EES1B_IbLb1EEEEDaS17_S18_EUlS17_E_NS1_11comp_targetILNS1_3genE3ELNS1_11target_archE908ELNS1_3gpuE7ELNS1_3repE0EEENS1_30default_config_static_selectorELNS0_4arch9wavefront6targetE1EEEvT1_, .Lfunc_end1690-_ZN7rocprim17ROCPRIM_400000_NS6detail17trampoline_kernelINS0_14default_configENS1_25partition_config_selectorILNS1_17partition_subalgoE8ElNS0_10empty_typeEbEEZZNS1_14partition_implILS5_8ELb0ES3_jPlPS6_PKS6_NS0_5tupleIJS9_S6_EEENSD_IJSA_SA_EEENS0_18inequality_wrapperIZN2at6native12_GLOBAL__N_124unique_dim_cuda_templateImEESt5tupleIJNSH_6TensorESM_SM_EERKSM_lbbbEUlllE0_EEPmJS6_EEE10hipError_tPvRmT3_T4_T5_T6_T7_T9_mT8_P12ihipStream_tbDpT10_ENKUlT_T0_E_clISt17integral_constantIbLb0EES1B_IbLb1EEEEDaS17_S18_EUlS17_E_NS1_11comp_targetILNS1_3genE3ELNS1_11target_archE908ELNS1_3gpuE7ELNS1_3repE0EEENS1_30default_config_static_selectorELNS0_4arch9wavefront6targetE1EEEvT1_
                                        ; -- End function
	.set _ZN7rocprim17ROCPRIM_400000_NS6detail17trampoline_kernelINS0_14default_configENS1_25partition_config_selectorILNS1_17partition_subalgoE8ElNS0_10empty_typeEbEEZZNS1_14partition_implILS5_8ELb0ES3_jPlPS6_PKS6_NS0_5tupleIJS9_S6_EEENSD_IJSA_SA_EEENS0_18inequality_wrapperIZN2at6native12_GLOBAL__N_124unique_dim_cuda_templateImEESt5tupleIJNSH_6TensorESM_SM_EERKSM_lbbbEUlllE0_EEPmJS6_EEE10hipError_tPvRmT3_T4_T5_T6_T7_T9_mT8_P12ihipStream_tbDpT10_ENKUlT_T0_E_clISt17integral_constantIbLb0EES1B_IbLb1EEEEDaS17_S18_EUlS17_E_NS1_11comp_targetILNS1_3genE3ELNS1_11target_archE908ELNS1_3gpuE7ELNS1_3repE0EEENS1_30default_config_static_selectorELNS0_4arch9wavefront6targetE1EEEvT1_.num_vgpr, 0
	.set _ZN7rocprim17ROCPRIM_400000_NS6detail17trampoline_kernelINS0_14default_configENS1_25partition_config_selectorILNS1_17partition_subalgoE8ElNS0_10empty_typeEbEEZZNS1_14partition_implILS5_8ELb0ES3_jPlPS6_PKS6_NS0_5tupleIJS9_S6_EEENSD_IJSA_SA_EEENS0_18inequality_wrapperIZN2at6native12_GLOBAL__N_124unique_dim_cuda_templateImEESt5tupleIJNSH_6TensorESM_SM_EERKSM_lbbbEUlllE0_EEPmJS6_EEE10hipError_tPvRmT3_T4_T5_T6_T7_T9_mT8_P12ihipStream_tbDpT10_ENKUlT_T0_E_clISt17integral_constantIbLb0EES1B_IbLb1EEEEDaS17_S18_EUlS17_E_NS1_11comp_targetILNS1_3genE3ELNS1_11target_archE908ELNS1_3gpuE7ELNS1_3repE0EEENS1_30default_config_static_selectorELNS0_4arch9wavefront6targetE1EEEvT1_.num_agpr, 0
	.set _ZN7rocprim17ROCPRIM_400000_NS6detail17trampoline_kernelINS0_14default_configENS1_25partition_config_selectorILNS1_17partition_subalgoE8ElNS0_10empty_typeEbEEZZNS1_14partition_implILS5_8ELb0ES3_jPlPS6_PKS6_NS0_5tupleIJS9_S6_EEENSD_IJSA_SA_EEENS0_18inequality_wrapperIZN2at6native12_GLOBAL__N_124unique_dim_cuda_templateImEESt5tupleIJNSH_6TensorESM_SM_EERKSM_lbbbEUlllE0_EEPmJS6_EEE10hipError_tPvRmT3_T4_T5_T6_T7_T9_mT8_P12ihipStream_tbDpT10_ENKUlT_T0_E_clISt17integral_constantIbLb0EES1B_IbLb1EEEEDaS17_S18_EUlS17_E_NS1_11comp_targetILNS1_3genE3ELNS1_11target_archE908ELNS1_3gpuE7ELNS1_3repE0EEENS1_30default_config_static_selectorELNS0_4arch9wavefront6targetE1EEEvT1_.numbered_sgpr, 0
	.set _ZN7rocprim17ROCPRIM_400000_NS6detail17trampoline_kernelINS0_14default_configENS1_25partition_config_selectorILNS1_17partition_subalgoE8ElNS0_10empty_typeEbEEZZNS1_14partition_implILS5_8ELb0ES3_jPlPS6_PKS6_NS0_5tupleIJS9_S6_EEENSD_IJSA_SA_EEENS0_18inequality_wrapperIZN2at6native12_GLOBAL__N_124unique_dim_cuda_templateImEESt5tupleIJNSH_6TensorESM_SM_EERKSM_lbbbEUlllE0_EEPmJS6_EEE10hipError_tPvRmT3_T4_T5_T6_T7_T9_mT8_P12ihipStream_tbDpT10_ENKUlT_T0_E_clISt17integral_constantIbLb0EES1B_IbLb1EEEEDaS17_S18_EUlS17_E_NS1_11comp_targetILNS1_3genE3ELNS1_11target_archE908ELNS1_3gpuE7ELNS1_3repE0EEENS1_30default_config_static_selectorELNS0_4arch9wavefront6targetE1EEEvT1_.num_named_barrier, 0
	.set _ZN7rocprim17ROCPRIM_400000_NS6detail17trampoline_kernelINS0_14default_configENS1_25partition_config_selectorILNS1_17partition_subalgoE8ElNS0_10empty_typeEbEEZZNS1_14partition_implILS5_8ELb0ES3_jPlPS6_PKS6_NS0_5tupleIJS9_S6_EEENSD_IJSA_SA_EEENS0_18inequality_wrapperIZN2at6native12_GLOBAL__N_124unique_dim_cuda_templateImEESt5tupleIJNSH_6TensorESM_SM_EERKSM_lbbbEUlllE0_EEPmJS6_EEE10hipError_tPvRmT3_T4_T5_T6_T7_T9_mT8_P12ihipStream_tbDpT10_ENKUlT_T0_E_clISt17integral_constantIbLb0EES1B_IbLb1EEEEDaS17_S18_EUlS17_E_NS1_11comp_targetILNS1_3genE3ELNS1_11target_archE908ELNS1_3gpuE7ELNS1_3repE0EEENS1_30default_config_static_selectorELNS0_4arch9wavefront6targetE1EEEvT1_.private_seg_size, 0
	.set _ZN7rocprim17ROCPRIM_400000_NS6detail17trampoline_kernelINS0_14default_configENS1_25partition_config_selectorILNS1_17partition_subalgoE8ElNS0_10empty_typeEbEEZZNS1_14partition_implILS5_8ELb0ES3_jPlPS6_PKS6_NS0_5tupleIJS9_S6_EEENSD_IJSA_SA_EEENS0_18inequality_wrapperIZN2at6native12_GLOBAL__N_124unique_dim_cuda_templateImEESt5tupleIJNSH_6TensorESM_SM_EERKSM_lbbbEUlllE0_EEPmJS6_EEE10hipError_tPvRmT3_T4_T5_T6_T7_T9_mT8_P12ihipStream_tbDpT10_ENKUlT_T0_E_clISt17integral_constantIbLb0EES1B_IbLb1EEEEDaS17_S18_EUlS17_E_NS1_11comp_targetILNS1_3genE3ELNS1_11target_archE908ELNS1_3gpuE7ELNS1_3repE0EEENS1_30default_config_static_selectorELNS0_4arch9wavefront6targetE1EEEvT1_.uses_vcc, 0
	.set _ZN7rocprim17ROCPRIM_400000_NS6detail17trampoline_kernelINS0_14default_configENS1_25partition_config_selectorILNS1_17partition_subalgoE8ElNS0_10empty_typeEbEEZZNS1_14partition_implILS5_8ELb0ES3_jPlPS6_PKS6_NS0_5tupleIJS9_S6_EEENSD_IJSA_SA_EEENS0_18inequality_wrapperIZN2at6native12_GLOBAL__N_124unique_dim_cuda_templateImEESt5tupleIJNSH_6TensorESM_SM_EERKSM_lbbbEUlllE0_EEPmJS6_EEE10hipError_tPvRmT3_T4_T5_T6_T7_T9_mT8_P12ihipStream_tbDpT10_ENKUlT_T0_E_clISt17integral_constantIbLb0EES1B_IbLb1EEEEDaS17_S18_EUlS17_E_NS1_11comp_targetILNS1_3genE3ELNS1_11target_archE908ELNS1_3gpuE7ELNS1_3repE0EEENS1_30default_config_static_selectorELNS0_4arch9wavefront6targetE1EEEvT1_.uses_flat_scratch, 0
	.set _ZN7rocprim17ROCPRIM_400000_NS6detail17trampoline_kernelINS0_14default_configENS1_25partition_config_selectorILNS1_17partition_subalgoE8ElNS0_10empty_typeEbEEZZNS1_14partition_implILS5_8ELb0ES3_jPlPS6_PKS6_NS0_5tupleIJS9_S6_EEENSD_IJSA_SA_EEENS0_18inequality_wrapperIZN2at6native12_GLOBAL__N_124unique_dim_cuda_templateImEESt5tupleIJNSH_6TensorESM_SM_EERKSM_lbbbEUlllE0_EEPmJS6_EEE10hipError_tPvRmT3_T4_T5_T6_T7_T9_mT8_P12ihipStream_tbDpT10_ENKUlT_T0_E_clISt17integral_constantIbLb0EES1B_IbLb1EEEEDaS17_S18_EUlS17_E_NS1_11comp_targetILNS1_3genE3ELNS1_11target_archE908ELNS1_3gpuE7ELNS1_3repE0EEENS1_30default_config_static_selectorELNS0_4arch9wavefront6targetE1EEEvT1_.has_dyn_sized_stack, 0
	.set _ZN7rocprim17ROCPRIM_400000_NS6detail17trampoline_kernelINS0_14default_configENS1_25partition_config_selectorILNS1_17partition_subalgoE8ElNS0_10empty_typeEbEEZZNS1_14partition_implILS5_8ELb0ES3_jPlPS6_PKS6_NS0_5tupleIJS9_S6_EEENSD_IJSA_SA_EEENS0_18inequality_wrapperIZN2at6native12_GLOBAL__N_124unique_dim_cuda_templateImEESt5tupleIJNSH_6TensorESM_SM_EERKSM_lbbbEUlllE0_EEPmJS6_EEE10hipError_tPvRmT3_T4_T5_T6_T7_T9_mT8_P12ihipStream_tbDpT10_ENKUlT_T0_E_clISt17integral_constantIbLb0EES1B_IbLb1EEEEDaS17_S18_EUlS17_E_NS1_11comp_targetILNS1_3genE3ELNS1_11target_archE908ELNS1_3gpuE7ELNS1_3repE0EEENS1_30default_config_static_selectorELNS0_4arch9wavefront6targetE1EEEvT1_.has_recursion, 0
	.set _ZN7rocprim17ROCPRIM_400000_NS6detail17trampoline_kernelINS0_14default_configENS1_25partition_config_selectorILNS1_17partition_subalgoE8ElNS0_10empty_typeEbEEZZNS1_14partition_implILS5_8ELb0ES3_jPlPS6_PKS6_NS0_5tupleIJS9_S6_EEENSD_IJSA_SA_EEENS0_18inequality_wrapperIZN2at6native12_GLOBAL__N_124unique_dim_cuda_templateImEESt5tupleIJNSH_6TensorESM_SM_EERKSM_lbbbEUlllE0_EEPmJS6_EEE10hipError_tPvRmT3_T4_T5_T6_T7_T9_mT8_P12ihipStream_tbDpT10_ENKUlT_T0_E_clISt17integral_constantIbLb0EES1B_IbLb1EEEEDaS17_S18_EUlS17_E_NS1_11comp_targetILNS1_3genE3ELNS1_11target_archE908ELNS1_3gpuE7ELNS1_3repE0EEENS1_30default_config_static_selectorELNS0_4arch9wavefront6targetE1EEEvT1_.has_indirect_call, 0
	.section	.AMDGPU.csdata,"",@progbits
; Kernel info:
; codeLenInByte = 0
; TotalNumSgprs: 6
; NumVgprs: 0
; NumAgprs: 0
; TotalNumVgprs: 0
; ScratchSize: 0
; MemoryBound: 0
; FloatMode: 240
; IeeeMode: 1
; LDSByteSize: 0 bytes/workgroup (compile time only)
; SGPRBlocks: 0
; VGPRBlocks: 0
; NumSGPRsForWavesPerEU: 6
; NumVGPRsForWavesPerEU: 1
; AccumOffset: 4
; Occupancy: 8
; WaveLimiterHint : 0
; COMPUTE_PGM_RSRC2:SCRATCH_EN: 0
; COMPUTE_PGM_RSRC2:USER_SGPR: 2
; COMPUTE_PGM_RSRC2:TRAP_HANDLER: 0
; COMPUTE_PGM_RSRC2:TGID_X_EN: 1
; COMPUTE_PGM_RSRC2:TGID_Y_EN: 0
; COMPUTE_PGM_RSRC2:TGID_Z_EN: 0
; COMPUTE_PGM_RSRC2:TIDIG_COMP_CNT: 0
; COMPUTE_PGM_RSRC3_GFX90A:ACCUM_OFFSET: 0
; COMPUTE_PGM_RSRC3_GFX90A:TG_SPLIT: 0
	.section	.text._ZN7rocprim17ROCPRIM_400000_NS6detail17trampoline_kernelINS0_14default_configENS1_25partition_config_selectorILNS1_17partition_subalgoE8ElNS0_10empty_typeEbEEZZNS1_14partition_implILS5_8ELb0ES3_jPlPS6_PKS6_NS0_5tupleIJS9_S6_EEENSD_IJSA_SA_EEENS0_18inequality_wrapperIZN2at6native12_GLOBAL__N_124unique_dim_cuda_templateImEESt5tupleIJNSH_6TensorESM_SM_EERKSM_lbbbEUlllE0_EEPmJS6_EEE10hipError_tPvRmT3_T4_T5_T6_T7_T9_mT8_P12ihipStream_tbDpT10_ENKUlT_T0_E_clISt17integral_constantIbLb0EES1B_IbLb1EEEEDaS17_S18_EUlS17_E_NS1_11comp_targetILNS1_3genE2ELNS1_11target_archE906ELNS1_3gpuE6ELNS1_3repE0EEENS1_30default_config_static_selectorELNS0_4arch9wavefront6targetE1EEEvT1_,"axG",@progbits,_ZN7rocprim17ROCPRIM_400000_NS6detail17trampoline_kernelINS0_14default_configENS1_25partition_config_selectorILNS1_17partition_subalgoE8ElNS0_10empty_typeEbEEZZNS1_14partition_implILS5_8ELb0ES3_jPlPS6_PKS6_NS0_5tupleIJS9_S6_EEENSD_IJSA_SA_EEENS0_18inequality_wrapperIZN2at6native12_GLOBAL__N_124unique_dim_cuda_templateImEESt5tupleIJNSH_6TensorESM_SM_EERKSM_lbbbEUlllE0_EEPmJS6_EEE10hipError_tPvRmT3_T4_T5_T6_T7_T9_mT8_P12ihipStream_tbDpT10_ENKUlT_T0_E_clISt17integral_constantIbLb0EES1B_IbLb1EEEEDaS17_S18_EUlS17_E_NS1_11comp_targetILNS1_3genE2ELNS1_11target_archE906ELNS1_3gpuE6ELNS1_3repE0EEENS1_30default_config_static_selectorELNS0_4arch9wavefront6targetE1EEEvT1_,comdat
	.globl	_ZN7rocprim17ROCPRIM_400000_NS6detail17trampoline_kernelINS0_14default_configENS1_25partition_config_selectorILNS1_17partition_subalgoE8ElNS0_10empty_typeEbEEZZNS1_14partition_implILS5_8ELb0ES3_jPlPS6_PKS6_NS0_5tupleIJS9_S6_EEENSD_IJSA_SA_EEENS0_18inequality_wrapperIZN2at6native12_GLOBAL__N_124unique_dim_cuda_templateImEESt5tupleIJNSH_6TensorESM_SM_EERKSM_lbbbEUlllE0_EEPmJS6_EEE10hipError_tPvRmT3_T4_T5_T6_T7_T9_mT8_P12ihipStream_tbDpT10_ENKUlT_T0_E_clISt17integral_constantIbLb0EES1B_IbLb1EEEEDaS17_S18_EUlS17_E_NS1_11comp_targetILNS1_3genE2ELNS1_11target_archE906ELNS1_3gpuE6ELNS1_3repE0EEENS1_30default_config_static_selectorELNS0_4arch9wavefront6targetE1EEEvT1_ ; -- Begin function _ZN7rocprim17ROCPRIM_400000_NS6detail17trampoline_kernelINS0_14default_configENS1_25partition_config_selectorILNS1_17partition_subalgoE8ElNS0_10empty_typeEbEEZZNS1_14partition_implILS5_8ELb0ES3_jPlPS6_PKS6_NS0_5tupleIJS9_S6_EEENSD_IJSA_SA_EEENS0_18inequality_wrapperIZN2at6native12_GLOBAL__N_124unique_dim_cuda_templateImEESt5tupleIJNSH_6TensorESM_SM_EERKSM_lbbbEUlllE0_EEPmJS6_EEE10hipError_tPvRmT3_T4_T5_T6_T7_T9_mT8_P12ihipStream_tbDpT10_ENKUlT_T0_E_clISt17integral_constantIbLb0EES1B_IbLb1EEEEDaS17_S18_EUlS17_E_NS1_11comp_targetILNS1_3genE2ELNS1_11target_archE906ELNS1_3gpuE6ELNS1_3repE0EEENS1_30default_config_static_selectorELNS0_4arch9wavefront6targetE1EEEvT1_
	.p2align	8
	.type	_ZN7rocprim17ROCPRIM_400000_NS6detail17trampoline_kernelINS0_14default_configENS1_25partition_config_selectorILNS1_17partition_subalgoE8ElNS0_10empty_typeEbEEZZNS1_14partition_implILS5_8ELb0ES3_jPlPS6_PKS6_NS0_5tupleIJS9_S6_EEENSD_IJSA_SA_EEENS0_18inequality_wrapperIZN2at6native12_GLOBAL__N_124unique_dim_cuda_templateImEESt5tupleIJNSH_6TensorESM_SM_EERKSM_lbbbEUlllE0_EEPmJS6_EEE10hipError_tPvRmT3_T4_T5_T6_T7_T9_mT8_P12ihipStream_tbDpT10_ENKUlT_T0_E_clISt17integral_constantIbLb0EES1B_IbLb1EEEEDaS17_S18_EUlS17_E_NS1_11comp_targetILNS1_3genE2ELNS1_11target_archE906ELNS1_3gpuE6ELNS1_3repE0EEENS1_30default_config_static_selectorELNS0_4arch9wavefront6targetE1EEEvT1_,@function
_ZN7rocprim17ROCPRIM_400000_NS6detail17trampoline_kernelINS0_14default_configENS1_25partition_config_selectorILNS1_17partition_subalgoE8ElNS0_10empty_typeEbEEZZNS1_14partition_implILS5_8ELb0ES3_jPlPS6_PKS6_NS0_5tupleIJS9_S6_EEENSD_IJSA_SA_EEENS0_18inequality_wrapperIZN2at6native12_GLOBAL__N_124unique_dim_cuda_templateImEESt5tupleIJNSH_6TensorESM_SM_EERKSM_lbbbEUlllE0_EEPmJS6_EEE10hipError_tPvRmT3_T4_T5_T6_T7_T9_mT8_P12ihipStream_tbDpT10_ENKUlT_T0_E_clISt17integral_constantIbLb0EES1B_IbLb1EEEEDaS17_S18_EUlS17_E_NS1_11comp_targetILNS1_3genE2ELNS1_11target_archE906ELNS1_3gpuE6ELNS1_3repE0EEENS1_30default_config_static_selectorELNS0_4arch9wavefront6targetE1EEEvT1_: ; @_ZN7rocprim17ROCPRIM_400000_NS6detail17trampoline_kernelINS0_14default_configENS1_25partition_config_selectorILNS1_17partition_subalgoE8ElNS0_10empty_typeEbEEZZNS1_14partition_implILS5_8ELb0ES3_jPlPS6_PKS6_NS0_5tupleIJS9_S6_EEENSD_IJSA_SA_EEENS0_18inequality_wrapperIZN2at6native12_GLOBAL__N_124unique_dim_cuda_templateImEESt5tupleIJNSH_6TensorESM_SM_EERKSM_lbbbEUlllE0_EEPmJS6_EEE10hipError_tPvRmT3_T4_T5_T6_T7_T9_mT8_P12ihipStream_tbDpT10_ENKUlT_T0_E_clISt17integral_constantIbLb0EES1B_IbLb1EEEEDaS17_S18_EUlS17_E_NS1_11comp_targetILNS1_3genE2ELNS1_11target_archE906ELNS1_3gpuE6ELNS1_3repE0EEENS1_30default_config_static_selectorELNS0_4arch9wavefront6targetE1EEEvT1_
; %bb.0:
	.section	.rodata,"a",@progbits
	.p2align	6, 0x0
	.amdhsa_kernel _ZN7rocprim17ROCPRIM_400000_NS6detail17trampoline_kernelINS0_14default_configENS1_25partition_config_selectorILNS1_17partition_subalgoE8ElNS0_10empty_typeEbEEZZNS1_14partition_implILS5_8ELb0ES3_jPlPS6_PKS6_NS0_5tupleIJS9_S6_EEENSD_IJSA_SA_EEENS0_18inequality_wrapperIZN2at6native12_GLOBAL__N_124unique_dim_cuda_templateImEESt5tupleIJNSH_6TensorESM_SM_EERKSM_lbbbEUlllE0_EEPmJS6_EEE10hipError_tPvRmT3_T4_T5_T6_T7_T9_mT8_P12ihipStream_tbDpT10_ENKUlT_T0_E_clISt17integral_constantIbLb0EES1B_IbLb1EEEEDaS17_S18_EUlS17_E_NS1_11comp_targetILNS1_3genE2ELNS1_11target_archE906ELNS1_3gpuE6ELNS1_3repE0EEENS1_30default_config_static_selectorELNS0_4arch9wavefront6targetE1EEEvT1_
		.amdhsa_group_segment_fixed_size 0
		.amdhsa_private_segment_fixed_size 0
		.amdhsa_kernarg_size 136
		.amdhsa_user_sgpr_count 2
		.amdhsa_user_sgpr_dispatch_ptr 0
		.amdhsa_user_sgpr_queue_ptr 0
		.amdhsa_user_sgpr_kernarg_segment_ptr 1
		.amdhsa_user_sgpr_dispatch_id 0
		.amdhsa_user_sgpr_kernarg_preload_length 0
		.amdhsa_user_sgpr_kernarg_preload_offset 0
		.amdhsa_user_sgpr_private_segment_size 0
		.amdhsa_uses_dynamic_stack 0
		.amdhsa_enable_private_segment 0
		.amdhsa_system_sgpr_workgroup_id_x 1
		.amdhsa_system_sgpr_workgroup_id_y 0
		.amdhsa_system_sgpr_workgroup_id_z 0
		.amdhsa_system_sgpr_workgroup_info 0
		.amdhsa_system_vgpr_workitem_id 0
		.amdhsa_next_free_vgpr 1
		.amdhsa_next_free_sgpr 0
		.amdhsa_accum_offset 4
		.amdhsa_reserve_vcc 0
		.amdhsa_float_round_mode_32 0
		.amdhsa_float_round_mode_16_64 0
		.amdhsa_float_denorm_mode_32 3
		.amdhsa_float_denorm_mode_16_64 3
		.amdhsa_dx10_clamp 1
		.amdhsa_ieee_mode 1
		.amdhsa_fp16_overflow 0
		.amdhsa_tg_split 0
		.amdhsa_exception_fp_ieee_invalid_op 0
		.amdhsa_exception_fp_denorm_src 0
		.amdhsa_exception_fp_ieee_div_zero 0
		.amdhsa_exception_fp_ieee_overflow 0
		.amdhsa_exception_fp_ieee_underflow 0
		.amdhsa_exception_fp_ieee_inexact 0
		.amdhsa_exception_int_div_zero 0
	.end_amdhsa_kernel
	.section	.text._ZN7rocprim17ROCPRIM_400000_NS6detail17trampoline_kernelINS0_14default_configENS1_25partition_config_selectorILNS1_17partition_subalgoE8ElNS0_10empty_typeEbEEZZNS1_14partition_implILS5_8ELb0ES3_jPlPS6_PKS6_NS0_5tupleIJS9_S6_EEENSD_IJSA_SA_EEENS0_18inequality_wrapperIZN2at6native12_GLOBAL__N_124unique_dim_cuda_templateImEESt5tupleIJNSH_6TensorESM_SM_EERKSM_lbbbEUlllE0_EEPmJS6_EEE10hipError_tPvRmT3_T4_T5_T6_T7_T9_mT8_P12ihipStream_tbDpT10_ENKUlT_T0_E_clISt17integral_constantIbLb0EES1B_IbLb1EEEEDaS17_S18_EUlS17_E_NS1_11comp_targetILNS1_3genE2ELNS1_11target_archE906ELNS1_3gpuE6ELNS1_3repE0EEENS1_30default_config_static_selectorELNS0_4arch9wavefront6targetE1EEEvT1_,"axG",@progbits,_ZN7rocprim17ROCPRIM_400000_NS6detail17trampoline_kernelINS0_14default_configENS1_25partition_config_selectorILNS1_17partition_subalgoE8ElNS0_10empty_typeEbEEZZNS1_14partition_implILS5_8ELb0ES3_jPlPS6_PKS6_NS0_5tupleIJS9_S6_EEENSD_IJSA_SA_EEENS0_18inequality_wrapperIZN2at6native12_GLOBAL__N_124unique_dim_cuda_templateImEESt5tupleIJNSH_6TensorESM_SM_EERKSM_lbbbEUlllE0_EEPmJS6_EEE10hipError_tPvRmT3_T4_T5_T6_T7_T9_mT8_P12ihipStream_tbDpT10_ENKUlT_T0_E_clISt17integral_constantIbLb0EES1B_IbLb1EEEEDaS17_S18_EUlS17_E_NS1_11comp_targetILNS1_3genE2ELNS1_11target_archE906ELNS1_3gpuE6ELNS1_3repE0EEENS1_30default_config_static_selectorELNS0_4arch9wavefront6targetE1EEEvT1_,comdat
.Lfunc_end1691:
	.size	_ZN7rocprim17ROCPRIM_400000_NS6detail17trampoline_kernelINS0_14default_configENS1_25partition_config_selectorILNS1_17partition_subalgoE8ElNS0_10empty_typeEbEEZZNS1_14partition_implILS5_8ELb0ES3_jPlPS6_PKS6_NS0_5tupleIJS9_S6_EEENSD_IJSA_SA_EEENS0_18inequality_wrapperIZN2at6native12_GLOBAL__N_124unique_dim_cuda_templateImEESt5tupleIJNSH_6TensorESM_SM_EERKSM_lbbbEUlllE0_EEPmJS6_EEE10hipError_tPvRmT3_T4_T5_T6_T7_T9_mT8_P12ihipStream_tbDpT10_ENKUlT_T0_E_clISt17integral_constantIbLb0EES1B_IbLb1EEEEDaS17_S18_EUlS17_E_NS1_11comp_targetILNS1_3genE2ELNS1_11target_archE906ELNS1_3gpuE6ELNS1_3repE0EEENS1_30default_config_static_selectorELNS0_4arch9wavefront6targetE1EEEvT1_, .Lfunc_end1691-_ZN7rocprim17ROCPRIM_400000_NS6detail17trampoline_kernelINS0_14default_configENS1_25partition_config_selectorILNS1_17partition_subalgoE8ElNS0_10empty_typeEbEEZZNS1_14partition_implILS5_8ELb0ES3_jPlPS6_PKS6_NS0_5tupleIJS9_S6_EEENSD_IJSA_SA_EEENS0_18inequality_wrapperIZN2at6native12_GLOBAL__N_124unique_dim_cuda_templateImEESt5tupleIJNSH_6TensorESM_SM_EERKSM_lbbbEUlllE0_EEPmJS6_EEE10hipError_tPvRmT3_T4_T5_T6_T7_T9_mT8_P12ihipStream_tbDpT10_ENKUlT_T0_E_clISt17integral_constantIbLb0EES1B_IbLb1EEEEDaS17_S18_EUlS17_E_NS1_11comp_targetILNS1_3genE2ELNS1_11target_archE906ELNS1_3gpuE6ELNS1_3repE0EEENS1_30default_config_static_selectorELNS0_4arch9wavefront6targetE1EEEvT1_
                                        ; -- End function
	.set _ZN7rocprim17ROCPRIM_400000_NS6detail17trampoline_kernelINS0_14default_configENS1_25partition_config_selectorILNS1_17partition_subalgoE8ElNS0_10empty_typeEbEEZZNS1_14partition_implILS5_8ELb0ES3_jPlPS6_PKS6_NS0_5tupleIJS9_S6_EEENSD_IJSA_SA_EEENS0_18inequality_wrapperIZN2at6native12_GLOBAL__N_124unique_dim_cuda_templateImEESt5tupleIJNSH_6TensorESM_SM_EERKSM_lbbbEUlllE0_EEPmJS6_EEE10hipError_tPvRmT3_T4_T5_T6_T7_T9_mT8_P12ihipStream_tbDpT10_ENKUlT_T0_E_clISt17integral_constantIbLb0EES1B_IbLb1EEEEDaS17_S18_EUlS17_E_NS1_11comp_targetILNS1_3genE2ELNS1_11target_archE906ELNS1_3gpuE6ELNS1_3repE0EEENS1_30default_config_static_selectorELNS0_4arch9wavefront6targetE1EEEvT1_.num_vgpr, 0
	.set _ZN7rocprim17ROCPRIM_400000_NS6detail17trampoline_kernelINS0_14default_configENS1_25partition_config_selectorILNS1_17partition_subalgoE8ElNS0_10empty_typeEbEEZZNS1_14partition_implILS5_8ELb0ES3_jPlPS6_PKS6_NS0_5tupleIJS9_S6_EEENSD_IJSA_SA_EEENS0_18inequality_wrapperIZN2at6native12_GLOBAL__N_124unique_dim_cuda_templateImEESt5tupleIJNSH_6TensorESM_SM_EERKSM_lbbbEUlllE0_EEPmJS6_EEE10hipError_tPvRmT3_T4_T5_T6_T7_T9_mT8_P12ihipStream_tbDpT10_ENKUlT_T0_E_clISt17integral_constantIbLb0EES1B_IbLb1EEEEDaS17_S18_EUlS17_E_NS1_11comp_targetILNS1_3genE2ELNS1_11target_archE906ELNS1_3gpuE6ELNS1_3repE0EEENS1_30default_config_static_selectorELNS0_4arch9wavefront6targetE1EEEvT1_.num_agpr, 0
	.set _ZN7rocprim17ROCPRIM_400000_NS6detail17trampoline_kernelINS0_14default_configENS1_25partition_config_selectorILNS1_17partition_subalgoE8ElNS0_10empty_typeEbEEZZNS1_14partition_implILS5_8ELb0ES3_jPlPS6_PKS6_NS0_5tupleIJS9_S6_EEENSD_IJSA_SA_EEENS0_18inequality_wrapperIZN2at6native12_GLOBAL__N_124unique_dim_cuda_templateImEESt5tupleIJNSH_6TensorESM_SM_EERKSM_lbbbEUlllE0_EEPmJS6_EEE10hipError_tPvRmT3_T4_T5_T6_T7_T9_mT8_P12ihipStream_tbDpT10_ENKUlT_T0_E_clISt17integral_constantIbLb0EES1B_IbLb1EEEEDaS17_S18_EUlS17_E_NS1_11comp_targetILNS1_3genE2ELNS1_11target_archE906ELNS1_3gpuE6ELNS1_3repE0EEENS1_30default_config_static_selectorELNS0_4arch9wavefront6targetE1EEEvT1_.numbered_sgpr, 0
	.set _ZN7rocprim17ROCPRIM_400000_NS6detail17trampoline_kernelINS0_14default_configENS1_25partition_config_selectorILNS1_17partition_subalgoE8ElNS0_10empty_typeEbEEZZNS1_14partition_implILS5_8ELb0ES3_jPlPS6_PKS6_NS0_5tupleIJS9_S6_EEENSD_IJSA_SA_EEENS0_18inequality_wrapperIZN2at6native12_GLOBAL__N_124unique_dim_cuda_templateImEESt5tupleIJNSH_6TensorESM_SM_EERKSM_lbbbEUlllE0_EEPmJS6_EEE10hipError_tPvRmT3_T4_T5_T6_T7_T9_mT8_P12ihipStream_tbDpT10_ENKUlT_T0_E_clISt17integral_constantIbLb0EES1B_IbLb1EEEEDaS17_S18_EUlS17_E_NS1_11comp_targetILNS1_3genE2ELNS1_11target_archE906ELNS1_3gpuE6ELNS1_3repE0EEENS1_30default_config_static_selectorELNS0_4arch9wavefront6targetE1EEEvT1_.num_named_barrier, 0
	.set _ZN7rocprim17ROCPRIM_400000_NS6detail17trampoline_kernelINS0_14default_configENS1_25partition_config_selectorILNS1_17partition_subalgoE8ElNS0_10empty_typeEbEEZZNS1_14partition_implILS5_8ELb0ES3_jPlPS6_PKS6_NS0_5tupleIJS9_S6_EEENSD_IJSA_SA_EEENS0_18inequality_wrapperIZN2at6native12_GLOBAL__N_124unique_dim_cuda_templateImEESt5tupleIJNSH_6TensorESM_SM_EERKSM_lbbbEUlllE0_EEPmJS6_EEE10hipError_tPvRmT3_T4_T5_T6_T7_T9_mT8_P12ihipStream_tbDpT10_ENKUlT_T0_E_clISt17integral_constantIbLb0EES1B_IbLb1EEEEDaS17_S18_EUlS17_E_NS1_11comp_targetILNS1_3genE2ELNS1_11target_archE906ELNS1_3gpuE6ELNS1_3repE0EEENS1_30default_config_static_selectorELNS0_4arch9wavefront6targetE1EEEvT1_.private_seg_size, 0
	.set _ZN7rocprim17ROCPRIM_400000_NS6detail17trampoline_kernelINS0_14default_configENS1_25partition_config_selectorILNS1_17partition_subalgoE8ElNS0_10empty_typeEbEEZZNS1_14partition_implILS5_8ELb0ES3_jPlPS6_PKS6_NS0_5tupleIJS9_S6_EEENSD_IJSA_SA_EEENS0_18inequality_wrapperIZN2at6native12_GLOBAL__N_124unique_dim_cuda_templateImEESt5tupleIJNSH_6TensorESM_SM_EERKSM_lbbbEUlllE0_EEPmJS6_EEE10hipError_tPvRmT3_T4_T5_T6_T7_T9_mT8_P12ihipStream_tbDpT10_ENKUlT_T0_E_clISt17integral_constantIbLb0EES1B_IbLb1EEEEDaS17_S18_EUlS17_E_NS1_11comp_targetILNS1_3genE2ELNS1_11target_archE906ELNS1_3gpuE6ELNS1_3repE0EEENS1_30default_config_static_selectorELNS0_4arch9wavefront6targetE1EEEvT1_.uses_vcc, 0
	.set _ZN7rocprim17ROCPRIM_400000_NS6detail17trampoline_kernelINS0_14default_configENS1_25partition_config_selectorILNS1_17partition_subalgoE8ElNS0_10empty_typeEbEEZZNS1_14partition_implILS5_8ELb0ES3_jPlPS6_PKS6_NS0_5tupleIJS9_S6_EEENSD_IJSA_SA_EEENS0_18inequality_wrapperIZN2at6native12_GLOBAL__N_124unique_dim_cuda_templateImEESt5tupleIJNSH_6TensorESM_SM_EERKSM_lbbbEUlllE0_EEPmJS6_EEE10hipError_tPvRmT3_T4_T5_T6_T7_T9_mT8_P12ihipStream_tbDpT10_ENKUlT_T0_E_clISt17integral_constantIbLb0EES1B_IbLb1EEEEDaS17_S18_EUlS17_E_NS1_11comp_targetILNS1_3genE2ELNS1_11target_archE906ELNS1_3gpuE6ELNS1_3repE0EEENS1_30default_config_static_selectorELNS0_4arch9wavefront6targetE1EEEvT1_.uses_flat_scratch, 0
	.set _ZN7rocprim17ROCPRIM_400000_NS6detail17trampoline_kernelINS0_14default_configENS1_25partition_config_selectorILNS1_17partition_subalgoE8ElNS0_10empty_typeEbEEZZNS1_14partition_implILS5_8ELb0ES3_jPlPS6_PKS6_NS0_5tupleIJS9_S6_EEENSD_IJSA_SA_EEENS0_18inequality_wrapperIZN2at6native12_GLOBAL__N_124unique_dim_cuda_templateImEESt5tupleIJNSH_6TensorESM_SM_EERKSM_lbbbEUlllE0_EEPmJS6_EEE10hipError_tPvRmT3_T4_T5_T6_T7_T9_mT8_P12ihipStream_tbDpT10_ENKUlT_T0_E_clISt17integral_constantIbLb0EES1B_IbLb1EEEEDaS17_S18_EUlS17_E_NS1_11comp_targetILNS1_3genE2ELNS1_11target_archE906ELNS1_3gpuE6ELNS1_3repE0EEENS1_30default_config_static_selectorELNS0_4arch9wavefront6targetE1EEEvT1_.has_dyn_sized_stack, 0
	.set _ZN7rocprim17ROCPRIM_400000_NS6detail17trampoline_kernelINS0_14default_configENS1_25partition_config_selectorILNS1_17partition_subalgoE8ElNS0_10empty_typeEbEEZZNS1_14partition_implILS5_8ELb0ES3_jPlPS6_PKS6_NS0_5tupleIJS9_S6_EEENSD_IJSA_SA_EEENS0_18inequality_wrapperIZN2at6native12_GLOBAL__N_124unique_dim_cuda_templateImEESt5tupleIJNSH_6TensorESM_SM_EERKSM_lbbbEUlllE0_EEPmJS6_EEE10hipError_tPvRmT3_T4_T5_T6_T7_T9_mT8_P12ihipStream_tbDpT10_ENKUlT_T0_E_clISt17integral_constantIbLb0EES1B_IbLb1EEEEDaS17_S18_EUlS17_E_NS1_11comp_targetILNS1_3genE2ELNS1_11target_archE906ELNS1_3gpuE6ELNS1_3repE0EEENS1_30default_config_static_selectorELNS0_4arch9wavefront6targetE1EEEvT1_.has_recursion, 0
	.set _ZN7rocprim17ROCPRIM_400000_NS6detail17trampoline_kernelINS0_14default_configENS1_25partition_config_selectorILNS1_17partition_subalgoE8ElNS0_10empty_typeEbEEZZNS1_14partition_implILS5_8ELb0ES3_jPlPS6_PKS6_NS0_5tupleIJS9_S6_EEENSD_IJSA_SA_EEENS0_18inequality_wrapperIZN2at6native12_GLOBAL__N_124unique_dim_cuda_templateImEESt5tupleIJNSH_6TensorESM_SM_EERKSM_lbbbEUlllE0_EEPmJS6_EEE10hipError_tPvRmT3_T4_T5_T6_T7_T9_mT8_P12ihipStream_tbDpT10_ENKUlT_T0_E_clISt17integral_constantIbLb0EES1B_IbLb1EEEEDaS17_S18_EUlS17_E_NS1_11comp_targetILNS1_3genE2ELNS1_11target_archE906ELNS1_3gpuE6ELNS1_3repE0EEENS1_30default_config_static_selectorELNS0_4arch9wavefront6targetE1EEEvT1_.has_indirect_call, 0
	.section	.AMDGPU.csdata,"",@progbits
; Kernel info:
; codeLenInByte = 0
; TotalNumSgprs: 6
; NumVgprs: 0
; NumAgprs: 0
; TotalNumVgprs: 0
; ScratchSize: 0
; MemoryBound: 0
; FloatMode: 240
; IeeeMode: 1
; LDSByteSize: 0 bytes/workgroup (compile time only)
; SGPRBlocks: 0
; VGPRBlocks: 0
; NumSGPRsForWavesPerEU: 6
; NumVGPRsForWavesPerEU: 1
; AccumOffset: 4
; Occupancy: 8
; WaveLimiterHint : 0
; COMPUTE_PGM_RSRC2:SCRATCH_EN: 0
; COMPUTE_PGM_RSRC2:USER_SGPR: 2
; COMPUTE_PGM_RSRC2:TRAP_HANDLER: 0
; COMPUTE_PGM_RSRC2:TGID_X_EN: 1
; COMPUTE_PGM_RSRC2:TGID_Y_EN: 0
; COMPUTE_PGM_RSRC2:TGID_Z_EN: 0
; COMPUTE_PGM_RSRC2:TIDIG_COMP_CNT: 0
; COMPUTE_PGM_RSRC3_GFX90A:ACCUM_OFFSET: 0
; COMPUTE_PGM_RSRC3_GFX90A:TG_SPLIT: 0
	.section	.text._ZN7rocprim17ROCPRIM_400000_NS6detail17trampoline_kernelINS0_14default_configENS1_25partition_config_selectorILNS1_17partition_subalgoE8ElNS0_10empty_typeEbEEZZNS1_14partition_implILS5_8ELb0ES3_jPlPS6_PKS6_NS0_5tupleIJS9_S6_EEENSD_IJSA_SA_EEENS0_18inequality_wrapperIZN2at6native12_GLOBAL__N_124unique_dim_cuda_templateImEESt5tupleIJNSH_6TensorESM_SM_EERKSM_lbbbEUlllE0_EEPmJS6_EEE10hipError_tPvRmT3_T4_T5_T6_T7_T9_mT8_P12ihipStream_tbDpT10_ENKUlT_T0_E_clISt17integral_constantIbLb0EES1B_IbLb1EEEEDaS17_S18_EUlS17_E_NS1_11comp_targetILNS1_3genE10ELNS1_11target_archE1200ELNS1_3gpuE4ELNS1_3repE0EEENS1_30default_config_static_selectorELNS0_4arch9wavefront6targetE1EEEvT1_,"axG",@progbits,_ZN7rocprim17ROCPRIM_400000_NS6detail17trampoline_kernelINS0_14default_configENS1_25partition_config_selectorILNS1_17partition_subalgoE8ElNS0_10empty_typeEbEEZZNS1_14partition_implILS5_8ELb0ES3_jPlPS6_PKS6_NS0_5tupleIJS9_S6_EEENSD_IJSA_SA_EEENS0_18inequality_wrapperIZN2at6native12_GLOBAL__N_124unique_dim_cuda_templateImEESt5tupleIJNSH_6TensorESM_SM_EERKSM_lbbbEUlllE0_EEPmJS6_EEE10hipError_tPvRmT3_T4_T5_T6_T7_T9_mT8_P12ihipStream_tbDpT10_ENKUlT_T0_E_clISt17integral_constantIbLb0EES1B_IbLb1EEEEDaS17_S18_EUlS17_E_NS1_11comp_targetILNS1_3genE10ELNS1_11target_archE1200ELNS1_3gpuE4ELNS1_3repE0EEENS1_30default_config_static_selectorELNS0_4arch9wavefront6targetE1EEEvT1_,comdat
	.globl	_ZN7rocprim17ROCPRIM_400000_NS6detail17trampoline_kernelINS0_14default_configENS1_25partition_config_selectorILNS1_17partition_subalgoE8ElNS0_10empty_typeEbEEZZNS1_14partition_implILS5_8ELb0ES3_jPlPS6_PKS6_NS0_5tupleIJS9_S6_EEENSD_IJSA_SA_EEENS0_18inequality_wrapperIZN2at6native12_GLOBAL__N_124unique_dim_cuda_templateImEESt5tupleIJNSH_6TensorESM_SM_EERKSM_lbbbEUlllE0_EEPmJS6_EEE10hipError_tPvRmT3_T4_T5_T6_T7_T9_mT8_P12ihipStream_tbDpT10_ENKUlT_T0_E_clISt17integral_constantIbLb0EES1B_IbLb1EEEEDaS17_S18_EUlS17_E_NS1_11comp_targetILNS1_3genE10ELNS1_11target_archE1200ELNS1_3gpuE4ELNS1_3repE0EEENS1_30default_config_static_selectorELNS0_4arch9wavefront6targetE1EEEvT1_ ; -- Begin function _ZN7rocprim17ROCPRIM_400000_NS6detail17trampoline_kernelINS0_14default_configENS1_25partition_config_selectorILNS1_17partition_subalgoE8ElNS0_10empty_typeEbEEZZNS1_14partition_implILS5_8ELb0ES3_jPlPS6_PKS6_NS0_5tupleIJS9_S6_EEENSD_IJSA_SA_EEENS0_18inequality_wrapperIZN2at6native12_GLOBAL__N_124unique_dim_cuda_templateImEESt5tupleIJNSH_6TensorESM_SM_EERKSM_lbbbEUlllE0_EEPmJS6_EEE10hipError_tPvRmT3_T4_T5_T6_T7_T9_mT8_P12ihipStream_tbDpT10_ENKUlT_T0_E_clISt17integral_constantIbLb0EES1B_IbLb1EEEEDaS17_S18_EUlS17_E_NS1_11comp_targetILNS1_3genE10ELNS1_11target_archE1200ELNS1_3gpuE4ELNS1_3repE0EEENS1_30default_config_static_selectorELNS0_4arch9wavefront6targetE1EEEvT1_
	.p2align	8
	.type	_ZN7rocprim17ROCPRIM_400000_NS6detail17trampoline_kernelINS0_14default_configENS1_25partition_config_selectorILNS1_17partition_subalgoE8ElNS0_10empty_typeEbEEZZNS1_14partition_implILS5_8ELb0ES3_jPlPS6_PKS6_NS0_5tupleIJS9_S6_EEENSD_IJSA_SA_EEENS0_18inequality_wrapperIZN2at6native12_GLOBAL__N_124unique_dim_cuda_templateImEESt5tupleIJNSH_6TensorESM_SM_EERKSM_lbbbEUlllE0_EEPmJS6_EEE10hipError_tPvRmT3_T4_T5_T6_T7_T9_mT8_P12ihipStream_tbDpT10_ENKUlT_T0_E_clISt17integral_constantIbLb0EES1B_IbLb1EEEEDaS17_S18_EUlS17_E_NS1_11comp_targetILNS1_3genE10ELNS1_11target_archE1200ELNS1_3gpuE4ELNS1_3repE0EEENS1_30default_config_static_selectorELNS0_4arch9wavefront6targetE1EEEvT1_,@function
_ZN7rocprim17ROCPRIM_400000_NS6detail17trampoline_kernelINS0_14default_configENS1_25partition_config_selectorILNS1_17partition_subalgoE8ElNS0_10empty_typeEbEEZZNS1_14partition_implILS5_8ELb0ES3_jPlPS6_PKS6_NS0_5tupleIJS9_S6_EEENSD_IJSA_SA_EEENS0_18inequality_wrapperIZN2at6native12_GLOBAL__N_124unique_dim_cuda_templateImEESt5tupleIJNSH_6TensorESM_SM_EERKSM_lbbbEUlllE0_EEPmJS6_EEE10hipError_tPvRmT3_T4_T5_T6_T7_T9_mT8_P12ihipStream_tbDpT10_ENKUlT_T0_E_clISt17integral_constantIbLb0EES1B_IbLb1EEEEDaS17_S18_EUlS17_E_NS1_11comp_targetILNS1_3genE10ELNS1_11target_archE1200ELNS1_3gpuE4ELNS1_3repE0EEENS1_30default_config_static_selectorELNS0_4arch9wavefront6targetE1EEEvT1_: ; @_ZN7rocprim17ROCPRIM_400000_NS6detail17trampoline_kernelINS0_14default_configENS1_25partition_config_selectorILNS1_17partition_subalgoE8ElNS0_10empty_typeEbEEZZNS1_14partition_implILS5_8ELb0ES3_jPlPS6_PKS6_NS0_5tupleIJS9_S6_EEENSD_IJSA_SA_EEENS0_18inequality_wrapperIZN2at6native12_GLOBAL__N_124unique_dim_cuda_templateImEESt5tupleIJNSH_6TensorESM_SM_EERKSM_lbbbEUlllE0_EEPmJS6_EEE10hipError_tPvRmT3_T4_T5_T6_T7_T9_mT8_P12ihipStream_tbDpT10_ENKUlT_T0_E_clISt17integral_constantIbLb0EES1B_IbLb1EEEEDaS17_S18_EUlS17_E_NS1_11comp_targetILNS1_3genE10ELNS1_11target_archE1200ELNS1_3gpuE4ELNS1_3repE0EEENS1_30default_config_static_selectorELNS0_4arch9wavefront6targetE1EEEvT1_
; %bb.0:
	.section	.rodata,"a",@progbits
	.p2align	6, 0x0
	.amdhsa_kernel _ZN7rocprim17ROCPRIM_400000_NS6detail17trampoline_kernelINS0_14default_configENS1_25partition_config_selectorILNS1_17partition_subalgoE8ElNS0_10empty_typeEbEEZZNS1_14partition_implILS5_8ELb0ES3_jPlPS6_PKS6_NS0_5tupleIJS9_S6_EEENSD_IJSA_SA_EEENS0_18inequality_wrapperIZN2at6native12_GLOBAL__N_124unique_dim_cuda_templateImEESt5tupleIJNSH_6TensorESM_SM_EERKSM_lbbbEUlllE0_EEPmJS6_EEE10hipError_tPvRmT3_T4_T5_T6_T7_T9_mT8_P12ihipStream_tbDpT10_ENKUlT_T0_E_clISt17integral_constantIbLb0EES1B_IbLb1EEEEDaS17_S18_EUlS17_E_NS1_11comp_targetILNS1_3genE10ELNS1_11target_archE1200ELNS1_3gpuE4ELNS1_3repE0EEENS1_30default_config_static_selectorELNS0_4arch9wavefront6targetE1EEEvT1_
		.amdhsa_group_segment_fixed_size 0
		.amdhsa_private_segment_fixed_size 0
		.amdhsa_kernarg_size 136
		.amdhsa_user_sgpr_count 2
		.amdhsa_user_sgpr_dispatch_ptr 0
		.amdhsa_user_sgpr_queue_ptr 0
		.amdhsa_user_sgpr_kernarg_segment_ptr 1
		.amdhsa_user_sgpr_dispatch_id 0
		.amdhsa_user_sgpr_kernarg_preload_length 0
		.amdhsa_user_sgpr_kernarg_preload_offset 0
		.amdhsa_user_sgpr_private_segment_size 0
		.amdhsa_uses_dynamic_stack 0
		.amdhsa_enable_private_segment 0
		.amdhsa_system_sgpr_workgroup_id_x 1
		.amdhsa_system_sgpr_workgroup_id_y 0
		.amdhsa_system_sgpr_workgroup_id_z 0
		.amdhsa_system_sgpr_workgroup_info 0
		.amdhsa_system_vgpr_workitem_id 0
		.amdhsa_next_free_vgpr 1
		.amdhsa_next_free_sgpr 0
		.amdhsa_accum_offset 4
		.amdhsa_reserve_vcc 0
		.amdhsa_float_round_mode_32 0
		.amdhsa_float_round_mode_16_64 0
		.amdhsa_float_denorm_mode_32 3
		.amdhsa_float_denorm_mode_16_64 3
		.amdhsa_dx10_clamp 1
		.amdhsa_ieee_mode 1
		.amdhsa_fp16_overflow 0
		.amdhsa_tg_split 0
		.amdhsa_exception_fp_ieee_invalid_op 0
		.amdhsa_exception_fp_denorm_src 0
		.amdhsa_exception_fp_ieee_div_zero 0
		.amdhsa_exception_fp_ieee_overflow 0
		.amdhsa_exception_fp_ieee_underflow 0
		.amdhsa_exception_fp_ieee_inexact 0
		.amdhsa_exception_int_div_zero 0
	.end_amdhsa_kernel
	.section	.text._ZN7rocprim17ROCPRIM_400000_NS6detail17trampoline_kernelINS0_14default_configENS1_25partition_config_selectorILNS1_17partition_subalgoE8ElNS0_10empty_typeEbEEZZNS1_14partition_implILS5_8ELb0ES3_jPlPS6_PKS6_NS0_5tupleIJS9_S6_EEENSD_IJSA_SA_EEENS0_18inequality_wrapperIZN2at6native12_GLOBAL__N_124unique_dim_cuda_templateImEESt5tupleIJNSH_6TensorESM_SM_EERKSM_lbbbEUlllE0_EEPmJS6_EEE10hipError_tPvRmT3_T4_T5_T6_T7_T9_mT8_P12ihipStream_tbDpT10_ENKUlT_T0_E_clISt17integral_constantIbLb0EES1B_IbLb1EEEEDaS17_S18_EUlS17_E_NS1_11comp_targetILNS1_3genE10ELNS1_11target_archE1200ELNS1_3gpuE4ELNS1_3repE0EEENS1_30default_config_static_selectorELNS0_4arch9wavefront6targetE1EEEvT1_,"axG",@progbits,_ZN7rocprim17ROCPRIM_400000_NS6detail17trampoline_kernelINS0_14default_configENS1_25partition_config_selectorILNS1_17partition_subalgoE8ElNS0_10empty_typeEbEEZZNS1_14partition_implILS5_8ELb0ES3_jPlPS6_PKS6_NS0_5tupleIJS9_S6_EEENSD_IJSA_SA_EEENS0_18inequality_wrapperIZN2at6native12_GLOBAL__N_124unique_dim_cuda_templateImEESt5tupleIJNSH_6TensorESM_SM_EERKSM_lbbbEUlllE0_EEPmJS6_EEE10hipError_tPvRmT3_T4_T5_T6_T7_T9_mT8_P12ihipStream_tbDpT10_ENKUlT_T0_E_clISt17integral_constantIbLb0EES1B_IbLb1EEEEDaS17_S18_EUlS17_E_NS1_11comp_targetILNS1_3genE10ELNS1_11target_archE1200ELNS1_3gpuE4ELNS1_3repE0EEENS1_30default_config_static_selectorELNS0_4arch9wavefront6targetE1EEEvT1_,comdat
.Lfunc_end1692:
	.size	_ZN7rocprim17ROCPRIM_400000_NS6detail17trampoline_kernelINS0_14default_configENS1_25partition_config_selectorILNS1_17partition_subalgoE8ElNS0_10empty_typeEbEEZZNS1_14partition_implILS5_8ELb0ES3_jPlPS6_PKS6_NS0_5tupleIJS9_S6_EEENSD_IJSA_SA_EEENS0_18inequality_wrapperIZN2at6native12_GLOBAL__N_124unique_dim_cuda_templateImEESt5tupleIJNSH_6TensorESM_SM_EERKSM_lbbbEUlllE0_EEPmJS6_EEE10hipError_tPvRmT3_T4_T5_T6_T7_T9_mT8_P12ihipStream_tbDpT10_ENKUlT_T0_E_clISt17integral_constantIbLb0EES1B_IbLb1EEEEDaS17_S18_EUlS17_E_NS1_11comp_targetILNS1_3genE10ELNS1_11target_archE1200ELNS1_3gpuE4ELNS1_3repE0EEENS1_30default_config_static_selectorELNS0_4arch9wavefront6targetE1EEEvT1_, .Lfunc_end1692-_ZN7rocprim17ROCPRIM_400000_NS6detail17trampoline_kernelINS0_14default_configENS1_25partition_config_selectorILNS1_17partition_subalgoE8ElNS0_10empty_typeEbEEZZNS1_14partition_implILS5_8ELb0ES3_jPlPS6_PKS6_NS0_5tupleIJS9_S6_EEENSD_IJSA_SA_EEENS0_18inequality_wrapperIZN2at6native12_GLOBAL__N_124unique_dim_cuda_templateImEESt5tupleIJNSH_6TensorESM_SM_EERKSM_lbbbEUlllE0_EEPmJS6_EEE10hipError_tPvRmT3_T4_T5_T6_T7_T9_mT8_P12ihipStream_tbDpT10_ENKUlT_T0_E_clISt17integral_constantIbLb0EES1B_IbLb1EEEEDaS17_S18_EUlS17_E_NS1_11comp_targetILNS1_3genE10ELNS1_11target_archE1200ELNS1_3gpuE4ELNS1_3repE0EEENS1_30default_config_static_selectorELNS0_4arch9wavefront6targetE1EEEvT1_
                                        ; -- End function
	.set _ZN7rocprim17ROCPRIM_400000_NS6detail17trampoline_kernelINS0_14default_configENS1_25partition_config_selectorILNS1_17partition_subalgoE8ElNS0_10empty_typeEbEEZZNS1_14partition_implILS5_8ELb0ES3_jPlPS6_PKS6_NS0_5tupleIJS9_S6_EEENSD_IJSA_SA_EEENS0_18inequality_wrapperIZN2at6native12_GLOBAL__N_124unique_dim_cuda_templateImEESt5tupleIJNSH_6TensorESM_SM_EERKSM_lbbbEUlllE0_EEPmJS6_EEE10hipError_tPvRmT3_T4_T5_T6_T7_T9_mT8_P12ihipStream_tbDpT10_ENKUlT_T0_E_clISt17integral_constantIbLb0EES1B_IbLb1EEEEDaS17_S18_EUlS17_E_NS1_11comp_targetILNS1_3genE10ELNS1_11target_archE1200ELNS1_3gpuE4ELNS1_3repE0EEENS1_30default_config_static_selectorELNS0_4arch9wavefront6targetE1EEEvT1_.num_vgpr, 0
	.set _ZN7rocprim17ROCPRIM_400000_NS6detail17trampoline_kernelINS0_14default_configENS1_25partition_config_selectorILNS1_17partition_subalgoE8ElNS0_10empty_typeEbEEZZNS1_14partition_implILS5_8ELb0ES3_jPlPS6_PKS6_NS0_5tupleIJS9_S6_EEENSD_IJSA_SA_EEENS0_18inequality_wrapperIZN2at6native12_GLOBAL__N_124unique_dim_cuda_templateImEESt5tupleIJNSH_6TensorESM_SM_EERKSM_lbbbEUlllE0_EEPmJS6_EEE10hipError_tPvRmT3_T4_T5_T6_T7_T9_mT8_P12ihipStream_tbDpT10_ENKUlT_T0_E_clISt17integral_constantIbLb0EES1B_IbLb1EEEEDaS17_S18_EUlS17_E_NS1_11comp_targetILNS1_3genE10ELNS1_11target_archE1200ELNS1_3gpuE4ELNS1_3repE0EEENS1_30default_config_static_selectorELNS0_4arch9wavefront6targetE1EEEvT1_.num_agpr, 0
	.set _ZN7rocprim17ROCPRIM_400000_NS6detail17trampoline_kernelINS0_14default_configENS1_25partition_config_selectorILNS1_17partition_subalgoE8ElNS0_10empty_typeEbEEZZNS1_14partition_implILS5_8ELb0ES3_jPlPS6_PKS6_NS0_5tupleIJS9_S6_EEENSD_IJSA_SA_EEENS0_18inequality_wrapperIZN2at6native12_GLOBAL__N_124unique_dim_cuda_templateImEESt5tupleIJNSH_6TensorESM_SM_EERKSM_lbbbEUlllE0_EEPmJS6_EEE10hipError_tPvRmT3_T4_T5_T6_T7_T9_mT8_P12ihipStream_tbDpT10_ENKUlT_T0_E_clISt17integral_constantIbLb0EES1B_IbLb1EEEEDaS17_S18_EUlS17_E_NS1_11comp_targetILNS1_3genE10ELNS1_11target_archE1200ELNS1_3gpuE4ELNS1_3repE0EEENS1_30default_config_static_selectorELNS0_4arch9wavefront6targetE1EEEvT1_.numbered_sgpr, 0
	.set _ZN7rocprim17ROCPRIM_400000_NS6detail17trampoline_kernelINS0_14default_configENS1_25partition_config_selectorILNS1_17partition_subalgoE8ElNS0_10empty_typeEbEEZZNS1_14partition_implILS5_8ELb0ES3_jPlPS6_PKS6_NS0_5tupleIJS9_S6_EEENSD_IJSA_SA_EEENS0_18inequality_wrapperIZN2at6native12_GLOBAL__N_124unique_dim_cuda_templateImEESt5tupleIJNSH_6TensorESM_SM_EERKSM_lbbbEUlllE0_EEPmJS6_EEE10hipError_tPvRmT3_T4_T5_T6_T7_T9_mT8_P12ihipStream_tbDpT10_ENKUlT_T0_E_clISt17integral_constantIbLb0EES1B_IbLb1EEEEDaS17_S18_EUlS17_E_NS1_11comp_targetILNS1_3genE10ELNS1_11target_archE1200ELNS1_3gpuE4ELNS1_3repE0EEENS1_30default_config_static_selectorELNS0_4arch9wavefront6targetE1EEEvT1_.num_named_barrier, 0
	.set _ZN7rocprim17ROCPRIM_400000_NS6detail17trampoline_kernelINS0_14default_configENS1_25partition_config_selectorILNS1_17partition_subalgoE8ElNS0_10empty_typeEbEEZZNS1_14partition_implILS5_8ELb0ES3_jPlPS6_PKS6_NS0_5tupleIJS9_S6_EEENSD_IJSA_SA_EEENS0_18inequality_wrapperIZN2at6native12_GLOBAL__N_124unique_dim_cuda_templateImEESt5tupleIJNSH_6TensorESM_SM_EERKSM_lbbbEUlllE0_EEPmJS6_EEE10hipError_tPvRmT3_T4_T5_T6_T7_T9_mT8_P12ihipStream_tbDpT10_ENKUlT_T0_E_clISt17integral_constantIbLb0EES1B_IbLb1EEEEDaS17_S18_EUlS17_E_NS1_11comp_targetILNS1_3genE10ELNS1_11target_archE1200ELNS1_3gpuE4ELNS1_3repE0EEENS1_30default_config_static_selectorELNS0_4arch9wavefront6targetE1EEEvT1_.private_seg_size, 0
	.set _ZN7rocprim17ROCPRIM_400000_NS6detail17trampoline_kernelINS0_14default_configENS1_25partition_config_selectorILNS1_17partition_subalgoE8ElNS0_10empty_typeEbEEZZNS1_14partition_implILS5_8ELb0ES3_jPlPS6_PKS6_NS0_5tupleIJS9_S6_EEENSD_IJSA_SA_EEENS0_18inequality_wrapperIZN2at6native12_GLOBAL__N_124unique_dim_cuda_templateImEESt5tupleIJNSH_6TensorESM_SM_EERKSM_lbbbEUlllE0_EEPmJS6_EEE10hipError_tPvRmT3_T4_T5_T6_T7_T9_mT8_P12ihipStream_tbDpT10_ENKUlT_T0_E_clISt17integral_constantIbLb0EES1B_IbLb1EEEEDaS17_S18_EUlS17_E_NS1_11comp_targetILNS1_3genE10ELNS1_11target_archE1200ELNS1_3gpuE4ELNS1_3repE0EEENS1_30default_config_static_selectorELNS0_4arch9wavefront6targetE1EEEvT1_.uses_vcc, 0
	.set _ZN7rocprim17ROCPRIM_400000_NS6detail17trampoline_kernelINS0_14default_configENS1_25partition_config_selectorILNS1_17partition_subalgoE8ElNS0_10empty_typeEbEEZZNS1_14partition_implILS5_8ELb0ES3_jPlPS6_PKS6_NS0_5tupleIJS9_S6_EEENSD_IJSA_SA_EEENS0_18inequality_wrapperIZN2at6native12_GLOBAL__N_124unique_dim_cuda_templateImEESt5tupleIJNSH_6TensorESM_SM_EERKSM_lbbbEUlllE0_EEPmJS6_EEE10hipError_tPvRmT3_T4_T5_T6_T7_T9_mT8_P12ihipStream_tbDpT10_ENKUlT_T0_E_clISt17integral_constantIbLb0EES1B_IbLb1EEEEDaS17_S18_EUlS17_E_NS1_11comp_targetILNS1_3genE10ELNS1_11target_archE1200ELNS1_3gpuE4ELNS1_3repE0EEENS1_30default_config_static_selectorELNS0_4arch9wavefront6targetE1EEEvT1_.uses_flat_scratch, 0
	.set _ZN7rocprim17ROCPRIM_400000_NS6detail17trampoline_kernelINS0_14default_configENS1_25partition_config_selectorILNS1_17partition_subalgoE8ElNS0_10empty_typeEbEEZZNS1_14partition_implILS5_8ELb0ES3_jPlPS6_PKS6_NS0_5tupleIJS9_S6_EEENSD_IJSA_SA_EEENS0_18inequality_wrapperIZN2at6native12_GLOBAL__N_124unique_dim_cuda_templateImEESt5tupleIJNSH_6TensorESM_SM_EERKSM_lbbbEUlllE0_EEPmJS6_EEE10hipError_tPvRmT3_T4_T5_T6_T7_T9_mT8_P12ihipStream_tbDpT10_ENKUlT_T0_E_clISt17integral_constantIbLb0EES1B_IbLb1EEEEDaS17_S18_EUlS17_E_NS1_11comp_targetILNS1_3genE10ELNS1_11target_archE1200ELNS1_3gpuE4ELNS1_3repE0EEENS1_30default_config_static_selectorELNS0_4arch9wavefront6targetE1EEEvT1_.has_dyn_sized_stack, 0
	.set _ZN7rocprim17ROCPRIM_400000_NS6detail17trampoline_kernelINS0_14default_configENS1_25partition_config_selectorILNS1_17partition_subalgoE8ElNS0_10empty_typeEbEEZZNS1_14partition_implILS5_8ELb0ES3_jPlPS6_PKS6_NS0_5tupleIJS9_S6_EEENSD_IJSA_SA_EEENS0_18inequality_wrapperIZN2at6native12_GLOBAL__N_124unique_dim_cuda_templateImEESt5tupleIJNSH_6TensorESM_SM_EERKSM_lbbbEUlllE0_EEPmJS6_EEE10hipError_tPvRmT3_T4_T5_T6_T7_T9_mT8_P12ihipStream_tbDpT10_ENKUlT_T0_E_clISt17integral_constantIbLb0EES1B_IbLb1EEEEDaS17_S18_EUlS17_E_NS1_11comp_targetILNS1_3genE10ELNS1_11target_archE1200ELNS1_3gpuE4ELNS1_3repE0EEENS1_30default_config_static_selectorELNS0_4arch9wavefront6targetE1EEEvT1_.has_recursion, 0
	.set _ZN7rocprim17ROCPRIM_400000_NS6detail17trampoline_kernelINS0_14default_configENS1_25partition_config_selectorILNS1_17partition_subalgoE8ElNS0_10empty_typeEbEEZZNS1_14partition_implILS5_8ELb0ES3_jPlPS6_PKS6_NS0_5tupleIJS9_S6_EEENSD_IJSA_SA_EEENS0_18inequality_wrapperIZN2at6native12_GLOBAL__N_124unique_dim_cuda_templateImEESt5tupleIJNSH_6TensorESM_SM_EERKSM_lbbbEUlllE0_EEPmJS6_EEE10hipError_tPvRmT3_T4_T5_T6_T7_T9_mT8_P12ihipStream_tbDpT10_ENKUlT_T0_E_clISt17integral_constantIbLb0EES1B_IbLb1EEEEDaS17_S18_EUlS17_E_NS1_11comp_targetILNS1_3genE10ELNS1_11target_archE1200ELNS1_3gpuE4ELNS1_3repE0EEENS1_30default_config_static_selectorELNS0_4arch9wavefront6targetE1EEEvT1_.has_indirect_call, 0
	.section	.AMDGPU.csdata,"",@progbits
; Kernel info:
; codeLenInByte = 0
; TotalNumSgprs: 6
; NumVgprs: 0
; NumAgprs: 0
; TotalNumVgprs: 0
; ScratchSize: 0
; MemoryBound: 0
; FloatMode: 240
; IeeeMode: 1
; LDSByteSize: 0 bytes/workgroup (compile time only)
; SGPRBlocks: 0
; VGPRBlocks: 0
; NumSGPRsForWavesPerEU: 6
; NumVGPRsForWavesPerEU: 1
; AccumOffset: 4
; Occupancy: 8
; WaveLimiterHint : 0
; COMPUTE_PGM_RSRC2:SCRATCH_EN: 0
; COMPUTE_PGM_RSRC2:USER_SGPR: 2
; COMPUTE_PGM_RSRC2:TRAP_HANDLER: 0
; COMPUTE_PGM_RSRC2:TGID_X_EN: 1
; COMPUTE_PGM_RSRC2:TGID_Y_EN: 0
; COMPUTE_PGM_RSRC2:TGID_Z_EN: 0
; COMPUTE_PGM_RSRC2:TIDIG_COMP_CNT: 0
; COMPUTE_PGM_RSRC3_GFX90A:ACCUM_OFFSET: 0
; COMPUTE_PGM_RSRC3_GFX90A:TG_SPLIT: 0
	.section	.text._ZN7rocprim17ROCPRIM_400000_NS6detail17trampoline_kernelINS0_14default_configENS1_25partition_config_selectorILNS1_17partition_subalgoE8ElNS0_10empty_typeEbEEZZNS1_14partition_implILS5_8ELb0ES3_jPlPS6_PKS6_NS0_5tupleIJS9_S6_EEENSD_IJSA_SA_EEENS0_18inequality_wrapperIZN2at6native12_GLOBAL__N_124unique_dim_cuda_templateImEESt5tupleIJNSH_6TensorESM_SM_EERKSM_lbbbEUlllE0_EEPmJS6_EEE10hipError_tPvRmT3_T4_T5_T6_T7_T9_mT8_P12ihipStream_tbDpT10_ENKUlT_T0_E_clISt17integral_constantIbLb0EES1B_IbLb1EEEEDaS17_S18_EUlS17_E_NS1_11comp_targetILNS1_3genE9ELNS1_11target_archE1100ELNS1_3gpuE3ELNS1_3repE0EEENS1_30default_config_static_selectorELNS0_4arch9wavefront6targetE1EEEvT1_,"axG",@progbits,_ZN7rocprim17ROCPRIM_400000_NS6detail17trampoline_kernelINS0_14default_configENS1_25partition_config_selectorILNS1_17partition_subalgoE8ElNS0_10empty_typeEbEEZZNS1_14partition_implILS5_8ELb0ES3_jPlPS6_PKS6_NS0_5tupleIJS9_S6_EEENSD_IJSA_SA_EEENS0_18inequality_wrapperIZN2at6native12_GLOBAL__N_124unique_dim_cuda_templateImEESt5tupleIJNSH_6TensorESM_SM_EERKSM_lbbbEUlllE0_EEPmJS6_EEE10hipError_tPvRmT3_T4_T5_T6_T7_T9_mT8_P12ihipStream_tbDpT10_ENKUlT_T0_E_clISt17integral_constantIbLb0EES1B_IbLb1EEEEDaS17_S18_EUlS17_E_NS1_11comp_targetILNS1_3genE9ELNS1_11target_archE1100ELNS1_3gpuE3ELNS1_3repE0EEENS1_30default_config_static_selectorELNS0_4arch9wavefront6targetE1EEEvT1_,comdat
	.globl	_ZN7rocprim17ROCPRIM_400000_NS6detail17trampoline_kernelINS0_14default_configENS1_25partition_config_selectorILNS1_17partition_subalgoE8ElNS0_10empty_typeEbEEZZNS1_14partition_implILS5_8ELb0ES3_jPlPS6_PKS6_NS0_5tupleIJS9_S6_EEENSD_IJSA_SA_EEENS0_18inequality_wrapperIZN2at6native12_GLOBAL__N_124unique_dim_cuda_templateImEESt5tupleIJNSH_6TensorESM_SM_EERKSM_lbbbEUlllE0_EEPmJS6_EEE10hipError_tPvRmT3_T4_T5_T6_T7_T9_mT8_P12ihipStream_tbDpT10_ENKUlT_T0_E_clISt17integral_constantIbLb0EES1B_IbLb1EEEEDaS17_S18_EUlS17_E_NS1_11comp_targetILNS1_3genE9ELNS1_11target_archE1100ELNS1_3gpuE3ELNS1_3repE0EEENS1_30default_config_static_selectorELNS0_4arch9wavefront6targetE1EEEvT1_ ; -- Begin function _ZN7rocprim17ROCPRIM_400000_NS6detail17trampoline_kernelINS0_14default_configENS1_25partition_config_selectorILNS1_17partition_subalgoE8ElNS0_10empty_typeEbEEZZNS1_14partition_implILS5_8ELb0ES3_jPlPS6_PKS6_NS0_5tupleIJS9_S6_EEENSD_IJSA_SA_EEENS0_18inequality_wrapperIZN2at6native12_GLOBAL__N_124unique_dim_cuda_templateImEESt5tupleIJNSH_6TensorESM_SM_EERKSM_lbbbEUlllE0_EEPmJS6_EEE10hipError_tPvRmT3_T4_T5_T6_T7_T9_mT8_P12ihipStream_tbDpT10_ENKUlT_T0_E_clISt17integral_constantIbLb0EES1B_IbLb1EEEEDaS17_S18_EUlS17_E_NS1_11comp_targetILNS1_3genE9ELNS1_11target_archE1100ELNS1_3gpuE3ELNS1_3repE0EEENS1_30default_config_static_selectorELNS0_4arch9wavefront6targetE1EEEvT1_
	.p2align	8
	.type	_ZN7rocprim17ROCPRIM_400000_NS6detail17trampoline_kernelINS0_14default_configENS1_25partition_config_selectorILNS1_17partition_subalgoE8ElNS0_10empty_typeEbEEZZNS1_14partition_implILS5_8ELb0ES3_jPlPS6_PKS6_NS0_5tupleIJS9_S6_EEENSD_IJSA_SA_EEENS0_18inequality_wrapperIZN2at6native12_GLOBAL__N_124unique_dim_cuda_templateImEESt5tupleIJNSH_6TensorESM_SM_EERKSM_lbbbEUlllE0_EEPmJS6_EEE10hipError_tPvRmT3_T4_T5_T6_T7_T9_mT8_P12ihipStream_tbDpT10_ENKUlT_T0_E_clISt17integral_constantIbLb0EES1B_IbLb1EEEEDaS17_S18_EUlS17_E_NS1_11comp_targetILNS1_3genE9ELNS1_11target_archE1100ELNS1_3gpuE3ELNS1_3repE0EEENS1_30default_config_static_selectorELNS0_4arch9wavefront6targetE1EEEvT1_,@function
_ZN7rocprim17ROCPRIM_400000_NS6detail17trampoline_kernelINS0_14default_configENS1_25partition_config_selectorILNS1_17partition_subalgoE8ElNS0_10empty_typeEbEEZZNS1_14partition_implILS5_8ELb0ES3_jPlPS6_PKS6_NS0_5tupleIJS9_S6_EEENSD_IJSA_SA_EEENS0_18inequality_wrapperIZN2at6native12_GLOBAL__N_124unique_dim_cuda_templateImEESt5tupleIJNSH_6TensorESM_SM_EERKSM_lbbbEUlllE0_EEPmJS6_EEE10hipError_tPvRmT3_T4_T5_T6_T7_T9_mT8_P12ihipStream_tbDpT10_ENKUlT_T0_E_clISt17integral_constantIbLb0EES1B_IbLb1EEEEDaS17_S18_EUlS17_E_NS1_11comp_targetILNS1_3genE9ELNS1_11target_archE1100ELNS1_3gpuE3ELNS1_3repE0EEENS1_30default_config_static_selectorELNS0_4arch9wavefront6targetE1EEEvT1_: ; @_ZN7rocprim17ROCPRIM_400000_NS6detail17trampoline_kernelINS0_14default_configENS1_25partition_config_selectorILNS1_17partition_subalgoE8ElNS0_10empty_typeEbEEZZNS1_14partition_implILS5_8ELb0ES3_jPlPS6_PKS6_NS0_5tupleIJS9_S6_EEENSD_IJSA_SA_EEENS0_18inequality_wrapperIZN2at6native12_GLOBAL__N_124unique_dim_cuda_templateImEESt5tupleIJNSH_6TensorESM_SM_EERKSM_lbbbEUlllE0_EEPmJS6_EEE10hipError_tPvRmT3_T4_T5_T6_T7_T9_mT8_P12ihipStream_tbDpT10_ENKUlT_T0_E_clISt17integral_constantIbLb0EES1B_IbLb1EEEEDaS17_S18_EUlS17_E_NS1_11comp_targetILNS1_3genE9ELNS1_11target_archE1100ELNS1_3gpuE3ELNS1_3repE0EEENS1_30default_config_static_selectorELNS0_4arch9wavefront6targetE1EEEvT1_
; %bb.0:
	.section	.rodata,"a",@progbits
	.p2align	6, 0x0
	.amdhsa_kernel _ZN7rocprim17ROCPRIM_400000_NS6detail17trampoline_kernelINS0_14default_configENS1_25partition_config_selectorILNS1_17partition_subalgoE8ElNS0_10empty_typeEbEEZZNS1_14partition_implILS5_8ELb0ES3_jPlPS6_PKS6_NS0_5tupleIJS9_S6_EEENSD_IJSA_SA_EEENS0_18inequality_wrapperIZN2at6native12_GLOBAL__N_124unique_dim_cuda_templateImEESt5tupleIJNSH_6TensorESM_SM_EERKSM_lbbbEUlllE0_EEPmJS6_EEE10hipError_tPvRmT3_T4_T5_T6_T7_T9_mT8_P12ihipStream_tbDpT10_ENKUlT_T0_E_clISt17integral_constantIbLb0EES1B_IbLb1EEEEDaS17_S18_EUlS17_E_NS1_11comp_targetILNS1_3genE9ELNS1_11target_archE1100ELNS1_3gpuE3ELNS1_3repE0EEENS1_30default_config_static_selectorELNS0_4arch9wavefront6targetE1EEEvT1_
		.amdhsa_group_segment_fixed_size 0
		.amdhsa_private_segment_fixed_size 0
		.amdhsa_kernarg_size 136
		.amdhsa_user_sgpr_count 2
		.amdhsa_user_sgpr_dispatch_ptr 0
		.amdhsa_user_sgpr_queue_ptr 0
		.amdhsa_user_sgpr_kernarg_segment_ptr 1
		.amdhsa_user_sgpr_dispatch_id 0
		.amdhsa_user_sgpr_kernarg_preload_length 0
		.amdhsa_user_sgpr_kernarg_preload_offset 0
		.amdhsa_user_sgpr_private_segment_size 0
		.amdhsa_uses_dynamic_stack 0
		.amdhsa_enable_private_segment 0
		.amdhsa_system_sgpr_workgroup_id_x 1
		.amdhsa_system_sgpr_workgroup_id_y 0
		.amdhsa_system_sgpr_workgroup_id_z 0
		.amdhsa_system_sgpr_workgroup_info 0
		.amdhsa_system_vgpr_workitem_id 0
		.amdhsa_next_free_vgpr 1
		.amdhsa_next_free_sgpr 0
		.amdhsa_accum_offset 4
		.amdhsa_reserve_vcc 0
		.amdhsa_float_round_mode_32 0
		.amdhsa_float_round_mode_16_64 0
		.amdhsa_float_denorm_mode_32 3
		.amdhsa_float_denorm_mode_16_64 3
		.amdhsa_dx10_clamp 1
		.amdhsa_ieee_mode 1
		.amdhsa_fp16_overflow 0
		.amdhsa_tg_split 0
		.amdhsa_exception_fp_ieee_invalid_op 0
		.amdhsa_exception_fp_denorm_src 0
		.amdhsa_exception_fp_ieee_div_zero 0
		.amdhsa_exception_fp_ieee_overflow 0
		.amdhsa_exception_fp_ieee_underflow 0
		.amdhsa_exception_fp_ieee_inexact 0
		.amdhsa_exception_int_div_zero 0
	.end_amdhsa_kernel
	.section	.text._ZN7rocprim17ROCPRIM_400000_NS6detail17trampoline_kernelINS0_14default_configENS1_25partition_config_selectorILNS1_17partition_subalgoE8ElNS0_10empty_typeEbEEZZNS1_14partition_implILS5_8ELb0ES3_jPlPS6_PKS6_NS0_5tupleIJS9_S6_EEENSD_IJSA_SA_EEENS0_18inequality_wrapperIZN2at6native12_GLOBAL__N_124unique_dim_cuda_templateImEESt5tupleIJNSH_6TensorESM_SM_EERKSM_lbbbEUlllE0_EEPmJS6_EEE10hipError_tPvRmT3_T4_T5_T6_T7_T9_mT8_P12ihipStream_tbDpT10_ENKUlT_T0_E_clISt17integral_constantIbLb0EES1B_IbLb1EEEEDaS17_S18_EUlS17_E_NS1_11comp_targetILNS1_3genE9ELNS1_11target_archE1100ELNS1_3gpuE3ELNS1_3repE0EEENS1_30default_config_static_selectorELNS0_4arch9wavefront6targetE1EEEvT1_,"axG",@progbits,_ZN7rocprim17ROCPRIM_400000_NS6detail17trampoline_kernelINS0_14default_configENS1_25partition_config_selectorILNS1_17partition_subalgoE8ElNS0_10empty_typeEbEEZZNS1_14partition_implILS5_8ELb0ES3_jPlPS6_PKS6_NS0_5tupleIJS9_S6_EEENSD_IJSA_SA_EEENS0_18inequality_wrapperIZN2at6native12_GLOBAL__N_124unique_dim_cuda_templateImEESt5tupleIJNSH_6TensorESM_SM_EERKSM_lbbbEUlllE0_EEPmJS6_EEE10hipError_tPvRmT3_T4_T5_T6_T7_T9_mT8_P12ihipStream_tbDpT10_ENKUlT_T0_E_clISt17integral_constantIbLb0EES1B_IbLb1EEEEDaS17_S18_EUlS17_E_NS1_11comp_targetILNS1_3genE9ELNS1_11target_archE1100ELNS1_3gpuE3ELNS1_3repE0EEENS1_30default_config_static_selectorELNS0_4arch9wavefront6targetE1EEEvT1_,comdat
.Lfunc_end1693:
	.size	_ZN7rocprim17ROCPRIM_400000_NS6detail17trampoline_kernelINS0_14default_configENS1_25partition_config_selectorILNS1_17partition_subalgoE8ElNS0_10empty_typeEbEEZZNS1_14partition_implILS5_8ELb0ES3_jPlPS6_PKS6_NS0_5tupleIJS9_S6_EEENSD_IJSA_SA_EEENS0_18inequality_wrapperIZN2at6native12_GLOBAL__N_124unique_dim_cuda_templateImEESt5tupleIJNSH_6TensorESM_SM_EERKSM_lbbbEUlllE0_EEPmJS6_EEE10hipError_tPvRmT3_T4_T5_T6_T7_T9_mT8_P12ihipStream_tbDpT10_ENKUlT_T0_E_clISt17integral_constantIbLb0EES1B_IbLb1EEEEDaS17_S18_EUlS17_E_NS1_11comp_targetILNS1_3genE9ELNS1_11target_archE1100ELNS1_3gpuE3ELNS1_3repE0EEENS1_30default_config_static_selectorELNS0_4arch9wavefront6targetE1EEEvT1_, .Lfunc_end1693-_ZN7rocprim17ROCPRIM_400000_NS6detail17trampoline_kernelINS0_14default_configENS1_25partition_config_selectorILNS1_17partition_subalgoE8ElNS0_10empty_typeEbEEZZNS1_14partition_implILS5_8ELb0ES3_jPlPS6_PKS6_NS0_5tupleIJS9_S6_EEENSD_IJSA_SA_EEENS0_18inequality_wrapperIZN2at6native12_GLOBAL__N_124unique_dim_cuda_templateImEESt5tupleIJNSH_6TensorESM_SM_EERKSM_lbbbEUlllE0_EEPmJS6_EEE10hipError_tPvRmT3_T4_T5_T6_T7_T9_mT8_P12ihipStream_tbDpT10_ENKUlT_T0_E_clISt17integral_constantIbLb0EES1B_IbLb1EEEEDaS17_S18_EUlS17_E_NS1_11comp_targetILNS1_3genE9ELNS1_11target_archE1100ELNS1_3gpuE3ELNS1_3repE0EEENS1_30default_config_static_selectorELNS0_4arch9wavefront6targetE1EEEvT1_
                                        ; -- End function
	.set _ZN7rocprim17ROCPRIM_400000_NS6detail17trampoline_kernelINS0_14default_configENS1_25partition_config_selectorILNS1_17partition_subalgoE8ElNS0_10empty_typeEbEEZZNS1_14partition_implILS5_8ELb0ES3_jPlPS6_PKS6_NS0_5tupleIJS9_S6_EEENSD_IJSA_SA_EEENS0_18inequality_wrapperIZN2at6native12_GLOBAL__N_124unique_dim_cuda_templateImEESt5tupleIJNSH_6TensorESM_SM_EERKSM_lbbbEUlllE0_EEPmJS6_EEE10hipError_tPvRmT3_T4_T5_T6_T7_T9_mT8_P12ihipStream_tbDpT10_ENKUlT_T0_E_clISt17integral_constantIbLb0EES1B_IbLb1EEEEDaS17_S18_EUlS17_E_NS1_11comp_targetILNS1_3genE9ELNS1_11target_archE1100ELNS1_3gpuE3ELNS1_3repE0EEENS1_30default_config_static_selectorELNS0_4arch9wavefront6targetE1EEEvT1_.num_vgpr, 0
	.set _ZN7rocprim17ROCPRIM_400000_NS6detail17trampoline_kernelINS0_14default_configENS1_25partition_config_selectorILNS1_17partition_subalgoE8ElNS0_10empty_typeEbEEZZNS1_14partition_implILS5_8ELb0ES3_jPlPS6_PKS6_NS0_5tupleIJS9_S6_EEENSD_IJSA_SA_EEENS0_18inequality_wrapperIZN2at6native12_GLOBAL__N_124unique_dim_cuda_templateImEESt5tupleIJNSH_6TensorESM_SM_EERKSM_lbbbEUlllE0_EEPmJS6_EEE10hipError_tPvRmT3_T4_T5_T6_T7_T9_mT8_P12ihipStream_tbDpT10_ENKUlT_T0_E_clISt17integral_constantIbLb0EES1B_IbLb1EEEEDaS17_S18_EUlS17_E_NS1_11comp_targetILNS1_3genE9ELNS1_11target_archE1100ELNS1_3gpuE3ELNS1_3repE0EEENS1_30default_config_static_selectorELNS0_4arch9wavefront6targetE1EEEvT1_.num_agpr, 0
	.set _ZN7rocprim17ROCPRIM_400000_NS6detail17trampoline_kernelINS0_14default_configENS1_25partition_config_selectorILNS1_17partition_subalgoE8ElNS0_10empty_typeEbEEZZNS1_14partition_implILS5_8ELb0ES3_jPlPS6_PKS6_NS0_5tupleIJS9_S6_EEENSD_IJSA_SA_EEENS0_18inequality_wrapperIZN2at6native12_GLOBAL__N_124unique_dim_cuda_templateImEESt5tupleIJNSH_6TensorESM_SM_EERKSM_lbbbEUlllE0_EEPmJS6_EEE10hipError_tPvRmT3_T4_T5_T6_T7_T9_mT8_P12ihipStream_tbDpT10_ENKUlT_T0_E_clISt17integral_constantIbLb0EES1B_IbLb1EEEEDaS17_S18_EUlS17_E_NS1_11comp_targetILNS1_3genE9ELNS1_11target_archE1100ELNS1_3gpuE3ELNS1_3repE0EEENS1_30default_config_static_selectorELNS0_4arch9wavefront6targetE1EEEvT1_.numbered_sgpr, 0
	.set _ZN7rocprim17ROCPRIM_400000_NS6detail17trampoline_kernelINS0_14default_configENS1_25partition_config_selectorILNS1_17partition_subalgoE8ElNS0_10empty_typeEbEEZZNS1_14partition_implILS5_8ELb0ES3_jPlPS6_PKS6_NS0_5tupleIJS9_S6_EEENSD_IJSA_SA_EEENS0_18inequality_wrapperIZN2at6native12_GLOBAL__N_124unique_dim_cuda_templateImEESt5tupleIJNSH_6TensorESM_SM_EERKSM_lbbbEUlllE0_EEPmJS6_EEE10hipError_tPvRmT3_T4_T5_T6_T7_T9_mT8_P12ihipStream_tbDpT10_ENKUlT_T0_E_clISt17integral_constantIbLb0EES1B_IbLb1EEEEDaS17_S18_EUlS17_E_NS1_11comp_targetILNS1_3genE9ELNS1_11target_archE1100ELNS1_3gpuE3ELNS1_3repE0EEENS1_30default_config_static_selectorELNS0_4arch9wavefront6targetE1EEEvT1_.num_named_barrier, 0
	.set _ZN7rocprim17ROCPRIM_400000_NS6detail17trampoline_kernelINS0_14default_configENS1_25partition_config_selectorILNS1_17partition_subalgoE8ElNS0_10empty_typeEbEEZZNS1_14partition_implILS5_8ELb0ES3_jPlPS6_PKS6_NS0_5tupleIJS9_S6_EEENSD_IJSA_SA_EEENS0_18inequality_wrapperIZN2at6native12_GLOBAL__N_124unique_dim_cuda_templateImEESt5tupleIJNSH_6TensorESM_SM_EERKSM_lbbbEUlllE0_EEPmJS6_EEE10hipError_tPvRmT3_T4_T5_T6_T7_T9_mT8_P12ihipStream_tbDpT10_ENKUlT_T0_E_clISt17integral_constantIbLb0EES1B_IbLb1EEEEDaS17_S18_EUlS17_E_NS1_11comp_targetILNS1_3genE9ELNS1_11target_archE1100ELNS1_3gpuE3ELNS1_3repE0EEENS1_30default_config_static_selectorELNS0_4arch9wavefront6targetE1EEEvT1_.private_seg_size, 0
	.set _ZN7rocprim17ROCPRIM_400000_NS6detail17trampoline_kernelINS0_14default_configENS1_25partition_config_selectorILNS1_17partition_subalgoE8ElNS0_10empty_typeEbEEZZNS1_14partition_implILS5_8ELb0ES3_jPlPS6_PKS6_NS0_5tupleIJS9_S6_EEENSD_IJSA_SA_EEENS0_18inequality_wrapperIZN2at6native12_GLOBAL__N_124unique_dim_cuda_templateImEESt5tupleIJNSH_6TensorESM_SM_EERKSM_lbbbEUlllE0_EEPmJS6_EEE10hipError_tPvRmT3_T4_T5_T6_T7_T9_mT8_P12ihipStream_tbDpT10_ENKUlT_T0_E_clISt17integral_constantIbLb0EES1B_IbLb1EEEEDaS17_S18_EUlS17_E_NS1_11comp_targetILNS1_3genE9ELNS1_11target_archE1100ELNS1_3gpuE3ELNS1_3repE0EEENS1_30default_config_static_selectorELNS0_4arch9wavefront6targetE1EEEvT1_.uses_vcc, 0
	.set _ZN7rocprim17ROCPRIM_400000_NS6detail17trampoline_kernelINS0_14default_configENS1_25partition_config_selectorILNS1_17partition_subalgoE8ElNS0_10empty_typeEbEEZZNS1_14partition_implILS5_8ELb0ES3_jPlPS6_PKS6_NS0_5tupleIJS9_S6_EEENSD_IJSA_SA_EEENS0_18inequality_wrapperIZN2at6native12_GLOBAL__N_124unique_dim_cuda_templateImEESt5tupleIJNSH_6TensorESM_SM_EERKSM_lbbbEUlllE0_EEPmJS6_EEE10hipError_tPvRmT3_T4_T5_T6_T7_T9_mT8_P12ihipStream_tbDpT10_ENKUlT_T0_E_clISt17integral_constantIbLb0EES1B_IbLb1EEEEDaS17_S18_EUlS17_E_NS1_11comp_targetILNS1_3genE9ELNS1_11target_archE1100ELNS1_3gpuE3ELNS1_3repE0EEENS1_30default_config_static_selectorELNS0_4arch9wavefront6targetE1EEEvT1_.uses_flat_scratch, 0
	.set _ZN7rocprim17ROCPRIM_400000_NS6detail17trampoline_kernelINS0_14default_configENS1_25partition_config_selectorILNS1_17partition_subalgoE8ElNS0_10empty_typeEbEEZZNS1_14partition_implILS5_8ELb0ES3_jPlPS6_PKS6_NS0_5tupleIJS9_S6_EEENSD_IJSA_SA_EEENS0_18inequality_wrapperIZN2at6native12_GLOBAL__N_124unique_dim_cuda_templateImEESt5tupleIJNSH_6TensorESM_SM_EERKSM_lbbbEUlllE0_EEPmJS6_EEE10hipError_tPvRmT3_T4_T5_T6_T7_T9_mT8_P12ihipStream_tbDpT10_ENKUlT_T0_E_clISt17integral_constantIbLb0EES1B_IbLb1EEEEDaS17_S18_EUlS17_E_NS1_11comp_targetILNS1_3genE9ELNS1_11target_archE1100ELNS1_3gpuE3ELNS1_3repE0EEENS1_30default_config_static_selectorELNS0_4arch9wavefront6targetE1EEEvT1_.has_dyn_sized_stack, 0
	.set _ZN7rocprim17ROCPRIM_400000_NS6detail17trampoline_kernelINS0_14default_configENS1_25partition_config_selectorILNS1_17partition_subalgoE8ElNS0_10empty_typeEbEEZZNS1_14partition_implILS5_8ELb0ES3_jPlPS6_PKS6_NS0_5tupleIJS9_S6_EEENSD_IJSA_SA_EEENS0_18inequality_wrapperIZN2at6native12_GLOBAL__N_124unique_dim_cuda_templateImEESt5tupleIJNSH_6TensorESM_SM_EERKSM_lbbbEUlllE0_EEPmJS6_EEE10hipError_tPvRmT3_T4_T5_T6_T7_T9_mT8_P12ihipStream_tbDpT10_ENKUlT_T0_E_clISt17integral_constantIbLb0EES1B_IbLb1EEEEDaS17_S18_EUlS17_E_NS1_11comp_targetILNS1_3genE9ELNS1_11target_archE1100ELNS1_3gpuE3ELNS1_3repE0EEENS1_30default_config_static_selectorELNS0_4arch9wavefront6targetE1EEEvT1_.has_recursion, 0
	.set _ZN7rocprim17ROCPRIM_400000_NS6detail17trampoline_kernelINS0_14default_configENS1_25partition_config_selectorILNS1_17partition_subalgoE8ElNS0_10empty_typeEbEEZZNS1_14partition_implILS5_8ELb0ES3_jPlPS6_PKS6_NS0_5tupleIJS9_S6_EEENSD_IJSA_SA_EEENS0_18inequality_wrapperIZN2at6native12_GLOBAL__N_124unique_dim_cuda_templateImEESt5tupleIJNSH_6TensorESM_SM_EERKSM_lbbbEUlllE0_EEPmJS6_EEE10hipError_tPvRmT3_T4_T5_T6_T7_T9_mT8_P12ihipStream_tbDpT10_ENKUlT_T0_E_clISt17integral_constantIbLb0EES1B_IbLb1EEEEDaS17_S18_EUlS17_E_NS1_11comp_targetILNS1_3genE9ELNS1_11target_archE1100ELNS1_3gpuE3ELNS1_3repE0EEENS1_30default_config_static_selectorELNS0_4arch9wavefront6targetE1EEEvT1_.has_indirect_call, 0
	.section	.AMDGPU.csdata,"",@progbits
; Kernel info:
; codeLenInByte = 0
; TotalNumSgprs: 6
; NumVgprs: 0
; NumAgprs: 0
; TotalNumVgprs: 0
; ScratchSize: 0
; MemoryBound: 0
; FloatMode: 240
; IeeeMode: 1
; LDSByteSize: 0 bytes/workgroup (compile time only)
; SGPRBlocks: 0
; VGPRBlocks: 0
; NumSGPRsForWavesPerEU: 6
; NumVGPRsForWavesPerEU: 1
; AccumOffset: 4
; Occupancy: 8
; WaveLimiterHint : 0
; COMPUTE_PGM_RSRC2:SCRATCH_EN: 0
; COMPUTE_PGM_RSRC2:USER_SGPR: 2
; COMPUTE_PGM_RSRC2:TRAP_HANDLER: 0
; COMPUTE_PGM_RSRC2:TGID_X_EN: 1
; COMPUTE_PGM_RSRC2:TGID_Y_EN: 0
; COMPUTE_PGM_RSRC2:TGID_Z_EN: 0
; COMPUTE_PGM_RSRC2:TIDIG_COMP_CNT: 0
; COMPUTE_PGM_RSRC3_GFX90A:ACCUM_OFFSET: 0
; COMPUTE_PGM_RSRC3_GFX90A:TG_SPLIT: 0
	.section	.text._ZN7rocprim17ROCPRIM_400000_NS6detail17trampoline_kernelINS0_14default_configENS1_25partition_config_selectorILNS1_17partition_subalgoE8ElNS0_10empty_typeEbEEZZNS1_14partition_implILS5_8ELb0ES3_jPlPS6_PKS6_NS0_5tupleIJS9_S6_EEENSD_IJSA_SA_EEENS0_18inequality_wrapperIZN2at6native12_GLOBAL__N_124unique_dim_cuda_templateImEESt5tupleIJNSH_6TensorESM_SM_EERKSM_lbbbEUlllE0_EEPmJS6_EEE10hipError_tPvRmT3_T4_T5_T6_T7_T9_mT8_P12ihipStream_tbDpT10_ENKUlT_T0_E_clISt17integral_constantIbLb0EES1B_IbLb1EEEEDaS17_S18_EUlS17_E_NS1_11comp_targetILNS1_3genE8ELNS1_11target_archE1030ELNS1_3gpuE2ELNS1_3repE0EEENS1_30default_config_static_selectorELNS0_4arch9wavefront6targetE1EEEvT1_,"axG",@progbits,_ZN7rocprim17ROCPRIM_400000_NS6detail17trampoline_kernelINS0_14default_configENS1_25partition_config_selectorILNS1_17partition_subalgoE8ElNS0_10empty_typeEbEEZZNS1_14partition_implILS5_8ELb0ES3_jPlPS6_PKS6_NS0_5tupleIJS9_S6_EEENSD_IJSA_SA_EEENS0_18inequality_wrapperIZN2at6native12_GLOBAL__N_124unique_dim_cuda_templateImEESt5tupleIJNSH_6TensorESM_SM_EERKSM_lbbbEUlllE0_EEPmJS6_EEE10hipError_tPvRmT3_T4_T5_T6_T7_T9_mT8_P12ihipStream_tbDpT10_ENKUlT_T0_E_clISt17integral_constantIbLb0EES1B_IbLb1EEEEDaS17_S18_EUlS17_E_NS1_11comp_targetILNS1_3genE8ELNS1_11target_archE1030ELNS1_3gpuE2ELNS1_3repE0EEENS1_30default_config_static_selectorELNS0_4arch9wavefront6targetE1EEEvT1_,comdat
	.globl	_ZN7rocprim17ROCPRIM_400000_NS6detail17trampoline_kernelINS0_14default_configENS1_25partition_config_selectorILNS1_17partition_subalgoE8ElNS0_10empty_typeEbEEZZNS1_14partition_implILS5_8ELb0ES3_jPlPS6_PKS6_NS0_5tupleIJS9_S6_EEENSD_IJSA_SA_EEENS0_18inequality_wrapperIZN2at6native12_GLOBAL__N_124unique_dim_cuda_templateImEESt5tupleIJNSH_6TensorESM_SM_EERKSM_lbbbEUlllE0_EEPmJS6_EEE10hipError_tPvRmT3_T4_T5_T6_T7_T9_mT8_P12ihipStream_tbDpT10_ENKUlT_T0_E_clISt17integral_constantIbLb0EES1B_IbLb1EEEEDaS17_S18_EUlS17_E_NS1_11comp_targetILNS1_3genE8ELNS1_11target_archE1030ELNS1_3gpuE2ELNS1_3repE0EEENS1_30default_config_static_selectorELNS0_4arch9wavefront6targetE1EEEvT1_ ; -- Begin function _ZN7rocprim17ROCPRIM_400000_NS6detail17trampoline_kernelINS0_14default_configENS1_25partition_config_selectorILNS1_17partition_subalgoE8ElNS0_10empty_typeEbEEZZNS1_14partition_implILS5_8ELb0ES3_jPlPS6_PKS6_NS0_5tupleIJS9_S6_EEENSD_IJSA_SA_EEENS0_18inequality_wrapperIZN2at6native12_GLOBAL__N_124unique_dim_cuda_templateImEESt5tupleIJNSH_6TensorESM_SM_EERKSM_lbbbEUlllE0_EEPmJS6_EEE10hipError_tPvRmT3_T4_T5_T6_T7_T9_mT8_P12ihipStream_tbDpT10_ENKUlT_T0_E_clISt17integral_constantIbLb0EES1B_IbLb1EEEEDaS17_S18_EUlS17_E_NS1_11comp_targetILNS1_3genE8ELNS1_11target_archE1030ELNS1_3gpuE2ELNS1_3repE0EEENS1_30default_config_static_selectorELNS0_4arch9wavefront6targetE1EEEvT1_
	.p2align	8
	.type	_ZN7rocprim17ROCPRIM_400000_NS6detail17trampoline_kernelINS0_14default_configENS1_25partition_config_selectorILNS1_17partition_subalgoE8ElNS0_10empty_typeEbEEZZNS1_14partition_implILS5_8ELb0ES3_jPlPS6_PKS6_NS0_5tupleIJS9_S6_EEENSD_IJSA_SA_EEENS0_18inequality_wrapperIZN2at6native12_GLOBAL__N_124unique_dim_cuda_templateImEESt5tupleIJNSH_6TensorESM_SM_EERKSM_lbbbEUlllE0_EEPmJS6_EEE10hipError_tPvRmT3_T4_T5_T6_T7_T9_mT8_P12ihipStream_tbDpT10_ENKUlT_T0_E_clISt17integral_constantIbLb0EES1B_IbLb1EEEEDaS17_S18_EUlS17_E_NS1_11comp_targetILNS1_3genE8ELNS1_11target_archE1030ELNS1_3gpuE2ELNS1_3repE0EEENS1_30default_config_static_selectorELNS0_4arch9wavefront6targetE1EEEvT1_,@function
_ZN7rocprim17ROCPRIM_400000_NS6detail17trampoline_kernelINS0_14default_configENS1_25partition_config_selectorILNS1_17partition_subalgoE8ElNS0_10empty_typeEbEEZZNS1_14partition_implILS5_8ELb0ES3_jPlPS6_PKS6_NS0_5tupleIJS9_S6_EEENSD_IJSA_SA_EEENS0_18inequality_wrapperIZN2at6native12_GLOBAL__N_124unique_dim_cuda_templateImEESt5tupleIJNSH_6TensorESM_SM_EERKSM_lbbbEUlllE0_EEPmJS6_EEE10hipError_tPvRmT3_T4_T5_T6_T7_T9_mT8_P12ihipStream_tbDpT10_ENKUlT_T0_E_clISt17integral_constantIbLb0EES1B_IbLb1EEEEDaS17_S18_EUlS17_E_NS1_11comp_targetILNS1_3genE8ELNS1_11target_archE1030ELNS1_3gpuE2ELNS1_3repE0EEENS1_30default_config_static_selectorELNS0_4arch9wavefront6targetE1EEEvT1_: ; @_ZN7rocprim17ROCPRIM_400000_NS6detail17trampoline_kernelINS0_14default_configENS1_25partition_config_selectorILNS1_17partition_subalgoE8ElNS0_10empty_typeEbEEZZNS1_14partition_implILS5_8ELb0ES3_jPlPS6_PKS6_NS0_5tupleIJS9_S6_EEENSD_IJSA_SA_EEENS0_18inequality_wrapperIZN2at6native12_GLOBAL__N_124unique_dim_cuda_templateImEESt5tupleIJNSH_6TensorESM_SM_EERKSM_lbbbEUlllE0_EEPmJS6_EEE10hipError_tPvRmT3_T4_T5_T6_T7_T9_mT8_P12ihipStream_tbDpT10_ENKUlT_T0_E_clISt17integral_constantIbLb0EES1B_IbLb1EEEEDaS17_S18_EUlS17_E_NS1_11comp_targetILNS1_3genE8ELNS1_11target_archE1030ELNS1_3gpuE2ELNS1_3repE0EEENS1_30default_config_static_selectorELNS0_4arch9wavefront6targetE1EEEvT1_
; %bb.0:
	.section	.rodata,"a",@progbits
	.p2align	6, 0x0
	.amdhsa_kernel _ZN7rocprim17ROCPRIM_400000_NS6detail17trampoline_kernelINS0_14default_configENS1_25partition_config_selectorILNS1_17partition_subalgoE8ElNS0_10empty_typeEbEEZZNS1_14partition_implILS5_8ELb0ES3_jPlPS6_PKS6_NS0_5tupleIJS9_S6_EEENSD_IJSA_SA_EEENS0_18inequality_wrapperIZN2at6native12_GLOBAL__N_124unique_dim_cuda_templateImEESt5tupleIJNSH_6TensorESM_SM_EERKSM_lbbbEUlllE0_EEPmJS6_EEE10hipError_tPvRmT3_T4_T5_T6_T7_T9_mT8_P12ihipStream_tbDpT10_ENKUlT_T0_E_clISt17integral_constantIbLb0EES1B_IbLb1EEEEDaS17_S18_EUlS17_E_NS1_11comp_targetILNS1_3genE8ELNS1_11target_archE1030ELNS1_3gpuE2ELNS1_3repE0EEENS1_30default_config_static_selectorELNS0_4arch9wavefront6targetE1EEEvT1_
		.amdhsa_group_segment_fixed_size 0
		.amdhsa_private_segment_fixed_size 0
		.amdhsa_kernarg_size 136
		.amdhsa_user_sgpr_count 2
		.amdhsa_user_sgpr_dispatch_ptr 0
		.amdhsa_user_sgpr_queue_ptr 0
		.amdhsa_user_sgpr_kernarg_segment_ptr 1
		.amdhsa_user_sgpr_dispatch_id 0
		.amdhsa_user_sgpr_kernarg_preload_length 0
		.amdhsa_user_sgpr_kernarg_preload_offset 0
		.amdhsa_user_sgpr_private_segment_size 0
		.amdhsa_uses_dynamic_stack 0
		.amdhsa_enable_private_segment 0
		.amdhsa_system_sgpr_workgroup_id_x 1
		.amdhsa_system_sgpr_workgroup_id_y 0
		.amdhsa_system_sgpr_workgroup_id_z 0
		.amdhsa_system_sgpr_workgroup_info 0
		.amdhsa_system_vgpr_workitem_id 0
		.amdhsa_next_free_vgpr 1
		.amdhsa_next_free_sgpr 0
		.amdhsa_accum_offset 4
		.amdhsa_reserve_vcc 0
		.amdhsa_float_round_mode_32 0
		.amdhsa_float_round_mode_16_64 0
		.amdhsa_float_denorm_mode_32 3
		.amdhsa_float_denorm_mode_16_64 3
		.amdhsa_dx10_clamp 1
		.amdhsa_ieee_mode 1
		.amdhsa_fp16_overflow 0
		.amdhsa_tg_split 0
		.amdhsa_exception_fp_ieee_invalid_op 0
		.amdhsa_exception_fp_denorm_src 0
		.amdhsa_exception_fp_ieee_div_zero 0
		.amdhsa_exception_fp_ieee_overflow 0
		.amdhsa_exception_fp_ieee_underflow 0
		.amdhsa_exception_fp_ieee_inexact 0
		.amdhsa_exception_int_div_zero 0
	.end_amdhsa_kernel
	.section	.text._ZN7rocprim17ROCPRIM_400000_NS6detail17trampoline_kernelINS0_14default_configENS1_25partition_config_selectorILNS1_17partition_subalgoE8ElNS0_10empty_typeEbEEZZNS1_14partition_implILS5_8ELb0ES3_jPlPS6_PKS6_NS0_5tupleIJS9_S6_EEENSD_IJSA_SA_EEENS0_18inequality_wrapperIZN2at6native12_GLOBAL__N_124unique_dim_cuda_templateImEESt5tupleIJNSH_6TensorESM_SM_EERKSM_lbbbEUlllE0_EEPmJS6_EEE10hipError_tPvRmT3_T4_T5_T6_T7_T9_mT8_P12ihipStream_tbDpT10_ENKUlT_T0_E_clISt17integral_constantIbLb0EES1B_IbLb1EEEEDaS17_S18_EUlS17_E_NS1_11comp_targetILNS1_3genE8ELNS1_11target_archE1030ELNS1_3gpuE2ELNS1_3repE0EEENS1_30default_config_static_selectorELNS0_4arch9wavefront6targetE1EEEvT1_,"axG",@progbits,_ZN7rocprim17ROCPRIM_400000_NS6detail17trampoline_kernelINS0_14default_configENS1_25partition_config_selectorILNS1_17partition_subalgoE8ElNS0_10empty_typeEbEEZZNS1_14partition_implILS5_8ELb0ES3_jPlPS6_PKS6_NS0_5tupleIJS9_S6_EEENSD_IJSA_SA_EEENS0_18inequality_wrapperIZN2at6native12_GLOBAL__N_124unique_dim_cuda_templateImEESt5tupleIJNSH_6TensorESM_SM_EERKSM_lbbbEUlllE0_EEPmJS6_EEE10hipError_tPvRmT3_T4_T5_T6_T7_T9_mT8_P12ihipStream_tbDpT10_ENKUlT_T0_E_clISt17integral_constantIbLb0EES1B_IbLb1EEEEDaS17_S18_EUlS17_E_NS1_11comp_targetILNS1_3genE8ELNS1_11target_archE1030ELNS1_3gpuE2ELNS1_3repE0EEENS1_30default_config_static_selectorELNS0_4arch9wavefront6targetE1EEEvT1_,comdat
.Lfunc_end1694:
	.size	_ZN7rocprim17ROCPRIM_400000_NS6detail17trampoline_kernelINS0_14default_configENS1_25partition_config_selectorILNS1_17partition_subalgoE8ElNS0_10empty_typeEbEEZZNS1_14partition_implILS5_8ELb0ES3_jPlPS6_PKS6_NS0_5tupleIJS9_S6_EEENSD_IJSA_SA_EEENS0_18inequality_wrapperIZN2at6native12_GLOBAL__N_124unique_dim_cuda_templateImEESt5tupleIJNSH_6TensorESM_SM_EERKSM_lbbbEUlllE0_EEPmJS6_EEE10hipError_tPvRmT3_T4_T5_T6_T7_T9_mT8_P12ihipStream_tbDpT10_ENKUlT_T0_E_clISt17integral_constantIbLb0EES1B_IbLb1EEEEDaS17_S18_EUlS17_E_NS1_11comp_targetILNS1_3genE8ELNS1_11target_archE1030ELNS1_3gpuE2ELNS1_3repE0EEENS1_30default_config_static_selectorELNS0_4arch9wavefront6targetE1EEEvT1_, .Lfunc_end1694-_ZN7rocprim17ROCPRIM_400000_NS6detail17trampoline_kernelINS0_14default_configENS1_25partition_config_selectorILNS1_17partition_subalgoE8ElNS0_10empty_typeEbEEZZNS1_14partition_implILS5_8ELb0ES3_jPlPS6_PKS6_NS0_5tupleIJS9_S6_EEENSD_IJSA_SA_EEENS0_18inequality_wrapperIZN2at6native12_GLOBAL__N_124unique_dim_cuda_templateImEESt5tupleIJNSH_6TensorESM_SM_EERKSM_lbbbEUlllE0_EEPmJS6_EEE10hipError_tPvRmT3_T4_T5_T6_T7_T9_mT8_P12ihipStream_tbDpT10_ENKUlT_T0_E_clISt17integral_constantIbLb0EES1B_IbLb1EEEEDaS17_S18_EUlS17_E_NS1_11comp_targetILNS1_3genE8ELNS1_11target_archE1030ELNS1_3gpuE2ELNS1_3repE0EEENS1_30default_config_static_selectorELNS0_4arch9wavefront6targetE1EEEvT1_
                                        ; -- End function
	.set _ZN7rocprim17ROCPRIM_400000_NS6detail17trampoline_kernelINS0_14default_configENS1_25partition_config_selectorILNS1_17partition_subalgoE8ElNS0_10empty_typeEbEEZZNS1_14partition_implILS5_8ELb0ES3_jPlPS6_PKS6_NS0_5tupleIJS9_S6_EEENSD_IJSA_SA_EEENS0_18inequality_wrapperIZN2at6native12_GLOBAL__N_124unique_dim_cuda_templateImEESt5tupleIJNSH_6TensorESM_SM_EERKSM_lbbbEUlllE0_EEPmJS6_EEE10hipError_tPvRmT3_T4_T5_T6_T7_T9_mT8_P12ihipStream_tbDpT10_ENKUlT_T0_E_clISt17integral_constantIbLb0EES1B_IbLb1EEEEDaS17_S18_EUlS17_E_NS1_11comp_targetILNS1_3genE8ELNS1_11target_archE1030ELNS1_3gpuE2ELNS1_3repE0EEENS1_30default_config_static_selectorELNS0_4arch9wavefront6targetE1EEEvT1_.num_vgpr, 0
	.set _ZN7rocprim17ROCPRIM_400000_NS6detail17trampoline_kernelINS0_14default_configENS1_25partition_config_selectorILNS1_17partition_subalgoE8ElNS0_10empty_typeEbEEZZNS1_14partition_implILS5_8ELb0ES3_jPlPS6_PKS6_NS0_5tupleIJS9_S6_EEENSD_IJSA_SA_EEENS0_18inequality_wrapperIZN2at6native12_GLOBAL__N_124unique_dim_cuda_templateImEESt5tupleIJNSH_6TensorESM_SM_EERKSM_lbbbEUlllE0_EEPmJS6_EEE10hipError_tPvRmT3_T4_T5_T6_T7_T9_mT8_P12ihipStream_tbDpT10_ENKUlT_T0_E_clISt17integral_constantIbLb0EES1B_IbLb1EEEEDaS17_S18_EUlS17_E_NS1_11comp_targetILNS1_3genE8ELNS1_11target_archE1030ELNS1_3gpuE2ELNS1_3repE0EEENS1_30default_config_static_selectorELNS0_4arch9wavefront6targetE1EEEvT1_.num_agpr, 0
	.set _ZN7rocprim17ROCPRIM_400000_NS6detail17trampoline_kernelINS0_14default_configENS1_25partition_config_selectorILNS1_17partition_subalgoE8ElNS0_10empty_typeEbEEZZNS1_14partition_implILS5_8ELb0ES3_jPlPS6_PKS6_NS0_5tupleIJS9_S6_EEENSD_IJSA_SA_EEENS0_18inequality_wrapperIZN2at6native12_GLOBAL__N_124unique_dim_cuda_templateImEESt5tupleIJNSH_6TensorESM_SM_EERKSM_lbbbEUlllE0_EEPmJS6_EEE10hipError_tPvRmT3_T4_T5_T6_T7_T9_mT8_P12ihipStream_tbDpT10_ENKUlT_T0_E_clISt17integral_constantIbLb0EES1B_IbLb1EEEEDaS17_S18_EUlS17_E_NS1_11comp_targetILNS1_3genE8ELNS1_11target_archE1030ELNS1_3gpuE2ELNS1_3repE0EEENS1_30default_config_static_selectorELNS0_4arch9wavefront6targetE1EEEvT1_.numbered_sgpr, 0
	.set _ZN7rocprim17ROCPRIM_400000_NS6detail17trampoline_kernelINS0_14default_configENS1_25partition_config_selectorILNS1_17partition_subalgoE8ElNS0_10empty_typeEbEEZZNS1_14partition_implILS5_8ELb0ES3_jPlPS6_PKS6_NS0_5tupleIJS9_S6_EEENSD_IJSA_SA_EEENS0_18inequality_wrapperIZN2at6native12_GLOBAL__N_124unique_dim_cuda_templateImEESt5tupleIJNSH_6TensorESM_SM_EERKSM_lbbbEUlllE0_EEPmJS6_EEE10hipError_tPvRmT3_T4_T5_T6_T7_T9_mT8_P12ihipStream_tbDpT10_ENKUlT_T0_E_clISt17integral_constantIbLb0EES1B_IbLb1EEEEDaS17_S18_EUlS17_E_NS1_11comp_targetILNS1_3genE8ELNS1_11target_archE1030ELNS1_3gpuE2ELNS1_3repE0EEENS1_30default_config_static_selectorELNS0_4arch9wavefront6targetE1EEEvT1_.num_named_barrier, 0
	.set _ZN7rocprim17ROCPRIM_400000_NS6detail17trampoline_kernelINS0_14default_configENS1_25partition_config_selectorILNS1_17partition_subalgoE8ElNS0_10empty_typeEbEEZZNS1_14partition_implILS5_8ELb0ES3_jPlPS6_PKS6_NS0_5tupleIJS9_S6_EEENSD_IJSA_SA_EEENS0_18inequality_wrapperIZN2at6native12_GLOBAL__N_124unique_dim_cuda_templateImEESt5tupleIJNSH_6TensorESM_SM_EERKSM_lbbbEUlllE0_EEPmJS6_EEE10hipError_tPvRmT3_T4_T5_T6_T7_T9_mT8_P12ihipStream_tbDpT10_ENKUlT_T0_E_clISt17integral_constantIbLb0EES1B_IbLb1EEEEDaS17_S18_EUlS17_E_NS1_11comp_targetILNS1_3genE8ELNS1_11target_archE1030ELNS1_3gpuE2ELNS1_3repE0EEENS1_30default_config_static_selectorELNS0_4arch9wavefront6targetE1EEEvT1_.private_seg_size, 0
	.set _ZN7rocprim17ROCPRIM_400000_NS6detail17trampoline_kernelINS0_14default_configENS1_25partition_config_selectorILNS1_17partition_subalgoE8ElNS0_10empty_typeEbEEZZNS1_14partition_implILS5_8ELb0ES3_jPlPS6_PKS6_NS0_5tupleIJS9_S6_EEENSD_IJSA_SA_EEENS0_18inequality_wrapperIZN2at6native12_GLOBAL__N_124unique_dim_cuda_templateImEESt5tupleIJNSH_6TensorESM_SM_EERKSM_lbbbEUlllE0_EEPmJS6_EEE10hipError_tPvRmT3_T4_T5_T6_T7_T9_mT8_P12ihipStream_tbDpT10_ENKUlT_T0_E_clISt17integral_constantIbLb0EES1B_IbLb1EEEEDaS17_S18_EUlS17_E_NS1_11comp_targetILNS1_3genE8ELNS1_11target_archE1030ELNS1_3gpuE2ELNS1_3repE0EEENS1_30default_config_static_selectorELNS0_4arch9wavefront6targetE1EEEvT1_.uses_vcc, 0
	.set _ZN7rocprim17ROCPRIM_400000_NS6detail17trampoline_kernelINS0_14default_configENS1_25partition_config_selectorILNS1_17partition_subalgoE8ElNS0_10empty_typeEbEEZZNS1_14partition_implILS5_8ELb0ES3_jPlPS6_PKS6_NS0_5tupleIJS9_S6_EEENSD_IJSA_SA_EEENS0_18inequality_wrapperIZN2at6native12_GLOBAL__N_124unique_dim_cuda_templateImEESt5tupleIJNSH_6TensorESM_SM_EERKSM_lbbbEUlllE0_EEPmJS6_EEE10hipError_tPvRmT3_T4_T5_T6_T7_T9_mT8_P12ihipStream_tbDpT10_ENKUlT_T0_E_clISt17integral_constantIbLb0EES1B_IbLb1EEEEDaS17_S18_EUlS17_E_NS1_11comp_targetILNS1_3genE8ELNS1_11target_archE1030ELNS1_3gpuE2ELNS1_3repE0EEENS1_30default_config_static_selectorELNS0_4arch9wavefront6targetE1EEEvT1_.uses_flat_scratch, 0
	.set _ZN7rocprim17ROCPRIM_400000_NS6detail17trampoline_kernelINS0_14default_configENS1_25partition_config_selectorILNS1_17partition_subalgoE8ElNS0_10empty_typeEbEEZZNS1_14partition_implILS5_8ELb0ES3_jPlPS6_PKS6_NS0_5tupleIJS9_S6_EEENSD_IJSA_SA_EEENS0_18inequality_wrapperIZN2at6native12_GLOBAL__N_124unique_dim_cuda_templateImEESt5tupleIJNSH_6TensorESM_SM_EERKSM_lbbbEUlllE0_EEPmJS6_EEE10hipError_tPvRmT3_T4_T5_T6_T7_T9_mT8_P12ihipStream_tbDpT10_ENKUlT_T0_E_clISt17integral_constantIbLb0EES1B_IbLb1EEEEDaS17_S18_EUlS17_E_NS1_11comp_targetILNS1_3genE8ELNS1_11target_archE1030ELNS1_3gpuE2ELNS1_3repE0EEENS1_30default_config_static_selectorELNS0_4arch9wavefront6targetE1EEEvT1_.has_dyn_sized_stack, 0
	.set _ZN7rocprim17ROCPRIM_400000_NS6detail17trampoline_kernelINS0_14default_configENS1_25partition_config_selectorILNS1_17partition_subalgoE8ElNS0_10empty_typeEbEEZZNS1_14partition_implILS5_8ELb0ES3_jPlPS6_PKS6_NS0_5tupleIJS9_S6_EEENSD_IJSA_SA_EEENS0_18inequality_wrapperIZN2at6native12_GLOBAL__N_124unique_dim_cuda_templateImEESt5tupleIJNSH_6TensorESM_SM_EERKSM_lbbbEUlllE0_EEPmJS6_EEE10hipError_tPvRmT3_T4_T5_T6_T7_T9_mT8_P12ihipStream_tbDpT10_ENKUlT_T0_E_clISt17integral_constantIbLb0EES1B_IbLb1EEEEDaS17_S18_EUlS17_E_NS1_11comp_targetILNS1_3genE8ELNS1_11target_archE1030ELNS1_3gpuE2ELNS1_3repE0EEENS1_30default_config_static_selectorELNS0_4arch9wavefront6targetE1EEEvT1_.has_recursion, 0
	.set _ZN7rocprim17ROCPRIM_400000_NS6detail17trampoline_kernelINS0_14default_configENS1_25partition_config_selectorILNS1_17partition_subalgoE8ElNS0_10empty_typeEbEEZZNS1_14partition_implILS5_8ELb0ES3_jPlPS6_PKS6_NS0_5tupleIJS9_S6_EEENSD_IJSA_SA_EEENS0_18inequality_wrapperIZN2at6native12_GLOBAL__N_124unique_dim_cuda_templateImEESt5tupleIJNSH_6TensorESM_SM_EERKSM_lbbbEUlllE0_EEPmJS6_EEE10hipError_tPvRmT3_T4_T5_T6_T7_T9_mT8_P12ihipStream_tbDpT10_ENKUlT_T0_E_clISt17integral_constantIbLb0EES1B_IbLb1EEEEDaS17_S18_EUlS17_E_NS1_11comp_targetILNS1_3genE8ELNS1_11target_archE1030ELNS1_3gpuE2ELNS1_3repE0EEENS1_30default_config_static_selectorELNS0_4arch9wavefront6targetE1EEEvT1_.has_indirect_call, 0
	.section	.AMDGPU.csdata,"",@progbits
; Kernel info:
; codeLenInByte = 0
; TotalNumSgprs: 6
; NumVgprs: 0
; NumAgprs: 0
; TotalNumVgprs: 0
; ScratchSize: 0
; MemoryBound: 0
; FloatMode: 240
; IeeeMode: 1
; LDSByteSize: 0 bytes/workgroup (compile time only)
; SGPRBlocks: 0
; VGPRBlocks: 0
; NumSGPRsForWavesPerEU: 6
; NumVGPRsForWavesPerEU: 1
; AccumOffset: 4
; Occupancy: 8
; WaveLimiterHint : 0
; COMPUTE_PGM_RSRC2:SCRATCH_EN: 0
; COMPUTE_PGM_RSRC2:USER_SGPR: 2
; COMPUTE_PGM_RSRC2:TRAP_HANDLER: 0
; COMPUTE_PGM_RSRC2:TGID_X_EN: 1
; COMPUTE_PGM_RSRC2:TGID_Y_EN: 0
; COMPUTE_PGM_RSRC2:TGID_Z_EN: 0
; COMPUTE_PGM_RSRC2:TIDIG_COMP_CNT: 0
; COMPUTE_PGM_RSRC3_GFX90A:ACCUM_OFFSET: 0
; COMPUTE_PGM_RSRC3_GFX90A:TG_SPLIT: 0
	.section	.text._ZN7rocprim17ROCPRIM_400000_NS6detail17trampoline_kernelINS0_14default_configENS1_25partition_config_selectorILNS1_17partition_subalgoE9EllbEEZZNS1_14partition_implILS5_9ELb0ES3_jPlS8_PNS0_10empty_typeENS0_5tupleIJS8_S9_EEENSB_IJS8_SA_EEENS0_18inequality_wrapperIZN2at6native12_GLOBAL__N_124unique_dim_cuda_templateImEESt5tupleIJNSF_6TensorESK_SK_EERKSK_lbbbEUlllE0_EEPmJS9_EEE10hipError_tPvRmT3_T4_T5_T6_T7_T9_mT8_P12ihipStream_tbDpT10_ENKUlT_T0_E_clISt17integral_constantIbLb0EES1A_EEDaS15_S16_EUlS15_E_NS1_11comp_targetILNS1_3genE0ELNS1_11target_archE4294967295ELNS1_3gpuE0ELNS1_3repE0EEENS1_30default_config_static_selectorELNS0_4arch9wavefront6targetE1EEEvT1_,"axG",@progbits,_ZN7rocprim17ROCPRIM_400000_NS6detail17trampoline_kernelINS0_14default_configENS1_25partition_config_selectorILNS1_17partition_subalgoE9EllbEEZZNS1_14partition_implILS5_9ELb0ES3_jPlS8_PNS0_10empty_typeENS0_5tupleIJS8_S9_EEENSB_IJS8_SA_EEENS0_18inequality_wrapperIZN2at6native12_GLOBAL__N_124unique_dim_cuda_templateImEESt5tupleIJNSF_6TensorESK_SK_EERKSK_lbbbEUlllE0_EEPmJS9_EEE10hipError_tPvRmT3_T4_T5_T6_T7_T9_mT8_P12ihipStream_tbDpT10_ENKUlT_T0_E_clISt17integral_constantIbLb0EES1A_EEDaS15_S16_EUlS15_E_NS1_11comp_targetILNS1_3genE0ELNS1_11target_archE4294967295ELNS1_3gpuE0ELNS1_3repE0EEENS1_30default_config_static_selectorELNS0_4arch9wavefront6targetE1EEEvT1_,comdat
	.globl	_ZN7rocprim17ROCPRIM_400000_NS6detail17trampoline_kernelINS0_14default_configENS1_25partition_config_selectorILNS1_17partition_subalgoE9EllbEEZZNS1_14partition_implILS5_9ELb0ES3_jPlS8_PNS0_10empty_typeENS0_5tupleIJS8_S9_EEENSB_IJS8_SA_EEENS0_18inequality_wrapperIZN2at6native12_GLOBAL__N_124unique_dim_cuda_templateImEESt5tupleIJNSF_6TensorESK_SK_EERKSK_lbbbEUlllE0_EEPmJS9_EEE10hipError_tPvRmT3_T4_T5_T6_T7_T9_mT8_P12ihipStream_tbDpT10_ENKUlT_T0_E_clISt17integral_constantIbLb0EES1A_EEDaS15_S16_EUlS15_E_NS1_11comp_targetILNS1_3genE0ELNS1_11target_archE4294967295ELNS1_3gpuE0ELNS1_3repE0EEENS1_30default_config_static_selectorELNS0_4arch9wavefront6targetE1EEEvT1_ ; -- Begin function _ZN7rocprim17ROCPRIM_400000_NS6detail17trampoline_kernelINS0_14default_configENS1_25partition_config_selectorILNS1_17partition_subalgoE9EllbEEZZNS1_14partition_implILS5_9ELb0ES3_jPlS8_PNS0_10empty_typeENS0_5tupleIJS8_S9_EEENSB_IJS8_SA_EEENS0_18inequality_wrapperIZN2at6native12_GLOBAL__N_124unique_dim_cuda_templateImEESt5tupleIJNSF_6TensorESK_SK_EERKSK_lbbbEUlllE0_EEPmJS9_EEE10hipError_tPvRmT3_T4_T5_T6_T7_T9_mT8_P12ihipStream_tbDpT10_ENKUlT_T0_E_clISt17integral_constantIbLb0EES1A_EEDaS15_S16_EUlS15_E_NS1_11comp_targetILNS1_3genE0ELNS1_11target_archE4294967295ELNS1_3gpuE0ELNS1_3repE0EEENS1_30default_config_static_selectorELNS0_4arch9wavefront6targetE1EEEvT1_
	.p2align	8
	.type	_ZN7rocprim17ROCPRIM_400000_NS6detail17trampoline_kernelINS0_14default_configENS1_25partition_config_selectorILNS1_17partition_subalgoE9EllbEEZZNS1_14partition_implILS5_9ELb0ES3_jPlS8_PNS0_10empty_typeENS0_5tupleIJS8_S9_EEENSB_IJS8_SA_EEENS0_18inequality_wrapperIZN2at6native12_GLOBAL__N_124unique_dim_cuda_templateImEESt5tupleIJNSF_6TensorESK_SK_EERKSK_lbbbEUlllE0_EEPmJS9_EEE10hipError_tPvRmT3_T4_T5_T6_T7_T9_mT8_P12ihipStream_tbDpT10_ENKUlT_T0_E_clISt17integral_constantIbLb0EES1A_EEDaS15_S16_EUlS15_E_NS1_11comp_targetILNS1_3genE0ELNS1_11target_archE4294967295ELNS1_3gpuE0ELNS1_3repE0EEENS1_30default_config_static_selectorELNS0_4arch9wavefront6targetE1EEEvT1_,@function
_ZN7rocprim17ROCPRIM_400000_NS6detail17trampoline_kernelINS0_14default_configENS1_25partition_config_selectorILNS1_17partition_subalgoE9EllbEEZZNS1_14partition_implILS5_9ELb0ES3_jPlS8_PNS0_10empty_typeENS0_5tupleIJS8_S9_EEENSB_IJS8_SA_EEENS0_18inequality_wrapperIZN2at6native12_GLOBAL__N_124unique_dim_cuda_templateImEESt5tupleIJNSF_6TensorESK_SK_EERKSK_lbbbEUlllE0_EEPmJS9_EEE10hipError_tPvRmT3_T4_T5_T6_T7_T9_mT8_P12ihipStream_tbDpT10_ENKUlT_T0_E_clISt17integral_constantIbLb0EES1A_EEDaS15_S16_EUlS15_E_NS1_11comp_targetILNS1_3genE0ELNS1_11target_archE4294967295ELNS1_3gpuE0ELNS1_3repE0EEENS1_30default_config_static_selectorELNS0_4arch9wavefront6targetE1EEEvT1_: ; @_ZN7rocprim17ROCPRIM_400000_NS6detail17trampoline_kernelINS0_14default_configENS1_25partition_config_selectorILNS1_17partition_subalgoE9EllbEEZZNS1_14partition_implILS5_9ELb0ES3_jPlS8_PNS0_10empty_typeENS0_5tupleIJS8_S9_EEENSB_IJS8_SA_EEENS0_18inequality_wrapperIZN2at6native12_GLOBAL__N_124unique_dim_cuda_templateImEESt5tupleIJNSF_6TensorESK_SK_EERKSK_lbbbEUlllE0_EEPmJS9_EEE10hipError_tPvRmT3_T4_T5_T6_T7_T9_mT8_P12ihipStream_tbDpT10_ENKUlT_T0_E_clISt17integral_constantIbLb0EES1A_EEDaS15_S16_EUlS15_E_NS1_11comp_targetILNS1_3genE0ELNS1_11target_archE4294967295ELNS1_3gpuE0ELNS1_3repE0EEENS1_30default_config_static_selectorELNS0_4arch9wavefront6targetE1EEEvT1_
; %bb.0:
	s_load_dwordx4 s[4:7], s[0:1], 0x8
	s_load_dwordx2 s[10:11], s[0:1], 0x18
	s_load_dwordx8 s[24:31], s[0:1], 0x40
	s_load_dword s3, s[0:1], 0x70
	s_mul_i32 s12, s2, 0x280
	s_waitcnt lgkmcnt(0)
	s_lshl_b64 s[14:15], s[6:7], 3
	s_add_u32 s18, s4, s14
	s_addc_u32 s19, s5, s15
	s_mul_i32 s4, s3, 0x280
	s_add_i32 s8, s3, -1
	s_add_i32 s3, s4, s6
	s_sub_i32 s3, s28, s3
	s_addk_i32 s3, 0x280
	s_add_u32 s4, s6, s4
	s_addc_u32 s5, s7, 0
	v_mov_b64_e32 v[2:3], s[4:5]
	s_cmp_eq_u32 s2, s8
	s_load_dwordx2 s[26:27], s[26:27], 0x0
	v_cmp_le_u64_e32 vcc, s[28:29], v[2:3]
	s_cselect_b64 s[28:29], -1, 0
	s_mov_b32 s13, 0
	s_and_b64 s[8:9], s[28:29], vcc
	s_xor_b64 s[34:35], s[8:9], -1
	s_lshl_b64 s[16:17], s[12:13], 3
	s_add_u32 s12, s18, s16
	s_mov_b64 s[4:5], -1
	s_addc_u32 s13, s19, s17
	s_and_b64 vcc, exec, s[34:35]
	v_lshlrev_b32_e32 v1, 3, v0
	s_cbranch_vccz .LBB1695_2
; %bb.1:
	v_lshlrev_b32_e32 v2, 3, v0
	v_mov_b32_e32 v3, 0
	v_lshl_add_u64 v[4:5], s[12:13], 0, v[2:3]
	v_add_co_u32_e32 v4, vcc, 0x1000, v4
	global_load_dwordx2 v[6:7], v2, s[12:13] offset:3072
	s_nop 0
	v_addc_co_u32_e32 v5, vcc, 0, v5, vcc
	global_load_dwordx2 v[8:9], v2, s[12:13]
	global_load_dwordx2 v[10:11], v2, s[12:13] offset:1024
	global_load_dwordx2 v[12:13], v2, s[12:13] offset:2048
	global_load_dwordx2 v[14:15], v[4:5], off
	s_mov_b64 s[4:5], 0
	s_waitcnt vmcnt(2)
	ds_write2st64_b64 v2, v[8:9], v[10:11] offset1:2
	s_waitcnt vmcnt(1)
	ds_write2st64_b64 v2, v[12:13], v[6:7] offset0:4 offset1:6
	s_waitcnt vmcnt(0)
	ds_write_b64 v2, v[14:15] offset:4096
	s_waitcnt lgkmcnt(0)
	s_barrier
.LBB1695_2:
	s_load_dwordx4 s[20:23], s[0:1], 0x60
	s_andn2_b64 vcc, exec, s[4:5]
	v_cmp_gt_u32_e64 s[4:5], s3, v0
	s_cbranch_vccnz .LBB1695_14
; %bb.3:
	v_mov_b32_e32 v2, 0
	v_mov_b32_e32 v3, v2
	;; [unrolled: 1-line block ×10, first 2 shown]
	s_and_saveexec_b64 s[18:19], s[4:5]
	s_cbranch_execz .LBB1695_5
; %bb.4:
	v_lshlrev_b32_e32 v3, 3, v0
	global_load_dwordx2 v[4:5], v3, s[12:13]
	v_mov_b32_e32 v6, v2
	v_mov_b32_e32 v7, v2
	;; [unrolled: 1-line block ×8, first 2 shown]
	s_waitcnt vmcnt(0)
	v_mov_b64_e32 v[2:3], v[4:5]
	v_mov_b64_e32 v[4:5], v[6:7]
	;; [unrolled: 1-line block ×8, first 2 shown]
.LBB1695_5:
	s_or_b64 exec, exec, s[18:19]
	v_or_b32_e32 v12, 0x80, v0
	v_cmp_gt_u32_e32 vcc, s3, v12
	s_and_saveexec_b64 s[4:5], vcc
	s_cbranch_execz .LBB1695_7
; %bb.6:
	v_lshlrev_b32_e32 v4, 3, v0
	global_load_dwordx2 v[4:5], v4, s[12:13] offset:1024
.LBB1695_7:
	s_or_b64 exec, exec, s[4:5]
	v_or_b32_e32 v12, 0x100, v0
	v_cmp_gt_u32_e32 vcc, s3, v12
	s_and_saveexec_b64 s[4:5], vcc
	s_cbranch_execz .LBB1695_9
; %bb.8:
	v_lshlrev_b32_e32 v6, 3, v0
	global_load_dwordx2 v[6:7], v6, s[12:13] offset:2048
.LBB1695_9:
	;; [unrolled: 9-line block ×3, first 2 shown]
	s_or_b64 exec, exec, s[4:5]
	v_or_b32_e32 v12, 0x200, v0
	v_cmp_gt_u32_e32 vcc, s3, v12
	s_and_saveexec_b64 s[4:5], vcc
	s_cbranch_execz .LBB1695_13
; %bb.12:
	v_lshlrev_b32_e32 v10, 3, v12
	global_load_dwordx2 v[10:11], v10, s[12:13]
.LBB1695_13:
	s_or_b64 exec, exec, s[4:5]
	v_lshlrev_b32_e32 v12, 3, v0
	s_waitcnt vmcnt(0)
	ds_write2st64_b64 v12, v[2:3], v[4:5] offset1:2
	ds_write2st64_b64 v12, v[6:7], v[8:9] offset0:4 offset1:6
	ds_write_b64 v12, v[10:11] offset:4096
	s_waitcnt lgkmcnt(0)
	s_barrier
.LBB1695_14:
	v_mul_u32_u24_e32 v22, 5, v0
	v_lshlrev_b32_e32 v20, 3, v22
	s_waitcnt lgkmcnt(0)
	ds_read2_b64 v[6:9], v20 offset1:1
	ds_read2_b64 v[2:5], v20 offset0:2 offset1:3
	ds_read_b64 v[12:13], v20 offset:32
	s_add_u32 s4, s10, s14
	s_addc_u32 s5, s11, s15
	s_add_u32 s4, s4, s16
	s_addc_u32 s5, s5, s17
	s_mov_b64 s[10:11], -1
	s_and_b64 vcc, exec, s[34:35]
	s_waitcnt lgkmcnt(0)
	s_barrier
	s_cbranch_vccz .LBB1695_16
; %bb.15:
	v_lshlrev_b32_e32 v10, 3, v0
	v_mov_b32_e32 v11, 0
	v_lshl_add_u64 v[14:15], s[4:5], 0, v[10:11]
	v_add_co_u32_e32 v14, vcc, 0x1000, v14
	global_load_dwordx2 v[16:17], v10, s[4:5] offset:3072
	s_nop 0
	v_addc_co_u32_e32 v15, vcc, 0, v15, vcc
	global_load_dwordx2 v[18:19], v10, s[4:5]
	global_load_dwordx2 v[24:25], v10, s[4:5] offset:1024
	global_load_dwordx2 v[26:27], v10, s[4:5] offset:2048
	global_load_dwordx2 v[28:29], v[14:15], off
	s_mov_b64 s[10:11], 0
	s_waitcnt vmcnt(2)
	ds_write2st64_b64 v10, v[18:19], v[24:25] offset1:2
	s_waitcnt vmcnt(1)
	ds_write2st64_b64 v10, v[26:27], v[16:17] offset0:4 offset1:6
	s_waitcnt vmcnt(0)
	ds_write_b64 v10, v[28:29] offset:4096
	s_waitcnt lgkmcnt(0)
	s_barrier
.LBB1695_16:
	s_andn2_b64 vcc, exec, s[10:11]
	s_cbranch_vccnz .LBB1695_28
; %bb.17:
	v_cmp_gt_u32_e32 vcc, s3, v0
                                        ; implicit-def: $vgpr10_vgpr11
	s_and_saveexec_b64 s[10:11], vcc
	s_cbranch_execz .LBB1695_19
; %bb.18:
	v_lshlrev_b32_e32 v10, 3, v0
	global_load_dwordx2 v[10:11], v10, s[4:5]
.LBB1695_19:
	s_or_b64 exec, exec, s[10:11]
	v_or_b32_e32 v14, 0x80, v0
	v_cmp_gt_u32_e32 vcc, s3, v14
                                        ; implicit-def: $vgpr14_vgpr15
	s_and_saveexec_b64 s[10:11], vcc
	s_cbranch_execz .LBB1695_21
; %bb.20:
	v_lshlrev_b32_e32 v14, 3, v0
	global_load_dwordx2 v[14:15], v14, s[4:5] offset:1024
.LBB1695_21:
	s_or_b64 exec, exec, s[10:11]
	v_or_b32_e32 v16, 0x100, v0
	v_cmp_gt_u32_e32 vcc, s3, v16
                                        ; implicit-def: $vgpr16_vgpr17
	s_and_saveexec_b64 s[10:11], vcc
	s_cbranch_execz .LBB1695_23
; %bb.22:
	v_lshlrev_b32_e32 v16, 3, v0
	global_load_dwordx2 v[16:17], v16, s[4:5] offset:2048
.LBB1695_23:
	s_or_b64 exec, exec, s[10:11]
	v_or_b32_e32 v18, 0x180, v0
	v_cmp_gt_u32_e32 vcc, s3, v18
                                        ; implicit-def: $vgpr18_vgpr19
	s_and_saveexec_b64 s[10:11], vcc
	s_cbranch_execz .LBB1695_25
; %bb.24:
	v_lshlrev_b32_e32 v18, 3, v0
	global_load_dwordx2 v[18:19], v18, s[4:5] offset:3072
.LBB1695_25:
	s_or_b64 exec, exec, s[10:11]
	v_or_b32_e32 v21, 0x200, v0
	v_cmp_gt_u32_e32 vcc, s3, v21
                                        ; implicit-def: $vgpr24_vgpr25
	s_and_saveexec_b64 s[10:11], vcc
	s_cbranch_execz .LBB1695_27
; %bb.26:
	v_lshlrev_b32_e32 v21, 3, v21
	global_load_dwordx2 v[24:25], v21, s[4:5]
.LBB1695_27:
	s_or_b64 exec, exec, s[10:11]
	v_lshlrev_b32_e32 v21, 5, v0
	v_sub_u32_e32 v21, v20, v21
	s_waitcnt vmcnt(0)
	ds_write2st64_b64 v21, v[10:11], v[14:15] offset1:2
	ds_write2st64_b64 v21, v[16:17], v[18:19] offset0:4 offset1:6
	ds_write_b64 v21, v[24:25] offset:4096
	s_waitcnt lgkmcnt(0)
	s_barrier
.LBB1695_28:
	ds_read_b64 v[10:11], v20 offset:32
	ds_read2_b64 v[52:55], v20 offset0:2 offset1:3
	ds_read2_b64 v[56:59], v20 offset1:1
	s_cmp_lg_u32 s2, 0
	s_cselect_b64 s[16:17], -1, 0
	s_cmp_lg_u64 s[6:7], 0
	s_cselect_b64 s[4:5], -1, 0
	s_or_b64 s[4:5], s[16:17], s[4:5]
	s_mov_b64 s[10:11], 0
	s_and_b64 vcc, exec, s[4:5]
	v_cmp_gt_i64_e64 s[4:5], s[30:31], 0
	s_waitcnt lgkmcnt(0)
	s_barrier
	s_cbranch_vccz .LBB1695_40
; %bb.29:
	s_add_u32 s6, s12, -8
	s_addc_u32 s7, s13, -1
	s_load_dwordx2 s[10:11], s[6:7], 0x0
	v_cndmask_b32_e64 v14, 0, 1, s[4:5]
	v_lshlrev_b32_e32 v21, 3, v0
	s_mov_b64 s[6:7], 0
	s_and_b64 vcc, exec, s[34:35]
	v_cmp_ne_u32_e64 s[4:5], 1, v14
	ds_write_b64 v21, v[12:13]
	s_cbranch_vccz .LBB1695_42
; %bb.30:
	s_and_b64 vcc, exec, s[4:5]
	s_cbranch_vccnz .LBB1695_43
; %bb.31:
	v_mul_lo_u32 v16, v5, s30
	v_mul_lo_u32 v17, v4, s31
	v_mad_u64_u32 v[14:15], s[6:7], v4, s30, 0
	v_add3_u32 v15, v15, v17, v16
	v_mul_lo_u32 v18, v13, s30
	v_mul_lo_u32 v19, v12, s31
	v_mad_u64_u32 v[16:17], s[6:7], v12, s30, 0
	s_add_u32 s14, s30, -1
	v_lshl_add_u64 v[14:15], v[14:15], 3, s[20:21]
	v_add3_u32 v17, v17, v19, v18
	s_addc_u32 s15, s31, -1
	v_lshl_add_u64 v[16:17], v[16:17], 3, s[20:21]
	s_mov_b64 s[18:19], 0
	s_mov_b64 s[36:37], s[14:15]
	v_mov_b64_e32 v[18:19], v[14:15]
                                        ; implicit-def: $sgpr12_sgpr13
.LBB1695_32:                            ; =>This Inner Loop Header: Depth=1
	global_load_dwordx2 v[24:25], v[18:19], off
	global_load_dwordx2 v[26:27], v[16:17], off
	s_add_u32 s6, s36, -1
	s_addc_u32 s7, s37, -1
	s_cmp_eq_u64 s[36:37], 0
	s_mov_b64 s[36:37], s[6:7]
	s_cselect_b64 s[38:39], -1, 0
	v_lshl_add_u64 v[18:19], v[18:19], 0, 8
	v_lshl_add_u64 v[16:17], v[16:17], 0, 8
	s_waitcnt vmcnt(0)
	v_cmp_ne_u64_e64 s[6:7], v[24:25], v[26:27]
	s_or_b64 s[6:7], s[6:7], s[38:39]
	s_and_b64 s[6:7], exec, s[6:7]
	v_cmp_eq_u64_e32 vcc, v[24:25], v[26:27]
	s_or_b64 s[18:19], s[6:7], s[18:19]
	s_andn2_b64 s[6:7], s[12:13], exec
	s_and_b64 s[12:13], vcc, exec
	s_or_b64 s[12:13], s[6:7], s[12:13]
	s_andn2_b64 exec, exec, s[18:19]
	s_cbranch_execnz .LBB1695_32
; %bb.33:
	s_or_b64 exec, exec, s[18:19]
	v_mul_lo_u32 v18, v3, s30
	v_mul_lo_u32 v19, v2, s31
	v_mad_u64_u32 v[16:17], s[6:7], v2, s30, 0
	v_add3_u32 v17, v17, v19, v18
	v_lshl_add_u64 v[16:17], v[16:17], 3, s[20:21]
	s_mov_b64 s[36:37], 0
	s_mov_b64 s[38:39], s[14:15]
	v_mov_b64_e32 v[18:19], v[16:17]
                                        ; implicit-def: $sgpr18_sgpr19
.LBB1695_34:                            ; =>This Inner Loop Header: Depth=1
	global_load_dwordx2 v[24:25], v[18:19], off
	global_load_dwordx2 v[26:27], v[14:15], off
	s_add_u32 s6, s38, -1
	s_addc_u32 s7, s39, -1
	s_cmp_eq_u64 s[38:39], 0
	s_mov_b64 s[38:39], s[6:7]
	s_cselect_b64 s[40:41], -1, 0
	v_lshl_add_u64 v[18:19], v[18:19], 0, 8
	v_lshl_add_u64 v[14:15], v[14:15], 0, 8
	s_waitcnt vmcnt(0)
	v_cmp_ne_u64_e64 s[6:7], v[24:25], v[26:27]
	s_or_b64 s[6:7], s[6:7], s[40:41]
	s_and_b64 s[6:7], exec, s[6:7]
	v_cmp_eq_u64_e32 vcc, v[24:25], v[26:27]
	s_or_b64 s[36:37], s[6:7], s[36:37]
	s_andn2_b64 s[6:7], s[18:19], exec
	s_and_b64 s[18:19], vcc, exec
	s_or_b64 s[18:19], s[6:7], s[18:19]
	s_andn2_b64 exec, exec, s[36:37]
	s_cbranch_execnz .LBB1695_34
; %bb.35:
	s_or_b64 exec, exec, s[36:37]
	v_mul_lo_u32 v18, v9, s30
	v_mul_lo_u32 v19, v8, s31
	v_mad_u64_u32 v[14:15], s[6:7], v8, s30, 0
	v_add3_u32 v15, v15, v19, v18
	v_lshl_add_u64 v[14:15], v[14:15], 3, s[20:21]
	s_mov_b64 s[38:39], 0
	s_mov_b64 s[40:41], s[14:15]
	v_mov_b64_e32 v[18:19], v[14:15]
                                        ; implicit-def: $sgpr36_sgpr37
.LBB1695_36:                            ; =>This Inner Loop Header: Depth=1
	global_load_dwordx2 v[24:25], v[18:19], off
	global_load_dwordx2 v[26:27], v[16:17], off
	s_add_u32 s6, s40, -1
	s_addc_u32 s7, s41, -1
	s_cmp_eq_u64 s[40:41], 0
	s_mov_b64 s[40:41], s[6:7]
	s_cselect_b64 s[42:43], -1, 0
	v_lshl_add_u64 v[18:19], v[18:19], 0, 8
	v_lshl_add_u64 v[16:17], v[16:17], 0, 8
	s_waitcnt vmcnt(0)
	v_cmp_ne_u64_e64 s[6:7], v[24:25], v[26:27]
	s_or_b64 s[6:7], s[6:7], s[42:43]
	s_and_b64 s[6:7], exec, s[6:7]
	v_cmp_eq_u64_e32 vcc, v[24:25], v[26:27]
	s_or_b64 s[38:39], s[6:7], s[38:39]
	s_andn2_b64 s[6:7], s[36:37], exec
	s_and_b64 s[36:37], vcc, exec
	s_or_b64 s[36:37], s[6:7], s[36:37]
	s_andn2_b64 exec, exec, s[38:39]
	s_cbranch_execnz .LBB1695_36
; %bb.37:
	s_or_b64 exec, exec, s[38:39]
	v_mul_lo_u32 v18, v7, s30
	v_mul_lo_u32 v19, v6, s31
	v_mad_u64_u32 v[16:17], s[6:7], v6, s30, 0
	v_add3_u32 v17, v17, v19, v18
	v_lshl_add_u64 v[16:17], v[16:17], 3, s[20:21]
	s_mov_b64 s[40:41], 0
                                        ; implicit-def: $sgpr38_sgpr39
.LBB1695_38:                            ; =>This Inner Loop Header: Depth=1
	global_load_dwordx2 v[18:19], v[16:17], off
	global_load_dwordx2 v[24:25], v[14:15], off
	s_add_u32 s6, s14, -1
	s_addc_u32 s7, s15, -1
	s_cmp_eq_u64 s[14:15], 0
	s_mov_b64 s[14:15], s[6:7]
	s_cselect_b64 s[42:43], -1, 0
	v_lshl_add_u64 v[16:17], v[16:17], 0, 8
	v_lshl_add_u64 v[14:15], v[14:15], 0, 8
	s_waitcnt vmcnt(0)
	v_cmp_ne_u64_e64 s[6:7], v[18:19], v[24:25]
	s_or_b64 s[6:7], s[6:7], s[42:43]
	s_and_b64 s[6:7], exec, s[6:7]
	v_cmp_eq_u64_e32 vcc, v[18:19], v[24:25]
	s_or_b64 s[40:41], s[6:7], s[40:41]
	s_andn2_b64 s[6:7], s[38:39], exec
	s_and_b64 s[38:39], vcc, exec
	s_or_b64 s[38:39], s[6:7], s[38:39]
	s_andn2_b64 exec, exec, s[40:41]
	s_cbranch_execnz .LBB1695_38
; %bb.39:
	s_or_b64 exec, exec, s[40:41]
	s_xor_b64 s[6:7], s[12:13], -1
	v_cndmask_b32_e64 v32, 0, 1, s[6:7]
	s_xor_b64 s[6:7], s[18:19], -1
	v_cndmask_b32_e64 v14, 0, 1, s[6:7]
	v_lshlrev_b16_e32 v14, 8, v14
	v_mov_b32_e32 v15, 8
	s_xor_b64 s[12:13], s[36:37], -1
	v_lshrrev_b32_sdwa v14, v15, v14 dst_sel:BYTE_1 dst_unused:UNUSED_PAD src0_sel:DWORD src1_sel:DWORD
	v_cndmask_b32_e64 v15, 0, 1, s[12:13]
	s_xor_b64 s[6:7], s[38:39], -1
	v_or_b32_sdwa v16, v15, v14 dst_sel:WORD_1 dst_unused:UNUSED_PAD src0_sel:DWORD src1_sel:DWORD
	s_branch .LBB1695_44
.LBB1695_40:
                                        ; implicit-def: $sgpr6_sgpr7
                                        ; implicit-def: $vgpr32
                                        ; implicit-def: $vgpr15
	s_branch .LBB1695_85
.LBB1695_41:
                                        ; implicit-def: $vgpr16
                                        ; implicit-def: $vgpr34
                                        ; implicit-def: $vgpr33
                                        ; implicit-def: $vgpr14
	s_branch .LBB1695_138
.LBB1695_42:
                                        ; implicit-def: $sgpr6_sgpr7
                                        ; implicit-def: $vgpr32
                                        ; implicit-def: $vgpr15
	s_cbranch_execnz .LBB1695_51
	s_branch .LBB1695_84
.LBB1695_43:
	v_mov_b32_e32 v16, 0
	v_mov_b32_e32 v32, 0
.LBB1695_44:
	v_cmp_ne_u32_e32 vcc, 0, v0
	s_waitcnt lgkmcnt(0)
	v_mov_b64_e32 v[14:15], s[10:11]
	s_barrier
	s_and_saveexec_b64 s[12:13], vcc
; %bb.45:
	v_add_u32_e32 v14, -8, v21
	ds_read_b64 v[14:15], v14
; %bb.46:
	s_or_b64 exec, exec, s[12:13]
	v_cndmask_b32_e64 v17, 0, 1, s[6:7]
	v_lshrrev_b32_e32 v18, 16, v16
	s_mov_b32 s6, 0xc0c0304
	v_perm_b32 v18, v18, v16, s6
	v_lshlrev_b16_e32 v17, 8, v17
	s_movk_i32 s6, 0xff
	v_bitop3_b16 v16, v16, v17, s6 bitop3:0xec
	v_and_b32_e32 v19, 0xffff, v16
	s_mov_b64 s[12:13], 0
	s_and_b64 vcc, exec, s[4:5]
	s_mov_b64 s[6:7], 0
	s_cbranch_vccnz .LBB1695_50
; %bb.47:
	s_waitcnt lgkmcnt(0)
	v_mul_lo_u32 v16, v15, s30
	v_mul_lo_u32 v17, v14, s31
	v_mad_u64_u32 v[14:15], s[6:7], v14, s30, 0
	v_add3_u32 v15, v15, v17, v16
	v_mul_lo_u32 v23, v7, s30
	v_mul_lo_u32 v24, v6, s31
	v_mad_u64_u32 v[16:17], s[6:7], v6, s30, 0
	v_add3_u32 v17, v17, v24, v23
	s_add_u32 s36, s30, -1
	v_lshl_add_u64 v[14:15], v[14:15], 3, s[20:21]
	v_lshl_add_u64 v[16:17], v[16:17], 3, s[20:21]
	s_addc_u32 s37, s31, -1
	s_mov_b64 s[14:15], 0
                                        ; implicit-def: $sgpr18_sgpr19
.LBB1695_48:                            ; =>This Inner Loop Header: Depth=1
	global_load_dwordx2 v[24:25], v[14:15], off
	global_load_dwordx2 v[26:27], v[16:17], off
	s_add_u32 s6, s36, -1
	s_addc_u32 s7, s37, -1
	s_cmp_eq_u64 s[36:37], 0
	s_mov_b64 s[36:37], s[6:7]
	s_cselect_b64 s[38:39], -1, 0
	v_lshl_add_u64 v[14:15], v[14:15], 0, 8
	v_lshl_add_u64 v[16:17], v[16:17], 0, 8
	s_waitcnt vmcnt(0)
	v_cmp_ne_u64_e64 s[6:7], v[24:25], v[26:27]
	s_or_b64 s[6:7], s[6:7], s[38:39]
	s_and_b64 s[6:7], exec, s[6:7]
	v_cmp_eq_u64_e32 vcc, v[24:25], v[26:27]
	s_or_b64 s[14:15], s[6:7], s[14:15]
	s_andn2_b64 s[6:7], s[18:19], exec
	s_and_b64 s[18:19], vcc, exec
	s_or_b64 s[18:19], s[6:7], s[18:19]
	s_andn2_b64 exec, exec, s[14:15]
	s_cbranch_execnz .LBB1695_48
; %bb.49:
	s_or_b64 exec, exec, s[14:15]
	s_xor_b64 s[6:7], s[18:19], -1
.LBB1695_50:
	s_waitcnt lgkmcnt(0)
	v_lshl_or_b32 v15, v18, 16, v19
	s_and_b64 vcc, exec, s[12:13]
	s_cbranch_vccz .LBB1695_84
.LBB1695_51:
	v_add_u32_e32 v14, 4, v22
	v_cmp_gt_u32_e32 vcc, s3, v14
	s_mov_b64 s[14:15], 0
	s_mov_b64 s[12:13], 0
	s_and_saveexec_b64 s[18:19], vcc
	s_cbranch_execz .LBB1695_57
; %bb.52:
	s_and_b64 vcc, exec, s[4:5]
	s_mov_b64 s[6:7], 0
	s_cbranch_vccnz .LBB1695_56
; %bb.53:
	v_mul_lo_u32 v16, v5, s30
	v_mul_lo_u32 v17, v4, s31
	v_mad_u64_u32 v[14:15], s[6:7], v4, s30, 0
	v_add3_u32 v15, v15, v17, v16
	v_mul_lo_u32 v18, v13, s30
	v_mul_lo_u32 v19, v12, s31
	v_mad_u64_u32 v[16:17], s[6:7], v12, s30, 0
	v_add3_u32 v17, v17, v19, v18
	s_add_u32 s38, s30, -1
	v_lshl_add_u64 v[14:15], v[14:15], 3, s[20:21]
	v_lshl_add_u64 v[16:17], v[16:17], 3, s[20:21]
	s_addc_u32 s39, s31, -1
                                        ; implicit-def: $sgpr36_sgpr37
.LBB1695_54:                            ; =>This Inner Loop Header: Depth=1
	global_load_dwordx2 v[18:19], v[14:15], off
	global_load_dwordx2 v[24:25], v[16:17], off
	s_add_u32 s6, s38, -1
	s_addc_u32 s7, s39, -1
	s_cmp_eq_u64 s[38:39], 0
	s_mov_b64 s[38:39], s[6:7]
	s_cselect_b64 s[40:41], -1, 0
	v_lshl_add_u64 v[14:15], v[14:15], 0, 8
	v_lshl_add_u64 v[16:17], v[16:17], 0, 8
	s_waitcnt vmcnt(0)
	v_cmp_ne_u64_e64 s[6:7], v[18:19], v[24:25]
	s_or_b64 s[6:7], s[6:7], s[40:41]
	s_and_b64 s[6:7], exec, s[6:7]
	v_cmp_eq_u64_e32 vcc, v[18:19], v[24:25]
	s_or_b64 s[12:13], s[6:7], s[12:13]
	s_andn2_b64 s[6:7], s[36:37], exec
	s_and_b64 s[36:37], vcc, exec
	s_or_b64 s[36:37], s[6:7], s[36:37]
	s_andn2_b64 exec, exec, s[12:13]
	s_cbranch_execnz .LBB1695_54
; %bb.55:
	s_or_b64 exec, exec, s[12:13]
	s_xor_b64 s[6:7], s[36:37], -1
.LBB1695_56:
	s_and_b64 s[12:13], s[6:7], exec
.LBB1695_57:
	s_or_b64 exec, exec, s[18:19]
	v_add_u32_e32 v14, 3, v22
	v_cmp_gt_u32_e32 vcc, s3, v14
	s_and_saveexec_b64 s[18:19], vcc
	s_cbranch_execz .LBB1695_63
; %bb.58:
	s_and_b64 vcc, exec, s[4:5]
	s_mov_b64 s[6:7], 0
	s_cbranch_vccnz .LBB1695_62
; %bb.59:
	v_mul_lo_u32 v16, v3, s30
	v_mul_lo_u32 v17, v2, s31
	v_mad_u64_u32 v[14:15], s[6:7], v2, s30, 0
	v_add3_u32 v15, v15, v17, v16
	v_mul_lo_u32 v18, v5, s30
	v_mul_lo_u32 v19, v4, s31
	v_mad_u64_u32 v[16:17], s[6:7], v4, s30, 0
	v_add3_u32 v17, v17, v19, v18
	s_add_u32 s38, s30, -1
	v_lshl_add_u64 v[14:15], v[14:15], 3, s[20:21]
	v_lshl_add_u64 v[16:17], v[16:17], 3, s[20:21]
	s_addc_u32 s39, s31, -1
	s_mov_b64 s[14:15], 0
                                        ; implicit-def: $sgpr36_sgpr37
.LBB1695_60:                            ; =>This Inner Loop Header: Depth=1
	global_load_dwordx2 v[18:19], v[14:15], off
	global_load_dwordx2 v[24:25], v[16:17], off
	s_add_u32 s6, s38, -1
	s_addc_u32 s7, s39, -1
	s_cmp_eq_u64 s[38:39], 0
	s_mov_b64 s[38:39], s[6:7]
	s_cselect_b64 s[40:41], -1, 0
	v_lshl_add_u64 v[14:15], v[14:15], 0, 8
	v_lshl_add_u64 v[16:17], v[16:17], 0, 8
	s_waitcnt vmcnt(0)
	v_cmp_ne_u64_e64 s[6:7], v[18:19], v[24:25]
	s_or_b64 s[6:7], s[6:7], s[40:41]
	s_and_b64 s[6:7], exec, s[6:7]
	v_cmp_eq_u64_e32 vcc, v[18:19], v[24:25]
	s_or_b64 s[14:15], s[6:7], s[14:15]
	s_andn2_b64 s[6:7], s[36:37], exec
	s_and_b64 s[36:37], vcc, exec
	s_or_b64 s[36:37], s[6:7], s[36:37]
	s_andn2_b64 exec, exec, s[14:15]
	s_cbranch_execnz .LBB1695_60
; %bb.61:
	s_or_b64 exec, exec, s[14:15]
	s_xor_b64 s[6:7], s[36:37], -1
.LBB1695_62:
	s_and_b64 s[14:15], s[6:7], exec
.LBB1695_63:
	s_or_b64 exec, exec, s[18:19]
	v_add_u32_e32 v14, 2, v22
	v_cmp_gt_u32_e32 vcc, s3, v14
	s_mov_b64 s[18:19], 0
	s_mov_b64 s[36:37], 0
	s_and_saveexec_b64 s[38:39], vcc
	s_cbranch_execz .LBB1695_69
; %bb.64:
	s_and_b64 vcc, exec, s[4:5]
	s_mov_b64 s[6:7], 0
	s_cbranch_vccnz .LBB1695_68
; %bb.65:
	v_mul_lo_u32 v16, v9, s30
	v_mul_lo_u32 v17, v8, s31
	v_mad_u64_u32 v[14:15], s[6:7], v8, s30, 0
	v_add3_u32 v15, v15, v17, v16
	v_mul_lo_u32 v18, v3, s30
	v_mul_lo_u32 v19, v2, s31
	v_mad_u64_u32 v[16:17], s[6:7], v2, s30, 0
	v_add3_u32 v17, v17, v19, v18
	s_add_u32 s42, s30, -1
	v_lshl_add_u64 v[14:15], v[14:15], 3, s[20:21]
	v_lshl_add_u64 v[16:17], v[16:17], 3, s[20:21]
	s_addc_u32 s43, s31, -1
                                        ; implicit-def: $sgpr40_sgpr41
.LBB1695_66:                            ; =>This Inner Loop Header: Depth=1
	global_load_dwordx2 v[18:19], v[14:15], off
	global_load_dwordx2 v[24:25], v[16:17], off
	s_add_u32 s6, s42, -1
	s_addc_u32 s7, s43, -1
	s_cmp_eq_u64 s[42:43], 0
	s_mov_b64 s[42:43], s[6:7]
	s_cselect_b64 s[44:45], -1, 0
	v_lshl_add_u64 v[14:15], v[14:15], 0, 8
	v_lshl_add_u64 v[16:17], v[16:17], 0, 8
	s_waitcnt vmcnt(0)
	v_cmp_ne_u64_e64 s[6:7], v[18:19], v[24:25]
	s_or_b64 s[6:7], s[6:7], s[44:45]
	s_and_b64 s[6:7], exec, s[6:7]
	v_cmp_eq_u64_e32 vcc, v[18:19], v[24:25]
	s_or_b64 s[36:37], s[6:7], s[36:37]
	s_andn2_b64 s[6:7], s[40:41], exec
	s_and_b64 s[40:41], vcc, exec
	s_or_b64 s[40:41], s[6:7], s[40:41]
	s_andn2_b64 exec, exec, s[36:37]
	s_cbranch_execnz .LBB1695_66
; %bb.67:
	s_or_b64 exec, exec, s[36:37]
	s_xor_b64 s[6:7], s[40:41], -1
.LBB1695_68:
	s_and_b64 s[36:37], s[6:7], exec
.LBB1695_69:
	s_or_b64 exec, exec, s[38:39]
	v_add_u32_e32 v14, 1, v22
	v_cmp_gt_u32_e32 vcc, s3, v14
	s_and_saveexec_b64 s[38:39], vcc
	s_cbranch_execz .LBB1695_75
; %bb.70:
	s_and_b64 vcc, exec, s[4:5]
	s_mov_b64 s[6:7], 0
	s_cbranch_vccnz .LBB1695_74
; %bb.71:
	v_mul_lo_u32 v16, v7, s30
	v_mul_lo_u32 v17, v6, s31
	v_mad_u64_u32 v[14:15], s[6:7], v6, s30, 0
	v_add3_u32 v15, v15, v17, v16
	v_mul_lo_u32 v18, v9, s30
	v_mul_lo_u32 v19, v8, s31
	v_mad_u64_u32 v[16:17], s[6:7], v8, s30, 0
	v_add3_u32 v17, v17, v19, v18
	s_add_u32 s42, s30, -1
	v_lshl_add_u64 v[14:15], v[14:15], 3, s[20:21]
	v_lshl_add_u64 v[16:17], v[16:17], 3, s[20:21]
	s_addc_u32 s43, s31, -1
	s_mov_b64 s[18:19], 0
                                        ; implicit-def: $sgpr40_sgpr41
.LBB1695_72:                            ; =>This Inner Loop Header: Depth=1
	global_load_dwordx2 v[18:19], v[14:15], off
	global_load_dwordx2 v[24:25], v[16:17], off
	s_add_u32 s6, s42, -1
	s_addc_u32 s7, s43, -1
	s_cmp_eq_u64 s[42:43], 0
	s_mov_b64 s[42:43], s[6:7]
	s_cselect_b64 s[44:45], -1, 0
	v_lshl_add_u64 v[14:15], v[14:15], 0, 8
	v_lshl_add_u64 v[16:17], v[16:17], 0, 8
	s_waitcnt vmcnt(0)
	v_cmp_ne_u64_e64 s[6:7], v[18:19], v[24:25]
	s_or_b64 s[6:7], s[6:7], s[44:45]
	s_and_b64 s[6:7], exec, s[6:7]
	v_cmp_eq_u64_e32 vcc, v[18:19], v[24:25]
	s_or_b64 s[18:19], s[6:7], s[18:19]
	s_andn2_b64 s[6:7], s[40:41], exec
	s_and_b64 s[40:41], vcc, exec
	s_or_b64 s[40:41], s[6:7], s[40:41]
	s_andn2_b64 exec, exec, s[18:19]
	s_cbranch_execnz .LBB1695_72
; %bb.73:
	s_or_b64 exec, exec, s[18:19]
	s_xor_b64 s[6:7], s[40:41], -1
.LBB1695_74:
	s_and_b64 s[18:19], s[6:7], exec
.LBB1695_75:
	s_or_b64 exec, exec, s[38:39]
	v_cmp_ne_u32_e32 vcc, 0, v0
	s_waitcnt lgkmcnt(0)
	v_mov_b64_e32 v[14:15], s[10:11]
	s_barrier
	s_and_saveexec_b64 s[6:7], vcc
; %bb.76:
	v_add_u32_e32 v14, -8, v21
	ds_read_b64 v[14:15], v14
; %bb.77:
	s_or_b64 exec, exec, s[6:7]
	v_cndmask_b32_e64 v17, 0, 1, s[14:15]
	v_cndmask_b32_e64 v16, 0, 1, s[36:37]
	;; [unrolled: 1-line block ×3, first 2 shown]
	v_lshlrev_b16_e32 v17, 8, v17
	v_cmp_gt_u32_e32 vcc, s3, v22
	v_lshlrev_b16_e32 v18, 8, v18
	v_or_b32_sdwa v19, v16, v17 dst_sel:WORD_1 dst_unused:UNUSED_PAD src0_sel:DWORD src1_sel:DWORD
	s_mov_b64 s[6:7], 0
	s_and_saveexec_b64 s[10:11], vcc
	s_cbranch_execz .LBB1695_83
; %bb.78:
	s_and_b64 vcc, exec, s[4:5]
	s_mov_b64 s[4:5], 0
	s_cbranch_vccnz .LBB1695_82
; %bb.79:
	s_waitcnt lgkmcnt(0)
	v_mul_lo_u32 v16, v15, s30
	v_mul_lo_u32 v17, v14, s31
	v_mad_u64_u32 v[14:15], s[4:5], v14, s30, 0
	v_add3_u32 v15, v15, v17, v16
	v_mul_lo_u32 v21, v7, s30
	v_mul_lo_u32 v23, v6, s31
	v_mad_u64_u32 v[16:17], s[4:5], v6, s30, 0
	v_add3_u32 v17, v17, v23, v21
	s_add_u32 s18, s30, -1
	v_lshl_add_u64 v[14:15], v[14:15], 3, s[20:21]
	v_lshl_add_u64 v[16:17], v[16:17], 3, s[20:21]
	s_addc_u32 s19, s31, -1
                                        ; implicit-def: $sgpr14_sgpr15
.LBB1695_80:                            ; =>This Inner Loop Header: Depth=1
	global_load_dwordx2 v[24:25], v[14:15], off
	global_load_dwordx2 v[26:27], v[16:17], off
	s_add_u32 s4, s18, -1
	s_addc_u32 s5, s19, -1
	s_cmp_eq_u64 s[18:19], 0
	s_mov_b64 s[18:19], s[4:5]
	s_cselect_b64 s[36:37], -1, 0
	v_lshl_add_u64 v[14:15], v[14:15], 0, 8
	v_lshl_add_u64 v[16:17], v[16:17], 0, 8
	s_waitcnt vmcnt(0)
	v_cmp_ne_u64_e64 s[4:5], v[24:25], v[26:27]
	s_or_b64 s[4:5], s[4:5], s[36:37]
	s_and_b64 s[4:5], exec, s[4:5]
	v_cmp_eq_u64_e32 vcc, v[24:25], v[26:27]
	s_or_b64 s[6:7], s[4:5], s[6:7]
	s_andn2_b64 s[4:5], s[14:15], exec
	s_and_b64 s[14:15], vcc, exec
	s_or_b64 s[14:15], s[4:5], s[14:15]
	s_andn2_b64 exec, exec, s[6:7]
	s_cbranch_execnz .LBB1695_80
; %bb.81:
	s_or_b64 exec, exec, s[6:7]
	s_xor_b64 s[4:5], s[14:15], -1
.LBB1695_82:
	s_and_b64 s[6:7], s[4:5], exec
.LBB1695_83:
	s_or_b64 exec, exec, s[10:11]
	v_cndmask_b32_e64 v32, 0, 1, s[12:13]
	s_waitcnt lgkmcnt(0)
	v_or_b32_e32 v15, v18, v19
.LBB1695_84:
	s_waitcnt lgkmcnt(0)
	s_mov_b64 s[10:11], -1
	s_cbranch_execnz .LBB1695_41
.LBB1695_85:
	v_lshlrev_b32_e32 v14, 5, v0
	v_sub_u32_e32 v23, v20, v14
	s_mov_b64 s[6:7], 0
	v_cmp_gt_i64_e64 s[12:13], s[30:31], 0
	s_and_b64 vcc, exec, s[34:35]
	ds_write_b64 v23, v[12:13]
	s_cbranch_vccz .LBB1695_96
; %bb.86:
	v_cndmask_b32_e64 v14, 0, 1, s[12:13]
	v_cmp_ne_u32_e64 s[4:5], 1, v14
	s_andn2_b64 vcc, exec, s[12:13]
	s_cbranch_vccnz .LBB1695_97
; %bb.87:
	v_mul_lo_u32 v16, v5, s30
	v_mul_lo_u32 v17, v4, s31
	v_mad_u64_u32 v[14:15], s[6:7], v4, s30, 0
	v_add3_u32 v15, v15, v17, v16
	v_mul_lo_u32 v18, v13, s30
	v_mul_lo_u32 v19, v12, s31
	v_mad_u64_u32 v[16:17], s[6:7], v12, s30, 0
	s_add_u32 s18, s30, -1
	v_lshl_add_u64 v[14:15], v[14:15], 3, s[20:21]
	v_add3_u32 v17, v17, v19, v18
	s_addc_u32 s19, s31, -1
	v_lshl_add_u64 v[16:17], v[16:17], 3, s[20:21]
	s_mov_b64 s[36:37], 0
	s_mov_b64 s[38:39], s[18:19]
	v_mov_b64_e32 v[18:19], v[14:15]
                                        ; implicit-def: $sgpr14_sgpr15
.LBB1695_88:                            ; =>This Inner Loop Header: Depth=1
	global_load_dwordx2 v[20:21], v[18:19], off
	global_load_dwordx2 v[24:25], v[16:17], off
	s_add_u32 s6, s38, -1
	s_addc_u32 s7, s39, -1
	s_cmp_eq_u64 s[38:39], 0
	s_mov_b64 s[38:39], s[6:7]
	s_cselect_b64 s[40:41], -1, 0
	v_lshl_add_u64 v[18:19], v[18:19], 0, 8
	v_lshl_add_u64 v[16:17], v[16:17], 0, 8
	s_waitcnt vmcnt(0)
	v_cmp_ne_u64_e64 s[6:7], v[20:21], v[24:25]
	s_or_b64 s[6:7], s[6:7], s[40:41]
	s_and_b64 s[6:7], exec, s[6:7]
	v_cmp_eq_u64_e32 vcc, v[20:21], v[24:25]
	s_or_b64 s[36:37], s[6:7], s[36:37]
	s_andn2_b64 s[6:7], s[14:15], exec
	s_and_b64 s[14:15], vcc, exec
	s_or_b64 s[14:15], s[6:7], s[14:15]
	s_andn2_b64 exec, exec, s[36:37]
	s_cbranch_execnz .LBB1695_88
; %bb.89:
	s_or_b64 exec, exec, s[36:37]
	v_mul_lo_u32 v18, v3, s30
	v_mul_lo_u32 v19, v2, s31
	v_mad_u64_u32 v[16:17], s[6:7], v2, s30, 0
	v_add3_u32 v17, v17, v19, v18
	v_lshl_add_u64 v[16:17], v[16:17], 3, s[20:21]
	s_mov_b64 s[38:39], 0
	s_mov_b64 s[40:41], s[18:19]
	v_mov_b64_e32 v[18:19], v[16:17]
                                        ; implicit-def: $sgpr36_sgpr37
.LBB1695_90:                            ; =>This Inner Loop Header: Depth=1
	global_load_dwordx2 v[20:21], v[18:19], off
	global_load_dwordx2 v[24:25], v[14:15], off
	s_add_u32 s6, s40, -1
	s_addc_u32 s7, s41, -1
	s_cmp_eq_u64 s[40:41], 0
	s_mov_b64 s[40:41], s[6:7]
	s_cselect_b64 s[42:43], -1, 0
	v_lshl_add_u64 v[18:19], v[18:19], 0, 8
	v_lshl_add_u64 v[14:15], v[14:15], 0, 8
	s_waitcnt vmcnt(0)
	v_cmp_ne_u64_e64 s[6:7], v[20:21], v[24:25]
	s_or_b64 s[6:7], s[6:7], s[42:43]
	s_and_b64 s[6:7], exec, s[6:7]
	v_cmp_eq_u64_e32 vcc, v[20:21], v[24:25]
	s_or_b64 s[38:39], s[6:7], s[38:39]
	s_andn2_b64 s[6:7], s[36:37], exec
	s_and_b64 s[36:37], vcc, exec
	s_or_b64 s[36:37], s[6:7], s[36:37]
	s_andn2_b64 exec, exec, s[38:39]
	s_cbranch_execnz .LBB1695_90
; %bb.91:
	s_or_b64 exec, exec, s[38:39]
	v_mul_lo_u32 v18, v9, s30
	v_mul_lo_u32 v19, v8, s31
	v_mad_u64_u32 v[14:15], s[6:7], v8, s30, 0
	v_add3_u32 v15, v15, v19, v18
	v_lshl_add_u64 v[14:15], v[14:15], 3, s[20:21]
	s_mov_b64 s[40:41], 0
	s_mov_b64 s[42:43], s[18:19]
	v_mov_b64_e32 v[18:19], v[14:15]
                                        ; implicit-def: $sgpr38_sgpr39
.LBB1695_92:                            ; =>This Inner Loop Header: Depth=1
	global_load_dwordx2 v[20:21], v[18:19], off
	global_load_dwordx2 v[24:25], v[16:17], off
	s_add_u32 s6, s42, -1
	s_addc_u32 s7, s43, -1
	s_cmp_eq_u64 s[42:43], 0
	s_mov_b64 s[42:43], s[6:7]
	s_cselect_b64 s[44:45], -1, 0
	v_lshl_add_u64 v[18:19], v[18:19], 0, 8
	v_lshl_add_u64 v[16:17], v[16:17], 0, 8
	s_waitcnt vmcnt(0)
	v_cmp_ne_u64_e64 s[6:7], v[20:21], v[24:25]
	s_or_b64 s[6:7], s[6:7], s[44:45]
	s_and_b64 s[6:7], exec, s[6:7]
	v_cmp_eq_u64_e32 vcc, v[20:21], v[24:25]
	s_or_b64 s[40:41], s[6:7], s[40:41]
	s_andn2_b64 s[6:7], s[38:39], exec
	s_and_b64 s[38:39], vcc, exec
	s_or_b64 s[38:39], s[6:7], s[38:39]
	s_andn2_b64 exec, exec, s[40:41]
	s_cbranch_execnz .LBB1695_92
; %bb.93:
	s_or_b64 exec, exec, s[40:41]
	v_mul_lo_u32 v18, v7, s30
	v_mul_lo_u32 v19, v6, s31
	v_mad_u64_u32 v[16:17], s[6:7], v6, s30, 0
	v_add3_u32 v17, v17, v19, v18
	v_lshl_add_u64 v[16:17], v[16:17], 3, s[20:21]
	s_mov_b64 s[42:43], 0
                                        ; implicit-def: $sgpr40_sgpr41
.LBB1695_94:                            ; =>This Inner Loop Header: Depth=1
	global_load_dwordx2 v[18:19], v[16:17], off
	global_load_dwordx2 v[20:21], v[14:15], off
	s_add_u32 s6, s18, -1
	s_addc_u32 s7, s19, -1
	s_cmp_eq_u64 s[18:19], 0
	s_mov_b64 s[18:19], s[6:7]
	s_cselect_b64 s[44:45], -1, 0
	v_lshl_add_u64 v[16:17], v[16:17], 0, 8
	v_lshl_add_u64 v[14:15], v[14:15], 0, 8
	s_waitcnt vmcnt(0)
	v_cmp_ne_u64_e64 s[6:7], v[18:19], v[20:21]
	s_or_b64 s[6:7], s[6:7], s[44:45]
	s_and_b64 s[6:7], exec, s[6:7]
	v_cmp_eq_u64_e32 vcc, v[18:19], v[20:21]
	s_or_b64 s[42:43], s[6:7], s[42:43]
	s_andn2_b64 s[6:7], s[40:41], exec
	s_and_b64 s[40:41], vcc, exec
	s_or_b64 s[40:41], s[6:7], s[40:41]
	s_andn2_b64 exec, exec, s[42:43]
	s_cbranch_execnz .LBB1695_94
; %bb.95:
	s_or_b64 exec, exec, s[42:43]
	s_xor_b64 s[6:7], s[14:15], -1
	v_cndmask_b32_e64 v32, 0, 1, s[6:7]
	s_xor_b64 s[6:7], s[36:37], -1
	v_cndmask_b32_e64 v14, 0, 1, s[6:7]
	v_lshlrev_b16_e32 v14, 8, v14
	v_mov_b32_e32 v15, 8
	s_xor_b64 s[14:15], s[38:39], -1
	v_lshrrev_b32_sdwa v14, v15, v14 dst_sel:BYTE_1 dst_unused:UNUSED_PAD src0_sel:DWORD src1_sel:DWORD
	v_cndmask_b32_e64 v15, 0, 1, s[14:15]
	s_xor_b64 s[6:7], s[40:41], -1
	v_or_b32_sdwa v14, v15, v14 dst_sel:WORD_1 dst_unused:UNUSED_PAD src0_sel:DWORD src1_sel:DWORD
	s_branch .LBB1695_98
.LBB1695_96:
                                        ; implicit-def: $sgpr6_sgpr7
                                        ; implicit-def: $vgpr32
                                        ; implicit-def: $vgpr15
                                        ; implicit-def: $vgpr16
                                        ; implicit-def: $vgpr34
                                        ; implicit-def: $vgpr33
                                        ; implicit-def: $vgpr14
	s_cbranch_execnz .LBB1695_105
	s_branch .LBB1695_138
.LBB1695_97:
	v_mov_b32_e32 v14, 0
	v_mov_b32_e32 v32, 0
.LBB1695_98:
	v_lshrrev_b32_e32 v33, 16, v14
	v_lshrrev_b32_e32 v14, 24, v14
	v_cndmask_b32_e64 v34, 0, 1, s[6:7]
	v_mov_b32_e32 v16, 1
	v_cmp_ne_u32_e32 vcc, 0, v0
	s_waitcnt lgkmcnt(0)
	s_barrier
                                        ; implicit-def: $sgpr6_sgpr7
                                        ; implicit-def: $vgpr15
	s_and_saveexec_b64 s[14:15], vcc
	s_xor_b64 s[14:15], exec, s[14:15]
	s_cbranch_execz .LBB1695_104
; %bb.99:
	v_lshlrev_b16_e32 v15, 8, v14
	s_movk_i32 s6, 0xff
	v_bitop3_b16 v15, v33, v15, s6 bitop3:0xec
	v_lshlrev_b16_e32 v17, 8, v34
	v_lshlrev_b32_e32 v15, 16, v15
	v_or_b32_e32 v17, 1, v17
	v_or_b32_sdwa v15, v17, v15 dst_sel:DWORD dst_unused:UNUSED_PAD src0_sel:WORD_0 src1_sel:DWORD
	s_mov_b32 s33, 0x3020104
	s_and_b64 vcc, exec, s[4:5]
	s_mov_b64 s[6:7], 0
	s_cbranch_vccnz .LBB1695_103
; %bb.100:
	v_add_u32_e32 v17, -8, v23
	ds_read_b64 v[18:19], v17
	v_mul_lo_u32 v17, v7, s30
	v_mul_lo_u32 v24, v6, s31
	s_add_u32 s36, s30, -1
	s_addc_u32 s37, s31, -1
	s_waitcnt lgkmcnt(0)
	v_mul_lo_u32 v20, v19, s30
	v_mul_lo_u32 v21, v18, s31
	v_mad_u64_u32 v[18:19], s[4:5], v18, s30, 0
	v_add3_u32 v19, v19, v21, v20
	v_mad_u64_u32 v[20:21], s[4:5], v6, s30, 0
	v_add3_u32 v21, v21, v24, v17
	v_lshl_add_u64 v[18:19], v[18:19], 3, s[20:21]
	v_lshl_add_u64 v[20:21], v[20:21], 3, s[20:21]
                                        ; implicit-def: $sgpr18_sgpr19
.LBB1695_101:                           ; =>This Inner Loop Header: Depth=1
	global_load_dwordx2 v[24:25], v[18:19], off
	global_load_dwordx2 v[26:27], v[20:21], off
	s_add_u32 s4, s36, -1
	s_addc_u32 s5, s37, -1
	s_cmp_eq_u64 s[36:37], 0
	s_mov_b64 s[36:37], s[4:5]
	s_cselect_b64 s[38:39], -1, 0
	v_lshl_add_u64 v[18:19], v[18:19], 0, 8
	v_lshl_add_u64 v[20:21], v[20:21], 0, 8
	s_waitcnt vmcnt(0)
	v_cmp_ne_u64_e64 s[4:5], v[24:25], v[26:27]
	s_or_b64 s[4:5], s[4:5], s[38:39]
	s_and_b64 s[4:5], exec, s[4:5]
	v_cmp_eq_u64_e32 vcc, v[24:25], v[26:27]
	s_or_b64 s[6:7], s[4:5], s[6:7]
	s_andn2_b64 s[4:5], s[18:19], exec
	s_and_b64 s[18:19], vcc, exec
	s_or_b64 s[18:19], s[4:5], s[18:19]
	s_andn2_b64 exec, exec, s[6:7]
	s_cbranch_execnz .LBB1695_101
; %bb.102:
	s_or_b64 exec, exec, s[6:7]
	s_xor_b64 s[6:7], s[18:19], -1
.LBB1695_103:
	v_perm_b32 v15, v15, v15, s33
	s_or_b64 s[10:11], s[10:11], exec
.LBB1695_104:
	s_or_b64 exec, exec, s[14:15]
	s_branch .LBB1695_138
.LBB1695_105:
	v_add_u32_e32 v14, 4, v22
	v_cmp_gt_u32_e32 vcc, s3, v14
	s_mov_b64 s[6:7], 0
	s_mov_b64 s[14:15], 0
	s_and_saveexec_b64 s[18:19], vcc
	s_cbranch_execz .LBB1695_111
; %bb.106:
	s_andn2_b64 vcc, exec, s[12:13]
	s_mov_b64 s[4:5], 0
	s_cbranch_vccnz .LBB1695_110
; %bb.107:
	v_mul_lo_u32 v16, v5, s30
	v_mul_lo_u32 v17, v4, s31
	v_mad_u64_u32 v[14:15], s[4:5], v4, s30, 0
	v_add3_u32 v15, v15, v17, v16
	v_mul_lo_u32 v18, v13, s30
	v_mul_lo_u32 v19, v12, s31
	v_mad_u64_u32 v[16:17], s[4:5], v12, s30, 0
	v_add3_u32 v17, v17, v19, v18
	s_add_u32 s38, s30, -1
	v_lshl_add_u64 v[14:15], v[14:15], 3, s[20:21]
	v_lshl_add_u64 v[16:17], v[16:17], 3, s[20:21]
	s_addc_u32 s39, s31, -1
                                        ; implicit-def: $sgpr36_sgpr37
.LBB1695_108:                           ; =>This Inner Loop Header: Depth=1
	global_load_dwordx2 v[18:19], v[14:15], off
	global_load_dwordx2 v[20:21], v[16:17], off
	s_add_u32 s4, s38, -1
	s_addc_u32 s5, s39, -1
	s_cmp_eq_u64 s[38:39], 0
	s_mov_b64 s[38:39], s[4:5]
	s_cselect_b64 s[40:41], -1, 0
	v_lshl_add_u64 v[14:15], v[14:15], 0, 8
	v_lshl_add_u64 v[16:17], v[16:17], 0, 8
	s_waitcnt vmcnt(0)
	v_cmp_ne_u64_e64 s[4:5], v[18:19], v[20:21]
	s_or_b64 s[4:5], s[4:5], s[40:41]
	s_and_b64 s[4:5], exec, s[4:5]
	v_cmp_eq_u64_e32 vcc, v[18:19], v[20:21]
	s_or_b64 s[14:15], s[4:5], s[14:15]
	s_andn2_b64 s[4:5], s[36:37], exec
	s_and_b64 s[36:37], vcc, exec
	s_or_b64 s[36:37], s[4:5], s[36:37]
	s_andn2_b64 exec, exec, s[14:15]
	s_cbranch_execnz .LBB1695_108
; %bb.109:
	s_or_b64 exec, exec, s[14:15]
	s_xor_b64 s[4:5], s[36:37], -1
.LBB1695_110:
	s_and_b64 s[14:15], s[4:5], exec
.LBB1695_111:
	s_or_b64 exec, exec, s[18:19]
	v_add_u32_e32 v14, 3, v22
	v_cmp_gt_u32_e32 vcc, s3, v14
	s_and_saveexec_b64 s[18:19], vcc
	s_cbranch_execz .LBB1695_117
; %bb.112:
	s_andn2_b64 vcc, exec, s[12:13]
	s_mov_b64 s[4:5], 0
	s_cbranch_vccnz .LBB1695_116
; %bb.113:
	v_mul_lo_u32 v16, v3, s30
	v_mul_lo_u32 v17, v2, s31
	v_mad_u64_u32 v[14:15], s[4:5], v2, s30, 0
	v_add3_u32 v15, v15, v17, v16
	v_mul_lo_u32 v18, v5, s30
	v_mul_lo_u32 v19, v4, s31
	v_mad_u64_u32 v[16:17], s[4:5], v4, s30, 0
	v_add3_u32 v17, v17, v19, v18
	s_add_u32 s38, s30, -1
	v_lshl_add_u64 v[14:15], v[14:15], 3, s[20:21]
	v_lshl_add_u64 v[16:17], v[16:17], 3, s[20:21]
	s_addc_u32 s39, s31, -1
	s_mov_b64 s[6:7], 0
                                        ; implicit-def: $sgpr36_sgpr37
.LBB1695_114:                           ; =>This Inner Loop Header: Depth=1
	global_load_dwordx2 v[18:19], v[14:15], off
	global_load_dwordx2 v[20:21], v[16:17], off
	s_add_u32 s4, s38, -1
	s_addc_u32 s5, s39, -1
	s_cmp_eq_u64 s[38:39], 0
	s_mov_b64 s[38:39], s[4:5]
	s_cselect_b64 s[40:41], -1, 0
	v_lshl_add_u64 v[14:15], v[14:15], 0, 8
	v_lshl_add_u64 v[16:17], v[16:17], 0, 8
	s_waitcnt vmcnt(0)
	v_cmp_ne_u64_e64 s[4:5], v[18:19], v[20:21]
	s_or_b64 s[4:5], s[4:5], s[40:41]
	s_and_b64 s[4:5], exec, s[4:5]
	v_cmp_eq_u64_e32 vcc, v[18:19], v[20:21]
	s_or_b64 s[6:7], s[4:5], s[6:7]
	s_andn2_b64 s[4:5], s[36:37], exec
	s_and_b64 s[36:37], vcc, exec
	s_or_b64 s[36:37], s[4:5], s[36:37]
	s_andn2_b64 exec, exec, s[6:7]
	s_cbranch_execnz .LBB1695_114
; %bb.115:
	s_or_b64 exec, exec, s[6:7]
	s_xor_b64 s[4:5], s[36:37], -1
.LBB1695_116:
	s_and_b64 s[6:7], s[4:5], exec
.LBB1695_117:
	s_or_b64 exec, exec, s[18:19]
	v_add_u32_e32 v14, 2, v22
	v_cmp_gt_u32_e32 vcc, s3, v14
	s_mov_b64 s[18:19], 0
	s_mov_b64 s[36:37], 0
	s_and_saveexec_b64 s[38:39], vcc
	s_cbranch_execz .LBB1695_123
; %bb.118:
	s_andn2_b64 vcc, exec, s[12:13]
	s_mov_b64 s[4:5], 0
	s_cbranch_vccnz .LBB1695_122
; %bb.119:
	v_mul_lo_u32 v16, v9, s30
	v_mul_lo_u32 v17, v8, s31
	v_mad_u64_u32 v[14:15], s[4:5], v8, s30, 0
	v_add3_u32 v15, v15, v17, v16
	v_mul_lo_u32 v18, v3, s30
	v_mul_lo_u32 v19, v2, s31
	v_mad_u64_u32 v[16:17], s[4:5], v2, s30, 0
	v_add3_u32 v17, v17, v19, v18
	s_add_u32 s42, s30, -1
	v_lshl_add_u64 v[14:15], v[14:15], 3, s[20:21]
	v_lshl_add_u64 v[16:17], v[16:17], 3, s[20:21]
	s_addc_u32 s43, s31, -1
                                        ; implicit-def: $sgpr40_sgpr41
.LBB1695_120:                           ; =>This Inner Loop Header: Depth=1
	global_load_dwordx2 v[18:19], v[14:15], off
	global_load_dwordx2 v[20:21], v[16:17], off
	s_add_u32 s4, s42, -1
	s_addc_u32 s5, s43, -1
	s_cmp_eq_u64 s[42:43], 0
	s_mov_b64 s[42:43], s[4:5]
	s_cselect_b64 s[44:45], -1, 0
	v_lshl_add_u64 v[14:15], v[14:15], 0, 8
	v_lshl_add_u64 v[16:17], v[16:17], 0, 8
	s_waitcnt vmcnt(0)
	v_cmp_ne_u64_e64 s[4:5], v[18:19], v[20:21]
	s_or_b64 s[4:5], s[4:5], s[44:45]
	s_and_b64 s[4:5], exec, s[4:5]
	v_cmp_eq_u64_e32 vcc, v[18:19], v[20:21]
	s_or_b64 s[36:37], s[4:5], s[36:37]
	s_andn2_b64 s[4:5], s[40:41], exec
	s_and_b64 s[40:41], vcc, exec
	s_or_b64 s[40:41], s[4:5], s[40:41]
	s_andn2_b64 exec, exec, s[36:37]
	s_cbranch_execnz .LBB1695_120
; %bb.121:
	s_or_b64 exec, exec, s[36:37]
	s_xor_b64 s[4:5], s[40:41], -1
.LBB1695_122:
	s_and_b64 s[36:37], s[4:5], exec
.LBB1695_123:
	s_or_b64 exec, exec, s[38:39]
	v_add_u32_e32 v14, 1, v22
	v_cmp_gt_u32_e32 vcc, s3, v14
	s_and_saveexec_b64 s[38:39], vcc
	s_cbranch_execz .LBB1695_129
; %bb.124:
	s_andn2_b64 vcc, exec, s[12:13]
	s_mov_b64 s[4:5], 0
	s_cbranch_vccnz .LBB1695_128
; %bb.125:
	v_mul_lo_u32 v16, v7, s30
	v_mul_lo_u32 v17, v6, s31
	v_mad_u64_u32 v[14:15], s[4:5], v6, s30, 0
	v_add3_u32 v15, v15, v17, v16
	v_mul_lo_u32 v18, v9, s30
	v_mul_lo_u32 v19, v8, s31
	v_mad_u64_u32 v[16:17], s[4:5], v8, s30, 0
	v_add3_u32 v17, v17, v19, v18
	s_add_u32 s42, s30, -1
	v_lshl_add_u64 v[14:15], v[14:15], 3, s[20:21]
	v_lshl_add_u64 v[16:17], v[16:17], 3, s[20:21]
	s_addc_u32 s43, s31, -1
	s_mov_b64 s[18:19], 0
                                        ; implicit-def: $sgpr40_sgpr41
.LBB1695_126:                           ; =>This Inner Loop Header: Depth=1
	global_load_dwordx2 v[18:19], v[14:15], off
	global_load_dwordx2 v[20:21], v[16:17], off
	s_add_u32 s4, s42, -1
	s_addc_u32 s5, s43, -1
	s_cmp_eq_u64 s[42:43], 0
	s_mov_b64 s[42:43], s[4:5]
	s_cselect_b64 s[44:45], -1, 0
	v_lshl_add_u64 v[14:15], v[14:15], 0, 8
	v_lshl_add_u64 v[16:17], v[16:17], 0, 8
	s_waitcnt vmcnt(0)
	v_cmp_ne_u64_e64 s[4:5], v[18:19], v[20:21]
	s_or_b64 s[4:5], s[4:5], s[44:45]
	s_and_b64 s[4:5], exec, s[4:5]
	v_cmp_eq_u64_e32 vcc, v[18:19], v[20:21]
	s_or_b64 s[18:19], s[4:5], s[18:19]
	s_andn2_b64 s[4:5], s[40:41], exec
	s_and_b64 s[40:41], vcc, exec
	s_or_b64 s[40:41], s[4:5], s[40:41]
	s_andn2_b64 exec, exec, s[18:19]
	s_cbranch_execnz .LBB1695_126
; %bb.127:
	s_or_b64 exec, exec, s[18:19]
	s_xor_b64 s[4:5], s[40:41], -1
.LBB1695_128:
	s_and_b64 s[18:19], s[4:5], exec
.LBB1695_129:
	s_or_b64 exec, exec, s[38:39]
	v_cndmask_b32_e64 v32, 0, 1, s[14:15]
	v_cndmask_b32_e64 v33, 0, 1, s[36:37]
	;; [unrolled: 1-line block ×4, first 2 shown]
	v_mov_b32_e32 v16, 1
	v_cmp_ne_u32_e32 vcc, 0, v0
	s_waitcnt lgkmcnt(0)
	s_barrier
                                        ; implicit-def: $sgpr6_sgpr7
                                        ; implicit-def: $vgpr15
	s_and_saveexec_b64 s[14:15], vcc
	s_cbranch_execz .LBB1695_137
; %bb.130:
	v_lshlrev_b16_e32 v15, 8, v34
	v_lshlrev_b16_e32 v17, 8, v14
	v_or_b32_e32 v15, 1, v15
	v_or_b32_sdwa v17, v33, v17 dst_sel:WORD_1 dst_unused:UNUSED_PAD src0_sel:DWORD src1_sel:DWORD
	v_cmp_gt_u32_e32 vcc, s3, v22
	v_or_b32_sdwa v15, v15, v17 dst_sel:DWORD dst_unused:UNUSED_PAD src0_sel:WORD_0 src1_sel:DWORD
	s_mov_b32 s33, 0x3020104
	s_mov_b64 s[6:7], 0
	s_and_saveexec_b64 s[18:19], vcc
	s_cbranch_execz .LBB1695_136
; %bb.131:
	s_andn2_b64 vcc, exec, s[12:13]
	s_mov_b64 s[4:5], 0
	s_cbranch_vccnz .LBB1695_135
; %bb.132:
	v_add_u32_e32 v17, -8, v23
	ds_read_b64 v[18:19], v17
	v_mul_lo_u32 v17, v7, s30
	v_mul_lo_u32 v23, v6, s31
                                        ; implicit-def: $sgpr12_sgpr13
	s_waitcnt lgkmcnt(0)
	v_mul_lo_u32 v20, v19, s30
	v_mul_lo_u32 v21, v18, s31
	v_mad_u64_u32 v[18:19], s[4:5], v18, s30, 0
	v_add3_u32 v19, v19, v21, v20
	v_mad_u64_u32 v[20:21], s[4:5], v6, s30, 0
	v_add3_u32 v21, v21, v23, v17
	v_lshl_add_u64 v[18:19], v[18:19], 3, s[20:21]
	v_lshl_add_u64 v[20:21], v[20:21], 3, s[20:21]
	s_add_u32 s20, s30, -1
	s_addc_u32 s21, s31, -1
.LBB1695_133:                           ; =>This Inner Loop Header: Depth=1
	global_load_dwordx2 v[24:25], v[18:19], off
	global_load_dwordx2 v[26:27], v[20:21], off
	s_add_u32 s4, s20, -1
	s_addc_u32 s5, s21, -1
	s_cmp_eq_u64 s[20:21], 0
	s_mov_b64 s[20:21], s[4:5]
	s_cselect_b64 s[30:31], -1, 0
	v_lshl_add_u64 v[18:19], v[18:19], 0, 8
	v_lshl_add_u64 v[20:21], v[20:21], 0, 8
	s_waitcnt vmcnt(0)
	v_cmp_ne_u64_e64 s[4:5], v[24:25], v[26:27]
	s_or_b64 s[4:5], s[4:5], s[30:31]
	s_and_b64 s[4:5], exec, s[4:5]
	v_cmp_eq_u64_e32 vcc, v[24:25], v[26:27]
	s_or_b64 s[6:7], s[4:5], s[6:7]
	s_andn2_b64 s[4:5], s[12:13], exec
	s_and_b64 s[12:13], vcc, exec
	s_or_b64 s[12:13], s[4:5], s[12:13]
	s_andn2_b64 exec, exec, s[6:7]
	s_cbranch_execnz .LBB1695_133
; %bb.134:
	s_or_b64 exec, exec, s[6:7]
	s_xor_b64 s[4:5], s[12:13], -1
.LBB1695_135:
	s_and_b64 s[6:7], s[4:5], exec
.LBB1695_136:
	s_or_b64 exec, exec, s[18:19]
	v_perm_b32 v15, v15, v15, s33
	s_or_b64 s[10:11], s[10:11], exec
.LBB1695_137:
	s_or_b64 exec, exec, s[14:15]
.LBB1695_138:
	s_and_saveexec_b64 s[4:5], s[10:11]
; %bb.139:
	v_lshrrev_b32_e32 v14, 24, v15
	v_lshrrev_b32_e32 v33, 16, v15
	;; [unrolled: 1-line block ×3, first 2 shown]
	v_cndmask_b32_e64 v16, 0, 1, s[6:7]
; %bb.140:
	s_or_b64 exec, exec, s[4:5]
	s_andn2_b64 vcc, exec, s[8:9]
	s_cbranch_vccnz .LBB1695_144
; %bb.141:
	s_mov_b32 s4, 0xc0c0004
	v_perm_b32 v14, v33, v14, s4
	v_perm_b32 v15, v16, v34, s4
	v_lshlrev_b32_e32 v14, 16, v14
	v_or_b32_e32 v15, v15, v14
	v_cmp_gt_u32_e32 vcc, s3, v22
	v_add_u32_e32 v16, 1, v22
	s_mov_b32 s4, 0x40c0100
	v_cndmask_b32_e32 v14, v14, v15, vcc
	v_and_b32_e32 v14, 0xffff00ff, v14
	v_cmp_gt_u32_e32 vcc, s3, v16
	v_add_u32_e32 v16, 2, v22
	v_and_b32_e32 v32, 0xff, v32
	v_cndmask_b32_e32 v14, v14, v15, vcc
	v_lshrrev_b32_e32 v18, 24, v14
	v_perm_b32 v14, v18, v14, s4
	v_cmp_gt_u32_e32 vcc, s3, v16
	v_add_u32_e32 v16, 3, v22
	v_and_b32_e32 v17, 0xffff, v32
	v_cndmask_b32_e32 v14, v14, v15, vcc
	v_and_b32_e32 v14, 0xffffff, v14
	v_cmp_gt_u32_e32 vcc, s3, v16
	s_nop 1
	v_cndmask_b32_e32 v16, v14, v15, vcc
	v_lshrrev_b64 v[14:15], 24, v[16:17]
	v_add_u32_e32 v15, 4, v22
	v_lshrrev_b32_e32 v33, 16, v16
	v_lshrrev_b32_e32 v34, 8, v16
	v_cmp_le_u32_e32 vcc, s3, v15
	s_and_saveexec_b64 s[4:5], vcc
; %bb.142:
	v_mov_b32_e32 v32, 0
; %bb.143:
	s_or_b64 exec, exec, s[4:5]
.LBB1695_144:
	v_and_b32_e32 v15, 0xff, v16
	v_and_b32_e32 v17, 0xff, v34
	;; [unrolled: 1-line block ×5, first 2 shown]
	v_add3_u32 v19, v17, v15, v29
	v_add3_u32 v37, v19, v31, v18
	v_mbcnt_lo_u32_b32 v18, -1, 0
	v_mbcnt_hi_u32_b32 v35, -1, v18
	v_and_b32_e32 v18, 15, v35
	v_cmp_eq_u32_e64 s[14:15], 0, v18
	v_cmp_lt_u32_e64 s[12:13], 1, v18
	v_cmp_lt_u32_e64 s[10:11], 3, v18
	;; [unrolled: 1-line block ×3, first 2 shown]
	v_and_b32_e32 v18, 16, v35
	v_cmp_eq_u32_e64 s[6:7], 0, v18
	v_or_b32_e32 v18, 63, v0
	v_cmp_lt_u32_e64 s[18:19], 31, v35
	v_lshrrev_b32_e32 v36, 6, v0
	v_cmp_eq_u32_e64 s[4:5], v0, v18
	s_and_b64 vcc, exec, s[16:17]
	s_waitcnt lgkmcnt(0)
	s_barrier
	s_cbranch_vccz .LBB1695_166
; %bb.145:
	v_mov_b32_dpp v18, v37 row_shr:1 row_mask:0xf bank_mask:0xf
	v_cndmask_b32_e64 v18, v18, 0, s[14:15]
	v_add_u32_e32 v18, v18, v37
	s_nop 1
	v_mov_b32_dpp v19, v18 row_shr:2 row_mask:0xf bank_mask:0xf
	v_cndmask_b32_e64 v19, 0, v19, s[12:13]
	v_add_u32_e32 v18, v18, v19
	s_nop 1
	;; [unrolled: 4-line block ×4, first 2 shown]
	v_mov_b32_dpp v19, v18 row_bcast:15 row_mask:0xf bank_mask:0xf
	v_cndmask_b32_e64 v19, v19, 0, s[6:7]
	v_add_u32_e32 v18, v18, v19
	s_nop 1
	v_mov_b32_dpp v19, v18 row_bcast:31 row_mask:0xf bank_mask:0xf
	v_cndmask_b32_e64 v19, 0, v19, s[18:19]
	v_add_u32_e32 v18, v18, v19
	s_and_saveexec_b64 s[16:17], s[4:5]
; %bb.146:
	v_lshlrev_b32_e32 v19, 2, v36
	ds_write_b32 v19, v18
; %bb.147:
	s_or_b64 exec, exec, s[16:17]
	v_cmp_gt_u32_e32 vcc, 2, v0
	s_waitcnt lgkmcnt(0)
	s_barrier
	s_and_saveexec_b64 s[16:17], vcc
	s_cbranch_execz .LBB1695_149
; %bb.148:
	v_lshlrev_b32_e32 v19, 2, v0
	ds_read_b32 v20, v19
	v_bfe_i32 v21, v35, 0, 1
	s_waitcnt lgkmcnt(0)
	v_mov_b32_dpp v22, v20 row_shr:1 row_mask:0xf bank_mask:0xf
	v_and_b32_e32 v21, v21, v22
	v_add_u32_e32 v20, v21, v20
	ds_write_b32 v19, v20
.LBB1695_149:
	s_or_b64 exec, exec, s[16:17]
	v_cmp_gt_u32_e32 vcc, 64, v0
	v_cmp_lt_u32_e64 s[16:17], 63, v0
	s_waitcnt lgkmcnt(0)
	s_barrier
                                        ; implicit-def: $vgpr28
	s_and_saveexec_b64 s[20:21], s[16:17]
	s_cbranch_execz .LBB1695_151
; %bb.150:
	v_lshl_add_u32 v19, v36, 2, -4
	ds_read_b32 v28, v19
	s_waitcnt lgkmcnt(0)
	v_add_u32_e32 v18, v28, v18
.LBB1695_151:
	s_or_b64 exec, exec, s[20:21]
	v_subrev_co_u32_e64 v19, s[16:17], 1, v35
	v_and_b32_e32 v20, 64, v35
	v_cmp_lt_i32_e64 s[20:21], v19, v20
	s_nop 1
	v_cndmask_b32_e64 v19, v19, v35, s[20:21]
	v_lshlrev_b32_e32 v19, 2, v19
	ds_bpermute_b32 v30, v19, v18
	s_and_saveexec_b64 s[20:21], vcc
	s_cbranch_execz .LBB1695_171
; %bb.152:
	v_mov_b32_e32 v25, 0
	ds_read_b32 v18, v25 offset:4
	s_and_saveexec_b64 s[30:31], s[16:17]
	s_cbranch_execz .LBB1695_154
; %bb.153:
	s_add_i32 s36, s2, 64
	s_mov_b32 s37, 0
	s_lshl_b64 s[36:37], s[36:37], 3
	s_add_u32 s36, s22, s36
	v_mov_b32_e32 v19, 1
	s_addc_u32 s37, s23, s37
	s_waitcnt lgkmcnt(0)
	global_store_dwordx2 v25, v[18:19], s[36:37] sc1
.LBB1695_154:
	s_or_b64 exec, exec, s[30:31]
	v_xad_u32 v20, v35, -1, s2
	v_add_u32_e32 v24, 64, v20
	v_lshl_add_u64 v[26:27], v[24:25], 3, s[22:23]
	global_load_dwordx2 v[22:23], v[26:27], off sc1
	s_waitcnt vmcnt(0)
	v_cmp_eq_u16_sdwa s[36:37], v23, v25 src0_sel:BYTE_0 src1_sel:DWORD
	s_and_saveexec_b64 s[30:31], s[36:37]
	s_cbranch_execz .LBB1695_158
; %bb.155:
	s_mov_b64 s[36:37], 0
	v_mov_b32_e32 v19, 0
.LBB1695_156:                           ; =>This Inner Loop Header: Depth=1
	global_load_dwordx2 v[22:23], v[26:27], off sc1
	s_waitcnt vmcnt(0)
	v_cmp_ne_u16_sdwa s[38:39], v23, v19 src0_sel:BYTE_0 src1_sel:DWORD
	s_or_b64 s[36:37], s[38:39], s[36:37]
	s_andn2_b64 exec, exec, s[36:37]
	s_cbranch_execnz .LBB1695_156
; %bb.157:
	s_or_b64 exec, exec, s[36:37]
.LBB1695_158:
	s_or_b64 exec, exec, s[30:31]
	v_and_b32_e32 v39, 63, v35
	v_mov_b32_e32 v38, 2
	v_cmp_ne_u32_e32 vcc, 63, v39
	v_cmp_eq_u16_sdwa s[30:31], v23, v38 src0_sel:BYTE_0 src1_sel:DWORD
	v_lshlrev_b64 v[24:25], v35, -1
	v_addc_co_u32_e32 v26, vcc, 0, v35, vcc
	v_and_b32_e32 v19, s31, v25
	v_lshlrev_b32_e32 v40, 2, v26
	v_or_b32_e32 v19, 0x80000000, v19
	ds_bpermute_b32 v26, v40, v22
	v_and_b32_e32 v21, s30, v24
	v_ffbl_b32_e32 v19, v19
	v_add_u32_e32 v19, 32, v19
	v_ffbl_b32_e32 v21, v21
	v_min_u32_e32 v19, v21, v19
	v_cmp_lt_u32_e32 vcc, v39, v19
	v_add_u32_e32 v42, 2, v39
	v_add_u32_e32 v44, 4, v39
	s_waitcnt lgkmcnt(0)
	v_cndmask_b32_e32 v21, 0, v26, vcc
	v_cmp_gt_u32_e32 vcc, 62, v39
	v_add_u32_e32 v21, v21, v22
	v_add_u32_e32 v46, 8, v39
	v_cndmask_b32_e64 v22, 0, 2, vcc
	v_add_lshl_u32 v41, v22, v35, 2
	ds_bpermute_b32 v22, v41, v21
	v_cmp_le_u32_e32 vcc, v42, v19
	v_add_u32_e32 v48, 16, v39
	v_add_u32_e32 v50, 32, v39
	s_waitcnt lgkmcnt(0)
	v_cndmask_b32_e32 v22, 0, v22, vcc
	v_cmp_gt_u32_e32 vcc, 60, v39
	v_add_u32_e32 v21, v21, v22
	s_nop 0
	v_cndmask_b32_e64 v22, 0, 4, vcc
	v_add_lshl_u32 v43, v22, v35, 2
	ds_bpermute_b32 v22, v43, v21
	v_cmp_le_u32_e32 vcc, v44, v19
	s_waitcnt lgkmcnt(0)
	s_nop 0
	v_cndmask_b32_e32 v22, 0, v22, vcc
	v_cmp_gt_u32_e32 vcc, 56, v39
	v_add_u32_e32 v21, v21, v22
	s_nop 0
	v_cndmask_b32_e64 v22, 0, 8, vcc
	v_add_lshl_u32 v45, v22, v35, 2
	ds_bpermute_b32 v22, v45, v21
	v_cmp_le_u32_e32 vcc, v46, v19
	s_waitcnt lgkmcnt(0)
	s_nop 0
	v_cndmask_b32_e32 v22, 0, v22, vcc
	v_cmp_gt_u32_e32 vcc, 48, v39
	v_add_u32_e32 v21, v21, v22
	s_nop 0
	v_cndmask_b32_e64 v22, 0, 16, vcc
	v_add_lshl_u32 v47, v22, v35, 2
	ds_bpermute_b32 v22, v47, v21
	v_cmp_le_u32_e32 vcc, v48, v19
	s_waitcnt lgkmcnt(0)
	s_nop 0
	v_cndmask_b32_e32 v22, 0, v22, vcc
	v_add_u32_e32 v21, v21, v22
	v_mov_b32_e32 v22, 0x80
	v_lshl_or_b32 v49, v35, 2, v22
	ds_bpermute_b32 v22, v49, v21
	v_cmp_le_u32_e32 vcc, v50, v19
	s_waitcnt lgkmcnt(0)
	s_nop 0
	v_cndmask_b32_e32 v19, 0, v22, vcc
	v_add_u32_e32 v22, v21, v19
	v_mov_b32_e32 v21, 0
	s_branch .LBB1695_161
.LBB1695_159:                           ;   in Loop: Header=BB1695_161 Depth=1
	s_or_b64 exec, exec, s[30:31]
	v_cmp_eq_u16_sdwa s[30:31], v23, v38 src0_sel:BYTE_0 src1_sel:DWORD
	ds_bpermute_b32 v51, v40, v22
	v_subrev_u32_e32 v20, 64, v20
	v_and_b32_e32 v26, s31, v25
	v_or_b32_e32 v26, 0x80000000, v26
	v_and_b32_e32 v27, s30, v24
	v_ffbl_b32_e32 v26, v26
	v_add_u32_e32 v26, 32, v26
	v_ffbl_b32_e32 v27, v27
	v_min_u32_e32 v26, v27, v26
	v_cmp_lt_u32_e32 vcc, v39, v26
	s_mov_b64 s[30:31], 0
	s_waitcnt lgkmcnt(0)
	v_cndmask_b32_e32 v27, 0, v51, vcc
	v_add_u32_e32 v22, v27, v22
	ds_bpermute_b32 v27, v41, v22
	v_cmp_le_u32_e32 vcc, v42, v26
	s_waitcnt lgkmcnt(0)
	s_nop 0
	v_cndmask_b32_e32 v27, 0, v27, vcc
	v_add_u32_e32 v22, v22, v27
	ds_bpermute_b32 v27, v43, v22
	v_cmp_le_u32_e32 vcc, v44, v26
	s_waitcnt lgkmcnt(0)
	s_nop 0
	;; [unrolled: 6-line block ×5, first 2 shown]
	v_cndmask_b32_e32 v26, 0, v27, vcc
	v_add3_u32 v22, v26, v19, v22
.LBB1695_160:                           ;   in Loop: Header=BB1695_161 Depth=1
	s_and_b64 vcc, exec, s[30:31]
	s_cbranch_vccnz .LBB1695_167
.LBB1695_161:                           ; =>This Loop Header: Depth=1
                                        ;     Child Loop BB1695_164 Depth 2
	v_cmp_ne_u16_sdwa s[30:31], v23, v38 src0_sel:BYTE_0 src1_sel:DWORD
	v_mov_b32_e32 v19, v22
	s_cmp_lg_u64 s[30:31], exec
	s_mov_b64 s[30:31], -1
                                        ; implicit-def: $vgpr22
                                        ; implicit-def: $vgpr23
	s_cbranch_scc1 .LBB1695_160
; %bb.162:                              ;   in Loop: Header=BB1695_161 Depth=1
	v_lshl_add_u64 v[26:27], v[20:21], 3, s[22:23]
	global_load_dwordx2 v[22:23], v[26:27], off sc1
	s_waitcnt vmcnt(0)
	v_cmp_eq_u16_sdwa s[36:37], v23, v21 src0_sel:BYTE_0 src1_sel:DWORD
	s_and_saveexec_b64 s[30:31], s[36:37]
	s_cbranch_execz .LBB1695_159
; %bb.163:                              ;   in Loop: Header=BB1695_161 Depth=1
	s_mov_b64 s[36:37], 0
.LBB1695_164:                           ;   Parent Loop BB1695_161 Depth=1
                                        ; =>  This Inner Loop Header: Depth=2
	global_load_dwordx2 v[22:23], v[26:27], off sc1
	s_waitcnt vmcnt(0)
	v_cmp_ne_u16_sdwa s[38:39], v23, v21 src0_sel:BYTE_0 src1_sel:DWORD
	s_or_b64 s[36:37], s[38:39], s[36:37]
	s_andn2_b64 exec, exec, s[36:37]
	s_cbranch_execnz .LBB1695_164
; %bb.165:                              ;   in Loop: Header=BB1695_161 Depth=1
	s_or_b64 exec, exec, s[36:37]
	s_branch .LBB1695_159
.LBB1695_166:
                                        ; implicit-def: $vgpr22
                                        ; implicit-def: $vgpr24
                                        ; implicit-def: $vgpr26
                                        ; implicit-def: $vgpr28
                                        ; implicit-def: $vgpr30
                                        ; implicit-def: $vgpr20
                                        ; implicit-def: $vgpr18
	s_cbranch_execnz .LBB1695_172
	s_branch .LBB1695_181
.LBB1695_167:
	s_and_saveexec_b64 s[30:31], s[16:17]
	s_cbranch_execz .LBB1695_169
; %bb.168:
	s_add_i32 s2, s2, 64
	s_mov_b32 s3, 0
	s_lshl_b64 s[2:3], s[2:3], 3
	s_add_u32 s2, s22, s2
	v_add_u32_e32 v20, v19, v18
	v_mov_b32_e32 v21, 2
	s_addc_u32 s3, s23, s3
	v_mov_b32_e32 v22, 0
	global_store_dwordx2 v22, v[20:21], s[2:3] sc1
	ds_write_b64 v22, v[18:19] offset:5120
.LBB1695_169:
	s_or_b64 exec, exec, s[30:31]
	v_cmp_eq_u32_e32 vcc, 0, v0
	s_and_b64 exec, exec, vcc
; %bb.170:
	v_mov_b32_e32 v18, 0
	ds_write_b32 v18, v19 offset:4
.LBB1695_171:
	s_or_b64 exec, exec, s[20:21]
	v_mov_b32_e32 v18, 0
	s_waitcnt lgkmcnt(0)
	s_barrier
	ds_read_b32 v19, v18 offset:4
	v_cndmask_b32_e64 v20, v30, v28, s[16:17]
	v_cmp_ne_u32_e32 vcc, 0, v0
	s_waitcnt lgkmcnt(0)
	s_barrier
	v_cndmask_b32_e32 v20, 0, v20, vcc
	v_add_u32_e32 v30, v19, v20
	ds_read_b64 v[18:19], v18 offset:5120
	v_add_u32_e32 v28, v30, v15
	v_add_u32_e32 v26, v28, v17
	;; [unrolled: 1-line block ×4, first 2 shown]
	s_waitcnt lgkmcnt(0)
	v_mov_b32_e32 v20, v19
	s_branch .LBB1695_181
.LBB1695_172:
	v_mov_b32_dpp v18, v37 row_shr:1 row_mask:0xf bank_mask:0xf
	v_cndmask_b32_e64 v18, v18, 0, s[14:15]
	v_add_u32_e32 v18, v18, v37
	s_nop 1
	v_mov_b32_dpp v19, v18 row_shr:2 row_mask:0xf bank_mask:0xf
	v_cndmask_b32_e64 v19, 0, v19, s[12:13]
	v_add_u32_e32 v18, v18, v19
	s_nop 1
	v_mov_b32_dpp v19, v18 row_shr:4 row_mask:0xf bank_mask:0xf
	v_cndmask_b32_e64 v19, 0, v19, s[10:11]
	v_add_u32_e32 v18, v18, v19
	s_nop 1
	v_mov_b32_dpp v19, v18 row_shr:8 row_mask:0xf bank_mask:0xf
	v_cndmask_b32_e64 v19, 0, v19, s[8:9]
	v_add_u32_e32 v18, v18, v19
	s_nop 1
	v_mov_b32_dpp v19, v18 row_bcast:15 row_mask:0xf bank_mask:0xf
	v_cndmask_b32_e64 v19, v19, 0, s[6:7]
	v_add_u32_e32 v18, v18, v19
	s_nop 1
	v_mov_b32_dpp v19, v18 row_bcast:31 row_mask:0xf bank_mask:0xf
	v_cndmask_b32_e64 v19, 0, v19, s[18:19]
	v_add_u32_e32 v18, v18, v19
	s_and_saveexec_b64 s[2:3], s[4:5]
; %bb.173:
	v_lshlrev_b32_e32 v19, 2, v36
	ds_write_b32 v19, v18
; %bb.174:
	s_or_b64 exec, exec, s[2:3]
	v_cmp_gt_u32_e32 vcc, 2, v0
	s_waitcnt lgkmcnt(0)
	s_barrier
	s_and_saveexec_b64 s[2:3], vcc
	s_cbranch_execz .LBB1695_176
; %bb.175:
	v_lshlrev_b32_e32 v19, 2, v0
	ds_read_b32 v20, v19
	v_bfe_i32 v21, v35, 0, 1
	s_waitcnt lgkmcnt(0)
	v_mov_b32_dpp v22, v20 row_shr:1 row_mask:0xf bank_mask:0xf
	v_and_b32_e32 v21, v21, v22
	v_add_u32_e32 v20, v21, v20
	ds_write_b32 v19, v20
.LBB1695_176:
	s_or_b64 exec, exec, s[2:3]
	v_cmp_lt_u32_e32 vcc, 63, v0
	v_mov_b32_e32 v19, 0
	v_mov_b32_e32 v20, 0
	s_waitcnt lgkmcnt(0)
	s_barrier
	s_and_saveexec_b64 s[2:3], vcc
; %bb.177:
	v_lshl_add_u32 v20, v36, 2, -4
	ds_read_b32 v20, v20
; %bb.178:
	s_or_b64 exec, exec, s[2:3]
	v_subrev_co_u32_e32 v21, vcc, 1, v35
	v_and_b32_e32 v22, 64, v35
	v_cmp_lt_i32_e64 s[2:3], v21, v22
	s_waitcnt lgkmcnt(0)
	v_add_u32_e32 v18, v20, v18
	v_cndmask_b32_e64 v21, v21, v35, s[2:3]
	v_lshlrev_b32_e32 v21, 2, v21
	ds_bpermute_b32 v21, v21, v18
	ds_read_b32 v18, v19 offset:4
	v_cmp_eq_u32_e64 s[2:3], 0, v0
	s_and_saveexec_b64 s[4:5], s[2:3]
	s_cbranch_execz .LBB1695_180
; %bb.179:
	v_mov_b32_e32 v22, 0
	v_mov_b32_e32 v19, 2
	s_waitcnt lgkmcnt(0)
	global_store_dwordx2 v22, v[18:19], s[22:23] offset:512 sc1
.LBB1695_180:
	s_or_b64 exec, exec, s[4:5]
	s_waitcnt lgkmcnt(1)
	v_cndmask_b32_e32 v19, v21, v20, vcc
	v_cndmask_b32_e64 v30, v19, 0, s[2:3]
	v_add_u32_e32 v28, v30, v15
	v_add_u32_e32 v26, v28, v17
	;; [unrolled: 1-line block ×4, first 2 shown]
	s_waitcnt lgkmcnt(0)
	s_barrier
	v_mov_b32_e32 v20, 0
.LBB1695_181:
	s_load_dwordx4 s[8:11], s[0:1], 0x28
	s_movk_i32 s0, 0x81
	v_cmp_gt_u32_e64 s[0:1], s0, v18
	v_add_u32_e32 v17, v20, v18
	v_and_b32_e32 v15, 1, v16
	s_mov_b64 s[6:7], -1
	s_and_b64 vcc, exec, s[0:1]
	v_cmp_lt_u32_e64 s[2:3], v30, v17
	v_cmp_eq_u32_e64 s[4:5], 1, v15
	s_cbranch_vccz .LBB1695_193
; %bb.182:
	s_or_b64 s[2:3], s[34:35], s[2:3]
	s_and_b64 s[4:5], s[2:3], s[4:5]
	s_and_saveexec_b64 s[2:3], s[4:5]
	s_cbranch_execz .LBB1695_184
; %bb.183:
	s_lshl_b64 s[4:5], s[26:27], 3
	s_waitcnt lgkmcnt(0)
	s_add_u32 s4, s8, s4
	s_addc_u32 s5, s9, s5
	v_mov_b32_e32 v31, 0
	v_lshl_add_u64 v[36:37], v[30:31], 3, s[4:5]
	global_store_dwordx2 v[36:37], v[6:7], off
.LBB1695_184:
	s_or_b64 exec, exec, s[2:3]
	v_cmp_lt_u32_e32 vcc, v28, v17
	v_and_b32_e32 v16, 1, v34
	s_or_b64 s[2:3], s[34:35], vcc
	v_cmp_eq_u32_e32 vcc, 1, v16
	s_and_b64 s[4:5], s[2:3], vcc
	s_and_saveexec_b64 s[2:3], s[4:5]
	s_cbranch_execz .LBB1695_186
; %bb.185:
	s_lshl_b64 s[4:5], s[26:27], 3
	s_waitcnt lgkmcnt(0)
	s_add_u32 s4, s8, s4
	s_addc_u32 s5, s9, s5
	v_mov_b32_e32 v29, 0
	v_lshl_add_u64 v[36:37], v[28:29], 3, s[4:5]
	global_store_dwordx2 v[36:37], v[8:9], off
.LBB1695_186:
	s_or_b64 exec, exec, s[2:3]
	v_cmp_lt_u32_e32 vcc, v26, v17
	v_and_b32_e32 v16, 1, v33
	s_or_b64 s[2:3], s[34:35], vcc
	v_cmp_eq_u32_e32 vcc, 1, v16
	s_and_b64 s[4:5], s[2:3], vcc
	;; [unrolled: 17-line block ×4, first 2 shown]
	s_and_saveexec_b64 s[2:3], s[4:5]
	s_cbranch_execz .LBB1695_192
; %bb.191:
	s_lshl_b64 s[4:5], s[26:27], 3
	s_waitcnt lgkmcnt(0)
	s_add_u32 s4, s8, s4
	s_addc_u32 s5, s9, s5
	v_mov_b32_e32 v23, 0
	v_lshl_add_u64 v[36:37], v[22:23], 3, s[4:5]
	global_store_dwordx2 v[36:37], v[12:13], off
.LBB1695_192:
	s_or_b64 exec, exec, s[2:3]
	s_mov_b64 s[6:7], 0
.LBB1695_193:
	s_and_b64 vcc, exec, s[6:7]
	s_cbranch_vccz .LBB1695_207
; %bb.194:
	v_cmp_eq_u32_e32 vcc, 1, v15
	s_and_saveexec_b64 s[2:3], vcc
; %bb.195:
	v_sub_u32_e32 v16, v30, v20
	v_lshlrev_b32_e32 v16, 3, v16
	ds_write_b64 v16, v[6:7]
; %bb.196:
	s_or_b64 exec, exec, s[2:3]
	v_and_b32_e32 v6, 1, v34
	v_cmp_eq_u32_e32 vcc, 1, v6
	s_and_saveexec_b64 s[2:3], vcc
; %bb.197:
	v_sub_u32_e32 v6, v28, v20
	v_lshlrev_b32_e32 v6, 3, v6
	ds_write_b64 v6, v[8:9]
; %bb.198:
	s_or_b64 exec, exec, s[2:3]
	v_and_b32_e32 v6, 1, v33
	;; [unrolled: 9-line block ×4, first 2 shown]
	v_cmp_eq_u32_e32 vcc, 1, v2
	s_and_saveexec_b64 s[2:3], vcc
; %bb.203:
	v_sub_u32_e32 v2, v22, v20
	v_lshlrev_b32_e32 v2, 3, v2
	ds_write_b64 v2, v[12:13]
; %bb.204:
	s_or_b64 exec, exec, s[2:3]
	v_mov_b32_e32 v3, 0
	v_mov_b32_e32 v21, v3
	v_lshlrev_b64 v[4:5], 3, v[20:21]
	s_waitcnt lgkmcnt(0)
	v_lshl_add_u64 v[4:5], s[8:9], 0, v[4:5]
	s_lshl_b64 s[2:3], s[26:27], 3
	v_lshl_add_u64 v[4:5], v[4:5], 0, s[2:3]
	v_lshlrev_b32_e32 v6, 3, v0
	s_mov_b64 s[2:3], 0
	v_mov_b32_e32 v2, v0
	s_barrier
.LBB1695_205:                           ; =>This Inner Loop Header: Depth=1
	ds_read_b64 v[8:9], v6
	v_lshl_add_u64 v[12:13], v[2:3], 3, v[4:5]
	v_add_u32_e32 v2, 0x80, v2
	v_cmp_ge_u32_e32 vcc, v2, v18
	v_add_u32_e32 v6, 0x400, v6
	s_or_b64 s[2:3], vcc, s[2:3]
	s_waitcnt lgkmcnt(0)
	global_store_dwordx2 v[12:13], v[8:9], off
	s_andn2_b64 exec, exec, s[2:3]
	s_cbranch_execnz .LBB1695_205
; %bb.206:
	s_or_b64 exec, exec, s[2:3]
.LBB1695_207:
	s_mov_b64 s[2:3], -1
	s_and_b64 vcc, exec, s[0:1]
	s_waitcnt lgkmcnt(0)
	s_barrier
	s_cbranch_vccnz .LBB1695_211
; %bb.208:
	s_and_b64 vcc, exec, s[2:3]
	s_cbranch_vccnz .LBB1695_222
.LBB1695_209:
	v_cmp_eq_u32_e32 vcc, 0, v0
	s_and_b64 s[0:1], vcc, s[28:29]
	s_and_saveexec_b64 s[2:3], s[0:1]
	s_cbranch_execnz .LBB1695_235
.LBB1695_210:
	s_endpgm
.LBB1695_211:
	v_cmp_lt_u32_e32 vcc, v30, v17
	s_or_b64 s[0:1], s[34:35], vcc
	v_cmp_eq_u32_e32 vcc, 1, v15
	s_and_b64 s[2:3], s[0:1], vcc
	s_and_saveexec_b64 s[0:1], s[2:3]
	s_cbranch_execz .LBB1695_213
; %bb.212:
	s_lshl_b64 s[2:3], s[26:27], 3
	s_add_u32 s2, s10, s2
	s_addc_u32 s3, s11, s3
	v_mov_b32_e32 v31, 0
	v_lshl_add_u64 v[2:3], v[30:31], 3, s[2:3]
	global_store_dwordx2 v[2:3], v[56:57], off
.LBB1695_213:
	s_or_b64 exec, exec, s[0:1]
	v_cmp_lt_u32_e32 vcc, v28, v17
	v_and_b32_e32 v2, 1, v34
	s_or_b64 s[0:1], s[34:35], vcc
	v_cmp_eq_u32_e32 vcc, 1, v2
	s_and_b64 s[2:3], s[0:1], vcc
	s_and_saveexec_b64 s[0:1], s[2:3]
	s_cbranch_execz .LBB1695_215
; %bb.214:
	s_lshl_b64 s[2:3], s[26:27], 3
	s_add_u32 s2, s10, s2
	s_addc_u32 s3, s11, s3
	v_mov_b32_e32 v29, 0
	v_lshl_add_u64 v[2:3], v[28:29], 3, s[2:3]
	global_store_dwordx2 v[2:3], v[58:59], off
.LBB1695_215:
	s_or_b64 exec, exec, s[0:1]
	v_cmp_lt_u32_e32 vcc, v26, v17
	v_and_b32_e32 v2, 1, v33
	;; [unrolled: 16-line block ×4, first 2 shown]
	s_or_b64 s[0:1], s[34:35], vcc
	v_cmp_eq_u32_e32 vcc, 1, v2
	s_and_b64 s[2:3], s[0:1], vcc
	s_and_saveexec_b64 s[0:1], s[2:3]
	s_cbranch_execz .LBB1695_221
; %bb.220:
	s_lshl_b64 s[2:3], s[26:27], 3
	s_add_u32 s2, s10, s2
	s_addc_u32 s3, s11, s3
	v_mov_b32_e32 v23, 0
	v_lshl_add_u64 v[2:3], v[22:23], 3, s[2:3]
	global_store_dwordx2 v[2:3], v[10:11], off
.LBB1695_221:
	s_or_b64 exec, exec, s[0:1]
	s_branch .LBB1695_209
.LBB1695_222:
	v_cmp_eq_u32_e32 vcc, 1, v15
	s_and_saveexec_b64 s[0:1], vcc
; %bb.223:
	v_sub_u32_e32 v2, v30, v20
	v_lshlrev_b32_e32 v2, 3, v2
	ds_write_b64 v2, v[56:57]
; %bb.224:
	s_or_b64 exec, exec, s[0:1]
	v_and_b32_e32 v2, 1, v34
	v_cmp_eq_u32_e32 vcc, 1, v2
	s_and_saveexec_b64 s[0:1], vcc
; %bb.225:
	v_sub_u32_e32 v2, v28, v20
	v_lshlrev_b32_e32 v2, 3, v2
	ds_write_b64 v2, v[58:59]
; %bb.226:
	s_or_b64 exec, exec, s[0:1]
	v_and_b32_e32 v2, 1, v33
	;; [unrolled: 9-line block ×4, first 2 shown]
	v_cmp_eq_u32_e32 vcc, 1, v2
	s_and_saveexec_b64 s[0:1], vcc
; %bb.231:
	v_sub_u32_e32 v2, v22, v20
	v_lshlrev_b32_e32 v2, 3, v2
	ds_write_b64 v2, v[10:11]
; %bb.232:
	s_or_b64 exec, exec, s[0:1]
	v_mov_b32_e32 v3, 0
	v_mov_b32_e32 v21, v3
	v_lshlrev_b64 v[4:5], 3, v[20:21]
	v_lshl_add_u64 v[4:5], s[10:11], 0, v[4:5]
	s_lshl_b64 s[0:1], s[26:27], 3
	v_lshl_add_u64 v[4:5], v[4:5], 0, s[0:1]
	s_mov_b64 s[0:1], 0
	v_mov_b32_e32 v2, v0
	s_waitcnt lgkmcnt(0)
	s_barrier
.LBB1695_233:                           ; =>This Inner Loop Header: Depth=1
	ds_read_b64 v[6:7], v1
	v_lshl_add_u64 v[8:9], v[2:3], 3, v[4:5]
	v_add_u32_e32 v2, 0x80, v2
	v_cmp_ge_u32_e32 vcc, v2, v18
	v_add_u32_e32 v1, 0x400, v1
	s_or_b64 s[0:1], vcc, s[0:1]
	s_waitcnt lgkmcnt(0)
	global_store_dwordx2 v[8:9], v[6:7], off
	s_andn2_b64 exec, exec, s[0:1]
	s_cbranch_execnz .LBB1695_233
; %bb.234:
	s_or_b64 exec, exec, s[0:1]
	v_cmp_eq_u32_e32 vcc, 0, v0
	s_and_b64 s[0:1], vcc, s[28:29]
	s_and_saveexec_b64 s[2:3], s[0:1]
	s_cbranch_execz .LBB1695_210
.LBB1695_235:
	v_mov_b32_e32 v19, 0
	v_lshl_add_u64 v[0:1], s[26:27], 0, v[18:19]
	v_mov_b32_e32 v21, v19
	v_lshl_add_u64 v[0:1], v[0:1], 0, v[20:21]
	global_store_dwordx2 v19, v[0:1], s[24:25]
	s_endpgm
	.section	.rodata,"a",@progbits
	.p2align	6, 0x0
	.amdhsa_kernel _ZN7rocprim17ROCPRIM_400000_NS6detail17trampoline_kernelINS0_14default_configENS1_25partition_config_selectorILNS1_17partition_subalgoE9EllbEEZZNS1_14partition_implILS5_9ELb0ES3_jPlS8_PNS0_10empty_typeENS0_5tupleIJS8_S9_EEENSB_IJS8_SA_EEENS0_18inequality_wrapperIZN2at6native12_GLOBAL__N_124unique_dim_cuda_templateImEESt5tupleIJNSF_6TensorESK_SK_EERKSK_lbbbEUlllE0_EEPmJS9_EEE10hipError_tPvRmT3_T4_T5_T6_T7_T9_mT8_P12ihipStream_tbDpT10_ENKUlT_T0_E_clISt17integral_constantIbLb0EES1A_EEDaS15_S16_EUlS15_E_NS1_11comp_targetILNS1_3genE0ELNS1_11target_archE4294967295ELNS1_3gpuE0ELNS1_3repE0EEENS1_30default_config_static_selectorELNS0_4arch9wavefront6targetE1EEEvT1_
		.amdhsa_group_segment_fixed_size 5128
		.amdhsa_private_segment_fixed_size 0
		.amdhsa_kernarg_size 120
		.amdhsa_user_sgpr_count 2
		.amdhsa_user_sgpr_dispatch_ptr 0
		.amdhsa_user_sgpr_queue_ptr 0
		.amdhsa_user_sgpr_kernarg_segment_ptr 1
		.amdhsa_user_sgpr_dispatch_id 0
		.amdhsa_user_sgpr_kernarg_preload_length 0
		.amdhsa_user_sgpr_kernarg_preload_offset 0
		.amdhsa_user_sgpr_private_segment_size 0
		.amdhsa_uses_dynamic_stack 0
		.amdhsa_enable_private_segment 0
		.amdhsa_system_sgpr_workgroup_id_x 1
		.amdhsa_system_sgpr_workgroup_id_y 0
		.amdhsa_system_sgpr_workgroup_id_z 0
		.amdhsa_system_sgpr_workgroup_info 0
		.amdhsa_system_vgpr_workitem_id 0
		.amdhsa_next_free_vgpr 60
		.amdhsa_next_free_sgpr 46
		.amdhsa_accum_offset 60
		.amdhsa_reserve_vcc 1
		.amdhsa_float_round_mode_32 0
		.amdhsa_float_round_mode_16_64 0
		.amdhsa_float_denorm_mode_32 3
		.amdhsa_float_denorm_mode_16_64 3
		.amdhsa_dx10_clamp 1
		.amdhsa_ieee_mode 1
		.amdhsa_fp16_overflow 0
		.amdhsa_tg_split 0
		.amdhsa_exception_fp_ieee_invalid_op 0
		.amdhsa_exception_fp_denorm_src 0
		.amdhsa_exception_fp_ieee_div_zero 0
		.amdhsa_exception_fp_ieee_overflow 0
		.amdhsa_exception_fp_ieee_underflow 0
		.amdhsa_exception_fp_ieee_inexact 0
		.amdhsa_exception_int_div_zero 0
	.end_amdhsa_kernel
	.section	.text._ZN7rocprim17ROCPRIM_400000_NS6detail17trampoline_kernelINS0_14default_configENS1_25partition_config_selectorILNS1_17partition_subalgoE9EllbEEZZNS1_14partition_implILS5_9ELb0ES3_jPlS8_PNS0_10empty_typeENS0_5tupleIJS8_S9_EEENSB_IJS8_SA_EEENS0_18inequality_wrapperIZN2at6native12_GLOBAL__N_124unique_dim_cuda_templateImEESt5tupleIJNSF_6TensorESK_SK_EERKSK_lbbbEUlllE0_EEPmJS9_EEE10hipError_tPvRmT3_T4_T5_T6_T7_T9_mT8_P12ihipStream_tbDpT10_ENKUlT_T0_E_clISt17integral_constantIbLb0EES1A_EEDaS15_S16_EUlS15_E_NS1_11comp_targetILNS1_3genE0ELNS1_11target_archE4294967295ELNS1_3gpuE0ELNS1_3repE0EEENS1_30default_config_static_selectorELNS0_4arch9wavefront6targetE1EEEvT1_,"axG",@progbits,_ZN7rocprim17ROCPRIM_400000_NS6detail17trampoline_kernelINS0_14default_configENS1_25partition_config_selectorILNS1_17partition_subalgoE9EllbEEZZNS1_14partition_implILS5_9ELb0ES3_jPlS8_PNS0_10empty_typeENS0_5tupleIJS8_S9_EEENSB_IJS8_SA_EEENS0_18inequality_wrapperIZN2at6native12_GLOBAL__N_124unique_dim_cuda_templateImEESt5tupleIJNSF_6TensorESK_SK_EERKSK_lbbbEUlllE0_EEPmJS9_EEE10hipError_tPvRmT3_T4_T5_T6_T7_T9_mT8_P12ihipStream_tbDpT10_ENKUlT_T0_E_clISt17integral_constantIbLb0EES1A_EEDaS15_S16_EUlS15_E_NS1_11comp_targetILNS1_3genE0ELNS1_11target_archE4294967295ELNS1_3gpuE0ELNS1_3repE0EEENS1_30default_config_static_selectorELNS0_4arch9wavefront6targetE1EEEvT1_,comdat
.Lfunc_end1695:
	.size	_ZN7rocprim17ROCPRIM_400000_NS6detail17trampoline_kernelINS0_14default_configENS1_25partition_config_selectorILNS1_17partition_subalgoE9EllbEEZZNS1_14partition_implILS5_9ELb0ES3_jPlS8_PNS0_10empty_typeENS0_5tupleIJS8_S9_EEENSB_IJS8_SA_EEENS0_18inequality_wrapperIZN2at6native12_GLOBAL__N_124unique_dim_cuda_templateImEESt5tupleIJNSF_6TensorESK_SK_EERKSK_lbbbEUlllE0_EEPmJS9_EEE10hipError_tPvRmT3_T4_T5_T6_T7_T9_mT8_P12ihipStream_tbDpT10_ENKUlT_T0_E_clISt17integral_constantIbLb0EES1A_EEDaS15_S16_EUlS15_E_NS1_11comp_targetILNS1_3genE0ELNS1_11target_archE4294967295ELNS1_3gpuE0ELNS1_3repE0EEENS1_30default_config_static_selectorELNS0_4arch9wavefront6targetE1EEEvT1_, .Lfunc_end1695-_ZN7rocprim17ROCPRIM_400000_NS6detail17trampoline_kernelINS0_14default_configENS1_25partition_config_selectorILNS1_17partition_subalgoE9EllbEEZZNS1_14partition_implILS5_9ELb0ES3_jPlS8_PNS0_10empty_typeENS0_5tupleIJS8_S9_EEENSB_IJS8_SA_EEENS0_18inequality_wrapperIZN2at6native12_GLOBAL__N_124unique_dim_cuda_templateImEESt5tupleIJNSF_6TensorESK_SK_EERKSK_lbbbEUlllE0_EEPmJS9_EEE10hipError_tPvRmT3_T4_T5_T6_T7_T9_mT8_P12ihipStream_tbDpT10_ENKUlT_T0_E_clISt17integral_constantIbLb0EES1A_EEDaS15_S16_EUlS15_E_NS1_11comp_targetILNS1_3genE0ELNS1_11target_archE4294967295ELNS1_3gpuE0ELNS1_3repE0EEENS1_30default_config_static_selectorELNS0_4arch9wavefront6targetE1EEEvT1_
                                        ; -- End function
	.set _ZN7rocprim17ROCPRIM_400000_NS6detail17trampoline_kernelINS0_14default_configENS1_25partition_config_selectorILNS1_17partition_subalgoE9EllbEEZZNS1_14partition_implILS5_9ELb0ES3_jPlS8_PNS0_10empty_typeENS0_5tupleIJS8_S9_EEENSB_IJS8_SA_EEENS0_18inequality_wrapperIZN2at6native12_GLOBAL__N_124unique_dim_cuda_templateImEESt5tupleIJNSF_6TensorESK_SK_EERKSK_lbbbEUlllE0_EEPmJS9_EEE10hipError_tPvRmT3_T4_T5_T6_T7_T9_mT8_P12ihipStream_tbDpT10_ENKUlT_T0_E_clISt17integral_constantIbLb0EES1A_EEDaS15_S16_EUlS15_E_NS1_11comp_targetILNS1_3genE0ELNS1_11target_archE4294967295ELNS1_3gpuE0ELNS1_3repE0EEENS1_30default_config_static_selectorELNS0_4arch9wavefront6targetE1EEEvT1_.num_vgpr, 60
	.set _ZN7rocprim17ROCPRIM_400000_NS6detail17trampoline_kernelINS0_14default_configENS1_25partition_config_selectorILNS1_17partition_subalgoE9EllbEEZZNS1_14partition_implILS5_9ELb0ES3_jPlS8_PNS0_10empty_typeENS0_5tupleIJS8_S9_EEENSB_IJS8_SA_EEENS0_18inequality_wrapperIZN2at6native12_GLOBAL__N_124unique_dim_cuda_templateImEESt5tupleIJNSF_6TensorESK_SK_EERKSK_lbbbEUlllE0_EEPmJS9_EEE10hipError_tPvRmT3_T4_T5_T6_T7_T9_mT8_P12ihipStream_tbDpT10_ENKUlT_T0_E_clISt17integral_constantIbLb0EES1A_EEDaS15_S16_EUlS15_E_NS1_11comp_targetILNS1_3genE0ELNS1_11target_archE4294967295ELNS1_3gpuE0ELNS1_3repE0EEENS1_30default_config_static_selectorELNS0_4arch9wavefront6targetE1EEEvT1_.num_agpr, 0
	.set _ZN7rocprim17ROCPRIM_400000_NS6detail17trampoline_kernelINS0_14default_configENS1_25partition_config_selectorILNS1_17partition_subalgoE9EllbEEZZNS1_14partition_implILS5_9ELb0ES3_jPlS8_PNS0_10empty_typeENS0_5tupleIJS8_S9_EEENSB_IJS8_SA_EEENS0_18inequality_wrapperIZN2at6native12_GLOBAL__N_124unique_dim_cuda_templateImEESt5tupleIJNSF_6TensorESK_SK_EERKSK_lbbbEUlllE0_EEPmJS9_EEE10hipError_tPvRmT3_T4_T5_T6_T7_T9_mT8_P12ihipStream_tbDpT10_ENKUlT_T0_E_clISt17integral_constantIbLb0EES1A_EEDaS15_S16_EUlS15_E_NS1_11comp_targetILNS1_3genE0ELNS1_11target_archE4294967295ELNS1_3gpuE0ELNS1_3repE0EEENS1_30default_config_static_selectorELNS0_4arch9wavefront6targetE1EEEvT1_.numbered_sgpr, 46
	.set _ZN7rocprim17ROCPRIM_400000_NS6detail17trampoline_kernelINS0_14default_configENS1_25partition_config_selectorILNS1_17partition_subalgoE9EllbEEZZNS1_14partition_implILS5_9ELb0ES3_jPlS8_PNS0_10empty_typeENS0_5tupleIJS8_S9_EEENSB_IJS8_SA_EEENS0_18inequality_wrapperIZN2at6native12_GLOBAL__N_124unique_dim_cuda_templateImEESt5tupleIJNSF_6TensorESK_SK_EERKSK_lbbbEUlllE0_EEPmJS9_EEE10hipError_tPvRmT3_T4_T5_T6_T7_T9_mT8_P12ihipStream_tbDpT10_ENKUlT_T0_E_clISt17integral_constantIbLb0EES1A_EEDaS15_S16_EUlS15_E_NS1_11comp_targetILNS1_3genE0ELNS1_11target_archE4294967295ELNS1_3gpuE0ELNS1_3repE0EEENS1_30default_config_static_selectorELNS0_4arch9wavefront6targetE1EEEvT1_.num_named_barrier, 0
	.set _ZN7rocprim17ROCPRIM_400000_NS6detail17trampoline_kernelINS0_14default_configENS1_25partition_config_selectorILNS1_17partition_subalgoE9EllbEEZZNS1_14partition_implILS5_9ELb0ES3_jPlS8_PNS0_10empty_typeENS0_5tupleIJS8_S9_EEENSB_IJS8_SA_EEENS0_18inequality_wrapperIZN2at6native12_GLOBAL__N_124unique_dim_cuda_templateImEESt5tupleIJNSF_6TensorESK_SK_EERKSK_lbbbEUlllE0_EEPmJS9_EEE10hipError_tPvRmT3_T4_T5_T6_T7_T9_mT8_P12ihipStream_tbDpT10_ENKUlT_T0_E_clISt17integral_constantIbLb0EES1A_EEDaS15_S16_EUlS15_E_NS1_11comp_targetILNS1_3genE0ELNS1_11target_archE4294967295ELNS1_3gpuE0ELNS1_3repE0EEENS1_30default_config_static_selectorELNS0_4arch9wavefront6targetE1EEEvT1_.private_seg_size, 0
	.set _ZN7rocprim17ROCPRIM_400000_NS6detail17trampoline_kernelINS0_14default_configENS1_25partition_config_selectorILNS1_17partition_subalgoE9EllbEEZZNS1_14partition_implILS5_9ELb0ES3_jPlS8_PNS0_10empty_typeENS0_5tupleIJS8_S9_EEENSB_IJS8_SA_EEENS0_18inequality_wrapperIZN2at6native12_GLOBAL__N_124unique_dim_cuda_templateImEESt5tupleIJNSF_6TensorESK_SK_EERKSK_lbbbEUlllE0_EEPmJS9_EEE10hipError_tPvRmT3_T4_T5_T6_T7_T9_mT8_P12ihipStream_tbDpT10_ENKUlT_T0_E_clISt17integral_constantIbLb0EES1A_EEDaS15_S16_EUlS15_E_NS1_11comp_targetILNS1_3genE0ELNS1_11target_archE4294967295ELNS1_3gpuE0ELNS1_3repE0EEENS1_30default_config_static_selectorELNS0_4arch9wavefront6targetE1EEEvT1_.uses_vcc, 1
	.set _ZN7rocprim17ROCPRIM_400000_NS6detail17trampoline_kernelINS0_14default_configENS1_25partition_config_selectorILNS1_17partition_subalgoE9EllbEEZZNS1_14partition_implILS5_9ELb0ES3_jPlS8_PNS0_10empty_typeENS0_5tupleIJS8_S9_EEENSB_IJS8_SA_EEENS0_18inequality_wrapperIZN2at6native12_GLOBAL__N_124unique_dim_cuda_templateImEESt5tupleIJNSF_6TensorESK_SK_EERKSK_lbbbEUlllE0_EEPmJS9_EEE10hipError_tPvRmT3_T4_T5_T6_T7_T9_mT8_P12ihipStream_tbDpT10_ENKUlT_T0_E_clISt17integral_constantIbLb0EES1A_EEDaS15_S16_EUlS15_E_NS1_11comp_targetILNS1_3genE0ELNS1_11target_archE4294967295ELNS1_3gpuE0ELNS1_3repE0EEENS1_30default_config_static_selectorELNS0_4arch9wavefront6targetE1EEEvT1_.uses_flat_scratch, 0
	.set _ZN7rocprim17ROCPRIM_400000_NS6detail17trampoline_kernelINS0_14default_configENS1_25partition_config_selectorILNS1_17partition_subalgoE9EllbEEZZNS1_14partition_implILS5_9ELb0ES3_jPlS8_PNS0_10empty_typeENS0_5tupleIJS8_S9_EEENSB_IJS8_SA_EEENS0_18inequality_wrapperIZN2at6native12_GLOBAL__N_124unique_dim_cuda_templateImEESt5tupleIJNSF_6TensorESK_SK_EERKSK_lbbbEUlllE0_EEPmJS9_EEE10hipError_tPvRmT3_T4_T5_T6_T7_T9_mT8_P12ihipStream_tbDpT10_ENKUlT_T0_E_clISt17integral_constantIbLb0EES1A_EEDaS15_S16_EUlS15_E_NS1_11comp_targetILNS1_3genE0ELNS1_11target_archE4294967295ELNS1_3gpuE0ELNS1_3repE0EEENS1_30default_config_static_selectorELNS0_4arch9wavefront6targetE1EEEvT1_.has_dyn_sized_stack, 0
	.set _ZN7rocprim17ROCPRIM_400000_NS6detail17trampoline_kernelINS0_14default_configENS1_25partition_config_selectorILNS1_17partition_subalgoE9EllbEEZZNS1_14partition_implILS5_9ELb0ES3_jPlS8_PNS0_10empty_typeENS0_5tupleIJS8_S9_EEENSB_IJS8_SA_EEENS0_18inequality_wrapperIZN2at6native12_GLOBAL__N_124unique_dim_cuda_templateImEESt5tupleIJNSF_6TensorESK_SK_EERKSK_lbbbEUlllE0_EEPmJS9_EEE10hipError_tPvRmT3_T4_T5_T6_T7_T9_mT8_P12ihipStream_tbDpT10_ENKUlT_T0_E_clISt17integral_constantIbLb0EES1A_EEDaS15_S16_EUlS15_E_NS1_11comp_targetILNS1_3genE0ELNS1_11target_archE4294967295ELNS1_3gpuE0ELNS1_3repE0EEENS1_30default_config_static_selectorELNS0_4arch9wavefront6targetE1EEEvT1_.has_recursion, 0
	.set _ZN7rocprim17ROCPRIM_400000_NS6detail17trampoline_kernelINS0_14default_configENS1_25partition_config_selectorILNS1_17partition_subalgoE9EllbEEZZNS1_14partition_implILS5_9ELb0ES3_jPlS8_PNS0_10empty_typeENS0_5tupleIJS8_S9_EEENSB_IJS8_SA_EEENS0_18inequality_wrapperIZN2at6native12_GLOBAL__N_124unique_dim_cuda_templateImEESt5tupleIJNSF_6TensorESK_SK_EERKSK_lbbbEUlllE0_EEPmJS9_EEE10hipError_tPvRmT3_T4_T5_T6_T7_T9_mT8_P12ihipStream_tbDpT10_ENKUlT_T0_E_clISt17integral_constantIbLb0EES1A_EEDaS15_S16_EUlS15_E_NS1_11comp_targetILNS1_3genE0ELNS1_11target_archE4294967295ELNS1_3gpuE0ELNS1_3repE0EEENS1_30default_config_static_selectorELNS0_4arch9wavefront6targetE1EEEvT1_.has_indirect_call, 0
	.section	.AMDGPU.csdata,"",@progbits
; Kernel info:
; codeLenInByte = 9496
; TotalNumSgprs: 52
; NumVgprs: 60
; NumAgprs: 0
; TotalNumVgprs: 60
; ScratchSize: 0
; MemoryBound: 0
; FloatMode: 240
; IeeeMode: 1
; LDSByteSize: 5128 bytes/workgroup (compile time only)
; SGPRBlocks: 6
; VGPRBlocks: 7
; NumSGPRsForWavesPerEU: 52
; NumVGPRsForWavesPerEU: 60
; AccumOffset: 60
; Occupancy: 8
; WaveLimiterHint : 1
; COMPUTE_PGM_RSRC2:SCRATCH_EN: 0
; COMPUTE_PGM_RSRC2:USER_SGPR: 2
; COMPUTE_PGM_RSRC2:TRAP_HANDLER: 0
; COMPUTE_PGM_RSRC2:TGID_X_EN: 1
; COMPUTE_PGM_RSRC2:TGID_Y_EN: 0
; COMPUTE_PGM_RSRC2:TGID_Z_EN: 0
; COMPUTE_PGM_RSRC2:TIDIG_COMP_CNT: 0
; COMPUTE_PGM_RSRC3_GFX90A:ACCUM_OFFSET: 14
; COMPUTE_PGM_RSRC3_GFX90A:TG_SPLIT: 0
	.section	.text._ZN7rocprim17ROCPRIM_400000_NS6detail17trampoline_kernelINS0_14default_configENS1_25partition_config_selectorILNS1_17partition_subalgoE9EllbEEZZNS1_14partition_implILS5_9ELb0ES3_jPlS8_PNS0_10empty_typeENS0_5tupleIJS8_S9_EEENSB_IJS8_SA_EEENS0_18inequality_wrapperIZN2at6native12_GLOBAL__N_124unique_dim_cuda_templateImEESt5tupleIJNSF_6TensorESK_SK_EERKSK_lbbbEUlllE0_EEPmJS9_EEE10hipError_tPvRmT3_T4_T5_T6_T7_T9_mT8_P12ihipStream_tbDpT10_ENKUlT_T0_E_clISt17integral_constantIbLb0EES1A_EEDaS15_S16_EUlS15_E_NS1_11comp_targetILNS1_3genE5ELNS1_11target_archE942ELNS1_3gpuE9ELNS1_3repE0EEENS1_30default_config_static_selectorELNS0_4arch9wavefront6targetE1EEEvT1_,"axG",@progbits,_ZN7rocprim17ROCPRIM_400000_NS6detail17trampoline_kernelINS0_14default_configENS1_25partition_config_selectorILNS1_17partition_subalgoE9EllbEEZZNS1_14partition_implILS5_9ELb0ES3_jPlS8_PNS0_10empty_typeENS0_5tupleIJS8_S9_EEENSB_IJS8_SA_EEENS0_18inequality_wrapperIZN2at6native12_GLOBAL__N_124unique_dim_cuda_templateImEESt5tupleIJNSF_6TensorESK_SK_EERKSK_lbbbEUlllE0_EEPmJS9_EEE10hipError_tPvRmT3_T4_T5_T6_T7_T9_mT8_P12ihipStream_tbDpT10_ENKUlT_T0_E_clISt17integral_constantIbLb0EES1A_EEDaS15_S16_EUlS15_E_NS1_11comp_targetILNS1_3genE5ELNS1_11target_archE942ELNS1_3gpuE9ELNS1_3repE0EEENS1_30default_config_static_selectorELNS0_4arch9wavefront6targetE1EEEvT1_,comdat
	.globl	_ZN7rocprim17ROCPRIM_400000_NS6detail17trampoline_kernelINS0_14default_configENS1_25partition_config_selectorILNS1_17partition_subalgoE9EllbEEZZNS1_14partition_implILS5_9ELb0ES3_jPlS8_PNS0_10empty_typeENS0_5tupleIJS8_S9_EEENSB_IJS8_SA_EEENS0_18inequality_wrapperIZN2at6native12_GLOBAL__N_124unique_dim_cuda_templateImEESt5tupleIJNSF_6TensorESK_SK_EERKSK_lbbbEUlllE0_EEPmJS9_EEE10hipError_tPvRmT3_T4_T5_T6_T7_T9_mT8_P12ihipStream_tbDpT10_ENKUlT_T0_E_clISt17integral_constantIbLb0EES1A_EEDaS15_S16_EUlS15_E_NS1_11comp_targetILNS1_3genE5ELNS1_11target_archE942ELNS1_3gpuE9ELNS1_3repE0EEENS1_30default_config_static_selectorELNS0_4arch9wavefront6targetE1EEEvT1_ ; -- Begin function _ZN7rocprim17ROCPRIM_400000_NS6detail17trampoline_kernelINS0_14default_configENS1_25partition_config_selectorILNS1_17partition_subalgoE9EllbEEZZNS1_14partition_implILS5_9ELb0ES3_jPlS8_PNS0_10empty_typeENS0_5tupleIJS8_S9_EEENSB_IJS8_SA_EEENS0_18inequality_wrapperIZN2at6native12_GLOBAL__N_124unique_dim_cuda_templateImEESt5tupleIJNSF_6TensorESK_SK_EERKSK_lbbbEUlllE0_EEPmJS9_EEE10hipError_tPvRmT3_T4_T5_T6_T7_T9_mT8_P12ihipStream_tbDpT10_ENKUlT_T0_E_clISt17integral_constantIbLb0EES1A_EEDaS15_S16_EUlS15_E_NS1_11comp_targetILNS1_3genE5ELNS1_11target_archE942ELNS1_3gpuE9ELNS1_3repE0EEENS1_30default_config_static_selectorELNS0_4arch9wavefront6targetE1EEEvT1_
	.p2align	8
	.type	_ZN7rocprim17ROCPRIM_400000_NS6detail17trampoline_kernelINS0_14default_configENS1_25partition_config_selectorILNS1_17partition_subalgoE9EllbEEZZNS1_14partition_implILS5_9ELb0ES3_jPlS8_PNS0_10empty_typeENS0_5tupleIJS8_S9_EEENSB_IJS8_SA_EEENS0_18inequality_wrapperIZN2at6native12_GLOBAL__N_124unique_dim_cuda_templateImEESt5tupleIJNSF_6TensorESK_SK_EERKSK_lbbbEUlllE0_EEPmJS9_EEE10hipError_tPvRmT3_T4_T5_T6_T7_T9_mT8_P12ihipStream_tbDpT10_ENKUlT_T0_E_clISt17integral_constantIbLb0EES1A_EEDaS15_S16_EUlS15_E_NS1_11comp_targetILNS1_3genE5ELNS1_11target_archE942ELNS1_3gpuE9ELNS1_3repE0EEENS1_30default_config_static_selectorELNS0_4arch9wavefront6targetE1EEEvT1_,@function
_ZN7rocprim17ROCPRIM_400000_NS6detail17trampoline_kernelINS0_14default_configENS1_25partition_config_selectorILNS1_17partition_subalgoE9EllbEEZZNS1_14partition_implILS5_9ELb0ES3_jPlS8_PNS0_10empty_typeENS0_5tupleIJS8_S9_EEENSB_IJS8_SA_EEENS0_18inequality_wrapperIZN2at6native12_GLOBAL__N_124unique_dim_cuda_templateImEESt5tupleIJNSF_6TensorESK_SK_EERKSK_lbbbEUlllE0_EEPmJS9_EEE10hipError_tPvRmT3_T4_T5_T6_T7_T9_mT8_P12ihipStream_tbDpT10_ENKUlT_T0_E_clISt17integral_constantIbLb0EES1A_EEDaS15_S16_EUlS15_E_NS1_11comp_targetILNS1_3genE5ELNS1_11target_archE942ELNS1_3gpuE9ELNS1_3repE0EEENS1_30default_config_static_selectorELNS0_4arch9wavefront6targetE1EEEvT1_: ; @_ZN7rocprim17ROCPRIM_400000_NS6detail17trampoline_kernelINS0_14default_configENS1_25partition_config_selectorILNS1_17partition_subalgoE9EllbEEZZNS1_14partition_implILS5_9ELb0ES3_jPlS8_PNS0_10empty_typeENS0_5tupleIJS8_S9_EEENSB_IJS8_SA_EEENS0_18inequality_wrapperIZN2at6native12_GLOBAL__N_124unique_dim_cuda_templateImEESt5tupleIJNSF_6TensorESK_SK_EERKSK_lbbbEUlllE0_EEPmJS9_EEE10hipError_tPvRmT3_T4_T5_T6_T7_T9_mT8_P12ihipStream_tbDpT10_ENKUlT_T0_E_clISt17integral_constantIbLb0EES1A_EEDaS15_S16_EUlS15_E_NS1_11comp_targetILNS1_3genE5ELNS1_11target_archE942ELNS1_3gpuE9ELNS1_3repE0EEENS1_30default_config_static_selectorELNS0_4arch9wavefront6targetE1EEEvT1_
; %bb.0:
	.section	.rodata,"a",@progbits
	.p2align	6, 0x0
	.amdhsa_kernel _ZN7rocprim17ROCPRIM_400000_NS6detail17trampoline_kernelINS0_14default_configENS1_25partition_config_selectorILNS1_17partition_subalgoE9EllbEEZZNS1_14partition_implILS5_9ELb0ES3_jPlS8_PNS0_10empty_typeENS0_5tupleIJS8_S9_EEENSB_IJS8_SA_EEENS0_18inequality_wrapperIZN2at6native12_GLOBAL__N_124unique_dim_cuda_templateImEESt5tupleIJNSF_6TensorESK_SK_EERKSK_lbbbEUlllE0_EEPmJS9_EEE10hipError_tPvRmT3_T4_T5_T6_T7_T9_mT8_P12ihipStream_tbDpT10_ENKUlT_T0_E_clISt17integral_constantIbLb0EES1A_EEDaS15_S16_EUlS15_E_NS1_11comp_targetILNS1_3genE5ELNS1_11target_archE942ELNS1_3gpuE9ELNS1_3repE0EEENS1_30default_config_static_selectorELNS0_4arch9wavefront6targetE1EEEvT1_
		.amdhsa_group_segment_fixed_size 0
		.amdhsa_private_segment_fixed_size 0
		.amdhsa_kernarg_size 120
		.amdhsa_user_sgpr_count 2
		.amdhsa_user_sgpr_dispatch_ptr 0
		.amdhsa_user_sgpr_queue_ptr 0
		.amdhsa_user_sgpr_kernarg_segment_ptr 1
		.amdhsa_user_sgpr_dispatch_id 0
		.amdhsa_user_sgpr_kernarg_preload_length 0
		.amdhsa_user_sgpr_kernarg_preload_offset 0
		.amdhsa_user_sgpr_private_segment_size 0
		.amdhsa_uses_dynamic_stack 0
		.amdhsa_enable_private_segment 0
		.amdhsa_system_sgpr_workgroup_id_x 1
		.amdhsa_system_sgpr_workgroup_id_y 0
		.amdhsa_system_sgpr_workgroup_id_z 0
		.amdhsa_system_sgpr_workgroup_info 0
		.amdhsa_system_vgpr_workitem_id 0
		.amdhsa_next_free_vgpr 1
		.amdhsa_next_free_sgpr 0
		.amdhsa_accum_offset 4
		.amdhsa_reserve_vcc 0
		.amdhsa_float_round_mode_32 0
		.amdhsa_float_round_mode_16_64 0
		.amdhsa_float_denorm_mode_32 3
		.amdhsa_float_denorm_mode_16_64 3
		.amdhsa_dx10_clamp 1
		.amdhsa_ieee_mode 1
		.amdhsa_fp16_overflow 0
		.amdhsa_tg_split 0
		.amdhsa_exception_fp_ieee_invalid_op 0
		.amdhsa_exception_fp_denorm_src 0
		.amdhsa_exception_fp_ieee_div_zero 0
		.amdhsa_exception_fp_ieee_overflow 0
		.amdhsa_exception_fp_ieee_underflow 0
		.amdhsa_exception_fp_ieee_inexact 0
		.amdhsa_exception_int_div_zero 0
	.end_amdhsa_kernel
	.section	.text._ZN7rocprim17ROCPRIM_400000_NS6detail17trampoline_kernelINS0_14default_configENS1_25partition_config_selectorILNS1_17partition_subalgoE9EllbEEZZNS1_14partition_implILS5_9ELb0ES3_jPlS8_PNS0_10empty_typeENS0_5tupleIJS8_S9_EEENSB_IJS8_SA_EEENS0_18inequality_wrapperIZN2at6native12_GLOBAL__N_124unique_dim_cuda_templateImEESt5tupleIJNSF_6TensorESK_SK_EERKSK_lbbbEUlllE0_EEPmJS9_EEE10hipError_tPvRmT3_T4_T5_T6_T7_T9_mT8_P12ihipStream_tbDpT10_ENKUlT_T0_E_clISt17integral_constantIbLb0EES1A_EEDaS15_S16_EUlS15_E_NS1_11comp_targetILNS1_3genE5ELNS1_11target_archE942ELNS1_3gpuE9ELNS1_3repE0EEENS1_30default_config_static_selectorELNS0_4arch9wavefront6targetE1EEEvT1_,"axG",@progbits,_ZN7rocprim17ROCPRIM_400000_NS6detail17trampoline_kernelINS0_14default_configENS1_25partition_config_selectorILNS1_17partition_subalgoE9EllbEEZZNS1_14partition_implILS5_9ELb0ES3_jPlS8_PNS0_10empty_typeENS0_5tupleIJS8_S9_EEENSB_IJS8_SA_EEENS0_18inequality_wrapperIZN2at6native12_GLOBAL__N_124unique_dim_cuda_templateImEESt5tupleIJNSF_6TensorESK_SK_EERKSK_lbbbEUlllE0_EEPmJS9_EEE10hipError_tPvRmT3_T4_T5_T6_T7_T9_mT8_P12ihipStream_tbDpT10_ENKUlT_T0_E_clISt17integral_constantIbLb0EES1A_EEDaS15_S16_EUlS15_E_NS1_11comp_targetILNS1_3genE5ELNS1_11target_archE942ELNS1_3gpuE9ELNS1_3repE0EEENS1_30default_config_static_selectorELNS0_4arch9wavefront6targetE1EEEvT1_,comdat
.Lfunc_end1696:
	.size	_ZN7rocprim17ROCPRIM_400000_NS6detail17trampoline_kernelINS0_14default_configENS1_25partition_config_selectorILNS1_17partition_subalgoE9EllbEEZZNS1_14partition_implILS5_9ELb0ES3_jPlS8_PNS0_10empty_typeENS0_5tupleIJS8_S9_EEENSB_IJS8_SA_EEENS0_18inequality_wrapperIZN2at6native12_GLOBAL__N_124unique_dim_cuda_templateImEESt5tupleIJNSF_6TensorESK_SK_EERKSK_lbbbEUlllE0_EEPmJS9_EEE10hipError_tPvRmT3_T4_T5_T6_T7_T9_mT8_P12ihipStream_tbDpT10_ENKUlT_T0_E_clISt17integral_constantIbLb0EES1A_EEDaS15_S16_EUlS15_E_NS1_11comp_targetILNS1_3genE5ELNS1_11target_archE942ELNS1_3gpuE9ELNS1_3repE0EEENS1_30default_config_static_selectorELNS0_4arch9wavefront6targetE1EEEvT1_, .Lfunc_end1696-_ZN7rocprim17ROCPRIM_400000_NS6detail17trampoline_kernelINS0_14default_configENS1_25partition_config_selectorILNS1_17partition_subalgoE9EllbEEZZNS1_14partition_implILS5_9ELb0ES3_jPlS8_PNS0_10empty_typeENS0_5tupleIJS8_S9_EEENSB_IJS8_SA_EEENS0_18inequality_wrapperIZN2at6native12_GLOBAL__N_124unique_dim_cuda_templateImEESt5tupleIJNSF_6TensorESK_SK_EERKSK_lbbbEUlllE0_EEPmJS9_EEE10hipError_tPvRmT3_T4_T5_T6_T7_T9_mT8_P12ihipStream_tbDpT10_ENKUlT_T0_E_clISt17integral_constantIbLb0EES1A_EEDaS15_S16_EUlS15_E_NS1_11comp_targetILNS1_3genE5ELNS1_11target_archE942ELNS1_3gpuE9ELNS1_3repE0EEENS1_30default_config_static_selectorELNS0_4arch9wavefront6targetE1EEEvT1_
                                        ; -- End function
	.set _ZN7rocprim17ROCPRIM_400000_NS6detail17trampoline_kernelINS0_14default_configENS1_25partition_config_selectorILNS1_17partition_subalgoE9EllbEEZZNS1_14partition_implILS5_9ELb0ES3_jPlS8_PNS0_10empty_typeENS0_5tupleIJS8_S9_EEENSB_IJS8_SA_EEENS0_18inequality_wrapperIZN2at6native12_GLOBAL__N_124unique_dim_cuda_templateImEESt5tupleIJNSF_6TensorESK_SK_EERKSK_lbbbEUlllE0_EEPmJS9_EEE10hipError_tPvRmT3_T4_T5_T6_T7_T9_mT8_P12ihipStream_tbDpT10_ENKUlT_T0_E_clISt17integral_constantIbLb0EES1A_EEDaS15_S16_EUlS15_E_NS1_11comp_targetILNS1_3genE5ELNS1_11target_archE942ELNS1_3gpuE9ELNS1_3repE0EEENS1_30default_config_static_selectorELNS0_4arch9wavefront6targetE1EEEvT1_.num_vgpr, 0
	.set _ZN7rocprim17ROCPRIM_400000_NS6detail17trampoline_kernelINS0_14default_configENS1_25partition_config_selectorILNS1_17partition_subalgoE9EllbEEZZNS1_14partition_implILS5_9ELb0ES3_jPlS8_PNS0_10empty_typeENS0_5tupleIJS8_S9_EEENSB_IJS8_SA_EEENS0_18inequality_wrapperIZN2at6native12_GLOBAL__N_124unique_dim_cuda_templateImEESt5tupleIJNSF_6TensorESK_SK_EERKSK_lbbbEUlllE0_EEPmJS9_EEE10hipError_tPvRmT3_T4_T5_T6_T7_T9_mT8_P12ihipStream_tbDpT10_ENKUlT_T0_E_clISt17integral_constantIbLb0EES1A_EEDaS15_S16_EUlS15_E_NS1_11comp_targetILNS1_3genE5ELNS1_11target_archE942ELNS1_3gpuE9ELNS1_3repE0EEENS1_30default_config_static_selectorELNS0_4arch9wavefront6targetE1EEEvT1_.num_agpr, 0
	.set _ZN7rocprim17ROCPRIM_400000_NS6detail17trampoline_kernelINS0_14default_configENS1_25partition_config_selectorILNS1_17partition_subalgoE9EllbEEZZNS1_14partition_implILS5_9ELb0ES3_jPlS8_PNS0_10empty_typeENS0_5tupleIJS8_S9_EEENSB_IJS8_SA_EEENS0_18inequality_wrapperIZN2at6native12_GLOBAL__N_124unique_dim_cuda_templateImEESt5tupleIJNSF_6TensorESK_SK_EERKSK_lbbbEUlllE0_EEPmJS9_EEE10hipError_tPvRmT3_T4_T5_T6_T7_T9_mT8_P12ihipStream_tbDpT10_ENKUlT_T0_E_clISt17integral_constantIbLb0EES1A_EEDaS15_S16_EUlS15_E_NS1_11comp_targetILNS1_3genE5ELNS1_11target_archE942ELNS1_3gpuE9ELNS1_3repE0EEENS1_30default_config_static_selectorELNS0_4arch9wavefront6targetE1EEEvT1_.numbered_sgpr, 0
	.set _ZN7rocprim17ROCPRIM_400000_NS6detail17trampoline_kernelINS0_14default_configENS1_25partition_config_selectorILNS1_17partition_subalgoE9EllbEEZZNS1_14partition_implILS5_9ELb0ES3_jPlS8_PNS0_10empty_typeENS0_5tupleIJS8_S9_EEENSB_IJS8_SA_EEENS0_18inequality_wrapperIZN2at6native12_GLOBAL__N_124unique_dim_cuda_templateImEESt5tupleIJNSF_6TensorESK_SK_EERKSK_lbbbEUlllE0_EEPmJS9_EEE10hipError_tPvRmT3_T4_T5_T6_T7_T9_mT8_P12ihipStream_tbDpT10_ENKUlT_T0_E_clISt17integral_constantIbLb0EES1A_EEDaS15_S16_EUlS15_E_NS1_11comp_targetILNS1_3genE5ELNS1_11target_archE942ELNS1_3gpuE9ELNS1_3repE0EEENS1_30default_config_static_selectorELNS0_4arch9wavefront6targetE1EEEvT1_.num_named_barrier, 0
	.set _ZN7rocprim17ROCPRIM_400000_NS6detail17trampoline_kernelINS0_14default_configENS1_25partition_config_selectorILNS1_17partition_subalgoE9EllbEEZZNS1_14partition_implILS5_9ELb0ES3_jPlS8_PNS0_10empty_typeENS0_5tupleIJS8_S9_EEENSB_IJS8_SA_EEENS0_18inequality_wrapperIZN2at6native12_GLOBAL__N_124unique_dim_cuda_templateImEESt5tupleIJNSF_6TensorESK_SK_EERKSK_lbbbEUlllE0_EEPmJS9_EEE10hipError_tPvRmT3_T4_T5_T6_T7_T9_mT8_P12ihipStream_tbDpT10_ENKUlT_T0_E_clISt17integral_constantIbLb0EES1A_EEDaS15_S16_EUlS15_E_NS1_11comp_targetILNS1_3genE5ELNS1_11target_archE942ELNS1_3gpuE9ELNS1_3repE0EEENS1_30default_config_static_selectorELNS0_4arch9wavefront6targetE1EEEvT1_.private_seg_size, 0
	.set _ZN7rocprim17ROCPRIM_400000_NS6detail17trampoline_kernelINS0_14default_configENS1_25partition_config_selectorILNS1_17partition_subalgoE9EllbEEZZNS1_14partition_implILS5_9ELb0ES3_jPlS8_PNS0_10empty_typeENS0_5tupleIJS8_S9_EEENSB_IJS8_SA_EEENS0_18inequality_wrapperIZN2at6native12_GLOBAL__N_124unique_dim_cuda_templateImEESt5tupleIJNSF_6TensorESK_SK_EERKSK_lbbbEUlllE0_EEPmJS9_EEE10hipError_tPvRmT3_T4_T5_T6_T7_T9_mT8_P12ihipStream_tbDpT10_ENKUlT_T0_E_clISt17integral_constantIbLb0EES1A_EEDaS15_S16_EUlS15_E_NS1_11comp_targetILNS1_3genE5ELNS1_11target_archE942ELNS1_3gpuE9ELNS1_3repE0EEENS1_30default_config_static_selectorELNS0_4arch9wavefront6targetE1EEEvT1_.uses_vcc, 0
	.set _ZN7rocprim17ROCPRIM_400000_NS6detail17trampoline_kernelINS0_14default_configENS1_25partition_config_selectorILNS1_17partition_subalgoE9EllbEEZZNS1_14partition_implILS5_9ELb0ES3_jPlS8_PNS0_10empty_typeENS0_5tupleIJS8_S9_EEENSB_IJS8_SA_EEENS0_18inequality_wrapperIZN2at6native12_GLOBAL__N_124unique_dim_cuda_templateImEESt5tupleIJNSF_6TensorESK_SK_EERKSK_lbbbEUlllE0_EEPmJS9_EEE10hipError_tPvRmT3_T4_T5_T6_T7_T9_mT8_P12ihipStream_tbDpT10_ENKUlT_T0_E_clISt17integral_constantIbLb0EES1A_EEDaS15_S16_EUlS15_E_NS1_11comp_targetILNS1_3genE5ELNS1_11target_archE942ELNS1_3gpuE9ELNS1_3repE0EEENS1_30default_config_static_selectorELNS0_4arch9wavefront6targetE1EEEvT1_.uses_flat_scratch, 0
	.set _ZN7rocprim17ROCPRIM_400000_NS6detail17trampoline_kernelINS0_14default_configENS1_25partition_config_selectorILNS1_17partition_subalgoE9EllbEEZZNS1_14partition_implILS5_9ELb0ES3_jPlS8_PNS0_10empty_typeENS0_5tupleIJS8_S9_EEENSB_IJS8_SA_EEENS0_18inequality_wrapperIZN2at6native12_GLOBAL__N_124unique_dim_cuda_templateImEESt5tupleIJNSF_6TensorESK_SK_EERKSK_lbbbEUlllE0_EEPmJS9_EEE10hipError_tPvRmT3_T4_T5_T6_T7_T9_mT8_P12ihipStream_tbDpT10_ENKUlT_T0_E_clISt17integral_constantIbLb0EES1A_EEDaS15_S16_EUlS15_E_NS1_11comp_targetILNS1_3genE5ELNS1_11target_archE942ELNS1_3gpuE9ELNS1_3repE0EEENS1_30default_config_static_selectorELNS0_4arch9wavefront6targetE1EEEvT1_.has_dyn_sized_stack, 0
	.set _ZN7rocprim17ROCPRIM_400000_NS6detail17trampoline_kernelINS0_14default_configENS1_25partition_config_selectorILNS1_17partition_subalgoE9EllbEEZZNS1_14partition_implILS5_9ELb0ES3_jPlS8_PNS0_10empty_typeENS0_5tupleIJS8_S9_EEENSB_IJS8_SA_EEENS0_18inequality_wrapperIZN2at6native12_GLOBAL__N_124unique_dim_cuda_templateImEESt5tupleIJNSF_6TensorESK_SK_EERKSK_lbbbEUlllE0_EEPmJS9_EEE10hipError_tPvRmT3_T4_T5_T6_T7_T9_mT8_P12ihipStream_tbDpT10_ENKUlT_T0_E_clISt17integral_constantIbLb0EES1A_EEDaS15_S16_EUlS15_E_NS1_11comp_targetILNS1_3genE5ELNS1_11target_archE942ELNS1_3gpuE9ELNS1_3repE0EEENS1_30default_config_static_selectorELNS0_4arch9wavefront6targetE1EEEvT1_.has_recursion, 0
	.set _ZN7rocprim17ROCPRIM_400000_NS6detail17trampoline_kernelINS0_14default_configENS1_25partition_config_selectorILNS1_17partition_subalgoE9EllbEEZZNS1_14partition_implILS5_9ELb0ES3_jPlS8_PNS0_10empty_typeENS0_5tupleIJS8_S9_EEENSB_IJS8_SA_EEENS0_18inequality_wrapperIZN2at6native12_GLOBAL__N_124unique_dim_cuda_templateImEESt5tupleIJNSF_6TensorESK_SK_EERKSK_lbbbEUlllE0_EEPmJS9_EEE10hipError_tPvRmT3_T4_T5_T6_T7_T9_mT8_P12ihipStream_tbDpT10_ENKUlT_T0_E_clISt17integral_constantIbLb0EES1A_EEDaS15_S16_EUlS15_E_NS1_11comp_targetILNS1_3genE5ELNS1_11target_archE942ELNS1_3gpuE9ELNS1_3repE0EEENS1_30default_config_static_selectorELNS0_4arch9wavefront6targetE1EEEvT1_.has_indirect_call, 0
	.section	.AMDGPU.csdata,"",@progbits
; Kernel info:
; codeLenInByte = 0
; TotalNumSgprs: 6
; NumVgprs: 0
; NumAgprs: 0
; TotalNumVgprs: 0
; ScratchSize: 0
; MemoryBound: 0
; FloatMode: 240
; IeeeMode: 1
; LDSByteSize: 0 bytes/workgroup (compile time only)
; SGPRBlocks: 0
; VGPRBlocks: 0
; NumSGPRsForWavesPerEU: 6
; NumVGPRsForWavesPerEU: 1
; AccumOffset: 4
; Occupancy: 8
; WaveLimiterHint : 0
; COMPUTE_PGM_RSRC2:SCRATCH_EN: 0
; COMPUTE_PGM_RSRC2:USER_SGPR: 2
; COMPUTE_PGM_RSRC2:TRAP_HANDLER: 0
; COMPUTE_PGM_RSRC2:TGID_X_EN: 1
; COMPUTE_PGM_RSRC2:TGID_Y_EN: 0
; COMPUTE_PGM_RSRC2:TGID_Z_EN: 0
; COMPUTE_PGM_RSRC2:TIDIG_COMP_CNT: 0
; COMPUTE_PGM_RSRC3_GFX90A:ACCUM_OFFSET: 0
; COMPUTE_PGM_RSRC3_GFX90A:TG_SPLIT: 0
	.section	.text._ZN7rocprim17ROCPRIM_400000_NS6detail17trampoline_kernelINS0_14default_configENS1_25partition_config_selectorILNS1_17partition_subalgoE9EllbEEZZNS1_14partition_implILS5_9ELb0ES3_jPlS8_PNS0_10empty_typeENS0_5tupleIJS8_S9_EEENSB_IJS8_SA_EEENS0_18inequality_wrapperIZN2at6native12_GLOBAL__N_124unique_dim_cuda_templateImEESt5tupleIJNSF_6TensorESK_SK_EERKSK_lbbbEUlllE0_EEPmJS9_EEE10hipError_tPvRmT3_T4_T5_T6_T7_T9_mT8_P12ihipStream_tbDpT10_ENKUlT_T0_E_clISt17integral_constantIbLb0EES1A_EEDaS15_S16_EUlS15_E_NS1_11comp_targetILNS1_3genE4ELNS1_11target_archE910ELNS1_3gpuE8ELNS1_3repE0EEENS1_30default_config_static_selectorELNS0_4arch9wavefront6targetE1EEEvT1_,"axG",@progbits,_ZN7rocprim17ROCPRIM_400000_NS6detail17trampoline_kernelINS0_14default_configENS1_25partition_config_selectorILNS1_17partition_subalgoE9EllbEEZZNS1_14partition_implILS5_9ELb0ES3_jPlS8_PNS0_10empty_typeENS0_5tupleIJS8_S9_EEENSB_IJS8_SA_EEENS0_18inequality_wrapperIZN2at6native12_GLOBAL__N_124unique_dim_cuda_templateImEESt5tupleIJNSF_6TensorESK_SK_EERKSK_lbbbEUlllE0_EEPmJS9_EEE10hipError_tPvRmT3_T4_T5_T6_T7_T9_mT8_P12ihipStream_tbDpT10_ENKUlT_T0_E_clISt17integral_constantIbLb0EES1A_EEDaS15_S16_EUlS15_E_NS1_11comp_targetILNS1_3genE4ELNS1_11target_archE910ELNS1_3gpuE8ELNS1_3repE0EEENS1_30default_config_static_selectorELNS0_4arch9wavefront6targetE1EEEvT1_,comdat
	.globl	_ZN7rocprim17ROCPRIM_400000_NS6detail17trampoline_kernelINS0_14default_configENS1_25partition_config_selectorILNS1_17partition_subalgoE9EllbEEZZNS1_14partition_implILS5_9ELb0ES3_jPlS8_PNS0_10empty_typeENS0_5tupleIJS8_S9_EEENSB_IJS8_SA_EEENS0_18inequality_wrapperIZN2at6native12_GLOBAL__N_124unique_dim_cuda_templateImEESt5tupleIJNSF_6TensorESK_SK_EERKSK_lbbbEUlllE0_EEPmJS9_EEE10hipError_tPvRmT3_T4_T5_T6_T7_T9_mT8_P12ihipStream_tbDpT10_ENKUlT_T0_E_clISt17integral_constantIbLb0EES1A_EEDaS15_S16_EUlS15_E_NS1_11comp_targetILNS1_3genE4ELNS1_11target_archE910ELNS1_3gpuE8ELNS1_3repE0EEENS1_30default_config_static_selectorELNS0_4arch9wavefront6targetE1EEEvT1_ ; -- Begin function _ZN7rocprim17ROCPRIM_400000_NS6detail17trampoline_kernelINS0_14default_configENS1_25partition_config_selectorILNS1_17partition_subalgoE9EllbEEZZNS1_14partition_implILS5_9ELb0ES3_jPlS8_PNS0_10empty_typeENS0_5tupleIJS8_S9_EEENSB_IJS8_SA_EEENS0_18inequality_wrapperIZN2at6native12_GLOBAL__N_124unique_dim_cuda_templateImEESt5tupleIJNSF_6TensorESK_SK_EERKSK_lbbbEUlllE0_EEPmJS9_EEE10hipError_tPvRmT3_T4_T5_T6_T7_T9_mT8_P12ihipStream_tbDpT10_ENKUlT_T0_E_clISt17integral_constantIbLb0EES1A_EEDaS15_S16_EUlS15_E_NS1_11comp_targetILNS1_3genE4ELNS1_11target_archE910ELNS1_3gpuE8ELNS1_3repE0EEENS1_30default_config_static_selectorELNS0_4arch9wavefront6targetE1EEEvT1_
	.p2align	8
	.type	_ZN7rocprim17ROCPRIM_400000_NS6detail17trampoline_kernelINS0_14default_configENS1_25partition_config_selectorILNS1_17partition_subalgoE9EllbEEZZNS1_14partition_implILS5_9ELb0ES3_jPlS8_PNS0_10empty_typeENS0_5tupleIJS8_S9_EEENSB_IJS8_SA_EEENS0_18inequality_wrapperIZN2at6native12_GLOBAL__N_124unique_dim_cuda_templateImEESt5tupleIJNSF_6TensorESK_SK_EERKSK_lbbbEUlllE0_EEPmJS9_EEE10hipError_tPvRmT3_T4_T5_T6_T7_T9_mT8_P12ihipStream_tbDpT10_ENKUlT_T0_E_clISt17integral_constantIbLb0EES1A_EEDaS15_S16_EUlS15_E_NS1_11comp_targetILNS1_3genE4ELNS1_11target_archE910ELNS1_3gpuE8ELNS1_3repE0EEENS1_30default_config_static_selectorELNS0_4arch9wavefront6targetE1EEEvT1_,@function
_ZN7rocprim17ROCPRIM_400000_NS6detail17trampoline_kernelINS0_14default_configENS1_25partition_config_selectorILNS1_17partition_subalgoE9EllbEEZZNS1_14partition_implILS5_9ELb0ES3_jPlS8_PNS0_10empty_typeENS0_5tupleIJS8_S9_EEENSB_IJS8_SA_EEENS0_18inequality_wrapperIZN2at6native12_GLOBAL__N_124unique_dim_cuda_templateImEESt5tupleIJNSF_6TensorESK_SK_EERKSK_lbbbEUlllE0_EEPmJS9_EEE10hipError_tPvRmT3_T4_T5_T6_T7_T9_mT8_P12ihipStream_tbDpT10_ENKUlT_T0_E_clISt17integral_constantIbLb0EES1A_EEDaS15_S16_EUlS15_E_NS1_11comp_targetILNS1_3genE4ELNS1_11target_archE910ELNS1_3gpuE8ELNS1_3repE0EEENS1_30default_config_static_selectorELNS0_4arch9wavefront6targetE1EEEvT1_: ; @_ZN7rocprim17ROCPRIM_400000_NS6detail17trampoline_kernelINS0_14default_configENS1_25partition_config_selectorILNS1_17partition_subalgoE9EllbEEZZNS1_14partition_implILS5_9ELb0ES3_jPlS8_PNS0_10empty_typeENS0_5tupleIJS8_S9_EEENSB_IJS8_SA_EEENS0_18inequality_wrapperIZN2at6native12_GLOBAL__N_124unique_dim_cuda_templateImEESt5tupleIJNSF_6TensorESK_SK_EERKSK_lbbbEUlllE0_EEPmJS9_EEE10hipError_tPvRmT3_T4_T5_T6_T7_T9_mT8_P12ihipStream_tbDpT10_ENKUlT_T0_E_clISt17integral_constantIbLb0EES1A_EEDaS15_S16_EUlS15_E_NS1_11comp_targetILNS1_3genE4ELNS1_11target_archE910ELNS1_3gpuE8ELNS1_3repE0EEENS1_30default_config_static_selectorELNS0_4arch9wavefront6targetE1EEEvT1_
; %bb.0:
	.section	.rodata,"a",@progbits
	.p2align	6, 0x0
	.amdhsa_kernel _ZN7rocprim17ROCPRIM_400000_NS6detail17trampoline_kernelINS0_14default_configENS1_25partition_config_selectorILNS1_17partition_subalgoE9EllbEEZZNS1_14partition_implILS5_9ELb0ES3_jPlS8_PNS0_10empty_typeENS0_5tupleIJS8_S9_EEENSB_IJS8_SA_EEENS0_18inequality_wrapperIZN2at6native12_GLOBAL__N_124unique_dim_cuda_templateImEESt5tupleIJNSF_6TensorESK_SK_EERKSK_lbbbEUlllE0_EEPmJS9_EEE10hipError_tPvRmT3_T4_T5_T6_T7_T9_mT8_P12ihipStream_tbDpT10_ENKUlT_T0_E_clISt17integral_constantIbLb0EES1A_EEDaS15_S16_EUlS15_E_NS1_11comp_targetILNS1_3genE4ELNS1_11target_archE910ELNS1_3gpuE8ELNS1_3repE0EEENS1_30default_config_static_selectorELNS0_4arch9wavefront6targetE1EEEvT1_
		.amdhsa_group_segment_fixed_size 0
		.amdhsa_private_segment_fixed_size 0
		.amdhsa_kernarg_size 120
		.amdhsa_user_sgpr_count 2
		.amdhsa_user_sgpr_dispatch_ptr 0
		.amdhsa_user_sgpr_queue_ptr 0
		.amdhsa_user_sgpr_kernarg_segment_ptr 1
		.amdhsa_user_sgpr_dispatch_id 0
		.amdhsa_user_sgpr_kernarg_preload_length 0
		.amdhsa_user_sgpr_kernarg_preload_offset 0
		.amdhsa_user_sgpr_private_segment_size 0
		.amdhsa_uses_dynamic_stack 0
		.amdhsa_enable_private_segment 0
		.amdhsa_system_sgpr_workgroup_id_x 1
		.amdhsa_system_sgpr_workgroup_id_y 0
		.amdhsa_system_sgpr_workgroup_id_z 0
		.amdhsa_system_sgpr_workgroup_info 0
		.amdhsa_system_vgpr_workitem_id 0
		.amdhsa_next_free_vgpr 1
		.amdhsa_next_free_sgpr 0
		.amdhsa_accum_offset 4
		.amdhsa_reserve_vcc 0
		.amdhsa_float_round_mode_32 0
		.amdhsa_float_round_mode_16_64 0
		.amdhsa_float_denorm_mode_32 3
		.amdhsa_float_denorm_mode_16_64 3
		.amdhsa_dx10_clamp 1
		.amdhsa_ieee_mode 1
		.amdhsa_fp16_overflow 0
		.amdhsa_tg_split 0
		.amdhsa_exception_fp_ieee_invalid_op 0
		.amdhsa_exception_fp_denorm_src 0
		.amdhsa_exception_fp_ieee_div_zero 0
		.amdhsa_exception_fp_ieee_overflow 0
		.amdhsa_exception_fp_ieee_underflow 0
		.amdhsa_exception_fp_ieee_inexact 0
		.amdhsa_exception_int_div_zero 0
	.end_amdhsa_kernel
	.section	.text._ZN7rocprim17ROCPRIM_400000_NS6detail17trampoline_kernelINS0_14default_configENS1_25partition_config_selectorILNS1_17partition_subalgoE9EllbEEZZNS1_14partition_implILS5_9ELb0ES3_jPlS8_PNS0_10empty_typeENS0_5tupleIJS8_S9_EEENSB_IJS8_SA_EEENS0_18inequality_wrapperIZN2at6native12_GLOBAL__N_124unique_dim_cuda_templateImEESt5tupleIJNSF_6TensorESK_SK_EERKSK_lbbbEUlllE0_EEPmJS9_EEE10hipError_tPvRmT3_T4_T5_T6_T7_T9_mT8_P12ihipStream_tbDpT10_ENKUlT_T0_E_clISt17integral_constantIbLb0EES1A_EEDaS15_S16_EUlS15_E_NS1_11comp_targetILNS1_3genE4ELNS1_11target_archE910ELNS1_3gpuE8ELNS1_3repE0EEENS1_30default_config_static_selectorELNS0_4arch9wavefront6targetE1EEEvT1_,"axG",@progbits,_ZN7rocprim17ROCPRIM_400000_NS6detail17trampoline_kernelINS0_14default_configENS1_25partition_config_selectorILNS1_17partition_subalgoE9EllbEEZZNS1_14partition_implILS5_9ELb0ES3_jPlS8_PNS0_10empty_typeENS0_5tupleIJS8_S9_EEENSB_IJS8_SA_EEENS0_18inequality_wrapperIZN2at6native12_GLOBAL__N_124unique_dim_cuda_templateImEESt5tupleIJNSF_6TensorESK_SK_EERKSK_lbbbEUlllE0_EEPmJS9_EEE10hipError_tPvRmT3_T4_T5_T6_T7_T9_mT8_P12ihipStream_tbDpT10_ENKUlT_T0_E_clISt17integral_constantIbLb0EES1A_EEDaS15_S16_EUlS15_E_NS1_11comp_targetILNS1_3genE4ELNS1_11target_archE910ELNS1_3gpuE8ELNS1_3repE0EEENS1_30default_config_static_selectorELNS0_4arch9wavefront6targetE1EEEvT1_,comdat
.Lfunc_end1697:
	.size	_ZN7rocprim17ROCPRIM_400000_NS6detail17trampoline_kernelINS0_14default_configENS1_25partition_config_selectorILNS1_17partition_subalgoE9EllbEEZZNS1_14partition_implILS5_9ELb0ES3_jPlS8_PNS0_10empty_typeENS0_5tupleIJS8_S9_EEENSB_IJS8_SA_EEENS0_18inequality_wrapperIZN2at6native12_GLOBAL__N_124unique_dim_cuda_templateImEESt5tupleIJNSF_6TensorESK_SK_EERKSK_lbbbEUlllE0_EEPmJS9_EEE10hipError_tPvRmT3_T4_T5_T6_T7_T9_mT8_P12ihipStream_tbDpT10_ENKUlT_T0_E_clISt17integral_constantIbLb0EES1A_EEDaS15_S16_EUlS15_E_NS1_11comp_targetILNS1_3genE4ELNS1_11target_archE910ELNS1_3gpuE8ELNS1_3repE0EEENS1_30default_config_static_selectorELNS0_4arch9wavefront6targetE1EEEvT1_, .Lfunc_end1697-_ZN7rocprim17ROCPRIM_400000_NS6detail17trampoline_kernelINS0_14default_configENS1_25partition_config_selectorILNS1_17partition_subalgoE9EllbEEZZNS1_14partition_implILS5_9ELb0ES3_jPlS8_PNS0_10empty_typeENS0_5tupleIJS8_S9_EEENSB_IJS8_SA_EEENS0_18inequality_wrapperIZN2at6native12_GLOBAL__N_124unique_dim_cuda_templateImEESt5tupleIJNSF_6TensorESK_SK_EERKSK_lbbbEUlllE0_EEPmJS9_EEE10hipError_tPvRmT3_T4_T5_T6_T7_T9_mT8_P12ihipStream_tbDpT10_ENKUlT_T0_E_clISt17integral_constantIbLb0EES1A_EEDaS15_S16_EUlS15_E_NS1_11comp_targetILNS1_3genE4ELNS1_11target_archE910ELNS1_3gpuE8ELNS1_3repE0EEENS1_30default_config_static_selectorELNS0_4arch9wavefront6targetE1EEEvT1_
                                        ; -- End function
	.set _ZN7rocprim17ROCPRIM_400000_NS6detail17trampoline_kernelINS0_14default_configENS1_25partition_config_selectorILNS1_17partition_subalgoE9EllbEEZZNS1_14partition_implILS5_9ELb0ES3_jPlS8_PNS0_10empty_typeENS0_5tupleIJS8_S9_EEENSB_IJS8_SA_EEENS0_18inequality_wrapperIZN2at6native12_GLOBAL__N_124unique_dim_cuda_templateImEESt5tupleIJNSF_6TensorESK_SK_EERKSK_lbbbEUlllE0_EEPmJS9_EEE10hipError_tPvRmT3_T4_T5_T6_T7_T9_mT8_P12ihipStream_tbDpT10_ENKUlT_T0_E_clISt17integral_constantIbLb0EES1A_EEDaS15_S16_EUlS15_E_NS1_11comp_targetILNS1_3genE4ELNS1_11target_archE910ELNS1_3gpuE8ELNS1_3repE0EEENS1_30default_config_static_selectorELNS0_4arch9wavefront6targetE1EEEvT1_.num_vgpr, 0
	.set _ZN7rocprim17ROCPRIM_400000_NS6detail17trampoline_kernelINS0_14default_configENS1_25partition_config_selectorILNS1_17partition_subalgoE9EllbEEZZNS1_14partition_implILS5_9ELb0ES3_jPlS8_PNS0_10empty_typeENS0_5tupleIJS8_S9_EEENSB_IJS8_SA_EEENS0_18inequality_wrapperIZN2at6native12_GLOBAL__N_124unique_dim_cuda_templateImEESt5tupleIJNSF_6TensorESK_SK_EERKSK_lbbbEUlllE0_EEPmJS9_EEE10hipError_tPvRmT3_T4_T5_T6_T7_T9_mT8_P12ihipStream_tbDpT10_ENKUlT_T0_E_clISt17integral_constantIbLb0EES1A_EEDaS15_S16_EUlS15_E_NS1_11comp_targetILNS1_3genE4ELNS1_11target_archE910ELNS1_3gpuE8ELNS1_3repE0EEENS1_30default_config_static_selectorELNS0_4arch9wavefront6targetE1EEEvT1_.num_agpr, 0
	.set _ZN7rocprim17ROCPRIM_400000_NS6detail17trampoline_kernelINS0_14default_configENS1_25partition_config_selectorILNS1_17partition_subalgoE9EllbEEZZNS1_14partition_implILS5_9ELb0ES3_jPlS8_PNS0_10empty_typeENS0_5tupleIJS8_S9_EEENSB_IJS8_SA_EEENS0_18inequality_wrapperIZN2at6native12_GLOBAL__N_124unique_dim_cuda_templateImEESt5tupleIJNSF_6TensorESK_SK_EERKSK_lbbbEUlllE0_EEPmJS9_EEE10hipError_tPvRmT3_T4_T5_T6_T7_T9_mT8_P12ihipStream_tbDpT10_ENKUlT_T0_E_clISt17integral_constantIbLb0EES1A_EEDaS15_S16_EUlS15_E_NS1_11comp_targetILNS1_3genE4ELNS1_11target_archE910ELNS1_3gpuE8ELNS1_3repE0EEENS1_30default_config_static_selectorELNS0_4arch9wavefront6targetE1EEEvT1_.numbered_sgpr, 0
	.set _ZN7rocprim17ROCPRIM_400000_NS6detail17trampoline_kernelINS0_14default_configENS1_25partition_config_selectorILNS1_17partition_subalgoE9EllbEEZZNS1_14partition_implILS5_9ELb0ES3_jPlS8_PNS0_10empty_typeENS0_5tupleIJS8_S9_EEENSB_IJS8_SA_EEENS0_18inequality_wrapperIZN2at6native12_GLOBAL__N_124unique_dim_cuda_templateImEESt5tupleIJNSF_6TensorESK_SK_EERKSK_lbbbEUlllE0_EEPmJS9_EEE10hipError_tPvRmT3_T4_T5_T6_T7_T9_mT8_P12ihipStream_tbDpT10_ENKUlT_T0_E_clISt17integral_constantIbLb0EES1A_EEDaS15_S16_EUlS15_E_NS1_11comp_targetILNS1_3genE4ELNS1_11target_archE910ELNS1_3gpuE8ELNS1_3repE0EEENS1_30default_config_static_selectorELNS0_4arch9wavefront6targetE1EEEvT1_.num_named_barrier, 0
	.set _ZN7rocprim17ROCPRIM_400000_NS6detail17trampoline_kernelINS0_14default_configENS1_25partition_config_selectorILNS1_17partition_subalgoE9EllbEEZZNS1_14partition_implILS5_9ELb0ES3_jPlS8_PNS0_10empty_typeENS0_5tupleIJS8_S9_EEENSB_IJS8_SA_EEENS0_18inequality_wrapperIZN2at6native12_GLOBAL__N_124unique_dim_cuda_templateImEESt5tupleIJNSF_6TensorESK_SK_EERKSK_lbbbEUlllE0_EEPmJS9_EEE10hipError_tPvRmT3_T4_T5_T6_T7_T9_mT8_P12ihipStream_tbDpT10_ENKUlT_T0_E_clISt17integral_constantIbLb0EES1A_EEDaS15_S16_EUlS15_E_NS1_11comp_targetILNS1_3genE4ELNS1_11target_archE910ELNS1_3gpuE8ELNS1_3repE0EEENS1_30default_config_static_selectorELNS0_4arch9wavefront6targetE1EEEvT1_.private_seg_size, 0
	.set _ZN7rocprim17ROCPRIM_400000_NS6detail17trampoline_kernelINS0_14default_configENS1_25partition_config_selectorILNS1_17partition_subalgoE9EllbEEZZNS1_14partition_implILS5_9ELb0ES3_jPlS8_PNS0_10empty_typeENS0_5tupleIJS8_S9_EEENSB_IJS8_SA_EEENS0_18inequality_wrapperIZN2at6native12_GLOBAL__N_124unique_dim_cuda_templateImEESt5tupleIJNSF_6TensorESK_SK_EERKSK_lbbbEUlllE0_EEPmJS9_EEE10hipError_tPvRmT3_T4_T5_T6_T7_T9_mT8_P12ihipStream_tbDpT10_ENKUlT_T0_E_clISt17integral_constantIbLb0EES1A_EEDaS15_S16_EUlS15_E_NS1_11comp_targetILNS1_3genE4ELNS1_11target_archE910ELNS1_3gpuE8ELNS1_3repE0EEENS1_30default_config_static_selectorELNS0_4arch9wavefront6targetE1EEEvT1_.uses_vcc, 0
	.set _ZN7rocprim17ROCPRIM_400000_NS6detail17trampoline_kernelINS0_14default_configENS1_25partition_config_selectorILNS1_17partition_subalgoE9EllbEEZZNS1_14partition_implILS5_9ELb0ES3_jPlS8_PNS0_10empty_typeENS0_5tupleIJS8_S9_EEENSB_IJS8_SA_EEENS0_18inequality_wrapperIZN2at6native12_GLOBAL__N_124unique_dim_cuda_templateImEESt5tupleIJNSF_6TensorESK_SK_EERKSK_lbbbEUlllE0_EEPmJS9_EEE10hipError_tPvRmT3_T4_T5_T6_T7_T9_mT8_P12ihipStream_tbDpT10_ENKUlT_T0_E_clISt17integral_constantIbLb0EES1A_EEDaS15_S16_EUlS15_E_NS1_11comp_targetILNS1_3genE4ELNS1_11target_archE910ELNS1_3gpuE8ELNS1_3repE0EEENS1_30default_config_static_selectorELNS0_4arch9wavefront6targetE1EEEvT1_.uses_flat_scratch, 0
	.set _ZN7rocprim17ROCPRIM_400000_NS6detail17trampoline_kernelINS0_14default_configENS1_25partition_config_selectorILNS1_17partition_subalgoE9EllbEEZZNS1_14partition_implILS5_9ELb0ES3_jPlS8_PNS0_10empty_typeENS0_5tupleIJS8_S9_EEENSB_IJS8_SA_EEENS0_18inequality_wrapperIZN2at6native12_GLOBAL__N_124unique_dim_cuda_templateImEESt5tupleIJNSF_6TensorESK_SK_EERKSK_lbbbEUlllE0_EEPmJS9_EEE10hipError_tPvRmT3_T4_T5_T6_T7_T9_mT8_P12ihipStream_tbDpT10_ENKUlT_T0_E_clISt17integral_constantIbLb0EES1A_EEDaS15_S16_EUlS15_E_NS1_11comp_targetILNS1_3genE4ELNS1_11target_archE910ELNS1_3gpuE8ELNS1_3repE0EEENS1_30default_config_static_selectorELNS0_4arch9wavefront6targetE1EEEvT1_.has_dyn_sized_stack, 0
	.set _ZN7rocprim17ROCPRIM_400000_NS6detail17trampoline_kernelINS0_14default_configENS1_25partition_config_selectorILNS1_17partition_subalgoE9EllbEEZZNS1_14partition_implILS5_9ELb0ES3_jPlS8_PNS0_10empty_typeENS0_5tupleIJS8_S9_EEENSB_IJS8_SA_EEENS0_18inequality_wrapperIZN2at6native12_GLOBAL__N_124unique_dim_cuda_templateImEESt5tupleIJNSF_6TensorESK_SK_EERKSK_lbbbEUlllE0_EEPmJS9_EEE10hipError_tPvRmT3_T4_T5_T6_T7_T9_mT8_P12ihipStream_tbDpT10_ENKUlT_T0_E_clISt17integral_constantIbLb0EES1A_EEDaS15_S16_EUlS15_E_NS1_11comp_targetILNS1_3genE4ELNS1_11target_archE910ELNS1_3gpuE8ELNS1_3repE0EEENS1_30default_config_static_selectorELNS0_4arch9wavefront6targetE1EEEvT1_.has_recursion, 0
	.set _ZN7rocprim17ROCPRIM_400000_NS6detail17trampoline_kernelINS0_14default_configENS1_25partition_config_selectorILNS1_17partition_subalgoE9EllbEEZZNS1_14partition_implILS5_9ELb0ES3_jPlS8_PNS0_10empty_typeENS0_5tupleIJS8_S9_EEENSB_IJS8_SA_EEENS0_18inequality_wrapperIZN2at6native12_GLOBAL__N_124unique_dim_cuda_templateImEESt5tupleIJNSF_6TensorESK_SK_EERKSK_lbbbEUlllE0_EEPmJS9_EEE10hipError_tPvRmT3_T4_T5_T6_T7_T9_mT8_P12ihipStream_tbDpT10_ENKUlT_T0_E_clISt17integral_constantIbLb0EES1A_EEDaS15_S16_EUlS15_E_NS1_11comp_targetILNS1_3genE4ELNS1_11target_archE910ELNS1_3gpuE8ELNS1_3repE0EEENS1_30default_config_static_selectorELNS0_4arch9wavefront6targetE1EEEvT1_.has_indirect_call, 0
	.section	.AMDGPU.csdata,"",@progbits
; Kernel info:
; codeLenInByte = 0
; TotalNumSgprs: 6
; NumVgprs: 0
; NumAgprs: 0
; TotalNumVgprs: 0
; ScratchSize: 0
; MemoryBound: 0
; FloatMode: 240
; IeeeMode: 1
; LDSByteSize: 0 bytes/workgroup (compile time only)
; SGPRBlocks: 0
; VGPRBlocks: 0
; NumSGPRsForWavesPerEU: 6
; NumVGPRsForWavesPerEU: 1
; AccumOffset: 4
; Occupancy: 8
; WaveLimiterHint : 0
; COMPUTE_PGM_RSRC2:SCRATCH_EN: 0
; COMPUTE_PGM_RSRC2:USER_SGPR: 2
; COMPUTE_PGM_RSRC2:TRAP_HANDLER: 0
; COMPUTE_PGM_RSRC2:TGID_X_EN: 1
; COMPUTE_PGM_RSRC2:TGID_Y_EN: 0
; COMPUTE_PGM_RSRC2:TGID_Z_EN: 0
; COMPUTE_PGM_RSRC2:TIDIG_COMP_CNT: 0
; COMPUTE_PGM_RSRC3_GFX90A:ACCUM_OFFSET: 0
; COMPUTE_PGM_RSRC3_GFX90A:TG_SPLIT: 0
	.section	.text._ZN7rocprim17ROCPRIM_400000_NS6detail17trampoline_kernelINS0_14default_configENS1_25partition_config_selectorILNS1_17partition_subalgoE9EllbEEZZNS1_14partition_implILS5_9ELb0ES3_jPlS8_PNS0_10empty_typeENS0_5tupleIJS8_S9_EEENSB_IJS8_SA_EEENS0_18inequality_wrapperIZN2at6native12_GLOBAL__N_124unique_dim_cuda_templateImEESt5tupleIJNSF_6TensorESK_SK_EERKSK_lbbbEUlllE0_EEPmJS9_EEE10hipError_tPvRmT3_T4_T5_T6_T7_T9_mT8_P12ihipStream_tbDpT10_ENKUlT_T0_E_clISt17integral_constantIbLb0EES1A_EEDaS15_S16_EUlS15_E_NS1_11comp_targetILNS1_3genE3ELNS1_11target_archE908ELNS1_3gpuE7ELNS1_3repE0EEENS1_30default_config_static_selectorELNS0_4arch9wavefront6targetE1EEEvT1_,"axG",@progbits,_ZN7rocprim17ROCPRIM_400000_NS6detail17trampoline_kernelINS0_14default_configENS1_25partition_config_selectorILNS1_17partition_subalgoE9EllbEEZZNS1_14partition_implILS5_9ELb0ES3_jPlS8_PNS0_10empty_typeENS0_5tupleIJS8_S9_EEENSB_IJS8_SA_EEENS0_18inequality_wrapperIZN2at6native12_GLOBAL__N_124unique_dim_cuda_templateImEESt5tupleIJNSF_6TensorESK_SK_EERKSK_lbbbEUlllE0_EEPmJS9_EEE10hipError_tPvRmT3_T4_T5_T6_T7_T9_mT8_P12ihipStream_tbDpT10_ENKUlT_T0_E_clISt17integral_constantIbLb0EES1A_EEDaS15_S16_EUlS15_E_NS1_11comp_targetILNS1_3genE3ELNS1_11target_archE908ELNS1_3gpuE7ELNS1_3repE0EEENS1_30default_config_static_selectorELNS0_4arch9wavefront6targetE1EEEvT1_,comdat
	.globl	_ZN7rocprim17ROCPRIM_400000_NS6detail17trampoline_kernelINS0_14default_configENS1_25partition_config_selectorILNS1_17partition_subalgoE9EllbEEZZNS1_14partition_implILS5_9ELb0ES3_jPlS8_PNS0_10empty_typeENS0_5tupleIJS8_S9_EEENSB_IJS8_SA_EEENS0_18inequality_wrapperIZN2at6native12_GLOBAL__N_124unique_dim_cuda_templateImEESt5tupleIJNSF_6TensorESK_SK_EERKSK_lbbbEUlllE0_EEPmJS9_EEE10hipError_tPvRmT3_T4_T5_T6_T7_T9_mT8_P12ihipStream_tbDpT10_ENKUlT_T0_E_clISt17integral_constantIbLb0EES1A_EEDaS15_S16_EUlS15_E_NS1_11comp_targetILNS1_3genE3ELNS1_11target_archE908ELNS1_3gpuE7ELNS1_3repE0EEENS1_30default_config_static_selectorELNS0_4arch9wavefront6targetE1EEEvT1_ ; -- Begin function _ZN7rocprim17ROCPRIM_400000_NS6detail17trampoline_kernelINS0_14default_configENS1_25partition_config_selectorILNS1_17partition_subalgoE9EllbEEZZNS1_14partition_implILS5_9ELb0ES3_jPlS8_PNS0_10empty_typeENS0_5tupleIJS8_S9_EEENSB_IJS8_SA_EEENS0_18inequality_wrapperIZN2at6native12_GLOBAL__N_124unique_dim_cuda_templateImEESt5tupleIJNSF_6TensorESK_SK_EERKSK_lbbbEUlllE0_EEPmJS9_EEE10hipError_tPvRmT3_T4_T5_T6_T7_T9_mT8_P12ihipStream_tbDpT10_ENKUlT_T0_E_clISt17integral_constantIbLb0EES1A_EEDaS15_S16_EUlS15_E_NS1_11comp_targetILNS1_3genE3ELNS1_11target_archE908ELNS1_3gpuE7ELNS1_3repE0EEENS1_30default_config_static_selectorELNS0_4arch9wavefront6targetE1EEEvT1_
	.p2align	8
	.type	_ZN7rocprim17ROCPRIM_400000_NS6detail17trampoline_kernelINS0_14default_configENS1_25partition_config_selectorILNS1_17partition_subalgoE9EllbEEZZNS1_14partition_implILS5_9ELb0ES3_jPlS8_PNS0_10empty_typeENS0_5tupleIJS8_S9_EEENSB_IJS8_SA_EEENS0_18inequality_wrapperIZN2at6native12_GLOBAL__N_124unique_dim_cuda_templateImEESt5tupleIJNSF_6TensorESK_SK_EERKSK_lbbbEUlllE0_EEPmJS9_EEE10hipError_tPvRmT3_T4_T5_T6_T7_T9_mT8_P12ihipStream_tbDpT10_ENKUlT_T0_E_clISt17integral_constantIbLb0EES1A_EEDaS15_S16_EUlS15_E_NS1_11comp_targetILNS1_3genE3ELNS1_11target_archE908ELNS1_3gpuE7ELNS1_3repE0EEENS1_30default_config_static_selectorELNS0_4arch9wavefront6targetE1EEEvT1_,@function
_ZN7rocprim17ROCPRIM_400000_NS6detail17trampoline_kernelINS0_14default_configENS1_25partition_config_selectorILNS1_17partition_subalgoE9EllbEEZZNS1_14partition_implILS5_9ELb0ES3_jPlS8_PNS0_10empty_typeENS0_5tupleIJS8_S9_EEENSB_IJS8_SA_EEENS0_18inequality_wrapperIZN2at6native12_GLOBAL__N_124unique_dim_cuda_templateImEESt5tupleIJNSF_6TensorESK_SK_EERKSK_lbbbEUlllE0_EEPmJS9_EEE10hipError_tPvRmT3_T4_T5_T6_T7_T9_mT8_P12ihipStream_tbDpT10_ENKUlT_T0_E_clISt17integral_constantIbLb0EES1A_EEDaS15_S16_EUlS15_E_NS1_11comp_targetILNS1_3genE3ELNS1_11target_archE908ELNS1_3gpuE7ELNS1_3repE0EEENS1_30default_config_static_selectorELNS0_4arch9wavefront6targetE1EEEvT1_: ; @_ZN7rocprim17ROCPRIM_400000_NS6detail17trampoline_kernelINS0_14default_configENS1_25partition_config_selectorILNS1_17partition_subalgoE9EllbEEZZNS1_14partition_implILS5_9ELb0ES3_jPlS8_PNS0_10empty_typeENS0_5tupleIJS8_S9_EEENSB_IJS8_SA_EEENS0_18inequality_wrapperIZN2at6native12_GLOBAL__N_124unique_dim_cuda_templateImEESt5tupleIJNSF_6TensorESK_SK_EERKSK_lbbbEUlllE0_EEPmJS9_EEE10hipError_tPvRmT3_T4_T5_T6_T7_T9_mT8_P12ihipStream_tbDpT10_ENKUlT_T0_E_clISt17integral_constantIbLb0EES1A_EEDaS15_S16_EUlS15_E_NS1_11comp_targetILNS1_3genE3ELNS1_11target_archE908ELNS1_3gpuE7ELNS1_3repE0EEENS1_30default_config_static_selectorELNS0_4arch9wavefront6targetE1EEEvT1_
; %bb.0:
	.section	.rodata,"a",@progbits
	.p2align	6, 0x0
	.amdhsa_kernel _ZN7rocprim17ROCPRIM_400000_NS6detail17trampoline_kernelINS0_14default_configENS1_25partition_config_selectorILNS1_17partition_subalgoE9EllbEEZZNS1_14partition_implILS5_9ELb0ES3_jPlS8_PNS0_10empty_typeENS0_5tupleIJS8_S9_EEENSB_IJS8_SA_EEENS0_18inequality_wrapperIZN2at6native12_GLOBAL__N_124unique_dim_cuda_templateImEESt5tupleIJNSF_6TensorESK_SK_EERKSK_lbbbEUlllE0_EEPmJS9_EEE10hipError_tPvRmT3_T4_T5_T6_T7_T9_mT8_P12ihipStream_tbDpT10_ENKUlT_T0_E_clISt17integral_constantIbLb0EES1A_EEDaS15_S16_EUlS15_E_NS1_11comp_targetILNS1_3genE3ELNS1_11target_archE908ELNS1_3gpuE7ELNS1_3repE0EEENS1_30default_config_static_selectorELNS0_4arch9wavefront6targetE1EEEvT1_
		.amdhsa_group_segment_fixed_size 0
		.amdhsa_private_segment_fixed_size 0
		.amdhsa_kernarg_size 120
		.amdhsa_user_sgpr_count 2
		.amdhsa_user_sgpr_dispatch_ptr 0
		.amdhsa_user_sgpr_queue_ptr 0
		.amdhsa_user_sgpr_kernarg_segment_ptr 1
		.amdhsa_user_sgpr_dispatch_id 0
		.amdhsa_user_sgpr_kernarg_preload_length 0
		.amdhsa_user_sgpr_kernarg_preload_offset 0
		.amdhsa_user_sgpr_private_segment_size 0
		.amdhsa_uses_dynamic_stack 0
		.amdhsa_enable_private_segment 0
		.amdhsa_system_sgpr_workgroup_id_x 1
		.amdhsa_system_sgpr_workgroup_id_y 0
		.amdhsa_system_sgpr_workgroup_id_z 0
		.amdhsa_system_sgpr_workgroup_info 0
		.amdhsa_system_vgpr_workitem_id 0
		.amdhsa_next_free_vgpr 1
		.amdhsa_next_free_sgpr 0
		.amdhsa_accum_offset 4
		.amdhsa_reserve_vcc 0
		.amdhsa_float_round_mode_32 0
		.amdhsa_float_round_mode_16_64 0
		.amdhsa_float_denorm_mode_32 3
		.amdhsa_float_denorm_mode_16_64 3
		.amdhsa_dx10_clamp 1
		.amdhsa_ieee_mode 1
		.amdhsa_fp16_overflow 0
		.amdhsa_tg_split 0
		.amdhsa_exception_fp_ieee_invalid_op 0
		.amdhsa_exception_fp_denorm_src 0
		.amdhsa_exception_fp_ieee_div_zero 0
		.amdhsa_exception_fp_ieee_overflow 0
		.amdhsa_exception_fp_ieee_underflow 0
		.amdhsa_exception_fp_ieee_inexact 0
		.amdhsa_exception_int_div_zero 0
	.end_amdhsa_kernel
	.section	.text._ZN7rocprim17ROCPRIM_400000_NS6detail17trampoline_kernelINS0_14default_configENS1_25partition_config_selectorILNS1_17partition_subalgoE9EllbEEZZNS1_14partition_implILS5_9ELb0ES3_jPlS8_PNS0_10empty_typeENS0_5tupleIJS8_S9_EEENSB_IJS8_SA_EEENS0_18inequality_wrapperIZN2at6native12_GLOBAL__N_124unique_dim_cuda_templateImEESt5tupleIJNSF_6TensorESK_SK_EERKSK_lbbbEUlllE0_EEPmJS9_EEE10hipError_tPvRmT3_T4_T5_T6_T7_T9_mT8_P12ihipStream_tbDpT10_ENKUlT_T0_E_clISt17integral_constantIbLb0EES1A_EEDaS15_S16_EUlS15_E_NS1_11comp_targetILNS1_3genE3ELNS1_11target_archE908ELNS1_3gpuE7ELNS1_3repE0EEENS1_30default_config_static_selectorELNS0_4arch9wavefront6targetE1EEEvT1_,"axG",@progbits,_ZN7rocprim17ROCPRIM_400000_NS6detail17trampoline_kernelINS0_14default_configENS1_25partition_config_selectorILNS1_17partition_subalgoE9EllbEEZZNS1_14partition_implILS5_9ELb0ES3_jPlS8_PNS0_10empty_typeENS0_5tupleIJS8_S9_EEENSB_IJS8_SA_EEENS0_18inequality_wrapperIZN2at6native12_GLOBAL__N_124unique_dim_cuda_templateImEESt5tupleIJNSF_6TensorESK_SK_EERKSK_lbbbEUlllE0_EEPmJS9_EEE10hipError_tPvRmT3_T4_T5_T6_T7_T9_mT8_P12ihipStream_tbDpT10_ENKUlT_T0_E_clISt17integral_constantIbLb0EES1A_EEDaS15_S16_EUlS15_E_NS1_11comp_targetILNS1_3genE3ELNS1_11target_archE908ELNS1_3gpuE7ELNS1_3repE0EEENS1_30default_config_static_selectorELNS0_4arch9wavefront6targetE1EEEvT1_,comdat
.Lfunc_end1698:
	.size	_ZN7rocprim17ROCPRIM_400000_NS6detail17trampoline_kernelINS0_14default_configENS1_25partition_config_selectorILNS1_17partition_subalgoE9EllbEEZZNS1_14partition_implILS5_9ELb0ES3_jPlS8_PNS0_10empty_typeENS0_5tupleIJS8_S9_EEENSB_IJS8_SA_EEENS0_18inequality_wrapperIZN2at6native12_GLOBAL__N_124unique_dim_cuda_templateImEESt5tupleIJNSF_6TensorESK_SK_EERKSK_lbbbEUlllE0_EEPmJS9_EEE10hipError_tPvRmT3_T4_T5_T6_T7_T9_mT8_P12ihipStream_tbDpT10_ENKUlT_T0_E_clISt17integral_constantIbLb0EES1A_EEDaS15_S16_EUlS15_E_NS1_11comp_targetILNS1_3genE3ELNS1_11target_archE908ELNS1_3gpuE7ELNS1_3repE0EEENS1_30default_config_static_selectorELNS0_4arch9wavefront6targetE1EEEvT1_, .Lfunc_end1698-_ZN7rocprim17ROCPRIM_400000_NS6detail17trampoline_kernelINS0_14default_configENS1_25partition_config_selectorILNS1_17partition_subalgoE9EllbEEZZNS1_14partition_implILS5_9ELb0ES3_jPlS8_PNS0_10empty_typeENS0_5tupleIJS8_S9_EEENSB_IJS8_SA_EEENS0_18inequality_wrapperIZN2at6native12_GLOBAL__N_124unique_dim_cuda_templateImEESt5tupleIJNSF_6TensorESK_SK_EERKSK_lbbbEUlllE0_EEPmJS9_EEE10hipError_tPvRmT3_T4_T5_T6_T7_T9_mT8_P12ihipStream_tbDpT10_ENKUlT_T0_E_clISt17integral_constantIbLb0EES1A_EEDaS15_S16_EUlS15_E_NS1_11comp_targetILNS1_3genE3ELNS1_11target_archE908ELNS1_3gpuE7ELNS1_3repE0EEENS1_30default_config_static_selectorELNS0_4arch9wavefront6targetE1EEEvT1_
                                        ; -- End function
	.set _ZN7rocprim17ROCPRIM_400000_NS6detail17trampoline_kernelINS0_14default_configENS1_25partition_config_selectorILNS1_17partition_subalgoE9EllbEEZZNS1_14partition_implILS5_9ELb0ES3_jPlS8_PNS0_10empty_typeENS0_5tupleIJS8_S9_EEENSB_IJS8_SA_EEENS0_18inequality_wrapperIZN2at6native12_GLOBAL__N_124unique_dim_cuda_templateImEESt5tupleIJNSF_6TensorESK_SK_EERKSK_lbbbEUlllE0_EEPmJS9_EEE10hipError_tPvRmT3_T4_T5_T6_T7_T9_mT8_P12ihipStream_tbDpT10_ENKUlT_T0_E_clISt17integral_constantIbLb0EES1A_EEDaS15_S16_EUlS15_E_NS1_11comp_targetILNS1_3genE3ELNS1_11target_archE908ELNS1_3gpuE7ELNS1_3repE0EEENS1_30default_config_static_selectorELNS0_4arch9wavefront6targetE1EEEvT1_.num_vgpr, 0
	.set _ZN7rocprim17ROCPRIM_400000_NS6detail17trampoline_kernelINS0_14default_configENS1_25partition_config_selectorILNS1_17partition_subalgoE9EllbEEZZNS1_14partition_implILS5_9ELb0ES3_jPlS8_PNS0_10empty_typeENS0_5tupleIJS8_S9_EEENSB_IJS8_SA_EEENS0_18inequality_wrapperIZN2at6native12_GLOBAL__N_124unique_dim_cuda_templateImEESt5tupleIJNSF_6TensorESK_SK_EERKSK_lbbbEUlllE0_EEPmJS9_EEE10hipError_tPvRmT3_T4_T5_T6_T7_T9_mT8_P12ihipStream_tbDpT10_ENKUlT_T0_E_clISt17integral_constantIbLb0EES1A_EEDaS15_S16_EUlS15_E_NS1_11comp_targetILNS1_3genE3ELNS1_11target_archE908ELNS1_3gpuE7ELNS1_3repE0EEENS1_30default_config_static_selectorELNS0_4arch9wavefront6targetE1EEEvT1_.num_agpr, 0
	.set _ZN7rocprim17ROCPRIM_400000_NS6detail17trampoline_kernelINS0_14default_configENS1_25partition_config_selectorILNS1_17partition_subalgoE9EllbEEZZNS1_14partition_implILS5_9ELb0ES3_jPlS8_PNS0_10empty_typeENS0_5tupleIJS8_S9_EEENSB_IJS8_SA_EEENS0_18inequality_wrapperIZN2at6native12_GLOBAL__N_124unique_dim_cuda_templateImEESt5tupleIJNSF_6TensorESK_SK_EERKSK_lbbbEUlllE0_EEPmJS9_EEE10hipError_tPvRmT3_T4_T5_T6_T7_T9_mT8_P12ihipStream_tbDpT10_ENKUlT_T0_E_clISt17integral_constantIbLb0EES1A_EEDaS15_S16_EUlS15_E_NS1_11comp_targetILNS1_3genE3ELNS1_11target_archE908ELNS1_3gpuE7ELNS1_3repE0EEENS1_30default_config_static_selectorELNS0_4arch9wavefront6targetE1EEEvT1_.numbered_sgpr, 0
	.set _ZN7rocprim17ROCPRIM_400000_NS6detail17trampoline_kernelINS0_14default_configENS1_25partition_config_selectorILNS1_17partition_subalgoE9EllbEEZZNS1_14partition_implILS5_9ELb0ES3_jPlS8_PNS0_10empty_typeENS0_5tupleIJS8_S9_EEENSB_IJS8_SA_EEENS0_18inequality_wrapperIZN2at6native12_GLOBAL__N_124unique_dim_cuda_templateImEESt5tupleIJNSF_6TensorESK_SK_EERKSK_lbbbEUlllE0_EEPmJS9_EEE10hipError_tPvRmT3_T4_T5_T6_T7_T9_mT8_P12ihipStream_tbDpT10_ENKUlT_T0_E_clISt17integral_constantIbLb0EES1A_EEDaS15_S16_EUlS15_E_NS1_11comp_targetILNS1_3genE3ELNS1_11target_archE908ELNS1_3gpuE7ELNS1_3repE0EEENS1_30default_config_static_selectorELNS0_4arch9wavefront6targetE1EEEvT1_.num_named_barrier, 0
	.set _ZN7rocprim17ROCPRIM_400000_NS6detail17trampoline_kernelINS0_14default_configENS1_25partition_config_selectorILNS1_17partition_subalgoE9EllbEEZZNS1_14partition_implILS5_9ELb0ES3_jPlS8_PNS0_10empty_typeENS0_5tupleIJS8_S9_EEENSB_IJS8_SA_EEENS0_18inequality_wrapperIZN2at6native12_GLOBAL__N_124unique_dim_cuda_templateImEESt5tupleIJNSF_6TensorESK_SK_EERKSK_lbbbEUlllE0_EEPmJS9_EEE10hipError_tPvRmT3_T4_T5_T6_T7_T9_mT8_P12ihipStream_tbDpT10_ENKUlT_T0_E_clISt17integral_constantIbLb0EES1A_EEDaS15_S16_EUlS15_E_NS1_11comp_targetILNS1_3genE3ELNS1_11target_archE908ELNS1_3gpuE7ELNS1_3repE0EEENS1_30default_config_static_selectorELNS0_4arch9wavefront6targetE1EEEvT1_.private_seg_size, 0
	.set _ZN7rocprim17ROCPRIM_400000_NS6detail17trampoline_kernelINS0_14default_configENS1_25partition_config_selectorILNS1_17partition_subalgoE9EllbEEZZNS1_14partition_implILS5_9ELb0ES3_jPlS8_PNS0_10empty_typeENS0_5tupleIJS8_S9_EEENSB_IJS8_SA_EEENS0_18inequality_wrapperIZN2at6native12_GLOBAL__N_124unique_dim_cuda_templateImEESt5tupleIJNSF_6TensorESK_SK_EERKSK_lbbbEUlllE0_EEPmJS9_EEE10hipError_tPvRmT3_T4_T5_T6_T7_T9_mT8_P12ihipStream_tbDpT10_ENKUlT_T0_E_clISt17integral_constantIbLb0EES1A_EEDaS15_S16_EUlS15_E_NS1_11comp_targetILNS1_3genE3ELNS1_11target_archE908ELNS1_3gpuE7ELNS1_3repE0EEENS1_30default_config_static_selectorELNS0_4arch9wavefront6targetE1EEEvT1_.uses_vcc, 0
	.set _ZN7rocprim17ROCPRIM_400000_NS6detail17trampoline_kernelINS0_14default_configENS1_25partition_config_selectorILNS1_17partition_subalgoE9EllbEEZZNS1_14partition_implILS5_9ELb0ES3_jPlS8_PNS0_10empty_typeENS0_5tupleIJS8_S9_EEENSB_IJS8_SA_EEENS0_18inequality_wrapperIZN2at6native12_GLOBAL__N_124unique_dim_cuda_templateImEESt5tupleIJNSF_6TensorESK_SK_EERKSK_lbbbEUlllE0_EEPmJS9_EEE10hipError_tPvRmT3_T4_T5_T6_T7_T9_mT8_P12ihipStream_tbDpT10_ENKUlT_T0_E_clISt17integral_constantIbLb0EES1A_EEDaS15_S16_EUlS15_E_NS1_11comp_targetILNS1_3genE3ELNS1_11target_archE908ELNS1_3gpuE7ELNS1_3repE0EEENS1_30default_config_static_selectorELNS0_4arch9wavefront6targetE1EEEvT1_.uses_flat_scratch, 0
	.set _ZN7rocprim17ROCPRIM_400000_NS6detail17trampoline_kernelINS0_14default_configENS1_25partition_config_selectorILNS1_17partition_subalgoE9EllbEEZZNS1_14partition_implILS5_9ELb0ES3_jPlS8_PNS0_10empty_typeENS0_5tupleIJS8_S9_EEENSB_IJS8_SA_EEENS0_18inequality_wrapperIZN2at6native12_GLOBAL__N_124unique_dim_cuda_templateImEESt5tupleIJNSF_6TensorESK_SK_EERKSK_lbbbEUlllE0_EEPmJS9_EEE10hipError_tPvRmT3_T4_T5_T6_T7_T9_mT8_P12ihipStream_tbDpT10_ENKUlT_T0_E_clISt17integral_constantIbLb0EES1A_EEDaS15_S16_EUlS15_E_NS1_11comp_targetILNS1_3genE3ELNS1_11target_archE908ELNS1_3gpuE7ELNS1_3repE0EEENS1_30default_config_static_selectorELNS0_4arch9wavefront6targetE1EEEvT1_.has_dyn_sized_stack, 0
	.set _ZN7rocprim17ROCPRIM_400000_NS6detail17trampoline_kernelINS0_14default_configENS1_25partition_config_selectorILNS1_17partition_subalgoE9EllbEEZZNS1_14partition_implILS5_9ELb0ES3_jPlS8_PNS0_10empty_typeENS0_5tupleIJS8_S9_EEENSB_IJS8_SA_EEENS0_18inequality_wrapperIZN2at6native12_GLOBAL__N_124unique_dim_cuda_templateImEESt5tupleIJNSF_6TensorESK_SK_EERKSK_lbbbEUlllE0_EEPmJS9_EEE10hipError_tPvRmT3_T4_T5_T6_T7_T9_mT8_P12ihipStream_tbDpT10_ENKUlT_T0_E_clISt17integral_constantIbLb0EES1A_EEDaS15_S16_EUlS15_E_NS1_11comp_targetILNS1_3genE3ELNS1_11target_archE908ELNS1_3gpuE7ELNS1_3repE0EEENS1_30default_config_static_selectorELNS0_4arch9wavefront6targetE1EEEvT1_.has_recursion, 0
	.set _ZN7rocprim17ROCPRIM_400000_NS6detail17trampoline_kernelINS0_14default_configENS1_25partition_config_selectorILNS1_17partition_subalgoE9EllbEEZZNS1_14partition_implILS5_9ELb0ES3_jPlS8_PNS0_10empty_typeENS0_5tupleIJS8_S9_EEENSB_IJS8_SA_EEENS0_18inequality_wrapperIZN2at6native12_GLOBAL__N_124unique_dim_cuda_templateImEESt5tupleIJNSF_6TensorESK_SK_EERKSK_lbbbEUlllE0_EEPmJS9_EEE10hipError_tPvRmT3_T4_T5_T6_T7_T9_mT8_P12ihipStream_tbDpT10_ENKUlT_T0_E_clISt17integral_constantIbLb0EES1A_EEDaS15_S16_EUlS15_E_NS1_11comp_targetILNS1_3genE3ELNS1_11target_archE908ELNS1_3gpuE7ELNS1_3repE0EEENS1_30default_config_static_selectorELNS0_4arch9wavefront6targetE1EEEvT1_.has_indirect_call, 0
	.section	.AMDGPU.csdata,"",@progbits
; Kernel info:
; codeLenInByte = 0
; TotalNumSgprs: 6
; NumVgprs: 0
; NumAgprs: 0
; TotalNumVgprs: 0
; ScratchSize: 0
; MemoryBound: 0
; FloatMode: 240
; IeeeMode: 1
; LDSByteSize: 0 bytes/workgroup (compile time only)
; SGPRBlocks: 0
; VGPRBlocks: 0
; NumSGPRsForWavesPerEU: 6
; NumVGPRsForWavesPerEU: 1
; AccumOffset: 4
; Occupancy: 8
; WaveLimiterHint : 0
; COMPUTE_PGM_RSRC2:SCRATCH_EN: 0
; COMPUTE_PGM_RSRC2:USER_SGPR: 2
; COMPUTE_PGM_RSRC2:TRAP_HANDLER: 0
; COMPUTE_PGM_RSRC2:TGID_X_EN: 1
; COMPUTE_PGM_RSRC2:TGID_Y_EN: 0
; COMPUTE_PGM_RSRC2:TGID_Z_EN: 0
; COMPUTE_PGM_RSRC2:TIDIG_COMP_CNT: 0
; COMPUTE_PGM_RSRC3_GFX90A:ACCUM_OFFSET: 0
; COMPUTE_PGM_RSRC3_GFX90A:TG_SPLIT: 0
	.section	.text._ZN7rocprim17ROCPRIM_400000_NS6detail17trampoline_kernelINS0_14default_configENS1_25partition_config_selectorILNS1_17partition_subalgoE9EllbEEZZNS1_14partition_implILS5_9ELb0ES3_jPlS8_PNS0_10empty_typeENS0_5tupleIJS8_S9_EEENSB_IJS8_SA_EEENS0_18inequality_wrapperIZN2at6native12_GLOBAL__N_124unique_dim_cuda_templateImEESt5tupleIJNSF_6TensorESK_SK_EERKSK_lbbbEUlllE0_EEPmJS9_EEE10hipError_tPvRmT3_T4_T5_T6_T7_T9_mT8_P12ihipStream_tbDpT10_ENKUlT_T0_E_clISt17integral_constantIbLb0EES1A_EEDaS15_S16_EUlS15_E_NS1_11comp_targetILNS1_3genE2ELNS1_11target_archE906ELNS1_3gpuE6ELNS1_3repE0EEENS1_30default_config_static_selectorELNS0_4arch9wavefront6targetE1EEEvT1_,"axG",@progbits,_ZN7rocprim17ROCPRIM_400000_NS6detail17trampoline_kernelINS0_14default_configENS1_25partition_config_selectorILNS1_17partition_subalgoE9EllbEEZZNS1_14partition_implILS5_9ELb0ES3_jPlS8_PNS0_10empty_typeENS0_5tupleIJS8_S9_EEENSB_IJS8_SA_EEENS0_18inequality_wrapperIZN2at6native12_GLOBAL__N_124unique_dim_cuda_templateImEESt5tupleIJNSF_6TensorESK_SK_EERKSK_lbbbEUlllE0_EEPmJS9_EEE10hipError_tPvRmT3_T4_T5_T6_T7_T9_mT8_P12ihipStream_tbDpT10_ENKUlT_T0_E_clISt17integral_constantIbLb0EES1A_EEDaS15_S16_EUlS15_E_NS1_11comp_targetILNS1_3genE2ELNS1_11target_archE906ELNS1_3gpuE6ELNS1_3repE0EEENS1_30default_config_static_selectorELNS0_4arch9wavefront6targetE1EEEvT1_,comdat
	.globl	_ZN7rocprim17ROCPRIM_400000_NS6detail17trampoline_kernelINS0_14default_configENS1_25partition_config_selectorILNS1_17partition_subalgoE9EllbEEZZNS1_14partition_implILS5_9ELb0ES3_jPlS8_PNS0_10empty_typeENS0_5tupleIJS8_S9_EEENSB_IJS8_SA_EEENS0_18inequality_wrapperIZN2at6native12_GLOBAL__N_124unique_dim_cuda_templateImEESt5tupleIJNSF_6TensorESK_SK_EERKSK_lbbbEUlllE0_EEPmJS9_EEE10hipError_tPvRmT3_T4_T5_T6_T7_T9_mT8_P12ihipStream_tbDpT10_ENKUlT_T0_E_clISt17integral_constantIbLb0EES1A_EEDaS15_S16_EUlS15_E_NS1_11comp_targetILNS1_3genE2ELNS1_11target_archE906ELNS1_3gpuE6ELNS1_3repE0EEENS1_30default_config_static_selectorELNS0_4arch9wavefront6targetE1EEEvT1_ ; -- Begin function _ZN7rocprim17ROCPRIM_400000_NS6detail17trampoline_kernelINS0_14default_configENS1_25partition_config_selectorILNS1_17partition_subalgoE9EllbEEZZNS1_14partition_implILS5_9ELb0ES3_jPlS8_PNS0_10empty_typeENS0_5tupleIJS8_S9_EEENSB_IJS8_SA_EEENS0_18inequality_wrapperIZN2at6native12_GLOBAL__N_124unique_dim_cuda_templateImEESt5tupleIJNSF_6TensorESK_SK_EERKSK_lbbbEUlllE0_EEPmJS9_EEE10hipError_tPvRmT3_T4_T5_T6_T7_T9_mT8_P12ihipStream_tbDpT10_ENKUlT_T0_E_clISt17integral_constantIbLb0EES1A_EEDaS15_S16_EUlS15_E_NS1_11comp_targetILNS1_3genE2ELNS1_11target_archE906ELNS1_3gpuE6ELNS1_3repE0EEENS1_30default_config_static_selectorELNS0_4arch9wavefront6targetE1EEEvT1_
	.p2align	8
	.type	_ZN7rocprim17ROCPRIM_400000_NS6detail17trampoline_kernelINS0_14default_configENS1_25partition_config_selectorILNS1_17partition_subalgoE9EllbEEZZNS1_14partition_implILS5_9ELb0ES3_jPlS8_PNS0_10empty_typeENS0_5tupleIJS8_S9_EEENSB_IJS8_SA_EEENS0_18inequality_wrapperIZN2at6native12_GLOBAL__N_124unique_dim_cuda_templateImEESt5tupleIJNSF_6TensorESK_SK_EERKSK_lbbbEUlllE0_EEPmJS9_EEE10hipError_tPvRmT3_T4_T5_T6_T7_T9_mT8_P12ihipStream_tbDpT10_ENKUlT_T0_E_clISt17integral_constantIbLb0EES1A_EEDaS15_S16_EUlS15_E_NS1_11comp_targetILNS1_3genE2ELNS1_11target_archE906ELNS1_3gpuE6ELNS1_3repE0EEENS1_30default_config_static_selectorELNS0_4arch9wavefront6targetE1EEEvT1_,@function
_ZN7rocprim17ROCPRIM_400000_NS6detail17trampoline_kernelINS0_14default_configENS1_25partition_config_selectorILNS1_17partition_subalgoE9EllbEEZZNS1_14partition_implILS5_9ELb0ES3_jPlS8_PNS0_10empty_typeENS0_5tupleIJS8_S9_EEENSB_IJS8_SA_EEENS0_18inequality_wrapperIZN2at6native12_GLOBAL__N_124unique_dim_cuda_templateImEESt5tupleIJNSF_6TensorESK_SK_EERKSK_lbbbEUlllE0_EEPmJS9_EEE10hipError_tPvRmT3_T4_T5_T6_T7_T9_mT8_P12ihipStream_tbDpT10_ENKUlT_T0_E_clISt17integral_constantIbLb0EES1A_EEDaS15_S16_EUlS15_E_NS1_11comp_targetILNS1_3genE2ELNS1_11target_archE906ELNS1_3gpuE6ELNS1_3repE0EEENS1_30default_config_static_selectorELNS0_4arch9wavefront6targetE1EEEvT1_: ; @_ZN7rocprim17ROCPRIM_400000_NS6detail17trampoline_kernelINS0_14default_configENS1_25partition_config_selectorILNS1_17partition_subalgoE9EllbEEZZNS1_14partition_implILS5_9ELb0ES3_jPlS8_PNS0_10empty_typeENS0_5tupleIJS8_S9_EEENSB_IJS8_SA_EEENS0_18inequality_wrapperIZN2at6native12_GLOBAL__N_124unique_dim_cuda_templateImEESt5tupleIJNSF_6TensorESK_SK_EERKSK_lbbbEUlllE0_EEPmJS9_EEE10hipError_tPvRmT3_T4_T5_T6_T7_T9_mT8_P12ihipStream_tbDpT10_ENKUlT_T0_E_clISt17integral_constantIbLb0EES1A_EEDaS15_S16_EUlS15_E_NS1_11comp_targetILNS1_3genE2ELNS1_11target_archE906ELNS1_3gpuE6ELNS1_3repE0EEENS1_30default_config_static_selectorELNS0_4arch9wavefront6targetE1EEEvT1_
; %bb.0:
	.section	.rodata,"a",@progbits
	.p2align	6, 0x0
	.amdhsa_kernel _ZN7rocprim17ROCPRIM_400000_NS6detail17trampoline_kernelINS0_14default_configENS1_25partition_config_selectorILNS1_17partition_subalgoE9EllbEEZZNS1_14partition_implILS5_9ELb0ES3_jPlS8_PNS0_10empty_typeENS0_5tupleIJS8_S9_EEENSB_IJS8_SA_EEENS0_18inequality_wrapperIZN2at6native12_GLOBAL__N_124unique_dim_cuda_templateImEESt5tupleIJNSF_6TensorESK_SK_EERKSK_lbbbEUlllE0_EEPmJS9_EEE10hipError_tPvRmT3_T4_T5_T6_T7_T9_mT8_P12ihipStream_tbDpT10_ENKUlT_T0_E_clISt17integral_constantIbLb0EES1A_EEDaS15_S16_EUlS15_E_NS1_11comp_targetILNS1_3genE2ELNS1_11target_archE906ELNS1_3gpuE6ELNS1_3repE0EEENS1_30default_config_static_selectorELNS0_4arch9wavefront6targetE1EEEvT1_
		.amdhsa_group_segment_fixed_size 0
		.amdhsa_private_segment_fixed_size 0
		.amdhsa_kernarg_size 120
		.amdhsa_user_sgpr_count 2
		.amdhsa_user_sgpr_dispatch_ptr 0
		.amdhsa_user_sgpr_queue_ptr 0
		.amdhsa_user_sgpr_kernarg_segment_ptr 1
		.amdhsa_user_sgpr_dispatch_id 0
		.amdhsa_user_sgpr_kernarg_preload_length 0
		.amdhsa_user_sgpr_kernarg_preload_offset 0
		.amdhsa_user_sgpr_private_segment_size 0
		.amdhsa_uses_dynamic_stack 0
		.amdhsa_enable_private_segment 0
		.amdhsa_system_sgpr_workgroup_id_x 1
		.amdhsa_system_sgpr_workgroup_id_y 0
		.amdhsa_system_sgpr_workgroup_id_z 0
		.amdhsa_system_sgpr_workgroup_info 0
		.amdhsa_system_vgpr_workitem_id 0
		.amdhsa_next_free_vgpr 1
		.amdhsa_next_free_sgpr 0
		.amdhsa_accum_offset 4
		.amdhsa_reserve_vcc 0
		.amdhsa_float_round_mode_32 0
		.amdhsa_float_round_mode_16_64 0
		.amdhsa_float_denorm_mode_32 3
		.amdhsa_float_denorm_mode_16_64 3
		.amdhsa_dx10_clamp 1
		.amdhsa_ieee_mode 1
		.amdhsa_fp16_overflow 0
		.amdhsa_tg_split 0
		.amdhsa_exception_fp_ieee_invalid_op 0
		.amdhsa_exception_fp_denorm_src 0
		.amdhsa_exception_fp_ieee_div_zero 0
		.amdhsa_exception_fp_ieee_overflow 0
		.amdhsa_exception_fp_ieee_underflow 0
		.amdhsa_exception_fp_ieee_inexact 0
		.amdhsa_exception_int_div_zero 0
	.end_amdhsa_kernel
	.section	.text._ZN7rocprim17ROCPRIM_400000_NS6detail17trampoline_kernelINS0_14default_configENS1_25partition_config_selectorILNS1_17partition_subalgoE9EllbEEZZNS1_14partition_implILS5_9ELb0ES3_jPlS8_PNS0_10empty_typeENS0_5tupleIJS8_S9_EEENSB_IJS8_SA_EEENS0_18inequality_wrapperIZN2at6native12_GLOBAL__N_124unique_dim_cuda_templateImEESt5tupleIJNSF_6TensorESK_SK_EERKSK_lbbbEUlllE0_EEPmJS9_EEE10hipError_tPvRmT3_T4_T5_T6_T7_T9_mT8_P12ihipStream_tbDpT10_ENKUlT_T0_E_clISt17integral_constantIbLb0EES1A_EEDaS15_S16_EUlS15_E_NS1_11comp_targetILNS1_3genE2ELNS1_11target_archE906ELNS1_3gpuE6ELNS1_3repE0EEENS1_30default_config_static_selectorELNS0_4arch9wavefront6targetE1EEEvT1_,"axG",@progbits,_ZN7rocprim17ROCPRIM_400000_NS6detail17trampoline_kernelINS0_14default_configENS1_25partition_config_selectorILNS1_17partition_subalgoE9EllbEEZZNS1_14partition_implILS5_9ELb0ES3_jPlS8_PNS0_10empty_typeENS0_5tupleIJS8_S9_EEENSB_IJS8_SA_EEENS0_18inequality_wrapperIZN2at6native12_GLOBAL__N_124unique_dim_cuda_templateImEESt5tupleIJNSF_6TensorESK_SK_EERKSK_lbbbEUlllE0_EEPmJS9_EEE10hipError_tPvRmT3_T4_T5_T6_T7_T9_mT8_P12ihipStream_tbDpT10_ENKUlT_T0_E_clISt17integral_constantIbLb0EES1A_EEDaS15_S16_EUlS15_E_NS1_11comp_targetILNS1_3genE2ELNS1_11target_archE906ELNS1_3gpuE6ELNS1_3repE0EEENS1_30default_config_static_selectorELNS0_4arch9wavefront6targetE1EEEvT1_,comdat
.Lfunc_end1699:
	.size	_ZN7rocprim17ROCPRIM_400000_NS6detail17trampoline_kernelINS0_14default_configENS1_25partition_config_selectorILNS1_17partition_subalgoE9EllbEEZZNS1_14partition_implILS5_9ELb0ES3_jPlS8_PNS0_10empty_typeENS0_5tupleIJS8_S9_EEENSB_IJS8_SA_EEENS0_18inequality_wrapperIZN2at6native12_GLOBAL__N_124unique_dim_cuda_templateImEESt5tupleIJNSF_6TensorESK_SK_EERKSK_lbbbEUlllE0_EEPmJS9_EEE10hipError_tPvRmT3_T4_T5_T6_T7_T9_mT8_P12ihipStream_tbDpT10_ENKUlT_T0_E_clISt17integral_constantIbLb0EES1A_EEDaS15_S16_EUlS15_E_NS1_11comp_targetILNS1_3genE2ELNS1_11target_archE906ELNS1_3gpuE6ELNS1_3repE0EEENS1_30default_config_static_selectorELNS0_4arch9wavefront6targetE1EEEvT1_, .Lfunc_end1699-_ZN7rocprim17ROCPRIM_400000_NS6detail17trampoline_kernelINS0_14default_configENS1_25partition_config_selectorILNS1_17partition_subalgoE9EllbEEZZNS1_14partition_implILS5_9ELb0ES3_jPlS8_PNS0_10empty_typeENS0_5tupleIJS8_S9_EEENSB_IJS8_SA_EEENS0_18inequality_wrapperIZN2at6native12_GLOBAL__N_124unique_dim_cuda_templateImEESt5tupleIJNSF_6TensorESK_SK_EERKSK_lbbbEUlllE0_EEPmJS9_EEE10hipError_tPvRmT3_T4_T5_T6_T7_T9_mT8_P12ihipStream_tbDpT10_ENKUlT_T0_E_clISt17integral_constantIbLb0EES1A_EEDaS15_S16_EUlS15_E_NS1_11comp_targetILNS1_3genE2ELNS1_11target_archE906ELNS1_3gpuE6ELNS1_3repE0EEENS1_30default_config_static_selectorELNS0_4arch9wavefront6targetE1EEEvT1_
                                        ; -- End function
	.set _ZN7rocprim17ROCPRIM_400000_NS6detail17trampoline_kernelINS0_14default_configENS1_25partition_config_selectorILNS1_17partition_subalgoE9EllbEEZZNS1_14partition_implILS5_9ELb0ES3_jPlS8_PNS0_10empty_typeENS0_5tupleIJS8_S9_EEENSB_IJS8_SA_EEENS0_18inequality_wrapperIZN2at6native12_GLOBAL__N_124unique_dim_cuda_templateImEESt5tupleIJNSF_6TensorESK_SK_EERKSK_lbbbEUlllE0_EEPmJS9_EEE10hipError_tPvRmT3_T4_T5_T6_T7_T9_mT8_P12ihipStream_tbDpT10_ENKUlT_T0_E_clISt17integral_constantIbLb0EES1A_EEDaS15_S16_EUlS15_E_NS1_11comp_targetILNS1_3genE2ELNS1_11target_archE906ELNS1_3gpuE6ELNS1_3repE0EEENS1_30default_config_static_selectorELNS0_4arch9wavefront6targetE1EEEvT1_.num_vgpr, 0
	.set _ZN7rocprim17ROCPRIM_400000_NS6detail17trampoline_kernelINS0_14default_configENS1_25partition_config_selectorILNS1_17partition_subalgoE9EllbEEZZNS1_14partition_implILS5_9ELb0ES3_jPlS8_PNS0_10empty_typeENS0_5tupleIJS8_S9_EEENSB_IJS8_SA_EEENS0_18inequality_wrapperIZN2at6native12_GLOBAL__N_124unique_dim_cuda_templateImEESt5tupleIJNSF_6TensorESK_SK_EERKSK_lbbbEUlllE0_EEPmJS9_EEE10hipError_tPvRmT3_T4_T5_T6_T7_T9_mT8_P12ihipStream_tbDpT10_ENKUlT_T0_E_clISt17integral_constantIbLb0EES1A_EEDaS15_S16_EUlS15_E_NS1_11comp_targetILNS1_3genE2ELNS1_11target_archE906ELNS1_3gpuE6ELNS1_3repE0EEENS1_30default_config_static_selectorELNS0_4arch9wavefront6targetE1EEEvT1_.num_agpr, 0
	.set _ZN7rocprim17ROCPRIM_400000_NS6detail17trampoline_kernelINS0_14default_configENS1_25partition_config_selectorILNS1_17partition_subalgoE9EllbEEZZNS1_14partition_implILS5_9ELb0ES3_jPlS8_PNS0_10empty_typeENS0_5tupleIJS8_S9_EEENSB_IJS8_SA_EEENS0_18inequality_wrapperIZN2at6native12_GLOBAL__N_124unique_dim_cuda_templateImEESt5tupleIJNSF_6TensorESK_SK_EERKSK_lbbbEUlllE0_EEPmJS9_EEE10hipError_tPvRmT3_T4_T5_T6_T7_T9_mT8_P12ihipStream_tbDpT10_ENKUlT_T0_E_clISt17integral_constantIbLb0EES1A_EEDaS15_S16_EUlS15_E_NS1_11comp_targetILNS1_3genE2ELNS1_11target_archE906ELNS1_3gpuE6ELNS1_3repE0EEENS1_30default_config_static_selectorELNS0_4arch9wavefront6targetE1EEEvT1_.numbered_sgpr, 0
	.set _ZN7rocprim17ROCPRIM_400000_NS6detail17trampoline_kernelINS0_14default_configENS1_25partition_config_selectorILNS1_17partition_subalgoE9EllbEEZZNS1_14partition_implILS5_9ELb0ES3_jPlS8_PNS0_10empty_typeENS0_5tupleIJS8_S9_EEENSB_IJS8_SA_EEENS0_18inequality_wrapperIZN2at6native12_GLOBAL__N_124unique_dim_cuda_templateImEESt5tupleIJNSF_6TensorESK_SK_EERKSK_lbbbEUlllE0_EEPmJS9_EEE10hipError_tPvRmT3_T4_T5_T6_T7_T9_mT8_P12ihipStream_tbDpT10_ENKUlT_T0_E_clISt17integral_constantIbLb0EES1A_EEDaS15_S16_EUlS15_E_NS1_11comp_targetILNS1_3genE2ELNS1_11target_archE906ELNS1_3gpuE6ELNS1_3repE0EEENS1_30default_config_static_selectorELNS0_4arch9wavefront6targetE1EEEvT1_.num_named_barrier, 0
	.set _ZN7rocprim17ROCPRIM_400000_NS6detail17trampoline_kernelINS0_14default_configENS1_25partition_config_selectorILNS1_17partition_subalgoE9EllbEEZZNS1_14partition_implILS5_9ELb0ES3_jPlS8_PNS0_10empty_typeENS0_5tupleIJS8_S9_EEENSB_IJS8_SA_EEENS0_18inequality_wrapperIZN2at6native12_GLOBAL__N_124unique_dim_cuda_templateImEESt5tupleIJNSF_6TensorESK_SK_EERKSK_lbbbEUlllE0_EEPmJS9_EEE10hipError_tPvRmT3_T4_T5_T6_T7_T9_mT8_P12ihipStream_tbDpT10_ENKUlT_T0_E_clISt17integral_constantIbLb0EES1A_EEDaS15_S16_EUlS15_E_NS1_11comp_targetILNS1_3genE2ELNS1_11target_archE906ELNS1_3gpuE6ELNS1_3repE0EEENS1_30default_config_static_selectorELNS0_4arch9wavefront6targetE1EEEvT1_.private_seg_size, 0
	.set _ZN7rocprim17ROCPRIM_400000_NS6detail17trampoline_kernelINS0_14default_configENS1_25partition_config_selectorILNS1_17partition_subalgoE9EllbEEZZNS1_14partition_implILS5_9ELb0ES3_jPlS8_PNS0_10empty_typeENS0_5tupleIJS8_S9_EEENSB_IJS8_SA_EEENS0_18inequality_wrapperIZN2at6native12_GLOBAL__N_124unique_dim_cuda_templateImEESt5tupleIJNSF_6TensorESK_SK_EERKSK_lbbbEUlllE0_EEPmJS9_EEE10hipError_tPvRmT3_T4_T5_T6_T7_T9_mT8_P12ihipStream_tbDpT10_ENKUlT_T0_E_clISt17integral_constantIbLb0EES1A_EEDaS15_S16_EUlS15_E_NS1_11comp_targetILNS1_3genE2ELNS1_11target_archE906ELNS1_3gpuE6ELNS1_3repE0EEENS1_30default_config_static_selectorELNS0_4arch9wavefront6targetE1EEEvT1_.uses_vcc, 0
	.set _ZN7rocprim17ROCPRIM_400000_NS6detail17trampoline_kernelINS0_14default_configENS1_25partition_config_selectorILNS1_17partition_subalgoE9EllbEEZZNS1_14partition_implILS5_9ELb0ES3_jPlS8_PNS0_10empty_typeENS0_5tupleIJS8_S9_EEENSB_IJS8_SA_EEENS0_18inequality_wrapperIZN2at6native12_GLOBAL__N_124unique_dim_cuda_templateImEESt5tupleIJNSF_6TensorESK_SK_EERKSK_lbbbEUlllE0_EEPmJS9_EEE10hipError_tPvRmT3_T4_T5_T6_T7_T9_mT8_P12ihipStream_tbDpT10_ENKUlT_T0_E_clISt17integral_constantIbLb0EES1A_EEDaS15_S16_EUlS15_E_NS1_11comp_targetILNS1_3genE2ELNS1_11target_archE906ELNS1_3gpuE6ELNS1_3repE0EEENS1_30default_config_static_selectorELNS0_4arch9wavefront6targetE1EEEvT1_.uses_flat_scratch, 0
	.set _ZN7rocprim17ROCPRIM_400000_NS6detail17trampoline_kernelINS0_14default_configENS1_25partition_config_selectorILNS1_17partition_subalgoE9EllbEEZZNS1_14partition_implILS5_9ELb0ES3_jPlS8_PNS0_10empty_typeENS0_5tupleIJS8_S9_EEENSB_IJS8_SA_EEENS0_18inequality_wrapperIZN2at6native12_GLOBAL__N_124unique_dim_cuda_templateImEESt5tupleIJNSF_6TensorESK_SK_EERKSK_lbbbEUlllE0_EEPmJS9_EEE10hipError_tPvRmT3_T4_T5_T6_T7_T9_mT8_P12ihipStream_tbDpT10_ENKUlT_T0_E_clISt17integral_constantIbLb0EES1A_EEDaS15_S16_EUlS15_E_NS1_11comp_targetILNS1_3genE2ELNS1_11target_archE906ELNS1_3gpuE6ELNS1_3repE0EEENS1_30default_config_static_selectorELNS0_4arch9wavefront6targetE1EEEvT1_.has_dyn_sized_stack, 0
	.set _ZN7rocprim17ROCPRIM_400000_NS6detail17trampoline_kernelINS0_14default_configENS1_25partition_config_selectorILNS1_17partition_subalgoE9EllbEEZZNS1_14partition_implILS5_9ELb0ES3_jPlS8_PNS0_10empty_typeENS0_5tupleIJS8_S9_EEENSB_IJS8_SA_EEENS0_18inequality_wrapperIZN2at6native12_GLOBAL__N_124unique_dim_cuda_templateImEESt5tupleIJNSF_6TensorESK_SK_EERKSK_lbbbEUlllE0_EEPmJS9_EEE10hipError_tPvRmT3_T4_T5_T6_T7_T9_mT8_P12ihipStream_tbDpT10_ENKUlT_T0_E_clISt17integral_constantIbLb0EES1A_EEDaS15_S16_EUlS15_E_NS1_11comp_targetILNS1_3genE2ELNS1_11target_archE906ELNS1_3gpuE6ELNS1_3repE0EEENS1_30default_config_static_selectorELNS0_4arch9wavefront6targetE1EEEvT1_.has_recursion, 0
	.set _ZN7rocprim17ROCPRIM_400000_NS6detail17trampoline_kernelINS0_14default_configENS1_25partition_config_selectorILNS1_17partition_subalgoE9EllbEEZZNS1_14partition_implILS5_9ELb0ES3_jPlS8_PNS0_10empty_typeENS0_5tupleIJS8_S9_EEENSB_IJS8_SA_EEENS0_18inequality_wrapperIZN2at6native12_GLOBAL__N_124unique_dim_cuda_templateImEESt5tupleIJNSF_6TensorESK_SK_EERKSK_lbbbEUlllE0_EEPmJS9_EEE10hipError_tPvRmT3_T4_T5_T6_T7_T9_mT8_P12ihipStream_tbDpT10_ENKUlT_T0_E_clISt17integral_constantIbLb0EES1A_EEDaS15_S16_EUlS15_E_NS1_11comp_targetILNS1_3genE2ELNS1_11target_archE906ELNS1_3gpuE6ELNS1_3repE0EEENS1_30default_config_static_selectorELNS0_4arch9wavefront6targetE1EEEvT1_.has_indirect_call, 0
	.section	.AMDGPU.csdata,"",@progbits
; Kernel info:
; codeLenInByte = 0
; TotalNumSgprs: 6
; NumVgprs: 0
; NumAgprs: 0
; TotalNumVgprs: 0
; ScratchSize: 0
; MemoryBound: 0
; FloatMode: 240
; IeeeMode: 1
; LDSByteSize: 0 bytes/workgroup (compile time only)
; SGPRBlocks: 0
; VGPRBlocks: 0
; NumSGPRsForWavesPerEU: 6
; NumVGPRsForWavesPerEU: 1
; AccumOffset: 4
; Occupancy: 8
; WaveLimiterHint : 0
; COMPUTE_PGM_RSRC2:SCRATCH_EN: 0
; COMPUTE_PGM_RSRC2:USER_SGPR: 2
; COMPUTE_PGM_RSRC2:TRAP_HANDLER: 0
; COMPUTE_PGM_RSRC2:TGID_X_EN: 1
; COMPUTE_PGM_RSRC2:TGID_Y_EN: 0
; COMPUTE_PGM_RSRC2:TGID_Z_EN: 0
; COMPUTE_PGM_RSRC2:TIDIG_COMP_CNT: 0
; COMPUTE_PGM_RSRC3_GFX90A:ACCUM_OFFSET: 0
; COMPUTE_PGM_RSRC3_GFX90A:TG_SPLIT: 0
	.section	.text._ZN7rocprim17ROCPRIM_400000_NS6detail17trampoline_kernelINS0_14default_configENS1_25partition_config_selectorILNS1_17partition_subalgoE9EllbEEZZNS1_14partition_implILS5_9ELb0ES3_jPlS8_PNS0_10empty_typeENS0_5tupleIJS8_S9_EEENSB_IJS8_SA_EEENS0_18inequality_wrapperIZN2at6native12_GLOBAL__N_124unique_dim_cuda_templateImEESt5tupleIJNSF_6TensorESK_SK_EERKSK_lbbbEUlllE0_EEPmJS9_EEE10hipError_tPvRmT3_T4_T5_T6_T7_T9_mT8_P12ihipStream_tbDpT10_ENKUlT_T0_E_clISt17integral_constantIbLb0EES1A_EEDaS15_S16_EUlS15_E_NS1_11comp_targetILNS1_3genE10ELNS1_11target_archE1200ELNS1_3gpuE4ELNS1_3repE0EEENS1_30default_config_static_selectorELNS0_4arch9wavefront6targetE1EEEvT1_,"axG",@progbits,_ZN7rocprim17ROCPRIM_400000_NS6detail17trampoline_kernelINS0_14default_configENS1_25partition_config_selectorILNS1_17partition_subalgoE9EllbEEZZNS1_14partition_implILS5_9ELb0ES3_jPlS8_PNS0_10empty_typeENS0_5tupleIJS8_S9_EEENSB_IJS8_SA_EEENS0_18inequality_wrapperIZN2at6native12_GLOBAL__N_124unique_dim_cuda_templateImEESt5tupleIJNSF_6TensorESK_SK_EERKSK_lbbbEUlllE0_EEPmJS9_EEE10hipError_tPvRmT3_T4_T5_T6_T7_T9_mT8_P12ihipStream_tbDpT10_ENKUlT_T0_E_clISt17integral_constantIbLb0EES1A_EEDaS15_S16_EUlS15_E_NS1_11comp_targetILNS1_3genE10ELNS1_11target_archE1200ELNS1_3gpuE4ELNS1_3repE0EEENS1_30default_config_static_selectorELNS0_4arch9wavefront6targetE1EEEvT1_,comdat
	.globl	_ZN7rocprim17ROCPRIM_400000_NS6detail17trampoline_kernelINS0_14default_configENS1_25partition_config_selectorILNS1_17partition_subalgoE9EllbEEZZNS1_14partition_implILS5_9ELb0ES3_jPlS8_PNS0_10empty_typeENS0_5tupleIJS8_S9_EEENSB_IJS8_SA_EEENS0_18inequality_wrapperIZN2at6native12_GLOBAL__N_124unique_dim_cuda_templateImEESt5tupleIJNSF_6TensorESK_SK_EERKSK_lbbbEUlllE0_EEPmJS9_EEE10hipError_tPvRmT3_T4_T5_T6_T7_T9_mT8_P12ihipStream_tbDpT10_ENKUlT_T0_E_clISt17integral_constantIbLb0EES1A_EEDaS15_S16_EUlS15_E_NS1_11comp_targetILNS1_3genE10ELNS1_11target_archE1200ELNS1_3gpuE4ELNS1_3repE0EEENS1_30default_config_static_selectorELNS0_4arch9wavefront6targetE1EEEvT1_ ; -- Begin function _ZN7rocprim17ROCPRIM_400000_NS6detail17trampoline_kernelINS0_14default_configENS1_25partition_config_selectorILNS1_17partition_subalgoE9EllbEEZZNS1_14partition_implILS5_9ELb0ES3_jPlS8_PNS0_10empty_typeENS0_5tupleIJS8_S9_EEENSB_IJS8_SA_EEENS0_18inequality_wrapperIZN2at6native12_GLOBAL__N_124unique_dim_cuda_templateImEESt5tupleIJNSF_6TensorESK_SK_EERKSK_lbbbEUlllE0_EEPmJS9_EEE10hipError_tPvRmT3_T4_T5_T6_T7_T9_mT8_P12ihipStream_tbDpT10_ENKUlT_T0_E_clISt17integral_constantIbLb0EES1A_EEDaS15_S16_EUlS15_E_NS1_11comp_targetILNS1_3genE10ELNS1_11target_archE1200ELNS1_3gpuE4ELNS1_3repE0EEENS1_30default_config_static_selectorELNS0_4arch9wavefront6targetE1EEEvT1_
	.p2align	8
	.type	_ZN7rocprim17ROCPRIM_400000_NS6detail17trampoline_kernelINS0_14default_configENS1_25partition_config_selectorILNS1_17partition_subalgoE9EllbEEZZNS1_14partition_implILS5_9ELb0ES3_jPlS8_PNS0_10empty_typeENS0_5tupleIJS8_S9_EEENSB_IJS8_SA_EEENS0_18inequality_wrapperIZN2at6native12_GLOBAL__N_124unique_dim_cuda_templateImEESt5tupleIJNSF_6TensorESK_SK_EERKSK_lbbbEUlllE0_EEPmJS9_EEE10hipError_tPvRmT3_T4_T5_T6_T7_T9_mT8_P12ihipStream_tbDpT10_ENKUlT_T0_E_clISt17integral_constantIbLb0EES1A_EEDaS15_S16_EUlS15_E_NS1_11comp_targetILNS1_3genE10ELNS1_11target_archE1200ELNS1_3gpuE4ELNS1_3repE0EEENS1_30default_config_static_selectorELNS0_4arch9wavefront6targetE1EEEvT1_,@function
_ZN7rocprim17ROCPRIM_400000_NS6detail17trampoline_kernelINS0_14default_configENS1_25partition_config_selectorILNS1_17partition_subalgoE9EllbEEZZNS1_14partition_implILS5_9ELb0ES3_jPlS8_PNS0_10empty_typeENS0_5tupleIJS8_S9_EEENSB_IJS8_SA_EEENS0_18inequality_wrapperIZN2at6native12_GLOBAL__N_124unique_dim_cuda_templateImEESt5tupleIJNSF_6TensorESK_SK_EERKSK_lbbbEUlllE0_EEPmJS9_EEE10hipError_tPvRmT3_T4_T5_T6_T7_T9_mT8_P12ihipStream_tbDpT10_ENKUlT_T0_E_clISt17integral_constantIbLb0EES1A_EEDaS15_S16_EUlS15_E_NS1_11comp_targetILNS1_3genE10ELNS1_11target_archE1200ELNS1_3gpuE4ELNS1_3repE0EEENS1_30default_config_static_selectorELNS0_4arch9wavefront6targetE1EEEvT1_: ; @_ZN7rocprim17ROCPRIM_400000_NS6detail17trampoline_kernelINS0_14default_configENS1_25partition_config_selectorILNS1_17partition_subalgoE9EllbEEZZNS1_14partition_implILS5_9ELb0ES3_jPlS8_PNS0_10empty_typeENS0_5tupleIJS8_S9_EEENSB_IJS8_SA_EEENS0_18inequality_wrapperIZN2at6native12_GLOBAL__N_124unique_dim_cuda_templateImEESt5tupleIJNSF_6TensorESK_SK_EERKSK_lbbbEUlllE0_EEPmJS9_EEE10hipError_tPvRmT3_T4_T5_T6_T7_T9_mT8_P12ihipStream_tbDpT10_ENKUlT_T0_E_clISt17integral_constantIbLb0EES1A_EEDaS15_S16_EUlS15_E_NS1_11comp_targetILNS1_3genE10ELNS1_11target_archE1200ELNS1_3gpuE4ELNS1_3repE0EEENS1_30default_config_static_selectorELNS0_4arch9wavefront6targetE1EEEvT1_
; %bb.0:
	.section	.rodata,"a",@progbits
	.p2align	6, 0x0
	.amdhsa_kernel _ZN7rocprim17ROCPRIM_400000_NS6detail17trampoline_kernelINS0_14default_configENS1_25partition_config_selectorILNS1_17partition_subalgoE9EllbEEZZNS1_14partition_implILS5_9ELb0ES3_jPlS8_PNS0_10empty_typeENS0_5tupleIJS8_S9_EEENSB_IJS8_SA_EEENS0_18inequality_wrapperIZN2at6native12_GLOBAL__N_124unique_dim_cuda_templateImEESt5tupleIJNSF_6TensorESK_SK_EERKSK_lbbbEUlllE0_EEPmJS9_EEE10hipError_tPvRmT3_T4_T5_T6_T7_T9_mT8_P12ihipStream_tbDpT10_ENKUlT_T0_E_clISt17integral_constantIbLb0EES1A_EEDaS15_S16_EUlS15_E_NS1_11comp_targetILNS1_3genE10ELNS1_11target_archE1200ELNS1_3gpuE4ELNS1_3repE0EEENS1_30default_config_static_selectorELNS0_4arch9wavefront6targetE1EEEvT1_
		.amdhsa_group_segment_fixed_size 0
		.amdhsa_private_segment_fixed_size 0
		.amdhsa_kernarg_size 120
		.amdhsa_user_sgpr_count 2
		.amdhsa_user_sgpr_dispatch_ptr 0
		.amdhsa_user_sgpr_queue_ptr 0
		.amdhsa_user_sgpr_kernarg_segment_ptr 1
		.amdhsa_user_sgpr_dispatch_id 0
		.amdhsa_user_sgpr_kernarg_preload_length 0
		.amdhsa_user_sgpr_kernarg_preload_offset 0
		.amdhsa_user_sgpr_private_segment_size 0
		.amdhsa_uses_dynamic_stack 0
		.amdhsa_enable_private_segment 0
		.amdhsa_system_sgpr_workgroup_id_x 1
		.amdhsa_system_sgpr_workgroup_id_y 0
		.amdhsa_system_sgpr_workgroup_id_z 0
		.amdhsa_system_sgpr_workgroup_info 0
		.amdhsa_system_vgpr_workitem_id 0
		.amdhsa_next_free_vgpr 1
		.amdhsa_next_free_sgpr 0
		.amdhsa_accum_offset 4
		.amdhsa_reserve_vcc 0
		.amdhsa_float_round_mode_32 0
		.amdhsa_float_round_mode_16_64 0
		.amdhsa_float_denorm_mode_32 3
		.amdhsa_float_denorm_mode_16_64 3
		.amdhsa_dx10_clamp 1
		.amdhsa_ieee_mode 1
		.amdhsa_fp16_overflow 0
		.amdhsa_tg_split 0
		.amdhsa_exception_fp_ieee_invalid_op 0
		.amdhsa_exception_fp_denorm_src 0
		.amdhsa_exception_fp_ieee_div_zero 0
		.amdhsa_exception_fp_ieee_overflow 0
		.amdhsa_exception_fp_ieee_underflow 0
		.amdhsa_exception_fp_ieee_inexact 0
		.amdhsa_exception_int_div_zero 0
	.end_amdhsa_kernel
	.section	.text._ZN7rocprim17ROCPRIM_400000_NS6detail17trampoline_kernelINS0_14default_configENS1_25partition_config_selectorILNS1_17partition_subalgoE9EllbEEZZNS1_14partition_implILS5_9ELb0ES3_jPlS8_PNS0_10empty_typeENS0_5tupleIJS8_S9_EEENSB_IJS8_SA_EEENS0_18inequality_wrapperIZN2at6native12_GLOBAL__N_124unique_dim_cuda_templateImEESt5tupleIJNSF_6TensorESK_SK_EERKSK_lbbbEUlllE0_EEPmJS9_EEE10hipError_tPvRmT3_T4_T5_T6_T7_T9_mT8_P12ihipStream_tbDpT10_ENKUlT_T0_E_clISt17integral_constantIbLb0EES1A_EEDaS15_S16_EUlS15_E_NS1_11comp_targetILNS1_3genE10ELNS1_11target_archE1200ELNS1_3gpuE4ELNS1_3repE0EEENS1_30default_config_static_selectorELNS0_4arch9wavefront6targetE1EEEvT1_,"axG",@progbits,_ZN7rocprim17ROCPRIM_400000_NS6detail17trampoline_kernelINS0_14default_configENS1_25partition_config_selectorILNS1_17partition_subalgoE9EllbEEZZNS1_14partition_implILS5_9ELb0ES3_jPlS8_PNS0_10empty_typeENS0_5tupleIJS8_S9_EEENSB_IJS8_SA_EEENS0_18inequality_wrapperIZN2at6native12_GLOBAL__N_124unique_dim_cuda_templateImEESt5tupleIJNSF_6TensorESK_SK_EERKSK_lbbbEUlllE0_EEPmJS9_EEE10hipError_tPvRmT3_T4_T5_T6_T7_T9_mT8_P12ihipStream_tbDpT10_ENKUlT_T0_E_clISt17integral_constantIbLb0EES1A_EEDaS15_S16_EUlS15_E_NS1_11comp_targetILNS1_3genE10ELNS1_11target_archE1200ELNS1_3gpuE4ELNS1_3repE0EEENS1_30default_config_static_selectorELNS0_4arch9wavefront6targetE1EEEvT1_,comdat
.Lfunc_end1700:
	.size	_ZN7rocprim17ROCPRIM_400000_NS6detail17trampoline_kernelINS0_14default_configENS1_25partition_config_selectorILNS1_17partition_subalgoE9EllbEEZZNS1_14partition_implILS5_9ELb0ES3_jPlS8_PNS0_10empty_typeENS0_5tupleIJS8_S9_EEENSB_IJS8_SA_EEENS0_18inequality_wrapperIZN2at6native12_GLOBAL__N_124unique_dim_cuda_templateImEESt5tupleIJNSF_6TensorESK_SK_EERKSK_lbbbEUlllE0_EEPmJS9_EEE10hipError_tPvRmT3_T4_T5_T6_T7_T9_mT8_P12ihipStream_tbDpT10_ENKUlT_T0_E_clISt17integral_constantIbLb0EES1A_EEDaS15_S16_EUlS15_E_NS1_11comp_targetILNS1_3genE10ELNS1_11target_archE1200ELNS1_3gpuE4ELNS1_3repE0EEENS1_30default_config_static_selectorELNS0_4arch9wavefront6targetE1EEEvT1_, .Lfunc_end1700-_ZN7rocprim17ROCPRIM_400000_NS6detail17trampoline_kernelINS0_14default_configENS1_25partition_config_selectorILNS1_17partition_subalgoE9EllbEEZZNS1_14partition_implILS5_9ELb0ES3_jPlS8_PNS0_10empty_typeENS0_5tupleIJS8_S9_EEENSB_IJS8_SA_EEENS0_18inequality_wrapperIZN2at6native12_GLOBAL__N_124unique_dim_cuda_templateImEESt5tupleIJNSF_6TensorESK_SK_EERKSK_lbbbEUlllE0_EEPmJS9_EEE10hipError_tPvRmT3_T4_T5_T6_T7_T9_mT8_P12ihipStream_tbDpT10_ENKUlT_T0_E_clISt17integral_constantIbLb0EES1A_EEDaS15_S16_EUlS15_E_NS1_11comp_targetILNS1_3genE10ELNS1_11target_archE1200ELNS1_3gpuE4ELNS1_3repE0EEENS1_30default_config_static_selectorELNS0_4arch9wavefront6targetE1EEEvT1_
                                        ; -- End function
	.set _ZN7rocprim17ROCPRIM_400000_NS6detail17trampoline_kernelINS0_14default_configENS1_25partition_config_selectorILNS1_17partition_subalgoE9EllbEEZZNS1_14partition_implILS5_9ELb0ES3_jPlS8_PNS0_10empty_typeENS0_5tupleIJS8_S9_EEENSB_IJS8_SA_EEENS0_18inequality_wrapperIZN2at6native12_GLOBAL__N_124unique_dim_cuda_templateImEESt5tupleIJNSF_6TensorESK_SK_EERKSK_lbbbEUlllE0_EEPmJS9_EEE10hipError_tPvRmT3_T4_T5_T6_T7_T9_mT8_P12ihipStream_tbDpT10_ENKUlT_T0_E_clISt17integral_constantIbLb0EES1A_EEDaS15_S16_EUlS15_E_NS1_11comp_targetILNS1_3genE10ELNS1_11target_archE1200ELNS1_3gpuE4ELNS1_3repE0EEENS1_30default_config_static_selectorELNS0_4arch9wavefront6targetE1EEEvT1_.num_vgpr, 0
	.set _ZN7rocprim17ROCPRIM_400000_NS6detail17trampoline_kernelINS0_14default_configENS1_25partition_config_selectorILNS1_17partition_subalgoE9EllbEEZZNS1_14partition_implILS5_9ELb0ES3_jPlS8_PNS0_10empty_typeENS0_5tupleIJS8_S9_EEENSB_IJS8_SA_EEENS0_18inequality_wrapperIZN2at6native12_GLOBAL__N_124unique_dim_cuda_templateImEESt5tupleIJNSF_6TensorESK_SK_EERKSK_lbbbEUlllE0_EEPmJS9_EEE10hipError_tPvRmT3_T4_T5_T6_T7_T9_mT8_P12ihipStream_tbDpT10_ENKUlT_T0_E_clISt17integral_constantIbLb0EES1A_EEDaS15_S16_EUlS15_E_NS1_11comp_targetILNS1_3genE10ELNS1_11target_archE1200ELNS1_3gpuE4ELNS1_3repE0EEENS1_30default_config_static_selectorELNS0_4arch9wavefront6targetE1EEEvT1_.num_agpr, 0
	.set _ZN7rocprim17ROCPRIM_400000_NS6detail17trampoline_kernelINS0_14default_configENS1_25partition_config_selectorILNS1_17partition_subalgoE9EllbEEZZNS1_14partition_implILS5_9ELb0ES3_jPlS8_PNS0_10empty_typeENS0_5tupleIJS8_S9_EEENSB_IJS8_SA_EEENS0_18inequality_wrapperIZN2at6native12_GLOBAL__N_124unique_dim_cuda_templateImEESt5tupleIJNSF_6TensorESK_SK_EERKSK_lbbbEUlllE0_EEPmJS9_EEE10hipError_tPvRmT3_T4_T5_T6_T7_T9_mT8_P12ihipStream_tbDpT10_ENKUlT_T0_E_clISt17integral_constantIbLb0EES1A_EEDaS15_S16_EUlS15_E_NS1_11comp_targetILNS1_3genE10ELNS1_11target_archE1200ELNS1_3gpuE4ELNS1_3repE0EEENS1_30default_config_static_selectorELNS0_4arch9wavefront6targetE1EEEvT1_.numbered_sgpr, 0
	.set _ZN7rocprim17ROCPRIM_400000_NS6detail17trampoline_kernelINS0_14default_configENS1_25partition_config_selectorILNS1_17partition_subalgoE9EllbEEZZNS1_14partition_implILS5_9ELb0ES3_jPlS8_PNS0_10empty_typeENS0_5tupleIJS8_S9_EEENSB_IJS8_SA_EEENS0_18inequality_wrapperIZN2at6native12_GLOBAL__N_124unique_dim_cuda_templateImEESt5tupleIJNSF_6TensorESK_SK_EERKSK_lbbbEUlllE0_EEPmJS9_EEE10hipError_tPvRmT3_T4_T5_T6_T7_T9_mT8_P12ihipStream_tbDpT10_ENKUlT_T0_E_clISt17integral_constantIbLb0EES1A_EEDaS15_S16_EUlS15_E_NS1_11comp_targetILNS1_3genE10ELNS1_11target_archE1200ELNS1_3gpuE4ELNS1_3repE0EEENS1_30default_config_static_selectorELNS0_4arch9wavefront6targetE1EEEvT1_.num_named_barrier, 0
	.set _ZN7rocprim17ROCPRIM_400000_NS6detail17trampoline_kernelINS0_14default_configENS1_25partition_config_selectorILNS1_17partition_subalgoE9EllbEEZZNS1_14partition_implILS5_9ELb0ES3_jPlS8_PNS0_10empty_typeENS0_5tupleIJS8_S9_EEENSB_IJS8_SA_EEENS0_18inequality_wrapperIZN2at6native12_GLOBAL__N_124unique_dim_cuda_templateImEESt5tupleIJNSF_6TensorESK_SK_EERKSK_lbbbEUlllE0_EEPmJS9_EEE10hipError_tPvRmT3_T4_T5_T6_T7_T9_mT8_P12ihipStream_tbDpT10_ENKUlT_T0_E_clISt17integral_constantIbLb0EES1A_EEDaS15_S16_EUlS15_E_NS1_11comp_targetILNS1_3genE10ELNS1_11target_archE1200ELNS1_3gpuE4ELNS1_3repE0EEENS1_30default_config_static_selectorELNS0_4arch9wavefront6targetE1EEEvT1_.private_seg_size, 0
	.set _ZN7rocprim17ROCPRIM_400000_NS6detail17trampoline_kernelINS0_14default_configENS1_25partition_config_selectorILNS1_17partition_subalgoE9EllbEEZZNS1_14partition_implILS5_9ELb0ES3_jPlS8_PNS0_10empty_typeENS0_5tupleIJS8_S9_EEENSB_IJS8_SA_EEENS0_18inequality_wrapperIZN2at6native12_GLOBAL__N_124unique_dim_cuda_templateImEESt5tupleIJNSF_6TensorESK_SK_EERKSK_lbbbEUlllE0_EEPmJS9_EEE10hipError_tPvRmT3_T4_T5_T6_T7_T9_mT8_P12ihipStream_tbDpT10_ENKUlT_T0_E_clISt17integral_constantIbLb0EES1A_EEDaS15_S16_EUlS15_E_NS1_11comp_targetILNS1_3genE10ELNS1_11target_archE1200ELNS1_3gpuE4ELNS1_3repE0EEENS1_30default_config_static_selectorELNS0_4arch9wavefront6targetE1EEEvT1_.uses_vcc, 0
	.set _ZN7rocprim17ROCPRIM_400000_NS6detail17trampoline_kernelINS0_14default_configENS1_25partition_config_selectorILNS1_17partition_subalgoE9EllbEEZZNS1_14partition_implILS5_9ELb0ES3_jPlS8_PNS0_10empty_typeENS0_5tupleIJS8_S9_EEENSB_IJS8_SA_EEENS0_18inequality_wrapperIZN2at6native12_GLOBAL__N_124unique_dim_cuda_templateImEESt5tupleIJNSF_6TensorESK_SK_EERKSK_lbbbEUlllE0_EEPmJS9_EEE10hipError_tPvRmT3_T4_T5_T6_T7_T9_mT8_P12ihipStream_tbDpT10_ENKUlT_T0_E_clISt17integral_constantIbLb0EES1A_EEDaS15_S16_EUlS15_E_NS1_11comp_targetILNS1_3genE10ELNS1_11target_archE1200ELNS1_3gpuE4ELNS1_3repE0EEENS1_30default_config_static_selectorELNS0_4arch9wavefront6targetE1EEEvT1_.uses_flat_scratch, 0
	.set _ZN7rocprim17ROCPRIM_400000_NS6detail17trampoline_kernelINS0_14default_configENS1_25partition_config_selectorILNS1_17partition_subalgoE9EllbEEZZNS1_14partition_implILS5_9ELb0ES3_jPlS8_PNS0_10empty_typeENS0_5tupleIJS8_S9_EEENSB_IJS8_SA_EEENS0_18inequality_wrapperIZN2at6native12_GLOBAL__N_124unique_dim_cuda_templateImEESt5tupleIJNSF_6TensorESK_SK_EERKSK_lbbbEUlllE0_EEPmJS9_EEE10hipError_tPvRmT3_T4_T5_T6_T7_T9_mT8_P12ihipStream_tbDpT10_ENKUlT_T0_E_clISt17integral_constantIbLb0EES1A_EEDaS15_S16_EUlS15_E_NS1_11comp_targetILNS1_3genE10ELNS1_11target_archE1200ELNS1_3gpuE4ELNS1_3repE0EEENS1_30default_config_static_selectorELNS0_4arch9wavefront6targetE1EEEvT1_.has_dyn_sized_stack, 0
	.set _ZN7rocprim17ROCPRIM_400000_NS6detail17trampoline_kernelINS0_14default_configENS1_25partition_config_selectorILNS1_17partition_subalgoE9EllbEEZZNS1_14partition_implILS5_9ELb0ES3_jPlS8_PNS0_10empty_typeENS0_5tupleIJS8_S9_EEENSB_IJS8_SA_EEENS0_18inequality_wrapperIZN2at6native12_GLOBAL__N_124unique_dim_cuda_templateImEESt5tupleIJNSF_6TensorESK_SK_EERKSK_lbbbEUlllE0_EEPmJS9_EEE10hipError_tPvRmT3_T4_T5_T6_T7_T9_mT8_P12ihipStream_tbDpT10_ENKUlT_T0_E_clISt17integral_constantIbLb0EES1A_EEDaS15_S16_EUlS15_E_NS1_11comp_targetILNS1_3genE10ELNS1_11target_archE1200ELNS1_3gpuE4ELNS1_3repE0EEENS1_30default_config_static_selectorELNS0_4arch9wavefront6targetE1EEEvT1_.has_recursion, 0
	.set _ZN7rocprim17ROCPRIM_400000_NS6detail17trampoline_kernelINS0_14default_configENS1_25partition_config_selectorILNS1_17partition_subalgoE9EllbEEZZNS1_14partition_implILS5_9ELb0ES3_jPlS8_PNS0_10empty_typeENS0_5tupleIJS8_S9_EEENSB_IJS8_SA_EEENS0_18inequality_wrapperIZN2at6native12_GLOBAL__N_124unique_dim_cuda_templateImEESt5tupleIJNSF_6TensorESK_SK_EERKSK_lbbbEUlllE0_EEPmJS9_EEE10hipError_tPvRmT3_T4_T5_T6_T7_T9_mT8_P12ihipStream_tbDpT10_ENKUlT_T0_E_clISt17integral_constantIbLb0EES1A_EEDaS15_S16_EUlS15_E_NS1_11comp_targetILNS1_3genE10ELNS1_11target_archE1200ELNS1_3gpuE4ELNS1_3repE0EEENS1_30default_config_static_selectorELNS0_4arch9wavefront6targetE1EEEvT1_.has_indirect_call, 0
	.section	.AMDGPU.csdata,"",@progbits
; Kernel info:
; codeLenInByte = 0
; TotalNumSgprs: 6
; NumVgprs: 0
; NumAgprs: 0
; TotalNumVgprs: 0
; ScratchSize: 0
; MemoryBound: 0
; FloatMode: 240
; IeeeMode: 1
; LDSByteSize: 0 bytes/workgroup (compile time only)
; SGPRBlocks: 0
; VGPRBlocks: 0
; NumSGPRsForWavesPerEU: 6
; NumVGPRsForWavesPerEU: 1
; AccumOffset: 4
; Occupancy: 8
; WaveLimiterHint : 0
; COMPUTE_PGM_RSRC2:SCRATCH_EN: 0
; COMPUTE_PGM_RSRC2:USER_SGPR: 2
; COMPUTE_PGM_RSRC2:TRAP_HANDLER: 0
; COMPUTE_PGM_RSRC2:TGID_X_EN: 1
; COMPUTE_PGM_RSRC2:TGID_Y_EN: 0
; COMPUTE_PGM_RSRC2:TGID_Z_EN: 0
; COMPUTE_PGM_RSRC2:TIDIG_COMP_CNT: 0
; COMPUTE_PGM_RSRC3_GFX90A:ACCUM_OFFSET: 0
; COMPUTE_PGM_RSRC3_GFX90A:TG_SPLIT: 0
	.section	.text._ZN7rocprim17ROCPRIM_400000_NS6detail17trampoline_kernelINS0_14default_configENS1_25partition_config_selectorILNS1_17partition_subalgoE9EllbEEZZNS1_14partition_implILS5_9ELb0ES3_jPlS8_PNS0_10empty_typeENS0_5tupleIJS8_S9_EEENSB_IJS8_SA_EEENS0_18inequality_wrapperIZN2at6native12_GLOBAL__N_124unique_dim_cuda_templateImEESt5tupleIJNSF_6TensorESK_SK_EERKSK_lbbbEUlllE0_EEPmJS9_EEE10hipError_tPvRmT3_T4_T5_T6_T7_T9_mT8_P12ihipStream_tbDpT10_ENKUlT_T0_E_clISt17integral_constantIbLb0EES1A_EEDaS15_S16_EUlS15_E_NS1_11comp_targetILNS1_3genE9ELNS1_11target_archE1100ELNS1_3gpuE3ELNS1_3repE0EEENS1_30default_config_static_selectorELNS0_4arch9wavefront6targetE1EEEvT1_,"axG",@progbits,_ZN7rocprim17ROCPRIM_400000_NS6detail17trampoline_kernelINS0_14default_configENS1_25partition_config_selectorILNS1_17partition_subalgoE9EllbEEZZNS1_14partition_implILS5_9ELb0ES3_jPlS8_PNS0_10empty_typeENS0_5tupleIJS8_S9_EEENSB_IJS8_SA_EEENS0_18inequality_wrapperIZN2at6native12_GLOBAL__N_124unique_dim_cuda_templateImEESt5tupleIJNSF_6TensorESK_SK_EERKSK_lbbbEUlllE0_EEPmJS9_EEE10hipError_tPvRmT3_T4_T5_T6_T7_T9_mT8_P12ihipStream_tbDpT10_ENKUlT_T0_E_clISt17integral_constantIbLb0EES1A_EEDaS15_S16_EUlS15_E_NS1_11comp_targetILNS1_3genE9ELNS1_11target_archE1100ELNS1_3gpuE3ELNS1_3repE0EEENS1_30default_config_static_selectorELNS0_4arch9wavefront6targetE1EEEvT1_,comdat
	.globl	_ZN7rocprim17ROCPRIM_400000_NS6detail17trampoline_kernelINS0_14default_configENS1_25partition_config_selectorILNS1_17partition_subalgoE9EllbEEZZNS1_14partition_implILS5_9ELb0ES3_jPlS8_PNS0_10empty_typeENS0_5tupleIJS8_S9_EEENSB_IJS8_SA_EEENS0_18inequality_wrapperIZN2at6native12_GLOBAL__N_124unique_dim_cuda_templateImEESt5tupleIJNSF_6TensorESK_SK_EERKSK_lbbbEUlllE0_EEPmJS9_EEE10hipError_tPvRmT3_T4_T5_T6_T7_T9_mT8_P12ihipStream_tbDpT10_ENKUlT_T0_E_clISt17integral_constantIbLb0EES1A_EEDaS15_S16_EUlS15_E_NS1_11comp_targetILNS1_3genE9ELNS1_11target_archE1100ELNS1_3gpuE3ELNS1_3repE0EEENS1_30default_config_static_selectorELNS0_4arch9wavefront6targetE1EEEvT1_ ; -- Begin function _ZN7rocprim17ROCPRIM_400000_NS6detail17trampoline_kernelINS0_14default_configENS1_25partition_config_selectorILNS1_17partition_subalgoE9EllbEEZZNS1_14partition_implILS5_9ELb0ES3_jPlS8_PNS0_10empty_typeENS0_5tupleIJS8_S9_EEENSB_IJS8_SA_EEENS0_18inequality_wrapperIZN2at6native12_GLOBAL__N_124unique_dim_cuda_templateImEESt5tupleIJNSF_6TensorESK_SK_EERKSK_lbbbEUlllE0_EEPmJS9_EEE10hipError_tPvRmT3_T4_T5_T6_T7_T9_mT8_P12ihipStream_tbDpT10_ENKUlT_T0_E_clISt17integral_constantIbLb0EES1A_EEDaS15_S16_EUlS15_E_NS1_11comp_targetILNS1_3genE9ELNS1_11target_archE1100ELNS1_3gpuE3ELNS1_3repE0EEENS1_30default_config_static_selectorELNS0_4arch9wavefront6targetE1EEEvT1_
	.p2align	8
	.type	_ZN7rocprim17ROCPRIM_400000_NS6detail17trampoline_kernelINS0_14default_configENS1_25partition_config_selectorILNS1_17partition_subalgoE9EllbEEZZNS1_14partition_implILS5_9ELb0ES3_jPlS8_PNS0_10empty_typeENS0_5tupleIJS8_S9_EEENSB_IJS8_SA_EEENS0_18inequality_wrapperIZN2at6native12_GLOBAL__N_124unique_dim_cuda_templateImEESt5tupleIJNSF_6TensorESK_SK_EERKSK_lbbbEUlllE0_EEPmJS9_EEE10hipError_tPvRmT3_T4_T5_T6_T7_T9_mT8_P12ihipStream_tbDpT10_ENKUlT_T0_E_clISt17integral_constantIbLb0EES1A_EEDaS15_S16_EUlS15_E_NS1_11comp_targetILNS1_3genE9ELNS1_11target_archE1100ELNS1_3gpuE3ELNS1_3repE0EEENS1_30default_config_static_selectorELNS0_4arch9wavefront6targetE1EEEvT1_,@function
_ZN7rocprim17ROCPRIM_400000_NS6detail17trampoline_kernelINS0_14default_configENS1_25partition_config_selectorILNS1_17partition_subalgoE9EllbEEZZNS1_14partition_implILS5_9ELb0ES3_jPlS8_PNS0_10empty_typeENS0_5tupleIJS8_S9_EEENSB_IJS8_SA_EEENS0_18inequality_wrapperIZN2at6native12_GLOBAL__N_124unique_dim_cuda_templateImEESt5tupleIJNSF_6TensorESK_SK_EERKSK_lbbbEUlllE0_EEPmJS9_EEE10hipError_tPvRmT3_T4_T5_T6_T7_T9_mT8_P12ihipStream_tbDpT10_ENKUlT_T0_E_clISt17integral_constantIbLb0EES1A_EEDaS15_S16_EUlS15_E_NS1_11comp_targetILNS1_3genE9ELNS1_11target_archE1100ELNS1_3gpuE3ELNS1_3repE0EEENS1_30default_config_static_selectorELNS0_4arch9wavefront6targetE1EEEvT1_: ; @_ZN7rocprim17ROCPRIM_400000_NS6detail17trampoline_kernelINS0_14default_configENS1_25partition_config_selectorILNS1_17partition_subalgoE9EllbEEZZNS1_14partition_implILS5_9ELb0ES3_jPlS8_PNS0_10empty_typeENS0_5tupleIJS8_S9_EEENSB_IJS8_SA_EEENS0_18inequality_wrapperIZN2at6native12_GLOBAL__N_124unique_dim_cuda_templateImEESt5tupleIJNSF_6TensorESK_SK_EERKSK_lbbbEUlllE0_EEPmJS9_EEE10hipError_tPvRmT3_T4_T5_T6_T7_T9_mT8_P12ihipStream_tbDpT10_ENKUlT_T0_E_clISt17integral_constantIbLb0EES1A_EEDaS15_S16_EUlS15_E_NS1_11comp_targetILNS1_3genE9ELNS1_11target_archE1100ELNS1_3gpuE3ELNS1_3repE0EEENS1_30default_config_static_selectorELNS0_4arch9wavefront6targetE1EEEvT1_
; %bb.0:
	.section	.rodata,"a",@progbits
	.p2align	6, 0x0
	.amdhsa_kernel _ZN7rocprim17ROCPRIM_400000_NS6detail17trampoline_kernelINS0_14default_configENS1_25partition_config_selectorILNS1_17partition_subalgoE9EllbEEZZNS1_14partition_implILS5_9ELb0ES3_jPlS8_PNS0_10empty_typeENS0_5tupleIJS8_S9_EEENSB_IJS8_SA_EEENS0_18inequality_wrapperIZN2at6native12_GLOBAL__N_124unique_dim_cuda_templateImEESt5tupleIJNSF_6TensorESK_SK_EERKSK_lbbbEUlllE0_EEPmJS9_EEE10hipError_tPvRmT3_T4_T5_T6_T7_T9_mT8_P12ihipStream_tbDpT10_ENKUlT_T0_E_clISt17integral_constantIbLb0EES1A_EEDaS15_S16_EUlS15_E_NS1_11comp_targetILNS1_3genE9ELNS1_11target_archE1100ELNS1_3gpuE3ELNS1_3repE0EEENS1_30default_config_static_selectorELNS0_4arch9wavefront6targetE1EEEvT1_
		.amdhsa_group_segment_fixed_size 0
		.amdhsa_private_segment_fixed_size 0
		.amdhsa_kernarg_size 120
		.amdhsa_user_sgpr_count 2
		.amdhsa_user_sgpr_dispatch_ptr 0
		.amdhsa_user_sgpr_queue_ptr 0
		.amdhsa_user_sgpr_kernarg_segment_ptr 1
		.amdhsa_user_sgpr_dispatch_id 0
		.amdhsa_user_sgpr_kernarg_preload_length 0
		.amdhsa_user_sgpr_kernarg_preload_offset 0
		.amdhsa_user_sgpr_private_segment_size 0
		.amdhsa_uses_dynamic_stack 0
		.amdhsa_enable_private_segment 0
		.amdhsa_system_sgpr_workgroup_id_x 1
		.amdhsa_system_sgpr_workgroup_id_y 0
		.amdhsa_system_sgpr_workgroup_id_z 0
		.amdhsa_system_sgpr_workgroup_info 0
		.amdhsa_system_vgpr_workitem_id 0
		.amdhsa_next_free_vgpr 1
		.amdhsa_next_free_sgpr 0
		.amdhsa_accum_offset 4
		.amdhsa_reserve_vcc 0
		.amdhsa_float_round_mode_32 0
		.amdhsa_float_round_mode_16_64 0
		.amdhsa_float_denorm_mode_32 3
		.amdhsa_float_denorm_mode_16_64 3
		.amdhsa_dx10_clamp 1
		.amdhsa_ieee_mode 1
		.amdhsa_fp16_overflow 0
		.amdhsa_tg_split 0
		.amdhsa_exception_fp_ieee_invalid_op 0
		.amdhsa_exception_fp_denorm_src 0
		.amdhsa_exception_fp_ieee_div_zero 0
		.amdhsa_exception_fp_ieee_overflow 0
		.amdhsa_exception_fp_ieee_underflow 0
		.amdhsa_exception_fp_ieee_inexact 0
		.amdhsa_exception_int_div_zero 0
	.end_amdhsa_kernel
	.section	.text._ZN7rocprim17ROCPRIM_400000_NS6detail17trampoline_kernelINS0_14default_configENS1_25partition_config_selectorILNS1_17partition_subalgoE9EllbEEZZNS1_14partition_implILS5_9ELb0ES3_jPlS8_PNS0_10empty_typeENS0_5tupleIJS8_S9_EEENSB_IJS8_SA_EEENS0_18inequality_wrapperIZN2at6native12_GLOBAL__N_124unique_dim_cuda_templateImEESt5tupleIJNSF_6TensorESK_SK_EERKSK_lbbbEUlllE0_EEPmJS9_EEE10hipError_tPvRmT3_T4_T5_T6_T7_T9_mT8_P12ihipStream_tbDpT10_ENKUlT_T0_E_clISt17integral_constantIbLb0EES1A_EEDaS15_S16_EUlS15_E_NS1_11comp_targetILNS1_3genE9ELNS1_11target_archE1100ELNS1_3gpuE3ELNS1_3repE0EEENS1_30default_config_static_selectorELNS0_4arch9wavefront6targetE1EEEvT1_,"axG",@progbits,_ZN7rocprim17ROCPRIM_400000_NS6detail17trampoline_kernelINS0_14default_configENS1_25partition_config_selectorILNS1_17partition_subalgoE9EllbEEZZNS1_14partition_implILS5_9ELb0ES3_jPlS8_PNS0_10empty_typeENS0_5tupleIJS8_S9_EEENSB_IJS8_SA_EEENS0_18inequality_wrapperIZN2at6native12_GLOBAL__N_124unique_dim_cuda_templateImEESt5tupleIJNSF_6TensorESK_SK_EERKSK_lbbbEUlllE0_EEPmJS9_EEE10hipError_tPvRmT3_T4_T5_T6_T7_T9_mT8_P12ihipStream_tbDpT10_ENKUlT_T0_E_clISt17integral_constantIbLb0EES1A_EEDaS15_S16_EUlS15_E_NS1_11comp_targetILNS1_3genE9ELNS1_11target_archE1100ELNS1_3gpuE3ELNS1_3repE0EEENS1_30default_config_static_selectorELNS0_4arch9wavefront6targetE1EEEvT1_,comdat
.Lfunc_end1701:
	.size	_ZN7rocprim17ROCPRIM_400000_NS6detail17trampoline_kernelINS0_14default_configENS1_25partition_config_selectorILNS1_17partition_subalgoE9EllbEEZZNS1_14partition_implILS5_9ELb0ES3_jPlS8_PNS0_10empty_typeENS0_5tupleIJS8_S9_EEENSB_IJS8_SA_EEENS0_18inequality_wrapperIZN2at6native12_GLOBAL__N_124unique_dim_cuda_templateImEESt5tupleIJNSF_6TensorESK_SK_EERKSK_lbbbEUlllE0_EEPmJS9_EEE10hipError_tPvRmT3_T4_T5_T6_T7_T9_mT8_P12ihipStream_tbDpT10_ENKUlT_T0_E_clISt17integral_constantIbLb0EES1A_EEDaS15_S16_EUlS15_E_NS1_11comp_targetILNS1_3genE9ELNS1_11target_archE1100ELNS1_3gpuE3ELNS1_3repE0EEENS1_30default_config_static_selectorELNS0_4arch9wavefront6targetE1EEEvT1_, .Lfunc_end1701-_ZN7rocprim17ROCPRIM_400000_NS6detail17trampoline_kernelINS0_14default_configENS1_25partition_config_selectorILNS1_17partition_subalgoE9EllbEEZZNS1_14partition_implILS5_9ELb0ES3_jPlS8_PNS0_10empty_typeENS0_5tupleIJS8_S9_EEENSB_IJS8_SA_EEENS0_18inequality_wrapperIZN2at6native12_GLOBAL__N_124unique_dim_cuda_templateImEESt5tupleIJNSF_6TensorESK_SK_EERKSK_lbbbEUlllE0_EEPmJS9_EEE10hipError_tPvRmT3_T4_T5_T6_T7_T9_mT8_P12ihipStream_tbDpT10_ENKUlT_T0_E_clISt17integral_constantIbLb0EES1A_EEDaS15_S16_EUlS15_E_NS1_11comp_targetILNS1_3genE9ELNS1_11target_archE1100ELNS1_3gpuE3ELNS1_3repE0EEENS1_30default_config_static_selectorELNS0_4arch9wavefront6targetE1EEEvT1_
                                        ; -- End function
	.set _ZN7rocprim17ROCPRIM_400000_NS6detail17trampoline_kernelINS0_14default_configENS1_25partition_config_selectorILNS1_17partition_subalgoE9EllbEEZZNS1_14partition_implILS5_9ELb0ES3_jPlS8_PNS0_10empty_typeENS0_5tupleIJS8_S9_EEENSB_IJS8_SA_EEENS0_18inequality_wrapperIZN2at6native12_GLOBAL__N_124unique_dim_cuda_templateImEESt5tupleIJNSF_6TensorESK_SK_EERKSK_lbbbEUlllE0_EEPmJS9_EEE10hipError_tPvRmT3_T4_T5_T6_T7_T9_mT8_P12ihipStream_tbDpT10_ENKUlT_T0_E_clISt17integral_constantIbLb0EES1A_EEDaS15_S16_EUlS15_E_NS1_11comp_targetILNS1_3genE9ELNS1_11target_archE1100ELNS1_3gpuE3ELNS1_3repE0EEENS1_30default_config_static_selectorELNS0_4arch9wavefront6targetE1EEEvT1_.num_vgpr, 0
	.set _ZN7rocprim17ROCPRIM_400000_NS6detail17trampoline_kernelINS0_14default_configENS1_25partition_config_selectorILNS1_17partition_subalgoE9EllbEEZZNS1_14partition_implILS5_9ELb0ES3_jPlS8_PNS0_10empty_typeENS0_5tupleIJS8_S9_EEENSB_IJS8_SA_EEENS0_18inequality_wrapperIZN2at6native12_GLOBAL__N_124unique_dim_cuda_templateImEESt5tupleIJNSF_6TensorESK_SK_EERKSK_lbbbEUlllE0_EEPmJS9_EEE10hipError_tPvRmT3_T4_T5_T6_T7_T9_mT8_P12ihipStream_tbDpT10_ENKUlT_T0_E_clISt17integral_constantIbLb0EES1A_EEDaS15_S16_EUlS15_E_NS1_11comp_targetILNS1_3genE9ELNS1_11target_archE1100ELNS1_3gpuE3ELNS1_3repE0EEENS1_30default_config_static_selectorELNS0_4arch9wavefront6targetE1EEEvT1_.num_agpr, 0
	.set _ZN7rocprim17ROCPRIM_400000_NS6detail17trampoline_kernelINS0_14default_configENS1_25partition_config_selectorILNS1_17partition_subalgoE9EllbEEZZNS1_14partition_implILS5_9ELb0ES3_jPlS8_PNS0_10empty_typeENS0_5tupleIJS8_S9_EEENSB_IJS8_SA_EEENS0_18inequality_wrapperIZN2at6native12_GLOBAL__N_124unique_dim_cuda_templateImEESt5tupleIJNSF_6TensorESK_SK_EERKSK_lbbbEUlllE0_EEPmJS9_EEE10hipError_tPvRmT3_T4_T5_T6_T7_T9_mT8_P12ihipStream_tbDpT10_ENKUlT_T0_E_clISt17integral_constantIbLb0EES1A_EEDaS15_S16_EUlS15_E_NS1_11comp_targetILNS1_3genE9ELNS1_11target_archE1100ELNS1_3gpuE3ELNS1_3repE0EEENS1_30default_config_static_selectorELNS0_4arch9wavefront6targetE1EEEvT1_.numbered_sgpr, 0
	.set _ZN7rocprim17ROCPRIM_400000_NS6detail17trampoline_kernelINS0_14default_configENS1_25partition_config_selectorILNS1_17partition_subalgoE9EllbEEZZNS1_14partition_implILS5_9ELb0ES3_jPlS8_PNS0_10empty_typeENS0_5tupleIJS8_S9_EEENSB_IJS8_SA_EEENS0_18inequality_wrapperIZN2at6native12_GLOBAL__N_124unique_dim_cuda_templateImEESt5tupleIJNSF_6TensorESK_SK_EERKSK_lbbbEUlllE0_EEPmJS9_EEE10hipError_tPvRmT3_T4_T5_T6_T7_T9_mT8_P12ihipStream_tbDpT10_ENKUlT_T0_E_clISt17integral_constantIbLb0EES1A_EEDaS15_S16_EUlS15_E_NS1_11comp_targetILNS1_3genE9ELNS1_11target_archE1100ELNS1_3gpuE3ELNS1_3repE0EEENS1_30default_config_static_selectorELNS0_4arch9wavefront6targetE1EEEvT1_.num_named_barrier, 0
	.set _ZN7rocprim17ROCPRIM_400000_NS6detail17trampoline_kernelINS0_14default_configENS1_25partition_config_selectorILNS1_17partition_subalgoE9EllbEEZZNS1_14partition_implILS5_9ELb0ES3_jPlS8_PNS0_10empty_typeENS0_5tupleIJS8_S9_EEENSB_IJS8_SA_EEENS0_18inequality_wrapperIZN2at6native12_GLOBAL__N_124unique_dim_cuda_templateImEESt5tupleIJNSF_6TensorESK_SK_EERKSK_lbbbEUlllE0_EEPmJS9_EEE10hipError_tPvRmT3_T4_T5_T6_T7_T9_mT8_P12ihipStream_tbDpT10_ENKUlT_T0_E_clISt17integral_constantIbLb0EES1A_EEDaS15_S16_EUlS15_E_NS1_11comp_targetILNS1_3genE9ELNS1_11target_archE1100ELNS1_3gpuE3ELNS1_3repE0EEENS1_30default_config_static_selectorELNS0_4arch9wavefront6targetE1EEEvT1_.private_seg_size, 0
	.set _ZN7rocprim17ROCPRIM_400000_NS6detail17trampoline_kernelINS0_14default_configENS1_25partition_config_selectorILNS1_17partition_subalgoE9EllbEEZZNS1_14partition_implILS5_9ELb0ES3_jPlS8_PNS0_10empty_typeENS0_5tupleIJS8_S9_EEENSB_IJS8_SA_EEENS0_18inequality_wrapperIZN2at6native12_GLOBAL__N_124unique_dim_cuda_templateImEESt5tupleIJNSF_6TensorESK_SK_EERKSK_lbbbEUlllE0_EEPmJS9_EEE10hipError_tPvRmT3_T4_T5_T6_T7_T9_mT8_P12ihipStream_tbDpT10_ENKUlT_T0_E_clISt17integral_constantIbLb0EES1A_EEDaS15_S16_EUlS15_E_NS1_11comp_targetILNS1_3genE9ELNS1_11target_archE1100ELNS1_3gpuE3ELNS1_3repE0EEENS1_30default_config_static_selectorELNS0_4arch9wavefront6targetE1EEEvT1_.uses_vcc, 0
	.set _ZN7rocprim17ROCPRIM_400000_NS6detail17trampoline_kernelINS0_14default_configENS1_25partition_config_selectorILNS1_17partition_subalgoE9EllbEEZZNS1_14partition_implILS5_9ELb0ES3_jPlS8_PNS0_10empty_typeENS0_5tupleIJS8_S9_EEENSB_IJS8_SA_EEENS0_18inequality_wrapperIZN2at6native12_GLOBAL__N_124unique_dim_cuda_templateImEESt5tupleIJNSF_6TensorESK_SK_EERKSK_lbbbEUlllE0_EEPmJS9_EEE10hipError_tPvRmT3_T4_T5_T6_T7_T9_mT8_P12ihipStream_tbDpT10_ENKUlT_T0_E_clISt17integral_constantIbLb0EES1A_EEDaS15_S16_EUlS15_E_NS1_11comp_targetILNS1_3genE9ELNS1_11target_archE1100ELNS1_3gpuE3ELNS1_3repE0EEENS1_30default_config_static_selectorELNS0_4arch9wavefront6targetE1EEEvT1_.uses_flat_scratch, 0
	.set _ZN7rocprim17ROCPRIM_400000_NS6detail17trampoline_kernelINS0_14default_configENS1_25partition_config_selectorILNS1_17partition_subalgoE9EllbEEZZNS1_14partition_implILS5_9ELb0ES3_jPlS8_PNS0_10empty_typeENS0_5tupleIJS8_S9_EEENSB_IJS8_SA_EEENS0_18inequality_wrapperIZN2at6native12_GLOBAL__N_124unique_dim_cuda_templateImEESt5tupleIJNSF_6TensorESK_SK_EERKSK_lbbbEUlllE0_EEPmJS9_EEE10hipError_tPvRmT3_T4_T5_T6_T7_T9_mT8_P12ihipStream_tbDpT10_ENKUlT_T0_E_clISt17integral_constantIbLb0EES1A_EEDaS15_S16_EUlS15_E_NS1_11comp_targetILNS1_3genE9ELNS1_11target_archE1100ELNS1_3gpuE3ELNS1_3repE0EEENS1_30default_config_static_selectorELNS0_4arch9wavefront6targetE1EEEvT1_.has_dyn_sized_stack, 0
	.set _ZN7rocprim17ROCPRIM_400000_NS6detail17trampoline_kernelINS0_14default_configENS1_25partition_config_selectorILNS1_17partition_subalgoE9EllbEEZZNS1_14partition_implILS5_9ELb0ES3_jPlS8_PNS0_10empty_typeENS0_5tupleIJS8_S9_EEENSB_IJS8_SA_EEENS0_18inequality_wrapperIZN2at6native12_GLOBAL__N_124unique_dim_cuda_templateImEESt5tupleIJNSF_6TensorESK_SK_EERKSK_lbbbEUlllE0_EEPmJS9_EEE10hipError_tPvRmT3_T4_T5_T6_T7_T9_mT8_P12ihipStream_tbDpT10_ENKUlT_T0_E_clISt17integral_constantIbLb0EES1A_EEDaS15_S16_EUlS15_E_NS1_11comp_targetILNS1_3genE9ELNS1_11target_archE1100ELNS1_3gpuE3ELNS1_3repE0EEENS1_30default_config_static_selectorELNS0_4arch9wavefront6targetE1EEEvT1_.has_recursion, 0
	.set _ZN7rocprim17ROCPRIM_400000_NS6detail17trampoline_kernelINS0_14default_configENS1_25partition_config_selectorILNS1_17partition_subalgoE9EllbEEZZNS1_14partition_implILS5_9ELb0ES3_jPlS8_PNS0_10empty_typeENS0_5tupleIJS8_S9_EEENSB_IJS8_SA_EEENS0_18inequality_wrapperIZN2at6native12_GLOBAL__N_124unique_dim_cuda_templateImEESt5tupleIJNSF_6TensorESK_SK_EERKSK_lbbbEUlllE0_EEPmJS9_EEE10hipError_tPvRmT3_T4_T5_T6_T7_T9_mT8_P12ihipStream_tbDpT10_ENKUlT_T0_E_clISt17integral_constantIbLb0EES1A_EEDaS15_S16_EUlS15_E_NS1_11comp_targetILNS1_3genE9ELNS1_11target_archE1100ELNS1_3gpuE3ELNS1_3repE0EEENS1_30default_config_static_selectorELNS0_4arch9wavefront6targetE1EEEvT1_.has_indirect_call, 0
	.section	.AMDGPU.csdata,"",@progbits
; Kernel info:
; codeLenInByte = 0
; TotalNumSgprs: 6
; NumVgprs: 0
; NumAgprs: 0
; TotalNumVgprs: 0
; ScratchSize: 0
; MemoryBound: 0
; FloatMode: 240
; IeeeMode: 1
; LDSByteSize: 0 bytes/workgroup (compile time only)
; SGPRBlocks: 0
; VGPRBlocks: 0
; NumSGPRsForWavesPerEU: 6
; NumVGPRsForWavesPerEU: 1
; AccumOffset: 4
; Occupancy: 8
; WaveLimiterHint : 0
; COMPUTE_PGM_RSRC2:SCRATCH_EN: 0
; COMPUTE_PGM_RSRC2:USER_SGPR: 2
; COMPUTE_PGM_RSRC2:TRAP_HANDLER: 0
; COMPUTE_PGM_RSRC2:TGID_X_EN: 1
; COMPUTE_PGM_RSRC2:TGID_Y_EN: 0
; COMPUTE_PGM_RSRC2:TGID_Z_EN: 0
; COMPUTE_PGM_RSRC2:TIDIG_COMP_CNT: 0
; COMPUTE_PGM_RSRC3_GFX90A:ACCUM_OFFSET: 0
; COMPUTE_PGM_RSRC3_GFX90A:TG_SPLIT: 0
	.section	.text._ZN7rocprim17ROCPRIM_400000_NS6detail17trampoline_kernelINS0_14default_configENS1_25partition_config_selectorILNS1_17partition_subalgoE9EllbEEZZNS1_14partition_implILS5_9ELb0ES3_jPlS8_PNS0_10empty_typeENS0_5tupleIJS8_S9_EEENSB_IJS8_SA_EEENS0_18inequality_wrapperIZN2at6native12_GLOBAL__N_124unique_dim_cuda_templateImEESt5tupleIJNSF_6TensorESK_SK_EERKSK_lbbbEUlllE0_EEPmJS9_EEE10hipError_tPvRmT3_T4_T5_T6_T7_T9_mT8_P12ihipStream_tbDpT10_ENKUlT_T0_E_clISt17integral_constantIbLb0EES1A_EEDaS15_S16_EUlS15_E_NS1_11comp_targetILNS1_3genE8ELNS1_11target_archE1030ELNS1_3gpuE2ELNS1_3repE0EEENS1_30default_config_static_selectorELNS0_4arch9wavefront6targetE1EEEvT1_,"axG",@progbits,_ZN7rocprim17ROCPRIM_400000_NS6detail17trampoline_kernelINS0_14default_configENS1_25partition_config_selectorILNS1_17partition_subalgoE9EllbEEZZNS1_14partition_implILS5_9ELb0ES3_jPlS8_PNS0_10empty_typeENS0_5tupleIJS8_S9_EEENSB_IJS8_SA_EEENS0_18inequality_wrapperIZN2at6native12_GLOBAL__N_124unique_dim_cuda_templateImEESt5tupleIJNSF_6TensorESK_SK_EERKSK_lbbbEUlllE0_EEPmJS9_EEE10hipError_tPvRmT3_T4_T5_T6_T7_T9_mT8_P12ihipStream_tbDpT10_ENKUlT_T0_E_clISt17integral_constantIbLb0EES1A_EEDaS15_S16_EUlS15_E_NS1_11comp_targetILNS1_3genE8ELNS1_11target_archE1030ELNS1_3gpuE2ELNS1_3repE0EEENS1_30default_config_static_selectorELNS0_4arch9wavefront6targetE1EEEvT1_,comdat
	.globl	_ZN7rocprim17ROCPRIM_400000_NS6detail17trampoline_kernelINS0_14default_configENS1_25partition_config_selectorILNS1_17partition_subalgoE9EllbEEZZNS1_14partition_implILS5_9ELb0ES3_jPlS8_PNS0_10empty_typeENS0_5tupleIJS8_S9_EEENSB_IJS8_SA_EEENS0_18inequality_wrapperIZN2at6native12_GLOBAL__N_124unique_dim_cuda_templateImEESt5tupleIJNSF_6TensorESK_SK_EERKSK_lbbbEUlllE0_EEPmJS9_EEE10hipError_tPvRmT3_T4_T5_T6_T7_T9_mT8_P12ihipStream_tbDpT10_ENKUlT_T0_E_clISt17integral_constantIbLb0EES1A_EEDaS15_S16_EUlS15_E_NS1_11comp_targetILNS1_3genE8ELNS1_11target_archE1030ELNS1_3gpuE2ELNS1_3repE0EEENS1_30default_config_static_selectorELNS0_4arch9wavefront6targetE1EEEvT1_ ; -- Begin function _ZN7rocprim17ROCPRIM_400000_NS6detail17trampoline_kernelINS0_14default_configENS1_25partition_config_selectorILNS1_17partition_subalgoE9EllbEEZZNS1_14partition_implILS5_9ELb0ES3_jPlS8_PNS0_10empty_typeENS0_5tupleIJS8_S9_EEENSB_IJS8_SA_EEENS0_18inequality_wrapperIZN2at6native12_GLOBAL__N_124unique_dim_cuda_templateImEESt5tupleIJNSF_6TensorESK_SK_EERKSK_lbbbEUlllE0_EEPmJS9_EEE10hipError_tPvRmT3_T4_T5_T6_T7_T9_mT8_P12ihipStream_tbDpT10_ENKUlT_T0_E_clISt17integral_constantIbLb0EES1A_EEDaS15_S16_EUlS15_E_NS1_11comp_targetILNS1_3genE8ELNS1_11target_archE1030ELNS1_3gpuE2ELNS1_3repE0EEENS1_30default_config_static_selectorELNS0_4arch9wavefront6targetE1EEEvT1_
	.p2align	8
	.type	_ZN7rocprim17ROCPRIM_400000_NS6detail17trampoline_kernelINS0_14default_configENS1_25partition_config_selectorILNS1_17partition_subalgoE9EllbEEZZNS1_14partition_implILS5_9ELb0ES3_jPlS8_PNS0_10empty_typeENS0_5tupleIJS8_S9_EEENSB_IJS8_SA_EEENS0_18inequality_wrapperIZN2at6native12_GLOBAL__N_124unique_dim_cuda_templateImEESt5tupleIJNSF_6TensorESK_SK_EERKSK_lbbbEUlllE0_EEPmJS9_EEE10hipError_tPvRmT3_T4_T5_T6_T7_T9_mT8_P12ihipStream_tbDpT10_ENKUlT_T0_E_clISt17integral_constantIbLb0EES1A_EEDaS15_S16_EUlS15_E_NS1_11comp_targetILNS1_3genE8ELNS1_11target_archE1030ELNS1_3gpuE2ELNS1_3repE0EEENS1_30default_config_static_selectorELNS0_4arch9wavefront6targetE1EEEvT1_,@function
_ZN7rocprim17ROCPRIM_400000_NS6detail17trampoline_kernelINS0_14default_configENS1_25partition_config_selectorILNS1_17partition_subalgoE9EllbEEZZNS1_14partition_implILS5_9ELb0ES3_jPlS8_PNS0_10empty_typeENS0_5tupleIJS8_S9_EEENSB_IJS8_SA_EEENS0_18inequality_wrapperIZN2at6native12_GLOBAL__N_124unique_dim_cuda_templateImEESt5tupleIJNSF_6TensorESK_SK_EERKSK_lbbbEUlllE0_EEPmJS9_EEE10hipError_tPvRmT3_T4_T5_T6_T7_T9_mT8_P12ihipStream_tbDpT10_ENKUlT_T0_E_clISt17integral_constantIbLb0EES1A_EEDaS15_S16_EUlS15_E_NS1_11comp_targetILNS1_3genE8ELNS1_11target_archE1030ELNS1_3gpuE2ELNS1_3repE0EEENS1_30default_config_static_selectorELNS0_4arch9wavefront6targetE1EEEvT1_: ; @_ZN7rocprim17ROCPRIM_400000_NS6detail17trampoline_kernelINS0_14default_configENS1_25partition_config_selectorILNS1_17partition_subalgoE9EllbEEZZNS1_14partition_implILS5_9ELb0ES3_jPlS8_PNS0_10empty_typeENS0_5tupleIJS8_S9_EEENSB_IJS8_SA_EEENS0_18inequality_wrapperIZN2at6native12_GLOBAL__N_124unique_dim_cuda_templateImEESt5tupleIJNSF_6TensorESK_SK_EERKSK_lbbbEUlllE0_EEPmJS9_EEE10hipError_tPvRmT3_T4_T5_T6_T7_T9_mT8_P12ihipStream_tbDpT10_ENKUlT_T0_E_clISt17integral_constantIbLb0EES1A_EEDaS15_S16_EUlS15_E_NS1_11comp_targetILNS1_3genE8ELNS1_11target_archE1030ELNS1_3gpuE2ELNS1_3repE0EEENS1_30default_config_static_selectorELNS0_4arch9wavefront6targetE1EEEvT1_
; %bb.0:
	.section	.rodata,"a",@progbits
	.p2align	6, 0x0
	.amdhsa_kernel _ZN7rocprim17ROCPRIM_400000_NS6detail17trampoline_kernelINS0_14default_configENS1_25partition_config_selectorILNS1_17partition_subalgoE9EllbEEZZNS1_14partition_implILS5_9ELb0ES3_jPlS8_PNS0_10empty_typeENS0_5tupleIJS8_S9_EEENSB_IJS8_SA_EEENS0_18inequality_wrapperIZN2at6native12_GLOBAL__N_124unique_dim_cuda_templateImEESt5tupleIJNSF_6TensorESK_SK_EERKSK_lbbbEUlllE0_EEPmJS9_EEE10hipError_tPvRmT3_T4_T5_T6_T7_T9_mT8_P12ihipStream_tbDpT10_ENKUlT_T0_E_clISt17integral_constantIbLb0EES1A_EEDaS15_S16_EUlS15_E_NS1_11comp_targetILNS1_3genE8ELNS1_11target_archE1030ELNS1_3gpuE2ELNS1_3repE0EEENS1_30default_config_static_selectorELNS0_4arch9wavefront6targetE1EEEvT1_
		.amdhsa_group_segment_fixed_size 0
		.amdhsa_private_segment_fixed_size 0
		.amdhsa_kernarg_size 120
		.amdhsa_user_sgpr_count 2
		.amdhsa_user_sgpr_dispatch_ptr 0
		.amdhsa_user_sgpr_queue_ptr 0
		.amdhsa_user_sgpr_kernarg_segment_ptr 1
		.amdhsa_user_sgpr_dispatch_id 0
		.amdhsa_user_sgpr_kernarg_preload_length 0
		.amdhsa_user_sgpr_kernarg_preload_offset 0
		.amdhsa_user_sgpr_private_segment_size 0
		.amdhsa_uses_dynamic_stack 0
		.amdhsa_enable_private_segment 0
		.amdhsa_system_sgpr_workgroup_id_x 1
		.amdhsa_system_sgpr_workgroup_id_y 0
		.amdhsa_system_sgpr_workgroup_id_z 0
		.amdhsa_system_sgpr_workgroup_info 0
		.amdhsa_system_vgpr_workitem_id 0
		.amdhsa_next_free_vgpr 1
		.amdhsa_next_free_sgpr 0
		.amdhsa_accum_offset 4
		.amdhsa_reserve_vcc 0
		.amdhsa_float_round_mode_32 0
		.amdhsa_float_round_mode_16_64 0
		.amdhsa_float_denorm_mode_32 3
		.amdhsa_float_denorm_mode_16_64 3
		.amdhsa_dx10_clamp 1
		.amdhsa_ieee_mode 1
		.amdhsa_fp16_overflow 0
		.amdhsa_tg_split 0
		.amdhsa_exception_fp_ieee_invalid_op 0
		.amdhsa_exception_fp_denorm_src 0
		.amdhsa_exception_fp_ieee_div_zero 0
		.amdhsa_exception_fp_ieee_overflow 0
		.amdhsa_exception_fp_ieee_underflow 0
		.amdhsa_exception_fp_ieee_inexact 0
		.amdhsa_exception_int_div_zero 0
	.end_amdhsa_kernel
	.section	.text._ZN7rocprim17ROCPRIM_400000_NS6detail17trampoline_kernelINS0_14default_configENS1_25partition_config_selectorILNS1_17partition_subalgoE9EllbEEZZNS1_14partition_implILS5_9ELb0ES3_jPlS8_PNS0_10empty_typeENS0_5tupleIJS8_S9_EEENSB_IJS8_SA_EEENS0_18inequality_wrapperIZN2at6native12_GLOBAL__N_124unique_dim_cuda_templateImEESt5tupleIJNSF_6TensorESK_SK_EERKSK_lbbbEUlllE0_EEPmJS9_EEE10hipError_tPvRmT3_T4_T5_T6_T7_T9_mT8_P12ihipStream_tbDpT10_ENKUlT_T0_E_clISt17integral_constantIbLb0EES1A_EEDaS15_S16_EUlS15_E_NS1_11comp_targetILNS1_3genE8ELNS1_11target_archE1030ELNS1_3gpuE2ELNS1_3repE0EEENS1_30default_config_static_selectorELNS0_4arch9wavefront6targetE1EEEvT1_,"axG",@progbits,_ZN7rocprim17ROCPRIM_400000_NS6detail17trampoline_kernelINS0_14default_configENS1_25partition_config_selectorILNS1_17partition_subalgoE9EllbEEZZNS1_14partition_implILS5_9ELb0ES3_jPlS8_PNS0_10empty_typeENS0_5tupleIJS8_S9_EEENSB_IJS8_SA_EEENS0_18inequality_wrapperIZN2at6native12_GLOBAL__N_124unique_dim_cuda_templateImEESt5tupleIJNSF_6TensorESK_SK_EERKSK_lbbbEUlllE0_EEPmJS9_EEE10hipError_tPvRmT3_T4_T5_T6_T7_T9_mT8_P12ihipStream_tbDpT10_ENKUlT_T0_E_clISt17integral_constantIbLb0EES1A_EEDaS15_S16_EUlS15_E_NS1_11comp_targetILNS1_3genE8ELNS1_11target_archE1030ELNS1_3gpuE2ELNS1_3repE0EEENS1_30default_config_static_selectorELNS0_4arch9wavefront6targetE1EEEvT1_,comdat
.Lfunc_end1702:
	.size	_ZN7rocprim17ROCPRIM_400000_NS6detail17trampoline_kernelINS0_14default_configENS1_25partition_config_selectorILNS1_17partition_subalgoE9EllbEEZZNS1_14partition_implILS5_9ELb0ES3_jPlS8_PNS0_10empty_typeENS0_5tupleIJS8_S9_EEENSB_IJS8_SA_EEENS0_18inequality_wrapperIZN2at6native12_GLOBAL__N_124unique_dim_cuda_templateImEESt5tupleIJNSF_6TensorESK_SK_EERKSK_lbbbEUlllE0_EEPmJS9_EEE10hipError_tPvRmT3_T4_T5_T6_T7_T9_mT8_P12ihipStream_tbDpT10_ENKUlT_T0_E_clISt17integral_constantIbLb0EES1A_EEDaS15_S16_EUlS15_E_NS1_11comp_targetILNS1_3genE8ELNS1_11target_archE1030ELNS1_3gpuE2ELNS1_3repE0EEENS1_30default_config_static_selectorELNS0_4arch9wavefront6targetE1EEEvT1_, .Lfunc_end1702-_ZN7rocprim17ROCPRIM_400000_NS6detail17trampoline_kernelINS0_14default_configENS1_25partition_config_selectorILNS1_17partition_subalgoE9EllbEEZZNS1_14partition_implILS5_9ELb0ES3_jPlS8_PNS0_10empty_typeENS0_5tupleIJS8_S9_EEENSB_IJS8_SA_EEENS0_18inequality_wrapperIZN2at6native12_GLOBAL__N_124unique_dim_cuda_templateImEESt5tupleIJNSF_6TensorESK_SK_EERKSK_lbbbEUlllE0_EEPmJS9_EEE10hipError_tPvRmT3_T4_T5_T6_T7_T9_mT8_P12ihipStream_tbDpT10_ENKUlT_T0_E_clISt17integral_constantIbLb0EES1A_EEDaS15_S16_EUlS15_E_NS1_11comp_targetILNS1_3genE8ELNS1_11target_archE1030ELNS1_3gpuE2ELNS1_3repE0EEENS1_30default_config_static_selectorELNS0_4arch9wavefront6targetE1EEEvT1_
                                        ; -- End function
	.set _ZN7rocprim17ROCPRIM_400000_NS6detail17trampoline_kernelINS0_14default_configENS1_25partition_config_selectorILNS1_17partition_subalgoE9EllbEEZZNS1_14partition_implILS5_9ELb0ES3_jPlS8_PNS0_10empty_typeENS0_5tupleIJS8_S9_EEENSB_IJS8_SA_EEENS0_18inequality_wrapperIZN2at6native12_GLOBAL__N_124unique_dim_cuda_templateImEESt5tupleIJNSF_6TensorESK_SK_EERKSK_lbbbEUlllE0_EEPmJS9_EEE10hipError_tPvRmT3_T4_T5_T6_T7_T9_mT8_P12ihipStream_tbDpT10_ENKUlT_T0_E_clISt17integral_constantIbLb0EES1A_EEDaS15_S16_EUlS15_E_NS1_11comp_targetILNS1_3genE8ELNS1_11target_archE1030ELNS1_3gpuE2ELNS1_3repE0EEENS1_30default_config_static_selectorELNS0_4arch9wavefront6targetE1EEEvT1_.num_vgpr, 0
	.set _ZN7rocprim17ROCPRIM_400000_NS6detail17trampoline_kernelINS0_14default_configENS1_25partition_config_selectorILNS1_17partition_subalgoE9EllbEEZZNS1_14partition_implILS5_9ELb0ES3_jPlS8_PNS0_10empty_typeENS0_5tupleIJS8_S9_EEENSB_IJS8_SA_EEENS0_18inequality_wrapperIZN2at6native12_GLOBAL__N_124unique_dim_cuda_templateImEESt5tupleIJNSF_6TensorESK_SK_EERKSK_lbbbEUlllE0_EEPmJS9_EEE10hipError_tPvRmT3_T4_T5_T6_T7_T9_mT8_P12ihipStream_tbDpT10_ENKUlT_T0_E_clISt17integral_constantIbLb0EES1A_EEDaS15_S16_EUlS15_E_NS1_11comp_targetILNS1_3genE8ELNS1_11target_archE1030ELNS1_3gpuE2ELNS1_3repE0EEENS1_30default_config_static_selectorELNS0_4arch9wavefront6targetE1EEEvT1_.num_agpr, 0
	.set _ZN7rocprim17ROCPRIM_400000_NS6detail17trampoline_kernelINS0_14default_configENS1_25partition_config_selectorILNS1_17partition_subalgoE9EllbEEZZNS1_14partition_implILS5_9ELb0ES3_jPlS8_PNS0_10empty_typeENS0_5tupleIJS8_S9_EEENSB_IJS8_SA_EEENS0_18inequality_wrapperIZN2at6native12_GLOBAL__N_124unique_dim_cuda_templateImEESt5tupleIJNSF_6TensorESK_SK_EERKSK_lbbbEUlllE0_EEPmJS9_EEE10hipError_tPvRmT3_T4_T5_T6_T7_T9_mT8_P12ihipStream_tbDpT10_ENKUlT_T0_E_clISt17integral_constantIbLb0EES1A_EEDaS15_S16_EUlS15_E_NS1_11comp_targetILNS1_3genE8ELNS1_11target_archE1030ELNS1_3gpuE2ELNS1_3repE0EEENS1_30default_config_static_selectorELNS0_4arch9wavefront6targetE1EEEvT1_.numbered_sgpr, 0
	.set _ZN7rocprim17ROCPRIM_400000_NS6detail17trampoline_kernelINS0_14default_configENS1_25partition_config_selectorILNS1_17partition_subalgoE9EllbEEZZNS1_14partition_implILS5_9ELb0ES3_jPlS8_PNS0_10empty_typeENS0_5tupleIJS8_S9_EEENSB_IJS8_SA_EEENS0_18inequality_wrapperIZN2at6native12_GLOBAL__N_124unique_dim_cuda_templateImEESt5tupleIJNSF_6TensorESK_SK_EERKSK_lbbbEUlllE0_EEPmJS9_EEE10hipError_tPvRmT3_T4_T5_T6_T7_T9_mT8_P12ihipStream_tbDpT10_ENKUlT_T0_E_clISt17integral_constantIbLb0EES1A_EEDaS15_S16_EUlS15_E_NS1_11comp_targetILNS1_3genE8ELNS1_11target_archE1030ELNS1_3gpuE2ELNS1_3repE0EEENS1_30default_config_static_selectorELNS0_4arch9wavefront6targetE1EEEvT1_.num_named_barrier, 0
	.set _ZN7rocprim17ROCPRIM_400000_NS6detail17trampoline_kernelINS0_14default_configENS1_25partition_config_selectorILNS1_17partition_subalgoE9EllbEEZZNS1_14partition_implILS5_9ELb0ES3_jPlS8_PNS0_10empty_typeENS0_5tupleIJS8_S9_EEENSB_IJS8_SA_EEENS0_18inequality_wrapperIZN2at6native12_GLOBAL__N_124unique_dim_cuda_templateImEESt5tupleIJNSF_6TensorESK_SK_EERKSK_lbbbEUlllE0_EEPmJS9_EEE10hipError_tPvRmT3_T4_T5_T6_T7_T9_mT8_P12ihipStream_tbDpT10_ENKUlT_T0_E_clISt17integral_constantIbLb0EES1A_EEDaS15_S16_EUlS15_E_NS1_11comp_targetILNS1_3genE8ELNS1_11target_archE1030ELNS1_3gpuE2ELNS1_3repE0EEENS1_30default_config_static_selectorELNS0_4arch9wavefront6targetE1EEEvT1_.private_seg_size, 0
	.set _ZN7rocprim17ROCPRIM_400000_NS6detail17trampoline_kernelINS0_14default_configENS1_25partition_config_selectorILNS1_17partition_subalgoE9EllbEEZZNS1_14partition_implILS5_9ELb0ES3_jPlS8_PNS0_10empty_typeENS0_5tupleIJS8_S9_EEENSB_IJS8_SA_EEENS0_18inequality_wrapperIZN2at6native12_GLOBAL__N_124unique_dim_cuda_templateImEESt5tupleIJNSF_6TensorESK_SK_EERKSK_lbbbEUlllE0_EEPmJS9_EEE10hipError_tPvRmT3_T4_T5_T6_T7_T9_mT8_P12ihipStream_tbDpT10_ENKUlT_T0_E_clISt17integral_constantIbLb0EES1A_EEDaS15_S16_EUlS15_E_NS1_11comp_targetILNS1_3genE8ELNS1_11target_archE1030ELNS1_3gpuE2ELNS1_3repE0EEENS1_30default_config_static_selectorELNS0_4arch9wavefront6targetE1EEEvT1_.uses_vcc, 0
	.set _ZN7rocprim17ROCPRIM_400000_NS6detail17trampoline_kernelINS0_14default_configENS1_25partition_config_selectorILNS1_17partition_subalgoE9EllbEEZZNS1_14partition_implILS5_9ELb0ES3_jPlS8_PNS0_10empty_typeENS0_5tupleIJS8_S9_EEENSB_IJS8_SA_EEENS0_18inequality_wrapperIZN2at6native12_GLOBAL__N_124unique_dim_cuda_templateImEESt5tupleIJNSF_6TensorESK_SK_EERKSK_lbbbEUlllE0_EEPmJS9_EEE10hipError_tPvRmT3_T4_T5_T6_T7_T9_mT8_P12ihipStream_tbDpT10_ENKUlT_T0_E_clISt17integral_constantIbLb0EES1A_EEDaS15_S16_EUlS15_E_NS1_11comp_targetILNS1_3genE8ELNS1_11target_archE1030ELNS1_3gpuE2ELNS1_3repE0EEENS1_30default_config_static_selectorELNS0_4arch9wavefront6targetE1EEEvT1_.uses_flat_scratch, 0
	.set _ZN7rocprim17ROCPRIM_400000_NS6detail17trampoline_kernelINS0_14default_configENS1_25partition_config_selectorILNS1_17partition_subalgoE9EllbEEZZNS1_14partition_implILS5_9ELb0ES3_jPlS8_PNS0_10empty_typeENS0_5tupleIJS8_S9_EEENSB_IJS8_SA_EEENS0_18inequality_wrapperIZN2at6native12_GLOBAL__N_124unique_dim_cuda_templateImEESt5tupleIJNSF_6TensorESK_SK_EERKSK_lbbbEUlllE0_EEPmJS9_EEE10hipError_tPvRmT3_T4_T5_T6_T7_T9_mT8_P12ihipStream_tbDpT10_ENKUlT_T0_E_clISt17integral_constantIbLb0EES1A_EEDaS15_S16_EUlS15_E_NS1_11comp_targetILNS1_3genE8ELNS1_11target_archE1030ELNS1_3gpuE2ELNS1_3repE0EEENS1_30default_config_static_selectorELNS0_4arch9wavefront6targetE1EEEvT1_.has_dyn_sized_stack, 0
	.set _ZN7rocprim17ROCPRIM_400000_NS6detail17trampoline_kernelINS0_14default_configENS1_25partition_config_selectorILNS1_17partition_subalgoE9EllbEEZZNS1_14partition_implILS5_9ELb0ES3_jPlS8_PNS0_10empty_typeENS0_5tupleIJS8_S9_EEENSB_IJS8_SA_EEENS0_18inequality_wrapperIZN2at6native12_GLOBAL__N_124unique_dim_cuda_templateImEESt5tupleIJNSF_6TensorESK_SK_EERKSK_lbbbEUlllE0_EEPmJS9_EEE10hipError_tPvRmT3_T4_T5_T6_T7_T9_mT8_P12ihipStream_tbDpT10_ENKUlT_T0_E_clISt17integral_constantIbLb0EES1A_EEDaS15_S16_EUlS15_E_NS1_11comp_targetILNS1_3genE8ELNS1_11target_archE1030ELNS1_3gpuE2ELNS1_3repE0EEENS1_30default_config_static_selectorELNS0_4arch9wavefront6targetE1EEEvT1_.has_recursion, 0
	.set _ZN7rocprim17ROCPRIM_400000_NS6detail17trampoline_kernelINS0_14default_configENS1_25partition_config_selectorILNS1_17partition_subalgoE9EllbEEZZNS1_14partition_implILS5_9ELb0ES3_jPlS8_PNS0_10empty_typeENS0_5tupleIJS8_S9_EEENSB_IJS8_SA_EEENS0_18inequality_wrapperIZN2at6native12_GLOBAL__N_124unique_dim_cuda_templateImEESt5tupleIJNSF_6TensorESK_SK_EERKSK_lbbbEUlllE0_EEPmJS9_EEE10hipError_tPvRmT3_T4_T5_T6_T7_T9_mT8_P12ihipStream_tbDpT10_ENKUlT_T0_E_clISt17integral_constantIbLb0EES1A_EEDaS15_S16_EUlS15_E_NS1_11comp_targetILNS1_3genE8ELNS1_11target_archE1030ELNS1_3gpuE2ELNS1_3repE0EEENS1_30default_config_static_selectorELNS0_4arch9wavefront6targetE1EEEvT1_.has_indirect_call, 0
	.section	.AMDGPU.csdata,"",@progbits
; Kernel info:
; codeLenInByte = 0
; TotalNumSgprs: 6
; NumVgprs: 0
; NumAgprs: 0
; TotalNumVgprs: 0
; ScratchSize: 0
; MemoryBound: 0
; FloatMode: 240
; IeeeMode: 1
; LDSByteSize: 0 bytes/workgroup (compile time only)
; SGPRBlocks: 0
; VGPRBlocks: 0
; NumSGPRsForWavesPerEU: 6
; NumVGPRsForWavesPerEU: 1
; AccumOffset: 4
; Occupancy: 8
; WaveLimiterHint : 0
; COMPUTE_PGM_RSRC2:SCRATCH_EN: 0
; COMPUTE_PGM_RSRC2:USER_SGPR: 2
; COMPUTE_PGM_RSRC2:TRAP_HANDLER: 0
; COMPUTE_PGM_RSRC2:TGID_X_EN: 1
; COMPUTE_PGM_RSRC2:TGID_Y_EN: 0
; COMPUTE_PGM_RSRC2:TGID_Z_EN: 0
; COMPUTE_PGM_RSRC2:TIDIG_COMP_CNT: 0
; COMPUTE_PGM_RSRC3_GFX90A:ACCUM_OFFSET: 0
; COMPUTE_PGM_RSRC3_GFX90A:TG_SPLIT: 0
	.section	.text._ZN7rocprim17ROCPRIM_400000_NS6detail17trampoline_kernelINS0_14default_configENS1_25partition_config_selectorILNS1_17partition_subalgoE9EllbEEZZNS1_14partition_implILS5_9ELb0ES3_jPlS8_PNS0_10empty_typeENS0_5tupleIJS8_S9_EEENSB_IJS8_SA_EEENS0_18inequality_wrapperIZN2at6native12_GLOBAL__N_124unique_dim_cuda_templateImEESt5tupleIJNSF_6TensorESK_SK_EERKSK_lbbbEUlllE0_EEPmJS9_EEE10hipError_tPvRmT3_T4_T5_T6_T7_T9_mT8_P12ihipStream_tbDpT10_ENKUlT_T0_E_clISt17integral_constantIbLb1EES1A_EEDaS15_S16_EUlS15_E_NS1_11comp_targetILNS1_3genE0ELNS1_11target_archE4294967295ELNS1_3gpuE0ELNS1_3repE0EEENS1_30default_config_static_selectorELNS0_4arch9wavefront6targetE1EEEvT1_,"axG",@progbits,_ZN7rocprim17ROCPRIM_400000_NS6detail17trampoline_kernelINS0_14default_configENS1_25partition_config_selectorILNS1_17partition_subalgoE9EllbEEZZNS1_14partition_implILS5_9ELb0ES3_jPlS8_PNS0_10empty_typeENS0_5tupleIJS8_S9_EEENSB_IJS8_SA_EEENS0_18inequality_wrapperIZN2at6native12_GLOBAL__N_124unique_dim_cuda_templateImEESt5tupleIJNSF_6TensorESK_SK_EERKSK_lbbbEUlllE0_EEPmJS9_EEE10hipError_tPvRmT3_T4_T5_T6_T7_T9_mT8_P12ihipStream_tbDpT10_ENKUlT_T0_E_clISt17integral_constantIbLb1EES1A_EEDaS15_S16_EUlS15_E_NS1_11comp_targetILNS1_3genE0ELNS1_11target_archE4294967295ELNS1_3gpuE0ELNS1_3repE0EEENS1_30default_config_static_selectorELNS0_4arch9wavefront6targetE1EEEvT1_,comdat
	.globl	_ZN7rocprim17ROCPRIM_400000_NS6detail17trampoline_kernelINS0_14default_configENS1_25partition_config_selectorILNS1_17partition_subalgoE9EllbEEZZNS1_14partition_implILS5_9ELb0ES3_jPlS8_PNS0_10empty_typeENS0_5tupleIJS8_S9_EEENSB_IJS8_SA_EEENS0_18inequality_wrapperIZN2at6native12_GLOBAL__N_124unique_dim_cuda_templateImEESt5tupleIJNSF_6TensorESK_SK_EERKSK_lbbbEUlllE0_EEPmJS9_EEE10hipError_tPvRmT3_T4_T5_T6_T7_T9_mT8_P12ihipStream_tbDpT10_ENKUlT_T0_E_clISt17integral_constantIbLb1EES1A_EEDaS15_S16_EUlS15_E_NS1_11comp_targetILNS1_3genE0ELNS1_11target_archE4294967295ELNS1_3gpuE0ELNS1_3repE0EEENS1_30default_config_static_selectorELNS0_4arch9wavefront6targetE1EEEvT1_ ; -- Begin function _ZN7rocprim17ROCPRIM_400000_NS6detail17trampoline_kernelINS0_14default_configENS1_25partition_config_selectorILNS1_17partition_subalgoE9EllbEEZZNS1_14partition_implILS5_9ELb0ES3_jPlS8_PNS0_10empty_typeENS0_5tupleIJS8_S9_EEENSB_IJS8_SA_EEENS0_18inequality_wrapperIZN2at6native12_GLOBAL__N_124unique_dim_cuda_templateImEESt5tupleIJNSF_6TensorESK_SK_EERKSK_lbbbEUlllE0_EEPmJS9_EEE10hipError_tPvRmT3_T4_T5_T6_T7_T9_mT8_P12ihipStream_tbDpT10_ENKUlT_T0_E_clISt17integral_constantIbLb1EES1A_EEDaS15_S16_EUlS15_E_NS1_11comp_targetILNS1_3genE0ELNS1_11target_archE4294967295ELNS1_3gpuE0ELNS1_3repE0EEENS1_30default_config_static_selectorELNS0_4arch9wavefront6targetE1EEEvT1_
	.p2align	8
	.type	_ZN7rocprim17ROCPRIM_400000_NS6detail17trampoline_kernelINS0_14default_configENS1_25partition_config_selectorILNS1_17partition_subalgoE9EllbEEZZNS1_14partition_implILS5_9ELb0ES3_jPlS8_PNS0_10empty_typeENS0_5tupleIJS8_S9_EEENSB_IJS8_SA_EEENS0_18inequality_wrapperIZN2at6native12_GLOBAL__N_124unique_dim_cuda_templateImEESt5tupleIJNSF_6TensorESK_SK_EERKSK_lbbbEUlllE0_EEPmJS9_EEE10hipError_tPvRmT3_T4_T5_T6_T7_T9_mT8_P12ihipStream_tbDpT10_ENKUlT_T0_E_clISt17integral_constantIbLb1EES1A_EEDaS15_S16_EUlS15_E_NS1_11comp_targetILNS1_3genE0ELNS1_11target_archE4294967295ELNS1_3gpuE0ELNS1_3repE0EEENS1_30default_config_static_selectorELNS0_4arch9wavefront6targetE1EEEvT1_,@function
_ZN7rocprim17ROCPRIM_400000_NS6detail17trampoline_kernelINS0_14default_configENS1_25partition_config_selectorILNS1_17partition_subalgoE9EllbEEZZNS1_14partition_implILS5_9ELb0ES3_jPlS8_PNS0_10empty_typeENS0_5tupleIJS8_S9_EEENSB_IJS8_SA_EEENS0_18inequality_wrapperIZN2at6native12_GLOBAL__N_124unique_dim_cuda_templateImEESt5tupleIJNSF_6TensorESK_SK_EERKSK_lbbbEUlllE0_EEPmJS9_EEE10hipError_tPvRmT3_T4_T5_T6_T7_T9_mT8_P12ihipStream_tbDpT10_ENKUlT_T0_E_clISt17integral_constantIbLb1EES1A_EEDaS15_S16_EUlS15_E_NS1_11comp_targetILNS1_3genE0ELNS1_11target_archE4294967295ELNS1_3gpuE0ELNS1_3repE0EEENS1_30default_config_static_selectorELNS0_4arch9wavefront6targetE1EEEvT1_: ; @_ZN7rocprim17ROCPRIM_400000_NS6detail17trampoline_kernelINS0_14default_configENS1_25partition_config_selectorILNS1_17partition_subalgoE9EllbEEZZNS1_14partition_implILS5_9ELb0ES3_jPlS8_PNS0_10empty_typeENS0_5tupleIJS8_S9_EEENSB_IJS8_SA_EEENS0_18inequality_wrapperIZN2at6native12_GLOBAL__N_124unique_dim_cuda_templateImEESt5tupleIJNSF_6TensorESK_SK_EERKSK_lbbbEUlllE0_EEPmJS9_EEE10hipError_tPvRmT3_T4_T5_T6_T7_T9_mT8_P12ihipStream_tbDpT10_ENKUlT_T0_E_clISt17integral_constantIbLb1EES1A_EEDaS15_S16_EUlS15_E_NS1_11comp_targetILNS1_3genE0ELNS1_11target_archE4294967295ELNS1_3gpuE0ELNS1_3repE0EEENS1_30default_config_static_selectorELNS0_4arch9wavefront6targetE1EEEvT1_
; %bb.0:
	s_endpgm
	.section	.rodata,"a",@progbits
	.p2align	6, 0x0
	.amdhsa_kernel _ZN7rocprim17ROCPRIM_400000_NS6detail17trampoline_kernelINS0_14default_configENS1_25partition_config_selectorILNS1_17partition_subalgoE9EllbEEZZNS1_14partition_implILS5_9ELb0ES3_jPlS8_PNS0_10empty_typeENS0_5tupleIJS8_S9_EEENSB_IJS8_SA_EEENS0_18inequality_wrapperIZN2at6native12_GLOBAL__N_124unique_dim_cuda_templateImEESt5tupleIJNSF_6TensorESK_SK_EERKSK_lbbbEUlllE0_EEPmJS9_EEE10hipError_tPvRmT3_T4_T5_T6_T7_T9_mT8_P12ihipStream_tbDpT10_ENKUlT_T0_E_clISt17integral_constantIbLb1EES1A_EEDaS15_S16_EUlS15_E_NS1_11comp_targetILNS1_3genE0ELNS1_11target_archE4294967295ELNS1_3gpuE0ELNS1_3repE0EEENS1_30default_config_static_selectorELNS0_4arch9wavefront6targetE1EEEvT1_
		.amdhsa_group_segment_fixed_size 0
		.amdhsa_private_segment_fixed_size 0
		.amdhsa_kernarg_size 136
		.amdhsa_user_sgpr_count 2
		.amdhsa_user_sgpr_dispatch_ptr 0
		.amdhsa_user_sgpr_queue_ptr 0
		.amdhsa_user_sgpr_kernarg_segment_ptr 1
		.amdhsa_user_sgpr_dispatch_id 0
		.amdhsa_user_sgpr_kernarg_preload_length 0
		.amdhsa_user_sgpr_kernarg_preload_offset 0
		.amdhsa_user_sgpr_private_segment_size 0
		.amdhsa_uses_dynamic_stack 0
		.amdhsa_enable_private_segment 0
		.amdhsa_system_sgpr_workgroup_id_x 1
		.amdhsa_system_sgpr_workgroup_id_y 0
		.amdhsa_system_sgpr_workgroup_id_z 0
		.amdhsa_system_sgpr_workgroup_info 0
		.amdhsa_system_vgpr_workitem_id 0
		.amdhsa_next_free_vgpr 1
		.amdhsa_next_free_sgpr 0
		.amdhsa_accum_offset 4
		.amdhsa_reserve_vcc 0
		.amdhsa_float_round_mode_32 0
		.amdhsa_float_round_mode_16_64 0
		.amdhsa_float_denorm_mode_32 3
		.amdhsa_float_denorm_mode_16_64 3
		.amdhsa_dx10_clamp 1
		.amdhsa_ieee_mode 1
		.amdhsa_fp16_overflow 0
		.amdhsa_tg_split 0
		.amdhsa_exception_fp_ieee_invalid_op 0
		.amdhsa_exception_fp_denorm_src 0
		.amdhsa_exception_fp_ieee_div_zero 0
		.amdhsa_exception_fp_ieee_overflow 0
		.amdhsa_exception_fp_ieee_underflow 0
		.amdhsa_exception_fp_ieee_inexact 0
		.amdhsa_exception_int_div_zero 0
	.end_amdhsa_kernel
	.section	.text._ZN7rocprim17ROCPRIM_400000_NS6detail17trampoline_kernelINS0_14default_configENS1_25partition_config_selectorILNS1_17partition_subalgoE9EllbEEZZNS1_14partition_implILS5_9ELb0ES3_jPlS8_PNS0_10empty_typeENS0_5tupleIJS8_S9_EEENSB_IJS8_SA_EEENS0_18inequality_wrapperIZN2at6native12_GLOBAL__N_124unique_dim_cuda_templateImEESt5tupleIJNSF_6TensorESK_SK_EERKSK_lbbbEUlllE0_EEPmJS9_EEE10hipError_tPvRmT3_T4_T5_T6_T7_T9_mT8_P12ihipStream_tbDpT10_ENKUlT_T0_E_clISt17integral_constantIbLb1EES1A_EEDaS15_S16_EUlS15_E_NS1_11comp_targetILNS1_3genE0ELNS1_11target_archE4294967295ELNS1_3gpuE0ELNS1_3repE0EEENS1_30default_config_static_selectorELNS0_4arch9wavefront6targetE1EEEvT1_,"axG",@progbits,_ZN7rocprim17ROCPRIM_400000_NS6detail17trampoline_kernelINS0_14default_configENS1_25partition_config_selectorILNS1_17partition_subalgoE9EllbEEZZNS1_14partition_implILS5_9ELb0ES3_jPlS8_PNS0_10empty_typeENS0_5tupleIJS8_S9_EEENSB_IJS8_SA_EEENS0_18inequality_wrapperIZN2at6native12_GLOBAL__N_124unique_dim_cuda_templateImEESt5tupleIJNSF_6TensorESK_SK_EERKSK_lbbbEUlllE0_EEPmJS9_EEE10hipError_tPvRmT3_T4_T5_T6_T7_T9_mT8_P12ihipStream_tbDpT10_ENKUlT_T0_E_clISt17integral_constantIbLb1EES1A_EEDaS15_S16_EUlS15_E_NS1_11comp_targetILNS1_3genE0ELNS1_11target_archE4294967295ELNS1_3gpuE0ELNS1_3repE0EEENS1_30default_config_static_selectorELNS0_4arch9wavefront6targetE1EEEvT1_,comdat
.Lfunc_end1703:
	.size	_ZN7rocprim17ROCPRIM_400000_NS6detail17trampoline_kernelINS0_14default_configENS1_25partition_config_selectorILNS1_17partition_subalgoE9EllbEEZZNS1_14partition_implILS5_9ELb0ES3_jPlS8_PNS0_10empty_typeENS0_5tupleIJS8_S9_EEENSB_IJS8_SA_EEENS0_18inequality_wrapperIZN2at6native12_GLOBAL__N_124unique_dim_cuda_templateImEESt5tupleIJNSF_6TensorESK_SK_EERKSK_lbbbEUlllE0_EEPmJS9_EEE10hipError_tPvRmT3_T4_T5_T6_T7_T9_mT8_P12ihipStream_tbDpT10_ENKUlT_T0_E_clISt17integral_constantIbLb1EES1A_EEDaS15_S16_EUlS15_E_NS1_11comp_targetILNS1_3genE0ELNS1_11target_archE4294967295ELNS1_3gpuE0ELNS1_3repE0EEENS1_30default_config_static_selectorELNS0_4arch9wavefront6targetE1EEEvT1_, .Lfunc_end1703-_ZN7rocprim17ROCPRIM_400000_NS6detail17trampoline_kernelINS0_14default_configENS1_25partition_config_selectorILNS1_17partition_subalgoE9EllbEEZZNS1_14partition_implILS5_9ELb0ES3_jPlS8_PNS0_10empty_typeENS0_5tupleIJS8_S9_EEENSB_IJS8_SA_EEENS0_18inequality_wrapperIZN2at6native12_GLOBAL__N_124unique_dim_cuda_templateImEESt5tupleIJNSF_6TensorESK_SK_EERKSK_lbbbEUlllE0_EEPmJS9_EEE10hipError_tPvRmT3_T4_T5_T6_T7_T9_mT8_P12ihipStream_tbDpT10_ENKUlT_T0_E_clISt17integral_constantIbLb1EES1A_EEDaS15_S16_EUlS15_E_NS1_11comp_targetILNS1_3genE0ELNS1_11target_archE4294967295ELNS1_3gpuE0ELNS1_3repE0EEENS1_30default_config_static_selectorELNS0_4arch9wavefront6targetE1EEEvT1_
                                        ; -- End function
	.set _ZN7rocprim17ROCPRIM_400000_NS6detail17trampoline_kernelINS0_14default_configENS1_25partition_config_selectorILNS1_17partition_subalgoE9EllbEEZZNS1_14partition_implILS5_9ELb0ES3_jPlS8_PNS0_10empty_typeENS0_5tupleIJS8_S9_EEENSB_IJS8_SA_EEENS0_18inequality_wrapperIZN2at6native12_GLOBAL__N_124unique_dim_cuda_templateImEESt5tupleIJNSF_6TensorESK_SK_EERKSK_lbbbEUlllE0_EEPmJS9_EEE10hipError_tPvRmT3_T4_T5_T6_T7_T9_mT8_P12ihipStream_tbDpT10_ENKUlT_T0_E_clISt17integral_constantIbLb1EES1A_EEDaS15_S16_EUlS15_E_NS1_11comp_targetILNS1_3genE0ELNS1_11target_archE4294967295ELNS1_3gpuE0ELNS1_3repE0EEENS1_30default_config_static_selectorELNS0_4arch9wavefront6targetE1EEEvT1_.num_vgpr, 0
	.set _ZN7rocprim17ROCPRIM_400000_NS6detail17trampoline_kernelINS0_14default_configENS1_25partition_config_selectorILNS1_17partition_subalgoE9EllbEEZZNS1_14partition_implILS5_9ELb0ES3_jPlS8_PNS0_10empty_typeENS0_5tupleIJS8_S9_EEENSB_IJS8_SA_EEENS0_18inequality_wrapperIZN2at6native12_GLOBAL__N_124unique_dim_cuda_templateImEESt5tupleIJNSF_6TensorESK_SK_EERKSK_lbbbEUlllE0_EEPmJS9_EEE10hipError_tPvRmT3_T4_T5_T6_T7_T9_mT8_P12ihipStream_tbDpT10_ENKUlT_T0_E_clISt17integral_constantIbLb1EES1A_EEDaS15_S16_EUlS15_E_NS1_11comp_targetILNS1_3genE0ELNS1_11target_archE4294967295ELNS1_3gpuE0ELNS1_3repE0EEENS1_30default_config_static_selectorELNS0_4arch9wavefront6targetE1EEEvT1_.num_agpr, 0
	.set _ZN7rocprim17ROCPRIM_400000_NS6detail17trampoline_kernelINS0_14default_configENS1_25partition_config_selectorILNS1_17partition_subalgoE9EllbEEZZNS1_14partition_implILS5_9ELb0ES3_jPlS8_PNS0_10empty_typeENS0_5tupleIJS8_S9_EEENSB_IJS8_SA_EEENS0_18inequality_wrapperIZN2at6native12_GLOBAL__N_124unique_dim_cuda_templateImEESt5tupleIJNSF_6TensorESK_SK_EERKSK_lbbbEUlllE0_EEPmJS9_EEE10hipError_tPvRmT3_T4_T5_T6_T7_T9_mT8_P12ihipStream_tbDpT10_ENKUlT_T0_E_clISt17integral_constantIbLb1EES1A_EEDaS15_S16_EUlS15_E_NS1_11comp_targetILNS1_3genE0ELNS1_11target_archE4294967295ELNS1_3gpuE0ELNS1_3repE0EEENS1_30default_config_static_selectorELNS0_4arch9wavefront6targetE1EEEvT1_.numbered_sgpr, 0
	.set _ZN7rocprim17ROCPRIM_400000_NS6detail17trampoline_kernelINS0_14default_configENS1_25partition_config_selectorILNS1_17partition_subalgoE9EllbEEZZNS1_14partition_implILS5_9ELb0ES3_jPlS8_PNS0_10empty_typeENS0_5tupleIJS8_S9_EEENSB_IJS8_SA_EEENS0_18inequality_wrapperIZN2at6native12_GLOBAL__N_124unique_dim_cuda_templateImEESt5tupleIJNSF_6TensorESK_SK_EERKSK_lbbbEUlllE0_EEPmJS9_EEE10hipError_tPvRmT3_T4_T5_T6_T7_T9_mT8_P12ihipStream_tbDpT10_ENKUlT_T0_E_clISt17integral_constantIbLb1EES1A_EEDaS15_S16_EUlS15_E_NS1_11comp_targetILNS1_3genE0ELNS1_11target_archE4294967295ELNS1_3gpuE0ELNS1_3repE0EEENS1_30default_config_static_selectorELNS0_4arch9wavefront6targetE1EEEvT1_.num_named_barrier, 0
	.set _ZN7rocprim17ROCPRIM_400000_NS6detail17trampoline_kernelINS0_14default_configENS1_25partition_config_selectorILNS1_17partition_subalgoE9EllbEEZZNS1_14partition_implILS5_9ELb0ES3_jPlS8_PNS0_10empty_typeENS0_5tupleIJS8_S9_EEENSB_IJS8_SA_EEENS0_18inequality_wrapperIZN2at6native12_GLOBAL__N_124unique_dim_cuda_templateImEESt5tupleIJNSF_6TensorESK_SK_EERKSK_lbbbEUlllE0_EEPmJS9_EEE10hipError_tPvRmT3_T4_T5_T6_T7_T9_mT8_P12ihipStream_tbDpT10_ENKUlT_T0_E_clISt17integral_constantIbLb1EES1A_EEDaS15_S16_EUlS15_E_NS1_11comp_targetILNS1_3genE0ELNS1_11target_archE4294967295ELNS1_3gpuE0ELNS1_3repE0EEENS1_30default_config_static_selectorELNS0_4arch9wavefront6targetE1EEEvT1_.private_seg_size, 0
	.set _ZN7rocprim17ROCPRIM_400000_NS6detail17trampoline_kernelINS0_14default_configENS1_25partition_config_selectorILNS1_17partition_subalgoE9EllbEEZZNS1_14partition_implILS5_9ELb0ES3_jPlS8_PNS0_10empty_typeENS0_5tupleIJS8_S9_EEENSB_IJS8_SA_EEENS0_18inequality_wrapperIZN2at6native12_GLOBAL__N_124unique_dim_cuda_templateImEESt5tupleIJNSF_6TensorESK_SK_EERKSK_lbbbEUlllE0_EEPmJS9_EEE10hipError_tPvRmT3_T4_T5_T6_T7_T9_mT8_P12ihipStream_tbDpT10_ENKUlT_T0_E_clISt17integral_constantIbLb1EES1A_EEDaS15_S16_EUlS15_E_NS1_11comp_targetILNS1_3genE0ELNS1_11target_archE4294967295ELNS1_3gpuE0ELNS1_3repE0EEENS1_30default_config_static_selectorELNS0_4arch9wavefront6targetE1EEEvT1_.uses_vcc, 0
	.set _ZN7rocprim17ROCPRIM_400000_NS6detail17trampoline_kernelINS0_14default_configENS1_25partition_config_selectorILNS1_17partition_subalgoE9EllbEEZZNS1_14partition_implILS5_9ELb0ES3_jPlS8_PNS0_10empty_typeENS0_5tupleIJS8_S9_EEENSB_IJS8_SA_EEENS0_18inequality_wrapperIZN2at6native12_GLOBAL__N_124unique_dim_cuda_templateImEESt5tupleIJNSF_6TensorESK_SK_EERKSK_lbbbEUlllE0_EEPmJS9_EEE10hipError_tPvRmT3_T4_T5_T6_T7_T9_mT8_P12ihipStream_tbDpT10_ENKUlT_T0_E_clISt17integral_constantIbLb1EES1A_EEDaS15_S16_EUlS15_E_NS1_11comp_targetILNS1_3genE0ELNS1_11target_archE4294967295ELNS1_3gpuE0ELNS1_3repE0EEENS1_30default_config_static_selectorELNS0_4arch9wavefront6targetE1EEEvT1_.uses_flat_scratch, 0
	.set _ZN7rocprim17ROCPRIM_400000_NS6detail17trampoline_kernelINS0_14default_configENS1_25partition_config_selectorILNS1_17partition_subalgoE9EllbEEZZNS1_14partition_implILS5_9ELb0ES3_jPlS8_PNS0_10empty_typeENS0_5tupleIJS8_S9_EEENSB_IJS8_SA_EEENS0_18inequality_wrapperIZN2at6native12_GLOBAL__N_124unique_dim_cuda_templateImEESt5tupleIJNSF_6TensorESK_SK_EERKSK_lbbbEUlllE0_EEPmJS9_EEE10hipError_tPvRmT3_T4_T5_T6_T7_T9_mT8_P12ihipStream_tbDpT10_ENKUlT_T0_E_clISt17integral_constantIbLb1EES1A_EEDaS15_S16_EUlS15_E_NS1_11comp_targetILNS1_3genE0ELNS1_11target_archE4294967295ELNS1_3gpuE0ELNS1_3repE0EEENS1_30default_config_static_selectorELNS0_4arch9wavefront6targetE1EEEvT1_.has_dyn_sized_stack, 0
	.set _ZN7rocprim17ROCPRIM_400000_NS6detail17trampoline_kernelINS0_14default_configENS1_25partition_config_selectorILNS1_17partition_subalgoE9EllbEEZZNS1_14partition_implILS5_9ELb0ES3_jPlS8_PNS0_10empty_typeENS0_5tupleIJS8_S9_EEENSB_IJS8_SA_EEENS0_18inequality_wrapperIZN2at6native12_GLOBAL__N_124unique_dim_cuda_templateImEESt5tupleIJNSF_6TensorESK_SK_EERKSK_lbbbEUlllE0_EEPmJS9_EEE10hipError_tPvRmT3_T4_T5_T6_T7_T9_mT8_P12ihipStream_tbDpT10_ENKUlT_T0_E_clISt17integral_constantIbLb1EES1A_EEDaS15_S16_EUlS15_E_NS1_11comp_targetILNS1_3genE0ELNS1_11target_archE4294967295ELNS1_3gpuE0ELNS1_3repE0EEENS1_30default_config_static_selectorELNS0_4arch9wavefront6targetE1EEEvT1_.has_recursion, 0
	.set _ZN7rocprim17ROCPRIM_400000_NS6detail17trampoline_kernelINS0_14default_configENS1_25partition_config_selectorILNS1_17partition_subalgoE9EllbEEZZNS1_14partition_implILS5_9ELb0ES3_jPlS8_PNS0_10empty_typeENS0_5tupleIJS8_S9_EEENSB_IJS8_SA_EEENS0_18inequality_wrapperIZN2at6native12_GLOBAL__N_124unique_dim_cuda_templateImEESt5tupleIJNSF_6TensorESK_SK_EERKSK_lbbbEUlllE0_EEPmJS9_EEE10hipError_tPvRmT3_T4_T5_T6_T7_T9_mT8_P12ihipStream_tbDpT10_ENKUlT_T0_E_clISt17integral_constantIbLb1EES1A_EEDaS15_S16_EUlS15_E_NS1_11comp_targetILNS1_3genE0ELNS1_11target_archE4294967295ELNS1_3gpuE0ELNS1_3repE0EEENS1_30default_config_static_selectorELNS0_4arch9wavefront6targetE1EEEvT1_.has_indirect_call, 0
	.section	.AMDGPU.csdata,"",@progbits
; Kernel info:
; codeLenInByte = 4
; TotalNumSgprs: 6
; NumVgprs: 0
; NumAgprs: 0
; TotalNumVgprs: 0
; ScratchSize: 0
; MemoryBound: 0
; FloatMode: 240
; IeeeMode: 1
; LDSByteSize: 0 bytes/workgroup (compile time only)
; SGPRBlocks: 0
; VGPRBlocks: 0
; NumSGPRsForWavesPerEU: 6
; NumVGPRsForWavesPerEU: 1
; AccumOffset: 4
; Occupancy: 8
; WaveLimiterHint : 0
; COMPUTE_PGM_RSRC2:SCRATCH_EN: 0
; COMPUTE_PGM_RSRC2:USER_SGPR: 2
; COMPUTE_PGM_RSRC2:TRAP_HANDLER: 0
; COMPUTE_PGM_RSRC2:TGID_X_EN: 1
; COMPUTE_PGM_RSRC2:TGID_Y_EN: 0
; COMPUTE_PGM_RSRC2:TGID_Z_EN: 0
; COMPUTE_PGM_RSRC2:TIDIG_COMP_CNT: 0
; COMPUTE_PGM_RSRC3_GFX90A:ACCUM_OFFSET: 0
; COMPUTE_PGM_RSRC3_GFX90A:TG_SPLIT: 0
	.section	.text._ZN7rocprim17ROCPRIM_400000_NS6detail17trampoline_kernelINS0_14default_configENS1_25partition_config_selectorILNS1_17partition_subalgoE9EllbEEZZNS1_14partition_implILS5_9ELb0ES3_jPlS8_PNS0_10empty_typeENS0_5tupleIJS8_S9_EEENSB_IJS8_SA_EEENS0_18inequality_wrapperIZN2at6native12_GLOBAL__N_124unique_dim_cuda_templateImEESt5tupleIJNSF_6TensorESK_SK_EERKSK_lbbbEUlllE0_EEPmJS9_EEE10hipError_tPvRmT3_T4_T5_T6_T7_T9_mT8_P12ihipStream_tbDpT10_ENKUlT_T0_E_clISt17integral_constantIbLb1EES1A_EEDaS15_S16_EUlS15_E_NS1_11comp_targetILNS1_3genE5ELNS1_11target_archE942ELNS1_3gpuE9ELNS1_3repE0EEENS1_30default_config_static_selectorELNS0_4arch9wavefront6targetE1EEEvT1_,"axG",@progbits,_ZN7rocprim17ROCPRIM_400000_NS6detail17trampoline_kernelINS0_14default_configENS1_25partition_config_selectorILNS1_17partition_subalgoE9EllbEEZZNS1_14partition_implILS5_9ELb0ES3_jPlS8_PNS0_10empty_typeENS0_5tupleIJS8_S9_EEENSB_IJS8_SA_EEENS0_18inequality_wrapperIZN2at6native12_GLOBAL__N_124unique_dim_cuda_templateImEESt5tupleIJNSF_6TensorESK_SK_EERKSK_lbbbEUlllE0_EEPmJS9_EEE10hipError_tPvRmT3_T4_T5_T6_T7_T9_mT8_P12ihipStream_tbDpT10_ENKUlT_T0_E_clISt17integral_constantIbLb1EES1A_EEDaS15_S16_EUlS15_E_NS1_11comp_targetILNS1_3genE5ELNS1_11target_archE942ELNS1_3gpuE9ELNS1_3repE0EEENS1_30default_config_static_selectorELNS0_4arch9wavefront6targetE1EEEvT1_,comdat
	.globl	_ZN7rocprim17ROCPRIM_400000_NS6detail17trampoline_kernelINS0_14default_configENS1_25partition_config_selectorILNS1_17partition_subalgoE9EllbEEZZNS1_14partition_implILS5_9ELb0ES3_jPlS8_PNS0_10empty_typeENS0_5tupleIJS8_S9_EEENSB_IJS8_SA_EEENS0_18inequality_wrapperIZN2at6native12_GLOBAL__N_124unique_dim_cuda_templateImEESt5tupleIJNSF_6TensorESK_SK_EERKSK_lbbbEUlllE0_EEPmJS9_EEE10hipError_tPvRmT3_T4_T5_T6_T7_T9_mT8_P12ihipStream_tbDpT10_ENKUlT_T0_E_clISt17integral_constantIbLb1EES1A_EEDaS15_S16_EUlS15_E_NS1_11comp_targetILNS1_3genE5ELNS1_11target_archE942ELNS1_3gpuE9ELNS1_3repE0EEENS1_30default_config_static_selectorELNS0_4arch9wavefront6targetE1EEEvT1_ ; -- Begin function _ZN7rocprim17ROCPRIM_400000_NS6detail17trampoline_kernelINS0_14default_configENS1_25partition_config_selectorILNS1_17partition_subalgoE9EllbEEZZNS1_14partition_implILS5_9ELb0ES3_jPlS8_PNS0_10empty_typeENS0_5tupleIJS8_S9_EEENSB_IJS8_SA_EEENS0_18inequality_wrapperIZN2at6native12_GLOBAL__N_124unique_dim_cuda_templateImEESt5tupleIJNSF_6TensorESK_SK_EERKSK_lbbbEUlllE0_EEPmJS9_EEE10hipError_tPvRmT3_T4_T5_T6_T7_T9_mT8_P12ihipStream_tbDpT10_ENKUlT_T0_E_clISt17integral_constantIbLb1EES1A_EEDaS15_S16_EUlS15_E_NS1_11comp_targetILNS1_3genE5ELNS1_11target_archE942ELNS1_3gpuE9ELNS1_3repE0EEENS1_30default_config_static_selectorELNS0_4arch9wavefront6targetE1EEEvT1_
	.p2align	8
	.type	_ZN7rocprim17ROCPRIM_400000_NS6detail17trampoline_kernelINS0_14default_configENS1_25partition_config_selectorILNS1_17partition_subalgoE9EllbEEZZNS1_14partition_implILS5_9ELb0ES3_jPlS8_PNS0_10empty_typeENS0_5tupleIJS8_S9_EEENSB_IJS8_SA_EEENS0_18inequality_wrapperIZN2at6native12_GLOBAL__N_124unique_dim_cuda_templateImEESt5tupleIJNSF_6TensorESK_SK_EERKSK_lbbbEUlllE0_EEPmJS9_EEE10hipError_tPvRmT3_T4_T5_T6_T7_T9_mT8_P12ihipStream_tbDpT10_ENKUlT_T0_E_clISt17integral_constantIbLb1EES1A_EEDaS15_S16_EUlS15_E_NS1_11comp_targetILNS1_3genE5ELNS1_11target_archE942ELNS1_3gpuE9ELNS1_3repE0EEENS1_30default_config_static_selectorELNS0_4arch9wavefront6targetE1EEEvT1_,@function
_ZN7rocprim17ROCPRIM_400000_NS6detail17trampoline_kernelINS0_14default_configENS1_25partition_config_selectorILNS1_17partition_subalgoE9EllbEEZZNS1_14partition_implILS5_9ELb0ES3_jPlS8_PNS0_10empty_typeENS0_5tupleIJS8_S9_EEENSB_IJS8_SA_EEENS0_18inequality_wrapperIZN2at6native12_GLOBAL__N_124unique_dim_cuda_templateImEESt5tupleIJNSF_6TensorESK_SK_EERKSK_lbbbEUlllE0_EEPmJS9_EEE10hipError_tPvRmT3_T4_T5_T6_T7_T9_mT8_P12ihipStream_tbDpT10_ENKUlT_T0_E_clISt17integral_constantIbLb1EES1A_EEDaS15_S16_EUlS15_E_NS1_11comp_targetILNS1_3genE5ELNS1_11target_archE942ELNS1_3gpuE9ELNS1_3repE0EEENS1_30default_config_static_selectorELNS0_4arch9wavefront6targetE1EEEvT1_: ; @_ZN7rocprim17ROCPRIM_400000_NS6detail17trampoline_kernelINS0_14default_configENS1_25partition_config_selectorILNS1_17partition_subalgoE9EllbEEZZNS1_14partition_implILS5_9ELb0ES3_jPlS8_PNS0_10empty_typeENS0_5tupleIJS8_S9_EEENSB_IJS8_SA_EEENS0_18inequality_wrapperIZN2at6native12_GLOBAL__N_124unique_dim_cuda_templateImEESt5tupleIJNSF_6TensorESK_SK_EERKSK_lbbbEUlllE0_EEPmJS9_EEE10hipError_tPvRmT3_T4_T5_T6_T7_T9_mT8_P12ihipStream_tbDpT10_ENKUlT_T0_E_clISt17integral_constantIbLb1EES1A_EEDaS15_S16_EUlS15_E_NS1_11comp_targetILNS1_3genE5ELNS1_11target_archE942ELNS1_3gpuE9ELNS1_3repE0EEENS1_30default_config_static_selectorELNS0_4arch9wavefront6targetE1EEEvT1_
; %bb.0:
	.section	.rodata,"a",@progbits
	.p2align	6, 0x0
	.amdhsa_kernel _ZN7rocprim17ROCPRIM_400000_NS6detail17trampoline_kernelINS0_14default_configENS1_25partition_config_selectorILNS1_17partition_subalgoE9EllbEEZZNS1_14partition_implILS5_9ELb0ES3_jPlS8_PNS0_10empty_typeENS0_5tupleIJS8_S9_EEENSB_IJS8_SA_EEENS0_18inequality_wrapperIZN2at6native12_GLOBAL__N_124unique_dim_cuda_templateImEESt5tupleIJNSF_6TensorESK_SK_EERKSK_lbbbEUlllE0_EEPmJS9_EEE10hipError_tPvRmT3_T4_T5_T6_T7_T9_mT8_P12ihipStream_tbDpT10_ENKUlT_T0_E_clISt17integral_constantIbLb1EES1A_EEDaS15_S16_EUlS15_E_NS1_11comp_targetILNS1_3genE5ELNS1_11target_archE942ELNS1_3gpuE9ELNS1_3repE0EEENS1_30default_config_static_selectorELNS0_4arch9wavefront6targetE1EEEvT1_
		.amdhsa_group_segment_fixed_size 0
		.amdhsa_private_segment_fixed_size 0
		.amdhsa_kernarg_size 136
		.amdhsa_user_sgpr_count 2
		.amdhsa_user_sgpr_dispatch_ptr 0
		.amdhsa_user_sgpr_queue_ptr 0
		.amdhsa_user_sgpr_kernarg_segment_ptr 1
		.amdhsa_user_sgpr_dispatch_id 0
		.amdhsa_user_sgpr_kernarg_preload_length 0
		.amdhsa_user_sgpr_kernarg_preload_offset 0
		.amdhsa_user_sgpr_private_segment_size 0
		.amdhsa_uses_dynamic_stack 0
		.amdhsa_enable_private_segment 0
		.amdhsa_system_sgpr_workgroup_id_x 1
		.amdhsa_system_sgpr_workgroup_id_y 0
		.amdhsa_system_sgpr_workgroup_id_z 0
		.amdhsa_system_sgpr_workgroup_info 0
		.amdhsa_system_vgpr_workitem_id 0
		.amdhsa_next_free_vgpr 1
		.amdhsa_next_free_sgpr 0
		.amdhsa_accum_offset 4
		.amdhsa_reserve_vcc 0
		.amdhsa_float_round_mode_32 0
		.amdhsa_float_round_mode_16_64 0
		.amdhsa_float_denorm_mode_32 3
		.amdhsa_float_denorm_mode_16_64 3
		.amdhsa_dx10_clamp 1
		.amdhsa_ieee_mode 1
		.amdhsa_fp16_overflow 0
		.amdhsa_tg_split 0
		.amdhsa_exception_fp_ieee_invalid_op 0
		.amdhsa_exception_fp_denorm_src 0
		.amdhsa_exception_fp_ieee_div_zero 0
		.amdhsa_exception_fp_ieee_overflow 0
		.amdhsa_exception_fp_ieee_underflow 0
		.amdhsa_exception_fp_ieee_inexact 0
		.amdhsa_exception_int_div_zero 0
	.end_amdhsa_kernel
	.section	.text._ZN7rocprim17ROCPRIM_400000_NS6detail17trampoline_kernelINS0_14default_configENS1_25partition_config_selectorILNS1_17partition_subalgoE9EllbEEZZNS1_14partition_implILS5_9ELb0ES3_jPlS8_PNS0_10empty_typeENS0_5tupleIJS8_S9_EEENSB_IJS8_SA_EEENS0_18inequality_wrapperIZN2at6native12_GLOBAL__N_124unique_dim_cuda_templateImEESt5tupleIJNSF_6TensorESK_SK_EERKSK_lbbbEUlllE0_EEPmJS9_EEE10hipError_tPvRmT3_T4_T5_T6_T7_T9_mT8_P12ihipStream_tbDpT10_ENKUlT_T0_E_clISt17integral_constantIbLb1EES1A_EEDaS15_S16_EUlS15_E_NS1_11comp_targetILNS1_3genE5ELNS1_11target_archE942ELNS1_3gpuE9ELNS1_3repE0EEENS1_30default_config_static_selectorELNS0_4arch9wavefront6targetE1EEEvT1_,"axG",@progbits,_ZN7rocprim17ROCPRIM_400000_NS6detail17trampoline_kernelINS0_14default_configENS1_25partition_config_selectorILNS1_17partition_subalgoE9EllbEEZZNS1_14partition_implILS5_9ELb0ES3_jPlS8_PNS0_10empty_typeENS0_5tupleIJS8_S9_EEENSB_IJS8_SA_EEENS0_18inequality_wrapperIZN2at6native12_GLOBAL__N_124unique_dim_cuda_templateImEESt5tupleIJNSF_6TensorESK_SK_EERKSK_lbbbEUlllE0_EEPmJS9_EEE10hipError_tPvRmT3_T4_T5_T6_T7_T9_mT8_P12ihipStream_tbDpT10_ENKUlT_T0_E_clISt17integral_constantIbLb1EES1A_EEDaS15_S16_EUlS15_E_NS1_11comp_targetILNS1_3genE5ELNS1_11target_archE942ELNS1_3gpuE9ELNS1_3repE0EEENS1_30default_config_static_selectorELNS0_4arch9wavefront6targetE1EEEvT1_,comdat
.Lfunc_end1704:
	.size	_ZN7rocprim17ROCPRIM_400000_NS6detail17trampoline_kernelINS0_14default_configENS1_25partition_config_selectorILNS1_17partition_subalgoE9EllbEEZZNS1_14partition_implILS5_9ELb0ES3_jPlS8_PNS0_10empty_typeENS0_5tupleIJS8_S9_EEENSB_IJS8_SA_EEENS0_18inequality_wrapperIZN2at6native12_GLOBAL__N_124unique_dim_cuda_templateImEESt5tupleIJNSF_6TensorESK_SK_EERKSK_lbbbEUlllE0_EEPmJS9_EEE10hipError_tPvRmT3_T4_T5_T6_T7_T9_mT8_P12ihipStream_tbDpT10_ENKUlT_T0_E_clISt17integral_constantIbLb1EES1A_EEDaS15_S16_EUlS15_E_NS1_11comp_targetILNS1_3genE5ELNS1_11target_archE942ELNS1_3gpuE9ELNS1_3repE0EEENS1_30default_config_static_selectorELNS0_4arch9wavefront6targetE1EEEvT1_, .Lfunc_end1704-_ZN7rocprim17ROCPRIM_400000_NS6detail17trampoline_kernelINS0_14default_configENS1_25partition_config_selectorILNS1_17partition_subalgoE9EllbEEZZNS1_14partition_implILS5_9ELb0ES3_jPlS8_PNS0_10empty_typeENS0_5tupleIJS8_S9_EEENSB_IJS8_SA_EEENS0_18inequality_wrapperIZN2at6native12_GLOBAL__N_124unique_dim_cuda_templateImEESt5tupleIJNSF_6TensorESK_SK_EERKSK_lbbbEUlllE0_EEPmJS9_EEE10hipError_tPvRmT3_T4_T5_T6_T7_T9_mT8_P12ihipStream_tbDpT10_ENKUlT_T0_E_clISt17integral_constantIbLb1EES1A_EEDaS15_S16_EUlS15_E_NS1_11comp_targetILNS1_3genE5ELNS1_11target_archE942ELNS1_3gpuE9ELNS1_3repE0EEENS1_30default_config_static_selectorELNS0_4arch9wavefront6targetE1EEEvT1_
                                        ; -- End function
	.set _ZN7rocprim17ROCPRIM_400000_NS6detail17trampoline_kernelINS0_14default_configENS1_25partition_config_selectorILNS1_17partition_subalgoE9EllbEEZZNS1_14partition_implILS5_9ELb0ES3_jPlS8_PNS0_10empty_typeENS0_5tupleIJS8_S9_EEENSB_IJS8_SA_EEENS0_18inequality_wrapperIZN2at6native12_GLOBAL__N_124unique_dim_cuda_templateImEESt5tupleIJNSF_6TensorESK_SK_EERKSK_lbbbEUlllE0_EEPmJS9_EEE10hipError_tPvRmT3_T4_T5_T6_T7_T9_mT8_P12ihipStream_tbDpT10_ENKUlT_T0_E_clISt17integral_constantIbLb1EES1A_EEDaS15_S16_EUlS15_E_NS1_11comp_targetILNS1_3genE5ELNS1_11target_archE942ELNS1_3gpuE9ELNS1_3repE0EEENS1_30default_config_static_selectorELNS0_4arch9wavefront6targetE1EEEvT1_.num_vgpr, 0
	.set _ZN7rocprim17ROCPRIM_400000_NS6detail17trampoline_kernelINS0_14default_configENS1_25partition_config_selectorILNS1_17partition_subalgoE9EllbEEZZNS1_14partition_implILS5_9ELb0ES3_jPlS8_PNS0_10empty_typeENS0_5tupleIJS8_S9_EEENSB_IJS8_SA_EEENS0_18inequality_wrapperIZN2at6native12_GLOBAL__N_124unique_dim_cuda_templateImEESt5tupleIJNSF_6TensorESK_SK_EERKSK_lbbbEUlllE0_EEPmJS9_EEE10hipError_tPvRmT3_T4_T5_T6_T7_T9_mT8_P12ihipStream_tbDpT10_ENKUlT_T0_E_clISt17integral_constantIbLb1EES1A_EEDaS15_S16_EUlS15_E_NS1_11comp_targetILNS1_3genE5ELNS1_11target_archE942ELNS1_3gpuE9ELNS1_3repE0EEENS1_30default_config_static_selectorELNS0_4arch9wavefront6targetE1EEEvT1_.num_agpr, 0
	.set _ZN7rocprim17ROCPRIM_400000_NS6detail17trampoline_kernelINS0_14default_configENS1_25partition_config_selectorILNS1_17partition_subalgoE9EllbEEZZNS1_14partition_implILS5_9ELb0ES3_jPlS8_PNS0_10empty_typeENS0_5tupleIJS8_S9_EEENSB_IJS8_SA_EEENS0_18inequality_wrapperIZN2at6native12_GLOBAL__N_124unique_dim_cuda_templateImEESt5tupleIJNSF_6TensorESK_SK_EERKSK_lbbbEUlllE0_EEPmJS9_EEE10hipError_tPvRmT3_T4_T5_T6_T7_T9_mT8_P12ihipStream_tbDpT10_ENKUlT_T0_E_clISt17integral_constantIbLb1EES1A_EEDaS15_S16_EUlS15_E_NS1_11comp_targetILNS1_3genE5ELNS1_11target_archE942ELNS1_3gpuE9ELNS1_3repE0EEENS1_30default_config_static_selectorELNS0_4arch9wavefront6targetE1EEEvT1_.numbered_sgpr, 0
	.set _ZN7rocprim17ROCPRIM_400000_NS6detail17trampoline_kernelINS0_14default_configENS1_25partition_config_selectorILNS1_17partition_subalgoE9EllbEEZZNS1_14partition_implILS5_9ELb0ES3_jPlS8_PNS0_10empty_typeENS0_5tupleIJS8_S9_EEENSB_IJS8_SA_EEENS0_18inequality_wrapperIZN2at6native12_GLOBAL__N_124unique_dim_cuda_templateImEESt5tupleIJNSF_6TensorESK_SK_EERKSK_lbbbEUlllE0_EEPmJS9_EEE10hipError_tPvRmT3_T4_T5_T6_T7_T9_mT8_P12ihipStream_tbDpT10_ENKUlT_T0_E_clISt17integral_constantIbLb1EES1A_EEDaS15_S16_EUlS15_E_NS1_11comp_targetILNS1_3genE5ELNS1_11target_archE942ELNS1_3gpuE9ELNS1_3repE0EEENS1_30default_config_static_selectorELNS0_4arch9wavefront6targetE1EEEvT1_.num_named_barrier, 0
	.set _ZN7rocprim17ROCPRIM_400000_NS6detail17trampoline_kernelINS0_14default_configENS1_25partition_config_selectorILNS1_17partition_subalgoE9EllbEEZZNS1_14partition_implILS5_9ELb0ES3_jPlS8_PNS0_10empty_typeENS0_5tupleIJS8_S9_EEENSB_IJS8_SA_EEENS0_18inequality_wrapperIZN2at6native12_GLOBAL__N_124unique_dim_cuda_templateImEESt5tupleIJNSF_6TensorESK_SK_EERKSK_lbbbEUlllE0_EEPmJS9_EEE10hipError_tPvRmT3_T4_T5_T6_T7_T9_mT8_P12ihipStream_tbDpT10_ENKUlT_T0_E_clISt17integral_constantIbLb1EES1A_EEDaS15_S16_EUlS15_E_NS1_11comp_targetILNS1_3genE5ELNS1_11target_archE942ELNS1_3gpuE9ELNS1_3repE0EEENS1_30default_config_static_selectorELNS0_4arch9wavefront6targetE1EEEvT1_.private_seg_size, 0
	.set _ZN7rocprim17ROCPRIM_400000_NS6detail17trampoline_kernelINS0_14default_configENS1_25partition_config_selectorILNS1_17partition_subalgoE9EllbEEZZNS1_14partition_implILS5_9ELb0ES3_jPlS8_PNS0_10empty_typeENS0_5tupleIJS8_S9_EEENSB_IJS8_SA_EEENS0_18inequality_wrapperIZN2at6native12_GLOBAL__N_124unique_dim_cuda_templateImEESt5tupleIJNSF_6TensorESK_SK_EERKSK_lbbbEUlllE0_EEPmJS9_EEE10hipError_tPvRmT3_T4_T5_T6_T7_T9_mT8_P12ihipStream_tbDpT10_ENKUlT_T0_E_clISt17integral_constantIbLb1EES1A_EEDaS15_S16_EUlS15_E_NS1_11comp_targetILNS1_3genE5ELNS1_11target_archE942ELNS1_3gpuE9ELNS1_3repE0EEENS1_30default_config_static_selectorELNS0_4arch9wavefront6targetE1EEEvT1_.uses_vcc, 0
	.set _ZN7rocprim17ROCPRIM_400000_NS6detail17trampoline_kernelINS0_14default_configENS1_25partition_config_selectorILNS1_17partition_subalgoE9EllbEEZZNS1_14partition_implILS5_9ELb0ES3_jPlS8_PNS0_10empty_typeENS0_5tupleIJS8_S9_EEENSB_IJS8_SA_EEENS0_18inequality_wrapperIZN2at6native12_GLOBAL__N_124unique_dim_cuda_templateImEESt5tupleIJNSF_6TensorESK_SK_EERKSK_lbbbEUlllE0_EEPmJS9_EEE10hipError_tPvRmT3_T4_T5_T6_T7_T9_mT8_P12ihipStream_tbDpT10_ENKUlT_T0_E_clISt17integral_constantIbLb1EES1A_EEDaS15_S16_EUlS15_E_NS1_11comp_targetILNS1_3genE5ELNS1_11target_archE942ELNS1_3gpuE9ELNS1_3repE0EEENS1_30default_config_static_selectorELNS0_4arch9wavefront6targetE1EEEvT1_.uses_flat_scratch, 0
	.set _ZN7rocprim17ROCPRIM_400000_NS6detail17trampoline_kernelINS0_14default_configENS1_25partition_config_selectorILNS1_17partition_subalgoE9EllbEEZZNS1_14partition_implILS5_9ELb0ES3_jPlS8_PNS0_10empty_typeENS0_5tupleIJS8_S9_EEENSB_IJS8_SA_EEENS0_18inequality_wrapperIZN2at6native12_GLOBAL__N_124unique_dim_cuda_templateImEESt5tupleIJNSF_6TensorESK_SK_EERKSK_lbbbEUlllE0_EEPmJS9_EEE10hipError_tPvRmT3_T4_T5_T6_T7_T9_mT8_P12ihipStream_tbDpT10_ENKUlT_T0_E_clISt17integral_constantIbLb1EES1A_EEDaS15_S16_EUlS15_E_NS1_11comp_targetILNS1_3genE5ELNS1_11target_archE942ELNS1_3gpuE9ELNS1_3repE0EEENS1_30default_config_static_selectorELNS0_4arch9wavefront6targetE1EEEvT1_.has_dyn_sized_stack, 0
	.set _ZN7rocprim17ROCPRIM_400000_NS6detail17trampoline_kernelINS0_14default_configENS1_25partition_config_selectorILNS1_17partition_subalgoE9EllbEEZZNS1_14partition_implILS5_9ELb0ES3_jPlS8_PNS0_10empty_typeENS0_5tupleIJS8_S9_EEENSB_IJS8_SA_EEENS0_18inequality_wrapperIZN2at6native12_GLOBAL__N_124unique_dim_cuda_templateImEESt5tupleIJNSF_6TensorESK_SK_EERKSK_lbbbEUlllE0_EEPmJS9_EEE10hipError_tPvRmT3_T4_T5_T6_T7_T9_mT8_P12ihipStream_tbDpT10_ENKUlT_T0_E_clISt17integral_constantIbLb1EES1A_EEDaS15_S16_EUlS15_E_NS1_11comp_targetILNS1_3genE5ELNS1_11target_archE942ELNS1_3gpuE9ELNS1_3repE0EEENS1_30default_config_static_selectorELNS0_4arch9wavefront6targetE1EEEvT1_.has_recursion, 0
	.set _ZN7rocprim17ROCPRIM_400000_NS6detail17trampoline_kernelINS0_14default_configENS1_25partition_config_selectorILNS1_17partition_subalgoE9EllbEEZZNS1_14partition_implILS5_9ELb0ES3_jPlS8_PNS0_10empty_typeENS0_5tupleIJS8_S9_EEENSB_IJS8_SA_EEENS0_18inequality_wrapperIZN2at6native12_GLOBAL__N_124unique_dim_cuda_templateImEESt5tupleIJNSF_6TensorESK_SK_EERKSK_lbbbEUlllE0_EEPmJS9_EEE10hipError_tPvRmT3_T4_T5_T6_T7_T9_mT8_P12ihipStream_tbDpT10_ENKUlT_T0_E_clISt17integral_constantIbLb1EES1A_EEDaS15_S16_EUlS15_E_NS1_11comp_targetILNS1_3genE5ELNS1_11target_archE942ELNS1_3gpuE9ELNS1_3repE0EEENS1_30default_config_static_selectorELNS0_4arch9wavefront6targetE1EEEvT1_.has_indirect_call, 0
	.section	.AMDGPU.csdata,"",@progbits
; Kernel info:
; codeLenInByte = 0
; TotalNumSgprs: 6
; NumVgprs: 0
; NumAgprs: 0
; TotalNumVgprs: 0
; ScratchSize: 0
; MemoryBound: 0
; FloatMode: 240
; IeeeMode: 1
; LDSByteSize: 0 bytes/workgroup (compile time only)
; SGPRBlocks: 0
; VGPRBlocks: 0
; NumSGPRsForWavesPerEU: 6
; NumVGPRsForWavesPerEU: 1
; AccumOffset: 4
; Occupancy: 8
; WaveLimiterHint : 0
; COMPUTE_PGM_RSRC2:SCRATCH_EN: 0
; COMPUTE_PGM_RSRC2:USER_SGPR: 2
; COMPUTE_PGM_RSRC2:TRAP_HANDLER: 0
; COMPUTE_PGM_RSRC2:TGID_X_EN: 1
; COMPUTE_PGM_RSRC2:TGID_Y_EN: 0
; COMPUTE_PGM_RSRC2:TGID_Z_EN: 0
; COMPUTE_PGM_RSRC2:TIDIG_COMP_CNT: 0
; COMPUTE_PGM_RSRC3_GFX90A:ACCUM_OFFSET: 0
; COMPUTE_PGM_RSRC3_GFX90A:TG_SPLIT: 0
	.section	.text._ZN7rocprim17ROCPRIM_400000_NS6detail17trampoline_kernelINS0_14default_configENS1_25partition_config_selectorILNS1_17partition_subalgoE9EllbEEZZNS1_14partition_implILS5_9ELb0ES3_jPlS8_PNS0_10empty_typeENS0_5tupleIJS8_S9_EEENSB_IJS8_SA_EEENS0_18inequality_wrapperIZN2at6native12_GLOBAL__N_124unique_dim_cuda_templateImEESt5tupleIJNSF_6TensorESK_SK_EERKSK_lbbbEUlllE0_EEPmJS9_EEE10hipError_tPvRmT3_T4_T5_T6_T7_T9_mT8_P12ihipStream_tbDpT10_ENKUlT_T0_E_clISt17integral_constantIbLb1EES1A_EEDaS15_S16_EUlS15_E_NS1_11comp_targetILNS1_3genE4ELNS1_11target_archE910ELNS1_3gpuE8ELNS1_3repE0EEENS1_30default_config_static_selectorELNS0_4arch9wavefront6targetE1EEEvT1_,"axG",@progbits,_ZN7rocprim17ROCPRIM_400000_NS6detail17trampoline_kernelINS0_14default_configENS1_25partition_config_selectorILNS1_17partition_subalgoE9EllbEEZZNS1_14partition_implILS5_9ELb0ES3_jPlS8_PNS0_10empty_typeENS0_5tupleIJS8_S9_EEENSB_IJS8_SA_EEENS0_18inequality_wrapperIZN2at6native12_GLOBAL__N_124unique_dim_cuda_templateImEESt5tupleIJNSF_6TensorESK_SK_EERKSK_lbbbEUlllE0_EEPmJS9_EEE10hipError_tPvRmT3_T4_T5_T6_T7_T9_mT8_P12ihipStream_tbDpT10_ENKUlT_T0_E_clISt17integral_constantIbLb1EES1A_EEDaS15_S16_EUlS15_E_NS1_11comp_targetILNS1_3genE4ELNS1_11target_archE910ELNS1_3gpuE8ELNS1_3repE0EEENS1_30default_config_static_selectorELNS0_4arch9wavefront6targetE1EEEvT1_,comdat
	.globl	_ZN7rocprim17ROCPRIM_400000_NS6detail17trampoline_kernelINS0_14default_configENS1_25partition_config_selectorILNS1_17partition_subalgoE9EllbEEZZNS1_14partition_implILS5_9ELb0ES3_jPlS8_PNS0_10empty_typeENS0_5tupleIJS8_S9_EEENSB_IJS8_SA_EEENS0_18inequality_wrapperIZN2at6native12_GLOBAL__N_124unique_dim_cuda_templateImEESt5tupleIJNSF_6TensorESK_SK_EERKSK_lbbbEUlllE0_EEPmJS9_EEE10hipError_tPvRmT3_T4_T5_T6_T7_T9_mT8_P12ihipStream_tbDpT10_ENKUlT_T0_E_clISt17integral_constantIbLb1EES1A_EEDaS15_S16_EUlS15_E_NS1_11comp_targetILNS1_3genE4ELNS1_11target_archE910ELNS1_3gpuE8ELNS1_3repE0EEENS1_30default_config_static_selectorELNS0_4arch9wavefront6targetE1EEEvT1_ ; -- Begin function _ZN7rocprim17ROCPRIM_400000_NS6detail17trampoline_kernelINS0_14default_configENS1_25partition_config_selectorILNS1_17partition_subalgoE9EllbEEZZNS1_14partition_implILS5_9ELb0ES3_jPlS8_PNS0_10empty_typeENS0_5tupleIJS8_S9_EEENSB_IJS8_SA_EEENS0_18inequality_wrapperIZN2at6native12_GLOBAL__N_124unique_dim_cuda_templateImEESt5tupleIJNSF_6TensorESK_SK_EERKSK_lbbbEUlllE0_EEPmJS9_EEE10hipError_tPvRmT3_T4_T5_T6_T7_T9_mT8_P12ihipStream_tbDpT10_ENKUlT_T0_E_clISt17integral_constantIbLb1EES1A_EEDaS15_S16_EUlS15_E_NS1_11comp_targetILNS1_3genE4ELNS1_11target_archE910ELNS1_3gpuE8ELNS1_3repE0EEENS1_30default_config_static_selectorELNS0_4arch9wavefront6targetE1EEEvT1_
	.p2align	8
	.type	_ZN7rocprim17ROCPRIM_400000_NS6detail17trampoline_kernelINS0_14default_configENS1_25partition_config_selectorILNS1_17partition_subalgoE9EllbEEZZNS1_14partition_implILS5_9ELb0ES3_jPlS8_PNS0_10empty_typeENS0_5tupleIJS8_S9_EEENSB_IJS8_SA_EEENS0_18inequality_wrapperIZN2at6native12_GLOBAL__N_124unique_dim_cuda_templateImEESt5tupleIJNSF_6TensorESK_SK_EERKSK_lbbbEUlllE0_EEPmJS9_EEE10hipError_tPvRmT3_T4_T5_T6_T7_T9_mT8_P12ihipStream_tbDpT10_ENKUlT_T0_E_clISt17integral_constantIbLb1EES1A_EEDaS15_S16_EUlS15_E_NS1_11comp_targetILNS1_3genE4ELNS1_11target_archE910ELNS1_3gpuE8ELNS1_3repE0EEENS1_30default_config_static_selectorELNS0_4arch9wavefront6targetE1EEEvT1_,@function
_ZN7rocprim17ROCPRIM_400000_NS6detail17trampoline_kernelINS0_14default_configENS1_25partition_config_selectorILNS1_17partition_subalgoE9EllbEEZZNS1_14partition_implILS5_9ELb0ES3_jPlS8_PNS0_10empty_typeENS0_5tupleIJS8_S9_EEENSB_IJS8_SA_EEENS0_18inequality_wrapperIZN2at6native12_GLOBAL__N_124unique_dim_cuda_templateImEESt5tupleIJNSF_6TensorESK_SK_EERKSK_lbbbEUlllE0_EEPmJS9_EEE10hipError_tPvRmT3_T4_T5_T6_T7_T9_mT8_P12ihipStream_tbDpT10_ENKUlT_T0_E_clISt17integral_constantIbLb1EES1A_EEDaS15_S16_EUlS15_E_NS1_11comp_targetILNS1_3genE4ELNS1_11target_archE910ELNS1_3gpuE8ELNS1_3repE0EEENS1_30default_config_static_selectorELNS0_4arch9wavefront6targetE1EEEvT1_: ; @_ZN7rocprim17ROCPRIM_400000_NS6detail17trampoline_kernelINS0_14default_configENS1_25partition_config_selectorILNS1_17partition_subalgoE9EllbEEZZNS1_14partition_implILS5_9ELb0ES3_jPlS8_PNS0_10empty_typeENS0_5tupleIJS8_S9_EEENSB_IJS8_SA_EEENS0_18inequality_wrapperIZN2at6native12_GLOBAL__N_124unique_dim_cuda_templateImEESt5tupleIJNSF_6TensorESK_SK_EERKSK_lbbbEUlllE0_EEPmJS9_EEE10hipError_tPvRmT3_T4_T5_T6_T7_T9_mT8_P12ihipStream_tbDpT10_ENKUlT_T0_E_clISt17integral_constantIbLb1EES1A_EEDaS15_S16_EUlS15_E_NS1_11comp_targetILNS1_3genE4ELNS1_11target_archE910ELNS1_3gpuE8ELNS1_3repE0EEENS1_30default_config_static_selectorELNS0_4arch9wavefront6targetE1EEEvT1_
; %bb.0:
	.section	.rodata,"a",@progbits
	.p2align	6, 0x0
	.amdhsa_kernel _ZN7rocprim17ROCPRIM_400000_NS6detail17trampoline_kernelINS0_14default_configENS1_25partition_config_selectorILNS1_17partition_subalgoE9EllbEEZZNS1_14partition_implILS5_9ELb0ES3_jPlS8_PNS0_10empty_typeENS0_5tupleIJS8_S9_EEENSB_IJS8_SA_EEENS0_18inequality_wrapperIZN2at6native12_GLOBAL__N_124unique_dim_cuda_templateImEESt5tupleIJNSF_6TensorESK_SK_EERKSK_lbbbEUlllE0_EEPmJS9_EEE10hipError_tPvRmT3_T4_T5_T6_T7_T9_mT8_P12ihipStream_tbDpT10_ENKUlT_T0_E_clISt17integral_constantIbLb1EES1A_EEDaS15_S16_EUlS15_E_NS1_11comp_targetILNS1_3genE4ELNS1_11target_archE910ELNS1_3gpuE8ELNS1_3repE0EEENS1_30default_config_static_selectorELNS0_4arch9wavefront6targetE1EEEvT1_
		.amdhsa_group_segment_fixed_size 0
		.amdhsa_private_segment_fixed_size 0
		.amdhsa_kernarg_size 136
		.amdhsa_user_sgpr_count 2
		.amdhsa_user_sgpr_dispatch_ptr 0
		.amdhsa_user_sgpr_queue_ptr 0
		.amdhsa_user_sgpr_kernarg_segment_ptr 1
		.amdhsa_user_sgpr_dispatch_id 0
		.amdhsa_user_sgpr_kernarg_preload_length 0
		.amdhsa_user_sgpr_kernarg_preload_offset 0
		.amdhsa_user_sgpr_private_segment_size 0
		.amdhsa_uses_dynamic_stack 0
		.amdhsa_enable_private_segment 0
		.amdhsa_system_sgpr_workgroup_id_x 1
		.amdhsa_system_sgpr_workgroup_id_y 0
		.amdhsa_system_sgpr_workgroup_id_z 0
		.amdhsa_system_sgpr_workgroup_info 0
		.amdhsa_system_vgpr_workitem_id 0
		.amdhsa_next_free_vgpr 1
		.amdhsa_next_free_sgpr 0
		.amdhsa_accum_offset 4
		.amdhsa_reserve_vcc 0
		.amdhsa_float_round_mode_32 0
		.amdhsa_float_round_mode_16_64 0
		.amdhsa_float_denorm_mode_32 3
		.amdhsa_float_denorm_mode_16_64 3
		.amdhsa_dx10_clamp 1
		.amdhsa_ieee_mode 1
		.amdhsa_fp16_overflow 0
		.amdhsa_tg_split 0
		.amdhsa_exception_fp_ieee_invalid_op 0
		.amdhsa_exception_fp_denorm_src 0
		.amdhsa_exception_fp_ieee_div_zero 0
		.amdhsa_exception_fp_ieee_overflow 0
		.amdhsa_exception_fp_ieee_underflow 0
		.amdhsa_exception_fp_ieee_inexact 0
		.amdhsa_exception_int_div_zero 0
	.end_amdhsa_kernel
	.section	.text._ZN7rocprim17ROCPRIM_400000_NS6detail17trampoline_kernelINS0_14default_configENS1_25partition_config_selectorILNS1_17partition_subalgoE9EllbEEZZNS1_14partition_implILS5_9ELb0ES3_jPlS8_PNS0_10empty_typeENS0_5tupleIJS8_S9_EEENSB_IJS8_SA_EEENS0_18inequality_wrapperIZN2at6native12_GLOBAL__N_124unique_dim_cuda_templateImEESt5tupleIJNSF_6TensorESK_SK_EERKSK_lbbbEUlllE0_EEPmJS9_EEE10hipError_tPvRmT3_T4_T5_T6_T7_T9_mT8_P12ihipStream_tbDpT10_ENKUlT_T0_E_clISt17integral_constantIbLb1EES1A_EEDaS15_S16_EUlS15_E_NS1_11comp_targetILNS1_3genE4ELNS1_11target_archE910ELNS1_3gpuE8ELNS1_3repE0EEENS1_30default_config_static_selectorELNS0_4arch9wavefront6targetE1EEEvT1_,"axG",@progbits,_ZN7rocprim17ROCPRIM_400000_NS6detail17trampoline_kernelINS0_14default_configENS1_25partition_config_selectorILNS1_17partition_subalgoE9EllbEEZZNS1_14partition_implILS5_9ELb0ES3_jPlS8_PNS0_10empty_typeENS0_5tupleIJS8_S9_EEENSB_IJS8_SA_EEENS0_18inequality_wrapperIZN2at6native12_GLOBAL__N_124unique_dim_cuda_templateImEESt5tupleIJNSF_6TensorESK_SK_EERKSK_lbbbEUlllE0_EEPmJS9_EEE10hipError_tPvRmT3_T4_T5_T6_T7_T9_mT8_P12ihipStream_tbDpT10_ENKUlT_T0_E_clISt17integral_constantIbLb1EES1A_EEDaS15_S16_EUlS15_E_NS1_11comp_targetILNS1_3genE4ELNS1_11target_archE910ELNS1_3gpuE8ELNS1_3repE0EEENS1_30default_config_static_selectorELNS0_4arch9wavefront6targetE1EEEvT1_,comdat
.Lfunc_end1705:
	.size	_ZN7rocprim17ROCPRIM_400000_NS6detail17trampoline_kernelINS0_14default_configENS1_25partition_config_selectorILNS1_17partition_subalgoE9EllbEEZZNS1_14partition_implILS5_9ELb0ES3_jPlS8_PNS0_10empty_typeENS0_5tupleIJS8_S9_EEENSB_IJS8_SA_EEENS0_18inequality_wrapperIZN2at6native12_GLOBAL__N_124unique_dim_cuda_templateImEESt5tupleIJNSF_6TensorESK_SK_EERKSK_lbbbEUlllE0_EEPmJS9_EEE10hipError_tPvRmT3_T4_T5_T6_T7_T9_mT8_P12ihipStream_tbDpT10_ENKUlT_T0_E_clISt17integral_constantIbLb1EES1A_EEDaS15_S16_EUlS15_E_NS1_11comp_targetILNS1_3genE4ELNS1_11target_archE910ELNS1_3gpuE8ELNS1_3repE0EEENS1_30default_config_static_selectorELNS0_4arch9wavefront6targetE1EEEvT1_, .Lfunc_end1705-_ZN7rocprim17ROCPRIM_400000_NS6detail17trampoline_kernelINS0_14default_configENS1_25partition_config_selectorILNS1_17partition_subalgoE9EllbEEZZNS1_14partition_implILS5_9ELb0ES3_jPlS8_PNS0_10empty_typeENS0_5tupleIJS8_S9_EEENSB_IJS8_SA_EEENS0_18inequality_wrapperIZN2at6native12_GLOBAL__N_124unique_dim_cuda_templateImEESt5tupleIJNSF_6TensorESK_SK_EERKSK_lbbbEUlllE0_EEPmJS9_EEE10hipError_tPvRmT3_T4_T5_T6_T7_T9_mT8_P12ihipStream_tbDpT10_ENKUlT_T0_E_clISt17integral_constantIbLb1EES1A_EEDaS15_S16_EUlS15_E_NS1_11comp_targetILNS1_3genE4ELNS1_11target_archE910ELNS1_3gpuE8ELNS1_3repE0EEENS1_30default_config_static_selectorELNS0_4arch9wavefront6targetE1EEEvT1_
                                        ; -- End function
	.set _ZN7rocprim17ROCPRIM_400000_NS6detail17trampoline_kernelINS0_14default_configENS1_25partition_config_selectorILNS1_17partition_subalgoE9EllbEEZZNS1_14partition_implILS5_9ELb0ES3_jPlS8_PNS0_10empty_typeENS0_5tupleIJS8_S9_EEENSB_IJS8_SA_EEENS0_18inequality_wrapperIZN2at6native12_GLOBAL__N_124unique_dim_cuda_templateImEESt5tupleIJNSF_6TensorESK_SK_EERKSK_lbbbEUlllE0_EEPmJS9_EEE10hipError_tPvRmT3_T4_T5_T6_T7_T9_mT8_P12ihipStream_tbDpT10_ENKUlT_T0_E_clISt17integral_constantIbLb1EES1A_EEDaS15_S16_EUlS15_E_NS1_11comp_targetILNS1_3genE4ELNS1_11target_archE910ELNS1_3gpuE8ELNS1_3repE0EEENS1_30default_config_static_selectorELNS0_4arch9wavefront6targetE1EEEvT1_.num_vgpr, 0
	.set _ZN7rocprim17ROCPRIM_400000_NS6detail17trampoline_kernelINS0_14default_configENS1_25partition_config_selectorILNS1_17partition_subalgoE9EllbEEZZNS1_14partition_implILS5_9ELb0ES3_jPlS8_PNS0_10empty_typeENS0_5tupleIJS8_S9_EEENSB_IJS8_SA_EEENS0_18inequality_wrapperIZN2at6native12_GLOBAL__N_124unique_dim_cuda_templateImEESt5tupleIJNSF_6TensorESK_SK_EERKSK_lbbbEUlllE0_EEPmJS9_EEE10hipError_tPvRmT3_T4_T5_T6_T7_T9_mT8_P12ihipStream_tbDpT10_ENKUlT_T0_E_clISt17integral_constantIbLb1EES1A_EEDaS15_S16_EUlS15_E_NS1_11comp_targetILNS1_3genE4ELNS1_11target_archE910ELNS1_3gpuE8ELNS1_3repE0EEENS1_30default_config_static_selectorELNS0_4arch9wavefront6targetE1EEEvT1_.num_agpr, 0
	.set _ZN7rocprim17ROCPRIM_400000_NS6detail17trampoline_kernelINS0_14default_configENS1_25partition_config_selectorILNS1_17partition_subalgoE9EllbEEZZNS1_14partition_implILS5_9ELb0ES3_jPlS8_PNS0_10empty_typeENS0_5tupleIJS8_S9_EEENSB_IJS8_SA_EEENS0_18inequality_wrapperIZN2at6native12_GLOBAL__N_124unique_dim_cuda_templateImEESt5tupleIJNSF_6TensorESK_SK_EERKSK_lbbbEUlllE0_EEPmJS9_EEE10hipError_tPvRmT3_T4_T5_T6_T7_T9_mT8_P12ihipStream_tbDpT10_ENKUlT_T0_E_clISt17integral_constantIbLb1EES1A_EEDaS15_S16_EUlS15_E_NS1_11comp_targetILNS1_3genE4ELNS1_11target_archE910ELNS1_3gpuE8ELNS1_3repE0EEENS1_30default_config_static_selectorELNS0_4arch9wavefront6targetE1EEEvT1_.numbered_sgpr, 0
	.set _ZN7rocprim17ROCPRIM_400000_NS6detail17trampoline_kernelINS0_14default_configENS1_25partition_config_selectorILNS1_17partition_subalgoE9EllbEEZZNS1_14partition_implILS5_9ELb0ES3_jPlS8_PNS0_10empty_typeENS0_5tupleIJS8_S9_EEENSB_IJS8_SA_EEENS0_18inequality_wrapperIZN2at6native12_GLOBAL__N_124unique_dim_cuda_templateImEESt5tupleIJNSF_6TensorESK_SK_EERKSK_lbbbEUlllE0_EEPmJS9_EEE10hipError_tPvRmT3_T4_T5_T6_T7_T9_mT8_P12ihipStream_tbDpT10_ENKUlT_T0_E_clISt17integral_constantIbLb1EES1A_EEDaS15_S16_EUlS15_E_NS1_11comp_targetILNS1_3genE4ELNS1_11target_archE910ELNS1_3gpuE8ELNS1_3repE0EEENS1_30default_config_static_selectorELNS0_4arch9wavefront6targetE1EEEvT1_.num_named_barrier, 0
	.set _ZN7rocprim17ROCPRIM_400000_NS6detail17trampoline_kernelINS0_14default_configENS1_25partition_config_selectorILNS1_17partition_subalgoE9EllbEEZZNS1_14partition_implILS5_9ELb0ES3_jPlS8_PNS0_10empty_typeENS0_5tupleIJS8_S9_EEENSB_IJS8_SA_EEENS0_18inequality_wrapperIZN2at6native12_GLOBAL__N_124unique_dim_cuda_templateImEESt5tupleIJNSF_6TensorESK_SK_EERKSK_lbbbEUlllE0_EEPmJS9_EEE10hipError_tPvRmT3_T4_T5_T6_T7_T9_mT8_P12ihipStream_tbDpT10_ENKUlT_T0_E_clISt17integral_constantIbLb1EES1A_EEDaS15_S16_EUlS15_E_NS1_11comp_targetILNS1_3genE4ELNS1_11target_archE910ELNS1_3gpuE8ELNS1_3repE0EEENS1_30default_config_static_selectorELNS0_4arch9wavefront6targetE1EEEvT1_.private_seg_size, 0
	.set _ZN7rocprim17ROCPRIM_400000_NS6detail17trampoline_kernelINS0_14default_configENS1_25partition_config_selectorILNS1_17partition_subalgoE9EllbEEZZNS1_14partition_implILS5_9ELb0ES3_jPlS8_PNS0_10empty_typeENS0_5tupleIJS8_S9_EEENSB_IJS8_SA_EEENS0_18inequality_wrapperIZN2at6native12_GLOBAL__N_124unique_dim_cuda_templateImEESt5tupleIJNSF_6TensorESK_SK_EERKSK_lbbbEUlllE0_EEPmJS9_EEE10hipError_tPvRmT3_T4_T5_T6_T7_T9_mT8_P12ihipStream_tbDpT10_ENKUlT_T0_E_clISt17integral_constantIbLb1EES1A_EEDaS15_S16_EUlS15_E_NS1_11comp_targetILNS1_3genE4ELNS1_11target_archE910ELNS1_3gpuE8ELNS1_3repE0EEENS1_30default_config_static_selectorELNS0_4arch9wavefront6targetE1EEEvT1_.uses_vcc, 0
	.set _ZN7rocprim17ROCPRIM_400000_NS6detail17trampoline_kernelINS0_14default_configENS1_25partition_config_selectorILNS1_17partition_subalgoE9EllbEEZZNS1_14partition_implILS5_9ELb0ES3_jPlS8_PNS0_10empty_typeENS0_5tupleIJS8_S9_EEENSB_IJS8_SA_EEENS0_18inequality_wrapperIZN2at6native12_GLOBAL__N_124unique_dim_cuda_templateImEESt5tupleIJNSF_6TensorESK_SK_EERKSK_lbbbEUlllE0_EEPmJS9_EEE10hipError_tPvRmT3_T4_T5_T6_T7_T9_mT8_P12ihipStream_tbDpT10_ENKUlT_T0_E_clISt17integral_constantIbLb1EES1A_EEDaS15_S16_EUlS15_E_NS1_11comp_targetILNS1_3genE4ELNS1_11target_archE910ELNS1_3gpuE8ELNS1_3repE0EEENS1_30default_config_static_selectorELNS0_4arch9wavefront6targetE1EEEvT1_.uses_flat_scratch, 0
	.set _ZN7rocprim17ROCPRIM_400000_NS6detail17trampoline_kernelINS0_14default_configENS1_25partition_config_selectorILNS1_17partition_subalgoE9EllbEEZZNS1_14partition_implILS5_9ELb0ES3_jPlS8_PNS0_10empty_typeENS0_5tupleIJS8_S9_EEENSB_IJS8_SA_EEENS0_18inequality_wrapperIZN2at6native12_GLOBAL__N_124unique_dim_cuda_templateImEESt5tupleIJNSF_6TensorESK_SK_EERKSK_lbbbEUlllE0_EEPmJS9_EEE10hipError_tPvRmT3_T4_T5_T6_T7_T9_mT8_P12ihipStream_tbDpT10_ENKUlT_T0_E_clISt17integral_constantIbLb1EES1A_EEDaS15_S16_EUlS15_E_NS1_11comp_targetILNS1_3genE4ELNS1_11target_archE910ELNS1_3gpuE8ELNS1_3repE0EEENS1_30default_config_static_selectorELNS0_4arch9wavefront6targetE1EEEvT1_.has_dyn_sized_stack, 0
	.set _ZN7rocprim17ROCPRIM_400000_NS6detail17trampoline_kernelINS0_14default_configENS1_25partition_config_selectorILNS1_17partition_subalgoE9EllbEEZZNS1_14partition_implILS5_9ELb0ES3_jPlS8_PNS0_10empty_typeENS0_5tupleIJS8_S9_EEENSB_IJS8_SA_EEENS0_18inequality_wrapperIZN2at6native12_GLOBAL__N_124unique_dim_cuda_templateImEESt5tupleIJNSF_6TensorESK_SK_EERKSK_lbbbEUlllE0_EEPmJS9_EEE10hipError_tPvRmT3_T4_T5_T6_T7_T9_mT8_P12ihipStream_tbDpT10_ENKUlT_T0_E_clISt17integral_constantIbLb1EES1A_EEDaS15_S16_EUlS15_E_NS1_11comp_targetILNS1_3genE4ELNS1_11target_archE910ELNS1_3gpuE8ELNS1_3repE0EEENS1_30default_config_static_selectorELNS0_4arch9wavefront6targetE1EEEvT1_.has_recursion, 0
	.set _ZN7rocprim17ROCPRIM_400000_NS6detail17trampoline_kernelINS0_14default_configENS1_25partition_config_selectorILNS1_17partition_subalgoE9EllbEEZZNS1_14partition_implILS5_9ELb0ES3_jPlS8_PNS0_10empty_typeENS0_5tupleIJS8_S9_EEENSB_IJS8_SA_EEENS0_18inequality_wrapperIZN2at6native12_GLOBAL__N_124unique_dim_cuda_templateImEESt5tupleIJNSF_6TensorESK_SK_EERKSK_lbbbEUlllE0_EEPmJS9_EEE10hipError_tPvRmT3_T4_T5_T6_T7_T9_mT8_P12ihipStream_tbDpT10_ENKUlT_T0_E_clISt17integral_constantIbLb1EES1A_EEDaS15_S16_EUlS15_E_NS1_11comp_targetILNS1_3genE4ELNS1_11target_archE910ELNS1_3gpuE8ELNS1_3repE0EEENS1_30default_config_static_selectorELNS0_4arch9wavefront6targetE1EEEvT1_.has_indirect_call, 0
	.section	.AMDGPU.csdata,"",@progbits
; Kernel info:
; codeLenInByte = 0
; TotalNumSgprs: 6
; NumVgprs: 0
; NumAgprs: 0
; TotalNumVgprs: 0
; ScratchSize: 0
; MemoryBound: 0
; FloatMode: 240
; IeeeMode: 1
; LDSByteSize: 0 bytes/workgroup (compile time only)
; SGPRBlocks: 0
; VGPRBlocks: 0
; NumSGPRsForWavesPerEU: 6
; NumVGPRsForWavesPerEU: 1
; AccumOffset: 4
; Occupancy: 8
; WaveLimiterHint : 0
; COMPUTE_PGM_RSRC2:SCRATCH_EN: 0
; COMPUTE_PGM_RSRC2:USER_SGPR: 2
; COMPUTE_PGM_RSRC2:TRAP_HANDLER: 0
; COMPUTE_PGM_RSRC2:TGID_X_EN: 1
; COMPUTE_PGM_RSRC2:TGID_Y_EN: 0
; COMPUTE_PGM_RSRC2:TGID_Z_EN: 0
; COMPUTE_PGM_RSRC2:TIDIG_COMP_CNT: 0
; COMPUTE_PGM_RSRC3_GFX90A:ACCUM_OFFSET: 0
; COMPUTE_PGM_RSRC3_GFX90A:TG_SPLIT: 0
	.section	.text._ZN7rocprim17ROCPRIM_400000_NS6detail17trampoline_kernelINS0_14default_configENS1_25partition_config_selectorILNS1_17partition_subalgoE9EllbEEZZNS1_14partition_implILS5_9ELb0ES3_jPlS8_PNS0_10empty_typeENS0_5tupleIJS8_S9_EEENSB_IJS8_SA_EEENS0_18inequality_wrapperIZN2at6native12_GLOBAL__N_124unique_dim_cuda_templateImEESt5tupleIJNSF_6TensorESK_SK_EERKSK_lbbbEUlllE0_EEPmJS9_EEE10hipError_tPvRmT3_T4_T5_T6_T7_T9_mT8_P12ihipStream_tbDpT10_ENKUlT_T0_E_clISt17integral_constantIbLb1EES1A_EEDaS15_S16_EUlS15_E_NS1_11comp_targetILNS1_3genE3ELNS1_11target_archE908ELNS1_3gpuE7ELNS1_3repE0EEENS1_30default_config_static_selectorELNS0_4arch9wavefront6targetE1EEEvT1_,"axG",@progbits,_ZN7rocprim17ROCPRIM_400000_NS6detail17trampoline_kernelINS0_14default_configENS1_25partition_config_selectorILNS1_17partition_subalgoE9EllbEEZZNS1_14partition_implILS5_9ELb0ES3_jPlS8_PNS0_10empty_typeENS0_5tupleIJS8_S9_EEENSB_IJS8_SA_EEENS0_18inequality_wrapperIZN2at6native12_GLOBAL__N_124unique_dim_cuda_templateImEESt5tupleIJNSF_6TensorESK_SK_EERKSK_lbbbEUlllE0_EEPmJS9_EEE10hipError_tPvRmT3_T4_T5_T6_T7_T9_mT8_P12ihipStream_tbDpT10_ENKUlT_T0_E_clISt17integral_constantIbLb1EES1A_EEDaS15_S16_EUlS15_E_NS1_11comp_targetILNS1_3genE3ELNS1_11target_archE908ELNS1_3gpuE7ELNS1_3repE0EEENS1_30default_config_static_selectorELNS0_4arch9wavefront6targetE1EEEvT1_,comdat
	.globl	_ZN7rocprim17ROCPRIM_400000_NS6detail17trampoline_kernelINS0_14default_configENS1_25partition_config_selectorILNS1_17partition_subalgoE9EllbEEZZNS1_14partition_implILS5_9ELb0ES3_jPlS8_PNS0_10empty_typeENS0_5tupleIJS8_S9_EEENSB_IJS8_SA_EEENS0_18inequality_wrapperIZN2at6native12_GLOBAL__N_124unique_dim_cuda_templateImEESt5tupleIJNSF_6TensorESK_SK_EERKSK_lbbbEUlllE0_EEPmJS9_EEE10hipError_tPvRmT3_T4_T5_T6_T7_T9_mT8_P12ihipStream_tbDpT10_ENKUlT_T0_E_clISt17integral_constantIbLb1EES1A_EEDaS15_S16_EUlS15_E_NS1_11comp_targetILNS1_3genE3ELNS1_11target_archE908ELNS1_3gpuE7ELNS1_3repE0EEENS1_30default_config_static_selectorELNS0_4arch9wavefront6targetE1EEEvT1_ ; -- Begin function _ZN7rocprim17ROCPRIM_400000_NS6detail17trampoline_kernelINS0_14default_configENS1_25partition_config_selectorILNS1_17partition_subalgoE9EllbEEZZNS1_14partition_implILS5_9ELb0ES3_jPlS8_PNS0_10empty_typeENS0_5tupleIJS8_S9_EEENSB_IJS8_SA_EEENS0_18inequality_wrapperIZN2at6native12_GLOBAL__N_124unique_dim_cuda_templateImEESt5tupleIJNSF_6TensorESK_SK_EERKSK_lbbbEUlllE0_EEPmJS9_EEE10hipError_tPvRmT3_T4_T5_T6_T7_T9_mT8_P12ihipStream_tbDpT10_ENKUlT_T0_E_clISt17integral_constantIbLb1EES1A_EEDaS15_S16_EUlS15_E_NS1_11comp_targetILNS1_3genE3ELNS1_11target_archE908ELNS1_3gpuE7ELNS1_3repE0EEENS1_30default_config_static_selectorELNS0_4arch9wavefront6targetE1EEEvT1_
	.p2align	8
	.type	_ZN7rocprim17ROCPRIM_400000_NS6detail17trampoline_kernelINS0_14default_configENS1_25partition_config_selectorILNS1_17partition_subalgoE9EllbEEZZNS1_14partition_implILS5_9ELb0ES3_jPlS8_PNS0_10empty_typeENS0_5tupleIJS8_S9_EEENSB_IJS8_SA_EEENS0_18inequality_wrapperIZN2at6native12_GLOBAL__N_124unique_dim_cuda_templateImEESt5tupleIJNSF_6TensorESK_SK_EERKSK_lbbbEUlllE0_EEPmJS9_EEE10hipError_tPvRmT3_T4_T5_T6_T7_T9_mT8_P12ihipStream_tbDpT10_ENKUlT_T0_E_clISt17integral_constantIbLb1EES1A_EEDaS15_S16_EUlS15_E_NS1_11comp_targetILNS1_3genE3ELNS1_11target_archE908ELNS1_3gpuE7ELNS1_3repE0EEENS1_30default_config_static_selectorELNS0_4arch9wavefront6targetE1EEEvT1_,@function
_ZN7rocprim17ROCPRIM_400000_NS6detail17trampoline_kernelINS0_14default_configENS1_25partition_config_selectorILNS1_17partition_subalgoE9EllbEEZZNS1_14partition_implILS5_9ELb0ES3_jPlS8_PNS0_10empty_typeENS0_5tupleIJS8_S9_EEENSB_IJS8_SA_EEENS0_18inequality_wrapperIZN2at6native12_GLOBAL__N_124unique_dim_cuda_templateImEESt5tupleIJNSF_6TensorESK_SK_EERKSK_lbbbEUlllE0_EEPmJS9_EEE10hipError_tPvRmT3_T4_T5_T6_T7_T9_mT8_P12ihipStream_tbDpT10_ENKUlT_T0_E_clISt17integral_constantIbLb1EES1A_EEDaS15_S16_EUlS15_E_NS1_11comp_targetILNS1_3genE3ELNS1_11target_archE908ELNS1_3gpuE7ELNS1_3repE0EEENS1_30default_config_static_selectorELNS0_4arch9wavefront6targetE1EEEvT1_: ; @_ZN7rocprim17ROCPRIM_400000_NS6detail17trampoline_kernelINS0_14default_configENS1_25partition_config_selectorILNS1_17partition_subalgoE9EllbEEZZNS1_14partition_implILS5_9ELb0ES3_jPlS8_PNS0_10empty_typeENS0_5tupleIJS8_S9_EEENSB_IJS8_SA_EEENS0_18inequality_wrapperIZN2at6native12_GLOBAL__N_124unique_dim_cuda_templateImEESt5tupleIJNSF_6TensorESK_SK_EERKSK_lbbbEUlllE0_EEPmJS9_EEE10hipError_tPvRmT3_T4_T5_T6_T7_T9_mT8_P12ihipStream_tbDpT10_ENKUlT_T0_E_clISt17integral_constantIbLb1EES1A_EEDaS15_S16_EUlS15_E_NS1_11comp_targetILNS1_3genE3ELNS1_11target_archE908ELNS1_3gpuE7ELNS1_3repE0EEENS1_30default_config_static_selectorELNS0_4arch9wavefront6targetE1EEEvT1_
; %bb.0:
	.section	.rodata,"a",@progbits
	.p2align	6, 0x0
	.amdhsa_kernel _ZN7rocprim17ROCPRIM_400000_NS6detail17trampoline_kernelINS0_14default_configENS1_25partition_config_selectorILNS1_17partition_subalgoE9EllbEEZZNS1_14partition_implILS5_9ELb0ES3_jPlS8_PNS0_10empty_typeENS0_5tupleIJS8_S9_EEENSB_IJS8_SA_EEENS0_18inequality_wrapperIZN2at6native12_GLOBAL__N_124unique_dim_cuda_templateImEESt5tupleIJNSF_6TensorESK_SK_EERKSK_lbbbEUlllE0_EEPmJS9_EEE10hipError_tPvRmT3_T4_T5_T6_T7_T9_mT8_P12ihipStream_tbDpT10_ENKUlT_T0_E_clISt17integral_constantIbLb1EES1A_EEDaS15_S16_EUlS15_E_NS1_11comp_targetILNS1_3genE3ELNS1_11target_archE908ELNS1_3gpuE7ELNS1_3repE0EEENS1_30default_config_static_selectorELNS0_4arch9wavefront6targetE1EEEvT1_
		.amdhsa_group_segment_fixed_size 0
		.amdhsa_private_segment_fixed_size 0
		.amdhsa_kernarg_size 136
		.amdhsa_user_sgpr_count 2
		.amdhsa_user_sgpr_dispatch_ptr 0
		.amdhsa_user_sgpr_queue_ptr 0
		.amdhsa_user_sgpr_kernarg_segment_ptr 1
		.amdhsa_user_sgpr_dispatch_id 0
		.amdhsa_user_sgpr_kernarg_preload_length 0
		.amdhsa_user_sgpr_kernarg_preload_offset 0
		.amdhsa_user_sgpr_private_segment_size 0
		.amdhsa_uses_dynamic_stack 0
		.amdhsa_enable_private_segment 0
		.amdhsa_system_sgpr_workgroup_id_x 1
		.amdhsa_system_sgpr_workgroup_id_y 0
		.amdhsa_system_sgpr_workgroup_id_z 0
		.amdhsa_system_sgpr_workgroup_info 0
		.amdhsa_system_vgpr_workitem_id 0
		.amdhsa_next_free_vgpr 1
		.amdhsa_next_free_sgpr 0
		.amdhsa_accum_offset 4
		.amdhsa_reserve_vcc 0
		.amdhsa_float_round_mode_32 0
		.amdhsa_float_round_mode_16_64 0
		.amdhsa_float_denorm_mode_32 3
		.amdhsa_float_denorm_mode_16_64 3
		.amdhsa_dx10_clamp 1
		.amdhsa_ieee_mode 1
		.amdhsa_fp16_overflow 0
		.amdhsa_tg_split 0
		.amdhsa_exception_fp_ieee_invalid_op 0
		.amdhsa_exception_fp_denorm_src 0
		.amdhsa_exception_fp_ieee_div_zero 0
		.amdhsa_exception_fp_ieee_overflow 0
		.amdhsa_exception_fp_ieee_underflow 0
		.amdhsa_exception_fp_ieee_inexact 0
		.amdhsa_exception_int_div_zero 0
	.end_amdhsa_kernel
	.section	.text._ZN7rocprim17ROCPRIM_400000_NS6detail17trampoline_kernelINS0_14default_configENS1_25partition_config_selectorILNS1_17partition_subalgoE9EllbEEZZNS1_14partition_implILS5_9ELb0ES3_jPlS8_PNS0_10empty_typeENS0_5tupleIJS8_S9_EEENSB_IJS8_SA_EEENS0_18inequality_wrapperIZN2at6native12_GLOBAL__N_124unique_dim_cuda_templateImEESt5tupleIJNSF_6TensorESK_SK_EERKSK_lbbbEUlllE0_EEPmJS9_EEE10hipError_tPvRmT3_T4_T5_T6_T7_T9_mT8_P12ihipStream_tbDpT10_ENKUlT_T0_E_clISt17integral_constantIbLb1EES1A_EEDaS15_S16_EUlS15_E_NS1_11comp_targetILNS1_3genE3ELNS1_11target_archE908ELNS1_3gpuE7ELNS1_3repE0EEENS1_30default_config_static_selectorELNS0_4arch9wavefront6targetE1EEEvT1_,"axG",@progbits,_ZN7rocprim17ROCPRIM_400000_NS6detail17trampoline_kernelINS0_14default_configENS1_25partition_config_selectorILNS1_17partition_subalgoE9EllbEEZZNS1_14partition_implILS5_9ELb0ES3_jPlS8_PNS0_10empty_typeENS0_5tupleIJS8_S9_EEENSB_IJS8_SA_EEENS0_18inequality_wrapperIZN2at6native12_GLOBAL__N_124unique_dim_cuda_templateImEESt5tupleIJNSF_6TensorESK_SK_EERKSK_lbbbEUlllE0_EEPmJS9_EEE10hipError_tPvRmT3_T4_T5_T6_T7_T9_mT8_P12ihipStream_tbDpT10_ENKUlT_T0_E_clISt17integral_constantIbLb1EES1A_EEDaS15_S16_EUlS15_E_NS1_11comp_targetILNS1_3genE3ELNS1_11target_archE908ELNS1_3gpuE7ELNS1_3repE0EEENS1_30default_config_static_selectorELNS0_4arch9wavefront6targetE1EEEvT1_,comdat
.Lfunc_end1706:
	.size	_ZN7rocprim17ROCPRIM_400000_NS6detail17trampoline_kernelINS0_14default_configENS1_25partition_config_selectorILNS1_17partition_subalgoE9EllbEEZZNS1_14partition_implILS5_9ELb0ES3_jPlS8_PNS0_10empty_typeENS0_5tupleIJS8_S9_EEENSB_IJS8_SA_EEENS0_18inequality_wrapperIZN2at6native12_GLOBAL__N_124unique_dim_cuda_templateImEESt5tupleIJNSF_6TensorESK_SK_EERKSK_lbbbEUlllE0_EEPmJS9_EEE10hipError_tPvRmT3_T4_T5_T6_T7_T9_mT8_P12ihipStream_tbDpT10_ENKUlT_T0_E_clISt17integral_constantIbLb1EES1A_EEDaS15_S16_EUlS15_E_NS1_11comp_targetILNS1_3genE3ELNS1_11target_archE908ELNS1_3gpuE7ELNS1_3repE0EEENS1_30default_config_static_selectorELNS0_4arch9wavefront6targetE1EEEvT1_, .Lfunc_end1706-_ZN7rocprim17ROCPRIM_400000_NS6detail17trampoline_kernelINS0_14default_configENS1_25partition_config_selectorILNS1_17partition_subalgoE9EllbEEZZNS1_14partition_implILS5_9ELb0ES3_jPlS8_PNS0_10empty_typeENS0_5tupleIJS8_S9_EEENSB_IJS8_SA_EEENS0_18inequality_wrapperIZN2at6native12_GLOBAL__N_124unique_dim_cuda_templateImEESt5tupleIJNSF_6TensorESK_SK_EERKSK_lbbbEUlllE0_EEPmJS9_EEE10hipError_tPvRmT3_T4_T5_T6_T7_T9_mT8_P12ihipStream_tbDpT10_ENKUlT_T0_E_clISt17integral_constantIbLb1EES1A_EEDaS15_S16_EUlS15_E_NS1_11comp_targetILNS1_3genE3ELNS1_11target_archE908ELNS1_3gpuE7ELNS1_3repE0EEENS1_30default_config_static_selectorELNS0_4arch9wavefront6targetE1EEEvT1_
                                        ; -- End function
	.set _ZN7rocprim17ROCPRIM_400000_NS6detail17trampoline_kernelINS0_14default_configENS1_25partition_config_selectorILNS1_17partition_subalgoE9EllbEEZZNS1_14partition_implILS5_9ELb0ES3_jPlS8_PNS0_10empty_typeENS0_5tupleIJS8_S9_EEENSB_IJS8_SA_EEENS0_18inequality_wrapperIZN2at6native12_GLOBAL__N_124unique_dim_cuda_templateImEESt5tupleIJNSF_6TensorESK_SK_EERKSK_lbbbEUlllE0_EEPmJS9_EEE10hipError_tPvRmT3_T4_T5_T6_T7_T9_mT8_P12ihipStream_tbDpT10_ENKUlT_T0_E_clISt17integral_constantIbLb1EES1A_EEDaS15_S16_EUlS15_E_NS1_11comp_targetILNS1_3genE3ELNS1_11target_archE908ELNS1_3gpuE7ELNS1_3repE0EEENS1_30default_config_static_selectorELNS0_4arch9wavefront6targetE1EEEvT1_.num_vgpr, 0
	.set _ZN7rocprim17ROCPRIM_400000_NS6detail17trampoline_kernelINS0_14default_configENS1_25partition_config_selectorILNS1_17partition_subalgoE9EllbEEZZNS1_14partition_implILS5_9ELb0ES3_jPlS8_PNS0_10empty_typeENS0_5tupleIJS8_S9_EEENSB_IJS8_SA_EEENS0_18inequality_wrapperIZN2at6native12_GLOBAL__N_124unique_dim_cuda_templateImEESt5tupleIJNSF_6TensorESK_SK_EERKSK_lbbbEUlllE0_EEPmJS9_EEE10hipError_tPvRmT3_T4_T5_T6_T7_T9_mT8_P12ihipStream_tbDpT10_ENKUlT_T0_E_clISt17integral_constantIbLb1EES1A_EEDaS15_S16_EUlS15_E_NS1_11comp_targetILNS1_3genE3ELNS1_11target_archE908ELNS1_3gpuE7ELNS1_3repE0EEENS1_30default_config_static_selectorELNS0_4arch9wavefront6targetE1EEEvT1_.num_agpr, 0
	.set _ZN7rocprim17ROCPRIM_400000_NS6detail17trampoline_kernelINS0_14default_configENS1_25partition_config_selectorILNS1_17partition_subalgoE9EllbEEZZNS1_14partition_implILS5_9ELb0ES3_jPlS8_PNS0_10empty_typeENS0_5tupleIJS8_S9_EEENSB_IJS8_SA_EEENS0_18inequality_wrapperIZN2at6native12_GLOBAL__N_124unique_dim_cuda_templateImEESt5tupleIJNSF_6TensorESK_SK_EERKSK_lbbbEUlllE0_EEPmJS9_EEE10hipError_tPvRmT3_T4_T5_T6_T7_T9_mT8_P12ihipStream_tbDpT10_ENKUlT_T0_E_clISt17integral_constantIbLb1EES1A_EEDaS15_S16_EUlS15_E_NS1_11comp_targetILNS1_3genE3ELNS1_11target_archE908ELNS1_3gpuE7ELNS1_3repE0EEENS1_30default_config_static_selectorELNS0_4arch9wavefront6targetE1EEEvT1_.numbered_sgpr, 0
	.set _ZN7rocprim17ROCPRIM_400000_NS6detail17trampoline_kernelINS0_14default_configENS1_25partition_config_selectorILNS1_17partition_subalgoE9EllbEEZZNS1_14partition_implILS5_9ELb0ES3_jPlS8_PNS0_10empty_typeENS0_5tupleIJS8_S9_EEENSB_IJS8_SA_EEENS0_18inequality_wrapperIZN2at6native12_GLOBAL__N_124unique_dim_cuda_templateImEESt5tupleIJNSF_6TensorESK_SK_EERKSK_lbbbEUlllE0_EEPmJS9_EEE10hipError_tPvRmT3_T4_T5_T6_T7_T9_mT8_P12ihipStream_tbDpT10_ENKUlT_T0_E_clISt17integral_constantIbLb1EES1A_EEDaS15_S16_EUlS15_E_NS1_11comp_targetILNS1_3genE3ELNS1_11target_archE908ELNS1_3gpuE7ELNS1_3repE0EEENS1_30default_config_static_selectorELNS0_4arch9wavefront6targetE1EEEvT1_.num_named_barrier, 0
	.set _ZN7rocprim17ROCPRIM_400000_NS6detail17trampoline_kernelINS0_14default_configENS1_25partition_config_selectorILNS1_17partition_subalgoE9EllbEEZZNS1_14partition_implILS5_9ELb0ES3_jPlS8_PNS0_10empty_typeENS0_5tupleIJS8_S9_EEENSB_IJS8_SA_EEENS0_18inequality_wrapperIZN2at6native12_GLOBAL__N_124unique_dim_cuda_templateImEESt5tupleIJNSF_6TensorESK_SK_EERKSK_lbbbEUlllE0_EEPmJS9_EEE10hipError_tPvRmT3_T4_T5_T6_T7_T9_mT8_P12ihipStream_tbDpT10_ENKUlT_T0_E_clISt17integral_constantIbLb1EES1A_EEDaS15_S16_EUlS15_E_NS1_11comp_targetILNS1_3genE3ELNS1_11target_archE908ELNS1_3gpuE7ELNS1_3repE0EEENS1_30default_config_static_selectorELNS0_4arch9wavefront6targetE1EEEvT1_.private_seg_size, 0
	.set _ZN7rocprim17ROCPRIM_400000_NS6detail17trampoline_kernelINS0_14default_configENS1_25partition_config_selectorILNS1_17partition_subalgoE9EllbEEZZNS1_14partition_implILS5_9ELb0ES3_jPlS8_PNS0_10empty_typeENS0_5tupleIJS8_S9_EEENSB_IJS8_SA_EEENS0_18inequality_wrapperIZN2at6native12_GLOBAL__N_124unique_dim_cuda_templateImEESt5tupleIJNSF_6TensorESK_SK_EERKSK_lbbbEUlllE0_EEPmJS9_EEE10hipError_tPvRmT3_T4_T5_T6_T7_T9_mT8_P12ihipStream_tbDpT10_ENKUlT_T0_E_clISt17integral_constantIbLb1EES1A_EEDaS15_S16_EUlS15_E_NS1_11comp_targetILNS1_3genE3ELNS1_11target_archE908ELNS1_3gpuE7ELNS1_3repE0EEENS1_30default_config_static_selectorELNS0_4arch9wavefront6targetE1EEEvT1_.uses_vcc, 0
	.set _ZN7rocprim17ROCPRIM_400000_NS6detail17trampoline_kernelINS0_14default_configENS1_25partition_config_selectorILNS1_17partition_subalgoE9EllbEEZZNS1_14partition_implILS5_9ELb0ES3_jPlS8_PNS0_10empty_typeENS0_5tupleIJS8_S9_EEENSB_IJS8_SA_EEENS0_18inequality_wrapperIZN2at6native12_GLOBAL__N_124unique_dim_cuda_templateImEESt5tupleIJNSF_6TensorESK_SK_EERKSK_lbbbEUlllE0_EEPmJS9_EEE10hipError_tPvRmT3_T4_T5_T6_T7_T9_mT8_P12ihipStream_tbDpT10_ENKUlT_T0_E_clISt17integral_constantIbLb1EES1A_EEDaS15_S16_EUlS15_E_NS1_11comp_targetILNS1_3genE3ELNS1_11target_archE908ELNS1_3gpuE7ELNS1_3repE0EEENS1_30default_config_static_selectorELNS0_4arch9wavefront6targetE1EEEvT1_.uses_flat_scratch, 0
	.set _ZN7rocprim17ROCPRIM_400000_NS6detail17trampoline_kernelINS0_14default_configENS1_25partition_config_selectorILNS1_17partition_subalgoE9EllbEEZZNS1_14partition_implILS5_9ELb0ES3_jPlS8_PNS0_10empty_typeENS0_5tupleIJS8_S9_EEENSB_IJS8_SA_EEENS0_18inequality_wrapperIZN2at6native12_GLOBAL__N_124unique_dim_cuda_templateImEESt5tupleIJNSF_6TensorESK_SK_EERKSK_lbbbEUlllE0_EEPmJS9_EEE10hipError_tPvRmT3_T4_T5_T6_T7_T9_mT8_P12ihipStream_tbDpT10_ENKUlT_T0_E_clISt17integral_constantIbLb1EES1A_EEDaS15_S16_EUlS15_E_NS1_11comp_targetILNS1_3genE3ELNS1_11target_archE908ELNS1_3gpuE7ELNS1_3repE0EEENS1_30default_config_static_selectorELNS0_4arch9wavefront6targetE1EEEvT1_.has_dyn_sized_stack, 0
	.set _ZN7rocprim17ROCPRIM_400000_NS6detail17trampoline_kernelINS0_14default_configENS1_25partition_config_selectorILNS1_17partition_subalgoE9EllbEEZZNS1_14partition_implILS5_9ELb0ES3_jPlS8_PNS0_10empty_typeENS0_5tupleIJS8_S9_EEENSB_IJS8_SA_EEENS0_18inequality_wrapperIZN2at6native12_GLOBAL__N_124unique_dim_cuda_templateImEESt5tupleIJNSF_6TensorESK_SK_EERKSK_lbbbEUlllE0_EEPmJS9_EEE10hipError_tPvRmT3_T4_T5_T6_T7_T9_mT8_P12ihipStream_tbDpT10_ENKUlT_T0_E_clISt17integral_constantIbLb1EES1A_EEDaS15_S16_EUlS15_E_NS1_11comp_targetILNS1_3genE3ELNS1_11target_archE908ELNS1_3gpuE7ELNS1_3repE0EEENS1_30default_config_static_selectorELNS0_4arch9wavefront6targetE1EEEvT1_.has_recursion, 0
	.set _ZN7rocprim17ROCPRIM_400000_NS6detail17trampoline_kernelINS0_14default_configENS1_25partition_config_selectorILNS1_17partition_subalgoE9EllbEEZZNS1_14partition_implILS5_9ELb0ES3_jPlS8_PNS0_10empty_typeENS0_5tupleIJS8_S9_EEENSB_IJS8_SA_EEENS0_18inequality_wrapperIZN2at6native12_GLOBAL__N_124unique_dim_cuda_templateImEESt5tupleIJNSF_6TensorESK_SK_EERKSK_lbbbEUlllE0_EEPmJS9_EEE10hipError_tPvRmT3_T4_T5_T6_T7_T9_mT8_P12ihipStream_tbDpT10_ENKUlT_T0_E_clISt17integral_constantIbLb1EES1A_EEDaS15_S16_EUlS15_E_NS1_11comp_targetILNS1_3genE3ELNS1_11target_archE908ELNS1_3gpuE7ELNS1_3repE0EEENS1_30default_config_static_selectorELNS0_4arch9wavefront6targetE1EEEvT1_.has_indirect_call, 0
	.section	.AMDGPU.csdata,"",@progbits
; Kernel info:
; codeLenInByte = 0
; TotalNumSgprs: 6
; NumVgprs: 0
; NumAgprs: 0
; TotalNumVgprs: 0
; ScratchSize: 0
; MemoryBound: 0
; FloatMode: 240
; IeeeMode: 1
; LDSByteSize: 0 bytes/workgroup (compile time only)
; SGPRBlocks: 0
; VGPRBlocks: 0
; NumSGPRsForWavesPerEU: 6
; NumVGPRsForWavesPerEU: 1
; AccumOffset: 4
; Occupancy: 8
; WaveLimiterHint : 0
; COMPUTE_PGM_RSRC2:SCRATCH_EN: 0
; COMPUTE_PGM_RSRC2:USER_SGPR: 2
; COMPUTE_PGM_RSRC2:TRAP_HANDLER: 0
; COMPUTE_PGM_RSRC2:TGID_X_EN: 1
; COMPUTE_PGM_RSRC2:TGID_Y_EN: 0
; COMPUTE_PGM_RSRC2:TGID_Z_EN: 0
; COMPUTE_PGM_RSRC2:TIDIG_COMP_CNT: 0
; COMPUTE_PGM_RSRC3_GFX90A:ACCUM_OFFSET: 0
; COMPUTE_PGM_RSRC3_GFX90A:TG_SPLIT: 0
	.section	.text._ZN7rocprim17ROCPRIM_400000_NS6detail17trampoline_kernelINS0_14default_configENS1_25partition_config_selectorILNS1_17partition_subalgoE9EllbEEZZNS1_14partition_implILS5_9ELb0ES3_jPlS8_PNS0_10empty_typeENS0_5tupleIJS8_S9_EEENSB_IJS8_SA_EEENS0_18inequality_wrapperIZN2at6native12_GLOBAL__N_124unique_dim_cuda_templateImEESt5tupleIJNSF_6TensorESK_SK_EERKSK_lbbbEUlllE0_EEPmJS9_EEE10hipError_tPvRmT3_T4_T5_T6_T7_T9_mT8_P12ihipStream_tbDpT10_ENKUlT_T0_E_clISt17integral_constantIbLb1EES1A_EEDaS15_S16_EUlS15_E_NS1_11comp_targetILNS1_3genE2ELNS1_11target_archE906ELNS1_3gpuE6ELNS1_3repE0EEENS1_30default_config_static_selectorELNS0_4arch9wavefront6targetE1EEEvT1_,"axG",@progbits,_ZN7rocprim17ROCPRIM_400000_NS6detail17trampoline_kernelINS0_14default_configENS1_25partition_config_selectorILNS1_17partition_subalgoE9EllbEEZZNS1_14partition_implILS5_9ELb0ES3_jPlS8_PNS0_10empty_typeENS0_5tupleIJS8_S9_EEENSB_IJS8_SA_EEENS0_18inequality_wrapperIZN2at6native12_GLOBAL__N_124unique_dim_cuda_templateImEESt5tupleIJNSF_6TensorESK_SK_EERKSK_lbbbEUlllE0_EEPmJS9_EEE10hipError_tPvRmT3_T4_T5_T6_T7_T9_mT8_P12ihipStream_tbDpT10_ENKUlT_T0_E_clISt17integral_constantIbLb1EES1A_EEDaS15_S16_EUlS15_E_NS1_11comp_targetILNS1_3genE2ELNS1_11target_archE906ELNS1_3gpuE6ELNS1_3repE0EEENS1_30default_config_static_selectorELNS0_4arch9wavefront6targetE1EEEvT1_,comdat
	.globl	_ZN7rocprim17ROCPRIM_400000_NS6detail17trampoline_kernelINS0_14default_configENS1_25partition_config_selectorILNS1_17partition_subalgoE9EllbEEZZNS1_14partition_implILS5_9ELb0ES3_jPlS8_PNS0_10empty_typeENS0_5tupleIJS8_S9_EEENSB_IJS8_SA_EEENS0_18inequality_wrapperIZN2at6native12_GLOBAL__N_124unique_dim_cuda_templateImEESt5tupleIJNSF_6TensorESK_SK_EERKSK_lbbbEUlllE0_EEPmJS9_EEE10hipError_tPvRmT3_T4_T5_T6_T7_T9_mT8_P12ihipStream_tbDpT10_ENKUlT_T0_E_clISt17integral_constantIbLb1EES1A_EEDaS15_S16_EUlS15_E_NS1_11comp_targetILNS1_3genE2ELNS1_11target_archE906ELNS1_3gpuE6ELNS1_3repE0EEENS1_30default_config_static_selectorELNS0_4arch9wavefront6targetE1EEEvT1_ ; -- Begin function _ZN7rocprim17ROCPRIM_400000_NS6detail17trampoline_kernelINS0_14default_configENS1_25partition_config_selectorILNS1_17partition_subalgoE9EllbEEZZNS1_14partition_implILS5_9ELb0ES3_jPlS8_PNS0_10empty_typeENS0_5tupleIJS8_S9_EEENSB_IJS8_SA_EEENS0_18inequality_wrapperIZN2at6native12_GLOBAL__N_124unique_dim_cuda_templateImEESt5tupleIJNSF_6TensorESK_SK_EERKSK_lbbbEUlllE0_EEPmJS9_EEE10hipError_tPvRmT3_T4_T5_T6_T7_T9_mT8_P12ihipStream_tbDpT10_ENKUlT_T0_E_clISt17integral_constantIbLb1EES1A_EEDaS15_S16_EUlS15_E_NS1_11comp_targetILNS1_3genE2ELNS1_11target_archE906ELNS1_3gpuE6ELNS1_3repE0EEENS1_30default_config_static_selectorELNS0_4arch9wavefront6targetE1EEEvT1_
	.p2align	8
	.type	_ZN7rocprim17ROCPRIM_400000_NS6detail17trampoline_kernelINS0_14default_configENS1_25partition_config_selectorILNS1_17partition_subalgoE9EllbEEZZNS1_14partition_implILS5_9ELb0ES3_jPlS8_PNS0_10empty_typeENS0_5tupleIJS8_S9_EEENSB_IJS8_SA_EEENS0_18inequality_wrapperIZN2at6native12_GLOBAL__N_124unique_dim_cuda_templateImEESt5tupleIJNSF_6TensorESK_SK_EERKSK_lbbbEUlllE0_EEPmJS9_EEE10hipError_tPvRmT3_T4_T5_T6_T7_T9_mT8_P12ihipStream_tbDpT10_ENKUlT_T0_E_clISt17integral_constantIbLb1EES1A_EEDaS15_S16_EUlS15_E_NS1_11comp_targetILNS1_3genE2ELNS1_11target_archE906ELNS1_3gpuE6ELNS1_3repE0EEENS1_30default_config_static_selectorELNS0_4arch9wavefront6targetE1EEEvT1_,@function
_ZN7rocprim17ROCPRIM_400000_NS6detail17trampoline_kernelINS0_14default_configENS1_25partition_config_selectorILNS1_17partition_subalgoE9EllbEEZZNS1_14partition_implILS5_9ELb0ES3_jPlS8_PNS0_10empty_typeENS0_5tupleIJS8_S9_EEENSB_IJS8_SA_EEENS0_18inequality_wrapperIZN2at6native12_GLOBAL__N_124unique_dim_cuda_templateImEESt5tupleIJNSF_6TensorESK_SK_EERKSK_lbbbEUlllE0_EEPmJS9_EEE10hipError_tPvRmT3_T4_T5_T6_T7_T9_mT8_P12ihipStream_tbDpT10_ENKUlT_T0_E_clISt17integral_constantIbLb1EES1A_EEDaS15_S16_EUlS15_E_NS1_11comp_targetILNS1_3genE2ELNS1_11target_archE906ELNS1_3gpuE6ELNS1_3repE0EEENS1_30default_config_static_selectorELNS0_4arch9wavefront6targetE1EEEvT1_: ; @_ZN7rocprim17ROCPRIM_400000_NS6detail17trampoline_kernelINS0_14default_configENS1_25partition_config_selectorILNS1_17partition_subalgoE9EllbEEZZNS1_14partition_implILS5_9ELb0ES3_jPlS8_PNS0_10empty_typeENS0_5tupleIJS8_S9_EEENSB_IJS8_SA_EEENS0_18inequality_wrapperIZN2at6native12_GLOBAL__N_124unique_dim_cuda_templateImEESt5tupleIJNSF_6TensorESK_SK_EERKSK_lbbbEUlllE0_EEPmJS9_EEE10hipError_tPvRmT3_T4_T5_T6_T7_T9_mT8_P12ihipStream_tbDpT10_ENKUlT_T0_E_clISt17integral_constantIbLb1EES1A_EEDaS15_S16_EUlS15_E_NS1_11comp_targetILNS1_3genE2ELNS1_11target_archE906ELNS1_3gpuE6ELNS1_3repE0EEENS1_30default_config_static_selectorELNS0_4arch9wavefront6targetE1EEEvT1_
; %bb.0:
	.section	.rodata,"a",@progbits
	.p2align	6, 0x0
	.amdhsa_kernel _ZN7rocprim17ROCPRIM_400000_NS6detail17trampoline_kernelINS0_14default_configENS1_25partition_config_selectorILNS1_17partition_subalgoE9EllbEEZZNS1_14partition_implILS5_9ELb0ES3_jPlS8_PNS0_10empty_typeENS0_5tupleIJS8_S9_EEENSB_IJS8_SA_EEENS0_18inequality_wrapperIZN2at6native12_GLOBAL__N_124unique_dim_cuda_templateImEESt5tupleIJNSF_6TensorESK_SK_EERKSK_lbbbEUlllE0_EEPmJS9_EEE10hipError_tPvRmT3_T4_T5_T6_T7_T9_mT8_P12ihipStream_tbDpT10_ENKUlT_T0_E_clISt17integral_constantIbLb1EES1A_EEDaS15_S16_EUlS15_E_NS1_11comp_targetILNS1_3genE2ELNS1_11target_archE906ELNS1_3gpuE6ELNS1_3repE0EEENS1_30default_config_static_selectorELNS0_4arch9wavefront6targetE1EEEvT1_
		.amdhsa_group_segment_fixed_size 0
		.amdhsa_private_segment_fixed_size 0
		.amdhsa_kernarg_size 136
		.amdhsa_user_sgpr_count 2
		.amdhsa_user_sgpr_dispatch_ptr 0
		.amdhsa_user_sgpr_queue_ptr 0
		.amdhsa_user_sgpr_kernarg_segment_ptr 1
		.amdhsa_user_sgpr_dispatch_id 0
		.amdhsa_user_sgpr_kernarg_preload_length 0
		.amdhsa_user_sgpr_kernarg_preload_offset 0
		.amdhsa_user_sgpr_private_segment_size 0
		.amdhsa_uses_dynamic_stack 0
		.amdhsa_enable_private_segment 0
		.amdhsa_system_sgpr_workgroup_id_x 1
		.amdhsa_system_sgpr_workgroup_id_y 0
		.amdhsa_system_sgpr_workgroup_id_z 0
		.amdhsa_system_sgpr_workgroup_info 0
		.amdhsa_system_vgpr_workitem_id 0
		.amdhsa_next_free_vgpr 1
		.amdhsa_next_free_sgpr 0
		.amdhsa_accum_offset 4
		.amdhsa_reserve_vcc 0
		.amdhsa_float_round_mode_32 0
		.amdhsa_float_round_mode_16_64 0
		.amdhsa_float_denorm_mode_32 3
		.amdhsa_float_denorm_mode_16_64 3
		.amdhsa_dx10_clamp 1
		.amdhsa_ieee_mode 1
		.amdhsa_fp16_overflow 0
		.amdhsa_tg_split 0
		.amdhsa_exception_fp_ieee_invalid_op 0
		.amdhsa_exception_fp_denorm_src 0
		.amdhsa_exception_fp_ieee_div_zero 0
		.amdhsa_exception_fp_ieee_overflow 0
		.amdhsa_exception_fp_ieee_underflow 0
		.amdhsa_exception_fp_ieee_inexact 0
		.amdhsa_exception_int_div_zero 0
	.end_amdhsa_kernel
	.section	.text._ZN7rocprim17ROCPRIM_400000_NS6detail17trampoline_kernelINS0_14default_configENS1_25partition_config_selectorILNS1_17partition_subalgoE9EllbEEZZNS1_14partition_implILS5_9ELb0ES3_jPlS8_PNS0_10empty_typeENS0_5tupleIJS8_S9_EEENSB_IJS8_SA_EEENS0_18inequality_wrapperIZN2at6native12_GLOBAL__N_124unique_dim_cuda_templateImEESt5tupleIJNSF_6TensorESK_SK_EERKSK_lbbbEUlllE0_EEPmJS9_EEE10hipError_tPvRmT3_T4_T5_T6_T7_T9_mT8_P12ihipStream_tbDpT10_ENKUlT_T0_E_clISt17integral_constantIbLb1EES1A_EEDaS15_S16_EUlS15_E_NS1_11comp_targetILNS1_3genE2ELNS1_11target_archE906ELNS1_3gpuE6ELNS1_3repE0EEENS1_30default_config_static_selectorELNS0_4arch9wavefront6targetE1EEEvT1_,"axG",@progbits,_ZN7rocprim17ROCPRIM_400000_NS6detail17trampoline_kernelINS0_14default_configENS1_25partition_config_selectorILNS1_17partition_subalgoE9EllbEEZZNS1_14partition_implILS5_9ELb0ES3_jPlS8_PNS0_10empty_typeENS0_5tupleIJS8_S9_EEENSB_IJS8_SA_EEENS0_18inequality_wrapperIZN2at6native12_GLOBAL__N_124unique_dim_cuda_templateImEESt5tupleIJNSF_6TensorESK_SK_EERKSK_lbbbEUlllE0_EEPmJS9_EEE10hipError_tPvRmT3_T4_T5_T6_T7_T9_mT8_P12ihipStream_tbDpT10_ENKUlT_T0_E_clISt17integral_constantIbLb1EES1A_EEDaS15_S16_EUlS15_E_NS1_11comp_targetILNS1_3genE2ELNS1_11target_archE906ELNS1_3gpuE6ELNS1_3repE0EEENS1_30default_config_static_selectorELNS0_4arch9wavefront6targetE1EEEvT1_,comdat
.Lfunc_end1707:
	.size	_ZN7rocprim17ROCPRIM_400000_NS6detail17trampoline_kernelINS0_14default_configENS1_25partition_config_selectorILNS1_17partition_subalgoE9EllbEEZZNS1_14partition_implILS5_9ELb0ES3_jPlS8_PNS0_10empty_typeENS0_5tupleIJS8_S9_EEENSB_IJS8_SA_EEENS0_18inequality_wrapperIZN2at6native12_GLOBAL__N_124unique_dim_cuda_templateImEESt5tupleIJNSF_6TensorESK_SK_EERKSK_lbbbEUlllE0_EEPmJS9_EEE10hipError_tPvRmT3_T4_T5_T6_T7_T9_mT8_P12ihipStream_tbDpT10_ENKUlT_T0_E_clISt17integral_constantIbLb1EES1A_EEDaS15_S16_EUlS15_E_NS1_11comp_targetILNS1_3genE2ELNS1_11target_archE906ELNS1_3gpuE6ELNS1_3repE0EEENS1_30default_config_static_selectorELNS0_4arch9wavefront6targetE1EEEvT1_, .Lfunc_end1707-_ZN7rocprim17ROCPRIM_400000_NS6detail17trampoline_kernelINS0_14default_configENS1_25partition_config_selectorILNS1_17partition_subalgoE9EllbEEZZNS1_14partition_implILS5_9ELb0ES3_jPlS8_PNS0_10empty_typeENS0_5tupleIJS8_S9_EEENSB_IJS8_SA_EEENS0_18inequality_wrapperIZN2at6native12_GLOBAL__N_124unique_dim_cuda_templateImEESt5tupleIJNSF_6TensorESK_SK_EERKSK_lbbbEUlllE0_EEPmJS9_EEE10hipError_tPvRmT3_T4_T5_T6_T7_T9_mT8_P12ihipStream_tbDpT10_ENKUlT_T0_E_clISt17integral_constantIbLb1EES1A_EEDaS15_S16_EUlS15_E_NS1_11comp_targetILNS1_3genE2ELNS1_11target_archE906ELNS1_3gpuE6ELNS1_3repE0EEENS1_30default_config_static_selectorELNS0_4arch9wavefront6targetE1EEEvT1_
                                        ; -- End function
	.set _ZN7rocprim17ROCPRIM_400000_NS6detail17trampoline_kernelINS0_14default_configENS1_25partition_config_selectorILNS1_17partition_subalgoE9EllbEEZZNS1_14partition_implILS5_9ELb0ES3_jPlS8_PNS0_10empty_typeENS0_5tupleIJS8_S9_EEENSB_IJS8_SA_EEENS0_18inequality_wrapperIZN2at6native12_GLOBAL__N_124unique_dim_cuda_templateImEESt5tupleIJNSF_6TensorESK_SK_EERKSK_lbbbEUlllE0_EEPmJS9_EEE10hipError_tPvRmT3_T4_T5_T6_T7_T9_mT8_P12ihipStream_tbDpT10_ENKUlT_T0_E_clISt17integral_constantIbLb1EES1A_EEDaS15_S16_EUlS15_E_NS1_11comp_targetILNS1_3genE2ELNS1_11target_archE906ELNS1_3gpuE6ELNS1_3repE0EEENS1_30default_config_static_selectorELNS0_4arch9wavefront6targetE1EEEvT1_.num_vgpr, 0
	.set _ZN7rocprim17ROCPRIM_400000_NS6detail17trampoline_kernelINS0_14default_configENS1_25partition_config_selectorILNS1_17partition_subalgoE9EllbEEZZNS1_14partition_implILS5_9ELb0ES3_jPlS8_PNS0_10empty_typeENS0_5tupleIJS8_S9_EEENSB_IJS8_SA_EEENS0_18inequality_wrapperIZN2at6native12_GLOBAL__N_124unique_dim_cuda_templateImEESt5tupleIJNSF_6TensorESK_SK_EERKSK_lbbbEUlllE0_EEPmJS9_EEE10hipError_tPvRmT3_T4_T5_T6_T7_T9_mT8_P12ihipStream_tbDpT10_ENKUlT_T0_E_clISt17integral_constantIbLb1EES1A_EEDaS15_S16_EUlS15_E_NS1_11comp_targetILNS1_3genE2ELNS1_11target_archE906ELNS1_3gpuE6ELNS1_3repE0EEENS1_30default_config_static_selectorELNS0_4arch9wavefront6targetE1EEEvT1_.num_agpr, 0
	.set _ZN7rocprim17ROCPRIM_400000_NS6detail17trampoline_kernelINS0_14default_configENS1_25partition_config_selectorILNS1_17partition_subalgoE9EllbEEZZNS1_14partition_implILS5_9ELb0ES3_jPlS8_PNS0_10empty_typeENS0_5tupleIJS8_S9_EEENSB_IJS8_SA_EEENS0_18inequality_wrapperIZN2at6native12_GLOBAL__N_124unique_dim_cuda_templateImEESt5tupleIJNSF_6TensorESK_SK_EERKSK_lbbbEUlllE0_EEPmJS9_EEE10hipError_tPvRmT3_T4_T5_T6_T7_T9_mT8_P12ihipStream_tbDpT10_ENKUlT_T0_E_clISt17integral_constantIbLb1EES1A_EEDaS15_S16_EUlS15_E_NS1_11comp_targetILNS1_3genE2ELNS1_11target_archE906ELNS1_3gpuE6ELNS1_3repE0EEENS1_30default_config_static_selectorELNS0_4arch9wavefront6targetE1EEEvT1_.numbered_sgpr, 0
	.set _ZN7rocprim17ROCPRIM_400000_NS6detail17trampoline_kernelINS0_14default_configENS1_25partition_config_selectorILNS1_17partition_subalgoE9EllbEEZZNS1_14partition_implILS5_9ELb0ES3_jPlS8_PNS0_10empty_typeENS0_5tupleIJS8_S9_EEENSB_IJS8_SA_EEENS0_18inequality_wrapperIZN2at6native12_GLOBAL__N_124unique_dim_cuda_templateImEESt5tupleIJNSF_6TensorESK_SK_EERKSK_lbbbEUlllE0_EEPmJS9_EEE10hipError_tPvRmT3_T4_T5_T6_T7_T9_mT8_P12ihipStream_tbDpT10_ENKUlT_T0_E_clISt17integral_constantIbLb1EES1A_EEDaS15_S16_EUlS15_E_NS1_11comp_targetILNS1_3genE2ELNS1_11target_archE906ELNS1_3gpuE6ELNS1_3repE0EEENS1_30default_config_static_selectorELNS0_4arch9wavefront6targetE1EEEvT1_.num_named_barrier, 0
	.set _ZN7rocprim17ROCPRIM_400000_NS6detail17trampoline_kernelINS0_14default_configENS1_25partition_config_selectorILNS1_17partition_subalgoE9EllbEEZZNS1_14partition_implILS5_9ELb0ES3_jPlS8_PNS0_10empty_typeENS0_5tupleIJS8_S9_EEENSB_IJS8_SA_EEENS0_18inequality_wrapperIZN2at6native12_GLOBAL__N_124unique_dim_cuda_templateImEESt5tupleIJNSF_6TensorESK_SK_EERKSK_lbbbEUlllE0_EEPmJS9_EEE10hipError_tPvRmT3_T4_T5_T6_T7_T9_mT8_P12ihipStream_tbDpT10_ENKUlT_T0_E_clISt17integral_constantIbLb1EES1A_EEDaS15_S16_EUlS15_E_NS1_11comp_targetILNS1_3genE2ELNS1_11target_archE906ELNS1_3gpuE6ELNS1_3repE0EEENS1_30default_config_static_selectorELNS0_4arch9wavefront6targetE1EEEvT1_.private_seg_size, 0
	.set _ZN7rocprim17ROCPRIM_400000_NS6detail17trampoline_kernelINS0_14default_configENS1_25partition_config_selectorILNS1_17partition_subalgoE9EllbEEZZNS1_14partition_implILS5_9ELb0ES3_jPlS8_PNS0_10empty_typeENS0_5tupleIJS8_S9_EEENSB_IJS8_SA_EEENS0_18inequality_wrapperIZN2at6native12_GLOBAL__N_124unique_dim_cuda_templateImEESt5tupleIJNSF_6TensorESK_SK_EERKSK_lbbbEUlllE0_EEPmJS9_EEE10hipError_tPvRmT3_T4_T5_T6_T7_T9_mT8_P12ihipStream_tbDpT10_ENKUlT_T0_E_clISt17integral_constantIbLb1EES1A_EEDaS15_S16_EUlS15_E_NS1_11comp_targetILNS1_3genE2ELNS1_11target_archE906ELNS1_3gpuE6ELNS1_3repE0EEENS1_30default_config_static_selectorELNS0_4arch9wavefront6targetE1EEEvT1_.uses_vcc, 0
	.set _ZN7rocprim17ROCPRIM_400000_NS6detail17trampoline_kernelINS0_14default_configENS1_25partition_config_selectorILNS1_17partition_subalgoE9EllbEEZZNS1_14partition_implILS5_9ELb0ES3_jPlS8_PNS0_10empty_typeENS0_5tupleIJS8_S9_EEENSB_IJS8_SA_EEENS0_18inequality_wrapperIZN2at6native12_GLOBAL__N_124unique_dim_cuda_templateImEESt5tupleIJNSF_6TensorESK_SK_EERKSK_lbbbEUlllE0_EEPmJS9_EEE10hipError_tPvRmT3_T4_T5_T6_T7_T9_mT8_P12ihipStream_tbDpT10_ENKUlT_T0_E_clISt17integral_constantIbLb1EES1A_EEDaS15_S16_EUlS15_E_NS1_11comp_targetILNS1_3genE2ELNS1_11target_archE906ELNS1_3gpuE6ELNS1_3repE0EEENS1_30default_config_static_selectorELNS0_4arch9wavefront6targetE1EEEvT1_.uses_flat_scratch, 0
	.set _ZN7rocprim17ROCPRIM_400000_NS6detail17trampoline_kernelINS0_14default_configENS1_25partition_config_selectorILNS1_17partition_subalgoE9EllbEEZZNS1_14partition_implILS5_9ELb0ES3_jPlS8_PNS0_10empty_typeENS0_5tupleIJS8_S9_EEENSB_IJS8_SA_EEENS0_18inequality_wrapperIZN2at6native12_GLOBAL__N_124unique_dim_cuda_templateImEESt5tupleIJNSF_6TensorESK_SK_EERKSK_lbbbEUlllE0_EEPmJS9_EEE10hipError_tPvRmT3_T4_T5_T6_T7_T9_mT8_P12ihipStream_tbDpT10_ENKUlT_T0_E_clISt17integral_constantIbLb1EES1A_EEDaS15_S16_EUlS15_E_NS1_11comp_targetILNS1_3genE2ELNS1_11target_archE906ELNS1_3gpuE6ELNS1_3repE0EEENS1_30default_config_static_selectorELNS0_4arch9wavefront6targetE1EEEvT1_.has_dyn_sized_stack, 0
	.set _ZN7rocprim17ROCPRIM_400000_NS6detail17trampoline_kernelINS0_14default_configENS1_25partition_config_selectorILNS1_17partition_subalgoE9EllbEEZZNS1_14partition_implILS5_9ELb0ES3_jPlS8_PNS0_10empty_typeENS0_5tupleIJS8_S9_EEENSB_IJS8_SA_EEENS0_18inequality_wrapperIZN2at6native12_GLOBAL__N_124unique_dim_cuda_templateImEESt5tupleIJNSF_6TensorESK_SK_EERKSK_lbbbEUlllE0_EEPmJS9_EEE10hipError_tPvRmT3_T4_T5_T6_T7_T9_mT8_P12ihipStream_tbDpT10_ENKUlT_T0_E_clISt17integral_constantIbLb1EES1A_EEDaS15_S16_EUlS15_E_NS1_11comp_targetILNS1_3genE2ELNS1_11target_archE906ELNS1_3gpuE6ELNS1_3repE0EEENS1_30default_config_static_selectorELNS0_4arch9wavefront6targetE1EEEvT1_.has_recursion, 0
	.set _ZN7rocprim17ROCPRIM_400000_NS6detail17trampoline_kernelINS0_14default_configENS1_25partition_config_selectorILNS1_17partition_subalgoE9EllbEEZZNS1_14partition_implILS5_9ELb0ES3_jPlS8_PNS0_10empty_typeENS0_5tupleIJS8_S9_EEENSB_IJS8_SA_EEENS0_18inequality_wrapperIZN2at6native12_GLOBAL__N_124unique_dim_cuda_templateImEESt5tupleIJNSF_6TensorESK_SK_EERKSK_lbbbEUlllE0_EEPmJS9_EEE10hipError_tPvRmT3_T4_T5_T6_T7_T9_mT8_P12ihipStream_tbDpT10_ENKUlT_T0_E_clISt17integral_constantIbLb1EES1A_EEDaS15_S16_EUlS15_E_NS1_11comp_targetILNS1_3genE2ELNS1_11target_archE906ELNS1_3gpuE6ELNS1_3repE0EEENS1_30default_config_static_selectorELNS0_4arch9wavefront6targetE1EEEvT1_.has_indirect_call, 0
	.section	.AMDGPU.csdata,"",@progbits
; Kernel info:
; codeLenInByte = 0
; TotalNumSgprs: 6
; NumVgprs: 0
; NumAgprs: 0
; TotalNumVgprs: 0
; ScratchSize: 0
; MemoryBound: 0
; FloatMode: 240
; IeeeMode: 1
; LDSByteSize: 0 bytes/workgroup (compile time only)
; SGPRBlocks: 0
; VGPRBlocks: 0
; NumSGPRsForWavesPerEU: 6
; NumVGPRsForWavesPerEU: 1
; AccumOffset: 4
; Occupancy: 8
; WaveLimiterHint : 0
; COMPUTE_PGM_RSRC2:SCRATCH_EN: 0
; COMPUTE_PGM_RSRC2:USER_SGPR: 2
; COMPUTE_PGM_RSRC2:TRAP_HANDLER: 0
; COMPUTE_PGM_RSRC2:TGID_X_EN: 1
; COMPUTE_PGM_RSRC2:TGID_Y_EN: 0
; COMPUTE_PGM_RSRC2:TGID_Z_EN: 0
; COMPUTE_PGM_RSRC2:TIDIG_COMP_CNT: 0
; COMPUTE_PGM_RSRC3_GFX90A:ACCUM_OFFSET: 0
; COMPUTE_PGM_RSRC3_GFX90A:TG_SPLIT: 0
	.section	.text._ZN7rocprim17ROCPRIM_400000_NS6detail17trampoline_kernelINS0_14default_configENS1_25partition_config_selectorILNS1_17partition_subalgoE9EllbEEZZNS1_14partition_implILS5_9ELb0ES3_jPlS8_PNS0_10empty_typeENS0_5tupleIJS8_S9_EEENSB_IJS8_SA_EEENS0_18inequality_wrapperIZN2at6native12_GLOBAL__N_124unique_dim_cuda_templateImEESt5tupleIJNSF_6TensorESK_SK_EERKSK_lbbbEUlllE0_EEPmJS9_EEE10hipError_tPvRmT3_T4_T5_T6_T7_T9_mT8_P12ihipStream_tbDpT10_ENKUlT_T0_E_clISt17integral_constantIbLb1EES1A_EEDaS15_S16_EUlS15_E_NS1_11comp_targetILNS1_3genE10ELNS1_11target_archE1200ELNS1_3gpuE4ELNS1_3repE0EEENS1_30default_config_static_selectorELNS0_4arch9wavefront6targetE1EEEvT1_,"axG",@progbits,_ZN7rocprim17ROCPRIM_400000_NS6detail17trampoline_kernelINS0_14default_configENS1_25partition_config_selectorILNS1_17partition_subalgoE9EllbEEZZNS1_14partition_implILS5_9ELb0ES3_jPlS8_PNS0_10empty_typeENS0_5tupleIJS8_S9_EEENSB_IJS8_SA_EEENS0_18inequality_wrapperIZN2at6native12_GLOBAL__N_124unique_dim_cuda_templateImEESt5tupleIJNSF_6TensorESK_SK_EERKSK_lbbbEUlllE0_EEPmJS9_EEE10hipError_tPvRmT3_T4_T5_T6_T7_T9_mT8_P12ihipStream_tbDpT10_ENKUlT_T0_E_clISt17integral_constantIbLb1EES1A_EEDaS15_S16_EUlS15_E_NS1_11comp_targetILNS1_3genE10ELNS1_11target_archE1200ELNS1_3gpuE4ELNS1_3repE0EEENS1_30default_config_static_selectorELNS0_4arch9wavefront6targetE1EEEvT1_,comdat
	.globl	_ZN7rocprim17ROCPRIM_400000_NS6detail17trampoline_kernelINS0_14default_configENS1_25partition_config_selectorILNS1_17partition_subalgoE9EllbEEZZNS1_14partition_implILS5_9ELb0ES3_jPlS8_PNS0_10empty_typeENS0_5tupleIJS8_S9_EEENSB_IJS8_SA_EEENS0_18inequality_wrapperIZN2at6native12_GLOBAL__N_124unique_dim_cuda_templateImEESt5tupleIJNSF_6TensorESK_SK_EERKSK_lbbbEUlllE0_EEPmJS9_EEE10hipError_tPvRmT3_T4_T5_T6_T7_T9_mT8_P12ihipStream_tbDpT10_ENKUlT_T0_E_clISt17integral_constantIbLb1EES1A_EEDaS15_S16_EUlS15_E_NS1_11comp_targetILNS1_3genE10ELNS1_11target_archE1200ELNS1_3gpuE4ELNS1_3repE0EEENS1_30default_config_static_selectorELNS0_4arch9wavefront6targetE1EEEvT1_ ; -- Begin function _ZN7rocprim17ROCPRIM_400000_NS6detail17trampoline_kernelINS0_14default_configENS1_25partition_config_selectorILNS1_17partition_subalgoE9EllbEEZZNS1_14partition_implILS5_9ELb0ES3_jPlS8_PNS0_10empty_typeENS0_5tupleIJS8_S9_EEENSB_IJS8_SA_EEENS0_18inequality_wrapperIZN2at6native12_GLOBAL__N_124unique_dim_cuda_templateImEESt5tupleIJNSF_6TensorESK_SK_EERKSK_lbbbEUlllE0_EEPmJS9_EEE10hipError_tPvRmT3_T4_T5_T6_T7_T9_mT8_P12ihipStream_tbDpT10_ENKUlT_T0_E_clISt17integral_constantIbLb1EES1A_EEDaS15_S16_EUlS15_E_NS1_11comp_targetILNS1_3genE10ELNS1_11target_archE1200ELNS1_3gpuE4ELNS1_3repE0EEENS1_30default_config_static_selectorELNS0_4arch9wavefront6targetE1EEEvT1_
	.p2align	8
	.type	_ZN7rocprim17ROCPRIM_400000_NS6detail17trampoline_kernelINS0_14default_configENS1_25partition_config_selectorILNS1_17partition_subalgoE9EllbEEZZNS1_14partition_implILS5_9ELb0ES3_jPlS8_PNS0_10empty_typeENS0_5tupleIJS8_S9_EEENSB_IJS8_SA_EEENS0_18inequality_wrapperIZN2at6native12_GLOBAL__N_124unique_dim_cuda_templateImEESt5tupleIJNSF_6TensorESK_SK_EERKSK_lbbbEUlllE0_EEPmJS9_EEE10hipError_tPvRmT3_T4_T5_T6_T7_T9_mT8_P12ihipStream_tbDpT10_ENKUlT_T0_E_clISt17integral_constantIbLb1EES1A_EEDaS15_S16_EUlS15_E_NS1_11comp_targetILNS1_3genE10ELNS1_11target_archE1200ELNS1_3gpuE4ELNS1_3repE0EEENS1_30default_config_static_selectorELNS0_4arch9wavefront6targetE1EEEvT1_,@function
_ZN7rocprim17ROCPRIM_400000_NS6detail17trampoline_kernelINS0_14default_configENS1_25partition_config_selectorILNS1_17partition_subalgoE9EllbEEZZNS1_14partition_implILS5_9ELb0ES3_jPlS8_PNS0_10empty_typeENS0_5tupleIJS8_S9_EEENSB_IJS8_SA_EEENS0_18inequality_wrapperIZN2at6native12_GLOBAL__N_124unique_dim_cuda_templateImEESt5tupleIJNSF_6TensorESK_SK_EERKSK_lbbbEUlllE0_EEPmJS9_EEE10hipError_tPvRmT3_T4_T5_T6_T7_T9_mT8_P12ihipStream_tbDpT10_ENKUlT_T0_E_clISt17integral_constantIbLb1EES1A_EEDaS15_S16_EUlS15_E_NS1_11comp_targetILNS1_3genE10ELNS1_11target_archE1200ELNS1_3gpuE4ELNS1_3repE0EEENS1_30default_config_static_selectorELNS0_4arch9wavefront6targetE1EEEvT1_: ; @_ZN7rocprim17ROCPRIM_400000_NS6detail17trampoline_kernelINS0_14default_configENS1_25partition_config_selectorILNS1_17partition_subalgoE9EllbEEZZNS1_14partition_implILS5_9ELb0ES3_jPlS8_PNS0_10empty_typeENS0_5tupleIJS8_S9_EEENSB_IJS8_SA_EEENS0_18inequality_wrapperIZN2at6native12_GLOBAL__N_124unique_dim_cuda_templateImEESt5tupleIJNSF_6TensorESK_SK_EERKSK_lbbbEUlllE0_EEPmJS9_EEE10hipError_tPvRmT3_T4_T5_T6_T7_T9_mT8_P12ihipStream_tbDpT10_ENKUlT_T0_E_clISt17integral_constantIbLb1EES1A_EEDaS15_S16_EUlS15_E_NS1_11comp_targetILNS1_3genE10ELNS1_11target_archE1200ELNS1_3gpuE4ELNS1_3repE0EEENS1_30default_config_static_selectorELNS0_4arch9wavefront6targetE1EEEvT1_
; %bb.0:
	.section	.rodata,"a",@progbits
	.p2align	6, 0x0
	.amdhsa_kernel _ZN7rocprim17ROCPRIM_400000_NS6detail17trampoline_kernelINS0_14default_configENS1_25partition_config_selectorILNS1_17partition_subalgoE9EllbEEZZNS1_14partition_implILS5_9ELb0ES3_jPlS8_PNS0_10empty_typeENS0_5tupleIJS8_S9_EEENSB_IJS8_SA_EEENS0_18inequality_wrapperIZN2at6native12_GLOBAL__N_124unique_dim_cuda_templateImEESt5tupleIJNSF_6TensorESK_SK_EERKSK_lbbbEUlllE0_EEPmJS9_EEE10hipError_tPvRmT3_T4_T5_T6_T7_T9_mT8_P12ihipStream_tbDpT10_ENKUlT_T0_E_clISt17integral_constantIbLb1EES1A_EEDaS15_S16_EUlS15_E_NS1_11comp_targetILNS1_3genE10ELNS1_11target_archE1200ELNS1_3gpuE4ELNS1_3repE0EEENS1_30default_config_static_selectorELNS0_4arch9wavefront6targetE1EEEvT1_
		.amdhsa_group_segment_fixed_size 0
		.amdhsa_private_segment_fixed_size 0
		.amdhsa_kernarg_size 136
		.amdhsa_user_sgpr_count 2
		.amdhsa_user_sgpr_dispatch_ptr 0
		.amdhsa_user_sgpr_queue_ptr 0
		.amdhsa_user_sgpr_kernarg_segment_ptr 1
		.amdhsa_user_sgpr_dispatch_id 0
		.amdhsa_user_sgpr_kernarg_preload_length 0
		.amdhsa_user_sgpr_kernarg_preload_offset 0
		.amdhsa_user_sgpr_private_segment_size 0
		.amdhsa_uses_dynamic_stack 0
		.amdhsa_enable_private_segment 0
		.amdhsa_system_sgpr_workgroup_id_x 1
		.amdhsa_system_sgpr_workgroup_id_y 0
		.amdhsa_system_sgpr_workgroup_id_z 0
		.amdhsa_system_sgpr_workgroup_info 0
		.amdhsa_system_vgpr_workitem_id 0
		.amdhsa_next_free_vgpr 1
		.amdhsa_next_free_sgpr 0
		.amdhsa_accum_offset 4
		.amdhsa_reserve_vcc 0
		.amdhsa_float_round_mode_32 0
		.amdhsa_float_round_mode_16_64 0
		.amdhsa_float_denorm_mode_32 3
		.amdhsa_float_denorm_mode_16_64 3
		.amdhsa_dx10_clamp 1
		.amdhsa_ieee_mode 1
		.amdhsa_fp16_overflow 0
		.amdhsa_tg_split 0
		.amdhsa_exception_fp_ieee_invalid_op 0
		.amdhsa_exception_fp_denorm_src 0
		.amdhsa_exception_fp_ieee_div_zero 0
		.amdhsa_exception_fp_ieee_overflow 0
		.amdhsa_exception_fp_ieee_underflow 0
		.amdhsa_exception_fp_ieee_inexact 0
		.amdhsa_exception_int_div_zero 0
	.end_amdhsa_kernel
	.section	.text._ZN7rocprim17ROCPRIM_400000_NS6detail17trampoline_kernelINS0_14default_configENS1_25partition_config_selectorILNS1_17partition_subalgoE9EllbEEZZNS1_14partition_implILS5_9ELb0ES3_jPlS8_PNS0_10empty_typeENS0_5tupleIJS8_S9_EEENSB_IJS8_SA_EEENS0_18inequality_wrapperIZN2at6native12_GLOBAL__N_124unique_dim_cuda_templateImEESt5tupleIJNSF_6TensorESK_SK_EERKSK_lbbbEUlllE0_EEPmJS9_EEE10hipError_tPvRmT3_T4_T5_T6_T7_T9_mT8_P12ihipStream_tbDpT10_ENKUlT_T0_E_clISt17integral_constantIbLb1EES1A_EEDaS15_S16_EUlS15_E_NS1_11comp_targetILNS1_3genE10ELNS1_11target_archE1200ELNS1_3gpuE4ELNS1_3repE0EEENS1_30default_config_static_selectorELNS0_4arch9wavefront6targetE1EEEvT1_,"axG",@progbits,_ZN7rocprim17ROCPRIM_400000_NS6detail17trampoline_kernelINS0_14default_configENS1_25partition_config_selectorILNS1_17partition_subalgoE9EllbEEZZNS1_14partition_implILS5_9ELb0ES3_jPlS8_PNS0_10empty_typeENS0_5tupleIJS8_S9_EEENSB_IJS8_SA_EEENS0_18inequality_wrapperIZN2at6native12_GLOBAL__N_124unique_dim_cuda_templateImEESt5tupleIJNSF_6TensorESK_SK_EERKSK_lbbbEUlllE0_EEPmJS9_EEE10hipError_tPvRmT3_T4_T5_T6_T7_T9_mT8_P12ihipStream_tbDpT10_ENKUlT_T0_E_clISt17integral_constantIbLb1EES1A_EEDaS15_S16_EUlS15_E_NS1_11comp_targetILNS1_3genE10ELNS1_11target_archE1200ELNS1_3gpuE4ELNS1_3repE0EEENS1_30default_config_static_selectorELNS0_4arch9wavefront6targetE1EEEvT1_,comdat
.Lfunc_end1708:
	.size	_ZN7rocprim17ROCPRIM_400000_NS6detail17trampoline_kernelINS0_14default_configENS1_25partition_config_selectorILNS1_17partition_subalgoE9EllbEEZZNS1_14partition_implILS5_9ELb0ES3_jPlS8_PNS0_10empty_typeENS0_5tupleIJS8_S9_EEENSB_IJS8_SA_EEENS0_18inequality_wrapperIZN2at6native12_GLOBAL__N_124unique_dim_cuda_templateImEESt5tupleIJNSF_6TensorESK_SK_EERKSK_lbbbEUlllE0_EEPmJS9_EEE10hipError_tPvRmT3_T4_T5_T6_T7_T9_mT8_P12ihipStream_tbDpT10_ENKUlT_T0_E_clISt17integral_constantIbLb1EES1A_EEDaS15_S16_EUlS15_E_NS1_11comp_targetILNS1_3genE10ELNS1_11target_archE1200ELNS1_3gpuE4ELNS1_3repE0EEENS1_30default_config_static_selectorELNS0_4arch9wavefront6targetE1EEEvT1_, .Lfunc_end1708-_ZN7rocprim17ROCPRIM_400000_NS6detail17trampoline_kernelINS0_14default_configENS1_25partition_config_selectorILNS1_17partition_subalgoE9EllbEEZZNS1_14partition_implILS5_9ELb0ES3_jPlS8_PNS0_10empty_typeENS0_5tupleIJS8_S9_EEENSB_IJS8_SA_EEENS0_18inequality_wrapperIZN2at6native12_GLOBAL__N_124unique_dim_cuda_templateImEESt5tupleIJNSF_6TensorESK_SK_EERKSK_lbbbEUlllE0_EEPmJS9_EEE10hipError_tPvRmT3_T4_T5_T6_T7_T9_mT8_P12ihipStream_tbDpT10_ENKUlT_T0_E_clISt17integral_constantIbLb1EES1A_EEDaS15_S16_EUlS15_E_NS1_11comp_targetILNS1_3genE10ELNS1_11target_archE1200ELNS1_3gpuE4ELNS1_3repE0EEENS1_30default_config_static_selectorELNS0_4arch9wavefront6targetE1EEEvT1_
                                        ; -- End function
	.set _ZN7rocprim17ROCPRIM_400000_NS6detail17trampoline_kernelINS0_14default_configENS1_25partition_config_selectorILNS1_17partition_subalgoE9EllbEEZZNS1_14partition_implILS5_9ELb0ES3_jPlS8_PNS0_10empty_typeENS0_5tupleIJS8_S9_EEENSB_IJS8_SA_EEENS0_18inequality_wrapperIZN2at6native12_GLOBAL__N_124unique_dim_cuda_templateImEESt5tupleIJNSF_6TensorESK_SK_EERKSK_lbbbEUlllE0_EEPmJS9_EEE10hipError_tPvRmT3_T4_T5_T6_T7_T9_mT8_P12ihipStream_tbDpT10_ENKUlT_T0_E_clISt17integral_constantIbLb1EES1A_EEDaS15_S16_EUlS15_E_NS1_11comp_targetILNS1_3genE10ELNS1_11target_archE1200ELNS1_3gpuE4ELNS1_3repE0EEENS1_30default_config_static_selectorELNS0_4arch9wavefront6targetE1EEEvT1_.num_vgpr, 0
	.set _ZN7rocprim17ROCPRIM_400000_NS6detail17trampoline_kernelINS0_14default_configENS1_25partition_config_selectorILNS1_17partition_subalgoE9EllbEEZZNS1_14partition_implILS5_9ELb0ES3_jPlS8_PNS0_10empty_typeENS0_5tupleIJS8_S9_EEENSB_IJS8_SA_EEENS0_18inequality_wrapperIZN2at6native12_GLOBAL__N_124unique_dim_cuda_templateImEESt5tupleIJNSF_6TensorESK_SK_EERKSK_lbbbEUlllE0_EEPmJS9_EEE10hipError_tPvRmT3_T4_T5_T6_T7_T9_mT8_P12ihipStream_tbDpT10_ENKUlT_T0_E_clISt17integral_constantIbLb1EES1A_EEDaS15_S16_EUlS15_E_NS1_11comp_targetILNS1_3genE10ELNS1_11target_archE1200ELNS1_3gpuE4ELNS1_3repE0EEENS1_30default_config_static_selectorELNS0_4arch9wavefront6targetE1EEEvT1_.num_agpr, 0
	.set _ZN7rocprim17ROCPRIM_400000_NS6detail17trampoline_kernelINS0_14default_configENS1_25partition_config_selectorILNS1_17partition_subalgoE9EllbEEZZNS1_14partition_implILS5_9ELb0ES3_jPlS8_PNS0_10empty_typeENS0_5tupleIJS8_S9_EEENSB_IJS8_SA_EEENS0_18inequality_wrapperIZN2at6native12_GLOBAL__N_124unique_dim_cuda_templateImEESt5tupleIJNSF_6TensorESK_SK_EERKSK_lbbbEUlllE0_EEPmJS9_EEE10hipError_tPvRmT3_T4_T5_T6_T7_T9_mT8_P12ihipStream_tbDpT10_ENKUlT_T0_E_clISt17integral_constantIbLb1EES1A_EEDaS15_S16_EUlS15_E_NS1_11comp_targetILNS1_3genE10ELNS1_11target_archE1200ELNS1_3gpuE4ELNS1_3repE0EEENS1_30default_config_static_selectorELNS0_4arch9wavefront6targetE1EEEvT1_.numbered_sgpr, 0
	.set _ZN7rocprim17ROCPRIM_400000_NS6detail17trampoline_kernelINS0_14default_configENS1_25partition_config_selectorILNS1_17partition_subalgoE9EllbEEZZNS1_14partition_implILS5_9ELb0ES3_jPlS8_PNS0_10empty_typeENS0_5tupleIJS8_S9_EEENSB_IJS8_SA_EEENS0_18inequality_wrapperIZN2at6native12_GLOBAL__N_124unique_dim_cuda_templateImEESt5tupleIJNSF_6TensorESK_SK_EERKSK_lbbbEUlllE0_EEPmJS9_EEE10hipError_tPvRmT3_T4_T5_T6_T7_T9_mT8_P12ihipStream_tbDpT10_ENKUlT_T0_E_clISt17integral_constantIbLb1EES1A_EEDaS15_S16_EUlS15_E_NS1_11comp_targetILNS1_3genE10ELNS1_11target_archE1200ELNS1_3gpuE4ELNS1_3repE0EEENS1_30default_config_static_selectorELNS0_4arch9wavefront6targetE1EEEvT1_.num_named_barrier, 0
	.set _ZN7rocprim17ROCPRIM_400000_NS6detail17trampoline_kernelINS0_14default_configENS1_25partition_config_selectorILNS1_17partition_subalgoE9EllbEEZZNS1_14partition_implILS5_9ELb0ES3_jPlS8_PNS0_10empty_typeENS0_5tupleIJS8_S9_EEENSB_IJS8_SA_EEENS0_18inequality_wrapperIZN2at6native12_GLOBAL__N_124unique_dim_cuda_templateImEESt5tupleIJNSF_6TensorESK_SK_EERKSK_lbbbEUlllE0_EEPmJS9_EEE10hipError_tPvRmT3_T4_T5_T6_T7_T9_mT8_P12ihipStream_tbDpT10_ENKUlT_T0_E_clISt17integral_constantIbLb1EES1A_EEDaS15_S16_EUlS15_E_NS1_11comp_targetILNS1_3genE10ELNS1_11target_archE1200ELNS1_3gpuE4ELNS1_3repE0EEENS1_30default_config_static_selectorELNS0_4arch9wavefront6targetE1EEEvT1_.private_seg_size, 0
	.set _ZN7rocprim17ROCPRIM_400000_NS6detail17trampoline_kernelINS0_14default_configENS1_25partition_config_selectorILNS1_17partition_subalgoE9EllbEEZZNS1_14partition_implILS5_9ELb0ES3_jPlS8_PNS0_10empty_typeENS0_5tupleIJS8_S9_EEENSB_IJS8_SA_EEENS0_18inequality_wrapperIZN2at6native12_GLOBAL__N_124unique_dim_cuda_templateImEESt5tupleIJNSF_6TensorESK_SK_EERKSK_lbbbEUlllE0_EEPmJS9_EEE10hipError_tPvRmT3_T4_T5_T6_T7_T9_mT8_P12ihipStream_tbDpT10_ENKUlT_T0_E_clISt17integral_constantIbLb1EES1A_EEDaS15_S16_EUlS15_E_NS1_11comp_targetILNS1_3genE10ELNS1_11target_archE1200ELNS1_3gpuE4ELNS1_3repE0EEENS1_30default_config_static_selectorELNS0_4arch9wavefront6targetE1EEEvT1_.uses_vcc, 0
	.set _ZN7rocprim17ROCPRIM_400000_NS6detail17trampoline_kernelINS0_14default_configENS1_25partition_config_selectorILNS1_17partition_subalgoE9EllbEEZZNS1_14partition_implILS5_9ELb0ES3_jPlS8_PNS0_10empty_typeENS0_5tupleIJS8_S9_EEENSB_IJS8_SA_EEENS0_18inequality_wrapperIZN2at6native12_GLOBAL__N_124unique_dim_cuda_templateImEESt5tupleIJNSF_6TensorESK_SK_EERKSK_lbbbEUlllE0_EEPmJS9_EEE10hipError_tPvRmT3_T4_T5_T6_T7_T9_mT8_P12ihipStream_tbDpT10_ENKUlT_T0_E_clISt17integral_constantIbLb1EES1A_EEDaS15_S16_EUlS15_E_NS1_11comp_targetILNS1_3genE10ELNS1_11target_archE1200ELNS1_3gpuE4ELNS1_3repE0EEENS1_30default_config_static_selectorELNS0_4arch9wavefront6targetE1EEEvT1_.uses_flat_scratch, 0
	.set _ZN7rocprim17ROCPRIM_400000_NS6detail17trampoline_kernelINS0_14default_configENS1_25partition_config_selectorILNS1_17partition_subalgoE9EllbEEZZNS1_14partition_implILS5_9ELb0ES3_jPlS8_PNS0_10empty_typeENS0_5tupleIJS8_S9_EEENSB_IJS8_SA_EEENS0_18inequality_wrapperIZN2at6native12_GLOBAL__N_124unique_dim_cuda_templateImEESt5tupleIJNSF_6TensorESK_SK_EERKSK_lbbbEUlllE0_EEPmJS9_EEE10hipError_tPvRmT3_T4_T5_T6_T7_T9_mT8_P12ihipStream_tbDpT10_ENKUlT_T0_E_clISt17integral_constantIbLb1EES1A_EEDaS15_S16_EUlS15_E_NS1_11comp_targetILNS1_3genE10ELNS1_11target_archE1200ELNS1_3gpuE4ELNS1_3repE0EEENS1_30default_config_static_selectorELNS0_4arch9wavefront6targetE1EEEvT1_.has_dyn_sized_stack, 0
	.set _ZN7rocprim17ROCPRIM_400000_NS6detail17trampoline_kernelINS0_14default_configENS1_25partition_config_selectorILNS1_17partition_subalgoE9EllbEEZZNS1_14partition_implILS5_9ELb0ES3_jPlS8_PNS0_10empty_typeENS0_5tupleIJS8_S9_EEENSB_IJS8_SA_EEENS0_18inequality_wrapperIZN2at6native12_GLOBAL__N_124unique_dim_cuda_templateImEESt5tupleIJNSF_6TensorESK_SK_EERKSK_lbbbEUlllE0_EEPmJS9_EEE10hipError_tPvRmT3_T4_T5_T6_T7_T9_mT8_P12ihipStream_tbDpT10_ENKUlT_T0_E_clISt17integral_constantIbLb1EES1A_EEDaS15_S16_EUlS15_E_NS1_11comp_targetILNS1_3genE10ELNS1_11target_archE1200ELNS1_3gpuE4ELNS1_3repE0EEENS1_30default_config_static_selectorELNS0_4arch9wavefront6targetE1EEEvT1_.has_recursion, 0
	.set _ZN7rocprim17ROCPRIM_400000_NS6detail17trampoline_kernelINS0_14default_configENS1_25partition_config_selectorILNS1_17partition_subalgoE9EllbEEZZNS1_14partition_implILS5_9ELb0ES3_jPlS8_PNS0_10empty_typeENS0_5tupleIJS8_S9_EEENSB_IJS8_SA_EEENS0_18inequality_wrapperIZN2at6native12_GLOBAL__N_124unique_dim_cuda_templateImEESt5tupleIJNSF_6TensorESK_SK_EERKSK_lbbbEUlllE0_EEPmJS9_EEE10hipError_tPvRmT3_T4_T5_T6_T7_T9_mT8_P12ihipStream_tbDpT10_ENKUlT_T0_E_clISt17integral_constantIbLb1EES1A_EEDaS15_S16_EUlS15_E_NS1_11comp_targetILNS1_3genE10ELNS1_11target_archE1200ELNS1_3gpuE4ELNS1_3repE0EEENS1_30default_config_static_selectorELNS0_4arch9wavefront6targetE1EEEvT1_.has_indirect_call, 0
	.section	.AMDGPU.csdata,"",@progbits
; Kernel info:
; codeLenInByte = 0
; TotalNumSgprs: 6
; NumVgprs: 0
; NumAgprs: 0
; TotalNumVgprs: 0
; ScratchSize: 0
; MemoryBound: 0
; FloatMode: 240
; IeeeMode: 1
; LDSByteSize: 0 bytes/workgroup (compile time only)
; SGPRBlocks: 0
; VGPRBlocks: 0
; NumSGPRsForWavesPerEU: 6
; NumVGPRsForWavesPerEU: 1
; AccumOffset: 4
; Occupancy: 8
; WaveLimiterHint : 0
; COMPUTE_PGM_RSRC2:SCRATCH_EN: 0
; COMPUTE_PGM_RSRC2:USER_SGPR: 2
; COMPUTE_PGM_RSRC2:TRAP_HANDLER: 0
; COMPUTE_PGM_RSRC2:TGID_X_EN: 1
; COMPUTE_PGM_RSRC2:TGID_Y_EN: 0
; COMPUTE_PGM_RSRC2:TGID_Z_EN: 0
; COMPUTE_PGM_RSRC2:TIDIG_COMP_CNT: 0
; COMPUTE_PGM_RSRC3_GFX90A:ACCUM_OFFSET: 0
; COMPUTE_PGM_RSRC3_GFX90A:TG_SPLIT: 0
	.section	.text._ZN7rocprim17ROCPRIM_400000_NS6detail17trampoline_kernelINS0_14default_configENS1_25partition_config_selectorILNS1_17partition_subalgoE9EllbEEZZNS1_14partition_implILS5_9ELb0ES3_jPlS8_PNS0_10empty_typeENS0_5tupleIJS8_S9_EEENSB_IJS8_SA_EEENS0_18inequality_wrapperIZN2at6native12_GLOBAL__N_124unique_dim_cuda_templateImEESt5tupleIJNSF_6TensorESK_SK_EERKSK_lbbbEUlllE0_EEPmJS9_EEE10hipError_tPvRmT3_T4_T5_T6_T7_T9_mT8_P12ihipStream_tbDpT10_ENKUlT_T0_E_clISt17integral_constantIbLb1EES1A_EEDaS15_S16_EUlS15_E_NS1_11comp_targetILNS1_3genE9ELNS1_11target_archE1100ELNS1_3gpuE3ELNS1_3repE0EEENS1_30default_config_static_selectorELNS0_4arch9wavefront6targetE1EEEvT1_,"axG",@progbits,_ZN7rocprim17ROCPRIM_400000_NS6detail17trampoline_kernelINS0_14default_configENS1_25partition_config_selectorILNS1_17partition_subalgoE9EllbEEZZNS1_14partition_implILS5_9ELb0ES3_jPlS8_PNS0_10empty_typeENS0_5tupleIJS8_S9_EEENSB_IJS8_SA_EEENS0_18inequality_wrapperIZN2at6native12_GLOBAL__N_124unique_dim_cuda_templateImEESt5tupleIJNSF_6TensorESK_SK_EERKSK_lbbbEUlllE0_EEPmJS9_EEE10hipError_tPvRmT3_T4_T5_T6_T7_T9_mT8_P12ihipStream_tbDpT10_ENKUlT_T0_E_clISt17integral_constantIbLb1EES1A_EEDaS15_S16_EUlS15_E_NS1_11comp_targetILNS1_3genE9ELNS1_11target_archE1100ELNS1_3gpuE3ELNS1_3repE0EEENS1_30default_config_static_selectorELNS0_4arch9wavefront6targetE1EEEvT1_,comdat
	.globl	_ZN7rocprim17ROCPRIM_400000_NS6detail17trampoline_kernelINS0_14default_configENS1_25partition_config_selectorILNS1_17partition_subalgoE9EllbEEZZNS1_14partition_implILS5_9ELb0ES3_jPlS8_PNS0_10empty_typeENS0_5tupleIJS8_S9_EEENSB_IJS8_SA_EEENS0_18inequality_wrapperIZN2at6native12_GLOBAL__N_124unique_dim_cuda_templateImEESt5tupleIJNSF_6TensorESK_SK_EERKSK_lbbbEUlllE0_EEPmJS9_EEE10hipError_tPvRmT3_T4_T5_T6_T7_T9_mT8_P12ihipStream_tbDpT10_ENKUlT_T0_E_clISt17integral_constantIbLb1EES1A_EEDaS15_S16_EUlS15_E_NS1_11comp_targetILNS1_3genE9ELNS1_11target_archE1100ELNS1_3gpuE3ELNS1_3repE0EEENS1_30default_config_static_selectorELNS0_4arch9wavefront6targetE1EEEvT1_ ; -- Begin function _ZN7rocprim17ROCPRIM_400000_NS6detail17trampoline_kernelINS0_14default_configENS1_25partition_config_selectorILNS1_17partition_subalgoE9EllbEEZZNS1_14partition_implILS5_9ELb0ES3_jPlS8_PNS0_10empty_typeENS0_5tupleIJS8_S9_EEENSB_IJS8_SA_EEENS0_18inequality_wrapperIZN2at6native12_GLOBAL__N_124unique_dim_cuda_templateImEESt5tupleIJNSF_6TensorESK_SK_EERKSK_lbbbEUlllE0_EEPmJS9_EEE10hipError_tPvRmT3_T4_T5_T6_T7_T9_mT8_P12ihipStream_tbDpT10_ENKUlT_T0_E_clISt17integral_constantIbLb1EES1A_EEDaS15_S16_EUlS15_E_NS1_11comp_targetILNS1_3genE9ELNS1_11target_archE1100ELNS1_3gpuE3ELNS1_3repE0EEENS1_30default_config_static_selectorELNS0_4arch9wavefront6targetE1EEEvT1_
	.p2align	8
	.type	_ZN7rocprim17ROCPRIM_400000_NS6detail17trampoline_kernelINS0_14default_configENS1_25partition_config_selectorILNS1_17partition_subalgoE9EllbEEZZNS1_14partition_implILS5_9ELb0ES3_jPlS8_PNS0_10empty_typeENS0_5tupleIJS8_S9_EEENSB_IJS8_SA_EEENS0_18inequality_wrapperIZN2at6native12_GLOBAL__N_124unique_dim_cuda_templateImEESt5tupleIJNSF_6TensorESK_SK_EERKSK_lbbbEUlllE0_EEPmJS9_EEE10hipError_tPvRmT3_T4_T5_T6_T7_T9_mT8_P12ihipStream_tbDpT10_ENKUlT_T0_E_clISt17integral_constantIbLb1EES1A_EEDaS15_S16_EUlS15_E_NS1_11comp_targetILNS1_3genE9ELNS1_11target_archE1100ELNS1_3gpuE3ELNS1_3repE0EEENS1_30default_config_static_selectorELNS0_4arch9wavefront6targetE1EEEvT1_,@function
_ZN7rocprim17ROCPRIM_400000_NS6detail17trampoline_kernelINS0_14default_configENS1_25partition_config_selectorILNS1_17partition_subalgoE9EllbEEZZNS1_14partition_implILS5_9ELb0ES3_jPlS8_PNS0_10empty_typeENS0_5tupleIJS8_S9_EEENSB_IJS8_SA_EEENS0_18inequality_wrapperIZN2at6native12_GLOBAL__N_124unique_dim_cuda_templateImEESt5tupleIJNSF_6TensorESK_SK_EERKSK_lbbbEUlllE0_EEPmJS9_EEE10hipError_tPvRmT3_T4_T5_T6_T7_T9_mT8_P12ihipStream_tbDpT10_ENKUlT_T0_E_clISt17integral_constantIbLb1EES1A_EEDaS15_S16_EUlS15_E_NS1_11comp_targetILNS1_3genE9ELNS1_11target_archE1100ELNS1_3gpuE3ELNS1_3repE0EEENS1_30default_config_static_selectorELNS0_4arch9wavefront6targetE1EEEvT1_: ; @_ZN7rocprim17ROCPRIM_400000_NS6detail17trampoline_kernelINS0_14default_configENS1_25partition_config_selectorILNS1_17partition_subalgoE9EllbEEZZNS1_14partition_implILS5_9ELb0ES3_jPlS8_PNS0_10empty_typeENS0_5tupleIJS8_S9_EEENSB_IJS8_SA_EEENS0_18inequality_wrapperIZN2at6native12_GLOBAL__N_124unique_dim_cuda_templateImEESt5tupleIJNSF_6TensorESK_SK_EERKSK_lbbbEUlllE0_EEPmJS9_EEE10hipError_tPvRmT3_T4_T5_T6_T7_T9_mT8_P12ihipStream_tbDpT10_ENKUlT_T0_E_clISt17integral_constantIbLb1EES1A_EEDaS15_S16_EUlS15_E_NS1_11comp_targetILNS1_3genE9ELNS1_11target_archE1100ELNS1_3gpuE3ELNS1_3repE0EEENS1_30default_config_static_selectorELNS0_4arch9wavefront6targetE1EEEvT1_
; %bb.0:
	.section	.rodata,"a",@progbits
	.p2align	6, 0x0
	.amdhsa_kernel _ZN7rocprim17ROCPRIM_400000_NS6detail17trampoline_kernelINS0_14default_configENS1_25partition_config_selectorILNS1_17partition_subalgoE9EllbEEZZNS1_14partition_implILS5_9ELb0ES3_jPlS8_PNS0_10empty_typeENS0_5tupleIJS8_S9_EEENSB_IJS8_SA_EEENS0_18inequality_wrapperIZN2at6native12_GLOBAL__N_124unique_dim_cuda_templateImEESt5tupleIJNSF_6TensorESK_SK_EERKSK_lbbbEUlllE0_EEPmJS9_EEE10hipError_tPvRmT3_T4_T5_T6_T7_T9_mT8_P12ihipStream_tbDpT10_ENKUlT_T0_E_clISt17integral_constantIbLb1EES1A_EEDaS15_S16_EUlS15_E_NS1_11comp_targetILNS1_3genE9ELNS1_11target_archE1100ELNS1_3gpuE3ELNS1_3repE0EEENS1_30default_config_static_selectorELNS0_4arch9wavefront6targetE1EEEvT1_
		.amdhsa_group_segment_fixed_size 0
		.amdhsa_private_segment_fixed_size 0
		.amdhsa_kernarg_size 136
		.amdhsa_user_sgpr_count 2
		.amdhsa_user_sgpr_dispatch_ptr 0
		.amdhsa_user_sgpr_queue_ptr 0
		.amdhsa_user_sgpr_kernarg_segment_ptr 1
		.amdhsa_user_sgpr_dispatch_id 0
		.amdhsa_user_sgpr_kernarg_preload_length 0
		.amdhsa_user_sgpr_kernarg_preload_offset 0
		.amdhsa_user_sgpr_private_segment_size 0
		.amdhsa_uses_dynamic_stack 0
		.amdhsa_enable_private_segment 0
		.amdhsa_system_sgpr_workgroup_id_x 1
		.amdhsa_system_sgpr_workgroup_id_y 0
		.amdhsa_system_sgpr_workgroup_id_z 0
		.amdhsa_system_sgpr_workgroup_info 0
		.amdhsa_system_vgpr_workitem_id 0
		.amdhsa_next_free_vgpr 1
		.amdhsa_next_free_sgpr 0
		.amdhsa_accum_offset 4
		.amdhsa_reserve_vcc 0
		.amdhsa_float_round_mode_32 0
		.amdhsa_float_round_mode_16_64 0
		.amdhsa_float_denorm_mode_32 3
		.amdhsa_float_denorm_mode_16_64 3
		.amdhsa_dx10_clamp 1
		.amdhsa_ieee_mode 1
		.amdhsa_fp16_overflow 0
		.amdhsa_tg_split 0
		.amdhsa_exception_fp_ieee_invalid_op 0
		.amdhsa_exception_fp_denorm_src 0
		.amdhsa_exception_fp_ieee_div_zero 0
		.amdhsa_exception_fp_ieee_overflow 0
		.amdhsa_exception_fp_ieee_underflow 0
		.amdhsa_exception_fp_ieee_inexact 0
		.amdhsa_exception_int_div_zero 0
	.end_amdhsa_kernel
	.section	.text._ZN7rocprim17ROCPRIM_400000_NS6detail17trampoline_kernelINS0_14default_configENS1_25partition_config_selectorILNS1_17partition_subalgoE9EllbEEZZNS1_14partition_implILS5_9ELb0ES3_jPlS8_PNS0_10empty_typeENS0_5tupleIJS8_S9_EEENSB_IJS8_SA_EEENS0_18inequality_wrapperIZN2at6native12_GLOBAL__N_124unique_dim_cuda_templateImEESt5tupleIJNSF_6TensorESK_SK_EERKSK_lbbbEUlllE0_EEPmJS9_EEE10hipError_tPvRmT3_T4_T5_T6_T7_T9_mT8_P12ihipStream_tbDpT10_ENKUlT_T0_E_clISt17integral_constantIbLb1EES1A_EEDaS15_S16_EUlS15_E_NS1_11comp_targetILNS1_3genE9ELNS1_11target_archE1100ELNS1_3gpuE3ELNS1_3repE0EEENS1_30default_config_static_selectorELNS0_4arch9wavefront6targetE1EEEvT1_,"axG",@progbits,_ZN7rocprim17ROCPRIM_400000_NS6detail17trampoline_kernelINS0_14default_configENS1_25partition_config_selectorILNS1_17partition_subalgoE9EllbEEZZNS1_14partition_implILS5_9ELb0ES3_jPlS8_PNS0_10empty_typeENS0_5tupleIJS8_S9_EEENSB_IJS8_SA_EEENS0_18inequality_wrapperIZN2at6native12_GLOBAL__N_124unique_dim_cuda_templateImEESt5tupleIJNSF_6TensorESK_SK_EERKSK_lbbbEUlllE0_EEPmJS9_EEE10hipError_tPvRmT3_T4_T5_T6_T7_T9_mT8_P12ihipStream_tbDpT10_ENKUlT_T0_E_clISt17integral_constantIbLb1EES1A_EEDaS15_S16_EUlS15_E_NS1_11comp_targetILNS1_3genE9ELNS1_11target_archE1100ELNS1_3gpuE3ELNS1_3repE0EEENS1_30default_config_static_selectorELNS0_4arch9wavefront6targetE1EEEvT1_,comdat
.Lfunc_end1709:
	.size	_ZN7rocprim17ROCPRIM_400000_NS6detail17trampoline_kernelINS0_14default_configENS1_25partition_config_selectorILNS1_17partition_subalgoE9EllbEEZZNS1_14partition_implILS5_9ELb0ES3_jPlS8_PNS0_10empty_typeENS0_5tupleIJS8_S9_EEENSB_IJS8_SA_EEENS0_18inequality_wrapperIZN2at6native12_GLOBAL__N_124unique_dim_cuda_templateImEESt5tupleIJNSF_6TensorESK_SK_EERKSK_lbbbEUlllE0_EEPmJS9_EEE10hipError_tPvRmT3_T4_T5_T6_T7_T9_mT8_P12ihipStream_tbDpT10_ENKUlT_T0_E_clISt17integral_constantIbLb1EES1A_EEDaS15_S16_EUlS15_E_NS1_11comp_targetILNS1_3genE9ELNS1_11target_archE1100ELNS1_3gpuE3ELNS1_3repE0EEENS1_30default_config_static_selectorELNS0_4arch9wavefront6targetE1EEEvT1_, .Lfunc_end1709-_ZN7rocprim17ROCPRIM_400000_NS6detail17trampoline_kernelINS0_14default_configENS1_25partition_config_selectorILNS1_17partition_subalgoE9EllbEEZZNS1_14partition_implILS5_9ELb0ES3_jPlS8_PNS0_10empty_typeENS0_5tupleIJS8_S9_EEENSB_IJS8_SA_EEENS0_18inequality_wrapperIZN2at6native12_GLOBAL__N_124unique_dim_cuda_templateImEESt5tupleIJNSF_6TensorESK_SK_EERKSK_lbbbEUlllE0_EEPmJS9_EEE10hipError_tPvRmT3_T4_T5_T6_T7_T9_mT8_P12ihipStream_tbDpT10_ENKUlT_T0_E_clISt17integral_constantIbLb1EES1A_EEDaS15_S16_EUlS15_E_NS1_11comp_targetILNS1_3genE9ELNS1_11target_archE1100ELNS1_3gpuE3ELNS1_3repE0EEENS1_30default_config_static_selectorELNS0_4arch9wavefront6targetE1EEEvT1_
                                        ; -- End function
	.set _ZN7rocprim17ROCPRIM_400000_NS6detail17trampoline_kernelINS0_14default_configENS1_25partition_config_selectorILNS1_17partition_subalgoE9EllbEEZZNS1_14partition_implILS5_9ELb0ES3_jPlS8_PNS0_10empty_typeENS0_5tupleIJS8_S9_EEENSB_IJS8_SA_EEENS0_18inequality_wrapperIZN2at6native12_GLOBAL__N_124unique_dim_cuda_templateImEESt5tupleIJNSF_6TensorESK_SK_EERKSK_lbbbEUlllE0_EEPmJS9_EEE10hipError_tPvRmT3_T4_T5_T6_T7_T9_mT8_P12ihipStream_tbDpT10_ENKUlT_T0_E_clISt17integral_constantIbLb1EES1A_EEDaS15_S16_EUlS15_E_NS1_11comp_targetILNS1_3genE9ELNS1_11target_archE1100ELNS1_3gpuE3ELNS1_3repE0EEENS1_30default_config_static_selectorELNS0_4arch9wavefront6targetE1EEEvT1_.num_vgpr, 0
	.set _ZN7rocprim17ROCPRIM_400000_NS6detail17trampoline_kernelINS0_14default_configENS1_25partition_config_selectorILNS1_17partition_subalgoE9EllbEEZZNS1_14partition_implILS5_9ELb0ES3_jPlS8_PNS0_10empty_typeENS0_5tupleIJS8_S9_EEENSB_IJS8_SA_EEENS0_18inequality_wrapperIZN2at6native12_GLOBAL__N_124unique_dim_cuda_templateImEESt5tupleIJNSF_6TensorESK_SK_EERKSK_lbbbEUlllE0_EEPmJS9_EEE10hipError_tPvRmT3_T4_T5_T6_T7_T9_mT8_P12ihipStream_tbDpT10_ENKUlT_T0_E_clISt17integral_constantIbLb1EES1A_EEDaS15_S16_EUlS15_E_NS1_11comp_targetILNS1_3genE9ELNS1_11target_archE1100ELNS1_3gpuE3ELNS1_3repE0EEENS1_30default_config_static_selectorELNS0_4arch9wavefront6targetE1EEEvT1_.num_agpr, 0
	.set _ZN7rocprim17ROCPRIM_400000_NS6detail17trampoline_kernelINS0_14default_configENS1_25partition_config_selectorILNS1_17partition_subalgoE9EllbEEZZNS1_14partition_implILS5_9ELb0ES3_jPlS8_PNS0_10empty_typeENS0_5tupleIJS8_S9_EEENSB_IJS8_SA_EEENS0_18inequality_wrapperIZN2at6native12_GLOBAL__N_124unique_dim_cuda_templateImEESt5tupleIJNSF_6TensorESK_SK_EERKSK_lbbbEUlllE0_EEPmJS9_EEE10hipError_tPvRmT3_T4_T5_T6_T7_T9_mT8_P12ihipStream_tbDpT10_ENKUlT_T0_E_clISt17integral_constantIbLb1EES1A_EEDaS15_S16_EUlS15_E_NS1_11comp_targetILNS1_3genE9ELNS1_11target_archE1100ELNS1_3gpuE3ELNS1_3repE0EEENS1_30default_config_static_selectorELNS0_4arch9wavefront6targetE1EEEvT1_.numbered_sgpr, 0
	.set _ZN7rocprim17ROCPRIM_400000_NS6detail17trampoline_kernelINS0_14default_configENS1_25partition_config_selectorILNS1_17partition_subalgoE9EllbEEZZNS1_14partition_implILS5_9ELb0ES3_jPlS8_PNS0_10empty_typeENS0_5tupleIJS8_S9_EEENSB_IJS8_SA_EEENS0_18inequality_wrapperIZN2at6native12_GLOBAL__N_124unique_dim_cuda_templateImEESt5tupleIJNSF_6TensorESK_SK_EERKSK_lbbbEUlllE0_EEPmJS9_EEE10hipError_tPvRmT3_T4_T5_T6_T7_T9_mT8_P12ihipStream_tbDpT10_ENKUlT_T0_E_clISt17integral_constantIbLb1EES1A_EEDaS15_S16_EUlS15_E_NS1_11comp_targetILNS1_3genE9ELNS1_11target_archE1100ELNS1_3gpuE3ELNS1_3repE0EEENS1_30default_config_static_selectorELNS0_4arch9wavefront6targetE1EEEvT1_.num_named_barrier, 0
	.set _ZN7rocprim17ROCPRIM_400000_NS6detail17trampoline_kernelINS0_14default_configENS1_25partition_config_selectorILNS1_17partition_subalgoE9EllbEEZZNS1_14partition_implILS5_9ELb0ES3_jPlS8_PNS0_10empty_typeENS0_5tupleIJS8_S9_EEENSB_IJS8_SA_EEENS0_18inequality_wrapperIZN2at6native12_GLOBAL__N_124unique_dim_cuda_templateImEESt5tupleIJNSF_6TensorESK_SK_EERKSK_lbbbEUlllE0_EEPmJS9_EEE10hipError_tPvRmT3_T4_T5_T6_T7_T9_mT8_P12ihipStream_tbDpT10_ENKUlT_T0_E_clISt17integral_constantIbLb1EES1A_EEDaS15_S16_EUlS15_E_NS1_11comp_targetILNS1_3genE9ELNS1_11target_archE1100ELNS1_3gpuE3ELNS1_3repE0EEENS1_30default_config_static_selectorELNS0_4arch9wavefront6targetE1EEEvT1_.private_seg_size, 0
	.set _ZN7rocprim17ROCPRIM_400000_NS6detail17trampoline_kernelINS0_14default_configENS1_25partition_config_selectorILNS1_17partition_subalgoE9EllbEEZZNS1_14partition_implILS5_9ELb0ES3_jPlS8_PNS0_10empty_typeENS0_5tupleIJS8_S9_EEENSB_IJS8_SA_EEENS0_18inequality_wrapperIZN2at6native12_GLOBAL__N_124unique_dim_cuda_templateImEESt5tupleIJNSF_6TensorESK_SK_EERKSK_lbbbEUlllE0_EEPmJS9_EEE10hipError_tPvRmT3_T4_T5_T6_T7_T9_mT8_P12ihipStream_tbDpT10_ENKUlT_T0_E_clISt17integral_constantIbLb1EES1A_EEDaS15_S16_EUlS15_E_NS1_11comp_targetILNS1_3genE9ELNS1_11target_archE1100ELNS1_3gpuE3ELNS1_3repE0EEENS1_30default_config_static_selectorELNS0_4arch9wavefront6targetE1EEEvT1_.uses_vcc, 0
	.set _ZN7rocprim17ROCPRIM_400000_NS6detail17trampoline_kernelINS0_14default_configENS1_25partition_config_selectorILNS1_17partition_subalgoE9EllbEEZZNS1_14partition_implILS5_9ELb0ES3_jPlS8_PNS0_10empty_typeENS0_5tupleIJS8_S9_EEENSB_IJS8_SA_EEENS0_18inequality_wrapperIZN2at6native12_GLOBAL__N_124unique_dim_cuda_templateImEESt5tupleIJNSF_6TensorESK_SK_EERKSK_lbbbEUlllE0_EEPmJS9_EEE10hipError_tPvRmT3_T4_T5_T6_T7_T9_mT8_P12ihipStream_tbDpT10_ENKUlT_T0_E_clISt17integral_constantIbLb1EES1A_EEDaS15_S16_EUlS15_E_NS1_11comp_targetILNS1_3genE9ELNS1_11target_archE1100ELNS1_3gpuE3ELNS1_3repE0EEENS1_30default_config_static_selectorELNS0_4arch9wavefront6targetE1EEEvT1_.uses_flat_scratch, 0
	.set _ZN7rocprim17ROCPRIM_400000_NS6detail17trampoline_kernelINS0_14default_configENS1_25partition_config_selectorILNS1_17partition_subalgoE9EllbEEZZNS1_14partition_implILS5_9ELb0ES3_jPlS8_PNS0_10empty_typeENS0_5tupleIJS8_S9_EEENSB_IJS8_SA_EEENS0_18inequality_wrapperIZN2at6native12_GLOBAL__N_124unique_dim_cuda_templateImEESt5tupleIJNSF_6TensorESK_SK_EERKSK_lbbbEUlllE0_EEPmJS9_EEE10hipError_tPvRmT3_T4_T5_T6_T7_T9_mT8_P12ihipStream_tbDpT10_ENKUlT_T0_E_clISt17integral_constantIbLb1EES1A_EEDaS15_S16_EUlS15_E_NS1_11comp_targetILNS1_3genE9ELNS1_11target_archE1100ELNS1_3gpuE3ELNS1_3repE0EEENS1_30default_config_static_selectorELNS0_4arch9wavefront6targetE1EEEvT1_.has_dyn_sized_stack, 0
	.set _ZN7rocprim17ROCPRIM_400000_NS6detail17trampoline_kernelINS0_14default_configENS1_25partition_config_selectorILNS1_17partition_subalgoE9EllbEEZZNS1_14partition_implILS5_9ELb0ES3_jPlS8_PNS0_10empty_typeENS0_5tupleIJS8_S9_EEENSB_IJS8_SA_EEENS0_18inequality_wrapperIZN2at6native12_GLOBAL__N_124unique_dim_cuda_templateImEESt5tupleIJNSF_6TensorESK_SK_EERKSK_lbbbEUlllE0_EEPmJS9_EEE10hipError_tPvRmT3_T4_T5_T6_T7_T9_mT8_P12ihipStream_tbDpT10_ENKUlT_T0_E_clISt17integral_constantIbLb1EES1A_EEDaS15_S16_EUlS15_E_NS1_11comp_targetILNS1_3genE9ELNS1_11target_archE1100ELNS1_3gpuE3ELNS1_3repE0EEENS1_30default_config_static_selectorELNS0_4arch9wavefront6targetE1EEEvT1_.has_recursion, 0
	.set _ZN7rocprim17ROCPRIM_400000_NS6detail17trampoline_kernelINS0_14default_configENS1_25partition_config_selectorILNS1_17partition_subalgoE9EllbEEZZNS1_14partition_implILS5_9ELb0ES3_jPlS8_PNS0_10empty_typeENS0_5tupleIJS8_S9_EEENSB_IJS8_SA_EEENS0_18inequality_wrapperIZN2at6native12_GLOBAL__N_124unique_dim_cuda_templateImEESt5tupleIJNSF_6TensorESK_SK_EERKSK_lbbbEUlllE0_EEPmJS9_EEE10hipError_tPvRmT3_T4_T5_T6_T7_T9_mT8_P12ihipStream_tbDpT10_ENKUlT_T0_E_clISt17integral_constantIbLb1EES1A_EEDaS15_S16_EUlS15_E_NS1_11comp_targetILNS1_3genE9ELNS1_11target_archE1100ELNS1_3gpuE3ELNS1_3repE0EEENS1_30default_config_static_selectorELNS0_4arch9wavefront6targetE1EEEvT1_.has_indirect_call, 0
	.section	.AMDGPU.csdata,"",@progbits
; Kernel info:
; codeLenInByte = 0
; TotalNumSgprs: 6
; NumVgprs: 0
; NumAgprs: 0
; TotalNumVgprs: 0
; ScratchSize: 0
; MemoryBound: 0
; FloatMode: 240
; IeeeMode: 1
; LDSByteSize: 0 bytes/workgroup (compile time only)
; SGPRBlocks: 0
; VGPRBlocks: 0
; NumSGPRsForWavesPerEU: 6
; NumVGPRsForWavesPerEU: 1
; AccumOffset: 4
; Occupancy: 8
; WaveLimiterHint : 0
; COMPUTE_PGM_RSRC2:SCRATCH_EN: 0
; COMPUTE_PGM_RSRC2:USER_SGPR: 2
; COMPUTE_PGM_RSRC2:TRAP_HANDLER: 0
; COMPUTE_PGM_RSRC2:TGID_X_EN: 1
; COMPUTE_PGM_RSRC2:TGID_Y_EN: 0
; COMPUTE_PGM_RSRC2:TGID_Z_EN: 0
; COMPUTE_PGM_RSRC2:TIDIG_COMP_CNT: 0
; COMPUTE_PGM_RSRC3_GFX90A:ACCUM_OFFSET: 0
; COMPUTE_PGM_RSRC3_GFX90A:TG_SPLIT: 0
	.section	.text._ZN7rocprim17ROCPRIM_400000_NS6detail17trampoline_kernelINS0_14default_configENS1_25partition_config_selectorILNS1_17partition_subalgoE9EllbEEZZNS1_14partition_implILS5_9ELb0ES3_jPlS8_PNS0_10empty_typeENS0_5tupleIJS8_S9_EEENSB_IJS8_SA_EEENS0_18inequality_wrapperIZN2at6native12_GLOBAL__N_124unique_dim_cuda_templateImEESt5tupleIJNSF_6TensorESK_SK_EERKSK_lbbbEUlllE0_EEPmJS9_EEE10hipError_tPvRmT3_T4_T5_T6_T7_T9_mT8_P12ihipStream_tbDpT10_ENKUlT_T0_E_clISt17integral_constantIbLb1EES1A_EEDaS15_S16_EUlS15_E_NS1_11comp_targetILNS1_3genE8ELNS1_11target_archE1030ELNS1_3gpuE2ELNS1_3repE0EEENS1_30default_config_static_selectorELNS0_4arch9wavefront6targetE1EEEvT1_,"axG",@progbits,_ZN7rocprim17ROCPRIM_400000_NS6detail17trampoline_kernelINS0_14default_configENS1_25partition_config_selectorILNS1_17partition_subalgoE9EllbEEZZNS1_14partition_implILS5_9ELb0ES3_jPlS8_PNS0_10empty_typeENS0_5tupleIJS8_S9_EEENSB_IJS8_SA_EEENS0_18inequality_wrapperIZN2at6native12_GLOBAL__N_124unique_dim_cuda_templateImEESt5tupleIJNSF_6TensorESK_SK_EERKSK_lbbbEUlllE0_EEPmJS9_EEE10hipError_tPvRmT3_T4_T5_T6_T7_T9_mT8_P12ihipStream_tbDpT10_ENKUlT_T0_E_clISt17integral_constantIbLb1EES1A_EEDaS15_S16_EUlS15_E_NS1_11comp_targetILNS1_3genE8ELNS1_11target_archE1030ELNS1_3gpuE2ELNS1_3repE0EEENS1_30default_config_static_selectorELNS0_4arch9wavefront6targetE1EEEvT1_,comdat
	.globl	_ZN7rocprim17ROCPRIM_400000_NS6detail17trampoline_kernelINS0_14default_configENS1_25partition_config_selectorILNS1_17partition_subalgoE9EllbEEZZNS1_14partition_implILS5_9ELb0ES3_jPlS8_PNS0_10empty_typeENS0_5tupleIJS8_S9_EEENSB_IJS8_SA_EEENS0_18inequality_wrapperIZN2at6native12_GLOBAL__N_124unique_dim_cuda_templateImEESt5tupleIJNSF_6TensorESK_SK_EERKSK_lbbbEUlllE0_EEPmJS9_EEE10hipError_tPvRmT3_T4_T5_T6_T7_T9_mT8_P12ihipStream_tbDpT10_ENKUlT_T0_E_clISt17integral_constantIbLb1EES1A_EEDaS15_S16_EUlS15_E_NS1_11comp_targetILNS1_3genE8ELNS1_11target_archE1030ELNS1_3gpuE2ELNS1_3repE0EEENS1_30default_config_static_selectorELNS0_4arch9wavefront6targetE1EEEvT1_ ; -- Begin function _ZN7rocprim17ROCPRIM_400000_NS6detail17trampoline_kernelINS0_14default_configENS1_25partition_config_selectorILNS1_17partition_subalgoE9EllbEEZZNS1_14partition_implILS5_9ELb0ES3_jPlS8_PNS0_10empty_typeENS0_5tupleIJS8_S9_EEENSB_IJS8_SA_EEENS0_18inequality_wrapperIZN2at6native12_GLOBAL__N_124unique_dim_cuda_templateImEESt5tupleIJNSF_6TensorESK_SK_EERKSK_lbbbEUlllE0_EEPmJS9_EEE10hipError_tPvRmT3_T4_T5_T6_T7_T9_mT8_P12ihipStream_tbDpT10_ENKUlT_T0_E_clISt17integral_constantIbLb1EES1A_EEDaS15_S16_EUlS15_E_NS1_11comp_targetILNS1_3genE8ELNS1_11target_archE1030ELNS1_3gpuE2ELNS1_3repE0EEENS1_30default_config_static_selectorELNS0_4arch9wavefront6targetE1EEEvT1_
	.p2align	8
	.type	_ZN7rocprim17ROCPRIM_400000_NS6detail17trampoline_kernelINS0_14default_configENS1_25partition_config_selectorILNS1_17partition_subalgoE9EllbEEZZNS1_14partition_implILS5_9ELb0ES3_jPlS8_PNS0_10empty_typeENS0_5tupleIJS8_S9_EEENSB_IJS8_SA_EEENS0_18inequality_wrapperIZN2at6native12_GLOBAL__N_124unique_dim_cuda_templateImEESt5tupleIJNSF_6TensorESK_SK_EERKSK_lbbbEUlllE0_EEPmJS9_EEE10hipError_tPvRmT3_T4_T5_T6_T7_T9_mT8_P12ihipStream_tbDpT10_ENKUlT_T0_E_clISt17integral_constantIbLb1EES1A_EEDaS15_S16_EUlS15_E_NS1_11comp_targetILNS1_3genE8ELNS1_11target_archE1030ELNS1_3gpuE2ELNS1_3repE0EEENS1_30default_config_static_selectorELNS0_4arch9wavefront6targetE1EEEvT1_,@function
_ZN7rocprim17ROCPRIM_400000_NS6detail17trampoline_kernelINS0_14default_configENS1_25partition_config_selectorILNS1_17partition_subalgoE9EllbEEZZNS1_14partition_implILS5_9ELb0ES3_jPlS8_PNS0_10empty_typeENS0_5tupleIJS8_S9_EEENSB_IJS8_SA_EEENS0_18inequality_wrapperIZN2at6native12_GLOBAL__N_124unique_dim_cuda_templateImEESt5tupleIJNSF_6TensorESK_SK_EERKSK_lbbbEUlllE0_EEPmJS9_EEE10hipError_tPvRmT3_T4_T5_T6_T7_T9_mT8_P12ihipStream_tbDpT10_ENKUlT_T0_E_clISt17integral_constantIbLb1EES1A_EEDaS15_S16_EUlS15_E_NS1_11comp_targetILNS1_3genE8ELNS1_11target_archE1030ELNS1_3gpuE2ELNS1_3repE0EEENS1_30default_config_static_selectorELNS0_4arch9wavefront6targetE1EEEvT1_: ; @_ZN7rocprim17ROCPRIM_400000_NS6detail17trampoline_kernelINS0_14default_configENS1_25partition_config_selectorILNS1_17partition_subalgoE9EllbEEZZNS1_14partition_implILS5_9ELb0ES3_jPlS8_PNS0_10empty_typeENS0_5tupleIJS8_S9_EEENSB_IJS8_SA_EEENS0_18inequality_wrapperIZN2at6native12_GLOBAL__N_124unique_dim_cuda_templateImEESt5tupleIJNSF_6TensorESK_SK_EERKSK_lbbbEUlllE0_EEPmJS9_EEE10hipError_tPvRmT3_T4_T5_T6_T7_T9_mT8_P12ihipStream_tbDpT10_ENKUlT_T0_E_clISt17integral_constantIbLb1EES1A_EEDaS15_S16_EUlS15_E_NS1_11comp_targetILNS1_3genE8ELNS1_11target_archE1030ELNS1_3gpuE2ELNS1_3repE0EEENS1_30default_config_static_selectorELNS0_4arch9wavefront6targetE1EEEvT1_
; %bb.0:
	.section	.rodata,"a",@progbits
	.p2align	6, 0x0
	.amdhsa_kernel _ZN7rocprim17ROCPRIM_400000_NS6detail17trampoline_kernelINS0_14default_configENS1_25partition_config_selectorILNS1_17partition_subalgoE9EllbEEZZNS1_14partition_implILS5_9ELb0ES3_jPlS8_PNS0_10empty_typeENS0_5tupleIJS8_S9_EEENSB_IJS8_SA_EEENS0_18inequality_wrapperIZN2at6native12_GLOBAL__N_124unique_dim_cuda_templateImEESt5tupleIJNSF_6TensorESK_SK_EERKSK_lbbbEUlllE0_EEPmJS9_EEE10hipError_tPvRmT3_T4_T5_T6_T7_T9_mT8_P12ihipStream_tbDpT10_ENKUlT_T0_E_clISt17integral_constantIbLb1EES1A_EEDaS15_S16_EUlS15_E_NS1_11comp_targetILNS1_3genE8ELNS1_11target_archE1030ELNS1_3gpuE2ELNS1_3repE0EEENS1_30default_config_static_selectorELNS0_4arch9wavefront6targetE1EEEvT1_
		.amdhsa_group_segment_fixed_size 0
		.amdhsa_private_segment_fixed_size 0
		.amdhsa_kernarg_size 136
		.amdhsa_user_sgpr_count 2
		.amdhsa_user_sgpr_dispatch_ptr 0
		.amdhsa_user_sgpr_queue_ptr 0
		.amdhsa_user_sgpr_kernarg_segment_ptr 1
		.amdhsa_user_sgpr_dispatch_id 0
		.amdhsa_user_sgpr_kernarg_preload_length 0
		.amdhsa_user_sgpr_kernarg_preload_offset 0
		.amdhsa_user_sgpr_private_segment_size 0
		.amdhsa_uses_dynamic_stack 0
		.amdhsa_enable_private_segment 0
		.amdhsa_system_sgpr_workgroup_id_x 1
		.amdhsa_system_sgpr_workgroup_id_y 0
		.amdhsa_system_sgpr_workgroup_id_z 0
		.amdhsa_system_sgpr_workgroup_info 0
		.amdhsa_system_vgpr_workitem_id 0
		.amdhsa_next_free_vgpr 1
		.amdhsa_next_free_sgpr 0
		.amdhsa_accum_offset 4
		.amdhsa_reserve_vcc 0
		.amdhsa_float_round_mode_32 0
		.amdhsa_float_round_mode_16_64 0
		.amdhsa_float_denorm_mode_32 3
		.amdhsa_float_denorm_mode_16_64 3
		.amdhsa_dx10_clamp 1
		.amdhsa_ieee_mode 1
		.amdhsa_fp16_overflow 0
		.amdhsa_tg_split 0
		.amdhsa_exception_fp_ieee_invalid_op 0
		.amdhsa_exception_fp_denorm_src 0
		.amdhsa_exception_fp_ieee_div_zero 0
		.amdhsa_exception_fp_ieee_overflow 0
		.amdhsa_exception_fp_ieee_underflow 0
		.amdhsa_exception_fp_ieee_inexact 0
		.amdhsa_exception_int_div_zero 0
	.end_amdhsa_kernel
	.section	.text._ZN7rocprim17ROCPRIM_400000_NS6detail17trampoline_kernelINS0_14default_configENS1_25partition_config_selectorILNS1_17partition_subalgoE9EllbEEZZNS1_14partition_implILS5_9ELb0ES3_jPlS8_PNS0_10empty_typeENS0_5tupleIJS8_S9_EEENSB_IJS8_SA_EEENS0_18inequality_wrapperIZN2at6native12_GLOBAL__N_124unique_dim_cuda_templateImEESt5tupleIJNSF_6TensorESK_SK_EERKSK_lbbbEUlllE0_EEPmJS9_EEE10hipError_tPvRmT3_T4_T5_T6_T7_T9_mT8_P12ihipStream_tbDpT10_ENKUlT_T0_E_clISt17integral_constantIbLb1EES1A_EEDaS15_S16_EUlS15_E_NS1_11comp_targetILNS1_3genE8ELNS1_11target_archE1030ELNS1_3gpuE2ELNS1_3repE0EEENS1_30default_config_static_selectorELNS0_4arch9wavefront6targetE1EEEvT1_,"axG",@progbits,_ZN7rocprim17ROCPRIM_400000_NS6detail17trampoline_kernelINS0_14default_configENS1_25partition_config_selectorILNS1_17partition_subalgoE9EllbEEZZNS1_14partition_implILS5_9ELb0ES3_jPlS8_PNS0_10empty_typeENS0_5tupleIJS8_S9_EEENSB_IJS8_SA_EEENS0_18inequality_wrapperIZN2at6native12_GLOBAL__N_124unique_dim_cuda_templateImEESt5tupleIJNSF_6TensorESK_SK_EERKSK_lbbbEUlllE0_EEPmJS9_EEE10hipError_tPvRmT3_T4_T5_T6_T7_T9_mT8_P12ihipStream_tbDpT10_ENKUlT_T0_E_clISt17integral_constantIbLb1EES1A_EEDaS15_S16_EUlS15_E_NS1_11comp_targetILNS1_3genE8ELNS1_11target_archE1030ELNS1_3gpuE2ELNS1_3repE0EEENS1_30default_config_static_selectorELNS0_4arch9wavefront6targetE1EEEvT1_,comdat
.Lfunc_end1710:
	.size	_ZN7rocprim17ROCPRIM_400000_NS6detail17trampoline_kernelINS0_14default_configENS1_25partition_config_selectorILNS1_17partition_subalgoE9EllbEEZZNS1_14partition_implILS5_9ELb0ES3_jPlS8_PNS0_10empty_typeENS0_5tupleIJS8_S9_EEENSB_IJS8_SA_EEENS0_18inequality_wrapperIZN2at6native12_GLOBAL__N_124unique_dim_cuda_templateImEESt5tupleIJNSF_6TensorESK_SK_EERKSK_lbbbEUlllE0_EEPmJS9_EEE10hipError_tPvRmT3_T4_T5_T6_T7_T9_mT8_P12ihipStream_tbDpT10_ENKUlT_T0_E_clISt17integral_constantIbLb1EES1A_EEDaS15_S16_EUlS15_E_NS1_11comp_targetILNS1_3genE8ELNS1_11target_archE1030ELNS1_3gpuE2ELNS1_3repE0EEENS1_30default_config_static_selectorELNS0_4arch9wavefront6targetE1EEEvT1_, .Lfunc_end1710-_ZN7rocprim17ROCPRIM_400000_NS6detail17trampoline_kernelINS0_14default_configENS1_25partition_config_selectorILNS1_17partition_subalgoE9EllbEEZZNS1_14partition_implILS5_9ELb0ES3_jPlS8_PNS0_10empty_typeENS0_5tupleIJS8_S9_EEENSB_IJS8_SA_EEENS0_18inequality_wrapperIZN2at6native12_GLOBAL__N_124unique_dim_cuda_templateImEESt5tupleIJNSF_6TensorESK_SK_EERKSK_lbbbEUlllE0_EEPmJS9_EEE10hipError_tPvRmT3_T4_T5_T6_T7_T9_mT8_P12ihipStream_tbDpT10_ENKUlT_T0_E_clISt17integral_constantIbLb1EES1A_EEDaS15_S16_EUlS15_E_NS1_11comp_targetILNS1_3genE8ELNS1_11target_archE1030ELNS1_3gpuE2ELNS1_3repE0EEENS1_30default_config_static_selectorELNS0_4arch9wavefront6targetE1EEEvT1_
                                        ; -- End function
	.set _ZN7rocprim17ROCPRIM_400000_NS6detail17trampoline_kernelINS0_14default_configENS1_25partition_config_selectorILNS1_17partition_subalgoE9EllbEEZZNS1_14partition_implILS5_9ELb0ES3_jPlS8_PNS0_10empty_typeENS0_5tupleIJS8_S9_EEENSB_IJS8_SA_EEENS0_18inequality_wrapperIZN2at6native12_GLOBAL__N_124unique_dim_cuda_templateImEESt5tupleIJNSF_6TensorESK_SK_EERKSK_lbbbEUlllE0_EEPmJS9_EEE10hipError_tPvRmT3_T4_T5_T6_T7_T9_mT8_P12ihipStream_tbDpT10_ENKUlT_T0_E_clISt17integral_constantIbLb1EES1A_EEDaS15_S16_EUlS15_E_NS1_11comp_targetILNS1_3genE8ELNS1_11target_archE1030ELNS1_3gpuE2ELNS1_3repE0EEENS1_30default_config_static_selectorELNS0_4arch9wavefront6targetE1EEEvT1_.num_vgpr, 0
	.set _ZN7rocprim17ROCPRIM_400000_NS6detail17trampoline_kernelINS0_14default_configENS1_25partition_config_selectorILNS1_17partition_subalgoE9EllbEEZZNS1_14partition_implILS5_9ELb0ES3_jPlS8_PNS0_10empty_typeENS0_5tupleIJS8_S9_EEENSB_IJS8_SA_EEENS0_18inequality_wrapperIZN2at6native12_GLOBAL__N_124unique_dim_cuda_templateImEESt5tupleIJNSF_6TensorESK_SK_EERKSK_lbbbEUlllE0_EEPmJS9_EEE10hipError_tPvRmT3_T4_T5_T6_T7_T9_mT8_P12ihipStream_tbDpT10_ENKUlT_T0_E_clISt17integral_constantIbLb1EES1A_EEDaS15_S16_EUlS15_E_NS1_11comp_targetILNS1_3genE8ELNS1_11target_archE1030ELNS1_3gpuE2ELNS1_3repE0EEENS1_30default_config_static_selectorELNS0_4arch9wavefront6targetE1EEEvT1_.num_agpr, 0
	.set _ZN7rocprim17ROCPRIM_400000_NS6detail17trampoline_kernelINS0_14default_configENS1_25partition_config_selectorILNS1_17partition_subalgoE9EllbEEZZNS1_14partition_implILS5_9ELb0ES3_jPlS8_PNS0_10empty_typeENS0_5tupleIJS8_S9_EEENSB_IJS8_SA_EEENS0_18inequality_wrapperIZN2at6native12_GLOBAL__N_124unique_dim_cuda_templateImEESt5tupleIJNSF_6TensorESK_SK_EERKSK_lbbbEUlllE0_EEPmJS9_EEE10hipError_tPvRmT3_T4_T5_T6_T7_T9_mT8_P12ihipStream_tbDpT10_ENKUlT_T0_E_clISt17integral_constantIbLb1EES1A_EEDaS15_S16_EUlS15_E_NS1_11comp_targetILNS1_3genE8ELNS1_11target_archE1030ELNS1_3gpuE2ELNS1_3repE0EEENS1_30default_config_static_selectorELNS0_4arch9wavefront6targetE1EEEvT1_.numbered_sgpr, 0
	.set _ZN7rocprim17ROCPRIM_400000_NS6detail17trampoline_kernelINS0_14default_configENS1_25partition_config_selectorILNS1_17partition_subalgoE9EllbEEZZNS1_14partition_implILS5_9ELb0ES3_jPlS8_PNS0_10empty_typeENS0_5tupleIJS8_S9_EEENSB_IJS8_SA_EEENS0_18inequality_wrapperIZN2at6native12_GLOBAL__N_124unique_dim_cuda_templateImEESt5tupleIJNSF_6TensorESK_SK_EERKSK_lbbbEUlllE0_EEPmJS9_EEE10hipError_tPvRmT3_T4_T5_T6_T7_T9_mT8_P12ihipStream_tbDpT10_ENKUlT_T0_E_clISt17integral_constantIbLb1EES1A_EEDaS15_S16_EUlS15_E_NS1_11comp_targetILNS1_3genE8ELNS1_11target_archE1030ELNS1_3gpuE2ELNS1_3repE0EEENS1_30default_config_static_selectorELNS0_4arch9wavefront6targetE1EEEvT1_.num_named_barrier, 0
	.set _ZN7rocprim17ROCPRIM_400000_NS6detail17trampoline_kernelINS0_14default_configENS1_25partition_config_selectorILNS1_17partition_subalgoE9EllbEEZZNS1_14partition_implILS5_9ELb0ES3_jPlS8_PNS0_10empty_typeENS0_5tupleIJS8_S9_EEENSB_IJS8_SA_EEENS0_18inequality_wrapperIZN2at6native12_GLOBAL__N_124unique_dim_cuda_templateImEESt5tupleIJNSF_6TensorESK_SK_EERKSK_lbbbEUlllE0_EEPmJS9_EEE10hipError_tPvRmT3_T4_T5_T6_T7_T9_mT8_P12ihipStream_tbDpT10_ENKUlT_T0_E_clISt17integral_constantIbLb1EES1A_EEDaS15_S16_EUlS15_E_NS1_11comp_targetILNS1_3genE8ELNS1_11target_archE1030ELNS1_3gpuE2ELNS1_3repE0EEENS1_30default_config_static_selectorELNS0_4arch9wavefront6targetE1EEEvT1_.private_seg_size, 0
	.set _ZN7rocprim17ROCPRIM_400000_NS6detail17trampoline_kernelINS0_14default_configENS1_25partition_config_selectorILNS1_17partition_subalgoE9EllbEEZZNS1_14partition_implILS5_9ELb0ES3_jPlS8_PNS0_10empty_typeENS0_5tupleIJS8_S9_EEENSB_IJS8_SA_EEENS0_18inequality_wrapperIZN2at6native12_GLOBAL__N_124unique_dim_cuda_templateImEESt5tupleIJNSF_6TensorESK_SK_EERKSK_lbbbEUlllE0_EEPmJS9_EEE10hipError_tPvRmT3_T4_T5_T6_T7_T9_mT8_P12ihipStream_tbDpT10_ENKUlT_T0_E_clISt17integral_constantIbLb1EES1A_EEDaS15_S16_EUlS15_E_NS1_11comp_targetILNS1_3genE8ELNS1_11target_archE1030ELNS1_3gpuE2ELNS1_3repE0EEENS1_30default_config_static_selectorELNS0_4arch9wavefront6targetE1EEEvT1_.uses_vcc, 0
	.set _ZN7rocprim17ROCPRIM_400000_NS6detail17trampoline_kernelINS0_14default_configENS1_25partition_config_selectorILNS1_17partition_subalgoE9EllbEEZZNS1_14partition_implILS5_9ELb0ES3_jPlS8_PNS0_10empty_typeENS0_5tupleIJS8_S9_EEENSB_IJS8_SA_EEENS0_18inequality_wrapperIZN2at6native12_GLOBAL__N_124unique_dim_cuda_templateImEESt5tupleIJNSF_6TensorESK_SK_EERKSK_lbbbEUlllE0_EEPmJS9_EEE10hipError_tPvRmT3_T4_T5_T6_T7_T9_mT8_P12ihipStream_tbDpT10_ENKUlT_T0_E_clISt17integral_constantIbLb1EES1A_EEDaS15_S16_EUlS15_E_NS1_11comp_targetILNS1_3genE8ELNS1_11target_archE1030ELNS1_3gpuE2ELNS1_3repE0EEENS1_30default_config_static_selectorELNS0_4arch9wavefront6targetE1EEEvT1_.uses_flat_scratch, 0
	.set _ZN7rocprim17ROCPRIM_400000_NS6detail17trampoline_kernelINS0_14default_configENS1_25partition_config_selectorILNS1_17partition_subalgoE9EllbEEZZNS1_14partition_implILS5_9ELb0ES3_jPlS8_PNS0_10empty_typeENS0_5tupleIJS8_S9_EEENSB_IJS8_SA_EEENS0_18inequality_wrapperIZN2at6native12_GLOBAL__N_124unique_dim_cuda_templateImEESt5tupleIJNSF_6TensorESK_SK_EERKSK_lbbbEUlllE0_EEPmJS9_EEE10hipError_tPvRmT3_T4_T5_T6_T7_T9_mT8_P12ihipStream_tbDpT10_ENKUlT_T0_E_clISt17integral_constantIbLb1EES1A_EEDaS15_S16_EUlS15_E_NS1_11comp_targetILNS1_3genE8ELNS1_11target_archE1030ELNS1_3gpuE2ELNS1_3repE0EEENS1_30default_config_static_selectorELNS0_4arch9wavefront6targetE1EEEvT1_.has_dyn_sized_stack, 0
	.set _ZN7rocprim17ROCPRIM_400000_NS6detail17trampoline_kernelINS0_14default_configENS1_25partition_config_selectorILNS1_17partition_subalgoE9EllbEEZZNS1_14partition_implILS5_9ELb0ES3_jPlS8_PNS0_10empty_typeENS0_5tupleIJS8_S9_EEENSB_IJS8_SA_EEENS0_18inequality_wrapperIZN2at6native12_GLOBAL__N_124unique_dim_cuda_templateImEESt5tupleIJNSF_6TensorESK_SK_EERKSK_lbbbEUlllE0_EEPmJS9_EEE10hipError_tPvRmT3_T4_T5_T6_T7_T9_mT8_P12ihipStream_tbDpT10_ENKUlT_T0_E_clISt17integral_constantIbLb1EES1A_EEDaS15_S16_EUlS15_E_NS1_11comp_targetILNS1_3genE8ELNS1_11target_archE1030ELNS1_3gpuE2ELNS1_3repE0EEENS1_30default_config_static_selectorELNS0_4arch9wavefront6targetE1EEEvT1_.has_recursion, 0
	.set _ZN7rocprim17ROCPRIM_400000_NS6detail17trampoline_kernelINS0_14default_configENS1_25partition_config_selectorILNS1_17partition_subalgoE9EllbEEZZNS1_14partition_implILS5_9ELb0ES3_jPlS8_PNS0_10empty_typeENS0_5tupleIJS8_S9_EEENSB_IJS8_SA_EEENS0_18inequality_wrapperIZN2at6native12_GLOBAL__N_124unique_dim_cuda_templateImEESt5tupleIJNSF_6TensorESK_SK_EERKSK_lbbbEUlllE0_EEPmJS9_EEE10hipError_tPvRmT3_T4_T5_T6_T7_T9_mT8_P12ihipStream_tbDpT10_ENKUlT_T0_E_clISt17integral_constantIbLb1EES1A_EEDaS15_S16_EUlS15_E_NS1_11comp_targetILNS1_3genE8ELNS1_11target_archE1030ELNS1_3gpuE2ELNS1_3repE0EEENS1_30default_config_static_selectorELNS0_4arch9wavefront6targetE1EEEvT1_.has_indirect_call, 0
	.section	.AMDGPU.csdata,"",@progbits
; Kernel info:
; codeLenInByte = 0
; TotalNumSgprs: 6
; NumVgprs: 0
; NumAgprs: 0
; TotalNumVgprs: 0
; ScratchSize: 0
; MemoryBound: 0
; FloatMode: 240
; IeeeMode: 1
; LDSByteSize: 0 bytes/workgroup (compile time only)
; SGPRBlocks: 0
; VGPRBlocks: 0
; NumSGPRsForWavesPerEU: 6
; NumVGPRsForWavesPerEU: 1
; AccumOffset: 4
; Occupancy: 8
; WaveLimiterHint : 0
; COMPUTE_PGM_RSRC2:SCRATCH_EN: 0
; COMPUTE_PGM_RSRC2:USER_SGPR: 2
; COMPUTE_PGM_RSRC2:TRAP_HANDLER: 0
; COMPUTE_PGM_RSRC2:TGID_X_EN: 1
; COMPUTE_PGM_RSRC2:TGID_Y_EN: 0
; COMPUTE_PGM_RSRC2:TGID_Z_EN: 0
; COMPUTE_PGM_RSRC2:TIDIG_COMP_CNT: 0
; COMPUTE_PGM_RSRC3_GFX90A:ACCUM_OFFSET: 0
; COMPUTE_PGM_RSRC3_GFX90A:TG_SPLIT: 0
	.section	.text._ZN7rocprim17ROCPRIM_400000_NS6detail17trampoline_kernelINS0_14default_configENS1_25partition_config_selectorILNS1_17partition_subalgoE9EllbEEZZNS1_14partition_implILS5_9ELb0ES3_jPlS8_PNS0_10empty_typeENS0_5tupleIJS8_S9_EEENSB_IJS8_SA_EEENS0_18inequality_wrapperIZN2at6native12_GLOBAL__N_124unique_dim_cuda_templateImEESt5tupleIJNSF_6TensorESK_SK_EERKSK_lbbbEUlllE0_EEPmJS9_EEE10hipError_tPvRmT3_T4_T5_T6_T7_T9_mT8_P12ihipStream_tbDpT10_ENKUlT_T0_E_clISt17integral_constantIbLb1EES19_IbLb0EEEEDaS15_S16_EUlS15_E_NS1_11comp_targetILNS1_3genE0ELNS1_11target_archE4294967295ELNS1_3gpuE0ELNS1_3repE0EEENS1_30default_config_static_selectorELNS0_4arch9wavefront6targetE1EEEvT1_,"axG",@progbits,_ZN7rocprim17ROCPRIM_400000_NS6detail17trampoline_kernelINS0_14default_configENS1_25partition_config_selectorILNS1_17partition_subalgoE9EllbEEZZNS1_14partition_implILS5_9ELb0ES3_jPlS8_PNS0_10empty_typeENS0_5tupleIJS8_S9_EEENSB_IJS8_SA_EEENS0_18inequality_wrapperIZN2at6native12_GLOBAL__N_124unique_dim_cuda_templateImEESt5tupleIJNSF_6TensorESK_SK_EERKSK_lbbbEUlllE0_EEPmJS9_EEE10hipError_tPvRmT3_T4_T5_T6_T7_T9_mT8_P12ihipStream_tbDpT10_ENKUlT_T0_E_clISt17integral_constantIbLb1EES19_IbLb0EEEEDaS15_S16_EUlS15_E_NS1_11comp_targetILNS1_3genE0ELNS1_11target_archE4294967295ELNS1_3gpuE0ELNS1_3repE0EEENS1_30default_config_static_selectorELNS0_4arch9wavefront6targetE1EEEvT1_,comdat
	.globl	_ZN7rocprim17ROCPRIM_400000_NS6detail17trampoline_kernelINS0_14default_configENS1_25partition_config_selectorILNS1_17partition_subalgoE9EllbEEZZNS1_14partition_implILS5_9ELb0ES3_jPlS8_PNS0_10empty_typeENS0_5tupleIJS8_S9_EEENSB_IJS8_SA_EEENS0_18inequality_wrapperIZN2at6native12_GLOBAL__N_124unique_dim_cuda_templateImEESt5tupleIJNSF_6TensorESK_SK_EERKSK_lbbbEUlllE0_EEPmJS9_EEE10hipError_tPvRmT3_T4_T5_T6_T7_T9_mT8_P12ihipStream_tbDpT10_ENKUlT_T0_E_clISt17integral_constantIbLb1EES19_IbLb0EEEEDaS15_S16_EUlS15_E_NS1_11comp_targetILNS1_3genE0ELNS1_11target_archE4294967295ELNS1_3gpuE0ELNS1_3repE0EEENS1_30default_config_static_selectorELNS0_4arch9wavefront6targetE1EEEvT1_ ; -- Begin function _ZN7rocprim17ROCPRIM_400000_NS6detail17trampoline_kernelINS0_14default_configENS1_25partition_config_selectorILNS1_17partition_subalgoE9EllbEEZZNS1_14partition_implILS5_9ELb0ES3_jPlS8_PNS0_10empty_typeENS0_5tupleIJS8_S9_EEENSB_IJS8_SA_EEENS0_18inequality_wrapperIZN2at6native12_GLOBAL__N_124unique_dim_cuda_templateImEESt5tupleIJNSF_6TensorESK_SK_EERKSK_lbbbEUlllE0_EEPmJS9_EEE10hipError_tPvRmT3_T4_T5_T6_T7_T9_mT8_P12ihipStream_tbDpT10_ENKUlT_T0_E_clISt17integral_constantIbLb1EES19_IbLb0EEEEDaS15_S16_EUlS15_E_NS1_11comp_targetILNS1_3genE0ELNS1_11target_archE4294967295ELNS1_3gpuE0ELNS1_3repE0EEENS1_30default_config_static_selectorELNS0_4arch9wavefront6targetE1EEEvT1_
	.p2align	8
	.type	_ZN7rocprim17ROCPRIM_400000_NS6detail17trampoline_kernelINS0_14default_configENS1_25partition_config_selectorILNS1_17partition_subalgoE9EllbEEZZNS1_14partition_implILS5_9ELb0ES3_jPlS8_PNS0_10empty_typeENS0_5tupleIJS8_S9_EEENSB_IJS8_SA_EEENS0_18inequality_wrapperIZN2at6native12_GLOBAL__N_124unique_dim_cuda_templateImEESt5tupleIJNSF_6TensorESK_SK_EERKSK_lbbbEUlllE0_EEPmJS9_EEE10hipError_tPvRmT3_T4_T5_T6_T7_T9_mT8_P12ihipStream_tbDpT10_ENKUlT_T0_E_clISt17integral_constantIbLb1EES19_IbLb0EEEEDaS15_S16_EUlS15_E_NS1_11comp_targetILNS1_3genE0ELNS1_11target_archE4294967295ELNS1_3gpuE0ELNS1_3repE0EEENS1_30default_config_static_selectorELNS0_4arch9wavefront6targetE1EEEvT1_,@function
_ZN7rocprim17ROCPRIM_400000_NS6detail17trampoline_kernelINS0_14default_configENS1_25partition_config_selectorILNS1_17partition_subalgoE9EllbEEZZNS1_14partition_implILS5_9ELb0ES3_jPlS8_PNS0_10empty_typeENS0_5tupleIJS8_S9_EEENSB_IJS8_SA_EEENS0_18inequality_wrapperIZN2at6native12_GLOBAL__N_124unique_dim_cuda_templateImEESt5tupleIJNSF_6TensorESK_SK_EERKSK_lbbbEUlllE0_EEPmJS9_EEE10hipError_tPvRmT3_T4_T5_T6_T7_T9_mT8_P12ihipStream_tbDpT10_ENKUlT_T0_E_clISt17integral_constantIbLb1EES19_IbLb0EEEEDaS15_S16_EUlS15_E_NS1_11comp_targetILNS1_3genE0ELNS1_11target_archE4294967295ELNS1_3gpuE0ELNS1_3repE0EEENS1_30default_config_static_selectorELNS0_4arch9wavefront6targetE1EEEvT1_: ; @_ZN7rocprim17ROCPRIM_400000_NS6detail17trampoline_kernelINS0_14default_configENS1_25partition_config_selectorILNS1_17partition_subalgoE9EllbEEZZNS1_14partition_implILS5_9ELb0ES3_jPlS8_PNS0_10empty_typeENS0_5tupleIJS8_S9_EEENSB_IJS8_SA_EEENS0_18inequality_wrapperIZN2at6native12_GLOBAL__N_124unique_dim_cuda_templateImEESt5tupleIJNSF_6TensorESK_SK_EERKSK_lbbbEUlllE0_EEPmJS9_EEE10hipError_tPvRmT3_T4_T5_T6_T7_T9_mT8_P12ihipStream_tbDpT10_ENKUlT_T0_E_clISt17integral_constantIbLb1EES19_IbLb0EEEEDaS15_S16_EUlS15_E_NS1_11comp_targetILNS1_3genE0ELNS1_11target_archE4294967295ELNS1_3gpuE0ELNS1_3repE0EEENS1_30default_config_static_selectorELNS0_4arch9wavefront6targetE1EEEvT1_
; %bb.0:
	s_endpgm
	.section	.rodata,"a",@progbits
	.p2align	6, 0x0
	.amdhsa_kernel _ZN7rocprim17ROCPRIM_400000_NS6detail17trampoline_kernelINS0_14default_configENS1_25partition_config_selectorILNS1_17partition_subalgoE9EllbEEZZNS1_14partition_implILS5_9ELb0ES3_jPlS8_PNS0_10empty_typeENS0_5tupleIJS8_S9_EEENSB_IJS8_SA_EEENS0_18inequality_wrapperIZN2at6native12_GLOBAL__N_124unique_dim_cuda_templateImEESt5tupleIJNSF_6TensorESK_SK_EERKSK_lbbbEUlllE0_EEPmJS9_EEE10hipError_tPvRmT3_T4_T5_T6_T7_T9_mT8_P12ihipStream_tbDpT10_ENKUlT_T0_E_clISt17integral_constantIbLb1EES19_IbLb0EEEEDaS15_S16_EUlS15_E_NS1_11comp_targetILNS1_3genE0ELNS1_11target_archE4294967295ELNS1_3gpuE0ELNS1_3repE0EEENS1_30default_config_static_selectorELNS0_4arch9wavefront6targetE1EEEvT1_
		.amdhsa_group_segment_fixed_size 0
		.amdhsa_private_segment_fixed_size 0
		.amdhsa_kernarg_size 120
		.amdhsa_user_sgpr_count 2
		.amdhsa_user_sgpr_dispatch_ptr 0
		.amdhsa_user_sgpr_queue_ptr 0
		.amdhsa_user_sgpr_kernarg_segment_ptr 1
		.amdhsa_user_sgpr_dispatch_id 0
		.amdhsa_user_sgpr_kernarg_preload_length 0
		.amdhsa_user_sgpr_kernarg_preload_offset 0
		.amdhsa_user_sgpr_private_segment_size 0
		.amdhsa_uses_dynamic_stack 0
		.amdhsa_enable_private_segment 0
		.amdhsa_system_sgpr_workgroup_id_x 1
		.amdhsa_system_sgpr_workgroup_id_y 0
		.amdhsa_system_sgpr_workgroup_id_z 0
		.amdhsa_system_sgpr_workgroup_info 0
		.amdhsa_system_vgpr_workitem_id 0
		.amdhsa_next_free_vgpr 1
		.amdhsa_next_free_sgpr 0
		.amdhsa_accum_offset 4
		.amdhsa_reserve_vcc 0
		.amdhsa_float_round_mode_32 0
		.amdhsa_float_round_mode_16_64 0
		.amdhsa_float_denorm_mode_32 3
		.amdhsa_float_denorm_mode_16_64 3
		.amdhsa_dx10_clamp 1
		.amdhsa_ieee_mode 1
		.amdhsa_fp16_overflow 0
		.amdhsa_tg_split 0
		.amdhsa_exception_fp_ieee_invalid_op 0
		.amdhsa_exception_fp_denorm_src 0
		.amdhsa_exception_fp_ieee_div_zero 0
		.amdhsa_exception_fp_ieee_overflow 0
		.amdhsa_exception_fp_ieee_underflow 0
		.amdhsa_exception_fp_ieee_inexact 0
		.amdhsa_exception_int_div_zero 0
	.end_amdhsa_kernel
	.section	.text._ZN7rocprim17ROCPRIM_400000_NS6detail17trampoline_kernelINS0_14default_configENS1_25partition_config_selectorILNS1_17partition_subalgoE9EllbEEZZNS1_14partition_implILS5_9ELb0ES3_jPlS8_PNS0_10empty_typeENS0_5tupleIJS8_S9_EEENSB_IJS8_SA_EEENS0_18inequality_wrapperIZN2at6native12_GLOBAL__N_124unique_dim_cuda_templateImEESt5tupleIJNSF_6TensorESK_SK_EERKSK_lbbbEUlllE0_EEPmJS9_EEE10hipError_tPvRmT3_T4_T5_T6_T7_T9_mT8_P12ihipStream_tbDpT10_ENKUlT_T0_E_clISt17integral_constantIbLb1EES19_IbLb0EEEEDaS15_S16_EUlS15_E_NS1_11comp_targetILNS1_3genE0ELNS1_11target_archE4294967295ELNS1_3gpuE0ELNS1_3repE0EEENS1_30default_config_static_selectorELNS0_4arch9wavefront6targetE1EEEvT1_,"axG",@progbits,_ZN7rocprim17ROCPRIM_400000_NS6detail17trampoline_kernelINS0_14default_configENS1_25partition_config_selectorILNS1_17partition_subalgoE9EllbEEZZNS1_14partition_implILS5_9ELb0ES3_jPlS8_PNS0_10empty_typeENS0_5tupleIJS8_S9_EEENSB_IJS8_SA_EEENS0_18inequality_wrapperIZN2at6native12_GLOBAL__N_124unique_dim_cuda_templateImEESt5tupleIJNSF_6TensorESK_SK_EERKSK_lbbbEUlllE0_EEPmJS9_EEE10hipError_tPvRmT3_T4_T5_T6_T7_T9_mT8_P12ihipStream_tbDpT10_ENKUlT_T0_E_clISt17integral_constantIbLb1EES19_IbLb0EEEEDaS15_S16_EUlS15_E_NS1_11comp_targetILNS1_3genE0ELNS1_11target_archE4294967295ELNS1_3gpuE0ELNS1_3repE0EEENS1_30default_config_static_selectorELNS0_4arch9wavefront6targetE1EEEvT1_,comdat
.Lfunc_end1711:
	.size	_ZN7rocprim17ROCPRIM_400000_NS6detail17trampoline_kernelINS0_14default_configENS1_25partition_config_selectorILNS1_17partition_subalgoE9EllbEEZZNS1_14partition_implILS5_9ELb0ES3_jPlS8_PNS0_10empty_typeENS0_5tupleIJS8_S9_EEENSB_IJS8_SA_EEENS0_18inequality_wrapperIZN2at6native12_GLOBAL__N_124unique_dim_cuda_templateImEESt5tupleIJNSF_6TensorESK_SK_EERKSK_lbbbEUlllE0_EEPmJS9_EEE10hipError_tPvRmT3_T4_T5_T6_T7_T9_mT8_P12ihipStream_tbDpT10_ENKUlT_T0_E_clISt17integral_constantIbLb1EES19_IbLb0EEEEDaS15_S16_EUlS15_E_NS1_11comp_targetILNS1_3genE0ELNS1_11target_archE4294967295ELNS1_3gpuE0ELNS1_3repE0EEENS1_30default_config_static_selectorELNS0_4arch9wavefront6targetE1EEEvT1_, .Lfunc_end1711-_ZN7rocprim17ROCPRIM_400000_NS6detail17trampoline_kernelINS0_14default_configENS1_25partition_config_selectorILNS1_17partition_subalgoE9EllbEEZZNS1_14partition_implILS5_9ELb0ES3_jPlS8_PNS0_10empty_typeENS0_5tupleIJS8_S9_EEENSB_IJS8_SA_EEENS0_18inequality_wrapperIZN2at6native12_GLOBAL__N_124unique_dim_cuda_templateImEESt5tupleIJNSF_6TensorESK_SK_EERKSK_lbbbEUlllE0_EEPmJS9_EEE10hipError_tPvRmT3_T4_T5_T6_T7_T9_mT8_P12ihipStream_tbDpT10_ENKUlT_T0_E_clISt17integral_constantIbLb1EES19_IbLb0EEEEDaS15_S16_EUlS15_E_NS1_11comp_targetILNS1_3genE0ELNS1_11target_archE4294967295ELNS1_3gpuE0ELNS1_3repE0EEENS1_30default_config_static_selectorELNS0_4arch9wavefront6targetE1EEEvT1_
                                        ; -- End function
	.set _ZN7rocprim17ROCPRIM_400000_NS6detail17trampoline_kernelINS0_14default_configENS1_25partition_config_selectorILNS1_17partition_subalgoE9EllbEEZZNS1_14partition_implILS5_9ELb0ES3_jPlS8_PNS0_10empty_typeENS0_5tupleIJS8_S9_EEENSB_IJS8_SA_EEENS0_18inequality_wrapperIZN2at6native12_GLOBAL__N_124unique_dim_cuda_templateImEESt5tupleIJNSF_6TensorESK_SK_EERKSK_lbbbEUlllE0_EEPmJS9_EEE10hipError_tPvRmT3_T4_T5_T6_T7_T9_mT8_P12ihipStream_tbDpT10_ENKUlT_T0_E_clISt17integral_constantIbLb1EES19_IbLb0EEEEDaS15_S16_EUlS15_E_NS1_11comp_targetILNS1_3genE0ELNS1_11target_archE4294967295ELNS1_3gpuE0ELNS1_3repE0EEENS1_30default_config_static_selectorELNS0_4arch9wavefront6targetE1EEEvT1_.num_vgpr, 0
	.set _ZN7rocprim17ROCPRIM_400000_NS6detail17trampoline_kernelINS0_14default_configENS1_25partition_config_selectorILNS1_17partition_subalgoE9EllbEEZZNS1_14partition_implILS5_9ELb0ES3_jPlS8_PNS0_10empty_typeENS0_5tupleIJS8_S9_EEENSB_IJS8_SA_EEENS0_18inequality_wrapperIZN2at6native12_GLOBAL__N_124unique_dim_cuda_templateImEESt5tupleIJNSF_6TensorESK_SK_EERKSK_lbbbEUlllE0_EEPmJS9_EEE10hipError_tPvRmT3_T4_T5_T6_T7_T9_mT8_P12ihipStream_tbDpT10_ENKUlT_T0_E_clISt17integral_constantIbLb1EES19_IbLb0EEEEDaS15_S16_EUlS15_E_NS1_11comp_targetILNS1_3genE0ELNS1_11target_archE4294967295ELNS1_3gpuE0ELNS1_3repE0EEENS1_30default_config_static_selectorELNS0_4arch9wavefront6targetE1EEEvT1_.num_agpr, 0
	.set _ZN7rocprim17ROCPRIM_400000_NS6detail17trampoline_kernelINS0_14default_configENS1_25partition_config_selectorILNS1_17partition_subalgoE9EllbEEZZNS1_14partition_implILS5_9ELb0ES3_jPlS8_PNS0_10empty_typeENS0_5tupleIJS8_S9_EEENSB_IJS8_SA_EEENS0_18inequality_wrapperIZN2at6native12_GLOBAL__N_124unique_dim_cuda_templateImEESt5tupleIJNSF_6TensorESK_SK_EERKSK_lbbbEUlllE0_EEPmJS9_EEE10hipError_tPvRmT3_T4_T5_T6_T7_T9_mT8_P12ihipStream_tbDpT10_ENKUlT_T0_E_clISt17integral_constantIbLb1EES19_IbLb0EEEEDaS15_S16_EUlS15_E_NS1_11comp_targetILNS1_3genE0ELNS1_11target_archE4294967295ELNS1_3gpuE0ELNS1_3repE0EEENS1_30default_config_static_selectorELNS0_4arch9wavefront6targetE1EEEvT1_.numbered_sgpr, 0
	.set _ZN7rocprim17ROCPRIM_400000_NS6detail17trampoline_kernelINS0_14default_configENS1_25partition_config_selectorILNS1_17partition_subalgoE9EllbEEZZNS1_14partition_implILS5_9ELb0ES3_jPlS8_PNS0_10empty_typeENS0_5tupleIJS8_S9_EEENSB_IJS8_SA_EEENS0_18inequality_wrapperIZN2at6native12_GLOBAL__N_124unique_dim_cuda_templateImEESt5tupleIJNSF_6TensorESK_SK_EERKSK_lbbbEUlllE0_EEPmJS9_EEE10hipError_tPvRmT3_T4_T5_T6_T7_T9_mT8_P12ihipStream_tbDpT10_ENKUlT_T0_E_clISt17integral_constantIbLb1EES19_IbLb0EEEEDaS15_S16_EUlS15_E_NS1_11comp_targetILNS1_3genE0ELNS1_11target_archE4294967295ELNS1_3gpuE0ELNS1_3repE0EEENS1_30default_config_static_selectorELNS0_4arch9wavefront6targetE1EEEvT1_.num_named_barrier, 0
	.set _ZN7rocprim17ROCPRIM_400000_NS6detail17trampoline_kernelINS0_14default_configENS1_25partition_config_selectorILNS1_17partition_subalgoE9EllbEEZZNS1_14partition_implILS5_9ELb0ES3_jPlS8_PNS0_10empty_typeENS0_5tupleIJS8_S9_EEENSB_IJS8_SA_EEENS0_18inequality_wrapperIZN2at6native12_GLOBAL__N_124unique_dim_cuda_templateImEESt5tupleIJNSF_6TensorESK_SK_EERKSK_lbbbEUlllE0_EEPmJS9_EEE10hipError_tPvRmT3_T4_T5_T6_T7_T9_mT8_P12ihipStream_tbDpT10_ENKUlT_T0_E_clISt17integral_constantIbLb1EES19_IbLb0EEEEDaS15_S16_EUlS15_E_NS1_11comp_targetILNS1_3genE0ELNS1_11target_archE4294967295ELNS1_3gpuE0ELNS1_3repE0EEENS1_30default_config_static_selectorELNS0_4arch9wavefront6targetE1EEEvT1_.private_seg_size, 0
	.set _ZN7rocprim17ROCPRIM_400000_NS6detail17trampoline_kernelINS0_14default_configENS1_25partition_config_selectorILNS1_17partition_subalgoE9EllbEEZZNS1_14partition_implILS5_9ELb0ES3_jPlS8_PNS0_10empty_typeENS0_5tupleIJS8_S9_EEENSB_IJS8_SA_EEENS0_18inequality_wrapperIZN2at6native12_GLOBAL__N_124unique_dim_cuda_templateImEESt5tupleIJNSF_6TensorESK_SK_EERKSK_lbbbEUlllE0_EEPmJS9_EEE10hipError_tPvRmT3_T4_T5_T6_T7_T9_mT8_P12ihipStream_tbDpT10_ENKUlT_T0_E_clISt17integral_constantIbLb1EES19_IbLb0EEEEDaS15_S16_EUlS15_E_NS1_11comp_targetILNS1_3genE0ELNS1_11target_archE4294967295ELNS1_3gpuE0ELNS1_3repE0EEENS1_30default_config_static_selectorELNS0_4arch9wavefront6targetE1EEEvT1_.uses_vcc, 0
	.set _ZN7rocprim17ROCPRIM_400000_NS6detail17trampoline_kernelINS0_14default_configENS1_25partition_config_selectorILNS1_17partition_subalgoE9EllbEEZZNS1_14partition_implILS5_9ELb0ES3_jPlS8_PNS0_10empty_typeENS0_5tupleIJS8_S9_EEENSB_IJS8_SA_EEENS0_18inequality_wrapperIZN2at6native12_GLOBAL__N_124unique_dim_cuda_templateImEESt5tupleIJNSF_6TensorESK_SK_EERKSK_lbbbEUlllE0_EEPmJS9_EEE10hipError_tPvRmT3_T4_T5_T6_T7_T9_mT8_P12ihipStream_tbDpT10_ENKUlT_T0_E_clISt17integral_constantIbLb1EES19_IbLb0EEEEDaS15_S16_EUlS15_E_NS1_11comp_targetILNS1_3genE0ELNS1_11target_archE4294967295ELNS1_3gpuE0ELNS1_3repE0EEENS1_30default_config_static_selectorELNS0_4arch9wavefront6targetE1EEEvT1_.uses_flat_scratch, 0
	.set _ZN7rocprim17ROCPRIM_400000_NS6detail17trampoline_kernelINS0_14default_configENS1_25partition_config_selectorILNS1_17partition_subalgoE9EllbEEZZNS1_14partition_implILS5_9ELb0ES3_jPlS8_PNS0_10empty_typeENS0_5tupleIJS8_S9_EEENSB_IJS8_SA_EEENS0_18inequality_wrapperIZN2at6native12_GLOBAL__N_124unique_dim_cuda_templateImEESt5tupleIJNSF_6TensorESK_SK_EERKSK_lbbbEUlllE0_EEPmJS9_EEE10hipError_tPvRmT3_T4_T5_T6_T7_T9_mT8_P12ihipStream_tbDpT10_ENKUlT_T0_E_clISt17integral_constantIbLb1EES19_IbLb0EEEEDaS15_S16_EUlS15_E_NS1_11comp_targetILNS1_3genE0ELNS1_11target_archE4294967295ELNS1_3gpuE0ELNS1_3repE0EEENS1_30default_config_static_selectorELNS0_4arch9wavefront6targetE1EEEvT1_.has_dyn_sized_stack, 0
	.set _ZN7rocprim17ROCPRIM_400000_NS6detail17trampoline_kernelINS0_14default_configENS1_25partition_config_selectorILNS1_17partition_subalgoE9EllbEEZZNS1_14partition_implILS5_9ELb0ES3_jPlS8_PNS0_10empty_typeENS0_5tupleIJS8_S9_EEENSB_IJS8_SA_EEENS0_18inequality_wrapperIZN2at6native12_GLOBAL__N_124unique_dim_cuda_templateImEESt5tupleIJNSF_6TensorESK_SK_EERKSK_lbbbEUlllE0_EEPmJS9_EEE10hipError_tPvRmT3_T4_T5_T6_T7_T9_mT8_P12ihipStream_tbDpT10_ENKUlT_T0_E_clISt17integral_constantIbLb1EES19_IbLb0EEEEDaS15_S16_EUlS15_E_NS1_11comp_targetILNS1_3genE0ELNS1_11target_archE4294967295ELNS1_3gpuE0ELNS1_3repE0EEENS1_30default_config_static_selectorELNS0_4arch9wavefront6targetE1EEEvT1_.has_recursion, 0
	.set _ZN7rocprim17ROCPRIM_400000_NS6detail17trampoline_kernelINS0_14default_configENS1_25partition_config_selectorILNS1_17partition_subalgoE9EllbEEZZNS1_14partition_implILS5_9ELb0ES3_jPlS8_PNS0_10empty_typeENS0_5tupleIJS8_S9_EEENSB_IJS8_SA_EEENS0_18inequality_wrapperIZN2at6native12_GLOBAL__N_124unique_dim_cuda_templateImEESt5tupleIJNSF_6TensorESK_SK_EERKSK_lbbbEUlllE0_EEPmJS9_EEE10hipError_tPvRmT3_T4_T5_T6_T7_T9_mT8_P12ihipStream_tbDpT10_ENKUlT_T0_E_clISt17integral_constantIbLb1EES19_IbLb0EEEEDaS15_S16_EUlS15_E_NS1_11comp_targetILNS1_3genE0ELNS1_11target_archE4294967295ELNS1_3gpuE0ELNS1_3repE0EEENS1_30default_config_static_selectorELNS0_4arch9wavefront6targetE1EEEvT1_.has_indirect_call, 0
	.section	.AMDGPU.csdata,"",@progbits
; Kernel info:
; codeLenInByte = 4
; TotalNumSgprs: 6
; NumVgprs: 0
; NumAgprs: 0
; TotalNumVgprs: 0
; ScratchSize: 0
; MemoryBound: 0
; FloatMode: 240
; IeeeMode: 1
; LDSByteSize: 0 bytes/workgroup (compile time only)
; SGPRBlocks: 0
; VGPRBlocks: 0
; NumSGPRsForWavesPerEU: 6
; NumVGPRsForWavesPerEU: 1
; AccumOffset: 4
; Occupancy: 8
; WaveLimiterHint : 0
; COMPUTE_PGM_RSRC2:SCRATCH_EN: 0
; COMPUTE_PGM_RSRC2:USER_SGPR: 2
; COMPUTE_PGM_RSRC2:TRAP_HANDLER: 0
; COMPUTE_PGM_RSRC2:TGID_X_EN: 1
; COMPUTE_PGM_RSRC2:TGID_Y_EN: 0
; COMPUTE_PGM_RSRC2:TGID_Z_EN: 0
; COMPUTE_PGM_RSRC2:TIDIG_COMP_CNT: 0
; COMPUTE_PGM_RSRC3_GFX90A:ACCUM_OFFSET: 0
; COMPUTE_PGM_RSRC3_GFX90A:TG_SPLIT: 0
	.section	.text._ZN7rocprim17ROCPRIM_400000_NS6detail17trampoline_kernelINS0_14default_configENS1_25partition_config_selectorILNS1_17partition_subalgoE9EllbEEZZNS1_14partition_implILS5_9ELb0ES3_jPlS8_PNS0_10empty_typeENS0_5tupleIJS8_S9_EEENSB_IJS8_SA_EEENS0_18inequality_wrapperIZN2at6native12_GLOBAL__N_124unique_dim_cuda_templateImEESt5tupleIJNSF_6TensorESK_SK_EERKSK_lbbbEUlllE0_EEPmJS9_EEE10hipError_tPvRmT3_T4_T5_T6_T7_T9_mT8_P12ihipStream_tbDpT10_ENKUlT_T0_E_clISt17integral_constantIbLb1EES19_IbLb0EEEEDaS15_S16_EUlS15_E_NS1_11comp_targetILNS1_3genE5ELNS1_11target_archE942ELNS1_3gpuE9ELNS1_3repE0EEENS1_30default_config_static_selectorELNS0_4arch9wavefront6targetE1EEEvT1_,"axG",@progbits,_ZN7rocprim17ROCPRIM_400000_NS6detail17trampoline_kernelINS0_14default_configENS1_25partition_config_selectorILNS1_17partition_subalgoE9EllbEEZZNS1_14partition_implILS5_9ELb0ES3_jPlS8_PNS0_10empty_typeENS0_5tupleIJS8_S9_EEENSB_IJS8_SA_EEENS0_18inequality_wrapperIZN2at6native12_GLOBAL__N_124unique_dim_cuda_templateImEESt5tupleIJNSF_6TensorESK_SK_EERKSK_lbbbEUlllE0_EEPmJS9_EEE10hipError_tPvRmT3_T4_T5_T6_T7_T9_mT8_P12ihipStream_tbDpT10_ENKUlT_T0_E_clISt17integral_constantIbLb1EES19_IbLb0EEEEDaS15_S16_EUlS15_E_NS1_11comp_targetILNS1_3genE5ELNS1_11target_archE942ELNS1_3gpuE9ELNS1_3repE0EEENS1_30default_config_static_selectorELNS0_4arch9wavefront6targetE1EEEvT1_,comdat
	.globl	_ZN7rocprim17ROCPRIM_400000_NS6detail17trampoline_kernelINS0_14default_configENS1_25partition_config_selectorILNS1_17partition_subalgoE9EllbEEZZNS1_14partition_implILS5_9ELb0ES3_jPlS8_PNS0_10empty_typeENS0_5tupleIJS8_S9_EEENSB_IJS8_SA_EEENS0_18inequality_wrapperIZN2at6native12_GLOBAL__N_124unique_dim_cuda_templateImEESt5tupleIJNSF_6TensorESK_SK_EERKSK_lbbbEUlllE0_EEPmJS9_EEE10hipError_tPvRmT3_T4_T5_T6_T7_T9_mT8_P12ihipStream_tbDpT10_ENKUlT_T0_E_clISt17integral_constantIbLb1EES19_IbLb0EEEEDaS15_S16_EUlS15_E_NS1_11comp_targetILNS1_3genE5ELNS1_11target_archE942ELNS1_3gpuE9ELNS1_3repE0EEENS1_30default_config_static_selectorELNS0_4arch9wavefront6targetE1EEEvT1_ ; -- Begin function _ZN7rocprim17ROCPRIM_400000_NS6detail17trampoline_kernelINS0_14default_configENS1_25partition_config_selectorILNS1_17partition_subalgoE9EllbEEZZNS1_14partition_implILS5_9ELb0ES3_jPlS8_PNS0_10empty_typeENS0_5tupleIJS8_S9_EEENSB_IJS8_SA_EEENS0_18inequality_wrapperIZN2at6native12_GLOBAL__N_124unique_dim_cuda_templateImEESt5tupleIJNSF_6TensorESK_SK_EERKSK_lbbbEUlllE0_EEPmJS9_EEE10hipError_tPvRmT3_T4_T5_T6_T7_T9_mT8_P12ihipStream_tbDpT10_ENKUlT_T0_E_clISt17integral_constantIbLb1EES19_IbLb0EEEEDaS15_S16_EUlS15_E_NS1_11comp_targetILNS1_3genE5ELNS1_11target_archE942ELNS1_3gpuE9ELNS1_3repE0EEENS1_30default_config_static_selectorELNS0_4arch9wavefront6targetE1EEEvT1_
	.p2align	8
	.type	_ZN7rocprim17ROCPRIM_400000_NS6detail17trampoline_kernelINS0_14default_configENS1_25partition_config_selectorILNS1_17partition_subalgoE9EllbEEZZNS1_14partition_implILS5_9ELb0ES3_jPlS8_PNS0_10empty_typeENS0_5tupleIJS8_S9_EEENSB_IJS8_SA_EEENS0_18inequality_wrapperIZN2at6native12_GLOBAL__N_124unique_dim_cuda_templateImEESt5tupleIJNSF_6TensorESK_SK_EERKSK_lbbbEUlllE0_EEPmJS9_EEE10hipError_tPvRmT3_T4_T5_T6_T7_T9_mT8_P12ihipStream_tbDpT10_ENKUlT_T0_E_clISt17integral_constantIbLb1EES19_IbLb0EEEEDaS15_S16_EUlS15_E_NS1_11comp_targetILNS1_3genE5ELNS1_11target_archE942ELNS1_3gpuE9ELNS1_3repE0EEENS1_30default_config_static_selectorELNS0_4arch9wavefront6targetE1EEEvT1_,@function
_ZN7rocprim17ROCPRIM_400000_NS6detail17trampoline_kernelINS0_14default_configENS1_25partition_config_selectorILNS1_17partition_subalgoE9EllbEEZZNS1_14partition_implILS5_9ELb0ES3_jPlS8_PNS0_10empty_typeENS0_5tupleIJS8_S9_EEENSB_IJS8_SA_EEENS0_18inequality_wrapperIZN2at6native12_GLOBAL__N_124unique_dim_cuda_templateImEESt5tupleIJNSF_6TensorESK_SK_EERKSK_lbbbEUlllE0_EEPmJS9_EEE10hipError_tPvRmT3_T4_T5_T6_T7_T9_mT8_P12ihipStream_tbDpT10_ENKUlT_T0_E_clISt17integral_constantIbLb1EES19_IbLb0EEEEDaS15_S16_EUlS15_E_NS1_11comp_targetILNS1_3genE5ELNS1_11target_archE942ELNS1_3gpuE9ELNS1_3repE0EEENS1_30default_config_static_selectorELNS0_4arch9wavefront6targetE1EEEvT1_: ; @_ZN7rocprim17ROCPRIM_400000_NS6detail17trampoline_kernelINS0_14default_configENS1_25partition_config_selectorILNS1_17partition_subalgoE9EllbEEZZNS1_14partition_implILS5_9ELb0ES3_jPlS8_PNS0_10empty_typeENS0_5tupleIJS8_S9_EEENSB_IJS8_SA_EEENS0_18inequality_wrapperIZN2at6native12_GLOBAL__N_124unique_dim_cuda_templateImEESt5tupleIJNSF_6TensorESK_SK_EERKSK_lbbbEUlllE0_EEPmJS9_EEE10hipError_tPvRmT3_T4_T5_T6_T7_T9_mT8_P12ihipStream_tbDpT10_ENKUlT_T0_E_clISt17integral_constantIbLb1EES19_IbLb0EEEEDaS15_S16_EUlS15_E_NS1_11comp_targetILNS1_3genE5ELNS1_11target_archE942ELNS1_3gpuE9ELNS1_3repE0EEENS1_30default_config_static_selectorELNS0_4arch9wavefront6targetE1EEEvT1_
; %bb.0:
	.section	.rodata,"a",@progbits
	.p2align	6, 0x0
	.amdhsa_kernel _ZN7rocprim17ROCPRIM_400000_NS6detail17trampoline_kernelINS0_14default_configENS1_25partition_config_selectorILNS1_17partition_subalgoE9EllbEEZZNS1_14partition_implILS5_9ELb0ES3_jPlS8_PNS0_10empty_typeENS0_5tupleIJS8_S9_EEENSB_IJS8_SA_EEENS0_18inequality_wrapperIZN2at6native12_GLOBAL__N_124unique_dim_cuda_templateImEESt5tupleIJNSF_6TensorESK_SK_EERKSK_lbbbEUlllE0_EEPmJS9_EEE10hipError_tPvRmT3_T4_T5_T6_T7_T9_mT8_P12ihipStream_tbDpT10_ENKUlT_T0_E_clISt17integral_constantIbLb1EES19_IbLb0EEEEDaS15_S16_EUlS15_E_NS1_11comp_targetILNS1_3genE5ELNS1_11target_archE942ELNS1_3gpuE9ELNS1_3repE0EEENS1_30default_config_static_selectorELNS0_4arch9wavefront6targetE1EEEvT1_
		.amdhsa_group_segment_fixed_size 0
		.amdhsa_private_segment_fixed_size 0
		.amdhsa_kernarg_size 120
		.amdhsa_user_sgpr_count 2
		.amdhsa_user_sgpr_dispatch_ptr 0
		.amdhsa_user_sgpr_queue_ptr 0
		.amdhsa_user_sgpr_kernarg_segment_ptr 1
		.amdhsa_user_sgpr_dispatch_id 0
		.amdhsa_user_sgpr_kernarg_preload_length 0
		.amdhsa_user_sgpr_kernarg_preload_offset 0
		.amdhsa_user_sgpr_private_segment_size 0
		.amdhsa_uses_dynamic_stack 0
		.amdhsa_enable_private_segment 0
		.amdhsa_system_sgpr_workgroup_id_x 1
		.amdhsa_system_sgpr_workgroup_id_y 0
		.amdhsa_system_sgpr_workgroup_id_z 0
		.amdhsa_system_sgpr_workgroup_info 0
		.amdhsa_system_vgpr_workitem_id 0
		.amdhsa_next_free_vgpr 1
		.amdhsa_next_free_sgpr 0
		.amdhsa_accum_offset 4
		.amdhsa_reserve_vcc 0
		.amdhsa_float_round_mode_32 0
		.amdhsa_float_round_mode_16_64 0
		.amdhsa_float_denorm_mode_32 3
		.amdhsa_float_denorm_mode_16_64 3
		.amdhsa_dx10_clamp 1
		.amdhsa_ieee_mode 1
		.amdhsa_fp16_overflow 0
		.amdhsa_tg_split 0
		.amdhsa_exception_fp_ieee_invalid_op 0
		.amdhsa_exception_fp_denorm_src 0
		.amdhsa_exception_fp_ieee_div_zero 0
		.amdhsa_exception_fp_ieee_overflow 0
		.amdhsa_exception_fp_ieee_underflow 0
		.amdhsa_exception_fp_ieee_inexact 0
		.amdhsa_exception_int_div_zero 0
	.end_amdhsa_kernel
	.section	.text._ZN7rocprim17ROCPRIM_400000_NS6detail17trampoline_kernelINS0_14default_configENS1_25partition_config_selectorILNS1_17partition_subalgoE9EllbEEZZNS1_14partition_implILS5_9ELb0ES3_jPlS8_PNS0_10empty_typeENS0_5tupleIJS8_S9_EEENSB_IJS8_SA_EEENS0_18inequality_wrapperIZN2at6native12_GLOBAL__N_124unique_dim_cuda_templateImEESt5tupleIJNSF_6TensorESK_SK_EERKSK_lbbbEUlllE0_EEPmJS9_EEE10hipError_tPvRmT3_T4_T5_T6_T7_T9_mT8_P12ihipStream_tbDpT10_ENKUlT_T0_E_clISt17integral_constantIbLb1EES19_IbLb0EEEEDaS15_S16_EUlS15_E_NS1_11comp_targetILNS1_3genE5ELNS1_11target_archE942ELNS1_3gpuE9ELNS1_3repE0EEENS1_30default_config_static_selectorELNS0_4arch9wavefront6targetE1EEEvT1_,"axG",@progbits,_ZN7rocprim17ROCPRIM_400000_NS6detail17trampoline_kernelINS0_14default_configENS1_25partition_config_selectorILNS1_17partition_subalgoE9EllbEEZZNS1_14partition_implILS5_9ELb0ES3_jPlS8_PNS0_10empty_typeENS0_5tupleIJS8_S9_EEENSB_IJS8_SA_EEENS0_18inequality_wrapperIZN2at6native12_GLOBAL__N_124unique_dim_cuda_templateImEESt5tupleIJNSF_6TensorESK_SK_EERKSK_lbbbEUlllE0_EEPmJS9_EEE10hipError_tPvRmT3_T4_T5_T6_T7_T9_mT8_P12ihipStream_tbDpT10_ENKUlT_T0_E_clISt17integral_constantIbLb1EES19_IbLb0EEEEDaS15_S16_EUlS15_E_NS1_11comp_targetILNS1_3genE5ELNS1_11target_archE942ELNS1_3gpuE9ELNS1_3repE0EEENS1_30default_config_static_selectorELNS0_4arch9wavefront6targetE1EEEvT1_,comdat
.Lfunc_end1712:
	.size	_ZN7rocprim17ROCPRIM_400000_NS6detail17trampoline_kernelINS0_14default_configENS1_25partition_config_selectorILNS1_17partition_subalgoE9EllbEEZZNS1_14partition_implILS5_9ELb0ES3_jPlS8_PNS0_10empty_typeENS0_5tupleIJS8_S9_EEENSB_IJS8_SA_EEENS0_18inequality_wrapperIZN2at6native12_GLOBAL__N_124unique_dim_cuda_templateImEESt5tupleIJNSF_6TensorESK_SK_EERKSK_lbbbEUlllE0_EEPmJS9_EEE10hipError_tPvRmT3_T4_T5_T6_T7_T9_mT8_P12ihipStream_tbDpT10_ENKUlT_T0_E_clISt17integral_constantIbLb1EES19_IbLb0EEEEDaS15_S16_EUlS15_E_NS1_11comp_targetILNS1_3genE5ELNS1_11target_archE942ELNS1_3gpuE9ELNS1_3repE0EEENS1_30default_config_static_selectorELNS0_4arch9wavefront6targetE1EEEvT1_, .Lfunc_end1712-_ZN7rocprim17ROCPRIM_400000_NS6detail17trampoline_kernelINS0_14default_configENS1_25partition_config_selectorILNS1_17partition_subalgoE9EllbEEZZNS1_14partition_implILS5_9ELb0ES3_jPlS8_PNS0_10empty_typeENS0_5tupleIJS8_S9_EEENSB_IJS8_SA_EEENS0_18inequality_wrapperIZN2at6native12_GLOBAL__N_124unique_dim_cuda_templateImEESt5tupleIJNSF_6TensorESK_SK_EERKSK_lbbbEUlllE0_EEPmJS9_EEE10hipError_tPvRmT3_T4_T5_T6_T7_T9_mT8_P12ihipStream_tbDpT10_ENKUlT_T0_E_clISt17integral_constantIbLb1EES19_IbLb0EEEEDaS15_S16_EUlS15_E_NS1_11comp_targetILNS1_3genE5ELNS1_11target_archE942ELNS1_3gpuE9ELNS1_3repE0EEENS1_30default_config_static_selectorELNS0_4arch9wavefront6targetE1EEEvT1_
                                        ; -- End function
	.set _ZN7rocprim17ROCPRIM_400000_NS6detail17trampoline_kernelINS0_14default_configENS1_25partition_config_selectorILNS1_17partition_subalgoE9EllbEEZZNS1_14partition_implILS5_9ELb0ES3_jPlS8_PNS0_10empty_typeENS0_5tupleIJS8_S9_EEENSB_IJS8_SA_EEENS0_18inequality_wrapperIZN2at6native12_GLOBAL__N_124unique_dim_cuda_templateImEESt5tupleIJNSF_6TensorESK_SK_EERKSK_lbbbEUlllE0_EEPmJS9_EEE10hipError_tPvRmT3_T4_T5_T6_T7_T9_mT8_P12ihipStream_tbDpT10_ENKUlT_T0_E_clISt17integral_constantIbLb1EES19_IbLb0EEEEDaS15_S16_EUlS15_E_NS1_11comp_targetILNS1_3genE5ELNS1_11target_archE942ELNS1_3gpuE9ELNS1_3repE0EEENS1_30default_config_static_selectorELNS0_4arch9wavefront6targetE1EEEvT1_.num_vgpr, 0
	.set _ZN7rocprim17ROCPRIM_400000_NS6detail17trampoline_kernelINS0_14default_configENS1_25partition_config_selectorILNS1_17partition_subalgoE9EllbEEZZNS1_14partition_implILS5_9ELb0ES3_jPlS8_PNS0_10empty_typeENS0_5tupleIJS8_S9_EEENSB_IJS8_SA_EEENS0_18inequality_wrapperIZN2at6native12_GLOBAL__N_124unique_dim_cuda_templateImEESt5tupleIJNSF_6TensorESK_SK_EERKSK_lbbbEUlllE0_EEPmJS9_EEE10hipError_tPvRmT3_T4_T5_T6_T7_T9_mT8_P12ihipStream_tbDpT10_ENKUlT_T0_E_clISt17integral_constantIbLb1EES19_IbLb0EEEEDaS15_S16_EUlS15_E_NS1_11comp_targetILNS1_3genE5ELNS1_11target_archE942ELNS1_3gpuE9ELNS1_3repE0EEENS1_30default_config_static_selectorELNS0_4arch9wavefront6targetE1EEEvT1_.num_agpr, 0
	.set _ZN7rocprim17ROCPRIM_400000_NS6detail17trampoline_kernelINS0_14default_configENS1_25partition_config_selectorILNS1_17partition_subalgoE9EllbEEZZNS1_14partition_implILS5_9ELb0ES3_jPlS8_PNS0_10empty_typeENS0_5tupleIJS8_S9_EEENSB_IJS8_SA_EEENS0_18inequality_wrapperIZN2at6native12_GLOBAL__N_124unique_dim_cuda_templateImEESt5tupleIJNSF_6TensorESK_SK_EERKSK_lbbbEUlllE0_EEPmJS9_EEE10hipError_tPvRmT3_T4_T5_T6_T7_T9_mT8_P12ihipStream_tbDpT10_ENKUlT_T0_E_clISt17integral_constantIbLb1EES19_IbLb0EEEEDaS15_S16_EUlS15_E_NS1_11comp_targetILNS1_3genE5ELNS1_11target_archE942ELNS1_3gpuE9ELNS1_3repE0EEENS1_30default_config_static_selectorELNS0_4arch9wavefront6targetE1EEEvT1_.numbered_sgpr, 0
	.set _ZN7rocprim17ROCPRIM_400000_NS6detail17trampoline_kernelINS0_14default_configENS1_25partition_config_selectorILNS1_17partition_subalgoE9EllbEEZZNS1_14partition_implILS5_9ELb0ES3_jPlS8_PNS0_10empty_typeENS0_5tupleIJS8_S9_EEENSB_IJS8_SA_EEENS0_18inequality_wrapperIZN2at6native12_GLOBAL__N_124unique_dim_cuda_templateImEESt5tupleIJNSF_6TensorESK_SK_EERKSK_lbbbEUlllE0_EEPmJS9_EEE10hipError_tPvRmT3_T4_T5_T6_T7_T9_mT8_P12ihipStream_tbDpT10_ENKUlT_T0_E_clISt17integral_constantIbLb1EES19_IbLb0EEEEDaS15_S16_EUlS15_E_NS1_11comp_targetILNS1_3genE5ELNS1_11target_archE942ELNS1_3gpuE9ELNS1_3repE0EEENS1_30default_config_static_selectorELNS0_4arch9wavefront6targetE1EEEvT1_.num_named_barrier, 0
	.set _ZN7rocprim17ROCPRIM_400000_NS6detail17trampoline_kernelINS0_14default_configENS1_25partition_config_selectorILNS1_17partition_subalgoE9EllbEEZZNS1_14partition_implILS5_9ELb0ES3_jPlS8_PNS0_10empty_typeENS0_5tupleIJS8_S9_EEENSB_IJS8_SA_EEENS0_18inequality_wrapperIZN2at6native12_GLOBAL__N_124unique_dim_cuda_templateImEESt5tupleIJNSF_6TensorESK_SK_EERKSK_lbbbEUlllE0_EEPmJS9_EEE10hipError_tPvRmT3_T4_T5_T6_T7_T9_mT8_P12ihipStream_tbDpT10_ENKUlT_T0_E_clISt17integral_constantIbLb1EES19_IbLb0EEEEDaS15_S16_EUlS15_E_NS1_11comp_targetILNS1_3genE5ELNS1_11target_archE942ELNS1_3gpuE9ELNS1_3repE0EEENS1_30default_config_static_selectorELNS0_4arch9wavefront6targetE1EEEvT1_.private_seg_size, 0
	.set _ZN7rocprim17ROCPRIM_400000_NS6detail17trampoline_kernelINS0_14default_configENS1_25partition_config_selectorILNS1_17partition_subalgoE9EllbEEZZNS1_14partition_implILS5_9ELb0ES3_jPlS8_PNS0_10empty_typeENS0_5tupleIJS8_S9_EEENSB_IJS8_SA_EEENS0_18inequality_wrapperIZN2at6native12_GLOBAL__N_124unique_dim_cuda_templateImEESt5tupleIJNSF_6TensorESK_SK_EERKSK_lbbbEUlllE0_EEPmJS9_EEE10hipError_tPvRmT3_T4_T5_T6_T7_T9_mT8_P12ihipStream_tbDpT10_ENKUlT_T0_E_clISt17integral_constantIbLb1EES19_IbLb0EEEEDaS15_S16_EUlS15_E_NS1_11comp_targetILNS1_3genE5ELNS1_11target_archE942ELNS1_3gpuE9ELNS1_3repE0EEENS1_30default_config_static_selectorELNS0_4arch9wavefront6targetE1EEEvT1_.uses_vcc, 0
	.set _ZN7rocprim17ROCPRIM_400000_NS6detail17trampoline_kernelINS0_14default_configENS1_25partition_config_selectorILNS1_17partition_subalgoE9EllbEEZZNS1_14partition_implILS5_9ELb0ES3_jPlS8_PNS0_10empty_typeENS0_5tupleIJS8_S9_EEENSB_IJS8_SA_EEENS0_18inequality_wrapperIZN2at6native12_GLOBAL__N_124unique_dim_cuda_templateImEESt5tupleIJNSF_6TensorESK_SK_EERKSK_lbbbEUlllE0_EEPmJS9_EEE10hipError_tPvRmT3_T4_T5_T6_T7_T9_mT8_P12ihipStream_tbDpT10_ENKUlT_T0_E_clISt17integral_constantIbLb1EES19_IbLb0EEEEDaS15_S16_EUlS15_E_NS1_11comp_targetILNS1_3genE5ELNS1_11target_archE942ELNS1_3gpuE9ELNS1_3repE0EEENS1_30default_config_static_selectorELNS0_4arch9wavefront6targetE1EEEvT1_.uses_flat_scratch, 0
	.set _ZN7rocprim17ROCPRIM_400000_NS6detail17trampoline_kernelINS0_14default_configENS1_25partition_config_selectorILNS1_17partition_subalgoE9EllbEEZZNS1_14partition_implILS5_9ELb0ES3_jPlS8_PNS0_10empty_typeENS0_5tupleIJS8_S9_EEENSB_IJS8_SA_EEENS0_18inequality_wrapperIZN2at6native12_GLOBAL__N_124unique_dim_cuda_templateImEESt5tupleIJNSF_6TensorESK_SK_EERKSK_lbbbEUlllE0_EEPmJS9_EEE10hipError_tPvRmT3_T4_T5_T6_T7_T9_mT8_P12ihipStream_tbDpT10_ENKUlT_T0_E_clISt17integral_constantIbLb1EES19_IbLb0EEEEDaS15_S16_EUlS15_E_NS1_11comp_targetILNS1_3genE5ELNS1_11target_archE942ELNS1_3gpuE9ELNS1_3repE0EEENS1_30default_config_static_selectorELNS0_4arch9wavefront6targetE1EEEvT1_.has_dyn_sized_stack, 0
	.set _ZN7rocprim17ROCPRIM_400000_NS6detail17trampoline_kernelINS0_14default_configENS1_25partition_config_selectorILNS1_17partition_subalgoE9EllbEEZZNS1_14partition_implILS5_9ELb0ES3_jPlS8_PNS0_10empty_typeENS0_5tupleIJS8_S9_EEENSB_IJS8_SA_EEENS0_18inequality_wrapperIZN2at6native12_GLOBAL__N_124unique_dim_cuda_templateImEESt5tupleIJNSF_6TensorESK_SK_EERKSK_lbbbEUlllE0_EEPmJS9_EEE10hipError_tPvRmT3_T4_T5_T6_T7_T9_mT8_P12ihipStream_tbDpT10_ENKUlT_T0_E_clISt17integral_constantIbLb1EES19_IbLb0EEEEDaS15_S16_EUlS15_E_NS1_11comp_targetILNS1_3genE5ELNS1_11target_archE942ELNS1_3gpuE9ELNS1_3repE0EEENS1_30default_config_static_selectorELNS0_4arch9wavefront6targetE1EEEvT1_.has_recursion, 0
	.set _ZN7rocprim17ROCPRIM_400000_NS6detail17trampoline_kernelINS0_14default_configENS1_25partition_config_selectorILNS1_17partition_subalgoE9EllbEEZZNS1_14partition_implILS5_9ELb0ES3_jPlS8_PNS0_10empty_typeENS0_5tupleIJS8_S9_EEENSB_IJS8_SA_EEENS0_18inequality_wrapperIZN2at6native12_GLOBAL__N_124unique_dim_cuda_templateImEESt5tupleIJNSF_6TensorESK_SK_EERKSK_lbbbEUlllE0_EEPmJS9_EEE10hipError_tPvRmT3_T4_T5_T6_T7_T9_mT8_P12ihipStream_tbDpT10_ENKUlT_T0_E_clISt17integral_constantIbLb1EES19_IbLb0EEEEDaS15_S16_EUlS15_E_NS1_11comp_targetILNS1_3genE5ELNS1_11target_archE942ELNS1_3gpuE9ELNS1_3repE0EEENS1_30default_config_static_selectorELNS0_4arch9wavefront6targetE1EEEvT1_.has_indirect_call, 0
	.section	.AMDGPU.csdata,"",@progbits
; Kernel info:
; codeLenInByte = 0
; TotalNumSgprs: 6
; NumVgprs: 0
; NumAgprs: 0
; TotalNumVgprs: 0
; ScratchSize: 0
; MemoryBound: 0
; FloatMode: 240
; IeeeMode: 1
; LDSByteSize: 0 bytes/workgroup (compile time only)
; SGPRBlocks: 0
; VGPRBlocks: 0
; NumSGPRsForWavesPerEU: 6
; NumVGPRsForWavesPerEU: 1
; AccumOffset: 4
; Occupancy: 8
; WaveLimiterHint : 0
; COMPUTE_PGM_RSRC2:SCRATCH_EN: 0
; COMPUTE_PGM_RSRC2:USER_SGPR: 2
; COMPUTE_PGM_RSRC2:TRAP_HANDLER: 0
; COMPUTE_PGM_RSRC2:TGID_X_EN: 1
; COMPUTE_PGM_RSRC2:TGID_Y_EN: 0
; COMPUTE_PGM_RSRC2:TGID_Z_EN: 0
; COMPUTE_PGM_RSRC2:TIDIG_COMP_CNT: 0
; COMPUTE_PGM_RSRC3_GFX90A:ACCUM_OFFSET: 0
; COMPUTE_PGM_RSRC3_GFX90A:TG_SPLIT: 0
	.section	.text._ZN7rocprim17ROCPRIM_400000_NS6detail17trampoline_kernelINS0_14default_configENS1_25partition_config_selectorILNS1_17partition_subalgoE9EllbEEZZNS1_14partition_implILS5_9ELb0ES3_jPlS8_PNS0_10empty_typeENS0_5tupleIJS8_S9_EEENSB_IJS8_SA_EEENS0_18inequality_wrapperIZN2at6native12_GLOBAL__N_124unique_dim_cuda_templateImEESt5tupleIJNSF_6TensorESK_SK_EERKSK_lbbbEUlllE0_EEPmJS9_EEE10hipError_tPvRmT3_T4_T5_T6_T7_T9_mT8_P12ihipStream_tbDpT10_ENKUlT_T0_E_clISt17integral_constantIbLb1EES19_IbLb0EEEEDaS15_S16_EUlS15_E_NS1_11comp_targetILNS1_3genE4ELNS1_11target_archE910ELNS1_3gpuE8ELNS1_3repE0EEENS1_30default_config_static_selectorELNS0_4arch9wavefront6targetE1EEEvT1_,"axG",@progbits,_ZN7rocprim17ROCPRIM_400000_NS6detail17trampoline_kernelINS0_14default_configENS1_25partition_config_selectorILNS1_17partition_subalgoE9EllbEEZZNS1_14partition_implILS5_9ELb0ES3_jPlS8_PNS0_10empty_typeENS0_5tupleIJS8_S9_EEENSB_IJS8_SA_EEENS0_18inequality_wrapperIZN2at6native12_GLOBAL__N_124unique_dim_cuda_templateImEESt5tupleIJNSF_6TensorESK_SK_EERKSK_lbbbEUlllE0_EEPmJS9_EEE10hipError_tPvRmT3_T4_T5_T6_T7_T9_mT8_P12ihipStream_tbDpT10_ENKUlT_T0_E_clISt17integral_constantIbLb1EES19_IbLb0EEEEDaS15_S16_EUlS15_E_NS1_11comp_targetILNS1_3genE4ELNS1_11target_archE910ELNS1_3gpuE8ELNS1_3repE0EEENS1_30default_config_static_selectorELNS0_4arch9wavefront6targetE1EEEvT1_,comdat
	.globl	_ZN7rocprim17ROCPRIM_400000_NS6detail17trampoline_kernelINS0_14default_configENS1_25partition_config_selectorILNS1_17partition_subalgoE9EllbEEZZNS1_14partition_implILS5_9ELb0ES3_jPlS8_PNS0_10empty_typeENS0_5tupleIJS8_S9_EEENSB_IJS8_SA_EEENS0_18inequality_wrapperIZN2at6native12_GLOBAL__N_124unique_dim_cuda_templateImEESt5tupleIJNSF_6TensorESK_SK_EERKSK_lbbbEUlllE0_EEPmJS9_EEE10hipError_tPvRmT3_T4_T5_T6_T7_T9_mT8_P12ihipStream_tbDpT10_ENKUlT_T0_E_clISt17integral_constantIbLb1EES19_IbLb0EEEEDaS15_S16_EUlS15_E_NS1_11comp_targetILNS1_3genE4ELNS1_11target_archE910ELNS1_3gpuE8ELNS1_3repE0EEENS1_30default_config_static_selectorELNS0_4arch9wavefront6targetE1EEEvT1_ ; -- Begin function _ZN7rocprim17ROCPRIM_400000_NS6detail17trampoline_kernelINS0_14default_configENS1_25partition_config_selectorILNS1_17partition_subalgoE9EllbEEZZNS1_14partition_implILS5_9ELb0ES3_jPlS8_PNS0_10empty_typeENS0_5tupleIJS8_S9_EEENSB_IJS8_SA_EEENS0_18inequality_wrapperIZN2at6native12_GLOBAL__N_124unique_dim_cuda_templateImEESt5tupleIJNSF_6TensorESK_SK_EERKSK_lbbbEUlllE0_EEPmJS9_EEE10hipError_tPvRmT3_T4_T5_T6_T7_T9_mT8_P12ihipStream_tbDpT10_ENKUlT_T0_E_clISt17integral_constantIbLb1EES19_IbLb0EEEEDaS15_S16_EUlS15_E_NS1_11comp_targetILNS1_3genE4ELNS1_11target_archE910ELNS1_3gpuE8ELNS1_3repE0EEENS1_30default_config_static_selectorELNS0_4arch9wavefront6targetE1EEEvT1_
	.p2align	8
	.type	_ZN7rocprim17ROCPRIM_400000_NS6detail17trampoline_kernelINS0_14default_configENS1_25partition_config_selectorILNS1_17partition_subalgoE9EllbEEZZNS1_14partition_implILS5_9ELb0ES3_jPlS8_PNS0_10empty_typeENS0_5tupleIJS8_S9_EEENSB_IJS8_SA_EEENS0_18inequality_wrapperIZN2at6native12_GLOBAL__N_124unique_dim_cuda_templateImEESt5tupleIJNSF_6TensorESK_SK_EERKSK_lbbbEUlllE0_EEPmJS9_EEE10hipError_tPvRmT3_T4_T5_T6_T7_T9_mT8_P12ihipStream_tbDpT10_ENKUlT_T0_E_clISt17integral_constantIbLb1EES19_IbLb0EEEEDaS15_S16_EUlS15_E_NS1_11comp_targetILNS1_3genE4ELNS1_11target_archE910ELNS1_3gpuE8ELNS1_3repE0EEENS1_30default_config_static_selectorELNS0_4arch9wavefront6targetE1EEEvT1_,@function
_ZN7rocprim17ROCPRIM_400000_NS6detail17trampoline_kernelINS0_14default_configENS1_25partition_config_selectorILNS1_17partition_subalgoE9EllbEEZZNS1_14partition_implILS5_9ELb0ES3_jPlS8_PNS0_10empty_typeENS0_5tupleIJS8_S9_EEENSB_IJS8_SA_EEENS0_18inequality_wrapperIZN2at6native12_GLOBAL__N_124unique_dim_cuda_templateImEESt5tupleIJNSF_6TensorESK_SK_EERKSK_lbbbEUlllE0_EEPmJS9_EEE10hipError_tPvRmT3_T4_T5_T6_T7_T9_mT8_P12ihipStream_tbDpT10_ENKUlT_T0_E_clISt17integral_constantIbLb1EES19_IbLb0EEEEDaS15_S16_EUlS15_E_NS1_11comp_targetILNS1_3genE4ELNS1_11target_archE910ELNS1_3gpuE8ELNS1_3repE0EEENS1_30default_config_static_selectorELNS0_4arch9wavefront6targetE1EEEvT1_: ; @_ZN7rocprim17ROCPRIM_400000_NS6detail17trampoline_kernelINS0_14default_configENS1_25partition_config_selectorILNS1_17partition_subalgoE9EllbEEZZNS1_14partition_implILS5_9ELb0ES3_jPlS8_PNS0_10empty_typeENS0_5tupleIJS8_S9_EEENSB_IJS8_SA_EEENS0_18inequality_wrapperIZN2at6native12_GLOBAL__N_124unique_dim_cuda_templateImEESt5tupleIJNSF_6TensorESK_SK_EERKSK_lbbbEUlllE0_EEPmJS9_EEE10hipError_tPvRmT3_T4_T5_T6_T7_T9_mT8_P12ihipStream_tbDpT10_ENKUlT_T0_E_clISt17integral_constantIbLb1EES19_IbLb0EEEEDaS15_S16_EUlS15_E_NS1_11comp_targetILNS1_3genE4ELNS1_11target_archE910ELNS1_3gpuE8ELNS1_3repE0EEENS1_30default_config_static_selectorELNS0_4arch9wavefront6targetE1EEEvT1_
; %bb.0:
	.section	.rodata,"a",@progbits
	.p2align	6, 0x0
	.amdhsa_kernel _ZN7rocprim17ROCPRIM_400000_NS6detail17trampoline_kernelINS0_14default_configENS1_25partition_config_selectorILNS1_17partition_subalgoE9EllbEEZZNS1_14partition_implILS5_9ELb0ES3_jPlS8_PNS0_10empty_typeENS0_5tupleIJS8_S9_EEENSB_IJS8_SA_EEENS0_18inequality_wrapperIZN2at6native12_GLOBAL__N_124unique_dim_cuda_templateImEESt5tupleIJNSF_6TensorESK_SK_EERKSK_lbbbEUlllE0_EEPmJS9_EEE10hipError_tPvRmT3_T4_T5_T6_T7_T9_mT8_P12ihipStream_tbDpT10_ENKUlT_T0_E_clISt17integral_constantIbLb1EES19_IbLb0EEEEDaS15_S16_EUlS15_E_NS1_11comp_targetILNS1_3genE4ELNS1_11target_archE910ELNS1_3gpuE8ELNS1_3repE0EEENS1_30default_config_static_selectorELNS0_4arch9wavefront6targetE1EEEvT1_
		.amdhsa_group_segment_fixed_size 0
		.amdhsa_private_segment_fixed_size 0
		.amdhsa_kernarg_size 120
		.amdhsa_user_sgpr_count 2
		.amdhsa_user_sgpr_dispatch_ptr 0
		.amdhsa_user_sgpr_queue_ptr 0
		.amdhsa_user_sgpr_kernarg_segment_ptr 1
		.amdhsa_user_sgpr_dispatch_id 0
		.amdhsa_user_sgpr_kernarg_preload_length 0
		.amdhsa_user_sgpr_kernarg_preload_offset 0
		.amdhsa_user_sgpr_private_segment_size 0
		.amdhsa_uses_dynamic_stack 0
		.amdhsa_enable_private_segment 0
		.amdhsa_system_sgpr_workgroup_id_x 1
		.amdhsa_system_sgpr_workgroup_id_y 0
		.amdhsa_system_sgpr_workgroup_id_z 0
		.amdhsa_system_sgpr_workgroup_info 0
		.amdhsa_system_vgpr_workitem_id 0
		.amdhsa_next_free_vgpr 1
		.amdhsa_next_free_sgpr 0
		.amdhsa_accum_offset 4
		.amdhsa_reserve_vcc 0
		.amdhsa_float_round_mode_32 0
		.amdhsa_float_round_mode_16_64 0
		.amdhsa_float_denorm_mode_32 3
		.amdhsa_float_denorm_mode_16_64 3
		.amdhsa_dx10_clamp 1
		.amdhsa_ieee_mode 1
		.amdhsa_fp16_overflow 0
		.amdhsa_tg_split 0
		.amdhsa_exception_fp_ieee_invalid_op 0
		.amdhsa_exception_fp_denorm_src 0
		.amdhsa_exception_fp_ieee_div_zero 0
		.amdhsa_exception_fp_ieee_overflow 0
		.amdhsa_exception_fp_ieee_underflow 0
		.amdhsa_exception_fp_ieee_inexact 0
		.amdhsa_exception_int_div_zero 0
	.end_amdhsa_kernel
	.section	.text._ZN7rocprim17ROCPRIM_400000_NS6detail17trampoline_kernelINS0_14default_configENS1_25partition_config_selectorILNS1_17partition_subalgoE9EllbEEZZNS1_14partition_implILS5_9ELb0ES3_jPlS8_PNS0_10empty_typeENS0_5tupleIJS8_S9_EEENSB_IJS8_SA_EEENS0_18inequality_wrapperIZN2at6native12_GLOBAL__N_124unique_dim_cuda_templateImEESt5tupleIJNSF_6TensorESK_SK_EERKSK_lbbbEUlllE0_EEPmJS9_EEE10hipError_tPvRmT3_T4_T5_T6_T7_T9_mT8_P12ihipStream_tbDpT10_ENKUlT_T0_E_clISt17integral_constantIbLb1EES19_IbLb0EEEEDaS15_S16_EUlS15_E_NS1_11comp_targetILNS1_3genE4ELNS1_11target_archE910ELNS1_3gpuE8ELNS1_3repE0EEENS1_30default_config_static_selectorELNS0_4arch9wavefront6targetE1EEEvT1_,"axG",@progbits,_ZN7rocprim17ROCPRIM_400000_NS6detail17trampoline_kernelINS0_14default_configENS1_25partition_config_selectorILNS1_17partition_subalgoE9EllbEEZZNS1_14partition_implILS5_9ELb0ES3_jPlS8_PNS0_10empty_typeENS0_5tupleIJS8_S9_EEENSB_IJS8_SA_EEENS0_18inequality_wrapperIZN2at6native12_GLOBAL__N_124unique_dim_cuda_templateImEESt5tupleIJNSF_6TensorESK_SK_EERKSK_lbbbEUlllE0_EEPmJS9_EEE10hipError_tPvRmT3_T4_T5_T6_T7_T9_mT8_P12ihipStream_tbDpT10_ENKUlT_T0_E_clISt17integral_constantIbLb1EES19_IbLb0EEEEDaS15_S16_EUlS15_E_NS1_11comp_targetILNS1_3genE4ELNS1_11target_archE910ELNS1_3gpuE8ELNS1_3repE0EEENS1_30default_config_static_selectorELNS0_4arch9wavefront6targetE1EEEvT1_,comdat
.Lfunc_end1713:
	.size	_ZN7rocprim17ROCPRIM_400000_NS6detail17trampoline_kernelINS0_14default_configENS1_25partition_config_selectorILNS1_17partition_subalgoE9EllbEEZZNS1_14partition_implILS5_9ELb0ES3_jPlS8_PNS0_10empty_typeENS0_5tupleIJS8_S9_EEENSB_IJS8_SA_EEENS0_18inequality_wrapperIZN2at6native12_GLOBAL__N_124unique_dim_cuda_templateImEESt5tupleIJNSF_6TensorESK_SK_EERKSK_lbbbEUlllE0_EEPmJS9_EEE10hipError_tPvRmT3_T4_T5_T6_T7_T9_mT8_P12ihipStream_tbDpT10_ENKUlT_T0_E_clISt17integral_constantIbLb1EES19_IbLb0EEEEDaS15_S16_EUlS15_E_NS1_11comp_targetILNS1_3genE4ELNS1_11target_archE910ELNS1_3gpuE8ELNS1_3repE0EEENS1_30default_config_static_selectorELNS0_4arch9wavefront6targetE1EEEvT1_, .Lfunc_end1713-_ZN7rocprim17ROCPRIM_400000_NS6detail17trampoline_kernelINS0_14default_configENS1_25partition_config_selectorILNS1_17partition_subalgoE9EllbEEZZNS1_14partition_implILS5_9ELb0ES3_jPlS8_PNS0_10empty_typeENS0_5tupleIJS8_S9_EEENSB_IJS8_SA_EEENS0_18inequality_wrapperIZN2at6native12_GLOBAL__N_124unique_dim_cuda_templateImEESt5tupleIJNSF_6TensorESK_SK_EERKSK_lbbbEUlllE0_EEPmJS9_EEE10hipError_tPvRmT3_T4_T5_T6_T7_T9_mT8_P12ihipStream_tbDpT10_ENKUlT_T0_E_clISt17integral_constantIbLb1EES19_IbLb0EEEEDaS15_S16_EUlS15_E_NS1_11comp_targetILNS1_3genE4ELNS1_11target_archE910ELNS1_3gpuE8ELNS1_3repE0EEENS1_30default_config_static_selectorELNS0_4arch9wavefront6targetE1EEEvT1_
                                        ; -- End function
	.set _ZN7rocprim17ROCPRIM_400000_NS6detail17trampoline_kernelINS0_14default_configENS1_25partition_config_selectorILNS1_17partition_subalgoE9EllbEEZZNS1_14partition_implILS5_9ELb0ES3_jPlS8_PNS0_10empty_typeENS0_5tupleIJS8_S9_EEENSB_IJS8_SA_EEENS0_18inequality_wrapperIZN2at6native12_GLOBAL__N_124unique_dim_cuda_templateImEESt5tupleIJNSF_6TensorESK_SK_EERKSK_lbbbEUlllE0_EEPmJS9_EEE10hipError_tPvRmT3_T4_T5_T6_T7_T9_mT8_P12ihipStream_tbDpT10_ENKUlT_T0_E_clISt17integral_constantIbLb1EES19_IbLb0EEEEDaS15_S16_EUlS15_E_NS1_11comp_targetILNS1_3genE4ELNS1_11target_archE910ELNS1_3gpuE8ELNS1_3repE0EEENS1_30default_config_static_selectorELNS0_4arch9wavefront6targetE1EEEvT1_.num_vgpr, 0
	.set _ZN7rocprim17ROCPRIM_400000_NS6detail17trampoline_kernelINS0_14default_configENS1_25partition_config_selectorILNS1_17partition_subalgoE9EllbEEZZNS1_14partition_implILS5_9ELb0ES3_jPlS8_PNS0_10empty_typeENS0_5tupleIJS8_S9_EEENSB_IJS8_SA_EEENS0_18inequality_wrapperIZN2at6native12_GLOBAL__N_124unique_dim_cuda_templateImEESt5tupleIJNSF_6TensorESK_SK_EERKSK_lbbbEUlllE0_EEPmJS9_EEE10hipError_tPvRmT3_T4_T5_T6_T7_T9_mT8_P12ihipStream_tbDpT10_ENKUlT_T0_E_clISt17integral_constantIbLb1EES19_IbLb0EEEEDaS15_S16_EUlS15_E_NS1_11comp_targetILNS1_3genE4ELNS1_11target_archE910ELNS1_3gpuE8ELNS1_3repE0EEENS1_30default_config_static_selectorELNS0_4arch9wavefront6targetE1EEEvT1_.num_agpr, 0
	.set _ZN7rocprim17ROCPRIM_400000_NS6detail17trampoline_kernelINS0_14default_configENS1_25partition_config_selectorILNS1_17partition_subalgoE9EllbEEZZNS1_14partition_implILS5_9ELb0ES3_jPlS8_PNS0_10empty_typeENS0_5tupleIJS8_S9_EEENSB_IJS8_SA_EEENS0_18inequality_wrapperIZN2at6native12_GLOBAL__N_124unique_dim_cuda_templateImEESt5tupleIJNSF_6TensorESK_SK_EERKSK_lbbbEUlllE0_EEPmJS9_EEE10hipError_tPvRmT3_T4_T5_T6_T7_T9_mT8_P12ihipStream_tbDpT10_ENKUlT_T0_E_clISt17integral_constantIbLb1EES19_IbLb0EEEEDaS15_S16_EUlS15_E_NS1_11comp_targetILNS1_3genE4ELNS1_11target_archE910ELNS1_3gpuE8ELNS1_3repE0EEENS1_30default_config_static_selectorELNS0_4arch9wavefront6targetE1EEEvT1_.numbered_sgpr, 0
	.set _ZN7rocprim17ROCPRIM_400000_NS6detail17trampoline_kernelINS0_14default_configENS1_25partition_config_selectorILNS1_17partition_subalgoE9EllbEEZZNS1_14partition_implILS5_9ELb0ES3_jPlS8_PNS0_10empty_typeENS0_5tupleIJS8_S9_EEENSB_IJS8_SA_EEENS0_18inequality_wrapperIZN2at6native12_GLOBAL__N_124unique_dim_cuda_templateImEESt5tupleIJNSF_6TensorESK_SK_EERKSK_lbbbEUlllE0_EEPmJS9_EEE10hipError_tPvRmT3_T4_T5_T6_T7_T9_mT8_P12ihipStream_tbDpT10_ENKUlT_T0_E_clISt17integral_constantIbLb1EES19_IbLb0EEEEDaS15_S16_EUlS15_E_NS1_11comp_targetILNS1_3genE4ELNS1_11target_archE910ELNS1_3gpuE8ELNS1_3repE0EEENS1_30default_config_static_selectorELNS0_4arch9wavefront6targetE1EEEvT1_.num_named_barrier, 0
	.set _ZN7rocprim17ROCPRIM_400000_NS6detail17trampoline_kernelINS0_14default_configENS1_25partition_config_selectorILNS1_17partition_subalgoE9EllbEEZZNS1_14partition_implILS5_9ELb0ES3_jPlS8_PNS0_10empty_typeENS0_5tupleIJS8_S9_EEENSB_IJS8_SA_EEENS0_18inequality_wrapperIZN2at6native12_GLOBAL__N_124unique_dim_cuda_templateImEESt5tupleIJNSF_6TensorESK_SK_EERKSK_lbbbEUlllE0_EEPmJS9_EEE10hipError_tPvRmT3_T4_T5_T6_T7_T9_mT8_P12ihipStream_tbDpT10_ENKUlT_T0_E_clISt17integral_constantIbLb1EES19_IbLb0EEEEDaS15_S16_EUlS15_E_NS1_11comp_targetILNS1_3genE4ELNS1_11target_archE910ELNS1_3gpuE8ELNS1_3repE0EEENS1_30default_config_static_selectorELNS0_4arch9wavefront6targetE1EEEvT1_.private_seg_size, 0
	.set _ZN7rocprim17ROCPRIM_400000_NS6detail17trampoline_kernelINS0_14default_configENS1_25partition_config_selectorILNS1_17partition_subalgoE9EllbEEZZNS1_14partition_implILS5_9ELb0ES3_jPlS8_PNS0_10empty_typeENS0_5tupleIJS8_S9_EEENSB_IJS8_SA_EEENS0_18inequality_wrapperIZN2at6native12_GLOBAL__N_124unique_dim_cuda_templateImEESt5tupleIJNSF_6TensorESK_SK_EERKSK_lbbbEUlllE0_EEPmJS9_EEE10hipError_tPvRmT3_T4_T5_T6_T7_T9_mT8_P12ihipStream_tbDpT10_ENKUlT_T0_E_clISt17integral_constantIbLb1EES19_IbLb0EEEEDaS15_S16_EUlS15_E_NS1_11comp_targetILNS1_3genE4ELNS1_11target_archE910ELNS1_3gpuE8ELNS1_3repE0EEENS1_30default_config_static_selectorELNS0_4arch9wavefront6targetE1EEEvT1_.uses_vcc, 0
	.set _ZN7rocprim17ROCPRIM_400000_NS6detail17trampoline_kernelINS0_14default_configENS1_25partition_config_selectorILNS1_17partition_subalgoE9EllbEEZZNS1_14partition_implILS5_9ELb0ES3_jPlS8_PNS0_10empty_typeENS0_5tupleIJS8_S9_EEENSB_IJS8_SA_EEENS0_18inequality_wrapperIZN2at6native12_GLOBAL__N_124unique_dim_cuda_templateImEESt5tupleIJNSF_6TensorESK_SK_EERKSK_lbbbEUlllE0_EEPmJS9_EEE10hipError_tPvRmT3_T4_T5_T6_T7_T9_mT8_P12ihipStream_tbDpT10_ENKUlT_T0_E_clISt17integral_constantIbLb1EES19_IbLb0EEEEDaS15_S16_EUlS15_E_NS1_11comp_targetILNS1_3genE4ELNS1_11target_archE910ELNS1_3gpuE8ELNS1_3repE0EEENS1_30default_config_static_selectorELNS0_4arch9wavefront6targetE1EEEvT1_.uses_flat_scratch, 0
	.set _ZN7rocprim17ROCPRIM_400000_NS6detail17trampoline_kernelINS0_14default_configENS1_25partition_config_selectorILNS1_17partition_subalgoE9EllbEEZZNS1_14partition_implILS5_9ELb0ES3_jPlS8_PNS0_10empty_typeENS0_5tupleIJS8_S9_EEENSB_IJS8_SA_EEENS0_18inequality_wrapperIZN2at6native12_GLOBAL__N_124unique_dim_cuda_templateImEESt5tupleIJNSF_6TensorESK_SK_EERKSK_lbbbEUlllE0_EEPmJS9_EEE10hipError_tPvRmT3_T4_T5_T6_T7_T9_mT8_P12ihipStream_tbDpT10_ENKUlT_T0_E_clISt17integral_constantIbLb1EES19_IbLb0EEEEDaS15_S16_EUlS15_E_NS1_11comp_targetILNS1_3genE4ELNS1_11target_archE910ELNS1_3gpuE8ELNS1_3repE0EEENS1_30default_config_static_selectorELNS0_4arch9wavefront6targetE1EEEvT1_.has_dyn_sized_stack, 0
	.set _ZN7rocprim17ROCPRIM_400000_NS6detail17trampoline_kernelINS0_14default_configENS1_25partition_config_selectorILNS1_17partition_subalgoE9EllbEEZZNS1_14partition_implILS5_9ELb0ES3_jPlS8_PNS0_10empty_typeENS0_5tupleIJS8_S9_EEENSB_IJS8_SA_EEENS0_18inequality_wrapperIZN2at6native12_GLOBAL__N_124unique_dim_cuda_templateImEESt5tupleIJNSF_6TensorESK_SK_EERKSK_lbbbEUlllE0_EEPmJS9_EEE10hipError_tPvRmT3_T4_T5_T6_T7_T9_mT8_P12ihipStream_tbDpT10_ENKUlT_T0_E_clISt17integral_constantIbLb1EES19_IbLb0EEEEDaS15_S16_EUlS15_E_NS1_11comp_targetILNS1_3genE4ELNS1_11target_archE910ELNS1_3gpuE8ELNS1_3repE0EEENS1_30default_config_static_selectorELNS0_4arch9wavefront6targetE1EEEvT1_.has_recursion, 0
	.set _ZN7rocprim17ROCPRIM_400000_NS6detail17trampoline_kernelINS0_14default_configENS1_25partition_config_selectorILNS1_17partition_subalgoE9EllbEEZZNS1_14partition_implILS5_9ELb0ES3_jPlS8_PNS0_10empty_typeENS0_5tupleIJS8_S9_EEENSB_IJS8_SA_EEENS0_18inequality_wrapperIZN2at6native12_GLOBAL__N_124unique_dim_cuda_templateImEESt5tupleIJNSF_6TensorESK_SK_EERKSK_lbbbEUlllE0_EEPmJS9_EEE10hipError_tPvRmT3_T4_T5_T6_T7_T9_mT8_P12ihipStream_tbDpT10_ENKUlT_T0_E_clISt17integral_constantIbLb1EES19_IbLb0EEEEDaS15_S16_EUlS15_E_NS1_11comp_targetILNS1_3genE4ELNS1_11target_archE910ELNS1_3gpuE8ELNS1_3repE0EEENS1_30default_config_static_selectorELNS0_4arch9wavefront6targetE1EEEvT1_.has_indirect_call, 0
	.section	.AMDGPU.csdata,"",@progbits
; Kernel info:
; codeLenInByte = 0
; TotalNumSgprs: 6
; NumVgprs: 0
; NumAgprs: 0
; TotalNumVgprs: 0
; ScratchSize: 0
; MemoryBound: 0
; FloatMode: 240
; IeeeMode: 1
; LDSByteSize: 0 bytes/workgroup (compile time only)
; SGPRBlocks: 0
; VGPRBlocks: 0
; NumSGPRsForWavesPerEU: 6
; NumVGPRsForWavesPerEU: 1
; AccumOffset: 4
; Occupancy: 8
; WaveLimiterHint : 0
; COMPUTE_PGM_RSRC2:SCRATCH_EN: 0
; COMPUTE_PGM_RSRC2:USER_SGPR: 2
; COMPUTE_PGM_RSRC2:TRAP_HANDLER: 0
; COMPUTE_PGM_RSRC2:TGID_X_EN: 1
; COMPUTE_PGM_RSRC2:TGID_Y_EN: 0
; COMPUTE_PGM_RSRC2:TGID_Z_EN: 0
; COMPUTE_PGM_RSRC2:TIDIG_COMP_CNT: 0
; COMPUTE_PGM_RSRC3_GFX90A:ACCUM_OFFSET: 0
; COMPUTE_PGM_RSRC3_GFX90A:TG_SPLIT: 0
	.section	.text._ZN7rocprim17ROCPRIM_400000_NS6detail17trampoline_kernelINS0_14default_configENS1_25partition_config_selectorILNS1_17partition_subalgoE9EllbEEZZNS1_14partition_implILS5_9ELb0ES3_jPlS8_PNS0_10empty_typeENS0_5tupleIJS8_S9_EEENSB_IJS8_SA_EEENS0_18inequality_wrapperIZN2at6native12_GLOBAL__N_124unique_dim_cuda_templateImEESt5tupleIJNSF_6TensorESK_SK_EERKSK_lbbbEUlllE0_EEPmJS9_EEE10hipError_tPvRmT3_T4_T5_T6_T7_T9_mT8_P12ihipStream_tbDpT10_ENKUlT_T0_E_clISt17integral_constantIbLb1EES19_IbLb0EEEEDaS15_S16_EUlS15_E_NS1_11comp_targetILNS1_3genE3ELNS1_11target_archE908ELNS1_3gpuE7ELNS1_3repE0EEENS1_30default_config_static_selectorELNS0_4arch9wavefront6targetE1EEEvT1_,"axG",@progbits,_ZN7rocprim17ROCPRIM_400000_NS6detail17trampoline_kernelINS0_14default_configENS1_25partition_config_selectorILNS1_17partition_subalgoE9EllbEEZZNS1_14partition_implILS5_9ELb0ES3_jPlS8_PNS0_10empty_typeENS0_5tupleIJS8_S9_EEENSB_IJS8_SA_EEENS0_18inequality_wrapperIZN2at6native12_GLOBAL__N_124unique_dim_cuda_templateImEESt5tupleIJNSF_6TensorESK_SK_EERKSK_lbbbEUlllE0_EEPmJS9_EEE10hipError_tPvRmT3_T4_T5_T6_T7_T9_mT8_P12ihipStream_tbDpT10_ENKUlT_T0_E_clISt17integral_constantIbLb1EES19_IbLb0EEEEDaS15_S16_EUlS15_E_NS1_11comp_targetILNS1_3genE3ELNS1_11target_archE908ELNS1_3gpuE7ELNS1_3repE0EEENS1_30default_config_static_selectorELNS0_4arch9wavefront6targetE1EEEvT1_,comdat
	.globl	_ZN7rocprim17ROCPRIM_400000_NS6detail17trampoline_kernelINS0_14default_configENS1_25partition_config_selectorILNS1_17partition_subalgoE9EllbEEZZNS1_14partition_implILS5_9ELb0ES3_jPlS8_PNS0_10empty_typeENS0_5tupleIJS8_S9_EEENSB_IJS8_SA_EEENS0_18inequality_wrapperIZN2at6native12_GLOBAL__N_124unique_dim_cuda_templateImEESt5tupleIJNSF_6TensorESK_SK_EERKSK_lbbbEUlllE0_EEPmJS9_EEE10hipError_tPvRmT3_T4_T5_T6_T7_T9_mT8_P12ihipStream_tbDpT10_ENKUlT_T0_E_clISt17integral_constantIbLb1EES19_IbLb0EEEEDaS15_S16_EUlS15_E_NS1_11comp_targetILNS1_3genE3ELNS1_11target_archE908ELNS1_3gpuE7ELNS1_3repE0EEENS1_30default_config_static_selectorELNS0_4arch9wavefront6targetE1EEEvT1_ ; -- Begin function _ZN7rocprim17ROCPRIM_400000_NS6detail17trampoline_kernelINS0_14default_configENS1_25partition_config_selectorILNS1_17partition_subalgoE9EllbEEZZNS1_14partition_implILS5_9ELb0ES3_jPlS8_PNS0_10empty_typeENS0_5tupleIJS8_S9_EEENSB_IJS8_SA_EEENS0_18inequality_wrapperIZN2at6native12_GLOBAL__N_124unique_dim_cuda_templateImEESt5tupleIJNSF_6TensorESK_SK_EERKSK_lbbbEUlllE0_EEPmJS9_EEE10hipError_tPvRmT3_T4_T5_T6_T7_T9_mT8_P12ihipStream_tbDpT10_ENKUlT_T0_E_clISt17integral_constantIbLb1EES19_IbLb0EEEEDaS15_S16_EUlS15_E_NS1_11comp_targetILNS1_3genE3ELNS1_11target_archE908ELNS1_3gpuE7ELNS1_3repE0EEENS1_30default_config_static_selectorELNS0_4arch9wavefront6targetE1EEEvT1_
	.p2align	8
	.type	_ZN7rocprim17ROCPRIM_400000_NS6detail17trampoline_kernelINS0_14default_configENS1_25partition_config_selectorILNS1_17partition_subalgoE9EllbEEZZNS1_14partition_implILS5_9ELb0ES3_jPlS8_PNS0_10empty_typeENS0_5tupleIJS8_S9_EEENSB_IJS8_SA_EEENS0_18inequality_wrapperIZN2at6native12_GLOBAL__N_124unique_dim_cuda_templateImEESt5tupleIJNSF_6TensorESK_SK_EERKSK_lbbbEUlllE0_EEPmJS9_EEE10hipError_tPvRmT3_T4_T5_T6_T7_T9_mT8_P12ihipStream_tbDpT10_ENKUlT_T0_E_clISt17integral_constantIbLb1EES19_IbLb0EEEEDaS15_S16_EUlS15_E_NS1_11comp_targetILNS1_3genE3ELNS1_11target_archE908ELNS1_3gpuE7ELNS1_3repE0EEENS1_30default_config_static_selectorELNS0_4arch9wavefront6targetE1EEEvT1_,@function
_ZN7rocprim17ROCPRIM_400000_NS6detail17trampoline_kernelINS0_14default_configENS1_25partition_config_selectorILNS1_17partition_subalgoE9EllbEEZZNS1_14partition_implILS5_9ELb0ES3_jPlS8_PNS0_10empty_typeENS0_5tupleIJS8_S9_EEENSB_IJS8_SA_EEENS0_18inequality_wrapperIZN2at6native12_GLOBAL__N_124unique_dim_cuda_templateImEESt5tupleIJNSF_6TensorESK_SK_EERKSK_lbbbEUlllE0_EEPmJS9_EEE10hipError_tPvRmT3_T4_T5_T6_T7_T9_mT8_P12ihipStream_tbDpT10_ENKUlT_T0_E_clISt17integral_constantIbLb1EES19_IbLb0EEEEDaS15_S16_EUlS15_E_NS1_11comp_targetILNS1_3genE3ELNS1_11target_archE908ELNS1_3gpuE7ELNS1_3repE0EEENS1_30default_config_static_selectorELNS0_4arch9wavefront6targetE1EEEvT1_: ; @_ZN7rocprim17ROCPRIM_400000_NS6detail17trampoline_kernelINS0_14default_configENS1_25partition_config_selectorILNS1_17partition_subalgoE9EllbEEZZNS1_14partition_implILS5_9ELb0ES3_jPlS8_PNS0_10empty_typeENS0_5tupleIJS8_S9_EEENSB_IJS8_SA_EEENS0_18inequality_wrapperIZN2at6native12_GLOBAL__N_124unique_dim_cuda_templateImEESt5tupleIJNSF_6TensorESK_SK_EERKSK_lbbbEUlllE0_EEPmJS9_EEE10hipError_tPvRmT3_T4_T5_T6_T7_T9_mT8_P12ihipStream_tbDpT10_ENKUlT_T0_E_clISt17integral_constantIbLb1EES19_IbLb0EEEEDaS15_S16_EUlS15_E_NS1_11comp_targetILNS1_3genE3ELNS1_11target_archE908ELNS1_3gpuE7ELNS1_3repE0EEENS1_30default_config_static_selectorELNS0_4arch9wavefront6targetE1EEEvT1_
; %bb.0:
	.section	.rodata,"a",@progbits
	.p2align	6, 0x0
	.amdhsa_kernel _ZN7rocprim17ROCPRIM_400000_NS6detail17trampoline_kernelINS0_14default_configENS1_25partition_config_selectorILNS1_17partition_subalgoE9EllbEEZZNS1_14partition_implILS5_9ELb0ES3_jPlS8_PNS0_10empty_typeENS0_5tupleIJS8_S9_EEENSB_IJS8_SA_EEENS0_18inequality_wrapperIZN2at6native12_GLOBAL__N_124unique_dim_cuda_templateImEESt5tupleIJNSF_6TensorESK_SK_EERKSK_lbbbEUlllE0_EEPmJS9_EEE10hipError_tPvRmT3_T4_T5_T6_T7_T9_mT8_P12ihipStream_tbDpT10_ENKUlT_T0_E_clISt17integral_constantIbLb1EES19_IbLb0EEEEDaS15_S16_EUlS15_E_NS1_11comp_targetILNS1_3genE3ELNS1_11target_archE908ELNS1_3gpuE7ELNS1_3repE0EEENS1_30default_config_static_selectorELNS0_4arch9wavefront6targetE1EEEvT1_
		.amdhsa_group_segment_fixed_size 0
		.amdhsa_private_segment_fixed_size 0
		.amdhsa_kernarg_size 120
		.amdhsa_user_sgpr_count 2
		.amdhsa_user_sgpr_dispatch_ptr 0
		.amdhsa_user_sgpr_queue_ptr 0
		.amdhsa_user_sgpr_kernarg_segment_ptr 1
		.amdhsa_user_sgpr_dispatch_id 0
		.amdhsa_user_sgpr_kernarg_preload_length 0
		.amdhsa_user_sgpr_kernarg_preload_offset 0
		.amdhsa_user_sgpr_private_segment_size 0
		.amdhsa_uses_dynamic_stack 0
		.amdhsa_enable_private_segment 0
		.amdhsa_system_sgpr_workgroup_id_x 1
		.amdhsa_system_sgpr_workgroup_id_y 0
		.amdhsa_system_sgpr_workgroup_id_z 0
		.amdhsa_system_sgpr_workgroup_info 0
		.amdhsa_system_vgpr_workitem_id 0
		.amdhsa_next_free_vgpr 1
		.amdhsa_next_free_sgpr 0
		.amdhsa_accum_offset 4
		.amdhsa_reserve_vcc 0
		.amdhsa_float_round_mode_32 0
		.amdhsa_float_round_mode_16_64 0
		.amdhsa_float_denorm_mode_32 3
		.amdhsa_float_denorm_mode_16_64 3
		.amdhsa_dx10_clamp 1
		.amdhsa_ieee_mode 1
		.amdhsa_fp16_overflow 0
		.amdhsa_tg_split 0
		.amdhsa_exception_fp_ieee_invalid_op 0
		.amdhsa_exception_fp_denorm_src 0
		.amdhsa_exception_fp_ieee_div_zero 0
		.amdhsa_exception_fp_ieee_overflow 0
		.amdhsa_exception_fp_ieee_underflow 0
		.amdhsa_exception_fp_ieee_inexact 0
		.amdhsa_exception_int_div_zero 0
	.end_amdhsa_kernel
	.section	.text._ZN7rocprim17ROCPRIM_400000_NS6detail17trampoline_kernelINS0_14default_configENS1_25partition_config_selectorILNS1_17partition_subalgoE9EllbEEZZNS1_14partition_implILS5_9ELb0ES3_jPlS8_PNS0_10empty_typeENS0_5tupleIJS8_S9_EEENSB_IJS8_SA_EEENS0_18inequality_wrapperIZN2at6native12_GLOBAL__N_124unique_dim_cuda_templateImEESt5tupleIJNSF_6TensorESK_SK_EERKSK_lbbbEUlllE0_EEPmJS9_EEE10hipError_tPvRmT3_T4_T5_T6_T7_T9_mT8_P12ihipStream_tbDpT10_ENKUlT_T0_E_clISt17integral_constantIbLb1EES19_IbLb0EEEEDaS15_S16_EUlS15_E_NS1_11comp_targetILNS1_3genE3ELNS1_11target_archE908ELNS1_3gpuE7ELNS1_3repE0EEENS1_30default_config_static_selectorELNS0_4arch9wavefront6targetE1EEEvT1_,"axG",@progbits,_ZN7rocprim17ROCPRIM_400000_NS6detail17trampoline_kernelINS0_14default_configENS1_25partition_config_selectorILNS1_17partition_subalgoE9EllbEEZZNS1_14partition_implILS5_9ELb0ES3_jPlS8_PNS0_10empty_typeENS0_5tupleIJS8_S9_EEENSB_IJS8_SA_EEENS0_18inequality_wrapperIZN2at6native12_GLOBAL__N_124unique_dim_cuda_templateImEESt5tupleIJNSF_6TensorESK_SK_EERKSK_lbbbEUlllE0_EEPmJS9_EEE10hipError_tPvRmT3_T4_T5_T6_T7_T9_mT8_P12ihipStream_tbDpT10_ENKUlT_T0_E_clISt17integral_constantIbLb1EES19_IbLb0EEEEDaS15_S16_EUlS15_E_NS1_11comp_targetILNS1_3genE3ELNS1_11target_archE908ELNS1_3gpuE7ELNS1_3repE0EEENS1_30default_config_static_selectorELNS0_4arch9wavefront6targetE1EEEvT1_,comdat
.Lfunc_end1714:
	.size	_ZN7rocprim17ROCPRIM_400000_NS6detail17trampoline_kernelINS0_14default_configENS1_25partition_config_selectorILNS1_17partition_subalgoE9EllbEEZZNS1_14partition_implILS5_9ELb0ES3_jPlS8_PNS0_10empty_typeENS0_5tupleIJS8_S9_EEENSB_IJS8_SA_EEENS0_18inequality_wrapperIZN2at6native12_GLOBAL__N_124unique_dim_cuda_templateImEESt5tupleIJNSF_6TensorESK_SK_EERKSK_lbbbEUlllE0_EEPmJS9_EEE10hipError_tPvRmT3_T4_T5_T6_T7_T9_mT8_P12ihipStream_tbDpT10_ENKUlT_T0_E_clISt17integral_constantIbLb1EES19_IbLb0EEEEDaS15_S16_EUlS15_E_NS1_11comp_targetILNS1_3genE3ELNS1_11target_archE908ELNS1_3gpuE7ELNS1_3repE0EEENS1_30default_config_static_selectorELNS0_4arch9wavefront6targetE1EEEvT1_, .Lfunc_end1714-_ZN7rocprim17ROCPRIM_400000_NS6detail17trampoline_kernelINS0_14default_configENS1_25partition_config_selectorILNS1_17partition_subalgoE9EllbEEZZNS1_14partition_implILS5_9ELb0ES3_jPlS8_PNS0_10empty_typeENS0_5tupleIJS8_S9_EEENSB_IJS8_SA_EEENS0_18inequality_wrapperIZN2at6native12_GLOBAL__N_124unique_dim_cuda_templateImEESt5tupleIJNSF_6TensorESK_SK_EERKSK_lbbbEUlllE0_EEPmJS9_EEE10hipError_tPvRmT3_T4_T5_T6_T7_T9_mT8_P12ihipStream_tbDpT10_ENKUlT_T0_E_clISt17integral_constantIbLb1EES19_IbLb0EEEEDaS15_S16_EUlS15_E_NS1_11comp_targetILNS1_3genE3ELNS1_11target_archE908ELNS1_3gpuE7ELNS1_3repE0EEENS1_30default_config_static_selectorELNS0_4arch9wavefront6targetE1EEEvT1_
                                        ; -- End function
	.set _ZN7rocprim17ROCPRIM_400000_NS6detail17trampoline_kernelINS0_14default_configENS1_25partition_config_selectorILNS1_17partition_subalgoE9EllbEEZZNS1_14partition_implILS5_9ELb0ES3_jPlS8_PNS0_10empty_typeENS0_5tupleIJS8_S9_EEENSB_IJS8_SA_EEENS0_18inequality_wrapperIZN2at6native12_GLOBAL__N_124unique_dim_cuda_templateImEESt5tupleIJNSF_6TensorESK_SK_EERKSK_lbbbEUlllE0_EEPmJS9_EEE10hipError_tPvRmT3_T4_T5_T6_T7_T9_mT8_P12ihipStream_tbDpT10_ENKUlT_T0_E_clISt17integral_constantIbLb1EES19_IbLb0EEEEDaS15_S16_EUlS15_E_NS1_11comp_targetILNS1_3genE3ELNS1_11target_archE908ELNS1_3gpuE7ELNS1_3repE0EEENS1_30default_config_static_selectorELNS0_4arch9wavefront6targetE1EEEvT1_.num_vgpr, 0
	.set _ZN7rocprim17ROCPRIM_400000_NS6detail17trampoline_kernelINS0_14default_configENS1_25partition_config_selectorILNS1_17partition_subalgoE9EllbEEZZNS1_14partition_implILS5_9ELb0ES3_jPlS8_PNS0_10empty_typeENS0_5tupleIJS8_S9_EEENSB_IJS8_SA_EEENS0_18inequality_wrapperIZN2at6native12_GLOBAL__N_124unique_dim_cuda_templateImEESt5tupleIJNSF_6TensorESK_SK_EERKSK_lbbbEUlllE0_EEPmJS9_EEE10hipError_tPvRmT3_T4_T5_T6_T7_T9_mT8_P12ihipStream_tbDpT10_ENKUlT_T0_E_clISt17integral_constantIbLb1EES19_IbLb0EEEEDaS15_S16_EUlS15_E_NS1_11comp_targetILNS1_3genE3ELNS1_11target_archE908ELNS1_3gpuE7ELNS1_3repE0EEENS1_30default_config_static_selectorELNS0_4arch9wavefront6targetE1EEEvT1_.num_agpr, 0
	.set _ZN7rocprim17ROCPRIM_400000_NS6detail17trampoline_kernelINS0_14default_configENS1_25partition_config_selectorILNS1_17partition_subalgoE9EllbEEZZNS1_14partition_implILS5_9ELb0ES3_jPlS8_PNS0_10empty_typeENS0_5tupleIJS8_S9_EEENSB_IJS8_SA_EEENS0_18inequality_wrapperIZN2at6native12_GLOBAL__N_124unique_dim_cuda_templateImEESt5tupleIJNSF_6TensorESK_SK_EERKSK_lbbbEUlllE0_EEPmJS9_EEE10hipError_tPvRmT3_T4_T5_T6_T7_T9_mT8_P12ihipStream_tbDpT10_ENKUlT_T0_E_clISt17integral_constantIbLb1EES19_IbLb0EEEEDaS15_S16_EUlS15_E_NS1_11comp_targetILNS1_3genE3ELNS1_11target_archE908ELNS1_3gpuE7ELNS1_3repE0EEENS1_30default_config_static_selectorELNS0_4arch9wavefront6targetE1EEEvT1_.numbered_sgpr, 0
	.set _ZN7rocprim17ROCPRIM_400000_NS6detail17trampoline_kernelINS0_14default_configENS1_25partition_config_selectorILNS1_17partition_subalgoE9EllbEEZZNS1_14partition_implILS5_9ELb0ES3_jPlS8_PNS0_10empty_typeENS0_5tupleIJS8_S9_EEENSB_IJS8_SA_EEENS0_18inequality_wrapperIZN2at6native12_GLOBAL__N_124unique_dim_cuda_templateImEESt5tupleIJNSF_6TensorESK_SK_EERKSK_lbbbEUlllE0_EEPmJS9_EEE10hipError_tPvRmT3_T4_T5_T6_T7_T9_mT8_P12ihipStream_tbDpT10_ENKUlT_T0_E_clISt17integral_constantIbLb1EES19_IbLb0EEEEDaS15_S16_EUlS15_E_NS1_11comp_targetILNS1_3genE3ELNS1_11target_archE908ELNS1_3gpuE7ELNS1_3repE0EEENS1_30default_config_static_selectorELNS0_4arch9wavefront6targetE1EEEvT1_.num_named_barrier, 0
	.set _ZN7rocprim17ROCPRIM_400000_NS6detail17trampoline_kernelINS0_14default_configENS1_25partition_config_selectorILNS1_17partition_subalgoE9EllbEEZZNS1_14partition_implILS5_9ELb0ES3_jPlS8_PNS0_10empty_typeENS0_5tupleIJS8_S9_EEENSB_IJS8_SA_EEENS0_18inequality_wrapperIZN2at6native12_GLOBAL__N_124unique_dim_cuda_templateImEESt5tupleIJNSF_6TensorESK_SK_EERKSK_lbbbEUlllE0_EEPmJS9_EEE10hipError_tPvRmT3_T4_T5_T6_T7_T9_mT8_P12ihipStream_tbDpT10_ENKUlT_T0_E_clISt17integral_constantIbLb1EES19_IbLb0EEEEDaS15_S16_EUlS15_E_NS1_11comp_targetILNS1_3genE3ELNS1_11target_archE908ELNS1_3gpuE7ELNS1_3repE0EEENS1_30default_config_static_selectorELNS0_4arch9wavefront6targetE1EEEvT1_.private_seg_size, 0
	.set _ZN7rocprim17ROCPRIM_400000_NS6detail17trampoline_kernelINS0_14default_configENS1_25partition_config_selectorILNS1_17partition_subalgoE9EllbEEZZNS1_14partition_implILS5_9ELb0ES3_jPlS8_PNS0_10empty_typeENS0_5tupleIJS8_S9_EEENSB_IJS8_SA_EEENS0_18inequality_wrapperIZN2at6native12_GLOBAL__N_124unique_dim_cuda_templateImEESt5tupleIJNSF_6TensorESK_SK_EERKSK_lbbbEUlllE0_EEPmJS9_EEE10hipError_tPvRmT3_T4_T5_T6_T7_T9_mT8_P12ihipStream_tbDpT10_ENKUlT_T0_E_clISt17integral_constantIbLb1EES19_IbLb0EEEEDaS15_S16_EUlS15_E_NS1_11comp_targetILNS1_3genE3ELNS1_11target_archE908ELNS1_3gpuE7ELNS1_3repE0EEENS1_30default_config_static_selectorELNS0_4arch9wavefront6targetE1EEEvT1_.uses_vcc, 0
	.set _ZN7rocprim17ROCPRIM_400000_NS6detail17trampoline_kernelINS0_14default_configENS1_25partition_config_selectorILNS1_17partition_subalgoE9EllbEEZZNS1_14partition_implILS5_9ELb0ES3_jPlS8_PNS0_10empty_typeENS0_5tupleIJS8_S9_EEENSB_IJS8_SA_EEENS0_18inequality_wrapperIZN2at6native12_GLOBAL__N_124unique_dim_cuda_templateImEESt5tupleIJNSF_6TensorESK_SK_EERKSK_lbbbEUlllE0_EEPmJS9_EEE10hipError_tPvRmT3_T4_T5_T6_T7_T9_mT8_P12ihipStream_tbDpT10_ENKUlT_T0_E_clISt17integral_constantIbLb1EES19_IbLb0EEEEDaS15_S16_EUlS15_E_NS1_11comp_targetILNS1_3genE3ELNS1_11target_archE908ELNS1_3gpuE7ELNS1_3repE0EEENS1_30default_config_static_selectorELNS0_4arch9wavefront6targetE1EEEvT1_.uses_flat_scratch, 0
	.set _ZN7rocprim17ROCPRIM_400000_NS6detail17trampoline_kernelINS0_14default_configENS1_25partition_config_selectorILNS1_17partition_subalgoE9EllbEEZZNS1_14partition_implILS5_9ELb0ES3_jPlS8_PNS0_10empty_typeENS0_5tupleIJS8_S9_EEENSB_IJS8_SA_EEENS0_18inequality_wrapperIZN2at6native12_GLOBAL__N_124unique_dim_cuda_templateImEESt5tupleIJNSF_6TensorESK_SK_EERKSK_lbbbEUlllE0_EEPmJS9_EEE10hipError_tPvRmT3_T4_T5_T6_T7_T9_mT8_P12ihipStream_tbDpT10_ENKUlT_T0_E_clISt17integral_constantIbLb1EES19_IbLb0EEEEDaS15_S16_EUlS15_E_NS1_11comp_targetILNS1_3genE3ELNS1_11target_archE908ELNS1_3gpuE7ELNS1_3repE0EEENS1_30default_config_static_selectorELNS0_4arch9wavefront6targetE1EEEvT1_.has_dyn_sized_stack, 0
	.set _ZN7rocprim17ROCPRIM_400000_NS6detail17trampoline_kernelINS0_14default_configENS1_25partition_config_selectorILNS1_17partition_subalgoE9EllbEEZZNS1_14partition_implILS5_9ELb0ES3_jPlS8_PNS0_10empty_typeENS0_5tupleIJS8_S9_EEENSB_IJS8_SA_EEENS0_18inequality_wrapperIZN2at6native12_GLOBAL__N_124unique_dim_cuda_templateImEESt5tupleIJNSF_6TensorESK_SK_EERKSK_lbbbEUlllE0_EEPmJS9_EEE10hipError_tPvRmT3_T4_T5_T6_T7_T9_mT8_P12ihipStream_tbDpT10_ENKUlT_T0_E_clISt17integral_constantIbLb1EES19_IbLb0EEEEDaS15_S16_EUlS15_E_NS1_11comp_targetILNS1_3genE3ELNS1_11target_archE908ELNS1_3gpuE7ELNS1_3repE0EEENS1_30default_config_static_selectorELNS0_4arch9wavefront6targetE1EEEvT1_.has_recursion, 0
	.set _ZN7rocprim17ROCPRIM_400000_NS6detail17trampoline_kernelINS0_14default_configENS1_25partition_config_selectorILNS1_17partition_subalgoE9EllbEEZZNS1_14partition_implILS5_9ELb0ES3_jPlS8_PNS0_10empty_typeENS0_5tupleIJS8_S9_EEENSB_IJS8_SA_EEENS0_18inequality_wrapperIZN2at6native12_GLOBAL__N_124unique_dim_cuda_templateImEESt5tupleIJNSF_6TensorESK_SK_EERKSK_lbbbEUlllE0_EEPmJS9_EEE10hipError_tPvRmT3_T4_T5_T6_T7_T9_mT8_P12ihipStream_tbDpT10_ENKUlT_T0_E_clISt17integral_constantIbLb1EES19_IbLb0EEEEDaS15_S16_EUlS15_E_NS1_11comp_targetILNS1_3genE3ELNS1_11target_archE908ELNS1_3gpuE7ELNS1_3repE0EEENS1_30default_config_static_selectorELNS0_4arch9wavefront6targetE1EEEvT1_.has_indirect_call, 0
	.section	.AMDGPU.csdata,"",@progbits
; Kernel info:
; codeLenInByte = 0
; TotalNumSgprs: 6
; NumVgprs: 0
; NumAgprs: 0
; TotalNumVgprs: 0
; ScratchSize: 0
; MemoryBound: 0
; FloatMode: 240
; IeeeMode: 1
; LDSByteSize: 0 bytes/workgroup (compile time only)
; SGPRBlocks: 0
; VGPRBlocks: 0
; NumSGPRsForWavesPerEU: 6
; NumVGPRsForWavesPerEU: 1
; AccumOffset: 4
; Occupancy: 8
; WaveLimiterHint : 0
; COMPUTE_PGM_RSRC2:SCRATCH_EN: 0
; COMPUTE_PGM_RSRC2:USER_SGPR: 2
; COMPUTE_PGM_RSRC2:TRAP_HANDLER: 0
; COMPUTE_PGM_RSRC2:TGID_X_EN: 1
; COMPUTE_PGM_RSRC2:TGID_Y_EN: 0
; COMPUTE_PGM_RSRC2:TGID_Z_EN: 0
; COMPUTE_PGM_RSRC2:TIDIG_COMP_CNT: 0
; COMPUTE_PGM_RSRC3_GFX90A:ACCUM_OFFSET: 0
; COMPUTE_PGM_RSRC3_GFX90A:TG_SPLIT: 0
	.section	.text._ZN7rocprim17ROCPRIM_400000_NS6detail17trampoline_kernelINS0_14default_configENS1_25partition_config_selectorILNS1_17partition_subalgoE9EllbEEZZNS1_14partition_implILS5_9ELb0ES3_jPlS8_PNS0_10empty_typeENS0_5tupleIJS8_S9_EEENSB_IJS8_SA_EEENS0_18inequality_wrapperIZN2at6native12_GLOBAL__N_124unique_dim_cuda_templateImEESt5tupleIJNSF_6TensorESK_SK_EERKSK_lbbbEUlllE0_EEPmJS9_EEE10hipError_tPvRmT3_T4_T5_T6_T7_T9_mT8_P12ihipStream_tbDpT10_ENKUlT_T0_E_clISt17integral_constantIbLb1EES19_IbLb0EEEEDaS15_S16_EUlS15_E_NS1_11comp_targetILNS1_3genE2ELNS1_11target_archE906ELNS1_3gpuE6ELNS1_3repE0EEENS1_30default_config_static_selectorELNS0_4arch9wavefront6targetE1EEEvT1_,"axG",@progbits,_ZN7rocprim17ROCPRIM_400000_NS6detail17trampoline_kernelINS0_14default_configENS1_25partition_config_selectorILNS1_17partition_subalgoE9EllbEEZZNS1_14partition_implILS5_9ELb0ES3_jPlS8_PNS0_10empty_typeENS0_5tupleIJS8_S9_EEENSB_IJS8_SA_EEENS0_18inequality_wrapperIZN2at6native12_GLOBAL__N_124unique_dim_cuda_templateImEESt5tupleIJNSF_6TensorESK_SK_EERKSK_lbbbEUlllE0_EEPmJS9_EEE10hipError_tPvRmT3_T4_T5_T6_T7_T9_mT8_P12ihipStream_tbDpT10_ENKUlT_T0_E_clISt17integral_constantIbLb1EES19_IbLb0EEEEDaS15_S16_EUlS15_E_NS1_11comp_targetILNS1_3genE2ELNS1_11target_archE906ELNS1_3gpuE6ELNS1_3repE0EEENS1_30default_config_static_selectorELNS0_4arch9wavefront6targetE1EEEvT1_,comdat
	.globl	_ZN7rocprim17ROCPRIM_400000_NS6detail17trampoline_kernelINS0_14default_configENS1_25partition_config_selectorILNS1_17partition_subalgoE9EllbEEZZNS1_14partition_implILS5_9ELb0ES3_jPlS8_PNS0_10empty_typeENS0_5tupleIJS8_S9_EEENSB_IJS8_SA_EEENS0_18inequality_wrapperIZN2at6native12_GLOBAL__N_124unique_dim_cuda_templateImEESt5tupleIJNSF_6TensorESK_SK_EERKSK_lbbbEUlllE0_EEPmJS9_EEE10hipError_tPvRmT3_T4_T5_T6_T7_T9_mT8_P12ihipStream_tbDpT10_ENKUlT_T0_E_clISt17integral_constantIbLb1EES19_IbLb0EEEEDaS15_S16_EUlS15_E_NS1_11comp_targetILNS1_3genE2ELNS1_11target_archE906ELNS1_3gpuE6ELNS1_3repE0EEENS1_30default_config_static_selectorELNS0_4arch9wavefront6targetE1EEEvT1_ ; -- Begin function _ZN7rocprim17ROCPRIM_400000_NS6detail17trampoline_kernelINS0_14default_configENS1_25partition_config_selectorILNS1_17partition_subalgoE9EllbEEZZNS1_14partition_implILS5_9ELb0ES3_jPlS8_PNS0_10empty_typeENS0_5tupleIJS8_S9_EEENSB_IJS8_SA_EEENS0_18inequality_wrapperIZN2at6native12_GLOBAL__N_124unique_dim_cuda_templateImEESt5tupleIJNSF_6TensorESK_SK_EERKSK_lbbbEUlllE0_EEPmJS9_EEE10hipError_tPvRmT3_T4_T5_T6_T7_T9_mT8_P12ihipStream_tbDpT10_ENKUlT_T0_E_clISt17integral_constantIbLb1EES19_IbLb0EEEEDaS15_S16_EUlS15_E_NS1_11comp_targetILNS1_3genE2ELNS1_11target_archE906ELNS1_3gpuE6ELNS1_3repE0EEENS1_30default_config_static_selectorELNS0_4arch9wavefront6targetE1EEEvT1_
	.p2align	8
	.type	_ZN7rocprim17ROCPRIM_400000_NS6detail17trampoline_kernelINS0_14default_configENS1_25partition_config_selectorILNS1_17partition_subalgoE9EllbEEZZNS1_14partition_implILS5_9ELb0ES3_jPlS8_PNS0_10empty_typeENS0_5tupleIJS8_S9_EEENSB_IJS8_SA_EEENS0_18inequality_wrapperIZN2at6native12_GLOBAL__N_124unique_dim_cuda_templateImEESt5tupleIJNSF_6TensorESK_SK_EERKSK_lbbbEUlllE0_EEPmJS9_EEE10hipError_tPvRmT3_T4_T5_T6_T7_T9_mT8_P12ihipStream_tbDpT10_ENKUlT_T0_E_clISt17integral_constantIbLb1EES19_IbLb0EEEEDaS15_S16_EUlS15_E_NS1_11comp_targetILNS1_3genE2ELNS1_11target_archE906ELNS1_3gpuE6ELNS1_3repE0EEENS1_30default_config_static_selectorELNS0_4arch9wavefront6targetE1EEEvT1_,@function
_ZN7rocprim17ROCPRIM_400000_NS6detail17trampoline_kernelINS0_14default_configENS1_25partition_config_selectorILNS1_17partition_subalgoE9EllbEEZZNS1_14partition_implILS5_9ELb0ES3_jPlS8_PNS0_10empty_typeENS0_5tupleIJS8_S9_EEENSB_IJS8_SA_EEENS0_18inequality_wrapperIZN2at6native12_GLOBAL__N_124unique_dim_cuda_templateImEESt5tupleIJNSF_6TensorESK_SK_EERKSK_lbbbEUlllE0_EEPmJS9_EEE10hipError_tPvRmT3_T4_T5_T6_T7_T9_mT8_P12ihipStream_tbDpT10_ENKUlT_T0_E_clISt17integral_constantIbLb1EES19_IbLb0EEEEDaS15_S16_EUlS15_E_NS1_11comp_targetILNS1_3genE2ELNS1_11target_archE906ELNS1_3gpuE6ELNS1_3repE0EEENS1_30default_config_static_selectorELNS0_4arch9wavefront6targetE1EEEvT1_: ; @_ZN7rocprim17ROCPRIM_400000_NS6detail17trampoline_kernelINS0_14default_configENS1_25partition_config_selectorILNS1_17partition_subalgoE9EllbEEZZNS1_14partition_implILS5_9ELb0ES3_jPlS8_PNS0_10empty_typeENS0_5tupleIJS8_S9_EEENSB_IJS8_SA_EEENS0_18inequality_wrapperIZN2at6native12_GLOBAL__N_124unique_dim_cuda_templateImEESt5tupleIJNSF_6TensorESK_SK_EERKSK_lbbbEUlllE0_EEPmJS9_EEE10hipError_tPvRmT3_T4_T5_T6_T7_T9_mT8_P12ihipStream_tbDpT10_ENKUlT_T0_E_clISt17integral_constantIbLb1EES19_IbLb0EEEEDaS15_S16_EUlS15_E_NS1_11comp_targetILNS1_3genE2ELNS1_11target_archE906ELNS1_3gpuE6ELNS1_3repE0EEENS1_30default_config_static_selectorELNS0_4arch9wavefront6targetE1EEEvT1_
; %bb.0:
	.section	.rodata,"a",@progbits
	.p2align	6, 0x0
	.amdhsa_kernel _ZN7rocprim17ROCPRIM_400000_NS6detail17trampoline_kernelINS0_14default_configENS1_25partition_config_selectorILNS1_17partition_subalgoE9EllbEEZZNS1_14partition_implILS5_9ELb0ES3_jPlS8_PNS0_10empty_typeENS0_5tupleIJS8_S9_EEENSB_IJS8_SA_EEENS0_18inequality_wrapperIZN2at6native12_GLOBAL__N_124unique_dim_cuda_templateImEESt5tupleIJNSF_6TensorESK_SK_EERKSK_lbbbEUlllE0_EEPmJS9_EEE10hipError_tPvRmT3_T4_T5_T6_T7_T9_mT8_P12ihipStream_tbDpT10_ENKUlT_T0_E_clISt17integral_constantIbLb1EES19_IbLb0EEEEDaS15_S16_EUlS15_E_NS1_11comp_targetILNS1_3genE2ELNS1_11target_archE906ELNS1_3gpuE6ELNS1_3repE0EEENS1_30default_config_static_selectorELNS0_4arch9wavefront6targetE1EEEvT1_
		.amdhsa_group_segment_fixed_size 0
		.amdhsa_private_segment_fixed_size 0
		.amdhsa_kernarg_size 120
		.amdhsa_user_sgpr_count 2
		.amdhsa_user_sgpr_dispatch_ptr 0
		.amdhsa_user_sgpr_queue_ptr 0
		.amdhsa_user_sgpr_kernarg_segment_ptr 1
		.amdhsa_user_sgpr_dispatch_id 0
		.amdhsa_user_sgpr_kernarg_preload_length 0
		.amdhsa_user_sgpr_kernarg_preload_offset 0
		.amdhsa_user_sgpr_private_segment_size 0
		.amdhsa_uses_dynamic_stack 0
		.amdhsa_enable_private_segment 0
		.amdhsa_system_sgpr_workgroup_id_x 1
		.amdhsa_system_sgpr_workgroup_id_y 0
		.amdhsa_system_sgpr_workgroup_id_z 0
		.amdhsa_system_sgpr_workgroup_info 0
		.amdhsa_system_vgpr_workitem_id 0
		.amdhsa_next_free_vgpr 1
		.amdhsa_next_free_sgpr 0
		.amdhsa_accum_offset 4
		.amdhsa_reserve_vcc 0
		.amdhsa_float_round_mode_32 0
		.amdhsa_float_round_mode_16_64 0
		.amdhsa_float_denorm_mode_32 3
		.amdhsa_float_denorm_mode_16_64 3
		.amdhsa_dx10_clamp 1
		.amdhsa_ieee_mode 1
		.amdhsa_fp16_overflow 0
		.amdhsa_tg_split 0
		.amdhsa_exception_fp_ieee_invalid_op 0
		.amdhsa_exception_fp_denorm_src 0
		.amdhsa_exception_fp_ieee_div_zero 0
		.amdhsa_exception_fp_ieee_overflow 0
		.amdhsa_exception_fp_ieee_underflow 0
		.amdhsa_exception_fp_ieee_inexact 0
		.amdhsa_exception_int_div_zero 0
	.end_amdhsa_kernel
	.section	.text._ZN7rocprim17ROCPRIM_400000_NS6detail17trampoline_kernelINS0_14default_configENS1_25partition_config_selectorILNS1_17partition_subalgoE9EllbEEZZNS1_14partition_implILS5_9ELb0ES3_jPlS8_PNS0_10empty_typeENS0_5tupleIJS8_S9_EEENSB_IJS8_SA_EEENS0_18inequality_wrapperIZN2at6native12_GLOBAL__N_124unique_dim_cuda_templateImEESt5tupleIJNSF_6TensorESK_SK_EERKSK_lbbbEUlllE0_EEPmJS9_EEE10hipError_tPvRmT3_T4_T5_T6_T7_T9_mT8_P12ihipStream_tbDpT10_ENKUlT_T0_E_clISt17integral_constantIbLb1EES19_IbLb0EEEEDaS15_S16_EUlS15_E_NS1_11comp_targetILNS1_3genE2ELNS1_11target_archE906ELNS1_3gpuE6ELNS1_3repE0EEENS1_30default_config_static_selectorELNS0_4arch9wavefront6targetE1EEEvT1_,"axG",@progbits,_ZN7rocprim17ROCPRIM_400000_NS6detail17trampoline_kernelINS0_14default_configENS1_25partition_config_selectorILNS1_17partition_subalgoE9EllbEEZZNS1_14partition_implILS5_9ELb0ES3_jPlS8_PNS0_10empty_typeENS0_5tupleIJS8_S9_EEENSB_IJS8_SA_EEENS0_18inequality_wrapperIZN2at6native12_GLOBAL__N_124unique_dim_cuda_templateImEESt5tupleIJNSF_6TensorESK_SK_EERKSK_lbbbEUlllE0_EEPmJS9_EEE10hipError_tPvRmT3_T4_T5_T6_T7_T9_mT8_P12ihipStream_tbDpT10_ENKUlT_T0_E_clISt17integral_constantIbLb1EES19_IbLb0EEEEDaS15_S16_EUlS15_E_NS1_11comp_targetILNS1_3genE2ELNS1_11target_archE906ELNS1_3gpuE6ELNS1_3repE0EEENS1_30default_config_static_selectorELNS0_4arch9wavefront6targetE1EEEvT1_,comdat
.Lfunc_end1715:
	.size	_ZN7rocprim17ROCPRIM_400000_NS6detail17trampoline_kernelINS0_14default_configENS1_25partition_config_selectorILNS1_17partition_subalgoE9EllbEEZZNS1_14partition_implILS5_9ELb0ES3_jPlS8_PNS0_10empty_typeENS0_5tupleIJS8_S9_EEENSB_IJS8_SA_EEENS0_18inequality_wrapperIZN2at6native12_GLOBAL__N_124unique_dim_cuda_templateImEESt5tupleIJNSF_6TensorESK_SK_EERKSK_lbbbEUlllE0_EEPmJS9_EEE10hipError_tPvRmT3_T4_T5_T6_T7_T9_mT8_P12ihipStream_tbDpT10_ENKUlT_T0_E_clISt17integral_constantIbLb1EES19_IbLb0EEEEDaS15_S16_EUlS15_E_NS1_11comp_targetILNS1_3genE2ELNS1_11target_archE906ELNS1_3gpuE6ELNS1_3repE0EEENS1_30default_config_static_selectorELNS0_4arch9wavefront6targetE1EEEvT1_, .Lfunc_end1715-_ZN7rocprim17ROCPRIM_400000_NS6detail17trampoline_kernelINS0_14default_configENS1_25partition_config_selectorILNS1_17partition_subalgoE9EllbEEZZNS1_14partition_implILS5_9ELb0ES3_jPlS8_PNS0_10empty_typeENS0_5tupleIJS8_S9_EEENSB_IJS8_SA_EEENS0_18inequality_wrapperIZN2at6native12_GLOBAL__N_124unique_dim_cuda_templateImEESt5tupleIJNSF_6TensorESK_SK_EERKSK_lbbbEUlllE0_EEPmJS9_EEE10hipError_tPvRmT3_T4_T5_T6_T7_T9_mT8_P12ihipStream_tbDpT10_ENKUlT_T0_E_clISt17integral_constantIbLb1EES19_IbLb0EEEEDaS15_S16_EUlS15_E_NS1_11comp_targetILNS1_3genE2ELNS1_11target_archE906ELNS1_3gpuE6ELNS1_3repE0EEENS1_30default_config_static_selectorELNS0_4arch9wavefront6targetE1EEEvT1_
                                        ; -- End function
	.set _ZN7rocprim17ROCPRIM_400000_NS6detail17trampoline_kernelINS0_14default_configENS1_25partition_config_selectorILNS1_17partition_subalgoE9EllbEEZZNS1_14partition_implILS5_9ELb0ES3_jPlS8_PNS0_10empty_typeENS0_5tupleIJS8_S9_EEENSB_IJS8_SA_EEENS0_18inequality_wrapperIZN2at6native12_GLOBAL__N_124unique_dim_cuda_templateImEESt5tupleIJNSF_6TensorESK_SK_EERKSK_lbbbEUlllE0_EEPmJS9_EEE10hipError_tPvRmT3_T4_T5_T6_T7_T9_mT8_P12ihipStream_tbDpT10_ENKUlT_T0_E_clISt17integral_constantIbLb1EES19_IbLb0EEEEDaS15_S16_EUlS15_E_NS1_11comp_targetILNS1_3genE2ELNS1_11target_archE906ELNS1_3gpuE6ELNS1_3repE0EEENS1_30default_config_static_selectorELNS0_4arch9wavefront6targetE1EEEvT1_.num_vgpr, 0
	.set _ZN7rocprim17ROCPRIM_400000_NS6detail17trampoline_kernelINS0_14default_configENS1_25partition_config_selectorILNS1_17partition_subalgoE9EllbEEZZNS1_14partition_implILS5_9ELb0ES3_jPlS8_PNS0_10empty_typeENS0_5tupleIJS8_S9_EEENSB_IJS8_SA_EEENS0_18inequality_wrapperIZN2at6native12_GLOBAL__N_124unique_dim_cuda_templateImEESt5tupleIJNSF_6TensorESK_SK_EERKSK_lbbbEUlllE0_EEPmJS9_EEE10hipError_tPvRmT3_T4_T5_T6_T7_T9_mT8_P12ihipStream_tbDpT10_ENKUlT_T0_E_clISt17integral_constantIbLb1EES19_IbLb0EEEEDaS15_S16_EUlS15_E_NS1_11comp_targetILNS1_3genE2ELNS1_11target_archE906ELNS1_3gpuE6ELNS1_3repE0EEENS1_30default_config_static_selectorELNS0_4arch9wavefront6targetE1EEEvT1_.num_agpr, 0
	.set _ZN7rocprim17ROCPRIM_400000_NS6detail17trampoline_kernelINS0_14default_configENS1_25partition_config_selectorILNS1_17partition_subalgoE9EllbEEZZNS1_14partition_implILS5_9ELb0ES3_jPlS8_PNS0_10empty_typeENS0_5tupleIJS8_S9_EEENSB_IJS8_SA_EEENS0_18inequality_wrapperIZN2at6native12_GLOBAL__N_124unique_dim_cuda_templateImEESt5tupleIJNSF_6TensorESK_SK_EERKSK_lbbbEUlllE0_EEPmJS9_EEE10hipError_tPvRmT3_T4_T5_T6_T7_T9_mT8_P12ihipStream_tbDpT10_ENKUlT_T0_E_clISt17integral_constantIbLb1EES19_IbLb0EEEEDaS15_S16_EUlS15_E_NS1_11comp_targetILNS1_3genE2ELNS1_11target_archE906ELNS1_3gpuE6ELNS1_3repE0EEENS1_30default_config_static_selectorELNS0_4arch9wavefront6targetE1EEEvT1_.numbered_sgpr, 0
	.set _ZN7rocprim17ROCPRIM_400000_NS6detail17trampoline_kernelINS0_14default_configENS1_25partition_config_selectorILNS1_17partition_subalgoE9EllbEEZZNS1_14partition_implILS5_9ELb0ES3_jPlS8_PNS0_10empty_typeENS0_5tupleIJS8_S9_EEENSB_IJS8_SA_EEENS0_18inequality_wrapperIZN2at6native12_GLOBAL__N_124unique_dim_cuda_templateImEESt5tupleIJNSF_6TensorESK_SK_EERKSK_lbbbEUlllE0_EEPmJS9_EEE10hipError_tPvRmT3_T4_T5_T6_T7_T9_mT8_P12ihipStream_tbDpT10_ENKUlT_T0_E_clISt17integral_constantIbLb1EES19_IbLb0EEEEDaS15_S16_EUlS15_E_NS1_11comp_targetILNS1_3genE2ELNS1_11target_archE906ELNS1_3gpuE6ELNS1_3repE0EEENS1_30default_config_static_selectorELNS0_4arch9wavefront6targetE1EEEvT1_.num_named_barrier, 0
	.set _ZN7rocprim17ROCPRIM_400000_NS6detail17trampoline_kernelINS0_14default_configENS1_25partition_config_selectorILNS1_17partition_subalgoE9EllbEEZZNS1_14partition_implILS5_9ELb0ES3_jPlS8_PNS0_10empty_typeENS0_5tupleIJS8_S9_EEENSB_IJS8_SA_EEENS0_18inequality_wrapperIZN2at6native12_GLOBAL__N_124unique_dim_cuda_templateImEESt5tupleIJNSF_6TensorESK_SK_EERKSK_lbbbEUlllE0_EEPmJS9_EEE10hipError_tPvRmT3_T4_T5_T6_T7_T9_mT8_P12ihipStream_tbDpT10_ENKUlT_T0_E_clISt17integral_constantIbLb1EES19_IbLb0EEEEDaS15_S16_EUlS15_E_NS1_11comp_targetILNS1_3genE2ELNS1_11target_archE906ELNS1_3gpuE6ELNS1_3repE0EEENS1_30default_config_static_selectorELNS0_4arch9wavefront6targetE1EEEvT1_.private_seg_size, 0
	.set _ZN7rocprim17ROCPRIM_400000_NS6detail17trampoline_kernelINS0_14default_configENS1_25partition_config_selectorILNS1_17partition_subalgoE9EllbEEZZNS1_14partition_implILS5_9ELb0ES3_jPlS8_PNS0_10empty_typeENS0_5tupleIJS8_S9_EEENSB_IJS8_SA_EEENS0_18inequality_wrapperIZN2at6native12_GLOBAL__N_124unique_dim_cuda_templateImEESt5tupleIJNSF_6TensorESK_SK_EERKSK_lbbbEUlllE0_EEPmJS9_EEE10hipError_tPvRmT3_T4_T5_T6_T7_T9_mT8_P12ihipStream_tbDpT10_ENKUlT_T0_E_clISt17integral_constantIbLb1EES19_IbLb0EEEEDaS15_S16_EUlS15_E_NS1_11comp_targetILNS1_3genE2ELNS1_11target_archE906ELNS1_3gpuE6ELNS1_3repE0EEENS1_30default_config_static_selectorELNS0_4arch9wavefront6targetE1EEEvT1_.uses_vcc, 0
	.set _ZN7rocprim17ROCPRIM_400000_NS6detail17trampoline_kernelINS0_14default_configENS1_25partition_config_selectorILNS1_17partition_subalgoE9EllbEEZZNS1_14partition_implILS5_9ELb0ES3_jPlS8_PNS0_10empty_typeENS0_5tupleIJS8_S9_EEENSB_IJS8_SA_EEENS0_18inequality_wrapperIZN2at6native12_GLOBAL__N_124unique_dim_cuda_templateImEESt5tupleIJNSF_6TensorESK_SK_EERKSK_lbbbEUlllE0_EEPmJS9_EEE10hipError_tPvRmT3_T4_T5_T6_T7_T9_mT8_P12ihipStream_tbDpT10_ENKUlT_T0_E_clISt17integral_constantIbLb1EES19_IbLb0EEEEDaS15_S16_EUlS15_E_NS1_11comp_targetILNS1_3genE2ELNS1_11target_archE906ELNS1_3gpuE6ELNS1_3repE0EEENS1_30default_config_static_selectorELNS0_4arch9wavefront6targetE1EEEvT1_.uses_flat_scratch, 0
	.set _ZN7rocprim17ROCPRIM_400000_NS6detail17trampoline_kernelINS0_14default_configENS1_25partition_config_selectorILNS1_17partition_subalgoE9EllbEEZZNS1_14partition_implILS5_9ELb0ES3_jPlS8_PNS0_10empty_typeENS0_5tupleIJS8_S9_EEENSB_IJS8_SA_EEENS0_18inequality_wrapperIZN2at6native12_GLOBAL__N_124unique_dim_cuda_templateImEESt5tupleIJNSF_6TensorESK_SK_EERKSK_lbbbEUlllE0_EEPmJS9_EEE10hipError_tPvRmT3_T4_T5_T6_T7_T9_mT8_P12ihipStream_tbDpT10_ENKUlT_T0_E_clISt17integral_constantIbLb1EES19_IbLb0EEEEDaS15_S16_EUlS15_E_NS1_11comp_targetILNS1_3genE2ELNS1_11target_archE906ELNS1_3gpuE6ELNS1_3repE0EEENS1_30default_config_static_selectorELNS0_4arch9wavefront6targetE1EEEvT1_.has_dyn_sized_stack, 0
	.set _ZN7rocprim17ROCPRIM_400000_NS6detail17trampoline_kernelINS0_14default_configENS1_25partition_config_selectorILNS1_17partition_subalgoE9EllbEEZZNS1_14partition_implILS5_9ELb0ES3_jPlS8_PNS0_10empty_typeENS0_5tupleIJS8_S9_EEENSB_IJS8_SA_EEENS0_18inequality_wrapperIZN2at6native12_GLOBAL__N_124unique_dim_cuda_templateImEESt5tupleIJNSF_6TensorESK_SK_EERKSK_lbbbEUlllE0_EEPmJS9_EEE10hipError_tPvRmT3_T4_T5_T6_T7_T9_mT8_P12ihipStream_tbDpT10_ENKUlT_T0_E_clISt17integral_constantIbLb1EES19_IbLb0EEEEDaS15_S16_EUlS15_E_NS1_11comp_targetILNS1_3genE2ELNS1_11target_archE906ELNS1_3gpuE6ELNS1_3repE0EEENS1_30default_config_static_selectorELNS0_4arch9wavefront6targetE1EEEvT1_.has_recursion, 0
	.set _ZN7rocprim17ROCPRIM_400000_NS6detail17trampoline_kernelINS0_14default_configENS1_25partition_config_selectorILNS1_17partition_subalgoE9EllbEEZZNS1_14partition_implILS5_9ELb0ES3_jPlS8_PNS0_10empty_typeENS0_5tupleIJS8_S9_EEENSB_IJS8_SA_EEENS0_18inequality_wrapperIZN2at6native12_GLOBAL__N_124unique_dim_cuda_templateImEESt5tupleIJNSF_6TensorESK_SK_EERKSK_lbbbEUlllE0_EEPmJS9_EEE10hipError_tPvRmT3_T4_T5_T6_T7_T9_mT8_P12ihipStream_tbDpT10_ENKUlT_T0_E_clISt17integral_constantIbLb1EES19_IbLb0EEEEDaS15_S16_EUlS15_E_NS1_11comp_targetILNS1_3genE2ELNS1_11target_archE906ELNS1_3gpuE6ELNS1_3repE0EEENS1_30default_config_static_selectorELNS0_4arch9wavefront6targetE1EEEvT1_.has_indirect_call, 0
	.section	.AMDGPU.csdata,"",@progbits
; Kernel info:
; codeLenInByte = 0
; TotalNumSgprs: 6
; NumVgprs: 0
; NumAgprs: 0
; TotalNumVgprs: 0
; ScratchSize: 0
; MemoryBound: 0
; FloatMode: 240
; IeeeMode: 1
; LDSByteSize: 0 bytes/workgroup (compile time only)
; SGPRBlocks: 0
; VGPRBlocks: 0
; NumSGPRsForWavesPerEU: 6
; NumVGPRsForWavesPerEU: 1
; AccumOffset: 4
; Occupancy: 8
; WaveLimiterHint : 0
; COMPUTE_PGM_RSRC2:SCRATCH_EN: 0
; COMPUTE_PGM_RSRC2:USER_SGPR: 2
; COMPUTE_PGM_RSRC2:TRAP_HANDLER: 0
; COMPUTE_PGM_RSRC2:TGID_X_EN: 1
; COMPUTE_PGM_RSRC2:TGID_Y_EN: 0
; COMPUTE_PGM_RSRC2:TGID_Z_EN: 0
; COMPUTE_PGM_RSRC2:TIDIG_COMP_CNT: 0
; COMPUTE_PGM_RSRC3_GFX90A:ACCUM_OFFSET: 0
; COMPUTE_PGM_RSRC3_GFX90A:TG_SPLIT: 0
	.section	.text._ZN7rocprim17ROCPRIM_400000_NS6detail17trampoline_kernelINS0_14default_configENS1_25partition_config_selectorILNS1_17partition_subalgoE9EllbEEZZNS1_14partition_implILS5_9ELb0ES3_jPlS8_PNS0_10empty_typeENS0_5tupleIJS8_S9_EEENSB_IJS8_SA_EEENS0_18inequality_wrapperIZN2at6native12_GLOBAL__N_124unique_dim_cuda_templateImEESt5tupleIJNSF_6TensorESK_SK_EERKSK_lbbbEUlllE0_EEPmJS9_EEE10hipError_tPvRmT3_T4_T5_T6_T7_T9_mT8_P12ihipStream_tbDpT10_ENKUlT_T0_E_clISt17integral_constantIbLb1EES19_IbLb0EEEEDaS15_S16_EUlS15_E_NS1_11comp_targetILNS1_3genE10ELNS1_11target_archE1200ELNS1_3gpuE4ELNS1_3repE0EEENS1_30default_config_static_selectorELNS0_4arch9wavefront6targetE1EEEvT1_,"axG",@progbits,_ZN7rocprim17ROCPRIM_400000_NS6detail17trampoline_kernelINS0_14default_configENS1_25partition_config_selectorILNS1_17partition_subalgoE9EllbEEZZNS1_14partition_implILS5_9ELb0ES3_jPlS8_PNS0_10empty_typeENS0_5tupleIJS8_S9_EEENSB_IJS8_SA_EEENS0_18inequality_wrapperIZN2at6native12_GLOBAL__N_124unique_dim_cuda_templateImEESt5tupleIJNSF_6TensorESK_SK_EERKSK_lbbbEUlllE0_EEPmJS9_EEE10hipError_tPvRmT3_T4_T5_T6_T7_T9_mT8_P12ihipStream_tbDpT10_ENKUlT_T0_E_clISt17integral_constantIbLb1EES19_IbLb0EEEEDaS15_S16_EUlS15_E_NS1_11comp_targetILNS1_3genE10ELNS1_11target_archE1200ELNS1_3gpuE4ELNS1_3repE0EEENS1_30default_config_static_selectorELNS0_4arch9wavefront6targetE1EEEvT1_,comdat
	.globl	_ZN7rocprim17ROCPRIM_400000_NS6detail17trampoline_kernelINS0_14default_configENS1_25partition_config_selectorILNS1_17partition_subalgoE9EllbEEZZNS1_14partition_implILS5_9ELb0ES3_jPlS8_PNS0_10empty_typeENS0_5tupleIJS8_S9_EEENSB_IJS8_SA_EEENS0_18inequality_wrapperIZN2at6native12_GLOBAL__N_124unique_dim_cuda_templateImEESt5tupleIJNSF_6TensorESK_SK_EERKSK_lbbbEUlllE0_EEPmJS9_EEE10hipError_tPvRmT3_T4_T5_T6_T7_T9_mT8_P12ihipStream_tbDpT10_ENKUlT_T0_E_clISt17integral_constantIbLb1EES19_IbLb0EEEEDaS15_S16_EUlS15_E_NS1_11comp_targetILNS1_3genE10ELNS1_11target_archE1200ELNS1_3gpuE4ELNS1_3repE0EEENS1_30default_config_static_selectorELNS0_4arch9wavefront6targetE1EEEvT1_ ; -- Begin function _ZN7rocprim17ROCPRIM_400000_NS6detail17trampoline_kernelINS0_14default_configENS1_25partition_config_selectorILNS1_17partition_subalgoE9EllbEEZZNS1_14partition_implILS5_9ELb0ES3_jPlS8_PNS0_10empty_typeENS0_5tupleIJS8_S9_EEENSB_IJS8_SA_EEENS0_18inequality_wrapperIZN2at6native12_GLOBAL__N_124unique_dim_cuda_templateImEESt5tupleIJNSF_6TensorESK_SK_EERKSK_lbbbEUlllE0_EEPmJS9_EEE10hipError_tPvRmT3_T4_T5_T6_T7_T9_mT8_P12ihipStream_tbDpT10_ENKUlT_T0_E_clISt17integral_constantIbLb1EES19_IbLb0EEEEDaS15_S16_EUlS15_E_NS1_11comp_targetILNS1_3genE10ELNS1_11target_archE1200ELNS1_3gpuE4ELNS1_3repE0EEENS1_30default_config_static_selectorELNS0_4arch9wavefront6targetE1EEEvT1_
	.p2align	8
	.type	_ZN7rocprim17ROCPRIM_400000_NS6detail17trampoline_kernelINS0_14default_configENS1_25partition_config_selectorILNS1_17partition_subalgoE9EllbEEZZNS1_14partition_implILS5_9ELb0ES3_jPlS8_PNS0_10empty_typeENS0_5tupleIJS8_S9_EEENSB_IJS8_SA_EEENS0_18inequality_wrapperIZN2at6native12_GLOBAL__N_124unique_dim_cuda_templateImEESt5tupleIJNSF_6TensorESK_SK_EERKSK_lbbbEUlllE0_EEPmJS9_EEE10hipError_tPvRmT3_T4_T5_T6_T7_T9_mT8_P12ihipStream_tbDpT10_ENKUlT_T0_E_clISt17integral_constantIbLb1EES19_IbLb0EEEEDaS15_S16_EUlS15_E_NS1_11comp_targetILNS1_3genE10ELNS1_11target_archE1200ELNS1_3gpuE4ELNS1_3repE0EEENS1_30default_config_static_selectorELNS0_4arch9wavefront6targetE1EEEvT1_,@function
_ZN7rocprim17ROCPRIM_400000_NS6detail17trampoline_kernelINS0_14default_configENS1_25partition_config_selectorILNS1_17partition_subalgoE9EllbEEZZNS1_14partition_implILS5_9ELb0ES3_jPlS8_PNS0_10empty_typeENS0_5tupleIJS8_S9_EEENSB_IJS8_SA_EEENS0_18inequality_wrapperIZN2at6native12_GLOBAL__N_124unique_dim_cuda_templateImEESt5tupleIJNSF_6TensorESK_SK_EERKSK_lbbbEUlllE0_EEPmJS9_EEE10hipError_tPvRmT3_T4_T5_T6_T7_T9_mT8_P12ihipStream_tbDpT10_ENKUlT_T0_E_clISt17integral_constantIbLb1EES19_IbLb0EEEEDaS15_S16_EUlS15_E_NS1_11comp_targetILNS1_3genE10ELNS1_11target_archE1200ELNS1_3gpuE4ELNS1_3repE0EEENS1_30default_config_static_selectorELNS0_4arch9wavefront6targetE1EEEvT1_: ; @_ZN7rocprim17ROCPRIM_400000_NS6detail17trampoline_kernelINS0_14default_configENS1_25partition_config_selectorILNS1_17partition_subalgoE9EllbEEZZNS1_14partition_implILS5_9ELb0ES3_jPlS8_PNS0_10empty_typeENS0_5tupleIJS8_S9_EEENSB_IJS8_SA_EEENS0_18inequality_wrapperIZN2at6native12_GLOBAL__N_124unique_dim_cuda_templateImEESt5tupleIJNSF_6TensorESK_SK_EERKSK_lbbbEUlllE0_EEPmJS9_EEE10hipError_tPvRmT3_T4_T5_T6_T7_T9_mT8_P12ihipStream_tbDpT10_ENKUlT_T0_E_clISt17integral_constantIbLb1EES19_IbLb0EEEEDaS15_S16_EUlS15_E_NS1_11comp_targetILNS1_3genE10ELNS1_11target_archE1200ELNS1_3gpuE4ELNS1_3repE0EEENS1_30default_config_static_selectorELNS0_4arch9wavefront6targetE1EEEvT1_
; %bb.0:
	.section	.rodata,"a",@progbits
	.p2align	6, 0x0
	.amdhsa_kernel _ZN7rocprim17ROCPRIM_400000_NS6detail17trampoline_kernelINS0_14default_configENS1_25partition_config_selectorILNS1_17partition_subalgoE9EllbEEZZNS1_14partition_implILS5_9ELb0ES3_jPlS8_PNS0_10empty_typeENS0_5tupleIJS8_S9_EEENSB_IJS8_SA_EEENS0_18inequality_wrapperIZN2at6native12_GLOBAL__N_124unique_dim_cuda_templateImEESt5tupleIJNSF_6TensorESK_SK_EERKSK_lbbbEUlllE0_EEPmJS9_EEE10hipError_tPvRmT3_T4_T5_T6_T7_T9_mT8_P12ihipStream_tbDpT10_ENKUlT_T0_E_clISt17integral_constantIbLb1EES19_IbLb0EEEEDaS15_S16_EUlS15_E_NS1_11comp_targetILNS1_3genE10ELNS1_11target_archE1200ELNS1_3gpuE4ELNS1_3repE0EEENS1_30default_config_static_selectorELNS0_4arch9wavefront6targetE1EEEvT1_
		.amdhsa_group_segment_fixed_size 0
		.amdhsa_private_segment_fixed_size 0
		.amdhsa_kernarg_size 120
		.amdhsa_user_sgpr_count 2
		.amdhsa_user_sgpr_dispatch_ptr 0
		.amdhsa_user_sgpr_queue_ptr 0
		.amdhsa_user_sgpr_kernarg_segment_ptr 1
		.amdhsa_user_sgpr_dispatch_id 0
		.amdhsa_user_sgpr_kernarg_preload_length 0
		.amdhsa_user_sgpr_kernarg_preload_offset 0
		.amdhsa_user_sgpr_private_segment_size 0
		.amdhsa_uses_dynamic_stack 0
		.amdhsa_enable_private_segment 0
		.amdhsa_system_sgpr_workgroup_id_x 1
		.amdhsa_system_sgpr_workgroup_id_y 0
		.amdhsa_system_sgpr_workgroup_id_z 0
		.amdhsa_system_sgpr_workgroup_info 0
		.amdhsa_system_vgpr_workitem_id 0
		.amdhsa_next_free_vgpr 1
		.amdhsa_next_free_sgpr 0
		.amdhsa_accum_offset 4
		.amdhsa_reserve_vcc 0
		.amdhsa_float_round_mode_32 0
		.amdhsa_float_round_mode_16_64 0
		.amdhsa_float_denorm_mode_32 3
		.amdhsa_float_denorm_mode_16_64 3
		.amdhsa_dx10_clamp 1
		.amdhsa_ieee_mode 1
		.amdhsa_fp16_overflow 0
		.amdhsa_tg_split 0
		.amdhsa_exception_fp_ieee_invalid_op 0
		.amdhsa_exception_fp_denorm_src 0
		.amdhsa_exception_fp_ieee_div_zero 0
		.amdhsa_exception_fp_ieee_overflow 0
		.amdhsa_exception_fp_ieee_underflow 0
		.amdhsa_exception_fp_ieee_inexact 0
		.amdhsa_exception_int_div_zero 0
	.end_amdhsa_kernel
	.section	.text._ZN7rocprim17ROCPRIM_400000_NS6detail17trampoline_kernelINS0_14default_configENS1_25partition_config_selectorILNS1_17partition_subalgoE9EllbEEZZNS1_14partition_implILS5_9ELb0ES3_jPlS8_PNS0_10empty_typeENS0_5tupleIJS8_S9_EEENSB_IJS8_SA_EEENS0_18inequality_wrapperIZN2at6native12_GLOBAL__N_124unique_dim_cuda_templateImEESt5tupleIJNSF_6TensorESK_SK_EERKSK_lbbbEUlllE0_EEPmJS9_EEE10hipError_tPvRmT3_T4_T5_T6_T7_T9_mT8_P12ihipStream_tbDpT10_ENKUlT_T0_E_clISt17integral_constantIbLb1EES19_IbLb0EEEEDaS15_S16_EUlS15_E_NS1_11comp_targetILNS1_3genE10ELNS1_11target_archE1200ELNS1_3gpuE4ELNS1_3repE0EEENS1_30default_config_static_selectorELNS0_4arch9wavefront6targetE1EEEvT1_,"axG",@progbits,_ZN7rocprim17ROCPRIM_400000_NS6detail17trampoline_kernelINS0_14default_configENS1_25partition_config_selectorILNS1_17partition_subalgoE9EllbEEZZNS1_14partition_implILS5_9ELb0ES3_jPlS8_PNS0_10empty_typeENS0_5tupleIJS8_S9_EEENSB_IJS8_SA_EEENS0_18inequality_wrapperIZN2at6native12_GLOBAL__N_124unique_dim_cuda_templateImEESt5tupleIJNSF_6TensorESK_SK_EERKSK_lbbbEUlllE0_EEPmJS9_EEE10hipError_tPvRmT3_T4_T5_T6_T7_T9_mT8_P12ihipStream_tbDpT10_ENKUlT_T0_E_clISt17integral_constantIbLb1EES19_IbLb0EEEEDaS15_S16_EUlS15_E_NS1_11comp_targetILNS1_3genE10ELNS1_11target_archE1200ELNS1_3gpuE4ELNS1_3repE0EEENS1_30default_config_static_selectorELNS0_4arch9wavefront6targetE1EEEvT1_,comdat
.Lfunc_end1716:
	.size	_ZN7rocprim17ROCPRIM_400000_NS6detail17trampoline_kernelINS0_14default_configENS1_25partition_config_selectorILNS1_17partition_subalgoE9EllbEEZZNS1_14partition_implILS5_9ELb0ES3_jPlS8_PNS0_10empty_typeENS0_5tupleIJS8_S9_EEENSB_IJS8_SA_EEENS0_18inequality_wrapperIZN2at6native12_GLOBAL__N_124unique_dim_cuda_templateImEESt5tupleIJNSF_6TensorESK_SK_EERKSK_lbbbEUlllE0_EEPmJS9_EEE10hipError_tPvRmT3_T4_T5_T6_T7_T9_mT8_P12ihipStream_tbDpT10_ENKUlT_T0_E_clISt17integral_constantIbLb1EES19_IbLb0EEEEDaS15_S16_EUlS15_E_NS1_11comp_targetILNS1_3genE10ELNS1_11target_archE1200ELNS1_3gpuE4ELNS1_3repE0EEENS1_30default_config_static_selectorELNS0_4arch9wavefront6targetE1EEEvT1_, .Lfunc_end1716-_ZN7rocprim17ROCPRIM_400000_NS6detail17trampoline_kernelINS0_14default_configENS1_25partition_config_selectorILNS1_17partition_subalgoE9EllbEEZZNS1_14partition_implILS5_9ELb0ES3_jPlS8_PNS0_10empty_typeENS0_5tupleIJS8_S9_EEENSB_IJS8_SA_EEENS0_18inequality_wrapperIZN2at6native12_GLOBAL__N_124unique_dim_cuda_templateImEESt5tupleIJNSF_6TensorESK_SK_EERKSK_lbbbEUlllE0_EEPmJS9_EEE10hipError_tPvRmT3_T4_T5_T6_T7_T9_mT8_P12ihipStream_tbDpT10_ENKUlT_T0_E_clISt17integral_constantIbLb1EES19_IbLb0EEEEDaS15_S16_EUlS15_E_NS1_11comp_targetILNS1_3genE10ELNS1_11target_archE1200ELNS1_3gpuE4ELNS1_3repE0EEENS1_30default_config_static_selectorELNS0_4arch9wavefront6targetE1EEEvT1_
                                        ; -- End function
	.set _ZN7rocprim17ROCPRIM_400000_NS6detail17trampoline_kernelINS0_14default_configENS1_25partition_config_selectorILNS1_17partition_subalgoE9EllbEEZZNS1_14partition_implILS5_9ELb0ES3_jPlS8_PNS0_10empty_typeENS0_5tupleIJS8_S9_EEENSB_IJS8_SA_EEENS0_18inequality_wrapperIZN2at6native12_GLOBAL__N_124unique_dim_cuda_templateImEESt5tupleIJNSF_6TensorESK_SK_EERKSK_lbbbEUlllE0_EEPmJS9_EEE10hipError_tPvRmT3_T4_T5_T6_T7_T9_mT8_P12ihipStream_tbDpT10_ENKUlT_T0_E_clISt17integral_constantIbLb1EES19_IbLb0EEEEDaS15_S16_EUlS15_E_NS1_11comp_targetILNS1_3genE10ELNS1_11target_archE1200ELNS1_3gpuE4ELNS1_3repE0EEENS1_30default_config_static_selectorELNS0_4arch9wavefront6targetE1EEEvT1_.num_vgpr, 0
	.set _ZN7rocprim17ROCPRIM_400000_NS6detail17trampoline_kernelINS0_14default_configENS1_25partition_config_selectorILNS1_17partition_subalgoE9EllbEEZZNS1_14partition_implILS5_9ELb0ES3_jPlS8_PNS0_10empty_typeENS0_5tupleIJS8_S9_EEENSB_IJS8_SA_EEENS0_18inequality_wrapperIZN2at6native12_GLOBAL__N_124unique_dim_cuda_templateImEESt5tupleIJNSF_6TensorESK_SK_EERKSK_lbbbEUlllE0_EEPmJS9_EEE10hipError_tPvRmT3_T4_T5_T6_T7_T9_mT8_P12ihipStream_tbDpT10_ENKUlT_T0_E_clISt17integral_constantIbLb1EES19_IbLb0EEEEDaS15_S16_EUlS15_E_NS1_11comp_targetILNS1_3genE10ELNS1_11target_archE1200ELNS1_3gpuE4ELNS1_3repE0EEENS1_30default_config_static_selectorELNS0_4arch9wavefront6targetE1EEEvT1_.num_agpr, 0
	.set _ZN7rocprim17ROCPRIM_400000_NS6detail17trampoline_kernelINS0_14default_configENS1_25partition_config_selectorILNS1_17partition_subalgoE9EllbEEZZNS1_14partition_implILS5_9ELb0ES3_jPlS8_PNS0_10empty_typeENS0_5tupleIJS8_S9_EEENSB_IJS8_SA_EEENS0_18inequality_wrapperIZN2at6native12_GLOBAL__N_124unique_dim_cuda_templateImEESt5tupleIJNSF_6TensorESK_SK_EERKSK_lbbbEUlllE0_EEPmJS9_EEE10hipError_tPvRmT3_T4_T5_T6_T7_T9_mT8_P12ihipStream_tbDpT10_ENKUlT_T0_E_clISt17integral_constantIbLb1EES19_IbLb0EEEEDaS15_S16_EUlS15_E_NS1_11comp_targetILNS1_3genE10ELNS1_11target_archE1200ELNS1_3gpuE4ELNS1_3repE0EEENS1_30default_config_static_selectorELNS0_4arch9wavefront6targetE1EEEvT1_.numbered_sgpr, 0
	.set _ZN7rocprim17ROCPRIM_400000_NS6detail17trampoline_kernelINS0_14default_configENS1_25partition_config_selectorILNS1_17partition_subalgoE9EllbEEZZNS1_14partition_implILS5_9ELb0ES3_jPlS8_PNS0_10empty_typeENS0_5tupleIJS8_S9_EEENSB_IJS8_SA_EEENS0_18inequality_wrapperIZN2at6native12_GLOBAL__N_124unique_dim_cuda_templateImEESt5tupleIJNSF_6TensorESK_SK_EERKSK_lbbbEUlllE0_EEPmJS9_EEE10hipError_tPvRmT3_T4_T5_T6_T7_T9_mT8_P12ihipStream_tbDpT10_ENKUlT_T0_E_clISt17integral_constantIbLb1EES19_IbLb0EEEEDaS15_S16_EUlS15_E_NS1_11comp_targetILNS1_3genE10ELNS1_11target_archE1200ELNS1_3gpuE4ELNS1_3repE0EEENS1_30default_config_static_selectorELNS0_4arch9wavefront6targetE1EEEvT1_.num_named_barrier, 0
	.set _ZN7rocprim17ROCPRIM_400000_NS6detail17trampoline_kernelINS0_14default_configENS1_25partition_config_selectorILNS1_17partition_subalgoE9EllbEEZZNS1_14partition_implILS5_9ELb0ES3_jPlS8_PNS0_10empty_typeENS0_5tupleIJS8_S9_EEENSB_IJS8_SA_EEENS0_18inequality_wrapperIZN2at6native12_GLOBAL__N_124unique_dim_cuda_templateImEESt5tupleIJNSF_6TensorESK_SK_EERKSK_lbbbEUlllE0_EEPmJS9_EEE10hipError_tPvRmT3_T4_T5_T6_T7_T9_mT8_P12ihipStream_tbDpT10_ENKUlT_T0_E_clISt17integral_constantIbLb1EES19_IbLb0EEEEDaS15_S16_EUlS15_E_NS1_11comp_targetILNS1_3genE10ELNS1_11target_archE1200ELNS1_3gpuE4ELNS1_3repE0EEENS1_30default_config_static_selectorELNS0_4arch9wavefront6targetE1EEEvT1_.private_seg_size, 0
	.set _ZN7rocprim17ROCPRIM_400000_NS6detail17trampoline_kernelINS0_14default_configENS1_25partition_config_selectorILNS1_17partition_subalgoE9EllbEEZZNS1_14partition_implILS5_9ELb0ES3_jPlS8_PNS0_10empty_typeENS0_5tupleIJS8_S9_EEENSB_IJS8_SA_EEENS0_18inequality_wrapperIZN2at6native12_GLOBAL__N_124unique_dim_cuda_templateImEESt5tupleIJNSF_6TensorESK_SK_EERKSK_lbbbEUlllE0_EEPmJS9_EEE10hipError_tPvRmT3_T4_T5_T6_T7_T9_mT8_P12ihipStream_tbDpT10_ENKUlT_T0_E_clISt17integral_constantIbLb1EES19_IbLb0EEEEDaS15_S16_EUlS15_E_NS1_11comp_targetILNS1_3genE10ELNS1_11target_archE1200ELNS1_3gpuE4ELNS1_3repE0EEENS1_30default_config_static_selectorELNS0_4arch9wavefront6targetE1EEEvT1_.uses_vcc, 0
	.set _ZN7rocprim17ROCPRIM_400000_NS6detail17trampoline_kernelINS0_14default_configENS1_25partition_config_selectorILNS1_17partition_subalgoE9EllbEEZZNS1_14partition_implILS5_9ELb0ES3_jPlS8_PNS0_10empty_typeENS0_5tupleIJS8_S9_EEENSB_IJS8_SA_EEENS0_18inequality_wrapperIZN2at6native12_GLOBAL__N_124unique_dim_cuda_templateImEESt5tupleIJNSF_6TensorESK_SK_EERKSK_lbbbEUlllE0_EEPmJS9_EEE10hipError_tPvRmT3_T4_T5_T6_T7_T9_mT8_P12ihipStream_tbDpT10_ENKUlT_T0_E_clISt17integral_constantIbLb1EES19_IbLb0EEEEDaS15_S16_EUlS15_E_NS1_11comp_targetILNS1_3genE10ELNS1_11target_archE1200ELNS1_3gpuE4ELNS1_3repE0EEENS1_30default_config_static_selectorELNS0_4arch9wavefront6targetE1EEEvT1_.uses_flat_scratch, 0
	.set _ZN7rocprim17ROCPRIM_400000_NS6detail17trampoline_kernelINS0_14default_configENS1_25partition_config_selectorILNS1_17partition_subalgoE9EllbEEZZNS1_14partition_implILS5_9ELb0ES3_jPlS8_PNS0_10empty_typeENS0_5tupleIJS8_S9_EEENSB_IJS8_SA_EEENS0_18inequality_wrapperIZN2at6native12_GLOBAL__N_124unique_dim_cuda_templateImEESt5tupleIJNSF_6TensorESK_SK_EERKSK_lbbbEUlllE0_EEPmJS9_EEE10hipError_tPvRmT3_T4_T5_T6_T7_T9_mT8_P12ihipStream_tbDpT10_ENKUlT_T0_E_clISt17integral_constantIbLb1EES19_IbLb0EEEEDaS15_S16_EUlS15_E_NS1_11comp_targetILNS1_3genE10ELNS1_11target_archE1200ELNS1_3gpuE4ELNS1_3repE0EEENS1_30default_config_static_selectorELNS0_4arch9wavefront6targetE1EEEvT1_.has_dyn_sized_stack, 0
	.set _ZN7rocprim17ROCPRIM_400000_NS6detail17trampoline_kernelINS0_14default_configENS1_25partition_config_selectorILNS1_17partition_subalgoE9EllbEEZZNS1_14partition_implILS5_9ELb0ES3_jPlS8_PNS0_10empty_typeENS0_5tupleIJS8_S9_EEENSB_IJS8_SA_EEENS0_18inequality_wrapperIZN2at6native12_GLOBAL__N_124unique_dim_cuda_templateImEESt5tupleIJNSF_6TensorESK_SK_EERKSK_lbbbEUlllE0_EEPmJS9_EEE10hipError_tPvRmT3_T4_T5_T6_T7_T9_mT8_P12ihipStream_tbDpT10_ENKUlT_T0_E_clISt17integral_constantIbLb1EES19_IbLb0EEEEDaS15_S16_EUlS15_E_NS1_11comp_targetILNS1_3genE10ELNS1_11target_archE1200ELNS1_3gpuE4ELNS1_3repE0EEENS1_30default_config_static_selectorELNS0_4arch9wavefront6targetE1EEEvT1_.has_recursion, 0
	.set _ZN7rocprim17ROCPRIM_400000_NS6detail17trampoline_kernelINS0_14default_configENS1_25partition_config_selectorILNS1_17partition_subalgoE9EllbEEZZNS1_14partition_implILS5_9ELb0ES3_jPlS8_PNS0_10empty_typeENS0_5tupleIJS8_S9_EEENSB_IJS8_SA_EEENS0_18inequality_wrapperIZN2at6native12_GLOBAL__N_124unique_dim_cuda_templateImEESt5tupleIJNSF_6TensorESK_SK_EERKSK_lbbbEUlllE0_EEPmJS9_EEE10hipError_tPvRmT3_T4_T5_T6_T7_T9_mT8_P12ihipStream_tbDpT10_ENKUlT_T0_E_clISt17integral_constantIbLb1EES19_IbLb0EEEEDaS15_S16_EUlS15_E_NS1_11comp_targetILNS1_3genE10ELNS1_11target_archE1200ELNS1_3gpuE4ELNS1_3repE0EEENS1_30default_config_static_selectorELNS0_4arch9wavefront6targetE1EEEvT1_.has_indirect_call, 0
	.section	.AMDGPU.csdata,"",@progbits
; Kernel info:
; codeLenInByte = 0
; TotalNumSgprs: 6
; NumVgprs: 0
; NumAgprs: 0
; TotalNumVgprs: 0
; ScratchSize: 0
; MemoryBound: 0
; FloatMode: 240
; IeeeMode: 1
; LDSByteSize: 0 bytes/workgroup (compile time only)
; SGPRBlocks: 0
; VGPRBlocks: 0
; NumSGPRsForWavesPerEU: 6
; NumVGPRsForWavesPerEU: 1
; AccumOffset: 4
; Occupancy: 8
; WaveLimiterHint : 0
; COMPUTE_PGM_RSRC2:SCRATCH_EN: 0
; COMPUTE_PGM_RSRC2:USER_SGPR: 2
; COMPUTE_PGM_RSRC2:TRAP_HANDLER: 0
; COMPUTE_PGM_RSRC2:TGID_X_EN: 1
; COMPUTE_PGM_RSRC2:TGID_Y_EN: 0
; COMPUTE_PGM_RSRC2:TGID_Z_EN: 0
; COMPUTE_PGM_RSRC2:TIDIG_COMP_CNT: 0
; COMPUTE_PGM_RSRC3_GFX90A:ACCUM_OFFSET: 0
; COMPUTE_PGM_RSRC3_GFX90A:TG_SPLIT: 0
	.section	.text._ZN7rocprim17ROCPRIM_400000_NS6detail17trampoline_kernelINS0_14default_configENS1_25partition_config_selectorILNS1_17partition_subalgoE9EllbEEZZNS1_14partition_implILS5_9ELb0ES3_jPlS8_PNS0_10empty_typeENS0_5tupleIJS8_S9_EEENSB_IJS8_SA_EEENS0_18inequality_wrapperIZN2at6native12_GLOBAL__N_124unique_dim_cuda_templateImEESt5tupleIJNSF_6TensorESK_SK_EERKSK_lbbbEUlllE0_EEPmJS9_EEE10hipError_tPvRmT3_T4_T5_T6_T7_T9_mT8_P12ihipStream_tbDpT10_ENKUlT_T0_E_clISt17integral_constantIbLb1EES19_IbLb0EEEEDaS15_S16_EUlS15_E_NS1_11comp_targetILNS1_3genE9ELNS1_11target_archE1100ELNS1_3gpuE3ELNS1_3repE0EEENS1_30default_config_static_selectorELNS0_4arch9wavefront6targetE1EEEvT1_,"axG",@progbits,_ZN7rocprim17ROCPRIM_400000_NS6detail17trampoline_kernelINS0_14default_configENS1_25partition_config_selectorILNS1_17partition_subalgoE9EllbEEZZNS1_14partition_implILS5_9ELb0ES3_jPlS8_PNS0_10empty_typeENS0_5tupleIJS8_S9_EEENSB_IJS8_SA_EEENS0_18inequality_wrapperIZN2at6native12_GLOBAL__N_124unique_dim_cuda_templateImEESt5tupleIJNSF_6TensorESK_SK_EERKSK_lbbbEUlllE0_EEPmJS9_EEE10hipError_tPvRmT3_T4_T5_T6_T7_T9_mT8_P12ihipStream_tbDpT10_ENKUlT_T0_E_clISt17integral_constantIbLb1EES19_IbLb0EEEEDaS15_S16_EUlS15_E_NS1_11comp_targetILNS1_3genE9ELNS1_11target_archE1100ELNS1_3gpuE3ELNS1_3repE0EEENS1_30default_config_static_selectorELNS0_4arch9wavefront6targetE1EEEvT1_,comdat
	.globl	_ZN7rocprim17ROCPRIM_400000_NS6detail17trampoline_kernelINS0_14default_configENS1_25partition_config_selectorILNS1_17partition_subalgoE9EllbEEZZNS1_14partition_implILS5_9ELb0ES3_jPlS8_PNS0_10empty_typeENS0_5tupleIJS8_S9_EEENSB_IJS8_SA_EEENS0_18inequality_wrapperIZN2at6native12_GLOBAL__N_124unique_dim_cuda_templateImEESt5tupleIJNSF_6TensorESK_SK_EERKSK_lbbbEUlllE0_EEPmJS9_EEE10hipError_tPvRmT3_T4_T5_T6_T7_T9_mT8_P12ihipStream_tbDpT10_ENKUlT_T0_E_clISt17integral_constantIbLb1EES19_IbLb0EEEEDaS15_S16_EUlS15_E_NS1_11comp_targetILNS1_3genE9ELNS1_11target_archE1100ELNS1_3gpuE3ELNS1_3repE0EEENS1_30default_config_static_selectorELNS0_4arch9wavefront6targetE1EEEvT1_ ; -- Begin function _ZN7rocprim17ROCPRIM_400000_NS6detail17trampoline_kernelINS0_14default_configENS1_25partition_config_selectorILNS1_17partition_subalgoE9EllbEEZZNS1_14partition_implILS5_9ELb0ES3_jPlS8_PNS0_10empty_typeENS0_5tupleIJS8_S9_EEENSB_IJS8_SA_EEENS0_18inequality_wrapperIZN2at6native12_GLOBAL__N_124unique_dim_cuda_templateImEESt5tupleIJNSF_6TensorESK_SK_EERKSK_lbbbEUlllE0_EEPmJS9_EEE10hipError_tPvRmT3_T4_T5_T6_T7_T9_mT8_P12ihipStream_tbDpT10_ENKUlT_T0_E_clISt17integral_constantIbLb1EES19_IbLb0EEEEDaS15_S16_EUlS15_E_NS1_11comp_targetILNS1_3genE9ELNS1_11target_archE1100ELNS1_3gpuE3ELNS1_3repE0EEENS1_30default_config_static_selectorELNS0_4arch9wavefront6targetE1EEEvT1_
	.p2align	8
	.type	_ZN7rocprim17ROCPRIM_400000_NS6detail17trampoline_kernelINS0_14default_configENS1_25partition_config_selectorILNS1_17partition_subalgoE9EllbEEZZNS1_14partition_implILS5_9ELb0ES3_jPlS8_PNS0_10empty_typeENS0_5tupleIJS8_S9_EEENSB_IJS8_SA_EEENS0_18inequality_wrapperIZN2at6native12_GLOBAL__N_124unique_dim_cuda_templateImEESt5tupleIJNSF_6TensorESK_SK_EERKSK_lbbbEUlllE0_EEPmJS9_EEE10hipError_tPvRmT3_T4_T5_T6_T7_T9_mT8_P12ihipStream_tbDpT10_ENKUlT_T0_E_clISt17integral_constantIbLb1EES19_IbLb0EEEEDaS15_S16_EUlS15_E_NS1_11comp_targetILNS1_3genE9ELNS1_11target_archE1100ELNS1_3gpuE3ELNS1_3repE0EEENS1_30default_config_static_selectorELNS0_4arch9wavefront6targetE1EEEvT1_,@function
_ZN7rocprim17ROCPRIM_400000_NS6detail17trampoline_kernelINS0_14default_configENS1_25partition_config_selectorILNS1_17partition_subalgoE9EllbEEZZNS1_14partition_implILS5_9ELb0ES3_jPlS8_PNS0_10empty_typeENS0_5tupleIJS8_S9_EEENSB_IJS8_SA_EEENS0_18inequality_wrapperIZN2at6native12_GLOBAL__N_124unique_dim_cuda_templateImEESt5tupleIJNSF_6TensorESK_SK_EERKSK_lbbbEUlllE0_EEPmJS9_EEE10hipError_tPvRmT3_T4_T5_T6_T7_T9_mT8_P12ihipStream_tbDpT10_ENKUlT_T0_E_clISt17integral_constantIbLb1EES19_IbLb0EEEEDaS15_S16_EUlS15_E_NS1_11comp_targetILNS1_3genE9ELNS1_11target_archE1100ELNS1_3gpuE3ELNS1_3repE0EEENS1_30default_config_static_selectorELNS0_4arch9wavefront6targetE1EEEvT1_: ; @_ZN7rocprim17ROCPRIM_400000_NS6detail17trampoline_kernelINS0_14default_configENS1_25partition_config_selectorILNS1_17partition_subalgoE9EllbEEZZNS1_14partition_implILS5_9ELb0ES3_jPlS8_PNS0_10empty_typeENS0_5tupleIJS8_S9_EEENSB_IJS8_SA_EEENS0_18inequality_wrapperIZN2at6native12_GLOBAL__N_124unique_dim_cuda_templateImEESt5tupleIJNSF_6TensorESK_SK_EERKSK_lbbbEUlllE0_EEPmJS9_EEE10hipError_tPvRmT3_T4_T5_T6_T7_T9_mT8_P12ihipStream_tbDpT10_ENKUlT_T0_E_clISt17integral_constantIbLb1EES19_IbLb0EEEEDaS15_S16_EUlS15_E_NS1_11comp_targetILNS1_3genE9ELNS1_11target_archE1100ELNS1_3gpuE3ELNS1_3repE0EEENS1_30default_config_static_selectorELNS0_4arch9wavefront6targetE1EEEvT1_
; %bb.0:
	.section	.rodata,"a",@progbits
	.p2align	6, 0x0
	.amdhsa_kernel _ZN7rocprim17ROCPRIM_400000_NS6detail17trampoline_kernelINS0_14default_configENS1_25partition_config_selectorILNS1_17partition_subalgoE9EllbEEZZNS1_14partition_implILS5_9ELb0ES3_jPlS8_PNS0_10empty_typeENS0_5tupleIJS8_S9_EEENSB_IJS8_SA_EEENS0_18inequality_wrapperIZN2at6native12_GLOBAL__N_124unique_dim_cuda_templateImEESt5tupleIJNSF_6TensorESK_SK_EERKSK_lbbbEUlllE0_EEPmJS9_EEE10hipError_tPvRmT3_T4_T5_T6_T7_T9_mT8_P12ihipStream_tbDpT10_ENKUlT_T0_E_clISt17integral_constantIbLb1EES19_IbLb0EEEEDaS15_S16_EUlS15_E_NS1_11comp_targetILNS1_3genE9ELNS1_11target_archE1100ELNS1_3gpuE3ELNS1_3repE0EEENS1_30default_config_static_selectorELNS0_4arch9wavefront6targetE1EEEvT1_
		.amdhsa_group_segment_fixed_size 0
		.amdhsa_private_segment_fixed_size 0
		.amdhsa_kernarg_size 120
		.amdhsa_user_sgpr_count 2
		.amdhsa_user_sgpr_dispatch_ptr 0
		.amdhsa_user_sgpr_queue_ptr 0
		.amdhsa_user_sgpr_kernarg_segment_ptr 1
		.amdhsa_user_sgpr_dispatch_id 0
		.amdhsa_user_sgpr_kernarg_preload_length 0
		.amdhsa_user_sgpr_kernarg_preload_offset 0
		.amdhsa_user_sgpr_private_segment_size 0
		.amdhsa_uses_dynamic_stack 0
		.amdhsa_enable_private_segment 0
		.amdhsa_system_sgpr_workgroup_id_x 1
		.amdhsa_system_sgpr_workgroup_id_y 0
		.amdhsa_system_sgpr_workgroup_id_z 0
		.amdhsa_system_sgpr_workgroup_info 0
		.amdhsa_system_vgpr_workitem_id 0
		.amdhsa_next_free_vgpr 1
		.amdhsa_next_free_sgpr 0
		.amdhsa_accum_offset 4
		.amdhsa_reserve_vcc 0
		.amdhsa_float_round_mode_32 0
		.amdhsa_float_round_mode_16_64 0
		.amdhsa_float_denorm_mode_32 3
		.amdhsa_float_denorm_mode_16_64 3
		.amdhsa_dx10_clamp 1
		.amdhsa_ieee_mode 1
		.amdhsa_fp16_overflow 0
		.amdhsa_tg_split 0
		.amdhsa_exception_fp_ieee_invalid_op 0
		.amdhsa_exception_fp_denorm_src 0
		.amdhsa_exception_fp_ieee_div_zero 0
		.amdhsa_exception_fp_ieee_overflow 0
		.amdhsa_exception_fp_ieee_underflow 0
		.amdhsa_exception_fp_ieee_inexact 0
		.amdhsa_exception_int_div_zero 0
	.end_amdhsa_kernel
	.section	.text._ZN7rocprim17ROCPRIM_400000_NS6detail17trampoline_kernelINS0_14default_configENS1_25partition_config_selectorILNS1_17partition_subalgoE9EllbEEZZNS1_14partition_implILS5_9ELb0ES3_jPlS8_PNS0_10empty_typeENS0_5tupleIJS8_S9_EEENSB_IJS8_SA_EEENS0_18inequality_wrapperIZN2at6native12_GLOBAL__N_124unique_dim_cuda_templateImEESt5tupleIJNSF_6TensorESK_SK_EERKSK_lbbbEUlllE0_EEPmJS9_EEE10hipError_tPvRmT3_T4_T5_T6_T7_T9_mT8_P12ihipStream_tbDpT10_ENKUlT_T0_E_clISt17integral_constantIbLb1EES19_IbLb0EEEEDaS15_S16_EUlS15_E_NS1_11comp_targetILNS1_3genE9ELNS1_11target_archE1100ELNS1_3gpuE3ELNS1_3repE0EEENS1_30default_config_static_selectorELNS0_4arch9wavefront6targetE1EEEvT1_,"axG",@progbits,_ZN7rocprim17ROCPRIM_400000_NS6detail17trampoline_kernelINS0_14default_configENS1_25partition_config_selectorILNS1_17partition_subalgoE9EllbEEZZNS1_14partition_implILS5_9ELb0ES3_jPlS8_PNS0_10empty_typeENS0_5tupleIJS8_S9_EEENSB_IJS8_SA_EEENS0_18inequality_wrapperIZN2at6native12_GLOBAL__N_124unique_dim_cuda_templateImEESt5tupleIJNSF_6TensorESK_SK_EERKSK_lbbbEUlllE0_EEPmJS9_EEE10hipError_tPvRmT3_T4_T5_T6_T7_T9_mT8_P12ihipStream_tbDpT10_ENKUlT_T0_E_clISt17integral_constantIbLb1EES19_IbLb0EEEEDaS15_S16_EUlS15_E_NS1_11comp_targetILNS1_3genE9ELNS1_11target_archE1100ELNS1_3gpuE3ELNS1_3repE0EEENS1_30default_config_static_selectorELNS0_4arch9wavefront6targetE1EEEvT1_,comdat
.Lfunc_end1717:
	.size	_ZN7rocprim17ROCPRIM_400000_NS6detail17trampoline_kernelINS0_14default_configENS1_25partition_config_selectorILNS1_17partition_subalgoE9EllbEEZZNS1_14partition_implILS5_9ELb0ES3_jPlS8_PNS0_10empty_typeENS0_5tupleIJS8_S9_EEENSB_IJS8_SA_EEENS0_18inequality_wrapperIZN2at6native12_GLOBAL__N_124unique_dim_cuda_templateImEESt5tupleIJNSF_6TensorESK_SK_EERKSK_lbbbEUlllE0_EEPmJS9_EEE10hipError_tPvRmT3_T4_T5_T6_T7_T9_mT8_P12ihipStream_tbDpT10_ENKUlT_T0_E_clISt17integral_constantIbLb1EES19_IbLb0EEEEDaS15_S16_EUlS15_E_NS1_11comp_targetILNS1_3genE9ELNS1_11target_archE1100ELNS1_3gpuE3ELNS1_3repE0EEENS1_30default_config_static_selectorELNS0_4arch9wavefront6targetE1EEEvT1_, .Lfunc_end1717-_ZN7rocprim17ROCPRIM_400000_NS6detail17trampoline_kernelINS0_14default_configENS1_25partition_config_selectorILNS1_17partition_subalgoE9EllbEEZZNS1_14partition_implILS5_9ELb0ES3_jPlS8_PNS0_10empty_typeENS0_5tupleIJS8_S9_EEENSB_IJS8_SA_EEENS0_18inequality_wrapperIZN2at6native12_GLOBAL__N_124unique_dim_cuda_templateImEESt5tupleIJNSF_6TensorESK_SK_EERKSK_lbbbEUlllE0_EEPmJS9_EEE10hipError_tPvRmT3_T4_T5_T6_T7_T9_mT8_P12ihipStream_tbDpT10_ENKUlT_T0_E_clISt17integral_constantIbLb1EES19_IbLb0EEEEDaS15_S16_EUlS15_E_NS1_11comp_targetILNS1_3genE9ELNS1_11target_archE1100ELNS1_3gpuE3ELNS1_3repE0EEENS1_30default_config_static_selectorELNS0_4arch9wavefront6targetE1EEEvT1_
                                        ; -- End function
	.set _ZN7rocprim17ROCPRIM_400000_NS6detail17trampoline_kernelINS0_14default_configENS1_25partition_config_selectorILNS1_17partition_subalgoE9EllbEEZZNS1_14partition_implILS5_9ELb0ES3_jPlS8_PNS0_10empty_typeENS0_5tupleIJS8_S9_EEENSB_IJS8_SA_EEENS0_18inequality_wrapperIZN2at6native12_GLOBAL__N_124unique_dim_cuda_templateImEESt5tupleIJNSF_6TensorESK_SK_EERKSK_lbbbEUlllE0_EEPmJS9_EEE10hipError_tPvRmT3_T4_T5_T6_T7_T9_mT8_P12ihipStream_tbDpT10_ENKUlT_T0_E_clISt17integral_constantIbLb1EES19_IbLb0EEEEDaS15_S16_EUlS15_E_NS1_11comp_targetILNS1_3genE9ELNS1_11target_archE1100ELNS1_3gpuE3ELNS1_3repE0EEENS1_30default_config_static_selectorELNS0_4arch9wavefront6targetE1EEEvT1_.num_vgpr, 0
	.set _ZN7rocprim17ROCPRIM_400000_NS6detail17trampoline_kernelINS0_14default_configENS1_25partition_config_selectorILNS1_17partition_subalgoE9EllbEEZZNS1_14partition_implILS5_9ELb0ES3_jPlS8_PNS0_10empty_typeENS0_5tupleIJS8_S9_EEENSB_IJS8_SA_EEENS0_18inequality_wrapperIZN2at6native12_GLOBAL__N_124unique_dim_cuda_templateImEESt5tupleIJNSF_6TensorESK_SK_EERKSK_lbbbEUlllE0_EEPmJS9_EEE10hipError_tPvRmT3_T4_T5_T6_T7_T9_mT8_P12ihipStream_tbDpT10_ENKUlT_T0_E_clISt17integral_constantIbLb1EES19_IbLb0EEEEDaS15_S16_EUlS15_E_NS1_11comp_targetILNS1_3genE9ELNS1_11target_archE1100ELNS1_3gpuE3ELNS1_3repE0EEENS1_30default_config_static_selectorELNS0_4arch9wavefront6targetE1EEEvT1_.num_agpr, 0
	.set _ZN7rocprim17ROCPRIM_400000_NS6detail17trampoline_kernelINS0_14default_configENS1_25partition_config_selectorILNS1_17partition_subalgoE9EllbEEZZNS1_14partition_implILS5_9ELb0ES3_jPlS8_PNS0_10empty_typeENS0_5tupleIJS8_S9_EEENSB_IJS8_SA_EEENS0_18inequality_wrapperIZN2at6native12_GLOBAL__N_124unique_dim_cuda_templateImEESt5tupleIJNSF_6TensorESK_SK_EERKSK_lbbbEUlllE0_EEPmJS9_EEE10hipError_tPvRmT3_T4_T5_T6_T7_T9_mT8_P12ihipStream_tbDpT10_ENKUlT_T0_E_clISt17integral_constantIbLb1EES19_IbLb0EEEEDaS15_S16_EUlS15_E_NS1_11comp_targetILNS1_3genE9ELNS1_11target_archE1100ELNS1_3gpuE3ELNS1_3repE0EEENS1_30default_config_static_selectorELNS0_4arch9wavefront6targetE1EEEvT1_.numbered_sgpr, 0
	.set _ZN7rocprim17ROCPRIM_400000_NS6detail17trampoline_kernelINS0_14default_configENS1_25partition_config_selectorILNS1_17partition_subalgoE9EllbEEZZNS1_14partition_implILS5_9ELb0ES3_jPlS8_PNS0_10empty_typeENS0_5tupleIJS8_S9_EEENSB_IJS8_SA_EEENS0_18inequality_wrapperIZN2at6native12_GLOBAL__N_124unique_dim_cuda_templateImEESt5tupleIJNSF_6TensorESK_SK_EERKSK_lbbbEUlllE0_EEPmJS9_EEE10hipError_tPvRmT3_T4_T5_T6_T7_T9_mT8_P12ihipStream_tbDpT10_ENKUlT_T0_E_clISt17integral_constantIbLb1EES19_IbLb0EEEEDaS15_S16_EUlS15_E_NS1_11comp_targetILNS1_3genE9ELNS1_11target_archE1100ELNS1_3gpuE3ELNS1_3repE0EEENS1_30default_config_static_selectorELNS0_4arch9wavefront6targetE1EEEvT1_.num_named_barrier, 0
	.set _ZN7rocprim17ROCPRIM_400000_NS6detail17trampoline_kernelINS0_14default_configENS1_25partition_config_selectorILNS1_17partition_subalgoE9EllbEEZZNS1_14partition_implILS5_9ELb0ES3_jPlS8_PNS0_10empty_typeENS0_5tupleIJS8_S9_EEENSB_IJS8_SA_EEENS0_18inequality_wrapperIZN2at6native12_GLOBAL__N_124unique_dim_cuda_templateImEESt5tupleIJNSF_6TensorESK_SK_EERKSK_lbbbEUlllE0_EEPmJS9_EEE10hipError_tPvRmT3_T4_T5_T6_T7_T9_mT8_P12ihipStream_tbDpT10_ENKUlT_T0_E_clISt17integral_constantIbLb1EES19_IbLb0EEEEDaS15_S16_EUlS15_E_NS1_11comp_targetILNS1_3genE9ELNS1_11target_archE1100ELNS1_3gpuE3ELNS1_3repE0EEENS1_30default_config_static_selectorELNS0_4arch9wavefront6targetE1EEEvT1_.private_seg_size, 0
	.set _ZN7rocprim17ROCPRIM_400000_NS6detail17trampoline_kernelINS0_14default_configENS1_25partition_config_selectorILNS1_17partition_subalgoE9EllbEEZZNS1_14partition_implILS5_9ELb0ES3_jPlS8_PNS0_10empty_typeENS0_5tupleIJS8_S9_EEENSB_IJS8_SA_EEENS0_18inequality_wrapperIZN2at6native12_GLOBAL__N_124unique_dim_cuda_templateImEESt5tupleIJNSF_6TensorESK_SK_EERKSK_lbbbEUlllE0_EEPmJS9_EEE10hipError_tPvRmT3_T4_T5_T6_T7_T9_mT8_P12ihipStream_tbDpT10_ENKUlT_T0_E_clISt17integral_constantIbLb1EES19_IbLb0EEEEDaS15_S16_EUlS15_E_NS1_11comp_targetILNS1_3genE9ELNS1_11target_archE1100ELNS1_3gpuE3ELNS1_3repE0EEENS1_30default_config_static_selectorELNS0_4arch9wavefront6targetE1EEEvT1_.uses_vcc, 0
	.set _ZN7rocprim17ROCPRIM_400000_NS6detail17trampoline_kernelINS0_14default_configENS1_25partition_config_selectorILNS1_17partition_subalgoE9EllbEEZZNS1_14partition_implILS5_9ELb0ES3_jPlS8_PNS0_10empty_typeENS0_5tupleIJS8_S9_EEENSB_IJS8_SA_EEENS0_18inequality_wrapperIZN2at6native12_GLOBAL__N_124unique_dim_cuda_templateImEESt5tupleIJNSF_6TensorESK_SK_EERKSK_lbbbEUlllE0_EEPmJS9_EEE10hipError_tPvRmT3_T4_T5_T6_T7_T9_mT8_P12ihipStream_tbDpT10_ENKUlT_T0_E_clISt17integral_constantIbLb1EES19_IbLb0EEEEDaS15_S16_EUlS15_E_NS1_11comp_targetILNS1_3genE9ELNS1_11target_archE1100ELNS1_3gpuE3ELNS1_3repE0EEENS1_30default_config_static_selectorELNS0_4arch9wavefront6targetE1EEEvT1_.uses_flat_scratch, 0
	.set _ZN7rocprim17ROCPRIM_400000_NS6detail17trampoline_kernelINS0_14default_configENS1_25partition_config_selectorILNS1_17partition_subalgoE9EllbEEZZNS1_14partition_implILS5_9ELb0ES3_jPlS8_PNS0_10empty_typeENS0_5tupleIJS8_S9_EEENSB_IJS8_SA_EEENS0_18inequality_wrapperIZN2at6native12_GLOBAL__N_124unique_dim_cuda_templateImEESt5tupleIJNSF_6TensorESK_SK_EERKSK_lbbbEUlllE0_EEPmJS9_EEE10hipError_tPvRmT3_T4_T5_T6_T7_T9_mT8_P12ihipStream_tbDpT10_ENKUlT_T0_E_clISt17integral_constantIbLb1EES19_IbLb0EEEEDaS15_S16_EUlS15_E_NS1_11comp_targetILNS1_3genE9ELNS1_11target_archE1100ELNS1_3gpuE3ELNS1_3repE0EEENS1_30default_config_static_selectorELNS0_4arch9wavefront6targetE1EEEvT1_.has_dyn_sized_stack, 0
	.set _ZN7rocprim17ROCPRIM_400000_NS6detail17trampoline_kernelINS0_14default_configENS1_25partition_config_selectorILNS1_17partition_subalgoE9EllbEEZZNS1_14partition_implILS5_9ELb0ES3_jPlS8_PNS0_10empty_typeENS0_5tupleIJS8_S9_EEENSB_IJS8_SA_EEENS0_18inequality_wrapperIZN2at6native12_GLOBAL__N_124unique_dim_cuda_templateImEESt5tupleIJNSF_6TensorESK_SK_EERKSK_lbbbEUlllE0_EEPmJS9_EEE10hipError_tPvRmT3_T4_T5_T6_T7_T9_mT8_P12ihipStream_tbDpT10_ENKUlT_T0_E_clISt17integral_constantIbLb1EES19_IbLb0EEEEDaS15_S16_EUlS15_E_NS1_11comp_targetILNS1_3genE9ELNS1_11target_archE1100ELNS1_3gpuE3ELNS1_3repE0EEENS1_30default_config_static_selectorELNS0_4arch9wavefront6targetE1EEEvT1_.has_recursion, 0
	.set _ZN7rocprim17ROCPRIM_400000_NS6detail17trampoline_kernelINS0_14default_configENS1_25partition_config_selectorILNS1_17partition_subalgoE9EllbEEZZNS1_14partition_implILS5_9ELb0ES3_jPlS8_PNS0_10empty_typeENS0_5tupleIJS8_S9_EEENSB_IJS8_SA_EEENS0_18inequality_wrapperIZN2at6native12_GLOBAL__N_124unique_dim_cuda_templateImEESt5tupleIJNSF_6TensorESK_SK_EERKSK_lbbbEUlllE0_EEPmJS9_EEE10hipError_tPvRmT3_T4_T5_T6_T7_T9_mT8_P12ihipStream_tbDpT10_ENKUlT_T0_E_clISt17integral_constantIbLb1EES19_IbLb0EEEEDaS15_S16_EUlS15_E_NS1_11comp_targetILNS1_3genE9ELNS1_11target_archE1100ELNS1_3gpuE3ELNS1_3repE0EEENS1_30default_config_static_selectorELNS0_4arch9wavefront6targetE1EEEvT1_.has_indirect_call, 0
	.section	.AMDGPU.csdata,"",@progbits
; Kernel info:
; codeLenInByte = 0
; TotalNumSgprs: 6
; NumVgprs: 0
; NumAgprs: 0
; TotalNumVgprs: 0
; ScratchSize: 0
; MemoryBound: 0
; FloatMode: 240
; IeeeMode: 1
; LDSByteSize: 0 bytes/workgroup (compile time only)
; SGPRBlocks: 0
; VGPRBlocks: 0
; NumSGPRsForWavesPerEU: 6
; NumVGPRsForWavesPerEU: 1
; AccumOffset: 4
; Occupancy: 8
; WaveLimiterHint : 0
; COMPUTE_PGM_RSRC2:SCRATCH_EN: 0
; COMPUTE_PGM_RSRC2:USER_SGPR: 2
; COMPUTE_PGM_RSRC2:TRAP_HANDLER: 0
; COMPUTE_PGM_RSRC2:TGID_X_EN: 1
; COMPUTE_PGM_RSRC2:TGID_Y_EN: 0
; COMPUTE_PGM_RSRC2:TGID_Z_EN: 0
; COMPUTE_PGM_RSRC2:TIDIG_COMP_CNT: 0
; COMPUTE_PGM_RSRC3_GFX90A:ACCUM_OFFSET: 0
; COMPUTE_PGM_RSRC3_GFX90A:TG_SPLIT: 0
	.section	.text._ZN7rocprim17ROCPRIM_400000_NS6detail17trampoline_kernelINS0_14default_configENS1_25partition_config_selectorILNS1_17partition_subalgoE9EllbEEZZNS1_14partition_implILS5_9ELb0ES3_jPlS8_PNS0_10empty_typeENS0_5tupleIJS8_S9_EEENSB_IJS8_SA_EEENS0_18inequality_wrapperIZN2at6native12_GLOBAL__N_124unique_dim_cuda_templateImEESt5tupleIJNSF_6TensorESK_SK_EERKSK_lbbbEUlllE0_EEPmJS9_EEE10hipError_tPvRmT3_T4_T5_T6_T7_T9_mT8_P12ihipStream_tbDpT10_ENKUlT_T0_E_clISt17integral_constantIbLb1EES19_IbLb0EEEEDaS15_S16_EUlS15_E_NS1_11comp_targetILNS1_3genE8ELNS1_11target_archE1030ELNS1_3gpuE2ELNS1_3repE0EEENS1_30default_config_static_selectorELNS0_4arch9wavefront6targetE1EEEvT1_,"axG",@progbits,_ZN7rocprim17ROCPRIM_400000_NS6detail17trampoline_kernelINS0_14default_configENS1_25partition_config_selectorILNS1_17partition_subalgoE9EllbEEZZNS1_14partition_implILS5_9ELb0ES3_jPlS8_PNS0_10empty_typeENS0_5tupleIJS8_S9_EEENSB_IJS8_SA_EEENS0_18inequality_wrapperIZN2at6native12_GLOBAL__N_124unique_dim_cuda_templateImEESt5tupleIJNSF_6TensorESK_SK_EERKSK_lbbbEUlllE0_EEPmJS9_EEE10hipError_tPvRmT3_T4_T5_T6_T7_T9_mT8_P12ihipStream_tbDpT10_ENKUlT_T0_E_clISt17integral_constantIbLb1EES19_IbLb0EEEEDaS15_S16_EUlS15_E_NS1_11comp_targetILNS1_3genE8ELNS1_11target_archE1030ELNS1_3gpuE2ELNS1_3repE0EEENS1_30default_config_static_selectorELNS0_4arch9wavefront6targetE1EEEvT1_,comdat
	.globl	_ZN7rocprim17ROCPRIM_400000_NS6detail17trampoline_kernelINS0_14default_configENS1_25partition_config_selectorILNS1_17partition_subalgoE9EllbEEZZNS1_14partition_implILS5_9ELb0ES3_jPlS8_PNS0_10empty_typeENS0_5tupleIJS8_S9_EEENSB_IJS8_SA_EEENS0_18inequality_wrapperIZN2at6native12_GLOBAL__N_124unique_dim_cuda_templateImEESt5tupleIJNSF_6TensorESK_SK_EERKSK_lbbbEUlllE0_EEPmJS9_EEE10hipError_tPvRmT3_T4_T5_T6_T7_T9_mT8_P12ihipStream_tbDpT10_ENKUlT_T0_E_clISt17integral_constantIbLb1EES19_IbLb0EEEEDaS15_S16_EUlS15_E_NS1_11comp_targetILNS1_3genE8ELNS1_11target_archE1030ELNS1_3gpuE2ELNS1_3repE0EEENS1_30default_config_static_selectorELNS0_4arch9wavefront6targetE1EEEvT1_ ; -- Begin function _ZN7rocprim17ROCPRIM_400000_NS6detail17trampoline_kernelINS0_14default_configENS1_25partition_config_selectorILNS1_17partition_subalgoE9EllbEEZZNS1_14partition_implILS5_9ELb0ES3_jPlS8_PNS0_10empty_typeENS0_5tupleIJS8_S9_EEENSB_IJS8_SA_EEENS0_18inequality_wrapperIZN2at6native12_GLOBAL__N_124unique_dim_cuda_templateImEESt5tupleIJNSF_6TensorESK_SK_EERKSK_lbbbEUlllE0_EEPmJS9_EEE10hipError_tPvRmT3_T4_T5_T6_T7_T9_mT8_P12ihipStream_tbDpT10_ENKUlT_T0_E_clISt17integral_constantIbLb1EES19_IbLb0EEEEDaS15_S16_EUlS15_E_NS1_11comp_targetILNS1_3genE8ELNS1_11target_archE1030ELNS1_3gpuE2ELNS1_3repE0EEENS1_30default_config_static_selectorELNS0_4arch9wavefront6targetE1EEEvT1_
	.p2align	8
	.type	_ZN7rocprim17ROCPRIM_400000_NS6detail17trampoline_kernelINS0_14default_configENS1_25partition_config_selectorILNS1_17partition_subalgoE9EllbEEZZNS1_14partition_implILS5_9ELb0ES3_jPlS8_PNS0_10empty_typeENS0_5tupleIJS8_S9_EEENSB_IJS8_SA_EEENS0_18inequality_wrapperIZN2at6native12_GLOBAL__N_124unique_dim_cuda_templateImEESt5tupleIJNSF_6TensorESK_SK_EERKSK_lbbbEUlllE0_EEPmJS9_EEE10hipError_tPvRmT3_T4_T5_T6_T7_T9_mT8_P12ihipStream_tbDpT10_ENKUlT_T0_E_clISt17integral_constantIbLb1EES19_IbLb0EEEEDaS15_S16_EUlS15_E_NS1_11comp_targetILNS1_3genE8ELNS1_11target_archE1030ELNS1_3gpuE2ELNS1_3repE0EEENS1_30default_config_static_selectorELNS0_4arch9wavefront6targetE1EEEvT1_,@function
_ZN7rocprim17ROCPRIM_400000_NS6detail17trampoline_kernelINS0_14default_configENS1_25partition_config_selectorILNS1_17partition_subalgoE9EllbEEZZNS1_14partition_implILS5_9ELb0ES3_jPlS8_PNS0_10empty_typeENS0_5tupleIJS8_S9_EEENSB_IJS8_SA_EEENS0_18inequality_wrapperIZN2at6native12_GLOBAL__N_124unique_dim_cuda_templateImEESt5tupleIJNSF_6TensorESK_SK_EERKSK_lbbbEUlllE0_EEPmJS9_EEE10hipError_tPvRmT3_T4_T5_T6_T7_T9_mT8_P12ihipStream_tbDpT10_ENKUlT_T0_E_clISt17integral_constantIbLb1EES19_IbLb0EEEEDaS15_S16_EUlS15_E_NS1_11comp_targetILNS1_3genE8ELNS1_11target_archE1030ELNS1_3gpuE2ELNS1_3repE0EEENS1_30default_config_static_selectorELNS0_4arch9wavefront6targetE1EEEvT1_: ; @_ZN7rocprim17ROCPRIM_400000_NS6detail17trampoline_kernelINS0_14default_configENS1_25partition_config_selectorILNS1_17partition_subalgoE9EllbEEZZNS1_14partition_implILS5_9ELb0ES3_jPlS8_PNS0_10empty_typeENS0_5tupleIJS8_S9_EEENSB_IJS8_SA_EEENS0_18inequality_wrapperIZN2at6native12_GLOBAL__N_124unique_dim_cuda_templateImEESt5tupleIJNSF_6TensorESK_SK_EERKSK_lbbbEUlllE0_EEPmJS9_EEE10hipError_tPvRmT3_T4_T5_T6_T7_T9_mT8_P12ihipStream_tbDpT10_ENKUlT_T0_E_clISt17integral_constantIbLb1EES19_IbLb0EEEEDaS15_S16_EUlS15_E_NS1_11comp_targetILNS1_3genE8ELNS1_11target_archE1030ELNS1_3gpuE2ELNS1_3repE0EEENS1_30default_config_static_selectorELNS0_4arch9wavefront6targetE1EEEvT1_
; %bb.0:
	.section	.rodata,"a",@progbits
	.p2align	6, 0x0
	.amdhsa_kernel _ZN7rocprim17ROCPRIM_400000_NS6detail17trampoline_kernelINS0_14default_configENS1_25partition_config_selectorILNS1_17partition_subalgoE9EllbEEZZNS1_14partition_implILS5_9ELb0ES3_jPlS8_PNS0_10empty_typeENS0_5tupleIJS8_S9_EEENSB_IJS8_SA_EEENS0_18inequality_wrapperIZN2at6native12_GLOBAL__N_124unique_dim_cuda_templateImEESt5tupleIJNSF_6TensorESK_SK_EERKSK_lbbbEUlllE0_EEPmJS9_EEE10hipError_tPvRmT3_T4_T5_T6_T7_T9_mT8_P12ihipStream_tbDpT10_ENKUlT_T0_E_clISt17integral_constantIbLb1EES19_IbLb0EEEEDaS15_S16_EUlS15_E_NS1_11comp_targetILNS1_3genE8ELNS1_11target_archE1030ELNS1_3gpuE2ELNS1_3repE0EEENS1_30default_config_static_selectorELNS0_4arch9wavefront6targetE1EEEvT1_
		.amdhsa_group_segment_fixed_size 0
		.amdhsa_private_segment_fixed_size 0
		.amdhsa_kernarg_size 120
		.amdhsa_user_sgpr_count 2
		.amdhsa_user_sgpr_dispatch_ptr 0
		.amdhsa_user_sgpr_queue_ptr 0
		.amdhsa_user_sgpr_kernarg_segment_ptr 1
		.amdhsa_user_sgpr_dispatch_id 0
		.amdhsa_user_sgpr_kernarg_preload_length 0
		.amdhsa_user_sgpr_kernarg_preload_offset 0
		.amdhsa_user_sgpr_private_segment_size 0
		.amdhsa_uses_dynamic_stack 0
		.amdhsa_enable_private_segment 0
		.amdhsa_system_sgpr_workgroup_id_x 1
		.amdhsa_system_sgpr_workgroup_id_y 0
		.amdhsa_system_sgpr_workgroup_id_z 0
		.amdhsa_system_sgpr_workgroup_info 0
		.amdhsa_system_vgpr_workitem_id 0
		.amdhsa_next_free_vgpr 1
		.amdhsa_next_free_sgpr 0
		.amdhsa_accum_offset 4
		.amdhsa_reserve_vcc 0
		.amdhsa_float_round_mode_32 0
		.amdhsa_float_round_mode_16_64 0
		.amdhsa_float_denorm_mode_32 3
		.amdhsa_float_denorm_mode_16_64 3
		.amdhsa_dx10_clamp 1
		.amdhsa_ieee_mode 1
		.amdhsa_fp16_overflow 0
		.amdhsa_tg_split 0
		.amdhsa_exception_fp_ieee_invalid_op 0
		.amdhsa_exception_fp_denorm_src 0
		.amdhsa_exception_fp_ieee_div_zero 0
		.amdhsa_exception_fp_ieee_overflow 0
		.amdhsa_exception_fp_ieee_underflow 0
		.amdhsa_exception_fp_ieee_inexact 0
		.amdhsa_exception_int_div_zero 0
	.end_amdhsa_kernel
	.section	.text._ZN7rocprim17ROCPRIM_400000_NS6detail17trampoline_kernelINS0_14default_configENS1_25partition_config_selectorILNS1_17partition_subalgoE9EllbEEZZNS1_14partition_implILS5_9ELb0ES3_jPlS8_PNS0_10empty_typeENS0_5tupleIJS8_S9_EEENSB_IJS8_SA_EEENS0_18inequality_wrapperIZN2at6native12_GLOBAL__N_124unique_dim_cuda_templateImEESt5tupleIJNSF_6TensorESK_SK_EERKSK_lbbbEUlllE0_EEPmJS9_EEE10hipError_tPvRmT3_T4_T5_T6_T7_T9_mT8_P12ihipStream_tbDpT10_ENKUlT_T0_E_clISt17integral_constantIbLb1EES19_IbLb0EEEEDaS15_S16_EUlS15_E_NS1_11comp_targetILNS1_3genE8ELNS1_11target_archE1030ELNS1_3gpuE2ELNS1_3repE0EEENS1_30default_config_static_selectorELNS0_4arch9wavefront6targetE1EEEvT1_,"axG",@progbits,_ZN7rocprim17ROCPRIM_400000_NS6detail17trampoline_kernelINS0_14default_configENS1_25partition_config_selectorILNS1_17partition_subalgoE9EllbEEZZNS1_14partition_implILS5_9ELb0ES3_jPlS8_PNS0_10empty_typeENS0_5tupleIJS8_S9_EEENSB_IJS8_SA_EEENS0_18inequality_wrapperIZN2at6native12_GLOBAL__N_124unique_dim_cuda_templateImEESt5tupleIJNSF_6TensorESK_SK_EERKSK_lbbbEUlllE0_EEPmJS9_EEE10hipError_tPvRmT3_T4_T5_T6_T7_T9_mT8_P12ihipStream_tbDpT10_ENKUlT_T0_E_clISt17integral_constantIbLb1EES19_IbLb0EEEEDaS15_S16_EUlS15_E_NS1_11comp_targetILNS1_3genE8ELNS1_11target_archE1030ELNS1_3gpuE2ELNS1_3repE0EEENS1_30default_config_static_selectorELNS0_4arch9wavefront6targetE1EEEvT1_,comdat
.Lfunc_end1718:
	.size	_ZN7rocprim17ROCPRIM_400000_NS6detail17trampoline_kernelINS0_14default_configENS1_25partition_config_selectorILNS1_17partition_subalgoE9EllbEEZZNS1_14partition_implILS5_9ELb0ES3_jPlS8_PNS0_10empty_typeENS0_5tupleIJS8_S9_EEENSB_IJS8_SA_EEENS0_18inequality_wrapperIZN2at6native12_GLOBAL__N_124unique_dim_cuda_templateImEESt5tupleIJNSF_6TensorESK_SK_EERKSK_lbbbEUlllE0_EEPmJS9_EEE10hipError_tPvRmT3_T4_T5_T6_T7_T9_mT8_P12ihipStream_tbDpT10_ENKUlT_T0_E_clISt17integral_constantIbLb1EES19_IbLb0EEEEDaS15_S16_EUlS15_E_NS1_11comp_targetILNS1_3genE8ELNS1_11target_archE1030ELNS1_3gpuE2ELNS1_3repE0EEENS1_30default_config_static_selectorELNS0_4arch9wavefront6targetE1EEEvT1_, .Lfunc_end1718-_ZN7rocprim17ROCPRIM_400000_NS6detail17trampoline_kernelINS0_14default_configENS1_25partition_config_selectorILNS1_17partition_subalgoE9EllbEEZZNS1_14partition_implILS5_9ELb0ES3_jPlS8_PNS0_10empty_typeENS0_5tupleIJS8_S9_EEENSB_IJS8_SA_EEENS0_18inequality_wrapperIZN2at6native12_GLOBAL__N_124unique_dim_cuda_templateImEESt5tupleIJNSF_6TensorESK_SK_EERKSK_lbbbEUlllE0_EEPmJS9_EEE10hipError_tPvRmT3_T4_T5_T6_T7_T9_mT8_P12ihipStream_tbDpT10_ENKUlT_T0_E_clISt17integral_constantIbLb1EES19_IbLb0EEEEDaS15_S16_EUlS15_E_NS1_11comp_targetILNS1_3genE8ELNS1_11target_archE1030ELNS1_3gpuE2ELNS1_3repE0EEENS1_30default_config_static_selectorELNS0_4arch9wavefront6targetE1EEEvT1_
                                        ; -- End function
	.set _ZN7rocprim17ROCPRIM_400000_NS6detail17trampoline_kernelINS0_14default_configENS1_25partition_config_selectorILNS1_17partition_subalgoE9EllbEEZZNS1_14partition_implILS5_9ELb0ES3_jPlS8_PNS0_10empty_typeENS0_5tupleIJS8_S9_EEENSB_IJS8_SA_EEENS0_18inequality_wrapperIZN2at6native12_GLOBAL__N_124unique_dim_cuda_templateImEESt5tupleIJNSF_6TensorESK_SK_EERKSK_lbbbEUlllE0_EEPmJS9_EEE10hipError_tPvRmT3_T4_T5_T6_T7_T9_mT8_P12ihipStream_tbDpT10_ENKUlT_T0_E_clISt17integral_constantIbLb1EES19_IbLb0EEEEDaS15_S16_EUlS15_E_NS1_11comp_targetILNS1_3genE8ELNS1_11target_archE1030ELNS1_3gpuE2ELNS1_3repE0EEENS1_30default_config_static_selectorELNS0_4arch9wavefront6targetE1EEEvT1_.num_vgpr, 0
	.set _ZN7rocprim17ROCPRIM_400000_NS6detail17trampoline_kernelINS0_14default_configENS1_25partition_config_selectorILNS1_17partition_subalgoE9EllbEEZZNS1_14partition_implILS5_9ELb0ES3_jPlS8_PNS0_10empty_typeENS0_5tupleIJS8_S9_EEENSB_IJS8_SA_EEENS0_18inequality_wrapperIZN2at6native12_GLOBAL__N_124unique_dim_cuda_templateImEESt5tupleIJNSF_6TensorESK_SK_EERKSK_lbbbEUlllE0_EEPmJS9_EEE10hipError_tPvRmT3_T4_T5_T6_T7_T9_mT8_P12ihipStream_tbDpT10_ENKUlT_T0_E_clISt17integral_constantIbLb1EES19_IbLb0EEEEDaS15_S16_EUlS15_E_NS1_11comp_targetILNS1_3genE8ELNS1_11target_archE1030ELNS1_3gpuE2ELNS1_3repE0EEENS1_30default_config_static_selectorELNS0_4arch9wavefront6targetE1EEEvT1_.num_agpr, 0
	.set _ZN7rocprim17ROCPRIM_400000_NS6detail17trampoline_kernelINS0_14default_configENS1_25partition_config_selectorILNS1_17partition_subalgoE9EllbEEZZNS1_14partition_implILS5_9ELb0ES3_jPlS8_PNS0_10empty_typeENS0_5tupleIJS8_S9_EEENSB_IJS8_SA_EEENS0_18inequality_wrapperIZN2at6native12_GLOBAL__N_124unique_dim_cuda_templateImEESt5tupleIJNSF_6TensorESK_SK_EERKSK_lbbbEUlllE0_EEPmJS9_EEE10hipError_tPvRmT3_T4_T5_T6_T7_T9_mT8_P12ihipStream_tbDpT10_ENKUlT_T0_E_clISt17integral_constantIbLb1EES19_IbLb0EEEEDaS15_S16_EUlS15_E_NS1_11comp_targetILNS1_3genE8ELNS1_11target_archE1030ELNS1_3gpuE2ELNS1_3repE0EEENS1_30default_config_static_selectorELNS0_4arch9wavefront6targetE1EEEvT1_.numbered_sgpr, 0
	.set _ZN7rocprim17ROCPRIM_400000_NS6detail17trampoline_kernelINS0_14default_configENS1_25partition_config_selectorILNS1_17partition_subalgoE9EllbEEZZNS1_14partition_implILS5_9ELb0ES3_jPlS8_PNS0_10empty_typeENS0_5tupleIJS8_S9_EEENSB_IJS8_SA_EEENS0_18inequality_wrapperIZN2at6native12_GLOBAL__N_124unique_dim_cuda_templateImEESt5tupleIJNSF_6TensorESK_SK_EERKSK_lbbbEUlllE0_EEPmJS9_EEE10hipError_tPvRmT3_T4_T5_T6_T7_T9_mT8_P12ihipStream_tbDpT10_ENKUlT_T0_E_clISt17integral_constantIbLb1EES19_IbLb0EEEEDaS15_S16_EUlS15_E_NS1_11comp_targetILNS1_3genE8ELNS1_11target_archE1030ELNS1_3gpuE2ELNS1_3repE0EEENS1_30default_config_static_selectorELNS0_4arch9wavefront6targetE1EEEvT1_.num_named_barrier, 0
	.set _ZN7rocprim17ROCPRIM_400000_NS6detail17trampoline_kernelINS0_14default_configENS1_25partition_config_selectorILNS1_17partition_subalgoE9EllbEEZZNS1_14partition_implILS5_9ELb0ES3_jPlS8_PNS0_10empty_typeENS0_5tupleIJS8_S9_EEENSB_IJS8_SA_EEENS0_18inequality_wrapperIZN2at6native12_GLOBAL__N_124unique_dim_cuda_templateImEESt5tupleIJNSF_6TensorESK_SK_EERKSK_lbbbEUlllE0_EEPmJS9_EEE10hipError_tPvRmT3_T4_T5_T6_T7_T9_mT8_P12ihipStream_tbDpT10_ENKUlT_T0_E_clISt17integral_constantIbLb1EES19_IbLb0EEEEDaS15_S16_EUlS15_E_NS1_11comp_targetILNS1_3genE8ELNS1_11target_archE1030ELNS1_3gpuE2ELNS1_3repE0EEENS1_30default_config_static_selectorELNS0_4arch9wavefront6targetE1EEEvT1_.private_seg_size, 0
	.set _ZN7rocprim17ROCPRIM_400000_NS6detail17trampoline_kernelINS0_14default_configENS1_25partition_config_selectorILNS1_17partition_subalgoE9EllbEEZZNS1_14partition_implILS5_9ELb0ES3_jPlS8_PNS0_10empty_typeENS0_5tupleIJS8_S9_EEENSB_IJS8_SA_EEENS0_18inequality_wrapperIZN2at6native12_GLOBAL__N_124unique_dim_cuda_templateImEESt5tupleIJNSF_6TensorESK_SK_EERKSK_lbbbEUlllE0_EEPmJS9_EEE10hipError_tPvRmT3_T4_T5_T6_T7_T9_mT8_P12ihipStream_tbDpT10_ENKUlT_T0_E_clISt17integral_constantIbLb1EES19_IbLb0EEEEDaS15_S16_EUlS15_E_NS1_11comp_targetILNS1_3genE8ELNS1_11target_archE1030ELNS1_3gpuE2ELNS1_3repE0EEENS1_30default_config_static_selectorELNS0_4arch9wavefront6targetE1EEEvT1_.uses_vcc, 0
	.set _ZN7rocprim17ROCPRIM_400000_NS6detail17trampoline_kernelINS0_14default_configENS1_25partition_config_selectorILNS1_17partition_subalgoE9EllbEEZZNS1_14partition_implILS5_9ELb0ES3_jPlS8_PNS0_10empty_typeENS0_5tupleIJS8_S9_EEENSB_IJS8_SA_EEENS0_18inequality_wrapperIZN2at6native12_GLOBAL__N_124unique_dim_cuda_templateImEESt5tupleIJNSF_6TensorESK_SK_EERKSK_lbbbEUlllE0_EEPmJS9_EEE10hipError_tPvRmT3_T4_T5_T6_T7_T9_mT8_P12ihipStream_tbDpT10_ENKUlT_T0_E_clISt17integral_constantIbLb1EES19_IbLb0EEEEDaS15_S16_EUlS15_E_NS1_11comp_targetILNS1_3genE8ELNS1_11target_archE1030ELNS1_3gpuE2ELNS1_3repE0EEENS1_30default_config_static_selectorELNS0_4arch9wavefront6targetE1EEEvT1_.uses_flat_scratch, 0
	.set _ZN7rocprim17ROCPRIM_400000_NS6detail17trampoline_kernelINS0_14default_configENS1_25partition_config_selectorILNS1_17partition_subalgoE9EllbEEZZNS1_14partition_implILS5_9ELb0ES3_jPlS8_PNS0_10empty_typeENS0_5tupleIJS8_S9_EEENSB_IJS8_SA_EEENS0_18inequality_wrapperIZN2at6native12_GLOBAL__N_124unique_dim_cuda_templateImEESt5tupleIJNSF_6TensorESK_SK_EERKSK_lbbbEUlllE0_EEPmJS9_EEE10hipError_tPvRmT3_T4_T5_T6_T7_T9_mT8_P12ihipStream_tbDpT10_ENKUlT_T0_E_clISt17integral_constantIbLb1EES19_IbLb0EEEEDaS15_S16_EUlS15_E_NS1_11comp_targetILNS1_3genE8ELNS1_11target_archE1030ELNS1_3gpuE2ELNS1_3repE0EEENS1_30default_config_static_selectorELNS0_4arch9wavefront6targetE1EEEvT1_.has_dyn_sized_stack, 0
	.set _ZN7rocprim17ROCPRIM_400000_NS6detail17trampoline_kernelINS0_14default_configENS1_25partition_config_selectorILNS1_17partition_subalgoE9EllbEEZZNS1_14partition_implILS5_9ELb0ES3_jPlS8_PNS0_10empty_typeENS0_5tupleIJS8_S9_EEENSB_IJS8_SA_EEENS0_18inequality_wrapperIZN2at6native12_GLOBAL__N_124unique_dim_cuda_templateImEESt5tupleIJNSF_6TensorESK_SK_EERKSK_lbbbEUlllE0_EEPmJS9_EEE10hipError_tPvRmT3_T4_T5_T6_T7_T9_mT8_P12ihipStream_tbDpT10_ENKUlT_T0_E_clISt17integral_constantIbLb1EES19_IbLb0EEEEDaS15_S16_EUlS15_E_NS1_11comp_targetILNS1_3genE8ELNS1_11target_archE1030ELNS1_3gpuE2ELNS1_3repE0EEENS1_30default_config_static_selectorELNS0_4arch9wavefront6targetE1EEEvT1_.has_recursion, 0
	.set _ZN7rocprim17ROCPRIM_400000_NS6detail17trampoline_kernelINS0_14default_configENS1_25partition_config_selectorILNS1_17partition_subalgoE9EllbEEZZNS1_14partition_implILS5_9ELb0ES3_jPlS8_PNS0_10empty_typeENS0_5tupleIJS8_S9_EEENSB_IJS8_SA_EEENS0_18inequality_wrapperIZN2at6native12_GLOBAL__N_124unique_dim_cuda_templateImEESt5tupleIJNSF_6TensorESK_SK_EERKSK_lbbbEUlllE0_EEPmJS9_EEE10hipError_tPvRmT3_T4_T5_T6_T7_T9_mT8_P12ihipStream_tbDpT10_ENKUlT_T0_E_clISt17integral_constantIbLb1EES19_IbLb0EEEEDaS15_S16_EUlS15_E_NS1_11comp_targetILNS1_3genE8ELNS1_11target_archE1030ELNS1_3gpuE2ELNS1_3repE0EEENS1_30default_config_static_selectorELNS0_4arch9wavefront6targetE1EEEvT1_.has_indirect_call, 0
	.section	.AMDGPU.csdata,"",@progbits
; Kernel info:
; codeLenInByte = 0
; TotalNumSgprs: 6
; NumVgprs: 0
; NumAgprs: 0
; TotalNumVgprs: 0
; ScratchSize: 0
; MemoryBound: 0
; FloatMode: 240
; IeeeMode: 1
; LDSByteSize: 0 bytes/workgroup (compile time only)
; SGPRBlocks: 0
; VGPRBlocks: 0
; NumSGPRsForWavesPerEU: 6
; NumVGPRsForWavesPerEU: 1
; AccumOffset: 4
; Occupancy: 8
; WaveLimiterHint : 0
; COMPUTE_PGM_RSRC2:SCRATCH_EN: 0
; COMPUTE_PGM_RSRC2:USER_SGPR: 2
; COMPUTE_PGM_RSRC2:TRAP_HANDLER: 0
; COMPUTE_PGM_RSRC2:TGID_X_EN: 1
; COMPUTE_PGM_RSRC2:TGID_Y_EN: 0
; COMPUTE_PGM_RSRC2:TGID_Z_EN: 0
; COMPUTE_PGM_RSRC2:TIDIG_COMP_CNT: 0
; COMPUTE_PGM_RSRC3_GFX90A:ACCUM_OFFSET: 0
; COMPUTE_PGM_RSRC3_GFX90A:TG_SPLIT: 0
	.section	.text._ZN7rocprim17ROCPRIM_400000_NS6detail17trampoline_kernelINS0_14default_configENS1_25partition_config_selectorILNS1_17partition_subalgoE9EllbEEZZNS1_14partition_implILS5_9ELb0ES3_jPlS8_PNS0_10empty_typeENS0_5tupleIJS8_S9_EEENSB_IJS8_SA_EEENS0_18inequality_wrapperIZN2at6native12_GLOBAL__N_124unique_dim_cuda_templateImEESt5tupleIJNSF_6TensorESK_SK_EERKSK_lbbbEUlllE0_EEPmJS9_EEE10hipError_tPvRmT3_T4_T5_T6_T7_T9_mT8_P12ihipStream_tbDpT10_ENKUlT_T0_E_clISt17integral_constantIbLb0EES19_IbLb1EEEEDaS15_S16_EUlS15_E_NS1_11comp_targetILNS1_3genE0ELNS1_11target_archE4294967295ELNS1_3gpuE0ELNS1_3repE0EEENS1_30default_config_static_selectorELNS0_4arch9wavefront6targetE1EEEvT1_,"axG",@progbits,_ZN7rocprim17ROCPRIM_400000_NS6detail17trampoline_kernelINS0_14default_configENS1_25partition_config_selectorILNS1_17partition_subalgoE9EllbEEZZNS1_14partition_implILS5_9ELb0ES3_jPlS8_PNS0_10empty_typeENS0_5tupleIJS8_S9_EEENSB_IJS8_SA_EEENS0_18inequality_wrapperIZN2at6native12_GLOBAL__N_124unique_dim_cuda_templateImEESt5tupleIJNSF_6TensorESK_SK_EERKSK_lbbbEUlllE0_EEPmJS9_EEE10hipError_tPvRmT3_T4_T5_T6_T7_T9_mT8_P12ihipStream_tbDpT10_ENKUlT_T0_E_clISt17integral_constantIbLb0EES19_IbLb1EEEEDaS15_S16_EUlS15_E_NS1_11comp_targetILNS1_3genE0ELNS1_11target_archE4294967295ELNS1_3gpuE0ELNS1_3repE0EEENS1_30default_config_static_selectorELNS0_4arch9wavefront6targetE1EEEvT1_,comdat
	.globl	_ZN7rocprim17ROCPRIM_400000_NS6detail17trampoline_kernelINS0_14default_configENS1_25partition_config_selectorILNS1_17partition_subalgoE9EllbEEZZNS1_14partition_implILS5_9ELb0ES3_jPlS8_PNS0_10empty_typeENS0_5tupleIJS8_S9_EEENSB_IJS8_SA_EEENS0_18inequality_wrapperIZN2at6native12_GLOBAL__N_124unique_dim_cuda_templateImEESt5tupleIJNSF_6TensorESK_SK_EERKSK_lbbbEUlllE0_EEPmJS9_EEE10hipError_tPvRmT3_T4_T5_T6_T7_T9_mT8_P12ihipStream_tbDpT10_ENKUlT_T0_E_clISt17integral_constantIbLb0EES19_IbLb1EEEEDaS15_S16_EUlS15_E_NS1_11comp_targetILNS1_3genE0ELNS1_11target_archE4294967295ELNS1_3gpuE0ELNS1_3repE0EEENS1_30default_config_static_selectorELNS0_4arch9wavefront6targetE1EEEvT1_ ; -- Begin function _ZN7rocprim17ROCPRIM_400000_NS6detail17trampoline_kernelINS0_14default_configENS1_25partition_config_selectorILNS1_17partition_subalgoE9EllbEEZZNS1_14partition_implILS5_9ELb0ES3_jPlS8_PNS0_10empty_typeENS0_5tupleIJS8_S9_EEENSB_IJS8_SA_EEENS0_18inequality_wrapperIZN2at6native12_GLOBAL__N_124unique_dim_cuda_templateImEESt5tupleIJNSF_6TensorESK_SK_EERKSK_lbbbEUlllE0_EEPmJS9_EEE10hipError_tPvRmT3_T4_T5_T6_T7_T9_mT8_P12ihipStream_tbDpT10_ENKUlT_T0_E_clISt17integral_constantIbLb0EES19_IbLb1EEEEDaS15_S16_EUlS15_E_NS1_11comp_targetILNS1_3genE0ELNS1_11target_archE4294967295ELNS1_3gpuE0ELNS1_3repE0EEENS1_30default_config_static_selectorELNS0_4arch9wavefront6targetE1EEEvT1_
	.p2align	8
	.type	_ZN7rocprim17ROCPRIM_400000_NS6detail17trampoline_kernelINS0_14default_configENS1_25partition_config_selectorILNS1_17partition_subalgoE9EllbEEZZNS1_14partition_implILS5_9ELb0ES3_jPlS8_PNS0_10empty_typeENS0_5tupleIJS8_S9_EEENSB_IJS8_SA_EEENS0_18inequality_wrapperIZN2at6native12_GLOBAL__N_124unique_dim_cuda_templateImEESt5tupleIJNSF_6TensorESK_SK_EERKSK_lbbbEUlllE0_EEPmJS9_EEE10hipError_tPvRmT3_T4_T5_T6_T7_T9_mT8_P12ihipStream_tbDpT10_ENKUlT_T0_E_clISt17integral_constantIbLb0EES19_IbLb1EEEEDaS15_S16_EUlS15_E_NS1_11comp_targetILNS1_3genE0ELNS1_11target_archE4294967295ELNS1_3gpuE0ELNS1_3repE0EEENS1_30default_config_static_selectorELNS0_4arch9wavefront6targetE1EEEvT1_,@function
_ZN7rocprim17ROCPRIM_400000_NS6detail17trampoline_kernelINS0_14default_configENS1_25partition_config_selectorILNS1_17partition_subalgoE9EllbEEZZNS1_14partition_implILS5_9ELb0ES3_jPlS8_PNS0_10empty_typeENS0_5tupleIJS8_S9_EEENSB_IJS8_SA_EEENS0_18inequality_wrapperIZN2at6native12_GLOBAL__N_124unique_dim_cuda_templateImEESt5tupleIJNSF_6TensorESK_SK_EERKSK_lbbbEUlllE0_EEPmJS9_EEE10hipError_tPvRmT3_T4_T5_T6_T7_T9_mT8_P12ihipStream_tbDpT10_ENKUlT_T0_E_clISt17integral_constantIbLb0EES19_IbLb1EEEEDaS15_S16_EUlS15_E_NS1_11comp_targetILNS1_3genE0ELNS1_11target_archE4294967295ELNS1_3gpuE0ELNS1_3repE0EEENS1_30default_config_static_selectorELNS0_4arch9wavefront6targetE1EEEvT1_: ; @_ZN7rocprim17ROCPRIM_400000_NS6detail17trampoline_kernelINS0_14default_configENS1_25partition_config_selectorILNS1_17partition_subalgoE9EllbEEZZNS1_14partition_implILS5_9ELb0ES3_jPlS8_PNS0_10empty_typeENS0_5tupleIJS8_S9_EEENSB_IJS8_SA_EEENS0_18inequality_wrapperIZN2at6native12_GLOBAL__N_124unique_dim_cuda_templateImEESt5tupleIJNSF_6TensorESK_SK_EERKSK_lbbbEUlllE0_EEPmJS9_EEE10hipError_tPvRmT3_T4_T5_T6_T7_T9_mT8_P12ihipStream_tbDpT10_ENKUlT_T0_E_clISt17integral_constantIbLb0EES19_IbLb1EEEEDaS15_S16_EUlS15_E_NS1_11comp_targetILNS1_3genE0ELNS1_11target_archE4294967295ELNS1_3gpuE0ELNS1_3repE0EEENS1_30default_config_static_selectorELNS0_4arch9wavefront6targetE1EEEvT1_
; %bb.0:
	s_load_dwordx4 s[4:7], s[0:1], 0x8
	s_load_dwordx2 s[10:11], s[0:1], 0x18
	s_load_dwordx8 s[20:27], s[0:1], 0x40
	s_load_dwordx4 s[36:39], s[0:1], 0x60
	v_cmp_ne_u32_e64 s[2:3], 0, v0
	v_cmp_eq_u32_e64 s[18:19], 0, v0
	s_and_saveexec_b64 s[8:9], s[18:19]
	s_cbranch_execz .LBB1719_4
; %bb.1:
	s_mov_b64 s[14:15], exec
	v_mbcnt_lo_u32_b32 v1, s14, 0
	v_mbcnt_hi_u32_b32 v1, s15, v1
	v_cmp_eq_u32_e32 vcc, 0, v1
                                        ; implicit-def: $vgpr2
	s_and_saveexec_b64 s[12:13], vcc
	s_cbranch_execz .LBB1719_3
; %bb.2:
	s_load_dwordx2 s[16:17], s[0:1], 0x78
	s_bcnt1_i32_b64 s14, s[14:15]
	v_mov_b32_e32 v2, 0
	v_mov_b32_e32 v3, s14
	s_waitcnt lgkmcnt(0)
	global_atomic_add v2, v2, v3, s[16:17] sc0
.LBB1719_3:
	s_or_b64 exec, exec, s[12:13]
	s_waitcnt vmcnt(0)
	v_readfirstlane_b32 s12, v2
	v_mov_b32_e32 v2, 0
	s_nop 0
	v_add_u32_e32 v1, s12, v1
	ds_write_b32 v2, v1
.LBB1719_4:
	s_or_b64 exec, exec, s[8:9]
	v_mov_b32_e32 v3, 0
	s_load_dwordx4 s[28:31], s[0:1], 0x28
	s_load_dword s8, s[0:1], 0x70
	s_waitcnt lgkmcnt(0)
	s_barrier
	ds_read_b32 v1, v3
	s_waitcnt lgkmcnt(0)
	s_barrier
	global_load_dwordx2 v[4:5], v3, s[22:23]
	s_lshl_b64 s[12:13], s[6:7], 3
	s_mul_i32 s14, s8, 0x280
	s_add_u32 s16, s4, s12
	s_addc_u32 s17, s5, s13
	s_add_i32 s4, s14, s6
	s_sub_i32 s48, s24, s4
	s_add_i32 s15, s8, -1
	s_addk_i32 s48, 0x280
	s_add_u32 s4, s6, s14
	v_readfirstlane_b32 s33, v1
	s_addc_u32 s5, s7, 0
	v_mov_b64_e32 v[6:7], s[4:5]
	s_cmp_eq_u32 s33, s15
	s_mov_b32 s9, 0
	s_mul_i32 s8, s33, 0x280
	v_cmp_le_u64_e32 vcc, s[24:25], v[6:7]
	s_cselect_b64 s[24:25], -1, 0
	s_lshl_b64 s[14:15], s[8:9], 3
	s_and_b64 s[8:9], vcc, s[24:25]
	s_xor_b64 s[34:35], s[8:9], -1
	s_add_u32 s4, s16, s14
	s_mov_b64 s[0:1], -1
	v_lshlrev_b32_e32 v32, 3, v0
	s_addc_u32 s5, s17, s15
	s_and_b64 vcc, exec, s[34:35]
	s_waitcnt vmcnt(0)
	v_readfirstlane_b32 s22, v4
	v_readfirstlane_b32 s23, v5
	s_cbranch_vccz .LBB1719_6
; %bb.5:
	v_lshlrev_b32_e32 v2, 3, v0
	v_lshl_add_u64 v[4:5], s[4:5], 0, v[2:3]
	v_add_co_u32_e32 v4, vcc, 0x1000, v4
	global_load_dwordx2 v[6:7], v2, s[4:5] offset:3072
	s_nop 0
	v_addc_co_u32_e32 v5, vcc, 0, v5, vcc
	global_load_dwordx2 v[8:9], v2, s[4:5]
	global_load_dwordx2 v[10:11], v2, s[4:5] offset:1024
	global_load_dwordx2 v[12:13], v2, s[4:5] offset:2048
	global_load_dwordx2 v[14:15], v[4:5], off
	s_mov_b64 s[0:1], 0
	s_waitcnt vmcnt(2)
	ds_write2st64_b64 v2, v[8:9], v[10:11] offset1:2
	s_waitcnt vmcnt(1)
	ds_write2st64_b64 v2, v[12:13], v[6:7] offset0:4 offset1:6
	s_waitcnt vmcnt(0)
	ds_write_b64 v2, v[14:15] offset:4096
	s_waitcnt lgkmcnt(0)
	s_barrier
.LBB1719_6:
	s_andn2_b64 vcc, exec, s[0:1]
	v_cmp_gt_u32_e64 s[0:1], s48, v0
	s_cbranch_vccnz .LBB1719_18
; %bb.7:
	v_mov_b32_e32 v2, 0
	v_mov_b32_e32 v3, v2
	;; [unrolled: 1-line block ×10, first 2 shown]
	s_and_saveexec_b64 s[16:17], s[0:1]
	s_cbranch_execz .LBB1719_9
; %bb.8:
	v_lshlrev_b32_e32 v1, 3, v0
	global_load_dwordx2 v[4:5], v1, s[4:5]
	v_mov_b32_e32 v6, v2
	v_mov_b32_e32 v7, v2
	;; [unrolled: 1-line block ×8, first 2 shown]
	s_waitcnt vmcnt(0)
	v_mov_b64_e32 v[2:3], v[4:5]
	v_mov_b64_e32 v[4:5], v[6:7]
	v_mov_b64_e32 v[6:7], v[8:9]
	v_mov_b64_e32 v[8:9], v[10:11]
	v_mov_b64_e32 v[10:11], v[12:13]
	v_mov_b64_e32 v[12:13], v[14:15]
	v_mov_b64_e32 v[14:15], v[16:17]
	v_mov_b64_e32 v[16:17], v[18:19]
.LBB1719_9:
	s_or_b64 exec, exec, s[16:17]
	v_or_b32_e32 v1, 0x80, v0
	v_cmp_gt_u32_e32 vcc, s48, v1
	s_and_saveexec_b64 s[0:1], vcc
	s_cbranch_execz .LBB1719_11
; %bb.10:
	v_lshlrev_b32_e32 v1, 3, v0
	global_load_dwordx2 v[4:5], v1, s[4:5] offset:1024
.LBB1719_11:
	s_or_b64 exec, exec, s[0:1]
	v_or_b32_e32 v1, 0x100, v0
	v_cmp_gt_u32_e32 vcc, s48, v1
	s_and_saveexec_b64 s[0:1], vcc
	s_cbranch_execz .LBB1719_13
; %bb.12:
	v_lshlrev_b32_e32 v1, 3, v0
	global_load_dwordx2 v[6:7], v1, s[4:5] offset:2048
.LBB1719_13:
	;; [unrolled: 9-line block ×3, first 2 shown]
	s_or_b64 exec, exec, s[0:1]
	v_or_b32_e32 v1, 0x200, v0
	v_cmp_gt_u32_e32 vcc, s48, v1
	s_and_saveexec_b64 s[0:1], vcc
	s_cbranch_execz .LBB1719_17
; %bb.16:
	v_lshlrev_b32_e32 v1, 3, v1
	global_load_dwordx2 v[10:11], v1, s[4:5]
.LBB1719_17:
	s_or_b64 exec, exec, s[0:1]
	v_lshlrev_b32_e32 v1, 3, v0
	s_waitcnt vmcnt(0)
	ds_write2st64_b64 v1, v[2:3], v[4:5] offset1:2
	ds_write2st64_b64 v1, v[6:7], v[8:9] offset0:4 offset1:6
	ds_write_b64 v1, v[10:11] offset:4096
	s_waitcnt lgkmcnt(0)
	s_barrier
.LBB1719_18:
	v_mul_u32_u24_e32 v1, 5, v0
	v_lshlrev_b32_e32 v22, 3, v1
	ds_read2_b64 v[6:9], v22 offset1:1
	ds_read2_b64 v[2:5], v22 offset0:2 offset1:3
	ds_read_b64 v[12:13], v22 offset:32
	s_add_u32 s0, s10, s12
	s_addc_u32 s1, s11, s13
	s_add_u32 s0, s0, s14
	s_addc_u32 s1, s1, s15
	s_mov_b64 s[10:11], -1
	s_and_b64 vcc, exec, s[34:35]
	s_waitcnt lgkmcnt(0)
	s_barrier
	s_cbranch_vccz .LBB1719_20
; %bb.19:
	v_lshlrev_b32_e32 v10, 3, v0
	v_mov_b32_e32 v11, 0
	v_lshl_add_u64 v[14:15], s[0:1], 0, v[10:11]
	v_add_co_u32_e32 v14, vcc, 0x1000, v14
	global_load_dwordx2 v[16:17], v10, s[0:1] offset:3072
	s_nop 0
	v_addc_co_u32_e32 v15, vcc, 0, v15, vcc
	global_load_dwordx2 v[18:19], v10, s[0:1]
	global_load_dwordx2 v[20:21], v10, s[0:1] offset:1024
	global_load_dwordx2 v[24:25], v10, s[0:1] offset:2048
	global_load_dwordx2 v[26:27], v[14:15], off
	s_mov_b64 s[10:11], 0
	s_waitcnt vmcnt(2)
	ds_write2st64_b64 v10, v[18:19], v[20:21] offset1:2
	s_waitcnt vmcnt(1)
	ds_write2st64_b64 v10, v[24:25], v[16:17] offset0:4 offset1:6
	s_waitcnt vmcnt(0)
	ds_write_b64 v10, v[26:27] offset:4096
	s_waitcnt lgkmcnt(0)
	s_barrier
.LBB1719_20:
	s_andn2_b64 vcc, exec, s[10:11]
	s_cbranch_vccnz .LBB1719_32
; %bb.21:
	v_cmp_gt_u32_e32 vcc, s48, v0
                                        ; implicit-def: $vgpr10_vgpr11
	s_and_saveexec_b64 s[10:11], vcc
	s_cbranch_execz .LBB1719_23
; %bb.22:
	v_lshlrev_b32_e32 v10, 3, v0
	global_load_dwordx2 v[10:11], v10, s[0:1]
.LBB1719_23:
	s_or_b64 exec, exec, s[10:11]
	v_or_b32_e32 v14, 0x80, v0
	v_cmp_gt_u32_e32 vcc, s48, v14
                                        ; implicit-def: $vgpr14_vgpr15
	s_and_saveexec_b64 s[10:11], vcc
	s_cbranch_execz .LBB1719_25
; %bb.24:
	v_lshlrev_b32_e32 v14, 3, v0
	global_load_dwordx2 v[14:15], v14, s[0:1] offset:1024
.LBB1719_25:
	s_or_b64 exec, exec, s[10:11]
	v_or_b32_e32 v16, 0x100, v0
	v_cmp_gt_u32_e32 vcc, s48, v16
                                        ; implicit-def: $vgpr16_vgpr17
	s_and_saveexec_b64 s[10:11], vcc
	s_cbranch_execz .LBB1719_27
; %bb.26:
	v_lshlrev_b32_e32 v16, 3, v0
	global_load_dwordx2 v[16:17], v16, s[0:1] offset:2048
.LBB1719_27:
	s_or_b64 exec, exec, s[10:11]
	v_or_b32_e32 v18, 0x180, v0
	v_cmp_gt_u32_e32 vcc, s48, v18
                                        ; implicit-def: $vgpr18_vgpr19
	s_and_saveexec_b64 s[10:11], vcc
	s_cbranch_execz .LBB1719_29
; %bb.28:
	v_lshlrev_b32_e32 v18, 3, v0
	global_load_dwordx2 v[18:19], v18, s[0:1] offset:3072
.LBB1719_29:
	s_or_b64 exec, exec, s[10:11]
	v_or_b32_e32 v20, 0x200, v0
	v_cmp_gt_u32_e32 vcc, s48, v20
                                        ; implicit-def: $vgpr24_vgpr25
	s_and_saveexec_b64 s[10:11], vcc
	s_cbranch_execz .LBB1719_31
; %bb.30:
	v_lshlrev_b32_e32 v20, 3, v20
	global_load_dwordx2 v[24:25], v20, s[0:1]
.LBB1719_31:
	s_or_b64 exec, exec, s[10:11]
	v_lshlrev_b32_e32 v20, 5, v0
	v_sub_u32_e32 v20, v22, v20
	s_waitcnt vmcnt(0)
	ds_write2st64_b64 v20, v[10:11], v[14:15] offset1:2
	ds_write2st64_b64 v20, v[16:17], v[18:19] offset0:4 offset1:6
	ds_write_b64 v20, v[24:25] offset:4096
	s_waitcnt lgkmcnt(0)
	s_barrier
.LBB1719_32:
	ds_read_b64 v[10:11], v22 offset:32
	ds_read2_b64 v[52:55], v22 offset0:2 offset1:3
	ds_read2_b64 v[56:59], v22 offset1:1
	s_cmp_lg_u32 s33, 0
	s_cselect_b64 s[16:17], -1, 0
	s_cmp_lg_u64 s[6:7], 0
	s_cselect_b64 s[0:1], -1, 0
	s_or_b64 s[0:1], s[0:1], s[16:17]
	s_mov_b64 s[10:11], 0
	s_and_b64 vcc, exec, s[0:1]
	v_cmp_gt_i64_e64 s[6:7], s[26:27], 0
	s_waitcnt lgkmcnt(0)
	s_barrier
	s_cbranch_vccz .LBB1719_51
; %bb.33:
	v_mov_b32_e32 v18, 0
	global_load_dwordx2 v[14:15], v18, s[4:5] offset:-8
	v_cndmask_b32_e64 v16, 0, 1, s[6:7]
	v_lshlrev_b32_e32 v23, 3, v0
	s_mov_b64 s[0:1], 0
	s_and_b64 vcc, exec, s[34:35]
	v_cmp_ne_u32_e64 s[4:5], 1, v16
	ds_write_b64 v23, v[12:13]
	s_cbranch_vccz .LBB1719_53
; %bb.34:
	s_and_b64 vcc, exec, s[4:5]
	v_mov_b32_e32 v33, 0
	s_cbranch_vccnz .LBB1719_44
; %bb.35:
	v_mul_lo_u32 v18, v5, s26
	v_mul_lo_u32 v19, v4, s27
	v_mad_u64_u32 v[16:17], s[0:1], v4, s26, 0
	v_add3_u32 v17, v17, v19, v18
	v_mul_lo_u32 v20, v13, s26
	v_mul_lo_u32 v21, v12, s27
	v_mad_u64_u32 v[18:19], s[0:1], v12, s26, 0
	s_add_u32 s10, s26, -1
	v_lshl_add_u64 v[16:17], v[16:17], 3, s[36:37]
	v_add3_u32 v19, v19, v21, v20
	s_addc_u32 s11, s27, -1
	v_lshl_add_u64 v[18:19], v[18:19], 3, s[36:37]
	s_mov_b64 s[12:13], 0
	s_mov_b64 s[14:15], s[10:11]
	v_mov_b64_e32 v[20:21], v[16:17]
                                        ; implicit-def: $sgpr6_sgpr7
.LBB1719_36:                            ; =>This Inner Loop Header: Depth=1
	global_load_dwordx2 v[24:25], v[20:21], off
	global_load_dwordx2 v[26:27], v[18:19], off
	s_add_u32 s0, s14, -1
	s_addc_u32 s1, s15, -1
	s_cmp_eq_u64 s[14:15], 0
	s_mov_b64 s[14:15], s[0:1]
	s_cselect_b64 s[40:41], -1, 0
	v_lshl_add_u64 v[20:21], v[20:21], 0, 8
	v_lshl_add_u64 v[18:19], v[18:19], 0, 8
	s_waitcnt vmcnt(0)
	v_cmp_ne_u64_e64 s[0:1], v[24:25], v[26:27]
	s_or_b64 s[0:1], s[0:1], s[40:41]
	s_and_b64 s[0:1], exec, s[0:1]
	v_cmp_eq_u64_e32 vcc, v[24:25], v[26:27]
	s_or_b64 s[12:13], s[0:1], s[12:13]
	s_andn2_b64 s[0:1], s[6:7], exec
	s_and_b64 s[6:7], vcc, exec
	s_or_b64 s[6:7], s[0:1], s[6:7]
	s_andn2_b64 exec, exec, s[12:13]
	s_cbranch_execnz .LBB1719_36
; %bb.37:
	s_or_b64 exec, exec, s[12:13]
	v_mul_lo_u32 v20, v3, s26
	v_mul_lo_u32 v21, v2, s27
	v_mad_u64_u32 v[18:19], s[0:1], v2, s26, 0
	v_add3_u32 v19, v19, v21, v20
	v_lshl_add_u64 v[18:19], v[18:19], 3, s[36:37]
	s_mov_b64 s[14:15], 0
	s_mov_b64 s[40:41], s[10:11]
	v_mov_b64_e32 v[20:21], v[18:19]
                                        ; implicit-def: $sgpr12_sgpr13
.LBB1719_38:                            ; =>This Inner Loop Header: Depth=1
	global_load_dwordx2 v[24:25], v[20:21], off
	global_load_dwordx2 v[26:27], v[16:17], off
	s_add_u32 s0, s40, -1
	s_addc_u32 s1, s41, -1
	s_cmp_eq_u64 s[40:41], 0
	s_mov_b64 s[40:41], s[0:1]
	s_cselect_b64 s[42:43], -1, 0
	v_lshl_add_u64 v[20:21], v[20:21], 0, 8
	v_lshl_add_u64 v[16:17], v[16:17], 0, 8
	s_waitcnt vmcnt(0)
	v_cmp_ne_u64_e64 s[0:1], v[24:25], v[26:27]
	s_or_b64 s[0:1], s[0:1], s[42:43]
	s_and_b64 s[0:1], exec, s[0:1]
	v_cmp_eq_u64_e32 vcc, v[24:25], v[26:27]
	s_or_b64 s[14:15], s[0:1], s[14:15]
	s_andn2_b64 s[0:1], s[12:13], exec
	s_and_b64 s[12:13], vcc, exec
	s_or_b64 s[12:13], s[0:1], s[12:13]
	s_andn2_b64 exec, exec, s[14:15]
	s_cbranch_execnz .LBB1719_38
; %bb.39:
	s_or_b64 exec, exec, s[14:15]
	v_mul_lo_u32 v20, v9, s26
	v_mul_lo_u32 v21, v8, s27
	v_mad_u64_u32 v[16:17], s[0:1], v8, s26, 0
	v_add3_u32 v17, v17, v21, v20
	v_lshl_add_u64 v[16:17], v[16:17], 3, s[36:37]
	s_mov_b64 s[40:41], 0
	s_mov_b64 s[42:43], s[10:11]
	v_mov_b64_e32 v[20:21], v[16:17]
                                        ; implicit-def: $sgpr14_sgpr15
.LBB1719_40:                            ; =>This Inner Loop Header: Depth=1
	global_load_dwordx2 v[24:25], v[20:21], off
	global_load_dwordx2 v[26:27], v[18:19], off
	s_add_u32 s0, s42, -1
	s_addc_u32 s1, s43, -1
	s_cmp_eq_u64 s[42:43], 0
	s_mov_b64 s[42:43], s[0:1]
	s_cselect_b64 s[44:45], -1, 0
	v_lshl_add_u64 v[20:21], v[20:21], 0, 8
	v_lshl_add_u64 v[18:19], v[18:19], 0, 8
	s_waitcnt vmcnt(0)
	v_cmp_ne_u64_e64 s[0:1], v[24:25], v[26:27]
	s_or_b64 s[0:1], s[0:1], s[44:45]
	s_and_b64 s[0:1], exec, s[0:1]
	v_cmp_eq_u64_e32 vcc, v[24:25], v[26:27]
	s_or_b64 s[40:41], s[0:1], s[40:41]
	s_andn2_b64 s[0:1], s[14:15], exec
	s_and_b64 s[14:15], vcc, exec
	s_or_b64 s[14:15], s[0:1], s[14:15]
	s_andn2_b64 exec, exec, s[40:41]
	s_cbranch_execnz .LBB1719_40
; %bb.41:
	s_or_b64 exec, exec, s[40:41]
	v_mul_lo_u32 v20, v7, s26
	v_mul_lo_u32 v21, v6, s27
	v_mad_u64_u32 v[18:19], s[0:1], v6, s26, 0
	v_add3_u32 v19, v19, v21, v20
	v_lshl_add_u64 v[18:19], v[18:19], 3, s[36:37]
	s_mov_b64 s[42:43], 0
                                        ; implicit-def: $sgpr40_sgpr41
.LBB1719_42:                            ; =>This Inner Loop Header: Depth=1
	global_load_dwordx2 v[20:21], v[18:19], off
	global_load_dwordx2 v[24:25], v[16:17], off
	s_add_u32 s0, s10, -1
	s_addc_u32 s1, s11, -1
	s_cmp_eq_u64 s[10:11], 0
	s_mov_b64 s[10:11], s[0:1]
	s_cselect_b64 s[44:45], -1, 0
	v_lshl_add_u64 v[18:19], v[18:19], 0, 8
	v_lshl_add_u64 v[16:17], v[16:17], 0, 8
	s_waitcnt vmcnt(0)
	v_cmp_ne_u64_e64 s[0:1], v[20:21], v[24:25]
	s_or_b64 s[0:1], s[0:1], s[44:45]
	s_and_b64 s[0:1], exec, s[0:1]
	v_cmp_eq_u64_e32 vcc, v[20:21], v[24:25]
	s_or_b64 s[42:43], s[0:1], s[42:43]
	s_andn2_b64 s[0:1], s[40:41], exec
	s_and_b64 s[40:41], vcc, exec
	s_or_b64 s[40:41], s[0:1], s[40:41]
	s_andn2_b64 exec, exec, s[42:43]
	s_cbranch_execnz .LBB1719_42
; %bb.43:
	s_or_b64 exec, exec, s[42:43]
	s_xor_b64 s[0:1], s[6:7], -1
	v_cndmask_b32_e64 v33, 0, 1, s[0:1]
	s_xor_b64 s[0:1], s[12:13], -1
	v_cndmask_b32_e64 v16, 0, 1, s[0:1]
	v_lshlrev_b16_e32 v16, 8, v16
	v_mov_b32_e32 v17, 8
	s_xor_b64 s[6:7], s[14:15], -1
	v_lshrrev_b32_sdwa v16, v17, v16 dst_sel:BYTE_1 dst_unused:UNUSED_PAD src0_sel:DWORD src1_sel:DWORD
	v_cndmask_b32_e64 v17, 0, 1, s[6:7]
	s_xor_b64 s[0:1], s[40:41], -1
	v_or_b32_sdwa v18, v17, v16 dst_sel:WORD_1 dst_unused:UNUSED_PAD src0_sel:DWORD src1_sel:DWORD
.LBB1719_44:
	s_waitcnt vmcnt(0)
	v_mov_b64_e32 v[16:17], v[14:15]
	s_waitcnt lgkmcnt(0)
	s_barrier
	s_and_saveexec_b64 s[6:7], s[2:3]
; %bb.45:
	v_add_u32_e32 v16, -8, v23
	ds_read_b64 v[16:17], v16
; %bb.46:
	s_or_b64 exec, exec, s[6:7]
	v_cndmask_b32_e64 v19, 0, 1, s[0:1]
	v_lshrrev_b32_e32 v20, 16, v18
	s_mov_b32 s0, 0xc0c0304
	v_perm_b32 v20, v20, v18, s0
	v_lshlrev_b16_e32 v19, 8, v19
	s_movk_i32 s0, 0xff
	v_bitop3_b16 v18, v18, v19, s0 bitop3:0xec
	v_and_b32_e32 v21, 0xffff, v18
	s_mov_b64 s[6:7], 0
	s_and_b64 vcc, exec, s[4:5]
	s_mov_b64 s[0:1], 0
	s_cbranch_vccnz .LBB1719_50
; %bb.47:
	s_waitcnt lgkmcnt(0)
	v_mul_lo_u32 v18, v17, s26
	v_mul_lo_u32 v19, v16, s27
	v_mad_u64_u32 v[16:17], s[0:1], v16, s26, 0
	v_add3_u32 v17, v17, v19, v18
	v_mul_lo_u32 v24, v7, s26
	v_mul_lo_u32 v25, v6, s27
	v_mad_u64_u32 v[18:19], s[0:1], v6, s26, 0
	v_add3_u32 v19, v19, v25, v24
	s_add_u32 s14, s26, -1
	v_lshl_add_u64 v[16:17], v[16:17], 3, s[36:37]
	v_lshl_add_u64 v[18:19], v[18:19], 3, s[36:37]
	s_addc_u32 s15, s27, -1
	s_mov_b64 s[10:11], 0
                                        ; implicit-def: $sgpr12_sgpr13
.LBB1719_48:                            ; =>This Inner Loop Header: Depth=1
	global_load_dwordx2 v[24:25], v[16:17], off
	global_load_dwordx2 v[26:27], v[18:19], off
	s_add_u32 s0, s14, -1
	s_addc_u32 s1, s15, -1
	s_cmp_eq_u64 s[14:15], 0
	s_mov_b64 s[14:15], s[0:1]
	s_cselect_b64 s[40:41], -1, 0
	v_lshl_add_u64 v[16:17], v[16:17], 0, 8
	v_lshl_add_u64 v[18:19], v[18:19], 0, 8
	s_waitcnt vmcnt(0)
	v_cmp_ne_u64_e64 s[0:1], v[24:25], v[26:27]
	s_or_b64 s[0:1], s[0:1], s[40:41]
	s_and_b64 s[0:1], exec, s[0:1]
	v_cmp_eq_u64_e32 vcc, v[24:25], v[26:27]
	s_or_b64 s[10:11], s[0:1], s[10:11]
	s_andn2_b64 s[0:1], s[12:13], exec
	s_and_b64 s[12:13], vcc, exec
	s_or_b64 s[12:13], s[0:1], s[12:13]
	s_andn2_b64 exec, exec, s[10:11]
	s_cbranch_execnz .LBB1719_48
; %bb.49:
	s_or_b64 exec, exec, s[10:11]
	s_xor_b64 s[0:1], s[12:13], -1
.LBB1719_50:
	s_waitcnt lgkmcnt(0)
	v_lshl_or_b32 v17, v20, 16, v21
	s_and_b64 vcc, exec, s[6:7]
	s_cbranch_vccnz .LBB1719_54
	s_branch .LBB1719_87
.LBB1719_51:
                                        ; implicit-def: $sgpr0_sgpr1
                                        ; implicit-def: $vgpr33
                                        ; implicit-def: $vgpr17
	s_branch .LBB1719_88
.LBB1719_52:
                                        ; implicit-def: $vgpr16
                                        ; implicit-def: $vgpr35
                                        ; implicit-def: $vgpr34
                                        ; implicit-def: $vgpr14
	s_branch .LBB1719_141
.LBB1719_53:
                                        ; implicit-def: $sgpr0_sgpr1
                                        ; implicit-def: $vgpr33
                                        ; implicit-def: $vgpr17
	s_cbranch_execz .LBB1719_87
.LBB1719_54:
	v_add_u32_e32 v16, 4, v1
	v_cmp_gt_u32_e32 vcc, s48, v16
	s_mov_b64 s[10:11], 0
	s_mov_b64 s[6:7], 0
	s_and_saveexec_b64 s[12:13], vcc
	s_cbranch_execz .LBB1719_60
; %bb.55:
	s_and_b64 vcc, exec, s[4:5]
	s_mov_b64 s[0:1], 0
	s_cbranch_vccnz .LBB1719_59
; %bb.56:
	v_mul_lo_u32 v18, v5, s26
	v_mul_lo_u32 v19, v4, s27
	v_mad_u64_u32 v[16:17], s[0:1], v4, s26, 0
	v_add3_u32 v17, v17, v19, v18
	v_mul_lo_u32 v20, v13, s26
	v_mul_lo_u32 v21, v12, s27
	v_mad_u64_u32 v[18:19], s[0:1], v12, s26, 0
	v_add3_u32 v19, v19, v21, v20
	s_add_u32 s40, s26, -1
	v_lshl_add_u64 v[16:17], v[16:17], 3, s[36:37]
	v_lshl_add_u64 v[18:19], v[18:19], 3, s[36:37]
	s_addc_u32 s41, s27, -1
                                        ; implicit-def: $sgpr14_sgpr15
.LBB1719_57:                            ; =>This Inner Loop Header: Depth=1
	global_load_dwordx2 v[20:21], v[16:17], off
	global_load_dwordx2 v[24:25], v[18:19], off
	s_add_u32 s0, s40, -1
	s_addc_u32 s1, s41, -1
	s_cmp_eq_u64 s[40:41], 0
	s_mov_b64 s[40:41], s[0:1]
	s_cselect_b64 s[42:43], -1, 0
	v_lshl_add_u64 v[16:17], v[16:17], 0, 8
	v_lshl_add_u64 v[18:19], v[18:19], 0, 8
	s_waitcnt vmcnt(0)
	v_cmp_ne_u64_e64 s[0:1], v[20:21], v[24:25]
	s_or_b64 s[0:1], s[0:1], s[42:43]
	s_and_b64 s[0:1], exec, s[0:1]
	v_cmp_eq_u64_e32 vcc, v[20:21], v[24:25]
	s_or_b64 s[6:7], s[0:1], s[6:7]
	s_andn2_b64 s[0:1], s[14:15], exec
	s_and_b64 s[14:15], vcc, exec
	s_or_b64 s[14:15], s[0:1], s[14:15]
	s_andn2_b64 exec, exec, s[6:7]
	s_cbranch_execnz .LBB1719_57
; %bb.58:
	s_or_b64 exec, exec, s[6:7]
	s_xor_b64 s[0:1], s[14:15], -1
.LBB1719_59:
	s_and_b64 s[6:7], s[0:1], exec
.LBB1719_60:
	s_or_b64 exec, exec, s[12:13]
	v_add_u32_e32 v16, 3, v1
	v_cmp_gt_u32_e32 vcc, s48, v16
	s_and_saveexec_b64 s[12:13], vcc
	s_cbranch_execz .LBB1719_66
; %bb.61:
	s_and_b64 vcc, exec, s[4:5]
	s_mov_b64 s[0:1], 0
	s_cbranch_vccnz .LBB1719_65
; %bb.62:
	v_mul_lo_u32 v18, v3, s26
	v_mul_lo_u32 v19, v2, s27
	v_mad_u64_u32 v[16:17], s[0:1], v2, s26, 0
	v_add3_u32 v17, v17, v19, v18
	v_mul_lo_u32 v20, v5, s26
	v_mul_lo_u32 v21, v4, s27
	v_mad_u64_u32 v[18:19], s[0:1], v4, s26, 0
	v_add3_u32 v19, v19, v21, v20
	s_add_u32 s40, s26, -1
	v_lshl_add_u64 v[16:17], v[16:17], 3, s[36:37]
	v_lshl_add_u64 v[18:19], v[18:19], 3, s[36:37]
	s_addc_u32 s41, s27, -1
	s_mov_b64 s[10:11], 0
                                        ; implicit-def: $sgpr14_sgpr15
.LBB1719_63:                            ; =>This Inner Loop Header: Depth=1
	global_load_dwordx2 v[20:21], v[16:17], off
	global_load_dwordx2 v[24:25], v[18:19], off
	s_add_u32 s0, s40, -1
	s_addc_u32 s1, s41, -1
	s_cmp_eq_u64 s[40:41], 0
	s_mov_b64 s[40:41], s[0:1]
	s_cselect_b64 s[42:43], -1, 0
	v_lshl_add_u64 v[16:17], v[16:17], 0, 8
	v_lshl_add_u64 v[18:19], v[18:19], 0, 8
	s_waitcnt vmcnt(0)
	v_cmp_ne_u64_e64 s[0:1], v[20:21], v[24:25]
	s_or_b64 s[0:1], s[0:1], s[42:43]
	s_and_b64 s[0:1], exec, s[0:1]
	v_cmp_eq_u64_e32 vcc, v[20:21], v[24:25]
	s_or_b64 s[10:11], s[0:1], s[10:11]
	s_andn2_b64 s[0:1], s[14:15], exec
	s_and_b64 s[14:15], vcc, exec
	s_or_b64 s[14:15], s[0:1], s[14:15]
	s_andn2_b64 exec, exec, s[10:11]
	s_cbranch_execnz .LBB1719_63
; %bb.64:
	s_or_b64 exec, exec, s[10:11]
	s_xor_b64 s[0:1], s[14:15], -1
.LBB1719_65:
	s_and_b64 s[10:11], s[0:1], exec
.LBB1719_66:
	s_or_b64 exec, exec, s[12:13]
	v_add_u32_e32 v16, 2, v1
	v_cmp_gt_u32_e32 vcc, s48, v16
	s_mov_b64 s[12:13], 0
	s_mov_b64 s[14:15], 0
	s_and_saveexec_b64 s[40:41], vcc
	s_cbranch_execz .LBB1719_72
; %bb.67:
	s_and_b64 vcc, exec, s[4:5]
	s_mov_b64 s[0:1], 0
	s_cbranch_vccnz .LBB1719_71
; %bb.68:
	v_mul_lo_u32 v18, v9, s26
	v_mul_lo_u32 v19, v8, s27
	v_mad_u64_u32 v[16:17], s[0:1], v8, s26, 0
	v_add3_u32 v17, v17, v19, v18
	v_mul_lo_u32 v20, v3, s26
	v_mul_lo_u32 v21, v2, s27
	v_mad_u64_u32 v[18:19], s[0:1], v2, s26, 0
	v_add3_u32 v19, v19, v21, v20
	s_add_u32 s44, s26, -1
	v_lshl_add_u64 v[16:17], v[16:17], 3, s[36:37]
	v_lshl_add_u64 v[18:19], v[18:19], 3, s[36:37]
	s_addc_u32 s45, s27, -1
                                        ; implicit-def: $sgpr42_sgpr43
.LBB1719_69:                            ; =>This Inner Loop Header: Depth=1
	global_load_dwordx2 v[20:21], v[16:17], off
	global_load_dwordx2 v[24:25], v[18:19], off
	s_add_u32 s0, s44, -1
	s_addc_u32 s1, s45, -1
	s_cmp_eq_u64 s[44:45], 0
	s_mov_b64 s[44:45], s[0:1]
	s_cselect_b64 s[46:47], -1, 0
	v_lshl_add_u64 v[16:17], v[16:17], 0, 8
	v_lshl_add_u64 v[18:19], v[18:19], 0, 8
	s_waitcnt vmcnt(0)
	v_cmp_ne_u64_e64 s[0:1], v[20:21], v[24:25]
	s_or_b64 s[0:1], s[0:1], s[46:47]
	s_and_b64 s[0:1], exec, s[0:1]
	v_cmp_eq_u64_e32 vcc, v[20:21], v[24:25]
	s_or_b64 s[14:15], s[0:1], s[14:15]
	s_andn2_b64 s[0:1], s[42:43], exec
	s_and_b64 s[42:43], vcc, exec
	s_or_b64 s[42:43], s[0:1], s[42:43]
	s_andn2_b64 exec, exec, s[14:15]
	s_cbranch_execnz .LBB1719_69
; %bb.70:
	s_or_b64 exec, exec, s[14:15]
	s_xor_b64 s[0:1], s[42:43], -1
.LBB1719_71:
	s_and_b64 s[14:15], s[0:1], exec
.LBB1719_72:
	s_or_b64 exec, exec, s[40:41]
	v_add_u32_e32 v16, 1, v1
	v_cmp_gt_u32_e32 vcc, s48, v16
	s_and_saveexec_b64 s[40:41], vcc
	s_cbranch_execz .LBB1719_78
; %bb.73:
	s_and_b64 vcc, exec, s[4:5]
	s_mov_b64 s[0:1], 0
	s_cbranch_vccnz .LBB1719_77
; %bb.74:
	v_mul_lo_u32 v18, v7, s26
	v_mul_lo_u32 v19, v6, s27
	v_mad_u64_u32 v[16:17], s[0:1], v6, s26, 0
	v_add3_u32 v17, v17, v19, v18
	v_mul_lo_u32 v20, v9, s26
	v_mul_lo_u32 v21, v8, s27
	v_mad_u64_u32 v[18:19], s[0:1], v8, s26, 0
	v_add3_u32 v19, v19, v21, v20
	s_add_u32 s44, s26, -1
	v_lshl_add_u64 v[16:17], v[16:17], 3, s[36:37]
	v_lshl_add_u64 v[18:19], v[18:19], 3, s[36:37]
	s_addc_u32 s45, s27, -1
	s_mov_b64 s[12:13], 0
                                        ; implicit-def: $sgpr42_sgpr43
.LBB1719_75:                            ; =>This Inner Loop Header: Depth=1
	global_load_dwordx2 v[20:21], v[16:17], off
	global_load_dwordx2 v[24:25], v[18:19], off
	s_add_u32 s0, s44, -1
	s_addc_u32 s1, s45, -1
	s_cmp_eq_u64 s[44:45], 0
	s_mov_b64 s[44:45], s[0:1]
	s_cselect_b64 s[46:47], -1, 0
	v_lshl_add_u64 v[16:17], v[16:17], 0, 8
	v_lshl_add_u64 v[18:19], v[18:19], 0, 8
	s_waitcnt vmcnt(0)
	v_cmp_ne_u64_e64 s[0:1], v[20:21], v[24:25]
	s_or_b64 s[0:1], s[0:1], s[46:47]
	s_and_b64 s[0:1], exec, s[0:1]
	v_cmp_eq_u64_e32 vcc, v[20:21], v[24:25]
	s_or_b64 s[12:13], s[0:1], s[12:13]
	s_andn2_b64 s[0:1], s[42:43], exec
	s_and_b64 s[42:43], vcc, exec
	s_or_b64 s[42:43], s[0:1], s[42:43]
	s_andn2_b64 exec, exec, s[12:13]
	s_cbranch_execnz .LBB1719_75
; %bb.76:
	s_or_b64 exec, exec, s[12:13]
	s_xor_b64 s[0:1], s[42:43], -1
.LBB1719_77:
	s_and_b64 s[12:13], s[0:1], exec
.LBB1719_78:
	s_or_b64 exec, exec, s[40:41]
	s_waitcnt lgkmcnt(0)
	s_barrier
	s_and_saveexec_b64 s[0:1], s[2:3]
	s_cbranch_execz .LBB1719_80
; %bb.79:
	s_waitcnt vmcnt(0)
	v_add_u32_e32 v14, -8, v23
	ds_read_b64 v[14:15], v14
.LBB1719_80:
	s_or_b64 exec, exec, s[0:1]
	v_cndmask_b32_e64 v17, 0, 1, s[10:11]
	v_cndmask_b32_e64 v16, 0, 1, s[14:15]
	;; [unrolled: 1-line block ×3, first 2 shown]
	v_lshlrev_b16_e32 v17, 8, v17
	v_cmp_gt_u32_e32 vcc, s48, v1
	v_lshlrev_b16_e32 v18, 8, v18
	v_or_b32_sdwa v19, v16, v17 dst_sel:WORD_1 dst_unused:UNUSED_PAD src0_sel:DWORD src1_sel:DWORD
	s_mov_b64 s[0:1], 0
	s_and_saveexec_b64 s[10:11], vcc
	s_cbranch_execz .LBB1719_86
; %bb.81:
	s_and_b64 vcc, exec, s[4:5]
	s_cbranch_vccnz .LBB1719_85
; %bb.82:
	s_waitcnt vmcnt(0) lgkmcnt(0)
	v_mul_lo_u32 v16, v15, s26
	v_mul_lo_u32 v17, v14, s27
	v_mad_u64_u32 v[14:15], s[0:1], v14, s26, 0
	v_add3_u32 v15, v15, v17, v16
	v_mul_lo_u32 v20, v7, s26
	v_mul_lo_u32 v21, v6, s27
	v_mad_u64_u32 v[16:17], s[0:1], v6, s26, 0
	v_add3_u32 v17, v17, v21, v20
	s_add_u32 s14, s26, -1
	v_lshl_add_u64 v[14:15], v[14:15], 3, s[36:37]
	v_lshl_add_u64 v[16:17], v[16:17], 3, s[36:37]
	s_addc_u32 s15, s27, -1
	s_mov_b64 s[4:5], 0
                                        ; implicit-def: $sgpr12_sgpr13
.LBB1719_83:                            ; =>This Inner Loop Header: Depth=1
	global_load_dwordx2 v[20:21], v[14:15], off
	global_load_dwordx2 v[24:25], v[16:17], off
	s_add_u32 s0, s14, -1
	s_addc_u32 s1, s15, -1
	s_cmp_eq_u64 s[14:15], 0
	s_mov_b64 s[14:15], s[0:1]
	s_cselect_b64 s[40:41], -1, 0
	v_lshl_add_u64 v[14:15], v[14:15], 0, 8
	v_lshl_add_u64 v[16:17], v[16:17], 0, 8
	s_waitcnt vmcnt(0)
	v_cmp_ne_u64_e64 s[0:1], v[20:21], v[24:25]
	s_or_b64 s[0:1], s[0:1], s[40:41]
	s_and_b64 s[0:1], exec, s[0:1]
	v_cmp_eq_u64_e32 vcc, v[20:21], v[24:25]
	s_or_b64 s[4:5], s[0:1], s[4:5]
	s_andn2_b64 s[0:1], s[12:13], exec
	s_and_b64 s[12:13], vcc, exec
	s_or_b64 s[12:13], s[0:1], s[12:13]
	s_andn2_b64 exec, exec, s[4:5]
	s_cbranch_execnz .LBB1719_83
; %bb.84:
	s_or_b64 exec, exec, s[4:5]
	s_xor_b64 s[0:1], s[12:13], -1
.LBB1719_85:
	s_and_b64 s[0:1], s[0:1], exec
.LBB1719_86:
	s_or_b64 exec, exec, s[10:11]
	v_cndmask_b32_e64 v33, 0, 1, s[6:7]
	v_or_b32_e32 v17, v18, v19
.LBB1719_87:
	s_mov_b64 s[10:11], -1
	s_cbranch_execnz .LBB1719_52
.LBB1719_88:
	s_waitcnt vmcnt(0) lgkmcnt(0)
	v_lshlrev_b32_e32 v14, 5, v0
	v_sub_u32_e32 v22, v22, v14
	s_mov_b64 s[0:1], 0
	v_cmp_gt_i64_e64 s[6:7], s[26:27], 0
	s_and_b64 vcc, exec, s[34:35]
	ds_write_b64 v22, v[12:13]
	s_cbranch_vccz .LBB1719_99
; %bb.89:
	v_cndmask_b32_e64 v14, 0, 1, s[6:7]
	v_cmp_ne_u32_e64 s[4:5], 1, v14
	s_andn2_b64 vcc, exec, s[6:7]
	s_cbranch_vccnz .LBB1719_100
; %bb.90:
	v_mul_lo_u32 v16, v5, s26
	v_mul_lo_u32 v17, v4, s27
	v_mad_u64_u32 v[14:15], s[0:1], v4, s26, 0
	v_add3_u32 v15, v15, v17, v16
	v_mul_lo_u32 v18, v13, s26
	v_mul_lo_u32 v19, v12, s27
	v_mad_u64_u32 v[16:17], s[0:1], v12, s26, 0
	s_add_u32 s14, s26, -1
	v_lshl_add_u64 v[14:15], v[14:15], 3, s[36:37]
	v_add3_u32 v17, v17, v19, v18
	s_addc_u32 s15, s27, -1
	v_lshl_add_u64 v[16:17], v[16:17], 3, s[36:37]
	s_mov_b64 s[40:41], 0
	s_mov_b64 s[42:43], s[14:15]
	v_mov_b64_e32 v[18:19], v[14:15]
                                        ; implicit-def: $sgpr12_sgpr13
.LBB1719_91:                            ; =>This Inner Loop Header: Depth=1
	global_load_dwordx2 v[20:21], v[18:19], off
	global_load_dwordx2 v[24:25], v[16:17], off
	s_add_u32 s0, s42, -1
	s_addc_u32 s1, s43, -1
	s_cmp_eq_u64 s[42:43], 0
	s_mov_b64 s[42:43], s[0:1]
	s_cselect_b64 s[44:45], -1, 0
	v_lshl_add_u64 v[18:19], v[18:19], 0, 8
	v_lshl_add_u64 v[16:17], v[16:17], 0, 8
	s_waitcnt vmcnt(0)
	v_cmp_ne_u64_e64 s[0:1], v[20:21], v[24:25]
	s_or_b64 s[0:1], s[0:1], s[44:45]
	s_and_b64 s[0:1], exec, s[0:1]
	v_cmp_eq_u64_e32 vcc, v[20:21], v[24:25]
	s_or_b64 s[40:41], s[0:1], s[40:41]
	s_andn2_b64 s[0:1], s[12:13], exec
	s_and_b64 s[12:13], vcc, exec
	s_or_b64 s[12:13], s[0:1], s[12:13]
	s_andn2_b64 exec, exec, s[40:41]
	s_cbranch_execnz .LBB1719_91
; %bb.92:
	s_or_b64 exec, exec, s[40:41]
	v_mul_lo_u32 v18, v3, s26
	v_mul_lo_u32 v19, v2, s27
	v_mad_u64_u32 v[16:17], s[0:1], v2, s26, 0
	v_add3_u32 v17, v17, v19, v18
	v_lshl_add_u64 v[16:17], v[16:17], 3, s[36:37]
	s_mov_b64 s[42:43], 0
	s_mov_b64 s[44:45], s[14:15]
	v_mov_b64_e32 v[18:19], v[16:17]
                                        ; implicit-def: $sgpr40_sgpr41
.LBB1719_93:                            ; =>This Inner Loop Header: Depth=1
	global_load_dwordx2 v[20:21], v[18:19], off
	global_load_dwordx2 v[24:25], v[14:15], off
	s_add_u32 s0, s44, -1
	s_addc_u32 s1, s45, -1
	s_cmp_eq_u64 s[44:45], 0
	s_mov_b64 s[44:45], s[0:1]
	s_cselect_b64 s[46:47], -1, 0
	v_lshl_add_u64 v[18:19], v[18:19], 0, 8
	v_lshl_add_u64 v[14:15], v[14:15], 0, 8
	s_waitcnt vmcnt(0)
	v_cmp_ne_u64_e64 s[0:1], v[20:21], v[24:25]
	s_or_b64 s[0:1], s[0:1], s[46:47]
	s_and_b64 s[0:1], exec, s[0:1]
	v_cmp_eq_u64_e32 vcc, v[20:21], v[24:25]
	s_or_b64 s[42:43], s[0:1], s[42:43]
	s_andn2_b64 s[0:1], s[40:41], exec
	s_and_b64 s[40:41], vcc, exec
	s_or_b64 s[40:41], s[0:1], s[40:41]
	s_andn2_b64 exec, exec, s[42:43]
	s_cbranch_execnz .LBB1719_93
; %bb.94:
	s_or_b64 exec, exec, s[42:43]
	v_mul_lo_u32 v18, v9, s26
	v_mul_lo_u32 v19, v8, s27
	v_mad_u64_u32 v[14:15], s[0:1], v8, s26, 0
	v_add3_u32 v15, v15, v19, v18
	v_lshl_add_u64 v[14:15], v[14:15], 3, s[36:37]
	s_mov_b64 s[44:45], 0
	s_mov_b64 s[46:47], s[14:15]
	v_mov_b64_e32 v[18:19], v[14:15]
                                        ; implicit-def: $sgpr42_sgpr43
.LBB1719_95:                            ; =>This Inner Loop Header: Depth=1
	global_load_dwordx2 v[20:21], v[18:19], off
	global_load_dwordx2 v[24:25], v[16:17], off
	s_add_u32 s0, s46, -1
	s_addc_u32 s1, s47, -1
	s_cmp_eq_u64 s[46:47], 0
	s_mov_b64 s[46:47], s[0:1]
	s_cselect_b64 s[50:51], -1, 0
	v_lshl_add_u64 v[18:19], v[18:19], 0, 8
	v_lshl_add_u64 v[16:17], v[16:17], 0, 8
	s_waitcnt vmcnt(0)
	v_cmp_ne_u64_e64 s[0:1], v[20:21], v[24:25]
	s_or_b64 s[0:1], s[0:1], s[50:51]
	s_and_b64 s[0:1], exec, s[0:1]
	v_cmp_eq_u64_e32 vcc, v[20:21], v[24:25]
	s_or_b64 s[44:45], s[0:1], s[44:45]
	s_andn2_b64 s[0:1], s[42:43], exec
	s_and_b64 s[42:43], vcc, exec
	s_or_b64 s[42:43], s[0:1], s[42:43]
	s_andn2_b64 exec, exec, s[44:45]
	s_cbranch_execnz .LBB1719_95
; %bb.96:
	s_or_b64 exec, exec, s[44:45]
	v_mul_lo_u32 v18, v7, s26
	v_mul_lo_u32 v19, v6, s27
	v_mad_u64_u32 v[16:17], s[0:1], v6, s26, 0
	v_add3_u32 v17, v17, v19, v18
	v_lshl_add_u64 v[16:17], v[16:17], 3, s[36:37]
	s_mov_b64 s[46:47], 0
                                        ; implicit-def: $sgpr44_sgpr45
.LBB1719_97:                            ; =>This Inner Loop Header: Depth=1
	global_load_dwordx2 v[18:19], v[16:17], off
	global_load_dwordx2 v[20:21], v[14:15], off
	s_add_u32 s0, s14, -1
	s_addc_u32 s1, s15, -1
	s_cmp_eq_u64 s[14:15], 0
	s_mov_b64 s[14:15], s[0:1]
	s_cselect_b64 s[50:51], -1, 0
	v_lshl_add_u64 v[16:17], v[16:17], 0, 8
	v_lshl_add_u64 v[14:15], v[14:15], 0, 8
	s_waitcnt vmcnt(0)
	v_cmp_ne_u64_e64 s[0:1], v[18:19], v[20:21]
	s_or_b64 s[0:1], s[0:1], s[50:51]
	s_and_b64 s[0:1], exec, s[0:1]
	v_cmp_eq_u64_e32 vcc, v[18:19], v[20:21]
	s_or_b64 s[46:47], s[0:1], s[46:47]
	s_andn2_b64 s[0:1], s[44:45], exec
	s_and_b64 s[44:45], vcc, exec
	s_or_b64 s[44:45], s[0:1], s[44:45]
	s_andn2_b64 exec, exec, s[46:47]
	s_cbranch_execnz .LBB1719_97
; %bb.98:
	s_or_b64 exec, exec, s[46:47]
	s_xor_b64 s[0:1], s[12:13], -1
	v_cndmask_b32_e64 v33, 0, 1, s[0:1]
	s_xor_b64 s[0:1], s[40:41], -1
	v_cndmask_b32_e64 v14, 0, 1, s[0:1]
	v_lshlrev_b16_e32 v14, 8, v14
	v_mov_b32_e32 v15, 8
	s_xor_b64 s[12:13], s[42:43], -1
	v_lshrrev_b32_sdwa v14, v15, v14 dst_sel:BYTE_1 dst_unused:UNUSED_PAD src0_sel:DWORD src1_sel:DWORD
	v_cndmask_b32_e64 v15, 0, 1, s[12:13]
	s_xor_b64 s[0:1], s[44:45], -1
	v_or_b32_sdwa v14, v15, v14 dst_sel:WORD_1 dst_unused:UNUSED_PAD src0_sel:DWORD src1_sel:DWORD
	s_branch .LBB1719_101
.LBB1719_99:
                                        ; implicit-def: $sgpr0_sgpr1
                                        ; implicit-def: $vgpr33
                                        ; implicit-def: $vgpr17
                                        ; implicit-def: $vgpr16
                                        ; implicit-def: $vgpr35
                                        ; implicit-def: $vgpr34
                                        ; implicit-def: $vgpr14
	s_cbranch_execnz .LBB1719_108
	s_branch .LBB1719_141
.LBB1719_100:
	v_mov_b32_e32 v14, 0
	v_mov_b32_e32 v33, 0
.LBB1719_101:
	v_lshrrev_b32_e32 v34, 16, v14
	v_lshrrev_b32_e32 v14, 24, v14
	v_cndmask_b32_e64 v35, 0, 1, s[0:1]
	v_mov_b32_e32 v16, 1
	s_waitcnt lgkmcnt(0)
	s_barrier
                                        ; implicit-def: $sgpr0_sgpr1
                                        ; implicit-def: $vgpr17
	s_and_saveexec_b64 s[12:13], s[2:3]
	s_xor_b64 s[12:13], exec, s[12:13]
	s_cbranch_execz .LBB1719_107
; %bb.102:
	v_lshlrev_b16_e32 v15, 8, v14
	s_movk_i32 s0, 0xff
	v_bitop3_b16 v15, v34, v15, s0 bitop3:0xec
	v_lshlrev_b16_e32 v17, 8, v35
	v_lshlrev_b32_e32 v15, 16, v15
	v_or_b32_e32 v17, 1, v17
	v_or_b32_sdwa v15, v17, v15 dst_sel:DWORD dst_unused:UNUSED_PAD src0_sel:WORD_0 src1_sel:DWORD
	s_mov_b32 s42, 0x3020104
	s_and_b64 vcc, exec, s[4:5]
	s_mov_b64 s[0:1], 0
	s_cbranch_vccnz .LBB1719_106
; %bb.103:
	v_add_u32_e32 v17, -8, v22
	ds_read_b64 v[18:19], v17
	v_mul_lo_u32 v17, v7, s26
	v_mul_lo_u32 v23, v6, s27
	s_add_u32 s40, s26, -1
	s_addc_u32 s41, s27, -1
	s_waitcnt lgkmcnt(0)
	v_mul_lo_u32 v20, v19, s26
	v_mul_lo_u32 v21, v18, s27
	v_mad_u64_u32 v[18:19], s[0:1], v18, s26, 0
	v_add3_u32 v19, v19, v21, v20
	v_mad_u64_u32 v[20:21], s[0:1], v6, s26, 0
	v_add3_u32 v21, v21, v23, v17
	v_lshl_add_u64 v[18:19], v[18:19], 3, s[36:37]
	v_lshl_add_u64 v[20:21], v[20:21], 3, s[36:37]
	s_mov_b64 s[4:5], 0
                                        ; implicit-def: $sgpr14_sgpr15
.LBB1719_104:                           ; =>This Inner Loop Header: Depth=1
	global_load_dwordx2 v[24:25], v[18:19], off
	global_load_dwordx2 v[26:27], v[20:21], off
	s_add_u32 s0, s40, -1
	s_addc_u32 s1, s41, -1
	s_cmp_eq_u64 s[40:41], 0
	s_mov_b64 s[40:41], s[0:1]
	s_cselect_b64 s[44:45], -1, 0
	v_lshl_add_u64 v[18:19], v[18:19], 0, 8
	v_lshl_add_u64 v[20:21], v[20:21], 0, 8
	s_waitcnt vmcnt(0)
	v_cmp_ne_u64_e64 s[0:1], v[24:25], v[26:27]
	s_or_b64 s[0:1], s[0:1], s[44:45]
	s_and_b64 s[0:1], exec, s[0:1]
	v_cmp_eq_u64_e32 vcc, v[24:25], v[26:27]
	s_or_b64 s[4:5], s[0:1], s[4:5]
	s_andn2_b64 s[0:1], s[14:15], exec
	s_and_b64 s[14:15], vcc, exec
	s_or_b64 s[14:15], s[0:1], s[14:15]
	s_andn2_b64 exec, exec, s[4:5]
	s_cbranch_execnz .LBB1719_104
; %bb.105:
	s_or_b64 exec, exec, s[4:5]
	s_xor_b64 s[0:1], s[14:15], -1
.LBB1719_106:
	v_perm_b32 v17, v15, v15, s42
	s_or_b64 s[10:11], s[10:11], exec
.LBB1719_107:
	s_or_b64 exec, exec, s[12:13]
	s_branch .LBB1719_141
.LBB1719_108:
	v_add_u32_e32 v14, 4, v1
	v_cmp_gt_u32_e32 vcc, s48, v14
	s_mov_b64 s[4:5], 0
	s_mov_b64 s[12:13], 0
	s_and_saveexec_b64 s[14:15], vcc
	s_cbranch_execz .LBB1719_114
; %bb.109:
	s_andn2_b64 vcc, exec, s[6:7]
	s_mov_b64 s[0:1], 0
	s_cbranch_vccnz .LBB1719_113
; %bb.110:
	v_mul_lo_u32 v16, v5, s26
	v_mul_lo_u32 v17, v4, s27
	v_mad_u64_u32 v[14:15], s[0:1], v4, s26, 0
	v_add3_u32 v15, v15, v17, v16
	v_mul_lo_u32 v18, v13, s26
	v_mul_lo_u32 v19, v12, s27
	v_mad_u64_u32 v[16:17], s[0:1], v12, s26, 0
	v_add3_u32 v17, v17, v19, v18
	s_add_u32 s42, s26, -1
	v_lshl_add_u64 v[14:15], v[14:15], 3, s[36:37]
	v_lshl_add_u64 v[16:17], v[16:17], 3, s[36:37]
	s_addc_u32 s43, s27, -1
                                        ; implicit-def: $sgpr40_sgpr41
.LBB1719_111:                           ; =>This Inner Loop Header: Depth=1
	global_load_dwordx2 v[18:19], v[14:15], off
	global_load_dwordx2 v[20:21], v[16:17], off
	s_add_u32 s0, s42, -1
	s_addc_u32 s1, s43, -1
	s_cmp_eq_u64 s[42:43], 0
	s_mov_b64 s[42:43], s[0:1]
	s_cselect_b64 s[44:45], -1, 0
	v_lshl_add_u64 v[14:15], v[14:15], 0, 8
	v_lshl_add_u64 v[16:17], v[16:17], 0, 8
	s_waitcnt vmcnt(0)
	v_cmp_ne_u64_e64 s[0:1], v[18:19], v[20:21]
	s_or_b64 s[0:1], s[0:1], s[44:45]
	s_and_b64 s[0:1], exec, s[0:1]
	v_cmp_eq_u64_e32 vcc, v[18:19], v[20:21]
	s_or_b64 s[12:13], s[0:1], s[12:13]
	s_andn2_b64 s[0:1], s[40:41], exec
	s_and_b64 s[40:41], vcc, exec
	s_or_b64 s[40:41], s[0:1], s[40:41]
	s_andn2_b64 exec, exec, s[12:13]
	s_cbranch_execnz .LBB1719_111
; %bb.112:
	s_or_b64 exec, exec, s[12:13]
	s_xor_b64 s[0:1], s[40:41], -1
.LBB1719_113:
	s_and_b64 s[12:13], s[0:1], exec
.LBB1719_114:
	s_or_b64 exec, exec, s[14:15]
	v_add_u32_e32 v14, 3, v1
	v_cmp_gt_u32_e32 vcc, s48, v14
	s_and_saveexec_b64 s[14:15], vcc
	s_cbranch_execz .LBB1719_120
; %bb.115:
	s_andn2_b64 vcc, exec, s[6:7]
	s_mov_b64 s[0:1], 0
	s_cbranch_vccnz .LBB1719_119
; %bb.116:
	v_mul_lo_u32 v16, v3, s26
	v_mul_lo_u32 v17, v2, s27
	v_mad_u64_u32 v[14:15], s[0:1], v2, s26, 0
	v_add3_u32 v15, v15, v17, v16
	v_mul_lo_u32 v18, v5, s26
	v_mul_lo_u32 v19, v4, s27
	v_mad_u64_u32 v[16:17], s[0:1], v4, s26, 0
	v_add3_u32 v17, v17, v19, v18
	s_add_u32 s42, s26, -1
	v_lshl_add_u64 v[14:15], v[14:15], 3, s[36:37]
	v_lshl_add_u64 v[16:17], v[16:17], 3, s[36:37]
	s_addc_u32 s43, s27, -1
	s_mov_b64 s[4:5], 0
                                        ; implicit-def: $sgpr40_sgpr41
.LBB1719_117:                           ; =>This Inner Loop Header: Depth=1
	global_load_dwordx2 v[18:19], v[14:15], off
	global_load_dwordx2 v[20:21], v[16:17], off
	s_add_u32 s0, s42, -1
	s_addc_u32 s1, s43, -1
	s_cmp_eq_u64 s[42:43], 0
	s_mov_b64 s[42:43], s[0:1]
	s_cselect_b64 s[44:45], -1, 0
	v_lshl_add_u64 v[14:15], v[14:15], 0, 8
	v_lshl_add_u64 v[16:17], v[16:17], 0, 8
	s_waitcnt vmcnt(0)
	v_cmp_ne_u64_e64 s[0:1], v[18:19], v[20:21]
	s_or_b64 s[0:1], s[0:1], s[44:45]
	s_and_b64 s[0:1], exec, s[0:1]
	v_cmp_eq_u64_e32 vcc, v[18:19], v[20:21]
	s_or_b64 s[4:5], s[0:1], s[4:5]
	s_andn2_b64 s[0:1], s[40:41], exec
	s_and_b64 s[40:41], vcc, exec
	s_or_b64 s[40:41], s[0:1], s[40:41]
	s_andn2_b64 exec, exec, s[4:5]
	s_cbranch_execnz .LBB1719_117
; %bb.118:
	s_or_b64 exec, exec, s[4:5]
	s_xor_b64 s[0:1], s[40:41], -1
.LBB1719_119:
	s_and_b64 s[4:5], s[0:1], exec
.LBB1719_120:
	s_or_b64 exec, exec, s[14:15]
	v_add_u32_e32 v14, 2, v1
	v_cmp_gt_u32_e32 vcc, s48, v14
	s_mov_b64 s[14:15], 0
	s_mov_b64 s[40:41], 0
	s_and_saveexec_b64 s[42:43], vcc
	s_cbranch_execz .LBB1719_126
; %bb.121:
	s_andn2_b64 vcc, exec, s[6:7]
	s_mov_b64 s[0:1], 0
	s_cbranch_vccnz .LBB1719_125
; %bb.122:
	v_mul_lo_u32 v16, v9, s26
	v_mul_lo_u32 v17, v8, s27
	v_mad_u64_u32 v[14:15], s[0:1], v8, s26, 0
	v_add3_u32 v15, v15, v17, v16
	v_mul_lo_u32 v18, v3, s26
	v_mul_lo_u32 v19, v2, s27
	v_mad_u64_u32 v[16:17], s[0:1], v2, s26, 0
	v_add3_u32 v17, v17, v19, v18
	s_add_u32 s46, s26, -1
	v_lshl_add_u64 v[14:15], v[14:15], 3, s[36:37]
	v_lshl_add_u64 v[16:17], v[16:17], 3, s[36:37]
	s_addc_u32 s47, s27, -1
                                        ; implicit-def: $sgpr44_sgpr45
.LBB1719_123:                           ; =>This Inner Loop Header: Depth=1
	global_load_dwordx2 v[18:19], v[14:15], off
	global_load_dwordx2 v[20:21], v[16:17], off
	s_add_u32 s0, s46, -1
	s_addc_u32 s1, s47, -1
	s_cmp_eq_u64 s[46:47], 0
	s_mov_b64 s[46:47], s[0:1]
	s_cselect_b64 s[50:51], -1, 0
	v_lshl_add_u64 v[14:15], v[14:15], 0, 8
	v_lshl_add_u64 v[16:17], v[16:17], 0, 8
	s_waitcnt vmcnt(0)
	v_cmp_ne_u64_e64 s[0:1], v[18:19], v[20:21]
	s_or_b64 s[0:1], s[0:1], s[50:51]
	s_and_b64 s[0:1], exec, s[0:1]
	v_cmp_eq_u64_e32 vcc, v[18:19], v[20:21]
	s_or_b64 s[40:41], s[0:1], s[40:41]
	s_andn2_b64 s[0:1], s[44:45], exec
	s_and_b64 s[44:45], vcc, exec
	s_or_b64 s[44:45], s[0:1], s[44:45]
	s_andn2_b64 exec, exec, s[40:41]
	s_cbranch_execnz .LBB1719_123
; %bb.124:
	s_or_b64 exec, exec, s[40:41]
	s_xor_b64 s[0:1], s[44:45], -1
.LBB1719_125:
	s_and_b64 s[40:41], s[0:1], exec
.LBB1719_126:
	s_or_b64 exec, exec, s[42:43]
	v_add_u32_e32 v14, 1, v1
	v_cmp_gt_u32_e32 vcc, s48, v14
	s_and_saveexec_b64 s[42:43], vcc
	s_cbranch_execz .LBB1719_132
; %bb.127:
	s_andn2_b64 vcc, exec, s[6:7]
	s_mov_b64 s[0:1], 0
	s_cbranch_vccnz .LBB1719_131
; %bb.128:
	v_mul_lo_u32 v16, v7, s26
	v_mul_lo_u32 v17, v6, s27
	v_mad_u64_u32 v[14:15], s[0:1], v6, s26, 0
	v_add3_u32 v15, v15, v17, v16
	v_mul_lo_u32 v18, v9, s26
	v_mul_lo_u32 v19, v8, s27
	v_mad_u64_u32 v[16:17], s[0:1], v8, s26, 0
	v_add3_u32 v17, v17, v19, v18
	s_add_u32 s46, s26, -1
	v_lshl_add_u64 v[14:15], v[14:15], 3, s[36:37]
	v_lshl_add_u64 v[16:17], v[16:17], 3, s[36:37]
	s_addc_u32 s47, s27, -1
	s_mov_b64 s[14:15], 0
                                        ; implicit-def: $sgpr44_sgpr45
.LBB1719_129:                           ; =>This Inner Loop Header: Depth=1
	global_load_dwordx2 v[18:19], v[14:15], off
	global_load_dwordx2 v[20:21], v[16:17], off
	s_add_u32 s0, s46, -1
	s_addc_u32 s1, s47, -1
	s_cmp_eq_u64 s[46:47], 0
	s_mov_b64 s[46:47], s[0:1]
	s_cselect_b64 s[50:51], -1, 0
	v_lshl_add_u64 v[14:15], v[14:15], 0, 8
	v_lshl_add_u64 v[16:17], v[16:17], 0, 8
	s_waitcnt vmcnt(0)
	v_cmp_ne_u64_e64 s[0:1], v[18:19], v[20:21]
	s_or_b64 s[0:1], s[0:1], s[50:51]
	s_and_b64 s[0:1], exec, s[0:1]
	v_cmp_eq_u64_e32 vcc, v[18:19], v[20:21]
	s_or_b64 s[14:15], s[0:1], s[14:15]
	s_andn2_b64 s[0:1], s[44:45], exec
	s_and_b64 s[44:45], vcc, exec
	s_or_b64 s[44:45], s[0:1], s[44:45]
	s_andn2_b64 exec, exec, s[14:15]
	s_cbranch_execnz .LBB1719_129
; %bb.130:
	s_or_b64 exec, exec, s[14:15]
	s_xor_b64 s[0:1], s[44:45], -1
.LBB1719_131:
	s_and_b64 s[14:15], s[0:1], exec
.LBB1719_132:
	s_or_b64 exec, exec, s[42:43]
	v_cndmask_b32_e64 v33, 0, 1, s[12:13]
	v_cndmask_b32_e64 v34, 0, 1, s[40:41]
	;; [unrolled: 1-line block ×4, first 2 shown]
	v_mov_b32_e32 v16, 1
	s_waitcnt lgkmcnt(0)
	s_barrier
                                        ; implicit-def: $sgpr0_sgpr1
                                        ; implicit-def: $vgpr17
	s_and_saveexec_b64 s[4:5], s[2:3]
	s_cbranch_execz .LBB1719_140
; %bb.133:
	v_lshlrev_b16_e32 v15, 8, v35
	v_lshlrev_b16_e32 v17, 8, v14
	v_or_b32_e32 v15, 1, v15
	v_or_b32_sdwa v17, v34, v17 dst_sel:WORD_1 dst_unused:UNUSED_PAD src0_sel:DWORD src1_sel:DWORD
	v_cmp_gt_u32_e32 vcc, s48, v1
	v_or_b32_sdwa v15, v15, v17 dst_sel:DWORD dst_unused:UNUSED_PAD src0_sel:WORD_0 src1_sel:DWORD
	s_mov_b32 s40, 0x3020104
	s_mov_b64 s[0:1], 0
	s_and_saveexec_b64 s[2:3], vcc
	s_cbranch_execz .LBB1719_139
; %bb.134:
	s_andn2_b64 vcc, exec, s[6:7]
	s_cbranch_vccnz .LBB1719_138
; %bb.135:
	v_add_u32_e32 v17, -8, v22
	ds_read_b64 v[18:19], v17
	v_mul_lo_u32 v17, v7, s26
	v_mul_lo_u32 v22, v6, s27
	s_add_u32 s14, s26, -1
	s_addc_u32 s15, s27, -1
	s_waitcnt lgkmcnt(0)
	v_mul_lo_u32 v20, v19, s26
	v_mul_lo_u32 v21, v18, s27
	v_mad_u64_u32 v[18:19], s[0:1], v18, s26, 0
	v_add3_u32 v19, v19, v21, v20
	v_mad_u64_u32 v[20:21], s[0:1], v6, s26, 0
	v_add3_u32 v21, v21, v22, v17
	v_lshl_add_u64 v[18:19], v[18:19], 3, s[36:37]
	v_lshl_add_u64 v[20:21], v[20:21], 3, s[36:37]
	s_mov_b64 s[6:7], 0
                                        ; implicit-def: $sgpr12_sgpr13
.LBB1719_136:                           ; =>This Inner Loop Header: Depth=1
	global_load_dwordx2 v[22:23], v[18:19], off
	global_load_dwordx2 v[24:25], v[20:21], off
	s_add_u32 s0, s14, -1
	s_addc_u32 s1, s15, -1
	s_cmp_eq_u64 s[14:15], 0
	s_mov_b64 s[14:15], s[0:1]
	s_cselect_b64 s[26:27], -1, 0
	v_lshl_add_u64 v[18:19], v[18:19], 0, 8
	v_lshl_add_u64 v[20:21], v[20:21], 0, 8
	s_waitcnt vmcnt(0)
	v_cmp_ne_u64_e64 s[0:1], v[22:23], v[24:25]
	s_or_b64 s[0:1], s[0:1], s[26:27]
	s_and_b64 s[0:1], exec, s[0:1]
	v_cmp_eq_u64_e32 vcc, v[22:23], v[24:25]
	s_or_b64 s[6:7], s[0:1], s[6:7]
	s_andn2_b64 s[0:1], s[12:13], exec
	s_and_b64 s[12:13], vcc, exec
	s_or_b64 s[12:13], s[0:1], s[12:13]
	s_andn2_b64 exec, exec, s[6:7]
	s_cbranch_execnz .LBB1719_136
; %bb.137:
	s_or_b64 exec, exec, s[6:7]
	s_xor_b64 s[0:1], s[12:13], -1
.LBB1719_138:
	s_and_b64 s[0:1], s[0:1], exec
.LBB1719_139:
	s_or_b64 exec, exec, s[2:3]
	v_perm_b32 v17, v15, v15, s40
	s_or_b64 s[10:11], s[10:11], exec
.LBB1719_140:
	s_or_b64 exec, exec, s[4:5]
.LBB1719_141:
	s_and_saveexec_b64 s[2:3], s[10:11]
	s_cbranch_execz .LBB1719_143
; %bb.142:
	s_waitcnt vmcnt(0) lgkmcnt(0)
	v_lshrrev_b32_e32 v14, 24, v17
	v_lshrrev_b32_e32 v34, 16, v17
	;; [unrolled: 1-line block ×3, first 2 shown]
	v_cndmask_b32_e64 v16, 0, 1, s[0:1]
.LBB1719_143:
	s_or_b64 exec, exec, s[2:3]
	s_andn2_b64 vcc, exec, s[8:9]
	s_cbranch_vccnz .LBB1719_147
; %bb.144:
	s_mov_b32 s0, 0xc0c0004
	s_waitcnt vmcnt(0) lgkmcnt(0)
	v_perm_b32 v14, v34, v14, s0
	v_perm_b32 v15, v16, v35, s0
	v_lshlrev_b32_e32 v14, 16, v14
	v_or_b32_e32 v15, v15, v14
	v_cmp_gt_u32_e32 vcc, s48, v1
	v_add_u32_e32 v16, 1, v1
	s_mov_b32 s0, 0x40c0100
	v_cndmask_b32_e32 v14, v14, v15, vcc
	v_and_b32_e32 v14, 0xffff00ff, v14
	v_cmp_gt_u32_e32 vcc, s48, v16
	v_add_u32_e32 v16, 2, v1
	v_and_b32_e32 v33, 0xff, v33
	v_cndmask_b32_e32 v14, v14, v15, vcc
	v_lshrrev_b32_e32 v18, 24, v14
	v_perm_b32 v14, v18, v14, s0
	v_cmp_gt_u32_e32 vcc, s48, v16
	v_add_u32_e32 v16, 3, v1
	v_and_b32_e32 v17, 0xffff, v33
	v_cndmask_b32_e32 v14, v14, v15, vcc
	v_and_b32_e32 v14, 0xffffff, v14
	v_cmp_gt_u32_e32 vcc, s48, v16
	v_add_u32_e32 v1, 4, v1
	s_nop 0
	v_cndmask_b32_e32 v16, v14, v15, vcc
	v_lshrrev_b32_e32 v34, 16, v16
	v_lshrrev_b32_e32 v35, 8, v16
	v_lshrrev_b64 v[14:15], 24, v[16:17]
	v_cmp_le_u32_e32 vcc, s48, v1
	s_and_saveexec_b64 s[0:1], vcc
; %bb.145:
	v_mov_b32_e32 v33, 0
; %bb.146:
	s_or_b64 exec, exec, s[0:1]
.LBB1719_147:
	v_and_b32_e32 v1, 0xff, v16
	s_waitcnt vmcnt(0) lgkmcnt(0)
	v_and_b32_e32 v15, 0xff, v35
	v_and_b32_e32 v17, 0xff, v34
	;; [unrolled: 1-line block ×4, first 2 shown]
	v_add3_u32 v19, v15, v1, v17
	v_add3_u32 v37, v19, v29, v18
	v_mbcnt_lo_u32_b32 v18, -1, 0
	v_mbcnt_hi_u32_b32 v31, -1, v18
	v_and_b32_e32 v18, 15, v31
	v_cmp_eq_u32_e64 s[14:15], 0, v18
	v_cmp_lt_u32_e64 s[12:13], 1, v18
	v_cmp_lt_u32_e64 s[10:11], 3, v18
	v_cmp_lt_u32_e64 s[8:9], 7, v18
	v_and_b32_e32 v18, 16, v31
	v_cmp_eq_u32_e64 s[6:7], 0, v18
	v_or_b32_e32 v18, 63, v0
	v_cmp_lt_u32_e64 s[2:3], 31, v31
	v_lshrrev_b32_e32 v36, 6, v0
	v_cmp_eq_u32_e64 s[4:5], v0, v18
	s_and_b64 vcc, exec, s[16:17]
	s_barrier
	s_cbranch_vccz .LBB1719_169
; %bb.148:
	v_mov_b32_dpp v18, v37 row_shr:1 row_mask:0xf bank_mask:0xf
	v_cndmask_b32_e64 v18, v18, 0, s[14:15]
	v_add_u32_e32 v18, v18, v37
	s_nop 1
	v_mov_b32_dpp v19, v18 row_shr:2 row_mask:0xf bank_mask:0xf
	v_cndmask_b32_e64 v19, 0, v19, s[12:13]
	v_add_u32_e32 v18, v18, v19
	s_nop 1
	;; [unrolled: 4-line block ×4, first 2 shown]
	v_mov_b32_dpp v19, v18 row_bcast:15 row_mask:0xf bank_mask:0xf
	v_cndmask_b32_e64 v19, v19, 0, s[6:7]
	v_add_u32_e32 v18, v18, v19
	s_nop 1
	v_mov_b32_dpp v19, v18 row_bcast:31 row_mask:0xf bank_mask:0xf
	v_cndmask_b32_e64 v19, 0, v19, s[2:3]
	v_add_u32_e32 v18, v18, v19
	s_and_saveexec_b64 s[0:1], s[4:5]
; %bb.149:
	v_lshlrev_b32_e32 v19, 2, v36
	ds_write_b32 v19, v18
; %bb.150:
	s_or_b64 exec, exec, s[0:1]
	v_cmp_gt_u32_e32 vcc, 2, v0
	s_waitcnt lgkmcnt(0)
	s_barrier
	s_and_saveexec_b64 s[0:1], vcc
	s_cbranch_execz .LBB1719_152
; %bb.151:
	v_lshlrev_b32_e32 v19, 2, v0
	ds_read_b32 v20, v19
	v_bfe_i32 v21, v31, 0, 1
	s_waitcnt lgkmcnt(0)
	v_mov_b32_dpp v22, v20 row_shr:1 row_mask:0xf bank_mask:0xf
	v_and_b32_e32 v21, v21, v22
	v_add_u32_e32 v20, v21, v20
	ds_write_b32 v19, v20
.LBB1719_152:
	s_or_b64 exec, exec, s[0:1]
	v_cmp_gt_u32_e32 vcc, 64, v0
	v_cmp_lt_u32_e64 s[0:1], 63, v0
	s_waitcnt lgkmcnt(0)
	s_barrier
                                        ; implicit-def: $vgpr28
	s_and_saveexec_b64 s[16:17], s[0:1]
	s_cbranch_execz .LBB1719_154
; %bb.153:
	v_lshl_add_u32 v19, v36, 2, -4
	ds_read_b32 v28, v19
	s_waitcnt lgkmcnt(0)
	v_add_u32_e32 v18, v28, v18
.LBB1719_154:
	s_or_b64 exec, exec, s[16:17]
	v_subrev_co_u32_e64 v19, s[16:17], 1, v31
	v_and_b32_e32 v20, 64, v31
	v_cmp_lt_i32_e64 s[0:1], v19, v20
	s_nop 1
	v_cndmask_b32_e64 v19, v19, v31, s[0:1]
	v_lshlrev_b32_e32 v19, 2, v19
	ds_bpermute_b32 v30, v19, v18
	s_and_saveexec_b64 s[0:1], vcc
	s_cbranch_execz .LBB1719_174
; %bb.155:
	v_mov_b32_e32 v25, 0
	ds_read_b32 v18, v25 offset:4
	s_and_saveexec_b64 s[26:27], s[16:17]
	s_cbranch_execz .LBB1719_157
; %bb.156:
	s_add_i32 s36, s33, 64
	s_mov_b32 s37, 0
	s_lshl_b64 s[36:37], s[36:37], 3
	s_add_u32 s36, s38, s36
	v_mov_b32_e32 v19, 1
	s_addc_u32 s37, s39, s37
	s_waitcnt lgkmcnt(0)
	global_store_dwordx2 v25, v[18:19], s[36:37] sc1
.LBB1719_157:
	s_or_b64 exec, exec, s[26:27]
	v_xad_u32 v20, v31, -1, s33
	v_add_u32_e32 v24, 64, v20
	v_lshl_add_u64 v[26:27], v[24:25], 3, s[38:39]
	global_load_dwordx2 v[22:23], v[26:27], off sc1
	s_waitcnt vmcnt(0)
	v_cmp_eq_u16_sdwa s[36:37], v23, v25 src0_sel:BYTE_0 src1_sel:DWORD
	s_and_saveexec_b64 s[26:27], s[36:37]
	s_cbranch_execz .LBB1719_161
; %bb.158:
	s_mov_b64 s[36:37], 0
	v_mov_b32_e32 v19, 0
.LBB1719_159:                           ; =>This Inner Loop Header: Depth=1
	global_load_dwordx2 v[22:23], v[26:27], off sc1
	s_waitcnt vmcnt(0)
	v_cmp_ne_u16_sdwa s[40:41], v23, v19 src0_sel:BYTE_0 src1_sel:DWORD
	s_or_b64 s[36:37], s[40:41], s[36:37]
	s_andn2_b64 exec, exec, s[36:37]
	s_cbranch_execnz .LBB1719_159
; %bb.160:
	s_or_b64 exec, exec, s[36:37]
.LBB1719_161:
	s_or_b64 exec, exec, s[26:27]
	v_and_b32_e32 v39, 63, v31
	v_mov_b32_e32 v38, 2
	v_cmp_ne_u32_e32 vcc, 63, v39
	v_cmp_eq_u16_sdwa s[26:27], v23, v38 src0_sel:BYTE_0 src1_sel:DWORD
	v_lshlrev_b64 v[24:25], v31, -1
	v_addc_co_u32_e32 v26, vcc, 0, v31, vcc
	v_and_b32_e32 v19, s27, v25
	v_lshlrev_b32_e32 v40, 2, v26
	v_or_b32_e32 v19, 0x80000000, v19
	ds_bpermute_b32 v26, v40, v22
	v_and_b32_e32 v21, s26, v24
	v_ffbl_b32_e32 v19, v19
	v_add_u32_e32 v19, 32, v19
	v_ffbl_b32_e32 v21, v21
	v_min_u32_e32 v19, v21, v19
	v_cmp_lt_u32_e32 vcc, v39, v19
	v_add_u32_e32 v42, 2, v39
	v_add_u32_e32 v44, 4, v39
	s_waitcnt lgkmcnt(0)
	v_cndmask_b32_e32 v21, 0, v26, vcc
	v_cmp_gt_u32_e32 vcc, 62, v39
	v_add_u32_e32 v21, v21, v22
	v_add_u32_e32 v46, 8, v39
	v_cndmask_b32_e64 v22, 0, 2, vcc
	v_add_lshl_u32 v41, v22, v31, 2
	ds_bpermute_b32 v22, v41, v21
	v_cmp_le_u32_e32 vcc, v42, v19
	v_add_u32_e32 v48, 16, v39
	v_add_u32_e32 v50, 32, v39
	s_waitcnt lgkmcnt(0)
	v_cndmask_b32_e32 v22, 0, v22, vcc
	v_cmp_gt_u32_e32 vcc, 60, v39
	v_add_u32_e32 v21, v21, v22
	s_nop 0
	v_cndmask_b32_e64 v22, 0, 4, vcc
	v_add_lshl_u32 v43, v22, v31, 2
	ds_bpermute_b32 v22, v43, v21
	v_cmp_le_u32_e32 vcc, v44, v19
	s_waitcnt lgkmcnt(0)
	s_nop 0
	v_cndmask_b32_e32 v22, 0, v22, vcc
	v_cmp_gt_u32_e32 vcc, 56, v39
	v_add_u32_e32 v21, v21, v22
	s_nop 0
	v_cndmask_b32_e64 v22, 0, 8, vcc
	v_add_lshl_u32 v45, v22, v31, 2
	ds_bpermute_b32 v22, v45, v21
	v_cmp_le_u32_e32 vcc, v46, v19
	s_waitcnt lgkmcnt(0)
	s_nop 0
	;; [unrolled: 10-line block ×3, first 2 shown]
	v_cndmask_b32_e32 v22, 0, v22, vcc
	v_add_u32_e32 v21, v21, v22
	v_mov_b32_e32 v22, 0x80
	v_lshl_or_b32 v49, v31, 2, v22
	ds_bpermute_b32 v22, v49, v21
	v_cmp_le_u32_e32 vcc, v50, v19
	s_waitcnt lgkmcnt(0)
	s_nop 0
	v_cndmask_b32_e32 v19, 0, v22, vcc
	v_add_u32_e32 v22, v21, v19
	v_mov_b32_e32 v21, 0
	s_branch .LBB1719_164
.LBB1719_162:                           ;   in Loop: Header=BB1719_164 Depth=1
	s_or_b64 exec, exec, s[26:27]
	v_cmp_eq_u16_sdwa s[26:27], v23, v38 src0_sel:BYTE_0 src1_sel:DWORD
	ds_bpermute_b32 v51, v40, v22
	v_subrev_u32_e32 v20, 64, v20
	v_and_b32_e32 v26, s27, v25
	v_or_b32_e32 v26, 0x80000000, v26
	v_and_b32_e32 v27, s26, v24
	v_ffbl_b32_e32 v26, v26
	v_add_u32_e32 v26, 32, v26
	v_ffbl_b32_e32 v27, v27
	v_min_u32_e32 v26, v27, v26
	v_cmp_lt_u32_e32 vcc, v39, v26
	s_mov_b64 s[26:27], 0
	s_waitcnt lgkmcnt(0)
	v_cndmask_b32_e32 v27, 0, v51, vcc
	v_add_u32_e32 v22, v27, v22
	ds_bpermute_b32 v27, v41, v22
	v_cmp_le_u32_e32 vcc, v42, v26
	s_waitcnt lgkmcnt(0)
	s_nop 0
	v_cndmask_b32_e32 v27, 0, v27, vcc
	v_add_u32_e32 v22, v22, v27
	ds_bpermute_b32 v27, v43, v22
	v_cmp_le_u32_e32 vcc, v44, v26
	s_waitcnt lgkmcnt(0)
	s_nop 0
	;; [unrolled: 6-line block ×5, first 2 shown]
	v_cndmask_b32_e32 v26, 0, v27, vcc
	v_add3_u32 v22, v26, v19, v22
.LBB1719_163:                           ;   in Loop: Header=BB1719_164 Depth=1
	s_and_b64 vcc, exec, s[26:27]
	s_cbranch_vccnz .LBB1719_170
.LBB1719_164:                           ; =>This Loop Header: Depth=1
                                        ;     Child Loop BB1719_167 Depth 2
	v_cmp_ne_u16_sdwa s[26:27], v23, v38 src0_sel:BYTE_0 src1_sel:DWORD
	v_mov_b32_e32 v19, v22
	s_cmp_lg_u64 s[26:27], exec
	s_mov_b64 s[26:27], -1
                                        ; implicit-def: $vgpr22
                                        ; implicit-def: $vgpr23
	s_cbranch_scc1 .LBB1719_163
; %bb.165:                              ;   in Loop: Header=BB1719_164 Depth=1
	v_lshl_add_u64 v[26:27], v[20:21], 3, s[38:39]
	global_load_dwordx2 v[22:23], v[26:27], off sc1
	s_waitcnt vmcnt(0)
	v_cmp_eq_u16_sdwa s[36:37], v23, v21 src0_sel:BYTE_0 src1_sel:DWORD
	s_and_saveexec_b64 s[26:27], s[36:37]
	s_cbranch_execz .LBB1719_162
; %bb.166:                              ;   in Loop: Header=BB1719_164 Depth=1
	s_mov_b64 s[36:37], 0
.LBB1719_167:                           ;   Parent Loop BB1719_164 Depth=1
                                        ; =>  This Inner Loop Header: Depth=2
	global_load_dwordx2 v[22:23], v[26:27], off sc1
	s_waitcnt vmcnt(0)
	v_cmp_ne_u16_sdwa s[40:41], v23, v21 src0_sel:BYTE_0 src1_sel:DWORD
	s_or_b64 s[36:37], s[40:41], s[36:37]
	s_andn2_b64 exec, exec, s[36:37]
	s_cbranch_execnz .LBB1719_167
; %bb.168:                              ;   in Loop: Header=BB1719_164 Depth=1
	s_or_b64 exec, exec, s[36:37]
	s_branch .LBB1719_162
.LBB1719_169:
                                        ; implicit-def: $vgpr22
                                        ; implicit-def: $vgpr24
                                        ; implicit-def: $vgpr26
                                        ; implicit-def: $vgpr28
                                        ; implicit-def: $vgpr30
                                        ; implicit-def: $vgpr20
                                        ; implicit-def: $vgpr18
	s_cbranch_execnz .LBB1719_175
	s_branch .LBB1719_184
.LBB1719_170:
	s_and_saveexec_b64 s[26:27], s[16:17]
	s_cbranch_execz .LBB1719_172
; %bb.171:
	s_add_i32 s36, s33, 64
	s_mov_b32 s37, 0
	s_lshl_b64 s[36:37], s[36:37], 3
	s_add_u32 s36, s38, s36
	v_add_u32_e32 v20, v19, v18
	v_mov_b32_e32 v21, 2
	s_addc_u32 s37, s39, s37
	v_mov_b32_e32 v22, 0
	global_store_dwordx2 v22, v[20:21], s[36:37] sc1
	ds_write_b64 v22, v[18:19] offset:5120
.LBB1719_172:
	s_or_b64 exec, exec, s[26:27]
	s_and_b64 exec, exec, s[18:19]
; %bb.173:
	v_mov_b32_e32 v18, 0
	ds_write_b32 v18, v19 offset:4
.LBB1719_174:
	s_or_b64 exec, exec, s[0:1]
	v_mov_b32_e32 v18, 0
	s_waitcnt lgkmcnt(0)
	s_barrier
	ds_read_b32 v19, v18 offset:4
	v_cndmask_b32_e64 v20, v30, v28, s[16:17]
	v_cndmask_b32_e64 v20, v20, 0, s[18:19]
	s_waitcnt lgkmcnt(0)
	s_barrier
	v_add_u32_e32 v30, v19, v20
	ds_read_b64 v[18:19], v18 offset:5120
	v_add_u32_e32 v28, v30, v1
	v_add_u32_e32 v26, v28, v15
	v_add_u32_e32 v24, v26, v17
	v_add_u32_e32 v22, v24, v29
	s_waitcnt lgkmcnt(0)
	v_mov_b32_e32 v20, v19
	s_branch .LBB1719_184
.LBB1719_175:
	v_mov_b32_dpp v18, v37 row_shr:1 row_mask:0xf bank_mask:0xf
	v_cndmask_b32_e64 v18, v18, 0, s[14:15]
	v_add_u32_e32 v18, v18, v37
	s_nop 1
	v_mov_b32_dpp v19, v18 row_shr:2 row_mask:0xf bank_mask:0xf
	v_cndmask_b32_e64 v19, 0, v19, s[12:13]
	v_add_u32_e32 v18, v18, v19
	s_nop 1
	;; [unrolled: 4-line block ×4, first 2 shown]
	v_mov_b32_dpp v19, v18 row_bcast:15 row_mask:0xf bank_mask:0xf
	v_cndmask_b32_e64 v19, v19, 0, s[6:7]
	v_add_u32_e32 v18, v18, v19
	s_nop 1
	v_mov_b32_dpp v19, v18 row_bcast:31 row_mask:0xf bank_mask:0xf
	v_cndmask_b32_e64 v19, 0, v19, s[2:3]
	v_add_u32_e32 v18, v18, v19
	s_and_saveexec_b64 s[0:1], s[4:5]
; %bb.176:
	v_lshlrev_b32_e32 v19, 2, v36
	ds_write_b32 v19, v18
; %bb.177:
	s_or_b64 exec, exec, s[0:1]
	v_cmp_gt_u32_e32 vcc, 2, v0
	s_waitcnt lgkmcnt(0)
	s_barrier
	s_and_saveexec_b64 s[0:1], vcc
	s_cbranch_execz .LBB1719_179
; %bb.178:
	v_lshlrev_b32_e32 v19, 2, v0
	ds_read_b32 v20, v19
	v_bfe_i32 v21, v31, 0, 1
	s_waitcnt lgkmcnt(0)
	v_mov_b32_dpp v22, v20 row_shr:1 row_mask:0xf bank_mask:0xf
	v_and_b32_e32 v21, v21, v22
	v_add_u32_e32 v20, v21, v20
	ds_write_b32 v19, v20
.LBB1719_179:
	s_or_b64 exec, exec, s[0:1]
	v_cmp_lt_u32_e32 vcc, 63, v0
	v_mov_b32_e32 v19, 0
	v_mov_b32_e32 v20, 0
	s_waitcnt lgkmcnt(0)
	s_barrier
	s_and_saveexec_b64 s[0:1], vcc
; %bb.180:
	v_lshl_add_u32 v20, v36, 2, -4
	ds_read_b32 v20, v20
; %bb.181:
	s_or_b64 exec, exec, s[0:1]
	v_subrev_co_u32_e32 v21, vcc, 1, v31
	v_and_b32_e32 v22, 64, v31
	v_cmp_lt_i32_e64 s[0:1], v21, v22
	s_waitcnt lgkmcnt(0)
	v_add_u32_e32 v18, v20, v18
	v_cndmask_b32_e64 v21, v21, v31, s[0:1]
	v_lshlrev_b32_e32 v21, 2, v21
	ds_bpermute_b32 v21, v21, v18
	ds_read_b32 v18, v19 offset:4
	s_and_saveexec_b64 s[0:1], s[18:19]
	s_cbranch_execz .LBB1719_183
; %bb.182:
	v_mov_b32_e32 v22, 0
	v_mov_b32_e32 v19, 2
	s_waitcnt lgkmcnt(0)
	global_store_dwordx2 v22, v[18:19], s[38:39] offset:512 sc1
.LBB1719_183:
	s_or_b64 exec, exec, s[0:1]
	s_waitcnt lgkmcnt(1)
	v_cndmask_b32_e32 v19, v21, v20, vcc
	v_cndmask_b32_e64 v30, v19, 0, s[18:19]
	v_add_u32_e32 v28, v30, v1
	v_add_u32_e32 v26, v28, v15
	;; [unrolled: 1-line block ×4, first 2 shown]
	s_waitcnt lgkmcnt(0)
	s_barrier
	v_mov_b32_e32 v20, 0
.LBB1719_184:
	s_movk_i32 s0, 0x81
	v_cmp_gt_u32_e64 s[2:3], s0, v18
	v_add_u32_e32 v15, v20, v18
	v_and_b32_e32 v1, 1, v16
	s_mov_b64 s[6:7], -1
	s_and_b64 vcc, exec, s[2:3]
	v_cmp_lt_u32_e64 s[0:1], v30, v15
	v_cmp_eq_u32_e64 s[4:5], 1, v1
	s_cbranch_vccz .LBB1719_196
; %bb.185:
	s_or_b64 s[0:1], s[34:35], s[0:1]
	s_and_b64 s[4:5], s[0:1], s[4:5]
	s_and_saveexec_b64 s[0:1], s[4:5]
	s_cbranch_execz .LBB1719_187
; %bb.186:
	s_lshl_b64 s[4:5], s[22:23], 3
	s_add_u32 s4, s28, s4
	s_addc_u32 s5, s29, s5
	v_mov_b32_e32 v31, 0
	v_lshl_add_u64 v[16:17], v[30:31], 3, s[4:5]
	global_store_dwordx2 v[16:17], v[6:7], off
.LBB1719_187:
	s_or_b64 exec, exec, s[0:1]
	v_cmp_lt_u32_e32 vcc, v28, v15
	v_and_b32_e32 v16, 1, v35
	s_or_b64 s[0:1], s[34:35], vcc
	v_cmp_eq_u32_e32 vcc, 1, v16
	s_and_b64 s[4:5], s[0:1], vcc
	s_and_saveexec_b64 s[0:1], s[4:5]
	s_cbranch_execz .LBB1719_189
; %bb.188:
	s_lshl_b64 s[4:5], s[22:23], 3
	s_add_u32 s4, s28, s4
	s_addc_u32 s5, s29, s5
	v_mov_b32_e32 v29, 0
	v_lshl_add_u64 v[16:17], v[28:29], 3, s[4:5]
	global_store_dwordx2 v[16:17], v[8:9], off
.LBB1719_189:
	s_or_b64 exec, exec, s[0:1]
	v_cmp_lt_u32_e32 vcc, v26, v15
	v_and_b32_e32 v16, 1, v34
	s_or_b64 s[0:1], s[34:35], vcc
	v_cmp_eq_u32_e32 vcc, 1, v16
	s_and_b64 s[4:5], s[0:1], vcc
	;; [unrolled: 16-line block ×4, first 2 shown]
	s_and_saveexec_b64 s[0:1], s[4:5]
	s_cbranch_execz .LBB1719_195
; %bb.194:
	s_lshl_b64 s[4:5], s[22:23], 3
	s_add_u32 s4, s28, s4
	s_addc_u32 s5, s29, s5
	v_mov_b32_e32 v23, 0
	v_lshl_add_u64 v[16:17], v[22:23], 3, s[4:5]
	global_store_dwordx2 v[16:17], v[12:13], off
.LBB1719_195:
	s_or_b64 exec, exec, s[0:1]
	s_mov_b64 s[6:7], 0
.LBB1719_196:
	s_and_b64 vcc, exec, s[6:7]
	s_cbranch_vccz .LBB1719_210
; %bb.197:
	v_cmp_eq_u32_e32 vcc, 1, v1
	s_and_saveexec_b64 s[0:1], vcc
; %bb.198:
	v_sub_u32_e32 v16, v30, v20
	v_lshlrev_b32_e32 v16, 3, v16
	ds_write_b64 v16, v[6:7]
; %bb.199:
	s_or_b64 exec, exec, s[0:1]
	v_and_b32_e32 v6, 1, v35
	v_cmp_eq_u32_e32 vcc, 1, v6
	s_and_saveexec_b64 s[0:1], vcc
; %bb.200:
	v_sub_u32_e32 v6, v28, v20
	v_lshlrev_b32_e32 v6, 3, v6
	ds_write_b64 v6, v[8:9]
; %bb.201:
	s_or_b64 exec, exec, s[0:1]
	v_and_b32_e32 v6, 1, v34
	;; [unrolled: 9-line block ×4, first 2 shown]
	v_cmp_eq_u32_e32 vcc, 1, v2
	s_and_saveexec_b64 s[0:1], vcc
; %bb.206:
	v_sub_u32_e32 v2, v22, v20
	v_lshlrev_b32_e32 v2, 3, v2
	ds_write_b64 v2, v[12:13]
; %bb.207:
	s_or_b64 exec, exec, s[0:1]
	v_mov_b32_e32 v3, 0
	v_mov_b32_e32 v21, v3
	v_lshlrev_b64 v[4:5], 3, v[20:21]
	v_lshl_add_u64 v[4:5], s[28:29], 0, v[4:5]
	s_lshl_b64 s[0:1], s[22:23], 3
	v_lshl_add_u64 v[4:5], v[4:5], 0, s[0:1]
	v_lshlrev_b32_e32 v6, 3, v0
	s_mov_b64 s[0:1], 0
	v_mov_b32_e32 v2, v0
	s_waitcnt lgkmcnt(0)
	s_barrier
.LBB1719_208:                           ; =>This Inner Loop Header: Depth=1
	ds_read_b64 v[8:9], v6
	v_lshl_add_u64 v[12:13], v[2:3], 3, v[4:5]
	v_add_u32_e32 v2, 0x80, v2
	v_cmp_ge_u32_e32 vcc, v2, v18
	v_add_u32_e32 v6, 0x400, v6
	s_or_b64 s[0:1], vcc, s[0:1]
	s_waitcnt lgkmcnt(0)
	global_store_dwordx2 v[12:13], v[8:9], off
	s_andn2_b64 exec, exec, s[0:1]
	s_cbranch_execnz .LBB1719_208
; %bb.209:
	s_or_b64 exec, exec, s[0:1]
.LBB1719_210:
	s_mov_b64 s[0:1], -1
	s_and_b64 vcc, exec, s[2:3]
	s_barrier
	s_cbranch_vccnz .LBB1719_214
; %bb.211:
	s_and_b64 vcc, exec, s[0:1]
	s_cbranch_vccnz .LBB1719_225
.LBB1719_212:
	s_and_b64 s[0:1], s[18:19], s[24:25]
	s_and_saveexec_b64 s[2:3], s[0:1]
	s_cbranch_execnz .LBB1719_238
.LBB1719_213:
	s_endpgm
.LBB1719_214:
	v_cmp_lt_u32_e32 vcc, v30, v15
	s_or_b64 s[0:1], s[34:35], vcc
	v_cmp_eq_u32_e32 vcc, 1, v1
	s_and_b64 s[2:3], s[0:1], vcc
	s_and_saveexec_b64 s[0:1], s[2:3]
	s_cbranch_execz .LBB1719_216
; %bb.215:
	s_lshl_b64 s[2:3], s[22:23], 3
	s_add_u32 s2, s30, s2
	s_addc_u32 s3, s31, s3
	v_mov_b32_e32 v31, 0
	v_lshl_add_u64 v[2:3], v[30:31], 3, s[2:3]
	global_store_dwordx2 v[2:3], v[56:57], off
.LBB1719_216:
	s_or_b64 exec, exec, s[0:1]
	v_cmp_lt_u32_e32 vcc, v28, v15
	v_and_b32_e32 v2, 1, v35
	s_or_b64 s[0:1], s[34:35], vcc
	v_cmp_eq_u32_e32 vcc, 1, v2
	s_and_b64 s[2:3], s[0:1], vcc
	s_and_saveexec_b64 s[0:1], s[2:3]
	s_cbranch_execz .LBB1719_218
; %bb.217:
	s_lshl_b64 s[2:3], s[22:23], 3
	s_add_u32 s2, s30, s2
	s_addc_u32 s3, s31, s3
	v_mov_b32_e32 v29, 0
	v_lshl_add_u64 v[2:3], v[28:29], 3, s[2:3]
	global_store_dwordx2 v[2:3], v[58:59], off
.LBB1719_218:
	s_or_b64 exec, exec, s[0:1]
	v_cmp_lt_u32_e32 vcc, v26, v15
	v_and_b32_e32 v2, 1, v34
	;; [unrolled: 16-line block ×4, first 2 shown]
	s_or_b64 s[0:1], s[34:35], vcc
	v_cmp_eq_u32_e32 vcc, 1, v2
	s_and_b64 s[2:3], s[0:1], vcc
	s_and_saveexec_b64 s[0:1], s[2:3]
	s_cbranch_execz .LBB1719_224
; %bb.223:
	s_lshl_b64 s[2:3], s[22:23], 3
	s_add_u32 s2, s30, s2
	s_addc_u32 s3, s31, s3
	v_mov_b32_e32 v23, 0
	v_lshl_add_u64 v[2:3], v[22:23], 3, s[2:3]
	global_store_dwordx2 v[2:3], v[10:11], off
.LBB1719_224:
	s_or_b64 exec, exec, s[0:1]
	s_branch .LBB1719_212
.LBB1719_225:
	v_cmp_eq_u32_e32 vcc, 1, v1
	s_and_saveexec_b64 s[0:1], vcc
; %bb.226:
	v_sub_u32_e32 v1, v30, v20
	v_lshlrev_b32_e32 v1, 3, v1
	ds_write_b64 v1, v[56:57]
; %bb.227:
	s_or_b64 exec, exec, s[0:1]
	v_and_b32_e32 v1, 1, v35
	v_cmp_eq_u32_e32 vcc, 1, v1
	s_and_saveexec_b64 s[0:1], vcc
; %bb.228:
	v_sub_u32_e32 v1, v28, v20
	v_lshlrev_b32_e32 v1, 3, v1
	ds_write_b64 v1, v[58:59]
; %bb.229:
	s_or_b64 exec, exec, s[0:1]
	v_and_b32_e32 v1, 1, v34
	;; [unrolled: 9-line block ×4, first 2 shown]
	v_cmp_eq_u32_e32 vcc, 1, v1
	s_and_saveexec_b64 s[0:1], vcc
; %bb.234:
	v_sub_u32_e32 v1, v22, v20
	v_lshlrev_b32_e32 v1, 3, v1
	ds_write_b64 v1, v[10:11]
; %bb.235:
	s_or_b64 exec, exec, s[0:1]
	v_mov_b32_e32 v1, 0
	v_mov_b32_e32 v21, v1
	v_lshlrev_b64 v[2:3], 3, v[20:21]
	v_lshl_add_u64 v[2:3], s[30:31], 0, v[2:3]
	s_lshl_b64 s[0:1], s[22:23], 3
	v_lshl_add_u64 v[2:3], v[2:3], 0, s[0:1]
	s_mov_b64 s[0:1], 0
	s_waitcnt lgkmcnt(0)
	s_barrier
.LBB1719_236:                           ; =>This Inner Loop Header: Depth=1
	ds_read_b64 v[4:5], v32
	v_lshl_add_u64 v[6:7], v[0:1], 3, v[2:3]
	v_add_u32_e32 v0, 0x80, v0
	v_cmp_ge_u32_e32 vcc, v0, v18
	v_add_u32_e32 v32, 0x400, v32
	s_or_b64 s[0:1], vcc, s[0:1]
	s_waitcnt lgkmcnt(0)
	global_store_dwordx2 v[6:7], v[4:5], off
	s_andn2_b64 exec, exec, s[0:1]
	s_cbranch_execnz .LBB1719_236
; %bb.237:
	s_or_b64 exec, exec, s[0:1]
	s_and_b64 s[0:1], s[18:19], s[24:25]
	s_and_saveexec_b64 s[2:3], s[0:1]
	s_cbranch_execz .LBB1719_213
.LBB1719_238:
	v_mov_b32_e32 v19, 0
	v_lshl_add_u64 v[0:1], s[22:23], 0, v[18:19]
	v_mov_b32_e32 v21, v19
	v_lshl_add_u64 v[0:1], v[0:1], 0, v[20:21]
	global_store_dwordx2 v19, v[0:1], s[20:21]
	s_endpgm
	.section	.rodata,"a",@progbits
	.p2align	6, 0x0
	.amdhsa_kernel _ZN7rocprim17ROCPRIM_400000_NS6detail17trampoline_kernelINS0_14default_configENS1_25partition_config_selectorILNS1_17partition_subalgoE9EllbEEZZNS1_14partition_implILS5_9ELb0ES3_jPlS8_PNS0_10empty_typeENS0_5tupleIJS8_S9_EEENSB_IJS8_SA_EEENS0_18inequality_wrapperIZN2at6native12_GLOBAL__N_124unique_dim_cuda_templateImEESt5tupleIJNSF_6TensorESK_SK_EERKSK_lbbbEUlllE0_EEPmJS9_EEE10hipError_tPvRmT3_T4_T5_T6_T7_T9_mT8_P12ihipStream_tbDpT10_ENKUlT_T0_E_clISt17integral_constantIbLb0EES19_IbLb1EEEEDaS15_S16_EUlS15_E_NS1_11comp_targetILNS1_3genE0ELNS1_11target_archE4294967295ELNS1_3gpuE0ELNS1_3repE0EEENS1_30default_config_static_selectorELNS0_4arch9wavefront6targetE1EEEvT1_
		.amdhsa_group_segment_fixed_size 5128
		.amdhsa_private_segment_fixed_size 0
		.amdhsa_kernarg_size 136
		.amdhsa_user_sgpr_count 2
		.amdhsa_user_sgpr_dispatch_ptr 0
		.amdhsa_user_sgpr_queue_ptr 0
		.amdhsa_user_sgpr_kernarg_segment_ptr 1
		.amdhsa_user_sgpr_dispatch_id 0
		.amdhsa_user_sgpr_kernarg_preload_length 0
		.amdhsa_user_sgpr_kernarg_preload_offset 0
		.amdhsa_user_sgpr_private_segment_size 0
		.amdhsa_uses_dynamic_stack 0
		.amdhsa_enable_private_segment 0
		.amdhsa_system_sgpr_workgroup_id_x 1
		.amdhsa_system_sgpr_workgroup_id_y 0
		.amdhsa_system_sgpr_workgroup_id_z 0
		.amdhsa_system_sgpr_workgroup_info 0
		.amdhsa_system_vgpr_workitem_id 0
		.amdhsa_next_free_vgpr 60
		.amdhsa_next_free_sgpr 52
		.amdhsa_accum_offset 60
		.amdhsa_reserve_vcc 1
		.amdhsa_float_round_mode_32 0
		.amdhsa_float_round_mode_16_64 0
		.amdhsa_float_denorm_mode_32 3
		.amdhsa_float_denorm_mode_16_64 3
		.amdhsa_dx10_clamp 1
		.amdhsa_ieee_mode 1
		.amdhsa_fp16_overflow 0
		.amdhsa_tg_split 0
		.amdhsa_exception_fp_ieee_invalid_op 0
		.amdhsa_exception_fp_denorm_src 0
		.amdhsa_exception_fp_ieee_div_zero 0
		.amdhsa_exception_fp_ieee_overflow 0
		.amdhsa_exception_fp_ieee_underflow 0
		.amdhsa_exception_fp_ieee_inexact 0
		.amdhsa_exception_int_div_zero 0
	.end_amdhsa_kernel
	.section	.text._ZN7rocprim17ROCPRIM_400000_NS6detail17trampoline_kernelINS0_14default_configENS1_25partition_config_selectorILNS1_17partition_subalgoE9EllbEEZZNS1_14partition_implILS5_9ELb0ES3_jPlS8_PNS0_10empty_typeENS0_5tupleIJS8_S9_EEENSB_IJS8_SA_EEENS0_18inequality_wrapperIZN2at6native12_GLOBAL__N_124unique_dim_cuda_templateImEESt5tupleIJNSF_6TensorESK_SK_EERKSK_lbbbEUlllE0_EEPmJS9_EEE10hipError_tPvRmT3_T4_T5_T6_T7_T9_mT8_P12ihipStream_tbDpT10_ENKUlT_T0_E_clISt17integral_constantIbLb0EES19_IbLb1EEEEDaS15_S16_EUlS15_E_NS1_11comp_targetILNS1_3genE0ELNS1_11target_archE4294967295ELNS1_3gpuE0ELNS1_3repE0EEENS1_30default_config_static_selectorELNS0_4arch9wavefront6targetE1EEEvT1_,"axG",@progbits,_ZN7rocprim17ROCPRIM_400000_NS6detail17trampoline_kernelINS0_14default_configENS1_25partition_config_selectorILNS1_17partition_subalgoE9EllbEEZZNS1_14partition_implILS5_9ELb0ES3_jPlS8_PNS0_10empty_typeENS0_5tupleIJS8_S9_EEENSB_IJS8_SA_EEENS0_18inequality_wrapperIZN2at6native12_GLOBAL__N_124unique_dim_cuda_templateImEESt5tupleIJNSF_6TensorESK_SK_EERKSK_lbbbEUlllE0_EEPmJS9_EEE10hipError_tPvRmT3_T4_T5_T6_T7_T9_mT8_P12ihipStream_tbDpT10_ENKUlT_T0_E_clISt17integral_constantIbLb0EES19_IbLb1EEEEDaS15_S16_EUlS15_E_NS1_11comp_targetILNS1_3genE0ELNS1_11target_archE4294967295ELNS1_3gpuE0ELNS1_3repE0EEENS1_30default_config_static_selectorELNS0_4arch9wavefront6targetE1EEEvT1_,comdat
.Lfunc_end1719:
	.size	_ZN7rocprim17ROCPRIM_400000_NS6detail17trampoline_kernelINS0_14default_configENS1_25partition_config_selectorILNS1_17partition_subalgoE9EllbEEZZNS1_14partition_implILS5_9ELb0ES3_jPlS8_PNS0_10empty_typeENS0_5tupleIJS8_S9_EEENSB_IJS8_SA_EEENS0_18inequality_wrapperIZN2at6native12_GLOBAL__N_124unique_dim_cuda_templateImEESt5tupleIJNSF_6TensorESK_SK_EERKSK_lbbbEUlllE0_EEPmJS9_EEE10hipError_tPvRmT3_T4_T5_T6_T7_T9_mT8_P12ihipStream_tbDpT10_ENKUlT_T0_E_clISt17integral_constantIbLb0EES19_IbLb1EEEEDaS15_S16_EUlS15_E_NS1_11comp_targetILNS1_3genE0ELNS1_11target_archE4294967295ELNS1_3gpuE0ELNS1_3repE0EEENS1_30default_config_static_selectorELNS0_4arch9wavefront6targetE1EEEvT1_, .Lfunc_end1719-_ZN7rocprim17ROCPRIM_400000_NS6detail17trampoline_kernelINS0_14default_configENS1_25partition_config_selectorILNS1_17partition_subalgoE9EllbEEZZNS1_14partition_implILS5_9ELb0ES3_jPlS8_PNS0_10empty_typeENS0_5tupleIJS8_S9_EEENSB_IJS8_SA_EEENS0_18inequality_wrapperIZN2at6native12_GLOBAL__N_124unique_dim_cuda_templateImEESt5tupleIJNSF_6TensorESK_SK_EERKSK_lbbbEUlllE0_EEPmJS9_EEE10hipError_tPvRmT3_T4_T5_T6_T7_T9_mT8_P12ihipStream_tbDpT10_ENKUlT_T0_E_clISt17integral_constantIbLb0EES19_IbLb1EEEEDaS15_S16_EUlS15_E_NS1_11comp_targetILNS1_3genE0ELNS1_11target_archE4294967295ELNS1_3gpuE0ELNS1_3repE0EEENS1_30default_config_static_selectorELNS0_4arch9wavefront6targetE1EEEvT1_
                                        ; -- End function
	.set _ZN7rocprim17ROCPRIM_400000_NS6detail17trampoline_kernelINS0_14default_configENS1_25partition_config_selectorILNS1_17partition_subalgoE9EllbEEZZNS1_14partition_implILS5_9ELb0ES3_jPlS8_PNS0_10empty_typeENS0_5tupleIJS8_S9_EEENSB_IJS8_SA_EEENS0_18inequality_wrapperIZN2at6native12_GLOBAL__N_124unique_dim_cuda_templateImEESt5tupleIJNSF_6TensorESK_SK_EERKSK_lbbbEUlllE0_EEPmJS9_EEE10hipError_tPvRmT3_T4_T5_T6_T7_T9_mT8_P12ihipStream_tbDpT10_ENKUlT_T0_E_clISt17integral_constantIbLb0EES19_IbLb1EEEEDaS15_S16_EUlS15_E_NS1_11comp_targetILNS1_3genE0ELNS1_11target_archE4294967295ELNS1_3gpuE0ELNS1_3repE0EEENS1_30default_config_static_selectorELNS0_4arch9wavefront6targetE1EEEvT1_.num_vgpr, 60
	.set _ZN7rocprim17ROCPRIM_400000_NS6detail17trampoline_kernelINS0_14default_configENS1_25partition_config_selectorILNS1_17partition_subalgoE9EllbEEZZNS1_14partition_implILS5_9ELb0ES3_jPlS8_PNS0_10empty_typeENS0_5tupleIJS8_S9_EEENSB_IJS8_SA_EEENS0_18inequality_wrapperIZN2at6native12_GLOBAL__N_124unique_dim_cuda_templateImEESt5tupleIJNSF_6TensorESK_SK_EERKSK_lbbbEUlllE0_EEPmJS9_EEE10hipError_tPvRmT3_T4_T5_T6_T7_T9_mT8_P12ihipStream_tbDpT10_ENKUlT_T0_E_clISt17integral_constantIbLb0EES19_IbLb1EEEEDaS15_S16_EUlS15_E_NS1_11comp_targetILNS1_3genE0ELNS1_11target_archE4294967295ELNS1_3gpuE0ELNS1_3repE0EEENS1_30default_config_static_selectorELNS0_4arch9wavefront6targetE1EEEvT1_.num_agpr, 0
	.set _ZN7rocprim17ROCPRIM_400000_NS6detail17trampoline_kernelINS0_14default_configENS1_25partition_config_selectorILNS1_17partition_subalgoE9EllbEEZZNS1_14partition_implILS5_9ELb0ES3_jPlS8_PNS0_10empty_typeENS0_5tupleIJS8_S9_EEENSB_IJS8_SA_EEENS0_18inequality_wrapperIZN2at6native12_GLOBAL__N_124unique_dim_cuda_templateImEESt5tupleIJNSF_6TensorESK_SK_EERKSK_lbbbEUlllE0_EEPmJS9_EEE10hipError_tPvRmT3_T4_T5_T6_T7_T9_mT8_P12ihipStream_tbDpT10_ENKUlT_T0_E_clISt17integral_constantIbLb0EES19_IbLb1EEEEDaS15_S16_EUlS15_E_NS1_11comp_targetILNS1_3genE0ELNS1_11target_archE4294967295ELNS1_3gpuE0ELNS1_3repE0EEENS1_30default_config_static_selectorELNS0_4arch9wavefront6targetE1EEEvT1_.numbered_sgpr, 52
	.set _ZN7rocprim17ROCPRIM_400000_NS6detail17trampoline_kernelINS0_14default_configENS1_25partition_config_selectorILNS1_17partition_subalgoE9EllbEEZZNS1_14partition_implILS5_9ELb0ES3_jPlS8_PNS0_10empty_typeENS0_5tupleIJS8_S9_EEENSB_IJS8_SA_EEENS0_18inequality_wrapperIZN2at6native12_GLOBAL__N_124unique_dim_cuda_templateImEESt5tupleIJNSF_6TensorESK_SK_EERKSK_lbbbEUlllE0_EEPmJS9_EEE10hipError_tPvRmT3_T4_T5_T6_T7_T9_mT8_P12ihipStream_tbDpT10_ENKUlT_T0_E_clISt17integral_constantIbLb0EES19_IbLb1EEEEDaS15_S16_EUlS15_E_NS1_11comp_targetILNS1_3genE0ELNS1_11target_archE4294967295ELNS1_3gpuE0ELNS1_3repE0EEENS1_30default_config_static_selectorELNS0_4arch9wavefront6targetE1EEEvT1_.num_named_barrier, 0
	.set _ZN7rocprim17ROCPRIM_400000_NS6detail17trampoline_kernelINS0_14default_configENS1_25partition_config_selectorILNS1_17partition_subalgoE9EllbEEZZNS1_14partition_implILS5_9ELb0ES3_jPlS8_PNS0_10empty_typeENS0_5tupleIJS8_S9_EEENSB_IJS8_SA_EEENS0_18inequality_wrapperIZN2at6native12_GLOBAL__N_124unique_dim_cuda_templateImEESt5tupleIJNSF_6TensorESK_SK_EERKSK_lbbbEUlllE0_EEPmJS9_EEE10hipError_tPvRmT3_T4_T5_T6_T7_T9_mT8_P12ihipStream_tbDpT10_ENKUlT_T0_E_clISt17integral_constantIbLb0EES19_IbLb1EEEEDaS15_S16_EUlS15_E_NS1_11comp_targetILNS1_3genE0ELNS1_11target_archE4294967295ELNS1_3gpuE0ELNS1_3repE0EEENS1_30default_config_static_selectorELNS0_4arch9wavefront6targetE1EEEvT1_.private_seg_size, 0
	.set _ZN7rocprim17ROCPRIM_400000_NS6detail17trampoline_kernelINS0_14default_configENS1_25partition_config_selectorILNS1_17partition_subalgoE9EllbEEZZNS1_14partition_implILS5_9ELb0ES3_jPlS8_PNS0_10empty_typeENS0_5tupleIJS8_S9_EEENSB_IJS8_SA_EEENS0_18inequality_wrapperIZN2at6native12_GLOBAL__N_124unique_dim_cuda_templateImEESt5tupleIJNSF_6TensorESK_SK_EERKSK_lbbbEUlllE0_EEPmJS9_EEE10hipError_tPvRmT3_T4_T5_T6_T7_T9_mT8_P12ihipStream_tbDpT10_ENKUlT_T0_E_clISt17integral_constantIbLb0EES19_IbLb1EEEEDaS15_S16_EUlS15_E_NS1_11comp_targetILNS1_3genE0ELNS1_11target_archE4294967295ELNS1_3gpuE0ELNS1_3repE0EEENS1_30default_config_static_selectorELNS0_4arch9wavefront6targetE1EEEvT1_.uses_vcc, 1
	.set _ZN7rocprim17ROCPRIM_400000_NS6detail17trampoline_kernelINS0_14default_configENS1_25partition_config_selectorILNS1_17partition_subalgoE9EllbEEZZNS1_14partition_implILS5_9ELb0ES3_jPlS8_PNS0_10empty_typeENS0_5tupleIJS8_S9_EEENSB_IJS8_SA_EEENS0_18inequality_wrapperIZN2at6native12_GLOBAL__N_124unique_dim_cuda_templateImEESt5tupleIJNSF_6TensorESK_SK_EERKSK_lbbbEUlllE0_EEPmJS9_EEE10hipError_tPvRmT3_T4_T5_T6_T7_T9_mT8_P12ihipStream_tbDpT10_ENKUlT_T0_E_clISt17integral_constantIbLb0EES19_IbLb1EEEEDaS15_S16_EUlS15_E_NS1_11comp_targetILNS1_3genE0ELNS1_11target_archE4294967295ELNS1_3gpuE0ELNS1_3repE0EEENS1_30default_config_static_selectorELNS0_4arch9wavefront6targetE1EEEvT1_.uses_flat_scratch, 0
	.set _ZN7rocprim17ROCPRIM_400000_NS6detail17trampoline_kernelINS0_14default_configENS1_25partition_config_selectorILNS1_17partition_subalgoE9EllbEEZZNS1_14partition_implILS5_9ELb0ES3_jPlS8_PNS0_10empty_typeENS0_5tupleIJS8_S9_EEENSB_IJS8_SA_EEENS0_18inequality_wrapperIZN2at6native12_GLOBAL__N_124unique_dim_cuda_templateImEESt5tupleIJNSF_6TensorESK_SK_EERKSK_lbbbEUlllE0_EEPmJS9_EEE10hipError_tPvRmT3_T4_T5_T6_T7_T9_mT8_P12ihipStream_tbDpT10_ENKUlT_T0_E_clISt17integral_constantIbLb0EES19_IbLb1EEEEDaS15_S16_EUlS15_E_NS1_11comp_targetILNS1_3genE0ELNS1_11target_archE4294967295ELNS1_3gpuE0ELNS1_3repE0EEENS1_30default_config_static_selectorELNS0_4arch9wavefront6targetE1EEEvT1_.has_dyn_sized_stack, 0
	.set _ZN7rocprim17ROCPRIM_400000_NS6detail17trampoline_kernelINS0_14default_configENS1_25partition_config_selectorILNS1_17partition_subalgoE9EllbEEZZNS1_14partition_implILS5_9ELb0ES3_jPlS8_PNS0_10empty_typeENS0_5tupleIJS8_S9_EEENSB_IJS8_SA_EEENS0_18inequality_wrapperIZN2at6native12_GLOBAL__N_124unique_dim_cuda_templateImEESt5tupleIJNSF_6TensorESK_SK_EERKSK_lbbbEUlllE0_EEPmJS9_EEE10hipError_tPvRmT3_T4_T5_T6_T7_T9_mT8_P12ihipStream_tbDpT10_ENKUlT_T0_E_clISt17integral_constantIbLb0EES19_IbLb1EEEEDaS15_S16_EUlS15_E_NS1_11comp_targetILNS1_3genE0ELNS1_11target_archE4294967295ELNS1_3gpuE0ELNS1_3repE0EEENS1_30default_config_static_selectorELNS0_4arch9wavefront6targetE1EEEvT1_.has_recursion, 0
	.set _ZN7rocprim17ROCPRIM_400000_NS6detail17trampoline_kernelINS0_14default_configENS1_25partition_config_selectorILNS1_17partition_subalgoE9EllbEEZZNS1_14partition_implILS5_9ELb0ES3_jPlS8_PNS0_10empty_typeENS0_5tupleIJS8_S9_EEENSB_IJS8_SA_EEENS0_18inequality_wrapperIZN2at6native12_GLOBAL__N_124unique_dim_cuda_templateImEESt5tupleIJNSF_6TensorESK_SK_EERKSK_lbbbEUlllE0_EEPmJS9_EEE10hipError_tPvRmT3_T4_T5_T6_T7_T9_mT8_P12ihipStream_tbDpT10_ENKUlT_T0_E_clISt17integral_constantIbLb0EES19_IbLb1EEEEDaS15_S16_EUlS15_E_NS1_11comp_targetILNS1_3genE0ELNS1_11target_archE4294967295ELNS1_3gpuE0ELNS1_3repE0EEENS1_30default_config_static_selectorELNS0_4arch9wavefront6targetE1EEEvT1_.has_indirect_call, 0
	.section	.AMDGPU.csdata,"",@progbits
; Kernel info:
; codeLenInByte = 9596
; TotalNumSgprs: 58
; NumVgprs: 60
; NumAgprs: 0
; TotalNumVgprs: 60
; ScratchSize: 0
; MemoryBound: 0
; FloatMode: 240
; IeeeMode: 1
; LDSByteSize: 5128 bytes/workgroup (compile time only)
; SGPRBlocks: 7
; VGPRBlocks: 7
; NumSGPRsForWavesPerEU: 58
; NumVGPRsForWavesPerEU: 60
; AccumOffset: 60
; Occupancy: 8
; WaveLimiterHint : 1
; COMPUTE_PGM_RSRC2:SCRATCH_EN: 0
; COMPUTE_PGM_RSRC2:USER_SGPR: 2
; COMPUTE_PGM_RSRC2:TRAP_HANDLER: 0
; COMPUTE_PGM_RSRC2:TGID_X_EN: 1
; COMPUTE_PGM_RSRC2:TGID_Y_EN: 0
; COMPUTE_PGM_RSRC2:TGID_Z_EN: 0
; COMPUTE_PGM_RSRC2:TIDIG_COMP_CNT: 0
; COMPUTE_PGM_RSRC3_GFX90A:ACCUM_OFFSET: 14
; COMPUTE_PGM_RSRC3_GFX90A:TG_SPLIT: 0
	.section	.text._ZN7rocprim17ROCPRIM_400000_NS6detail17trampoline_kernelINS0_14default_configENS1_25partition_config_selectorILNS1_17partition_subalgoE9EllbEEZZNS1_14partition_implILS5_9ELb0ES3_jPlS8_PNS0_10empty_typeENS0_5tupleIJS8_S9_EEENSB_IJS8_SA_EEENS0_18inequality_wrapperIZN2at6native12_GLOBAL__N_124unique_dim_cuda_templateImEESt5tupleIJNSF_6TensorESK_SK_EERKSK_lbbbEUlllE0_EEPmJS9_EEE10hipError_tPvRmT3_T4_T5_T6_T7_T9_mT8_P12ihipStream_tbDpT10_ENKUlT_T0_E_clISt17integral_constantIbLb0EES19_IbLb1EEEEDaS15_S16_EUlS15_E_NS1_11comp_targetILNS1_3genE5ELNS1_11target_archE942ELNS1_3gpuE9ELNS1_3repE0EEENS1_30default_config_static_selectorELNS0_4arch9wavefront6targetE1EEEvT1_,"axG",@progbits,_ZN7rocprim17ROCPRIM_400000_NS6detail17trampoline_kernelINS0_14default_configENS1_25partition_config_selectorILNS1_17partition_subalgoE9EllbEEZZNS1_14partition_implILS5_9ELb0ES3_jPlS8_PNS0_10empty_typeENS0_5tupleIJS8_S9_EEENSB_IJS8_SA_EEENS0_18inequality_wrapperIZN2at6native12_GLOBAL__N_124unique_dim_cuda_templateImEESt5tupleIJNSF_6TensorESK_SK_EERKSK_lbbbEUlllE0_EEPmJS9_EEE10hipError_tPvRmT3_T4_T5_T6_T7_T9_mT8_P12ihipStream_tbDpT10_ENKUlT_T0_E_clISt17integral_constantIbLb0EES19_IbLb1EEEEDaS15_S16_EUlS15_E_NS1_11comp_targetILNS1_3genE5ELNS1_11target_archE942ELNS1_3gpuE9ELNS1_3repE0EEENS1_30default_config_static_selectorELNS0_4arch9wavefront6targetE1EEEvT1_,comdat
	.globl	_ZN7rocprim17ROCPRIM_400000_NS6detail17trampoline_kernelINS0_14default_configENS1_25partition_config_selectorILNS1_17partition_subalgoE9EllbEEZZNS1_14partition_implILS5_9ELb0ES3_jPlS8_PNS0_10empty_typeENS0_5tupleIJS8_S9_EEENSB_IJS8_SA_EEENS0_18inequality_wrapperIZN2at6native12_GLOBAL__N_124unique_dim_cuda_templateImEESt5tupleIJNSF_6TensorESK_SK_EERKSK_lbbbEUlllE0_EEPmJS9_EEE10hipError_tPvRmT3_T4_T5_T6_T7_T9_mT8_P12ihipStream_tbDpT10_ENKUlT_T0_E_clISt17integral_constantIbLb0EES19_IbLb1EEEEDaS15_S16_EUlS15_E_NS1_11comp_targetILNS1_3genE5ELNS1_11target_archE942ELNS1_3gpuE9ELNS1_3repE0EEENS1_30default_config_static_selectorELNS0_4arch9wavefront6targetE1EEEvT1_ ; -- Begin function _ZN7rocprim17ROCPRIM_400000_NS6detail17trampoline_kernelINS0_14default_configENS1_25partition_config_selectorILNS1_17partition_subalgoE9EllbEEZZNS1_14partition_implILS5_9ELb0ES3_jPlS8_PNS0_10empty_typeENS0_5tupleIJS8_S9_EEENSB_IJS8_SA_EEENS0_18inequality_wrapperIZN2at6native12_GLOBAL__N_124unique_dim_cuda_templateImEESt5tupleIJNSF_6TensorESK_SK_EERKSK_lbbbEUlllE0_EEPmJS9_EEE10hipError_tPvRmT3_T4_T5_T6_T7_T9_mT8_P12ihipStream_tbDpT10_ENKUlT_T0_E_clISt17integral_constantIbLb0EES19_IbLb1EEEEDaS15_S16_EUlS15_E_NS1_11comp_targetILNS1_3genE5ELNS1_11target_archE942ELNS1_3gpuE9ELNS1_3repE0EEENS1_30default_config_static_selectorELNS0_4arch9wavefront6targetE1EEEvT1_
	.p2align	8
	.type	_ZN7rocprim17ROCPRIM_400000_NS6detail17trampoline_kernelINS0_14default_configENS1_25partition_config_selectorILNS1_17partition_subalgoE9EllbEEZZNS1_14partition_implILS5_9ELb0ES3_jPlS8_PNS0_10empty_typeENS0_5tupleIJS8_S9_EEENSB_IJS8_SA_EEENS0_18inequality_wrapperIZN2at6native12_GLOBAL__N_124unique_dim_cuda_templateImEESt5tupleIJNSF_6TensorESK_SK_EERKSK_lbbbEUlllE0_EEPmJS9_EEE10hipError_tPvRmT3_T4_T5_T6_T7_T9_mT8_P12ihipStream_tbDpT10_ENKUlT_T0_E_clISt17integral_constantIbLb0EES19_IbLb1EEEEDaS15_S16_EUlS15_E_NS1_11comp_targetILNS1_3genE5ELNS1_11target_archE942ELNS1_3gpuE9ELNS1_3repE0EEENS1_30default_config_static_selectorELNS0_4arch9wavefront6targetE1EEEvT1_,@function
_ZN7rocprim17ROCPRIM_400000_NS6detail17trampoline_kernelINS0_14default_configENS1_25partition_config_selectorILNS1_17partition_subalgoE9EllbEEZZNS1_14partition_implILS5_9ELb0ES3_jPlS8_PNS0_10empty_typeENS0_5tupleIJS8_S9_EEENSB_IJS8_SA_EEENS0_18inequality_wrapperIZN2at6native12_GLOBAL__N_124unique_dim_cuda_templateImEESt5tupleIJNSF_6TensorESK_SK_EERKSK_lbbbEUlllE0_EEPmJS9_EEE10hipError_tPvRmT3_T4_T5_T6_T7_T9_mT8_P12ihipStream_tbDpT10_ENKUlT_T0_E_clISt17integral_constantIbLb0EES19_IbLb1EEEEDaS15_S16_EUlS15_E_NS1_11comp_targetILNS1_3genE5ELNS1_11target_archE942ELNS1_3gpuE9ELNS1_3repE0EEENS1_30default_config_static_selectorELNS0_4arch9wavefront6targetE1EEEvT1_: ; @_ZN7rocprim17ROCPRIM_400000_NS6detail17trampoline_kernelINS0_14default_configENS1_25partition_config_selectorILNS1_17partition_subalgoE9EllbEEZZNS1_14partition_implILS5_9ELb0ES3_jPlS8_PNS0_10empty_typeENS0_5tupleIJS8_S9_EEENSB_IJS8_SA_EEENS0_18inequality_wrapperIZN2at6native12_GLOBAL__N_124unique_dim_cuda_templateImEESt5tupleIJNSF_6TensorESK_SK_EERKSK_lbbbEUlllE0_EEPmJS9_EEE10hipError_tPvRmT3_T4_T5_T6_T7_T9_mT8_P12ihipStream_tbDpT10_ENKUlT_T0_E_clISt17integral_constantIbLb0EES19_IbLb1EEEEDaS15_S16_EUlS15_E_NS1_11comp_targetILNS1_3genE5ELNS1_11target_archE942ELNS1_3gpuE9ELNS1_3repE0EEENS1_30default_config_static_selectorELNS0_4arch9wavefront6targetE1EEEvT1_
; %bb.0:
	.section	.rodata,"a",@progbits
	.p2align	6, 0x0
	.amdhsa_kernel _ZN7rocprim17ROCPRIM_400000_NS6detail17trampoline_kernelINS0_14default_configENS1_25partition_config_selectorILNS1_17partition_subalgoE9EllbEEZZNS1_14partition_implILS5_9ELb0ES3_jPlS8_PNS0_10empty_typeENS0_5tupleIJS8_S9_EEENSB_IJS8_SA_EEENS0_18inequality_wrapperIZN2at6native12_GLOBAL__N_124unique_dim_cuda_templateImEESt5tupleIJNSF_6TensorESK_SK_EERKSK_lbbbEUlllE0_EEPmJS9_EEE10hipError_tPvRmT3_T4_T5_T6_T7_T9_mT8_P12ihipStream_tbDpT10_ENKUlT_T0_E_clISt17integral_constantIbLb0EES19_IbLb1EEEEDaS15_S16_EUlS15_E_NS1_11comp_targetILNS1_3genE5ELNS1_11target_archE942ELNS1_3gpuE9ELNS1_3repE0EEENS1_30default_config_static_selectorELNS0_4arch9wavefront6targetE1EEEvT1_
		.amdhsa_group_segment_fixed_size 0
		.amdhsa_private_segment_fixed_size 0
		.amdhsa_kernarg_size 136
		.amdhsa_user_sgpr_count 2
		.amdhsa_user_sgpr_dispatch_ptr 0
		.amdhsa_user_sgpr_queue_ptr 0
		.amdhsa_user_sgpr_kernarg_segment_ptr 1
		.amdhsa_user_sgpr_dispatch_id 0
		.amdhsa_user_sgpr_kernarg_preload_length 0
		.amdhsa_user_sgpr_kernarg_preload_offset 0
		.amdhsa_user_sgpr_private_segment_size 0
		.amdhsa_uses_dynamic_stack 0
		.amdhsa_enable_private_segment 0
		.amdhsa_system_sgpr_workgroup_id_x 1
		.amdhsa_system_sgpr_workgroup_id_y 0
		.amdhsa_system_sgpr_workgroup_id_z 0
		.amdhsa_system_sgpr_workgroup_info 0
		.amdhsa_system_vgpr_workitem_id 0
		.amdhsa_next_free_vgpr 1
		.amdhsa_next_free_sgpr 0
		.amdhsa_accum_offset 4
		.amdhsa_reserve_vcc 0
		.amdhsa_float_round_mode_32 0
		.amdhsa_float_round_mode_16_64 0
		.amdhsa_float_denorm_mode_32 3
		.amdhsa_float_denorm_mode_16_64 3
		.amdhsa_dx10_clamp 1
		.amdhsa_ieee_mode 1
		.amdhsa_fp16_overflow 0
		.amdhsa_tg_split 0
		.amdhsa_exception_fp_ieee_invalid_op 0
		.amdhsa_exception_fp_denorm_src 0
		.amdhsa_exception_fp_ieee_div_zero 0
		.amdhsa_exception_fp_ieee_overflow 0
		.amdhsa_exception_fp_ieee_underflow 0
		.amdhsa_exception_fp_ieee_inexact 0
		.amdhsa_exception_int_div_zero 0
	.end_amdhsa_kernel
	.section	.text._ZN7rocprim17ROCPRIM_400000_NS6detail17trampoline_kernelINS0_14default_configENS1_25partition_config_selectorILNS1_17partition_subalgoE9EllbEEZZNS1_14partition_implILS5_9ELb0ES3_jPlS8_PNS0_10empty_typeENS0_5tupleIJS8_S9_EEENSB_IJS8_SA_EEENS0_18inequality_wrapperIZN2at6native12_GLOBAL__N_124unique_dim_cuda_templateImEESt5tupleIJNSF_6TensorESK_SK_EERKSK_lbbbEUlllE0_EEPmJS9_EEE10hipError_tPvRmT3_T4_T5_T6_T7_T9_mT8_P12ihipStream_tbDpT10_ENKUlT_T0_E_clISt17integral_constantIbLb0EES19_IbLb1EEEEDaS15_S16_EUlS15_E_NS1_11comp_targetILNS1_3genE5ELNS1_11target_archE942ELNS1_3gpuE9ELNS1_3repE0EEENS1_30default_config_static_selectorELNS0_4arch9wavefront6targetE1EEEvT1_,"axG",@progbits,_ZN7rocprim17ROCPRIM_400000_NS6detail17trampoline_kernelINS0_14default_configENS1_25partition_config_selectorILNS1_17partition_subalgoE9EllbEEZZNS1_14partition_implILS5_9ELb0ES3_jPlS8_PNS0_10empty_typeENS0_5tupleIJS8_S9_EEENSB_IJS8_SA_EEENS0_18inequality_wrapperIZN2at6native12_GLOBAL__N_124unique_dim_cuda_templateImEESt5tupleIJNSF_6TensorESK_SK_EERKSK_lbbbEUlllE0_EEPmJS9_EEE10hipError_tPvRmT3_T4_T5_T6_T7_T9_mT8_P12ihipStream_tbDpT10_ENKUlT_T0_E_clISt17integral_constantIbLb0EES19_IbLb1EEEEDaS15_S16_EUlS15_E_NS1_11comp_targetILNS1_3genE5ELNS1_11target_archE942ELNS1_3gpuE9ELNS1_3repE0EEENS1_30default_config_static_selectorELNS0_4arch9wavefront6targetE1EEEvT1_,comdat
.Lfunc_end1720:
	.size	_ZN7rocprim17ROCPRIM_400000_NS6detail17trampoline_kernelINS0_14default_configENS1_25partition_config_selectorILNS1_17partition_subalgoE9EllbEEZZNS1_14partition_implILS5_9ELb0ES3_jPlS8_PNS0_10empty_typeENS0_5tupleIJS8_S9_EEENSB_IJS8_SA_EEENS0_18inequality_wrapperIZN2at6native12_GLOBAL__N_124unique_dim_cuda_templateImEESt5tupleIJNSF_6TensorESK_SK_EERKSK_lbbbEUlllE0_EEPmJS9_EEE10hipError_tPvRmT3_T4_T5_T6_T7_T9_mT8_P12ihipStream_tbDpT10_ENKUlT_T0_E_clISt17integral_constantIbLb0EES19_IbLb1EEEEDaS15_S16_EUlS15_E_NS1_11comp_targetILNS1_3genE5ELNS1_11target_archE942ELNS1_3gpuE9ELNS1_3repE0EEENS1_30default_config_static_selectorELNS0_4arch9wavefront6targetE1EEEvT1_, .Lfunc_end1720-_ZN7rocprim17ROCPRIM_400000_NS6detail17trampoline_kernelINS0_14default_configENS1_25partition_config_selectorILNS1_17partition_subalgoE9EllbEEZZNS1_14partition_implILS5_9ELb0ES3_jPlS8_PNS0_10empty_typeENS0_5tupleIJS8_S9_EEENSB_IJS8_SA_EEENS0_18inequality_wrapperIZN2at6native12_GLOBAL__N_124unique_dim_cuda_templateImEESt5tupleIJNSF_6TensorESK_SK_EERKSK_lbbbEUlllE0_EEPmJS9_EEE10hipError_tPvRmT3_T4_T5_T6_T7_T9_mT8_P12ihipStream_tbDpT10_ENKUlT_T0_E_clISt17integral_constantIbLb0EES19_IbLb1EEEEDaS15_S16_EUlS15_E_NS1_11comp_targetILNS1_3genE5ELNS1_11target_archE942ELNS1_3gpuE9ELNS1_3repE0EEENS1_30default_config_static_selectorELNS0_4arch9wavefront6targetE1EEEvT1_
                                        ; -- End function
	.set _ZN7rocprim17ROCPRIM_400000_NS6detail17trampoline_kernelINS0_14default_configENS1_25partition_config_selectorILNS1_17partition_subalgoE9EllbEEZZNS1_14partition_implILS5_9ELb0ES3_jPlS8_PNS0_10empty_typeENS0_5tupleIJS8_S9_EEENSB_IJS8_SA_EEENS0_18inequality_wrapperIZN2at6native12_GLOBAL__N_124unique_dim_cuda_templateImEESt5tupleIJNSF_6TensorESK_SK_EERKSK_lbbbEUlllE0_EEPmJS9_EEE10hipError_tPvRmT3_T4_T5_T6_T7_T9_mT8_P12ihipStream_tbDpT10_ENKUlT_T0_E_clISt17integral_constantIbLb0EES19_IbLb1EEEEDaS15_S16_EUlS15_E_NS1_11comp_targetILNS1_3genE5ELNS1_11target_archE942ELNS1_3gpuE9ELNS1_3repE0EEENS1_30default_config_static_selectorELNS0_4arch9wavefront6targetE1EEEvT1_.num_vgpr, 0
	.set _ZN7rocprim17ROCPRIM_400000_NS6detail17trampoline_kernelINS0_14default_configENS1_25partition_config_selectorILNS1_17partition_subalgoE9EllbEEZZNS1_14partition_implILS5_9ELb0ES3_jPlS8_PNS0_10empty_typeENS0_5tupleIJS8_S9_EEENSB_IJS8_SA_EEENS0_18inequality_wrapperIZN2at6native12_GLOBAL__N_124unique_dim_cuda_templateImEESt5tupleIJNSF_6TensorESK_SK_EERKSK_lbbbEUlllE0_EEPmJS9_EEE10hipError_tPvRmT3_T4_T5_T6_T7_T9_mT8_P12ihipStream_tbDpT10_ENKUlT_T0_E_clISt17integral_constantIbLb0EES19_IbLb1EEEEDaS15_S16_EUlS15_E_NS1_11comp_targetILNS1_3genE5ELNS1_11target_archE942ELNS1_3gpuE9ELNS1_3repE0EEENS1_30default_config_static_selectorELNS0_4arch9wavefront6targetE1EEEvT1_.num_agpr, 0
	.set _ZN7rocprim17ROCPRIM_400000_NS6detail17trampoline_kernelINS0_14default_configENS1_25partition_config_selectorILNS1_17partition_subalgoE9EllbEEZZNS1_14partition_implILS5_9ELb0ES3_jPlS8_PNS0_10empty_typeENS0_5tupleIJS8_S9_EEENSB_IJS8_SA_EEENS0_18inequality_wrapperIZN2at6native12_GLOBAL__N_124unique_dim_cuda_templateImEESt5tupleIJNSF_6TensorESK_SK_EERKSK_lbbbEUlllE0_EEPmJS9_EEE10hipError_tPvRmT3_T4_T5_T6_T7_T9_mT8_P12ihipStream_tbDpT10_ENKUlT_T0_E_clISt17integral_constantIbLb0EES19_IbLb1EEEEDaS15_S16_EUlS15_E_NS1_11comp_targetILNS1_3genE5ELNS1_11target_archE942ELNS1_3gpuE9ELNS1_3repE0EEENS1_30default_config_static_selectorELNS0_4arch9wavefront6targetE1EEEvT1_.numbered_sgpr, 0
	.set _ZN7rocprim17ROCPRIM_400000_NS6detail17trampoline_kernelINS0_14default_configENS1_25partition_config_selectorILNS1_17partition_subalgoE9EllbEEZZNS1_14partition_implILS5_9ELb0ES3_jPlS8_PNS0_10empty_typeENS0_5tupleIJS8_S9_EEENSB_IJS8_SA_EEENS0_18inequality_wrapperIZN2at6native12_GLOBAL__N_124unique_dim_cuda_templateImEESt5tupleIJNSF_6TensorESK_SK_EERKSK_lbbbEUlllE0_EEPmJS9_EEE10hipError_tPvRmT3_T4_T5_T6_T7_T9_mT8_P12ihipStream_tbDpT10_ENKUlT_T0_E_clISt17integral_constantIbLb0EES19_IbLb1EEEEDaS15_S16_EUlS15_E_NS1_11comp_targetILNS1_3genE5ELNS1_11target_archE942ELNS1_3gpuE9ELNS1_3repE0EEENS1_30default_config_static_selectorELNS0_4arch9wavefront6targetE1EEEvT1_.num_named_barrier, 0
	.set _ZN7rocprim17ROCPRIM_400000_NS6detail17trampoline_kernelINS0_14default_configENS1_25partition_config_selectorILNS1_17partition_subalgoE9EllbEEZZNS1_14partition_implILS5_9ELb0ES3_jPlS8_PNS0_10empty_typeENS0_5tupleIJS8_S9_EEENSB_IJS8_SA_EEENS0_18inequality_wrapperIZN2at6native12_GLOBAL__N_124unique_dim_cuda_templateImEESt5tupleIJNSF_6TensorESK_SK_EERKSK_lbbbEUlllE0_EEPmJS9_EEE10hipError_tPvRmT3_T4_T5_T6_T7_T9_mT8_P12ihipStream_tbDpT10_ENKUlT_T0_E_clISt17integral_constantIbLb0EES19_IbLb1EEEEDaS15_S16_EUlS15_E_NS1_11comp_targetILNS1_3genE5ELNS1_11target_archE942ELNS1_3gpuE9ELNS1_3repE0EEENS1_30default_config_static_selectorELNS0_4arch9wavefront6targetE1EEEvT1_.private_seg_size, 0
	.set _ZN7rocprim17ROCPRIM_400000_NS6detail17trampoline_kernelINS0_14default_configENS1_25partition_config_selectorILNS1_17partition_subalgoE9EllbEEZZNS1_14partition_implILS5_9ELb0ES3_jPlS8_PNS0_10empty_typeENS0_5tupleIJS8_S9_EEENSB_IJS8_SA_EEENS0_18inequality_wrapperIZN2at6native12_GLOBAL__N_124unique_dim_cuda_templateImEESt5tupleIJNSF_6TensorESK_SK_EERKSK_lbbbEUlllE0_EEPmJS9_EEE10hipError_tPvRmT3_T4_T5_T6_T7_T9_mT8_P12ihipStream_tbDpT10_ENKUlT_T0_E_clISt17integral_constantIbLb0EES19_IbLb1EEEEDaS15_S16_EUlS15_E_NS1_11comp_targetILNS1_3genE5ELNS1_11target_archE942ELNS1_3gpuE9ELNS1_3repE0EEENS1_30default_config_static_selectorELNS0_4arch9wavefront6targetE1EEEvT1_.uses_vcc, 0
	.set _ZN7rocprim17ROCPRIM_400000_NS6detail17trampoline_kernelINS0_14default_configENS1_25partition_config_selectorILNS1_17partition_subalgoE9EllbEEZZNS1_14partition_implILS5_9ELb0ES3_jPlS8_PNS0_10empty_typeENS0_5tupleIJS8_S9_EEENSB_IJS8_SA_EEENS0_18inequality_wrapperIZN2at6native12_GLOBAL__N_124unique_dim_cuda_templateImEESt5tupleIJNSF_6TensorESK_SK_EERKSK_lbbbEUlllE0_EEPmJS9_EEE10hipError_tPvRmT3_T4_T5_T6_T7_T9_mT8_P12ihipStream_tbDpT10_ENKUlT_T0_E_clISt17integral_constantIbLb0EES19_IbLb1EEEEDaS15_S16_EUlS15_E_NS1_11comp_targetILNS1_3genE5ELNS1_11target_archE942ELNS1_3gpuE9ELNS1_3repE0EEENS1_30default_config_static_selectorELNS0_4arch9wavefront6targetE1EEEvT1_.uses_flat_scratch, 0
	.set _ZN7rocprim17ROCPRIM_400000_NS6detail17trampoline_kernelINS0_14default_configENS1_25partition_config_selectorILNS1_17partition_subalgoE9EllbEEZZNS1_14partition_implILS5_9ELb0ES3_jPlS8_PNS0_10empty_typeENS0_5tupleIJS8_S9_EEENSB_IJS8_SA_EEENS0_18inequality_wrapperIZN2at6native12_GLOBAL__N_124unique_dim_cuda_templateImEESt5tupleIJNSF_6TensorESK_SK_EERKSK_lbbbEUlllE0_EEPmJS9_EEE10hipError_tPvRmT3_T4_T5_T6_T7_T9_mT8_P12ihipStream_tbDpT10_ENKUlT_T0_E_clISt17integral_constantIbLb0EES19_IbLb1EEEEDaS15_S16_EUlS15_E_NS1_11comp_targetILNS1_3genE5ELNS1_11target_archE942ELNS1_3gpuE9ELNS1_3repE0EEENS1_30default_config_static_selectorELNS0_4arch9wavefront6targetE1EEEvT1_.has_dyn_sized_stack, 0
	.set _ZN7rocprim17ROCPRIM_400000_NS6detail17trampoline_kernelINS0_14default_configENS1_25partition_config_selectorILNS1_17partition_subalgoE9EllbEEZZNS1_14partition_implILS5_9ELb0ES3_jPlS8_PNS0_10empty_typeENS0_5tupleIJS8_S9_EEENSB_IJS8_SA_EEENS0_18inequality_wrapperIZN2at6native12_GLOBAL__N_124unique_dim_cuda_templateImEESt5tupleIJNSF_6TensorESK_SK_EERKSK_lbbbEUlllE0_EEPmJS9_EEE10hipError_tPvRmT3_T4_T5_T6_T7_T9_mT8_P12ihipStream_tbDpT10_ENKUlT_T0_E_clISt17integral_constantIbLb0EES19_IbLb1EEEEDaS15_S16_EUlS15_E_NS1_11comp_targetILNS1_3genE5ELNS1_11target_archE942ELNS1_3gpuE9ELNS1_3repE0EEENS1_30default_config_static_selectorELNS0_4arch9wavefront6targetE1EEEvT1_.has_recursion, 0
	.set _ZN7rocprim17ROCPRIM_400000_NS6detail17trampoline_kernelINS0_14default_configENS1_25partition_config_selectorILNS1_17partition_subalgoE9EllbEEZZNS1_14partition_implILS5_9ELb0ES3_jPlS8_PNS0_10empty_typeENS0_5tupleIJS8_S9_EEENSB_IJS8_SA_EEENS0_18inequality_wrapperIZN2at6native12_GLOBAL__N_124unique_dim_cuda_templateImEESt5tupleIJNSF_6TensorESK_SK_EERKSK_lbbbEUlllE0_EEPmJS9_EEE10hipError_tPvRmT3_T4_T5_T6_T7_T9_mT8_P12ihipStream_tbDpT10_ENKUlT_T0_E_clISt17integral_constantIbLb0EES19_IbLb1EEEEDaS15_S16_EUlS15_E_NS1_11comp_targetILNS1_3genE5ELNS1_11target_archE942ELNS1_3gpuE9ELNS1_3repE0EEENS1_30default_config_static_selectorELNS0_4arch9wavefront6targetE1EEEvT1_.has_indirect_call, 0
	.section	.AMDGPU.csdata,"",@progbits
; Kernel info:
; codeLenInByte = 0
; TotalNumSgprs: 6
; NumVgprs: 0
; NumAgprs: 0
; TotalNumVgprs: 0
; ScratchSize: 0
; MemoryBound: 0
; FloatMode: 240
; IeeeMode: 1
; LDSByteSize: 0 bytes/workgroup (compile time only)
; SGPRBlocks: 0
; VGPRBlocks: 0
; NumSGPRsForWavesPerEU: 6
; NumVGPRsForWavesPerEU: 1
; AccumOffset: 4
; Occupancy: 8
; WaveLimiterHint : 0
; COMPUTE_PGM_RSRC2:SCRATCH_EN: 0
; COMPUTE_PGM_RSRC2:USER_SGPR: 2
; COMPUTE_PGM_RSRC2:TRAP_HANDLER: 0
; COMPUTE_PGM_RSRC2:TGID_X_EN: 1
; COMPUTE_PGM_RSRC2:TGID_Y_EN: 0
; COMPUTE_PGM_RSRC2:TGID_Z_EN: 0
; COMPUTE_PGM_RSRC2:TIDIG_COMP_CNT: 0
; COMPUTE_PGM_RSRC3_GFX90A:ACCUM_OFFSET: 0
; COMPUTE_PGM_RSRC3_GFX90A:TG_SPLIT: 0
	.section	.text._ZN7rocprim17ROCPRIM_400000_NS6detail17trampoline_kernelINS0_14default_configENS1_25partition_config_selectorILNS1_17partition_subalgoE9EllbEEZZNS1_14partition_implILS5_9ELb0ES3_jPlS8_PNS0_10empty_typeENS0_5tupleIJS8_S9_EEENSB_IJS8_SA_EEENS0_18inequality_wrapperIZN2at6native12_GLOBAL__N_124unique_dim_cuda_templateImEESt5tupleIJNSF_6TensorESK_SK_EERKSK_lbbbEUlllE0_EEPmJS9_EEE10hipError_tPvRmT3_T4_T5_T6_T7_T9_mT8_P12ihipStream_tbDpT10_ENKUlT_T0_E_clISt17integral_constantIbLb0EES19_IbLb1EEEEDaS15_S16_EUlS15_E_NS1_11comp_targetILNS1_3genE4ELNS1_11target_archE910ELNS1_3gpuE8ELNS1_3repE0EEENS1_30default_config_static_selectorELNS0_4arch9wavefront6targetE1EEEvT1_,"axG",@progbits,_ZN7rocprim17ROCPRIM_400000_NS6detail17trampoline_kernelINS0_14default_configENS1_25partition_config_selectorILNS1_17partition_subalgoE9EllbEEZZNS1_14partition_implILS5_9ELb0ES3_jPlS8_PNS0_10empty_typeENS0_5tupleIJS8_S9_EEENSB_IJS8_SA_EEENS0_18inequality_wrapperIZN2at6native12_GLOBAL__N_124unique_dim_cuda_templateImEESt5tupleIJNSF_6TensorESK_SK_EERKSK_lbbbEUlllE0_EEPmJS9_EEE10hipError_tPvRmT3_T4_T5_T6_T7_T9_mT8_P12ihipStream_tbDpT10_ENKUlT_T0_E_clISt17integral_constantIbLb0EES19_IbLb1EEEEDaS15_S16_EUlS15_E_NS1_11comp_targetILNS1_3genE4ELNS1_11target_archE910ELNS1_3gpuE8ELNS1_3repE0EEENS1_30default_config_static_selectorELNS0_4arch9wavefront6targetE1EEEvT1_,comdat
	.globl	_ZN7rocprim17ROCPRIM_400000_NS6detail17trampoline_kernelINS0_14default_configENS1_25partition_config_selectorILNS1_17partition_subalgoE9EllbEEZZNS1_14partition_implILS5_9ELb0ES3_jPlS8_PNS0_10empty_typeENS0_5tupleIJS8_S9_EEENSB_IJS8_SA_EEENS0_18inequality_wrapperIZN2at6native12_GLOBAL__N_124unique_dim_cuda_templateImEESt5tupleIJNSF_6TensorESK_SK_EERKSK_lbbbEUlllE0_EEPmJS9_EEE10hipError_tPvRmT3_T4_T5_T6_T7_T9_mT8_P12ihipStream_tbDpT10_ENKUlT_T0_E_clISt17integral_constantIbLb0EES19_IbLb1EEEEDaS15_S16_EUlS15_E_NS1_11comp_targetILNS1_3genE4ELNS1_11target_archE910ELNS1_3gpuE8ELNS1_3repE0EEENS1_30default_config_static_selectorELNS0_4arch9wavefront6targetE1EEEvT1_ ; -- Begin function _ZN7rocprim17ROCPRIM_400000_NS6detail17trampoline_kernelINS0_14default_configENS1_25partition_config_selectorILNS1_17partition_subalgoE9EllbEEZZNS1_14partition_implILS5_9ELb0ES3_jPlS8_PNS0_10empty_typeENS0_5tupleIJS8_S9_EEENSB_IJS8_SA_EEENS0_18inequality_wrapperIZN2at6native12_GLOBAL__N_124unique_dim_cuda_templateImEESt5tupleIJNSF_6TensorESK_SK_EERKSK_lbbbEUlllE0_EEPmJS9_EEE10hipError_tPvRmT3_T4_T5_T6_T7_T9_mT8_P12ihipStream_tbDpT10_ENKUlT_T0_E_clISt17integral_constantIbLb0EES19_IbLb1EEEEDaS15_S16_EUlS15_E_NS1_11comp_targetILNS1_3genE4ELNS1_11target_archE910ELNS1_3gpuE8ELNS1_3repE0EEENS1_30default_config_static_selectorELNS0_4arch9wavefront6targetE1EEEvT1_
	.p2align	8
	.type	_ZN7rocprim17ROCPRIM_400000_NS6detail17trampoline_kernelINS0_14default_configENS1_25partition_config_selectorILNS1_17partition_subalgoE9EllbEEZZNS1_14partition_implILS5_9ELb0ES3_jPlS8_PNS0_10empty_typeENS0_5tupleIJS8_S9_EEENSB_IJS8_SA_EEENS0_18inequality_wrapperIZN2at6native12_GLOBAL__N_124unique_dim_cuda_templateImEESt5tupleIJNSF_6TensorESK_SK_EERKSK_lbbbEUlllE0_EEPmJS9_EEE10hipError_tPvRmT3_T4_T5_T6_T7_T9_mT8_P12ihipStream_tbDpT10_ENKUlT_T0_E_clISt17integral_constantIbLb0EES19_IbLb1EEEEDaS15_S16_EUlS15_E_NS1_11comp_targetILNS1_3genE4ELNS1_11target_archE910ELNS1_3gpuE8ELNS1_3repE0EEENS1_30default_config_static_selectorELNS0_4arch9wavefront6targetE1EEEvT1_,@function
_ZN7rocprim17ROCPRIM_400000_NS6detail17trampoline_kernelINS0_14default_configENS1_25partition_config_selectorILNS1_17partition_subalgoE9EllbEEZZNS1_14partition_implILS5_9ELb0ES3_jPlS8_PNS0_10empty_typeENS0_5tupleIJS8_S9_EEENSB_IJS8_SA_EEENS0_18inequality_wrapperIZN2at6native12_GLOBAL__N_124unique_dim_cuda_templateImEESt5tupleIJNSF_6TensorESK_SK_EERKSK_lbbbEUlllE0_EEPmJS9_EEE10hipError_tPvRmT3_T4_T5_T6_T7_T9_mT8_P12ihipStream_tbDpT10_ENKUlT_T0_E_clISt17integral_constantIbLb0EES19_IbLb1EEEEDaS15_S16_EUlS15_E_NS1_11comp_targetILNS1_3genE4ELNS1_11target_archE910ELNS1_3gpuE8ELNS1_3repE0EEENS1_30default_config_static_selectorELNS0_4arch9wavefront6targetE1EEEvT1_: ; @_ZN7rocprim17ROCPRIM_400000_NS6detail17trampoline_kernelINS0_14default_configENS1_25partition_config_selectorILNS1_17partition_subalgoE9EllbEEZZNS1_14partition_implILS5_9ELb0ES3_jPlS8_PNS0_10empty_typeENS0_5tupleIJS8_S9_EEENSB_IJS8_SA_EEENS0_18inequality_wrapperIZN2at6native12_GLOBAL__N_124unique_dim_cuda_templateImEESt5tupleIJNSF_6TensorESK_SK_EERKSK_lbbbEUlllE0_EEPmJS9_EEE10hipError_tPvRmT3_T4_T5_T6_T7_T9_mT8_P12ihipStream_tbDpT10_ENKUlT_T0_E_clISt17integral_constantIbLb0EES19_IbLb1EEEEDaS15_S16_EUlS15_E_NS1_11comp_targetILNS1_3genE4ELNS1_11target_archE910ELNS1_3gpuE8ELNS1_3repE0EEENS1_30default_config_static_selectorELNS0_4arch9wavefront6targetE1EEEvT1_
; %bb.0:
	.section	.rodata,"a",@progbits
	.p2align	6, 0x0
	.amdhsa_kernel _ZN7rocprim17ROCPRIM_400000_NS6detail17trampoline_kernelINS0_14default_configENS1_25partition_config_selectorILNS1_17partition_subalgoE9EllbEEZZNS1_14partition_implILS5_9ELb0ES3_jPlS8_PNS0_10empty_typeENS0_5tupleIJS8_S9_EEENSB_IJS8_SA_EEENS0_18inequality_wrapperIZN2at6native12_GLOBAL__N_124unique_dim_cuda_templateImEESt5tupleIJNSF_6TensorESK_SK_EERKSK_lbbbEUlllE0_EEPmJS9_EEE10hipError_tPvRmT3_T4_T5_T6_T7_T9_mT8_P12ihipStream_tbDpT10_ENKUlT_T0_E_clISt17integral_constantIbLb0EES19_IbLb1EEEEDaS15_S16_EUlS15_E_NS1_11comp_targetILNS1_3genE4ELNS1_11target_archE910ELNS1_3gpuE8ELNS1_3repE0EEENS1_30default_config_static_selectorELNS0_4arch9wavefront6targetE1EEEvT1_
		.amdhsa_group_segment_fixed_size 0
		.amdhsa_private_segment_fixed_size 0
		.amdhsa_kernarg_size 136
		.amdhsa_user_sgpr_count 2
		.amdhsa_user_sgpr_dispatch_ptr 0
		.amdhsa_user_sgpr_queue_ptr 0
		.amdhsa_user_sgpr_kernarg_segment_ptr 1
		.amdhsa_user_sgpr_dispatch_id 0
		.amdhsa_user_sgpr_kernarg_preload_length 0
		.amdhsa_user_sgpr_kernarg_preload_offset 0
		.amdhsa_user_sgpr_private_segment_size 0
		.amdhsa_uses_dynamic_stack 0
		.amdhsa_enable_private_segment 0
		.amdhsa_system_sgpr_workgroup_id_x 1
		.amdhsa_system_sgpr_workgroup_id_y 0
		.amdhsa_system_sgpr_workgroup_id_z 0
		.amdhsa_system_sgpr_workgroup_info 0
		.amdhsa_system_vgpr_workitem_id 0
		.amdhsa_next_free_vgpr 1
		.amdhsa_next_free_sgpr 0
		.amdhsa_accum_offset 4
		.amdhsa_reserve_vcc 0
		.amdhsa_float_round_mode_32 0
		.amdhsa_float_round_mode_16_64 0
		.amdhsa_float_denorm_mode_32 3
		.amdhsa_float_denorm_mode_16_64 3
		.amdhsa_dx10_clamp 1
		.amdhsa_ieee_mode 1
		.amdhsa_fp16_overflow 0
		.amdhsa_tg_split 0
		.amdhsa_exception_fp_ieee_invalid_op 0
		.amdhsa_exception_fp_denorm_src 0
		.amdhsa_exception_fp_ieee_div_zero 0
		.amdhsa_exception_fp_ieee_overflow 0
		.amdhsa_exception_fp_ieee_underflow 0
		.amdhsa_exception_fp_ieee_inexact 0
		.amdhsa_exception_int_div_zero 0
	.end_amdhsa_kernel
	.section	.text._ZN7rocprim17ROCPRIM_400000_NS6detail17trampoline_kernelINS0_14default_configENS1_25partition_config_selectorILNS1_17partition_subalgoE9EllbEEZZNS1_14partition_implILS5_9ELb0ES3_jPlS8_PNS0_10empty_typeENS0_5tupleIJS8_S9_EEENSB_IJS8_SA_EEENS0_18inequality_wrapperIZN2at6native12_GLOBAL__N_124unique_dim_cuda_templateImEESt5tupleIJNSF_6TensorESK_SK_EERKSK_lbbbEUlllE0_EEPmJS9_EEE10hipError_tPvRmT3_T4_T5_T6_T7_T9_mT8_P12ihipStream_tbDpT10_ENKUlT_T0_E_clISt17integral_constantIbLb0EES19_IbLb1EEEEDaS15_S16_EUlS15_E_NS1_11comp_targetILNS1_3genE4ELNS1_11target_archE910ELNS1_3gpuE8ELNS1_3repE0EEENS1_30default_config_static_selectorELNS0_4arch9wavefront6targetE1EEEvT1_,"axG",@progbits,_ZN7rocprim17ROCPRIM_400000_NS6detail17trampoline_kernelINS0_14default_configENS1_25partition_config_selectorILNS1_17partition_subalgoE9EllbEEZZNS1_14partition_implILS5_9ELb0ES3_jPlS8_PNS0_10empty_typeENS0_5tupleIJS8_S9_EEENSB_IJS8_SA_EEENS0_18inequality_wrapperIZN2at6native12_GLOBAL__N_124unique_dim_cuda_templateImEESt5tupleIJNSF_6TensorESK_SK_EERKSK_lbbbEUlllE0_EEPmJS9_EEE10hipError_tPvRmT3_T4_T5_T6_T7_T9_mT8_P12ihipStream_tbDpT10_ENKUlT_T0_E_clISt17integral_constantIbLb0EES19_IbLb1EEEEDaS15_S16_EUlS15_E_NS1_11comp_targetILNS1_3genE4ELNS1_11target_archE910ELNS1_3gpuE8ELNS1_3repE0EEENS1_30default_config_static_selectorELNS0_4arch9wavefront6targetE1EEEvT1_,comdat
.Lfunc_end1721:
	.size	_ZN7rocprim17ROCPRIM_400000_NS6detail17trampoline_kernelINS0_14default_configENS1_25partition_config_selectorILNS1_17partition_subalgoE9EllbEEZZNS1_14partition_implILS5_9ELb0ES3_jPlS8_PNS0_10empty_typeENS0_5tupleIJS8_S9_EEENSB_IJS8_SA_EEENS0_18inequality_wrapperIZN2at6native12_GLOBAL__N_124unique_dim_cuda_templateImEESt5tupleIJNSF_6TensorESK_SK_EERKSK_lbbbEUlllE0_EEPmJS9_EEE10hipError_tPvRmT3_T4_T5_T6_T7_T9_mT8_P12ihipStream_tbDpT10_ENKUlT_T0_E_clISt17integral_constantIbLb0EES19_IbLb1EEEEDaS15_S16_EUlS15_E_NS1_11comp_targetILNS1_3genE4ELNS1_11target_archE910ELNS1_3gpuE8ELNS1_3repE0EEENS1_30default_config_static_selectorELNS0_4arch9wavefront6targetE1EEEvT1_, .Lfunc_end1721-_ZN7rocprim17ROCPRIM_400000_NS6detail17trampoline_kernelINS0_14default_configENS1_25partition_config_selectorILNS1_17partition_subalgoE9EllbEEZZNS1_14partition_implILS5_9ELb0ES3_jPlS8_PNS0_10empty_typeENS0_5tupleIJS8_S9_EEENSB_IJS8_SA_EEENS0_18inequality_wrapperIZN2at6native12_GLOBAL__N_124unique_dim_cuda_templateImEESt5tupleIJNSF_6TensorESK_SK_EERKSK_lbbbEUlllE0_EEPmJS9_EEE10hipError_tPvRmT3_T4_T5_T6_T7_T9_mT8_P12ihipStream_tbDpT10_ENKUlT_T0_E_clISt17integral_constantIbLb0EES19_IbLb1EEEEDaS15_S16_EUlS15_E_NS1_11comp_targetILNS1_3genE4ELNS1_11target_archE910ELNS1_3gpuE8ELNS1_3repE0EEENS1_30default_config_static_selectorELNS0_4arch9wavefront6targetE1EEEvT1_
                                        ; -- End function
	.set _ZN7rocprim17ROCPRIM_400000_NS6detail17trampoline_kernelINS0_14default_configENS1_25partition_config_selectorILNS1_17partition_subalgoE9EllbEEZZNS1_14partition_implILS5_9ELb0ES3_jPlS8_PNS0_10empty_typeENS0_5tupleIJS8_S9_EEENSB_IJS8_SA_EEENS0_18inequality_wrapperIZN2at6native12_GLOBAL__N_124unique_dim_cuda_templateImEESt5tupleIJNSF_6TensorESK_SK_EERKSK_lbbbEUlllE0_EEPmJS9_EEE10hipError_tPvRmT3_T4_T5_T6_T7_T9_mT8_P12ihipStream_tbDpT10_ENKUlT_T0_E_clISt17integral_constantIbLb0EES19_IbLb1EEEEDaS15_S16_EUlS15_E_NS1_11comp_targetILNS1_3genE4ELNS1_11target_archE910ELNS1_3gpuE8ELNS1_3repE0EEENS1_30default_config_static_selectorELNS0_4arch9wavefront6targetE1EEEvT1_.num_vgpr, 0
	.set _ZN7rocprim17ROCPRIM_400000_NS6detail17trampoline_kernelINS0_14default_configENS1_25partition_config_selectorILNS1_17partition_subalgoE9EllbEEZZNS1_14partition_implILS5_9ELb0ES3_jPlS8_PNS0_10empty_typeENS0_5tupleIJS8_S9_EEENSB_IJS8_SA_EEENS0_18inequality_wrapperIZN2at6native12_GLOBAL__N_124unique_dim_cuda_templateImEESt5tupleIJNSF_6TensorESK_SK_EERKSK_lbbbEUlllE0_EEPmJS9_EEE10hipError_tPvRmT3_T4_T5_T6_T7_T9_mT8_P12ihipStream_tbDpT10_ENKUlT_T0_E_clISt17integral_constantIbLb0EES19_IbLb1EEEEDaS15_S16_EUlS15_E_NS1_11comp_targetILNS1_3genE4ELNS1_11target_archE910ELNS1_3gpuE8ELNS1_3repE0EEENS1_30default_config_static_selectorELNS0_4arch9wavefront6targetE1EEEvT1_.num_agpr, 0
	.set _ZN7rocprim17ROCPRIM_400000_NS6detail17trampoline_kernelINS0_14default_configENS1_25partition_config_selectorILNS1_17partition_subalgoE9EllbEEZZNS1_14partition_implILS5_9ELb0ES3_jPlS8_PNS0_10empty_typeENS0_5tupleIJS8_S9_EEENSB_IJS8_SA_EEENS0_18inequality_wrapperIZN2at6native12_GLOBAL__N_124unique_dim_cuda_templateImEESt5tupleIJNSF_6TensorESK_SK_EERKSK_lbbbEUlllE0_EEPmJS9_EEE10hipError_tPvRmT3_T4_T5_T6_T7_T9_mT8_P12ihipStream_tbDpT10_ENKUlT_T0_E_clISt17integral_constantIbLb0EES19_IbLb1EEEEDaS15_S16_EUlS15_E_NS1_11comp_targetILNS1_3genE4ELNS1_11target_archE910ELNS1_3gpuE8ELNS1_3repE0EEENS1_30default_config_static_selectorELNS0_4arch9wavefront6targetE1EEEvT1_.numbered_sgpr, 0
	.set _ZN7rocprim17ROCPRIM_400000_NS6detail17trampoline_kernelINS0_14default_configENS1_25partition_config_selectorILNS1_17partition_subalgoE9EllbEEZZNS1_14partition_implILS5_9ELb0ES3_jPlS8_PNS0_10empty_typeENS0_5tupleIJS8_S9_EEENSB_IJS8_SA_EEENS0_18inequality_wrapperIZN2at6native12_GLOBAL__N_124unique_dim_cuda_templateImEESt5tupleIJNSF_6TensorESK_SK_EERKSK_lbbbEUlllE0_EEPmJS9_EEE10hipError_tPvRmT3_T4_T5_T6_T7_T9_mT8_P12ihipStream_tbDpT10_ENKUlT_T0_E_clISt17integral_constantIbLb0EES19_IbLb1EEEEDaS15_S16_EUlS15_E_NS1_11comp_targetILNS1_3genE4ELNS1_11target_archE910ELNS1_3gpuE8ELNS1_3repE0EEENS1_30default_config_static_selectorELNS0_4arch9wavefront6targetE1EEEvT1_.num_named_barrier, 0
	.set _ZN7rocprim17ROCPRIM_400000_NS6detail17trampoline_kernelINS0_14default_configENS1_25partition_config_selectorILNS1_17partition_subalgoE9EllbEEZZNS1_14partition_implILS5_9ELb0ES3_jPlS8_PNS0_10empty_typeENS0_5tupleIJS8_S9_EEENSB_IJS8_SA_EEENS0_18inequality_wrapperIZN2at6native12_GLOBAL__N_124unique_dim_cuda_templateImEESt5tupleIJNSF_6TensorESK_SK_EERKSK_lbbbEUlllE0_EEPmJS9_EEE10hipError_tPvRmT3_T4_T5_T6_T7_T9_mT8_P12ihipStream_tbDpT10_ENKUlT_T0_E_clISt17integral_constantIbLb0EES19_IbLb1EEEEDaS15_S16_EUlS15_E_NS1_11comp_targetILNS1_3genE4ELNS1_11target_archE910ELNS1_3gpuE8ELNS1_3repE0EEENS1_30default_config_static_selectorELNS0_4arch9wavefront6targetE1EEEvT1_.private_seg_size, 0
	.set _ZN7rocprim17ROCPRIM_400000_NS6detail17trampoline_kernelINS0_14default_configENS1_25partition_config_selectorILNS1_17partition_subalgoE9EllbEEZZNS1_14partition_implILS5_9ELb0ES3_jPlS8_PNS0_10empty_typeENS0_5tupleIJS8_S9_EEENSB_IJS8_SA_EEENS0_18inequality_wrapperIZN2at6native12_GLOBAL__N_124unique_dim_cuda_templateImEESt5tupleIJNSF_6TensorESK_SK_EERKSK_lbbbEUlllE0_EEPmJS9_EEE10hipError_tPvRmT3_T4_T5_T6_T7_T9_mT8_P12ihipStream_tbDpT10_ENKUlT_T0_E_clISt17integral_constantIbLb0EES19_IbLb1EEEEDaS15_S16_EUlS15_E_NS1_11comp_targetILNS1_3genE4ELNS1_11target_archE910ELNS1_3gpuE8ELNS1_3repE0EEENS1_30default_config_static_selectorELNS0_4arch9wavefront6targetE1EEEvT1_.uses_vcc, 0
	.set _ZN7rocprim17ROCPRIM_400000_NS6detail17trampoline_kernelINS0_14default_configENS1_25partition_config_selectorILNS1_17partition_subalgoE9EllbEEZZNS1_14partition_implILS5_9ELb0ES3_jPlS8_PNS0_10empty_typeENS0_5tupleIJS8_S9_EEENSB_IJS8_SA_EEENS0_18inequality_wrapperIZN2at6native12_GLOBAL__N_124unique_dim_cuda_templateImEESt5tupleIJNSF_6TensorESK_SK_EERKSK_lbbbEUlllE0_EEPmJS9_EEE10hipError_tPvRmT3_T4_T5_T6_T7_T9_mT8_P12ihipStream_tbDpT10_ENKUlT_T0_E_clISt17integral_constantIbLb0EES19_IbLb1EEEEDaS15_S16_EUlS15_E_NS1_11comp_targetILNS1_3genE4ELNS1_11target_archE910ELNS1_3gpuE8ELNS1_3repE0EEENS1_30default_config_static_selectorELNS0_4arch9wavefront6targetE1EEEvT1_.uses_flat_scratch, 0
	.set _ZN7rocprim17ROCPRIM_400000_NS6detail17trampoline_kernelINS0_14default_configENS1_25partition_config_selectorILNS1_17partition_subalgoE9EllbEEZZNS1_14partition_implILS5_9ELb0ES3_jPlS8_PNS0_10empty_typeENS0_5tupleIJS8_S9_EEENSB_IJS8_SA_EEENS0_18inequality_wrapperIZN2at6native12_GLOBAL__N_124unique_dim_cuda_templateImEESt5tupleIJNSF_6TensorESK_SK_EERKSK_lbbbEUlllE0_EEPmJS9_EEE10hipError_tPvRmT3_T4_T5_T6_T7_T9_mT8_P12ihipStream_tbDpT10_ENKUlT_T0_E_clISt17integral_constantIbLb0EES19_IbLb1EEEEDaS15_S16_EUlS15_E_NS1_11comp_targetILNS1_3genE4ELNS1_11target_archE910ELNS1_3gpuE8ELNS1_3repE0EEENS1_30default_config_static_selectorELNS0_4arch9wavefront6targetE1EEEvT1_.has_dyn_sized_stack, 0
	.set _ZN7rocprim17ROCPRIM_400000_NS6detail17trampoline_kernelINS0_14default_configENS1_25partition_config_selectorILNS1_17partition_subalgoE9EllbEEZZNS1_14partition_implILS5_9ELb0ES3_jPlS8_PNS0_10empty_typeENS0_5tupleIJS8_S9_EEENSB_IJS8_SA_EEENS0_18inequality_wrapperIZN2at6native12_GLOBAL__N_124unique_dim_cuda_templateImEESt5tupleIJNSF_6TensorESK_SK_EERKSK_lbbbEUlllE0_EEPmJS9_EEE10hipError_tPvRmT3_T4_T5_T6_T7_T9_mT8_P12ihipStream_tbDpT10_ENKUlT_T0_E_clISt17integral_constantIbLb0EES19_IbLb1EEEEDaS15_S16_EUlS15_E_NS1_11comp_targetILNS1_3genE4ELNS1_11target_archE910ELNS1_3gpuE8ELNS1_3repE0EEENS1_30default_config_static_selectorELNS0_4arch9wavefront6targetE1EEEvT1_.has_recursion, 0
	.set _ZN7rocprim17ROCPRIM_400000_NS6detail17trampoline_kernelINS0_14default_configENS1_25partition_config_selectorILNS1_17partition_subalgoE9EllbEEZZNS1_14partition_implILS5_9ELb0ES3_jPlS8_PNS0_10empty_typeENS0_5tupleIJS8_S9_EEENSB_IJS8_SA_EEENS0_18inequality_wrapperIZN2at6native12_GLOBAL__N_124unique_dim_cuda_templateImEESt5tupleIJNSF_6TensorESK_SK_EERKSK_lbbbEUlllE0_EEPmJS9_EEE10hipError_tPvRmT3_T4_T5_T6_T7_T9_mT8_P12ihipStream_tbDpT10_ENKUlT_T0_E_clISt17integral_constantIbLb0EES19_IbLb1EEEEDaS15_S16_EUlS15_E_NS1_11comp_targetILNS1_3genE4ELNS1_11target_archE910ELNS1_3gpuE8ELNS1_3repE0EEENS1_30default_config_static_selectorELNS0_4arch9wavefront6targetE1EEEvT1_.has_indirect_call, 0
	.section	.AMDGPU.csdata,"",@progbits
; Kernel info:
; codeLenInByte = 0
; TotalNumSgprs: 6
; NumVgprs: 0
; NumAgprs: 0
; TotalNumVgprs: 0
; ScratchSize: 0
; MemoryBound: 0
; FloatMode: 240
; IeeeMode: 1
; LDSByteSize: 0 bytes/workgroup (compile time only)
; SGPRBlocks: 0
; VGPRBlocks: 0
; NumSGPRsForWavesPerEU: 6
; NumVGPRsForWavesPerEU: 1
; AccumOffset: 4
; Occupancy: 8
; WaveLimiterHint : 0
; COMPUTE_PGM_RSRC2:SCRATCH_EN: 0
; COMPUTE_PGM_RSRC2:USER_SGPR: 2
; COMPUTE_PGM_RSRC2:TRAP_HANDLER: 0
; COMPUTE_PGM_RSRC2:TGID_X_EN: 1
; COMPUTE_PGM_RSRC2:TGID_Y_EN: 0
; COMPUTE_PGM_RSRC2:TGID_Z_EN: 0
; COMPUTE_PGM_RSRC2:TIDIG_COMP_CNT: 0
; COMPUTE_PGM_RSRC3_GFX90A:ACCUM_OFFSET: 0
; COMPUTE_PGM_RSRC3_GFX90A:TG_SPLIT: 0
	.section	.text._ZN7rocprim17ROCPRIM_400000_NS6detail17trampoline_kernelINS0_14default_configENS1_25partition_config_selectorILNS1_17partition_subalgoE9EllbEEZZNS1_14partition_implILS5_9ELb0ES3_jPlS8_PNS0_10empty_typeENS0_5tupleIJS8_S9_EEENSB_IJS8_SA_EEENS0_18inequality_wrapperIZN2at6native12_GLOBAL__N_124unique_dim_cuda_templateImEESt5tupleIJNSF_6TensorESK_SK_EERKSK_lbbbEUlllE0_EEPmJS9_EEE10hipError_tPvRmT3_T4_T5_T6_T7_T9_mT8_P12ihipStream_tbDpT10_ENKUlT_T0_E_clISt17integral_constantIbLb0EES19_IbLb1EEEEDaS15_S16_EUlS15_E_NS1_11comp_targetILNS1_3genE3ELNS1_11target_archE908ELNS1_3gpuE7ELNS1_3repE0EEENS1_30default_config_static_selectorELNS0_4arch9wavefront6targetE1EEEvT1_,"axG",@progbits,_ZN7rocprim17ROCPRIM_400000_NS6detail17trampoline_kernelINS0_14default_configENS1_25partition_config_selectorILNS1_17partition_subalgoE9EllbEEZZNS1_14partition_implILS5_9ELb0ES3_jPlS8_PNS0_10empty_typeENS0_5tupleIJS8_S9_EEENSB_IJS8_SA_EEENS0_18inequality_wrapperIZN2at6native12_GLOBAL__N_124unique_dim_cuda_templateImEESt5tupleIJNSF_6TensorESK_SK_EERKSK_lbbbEUlllE0_EEPmJS9_EEE10hipError_tPvRmT3_T4_T5_T6_T7_T9_mT8_P12ihipStream_tbDpT10_ENKUlT_T0_E_clISt17integral_constantIbLb0EES19_IbLb1EEEEDaS15_S16_EUlS15_E_NS1_11comp_targetILNS1_3genE3ELNS1_11target_archE908ELNS1_3gpuE7ELNS1_3repE0EEENS1_30default_config_static_selectorELNS0_4arch9wavefront6targetE1EEEvT1_,comdat
	.globl	_ZN7rocprim17ROCPRIM_400000_NS6detail17trampoline_kernelINS0_14default_configENS1_25partition_config_selectorILNS1_17partition_subalgoE9EllbEEZZNS1_14partition_implILS5_9ELb0ES3_jPlS8_PNS0_10empty_typeENS0_5tupleIJS8_S9_EEENSB_IJS8_SA_EEENS0_18inequality_wrapperIZN2at6native12_GLOBAL__N_124unique_dim_cuda_templateImEESt5tupleIJNSF_6TensorESK_SK_EERKSK_lbbbEUlllE0_EEPmJS9_EEE10hipError_tPvRmT3_T4_T5_T6_T7_T9_mT8_P12ihipStream_tbDpT10_ENKUlT_T0_E_clISt17integral_constantIbLb0EES19_IbLb1EEEEDaS15_S16_EUlS15_E_NS1_11comp_targetILNS1_3genE3ELNS1_11target_archE908ELNS1_3gpuE7ELNS1_3repE0EEENS1_30default_config_static_selectorELNS0_4arch9wavefront6targetE1EEEvT1_ ; -- Begin function _ZN7rocprim17ROCPRIM_400000_NS6detail17trampoline_kernelINS0_14default_configENS1_25partition_config_selectorILNS1_17partition_subalgoE9EllbEEZZNS1_14partition_implILS5_9ELb0ES3_jPlS8_PNS0_10empty_typeENS0_5tupleIJS8_S9_EEENSB_IJS8_SA_EEENS0_18inequality_wrapperIZN2at6native12_GLOBAL__N_124unique_dim_cuda_templateImEESt5tupleIJNSF_6TensorESK_SK_EERKSK_lbbbEUlllE0_EEPmJS9_EEE10hipError_tPvRmT3_T4_T5_T6_T7_T9_mT8_P12ihipStream_tbDpT10_ENKUlT_T0_E_clISt17integral_constantIbLb0EES19_IbLb1EEEEDaS15_S16_EUlS15_E_NS1_11comp_targetILNS1_3genE3ELNS1_11target_archE908ELNS1_3gpuE7ELNS1_3repE0EEENS1_30default_config_static_selectorELNS0_4arch9wavefront6targetE1EEEvT1_
	.p2align	8
	.type	_ZN7rocprim17ROCPRIM_400000_NS6detail17trampoline_kernelINS0_14default_configENS1_25partition_config_selectorILNS1_17partition_subalgoE9EllbEEZZNS1_14partition_implILS5_9ELb0ES3_jPlS8_PNS0_10empty_typeENS0_5tupleIJS8_S9_EEENSB_IJS8_SA_EEENS0_18inequality_wrapperIZN2at6native12_GLOBAL__N_124unique_dim_cuda_templateImEESt5tupleIJNSF_6TensorESK_SK_EERKSK_lbbbEUlllE0_EEPmJS9_EEE10hipError_tPvRmT3_T4_T5_T6_T7_T9_mT8_P12ihipStream_tbDpT10_ENKUlT_T0_E_clISt17integral_constantIbLb0EES19_IbLb1EEEEDaS15_S16_EUlS15_E_NS1_11comp_targetILNS1_3genE3ELNS1_11target_archE908ELNS1_3gpuE7ELNS1_3repE0EEENS1_30default_config_static_selectorELNS0_4arch9wavefront6targetE1EEEvT1_,@function
_ZN7rocprim17ROCPRIM_400000_NS6detail17trampoline_kernelINS0_14default_configENS1_25partition_config_selectorILNS1_17partition_subalgoE9EllbEEZZNS1_14partition_implILS5_9ELb0ES3_jPlS8_PNS0_10empty_typeENS0_5tupleIJS8_S9_EEENSB_IJS8_SA_EEENS0_18inequality_wrapperIZN2at6native12_GLOBAL__N_124unique_dim_cuda_templateImEESt5tupleIJNSF_6TensorESK_SK_EERKSK_lbbbEUlllE0_EEPmJS9_EEE10hipError_tPvRmT3_T4_T5_T6_T7_T9_mT8_P12ihipStream_tbDpT10_ENKUlT_T0_E_clISt17integral_constantIbLb0EES19_IbLb1EEEEDaS15_S16_EUlS15_E_NS1_11comp_targetILNS1_3genE3ELNS1_11target_archE908ELNS1_3gpuE7ELNS1_3repE0EEENS1_30default_config_static_selectorELNS0_4arch9wavefront6targetE1EEEvT1_: ; @_ZN7rocprim17ROCPRIM_400000_NS6detail17trampoline_kernelINS0_14default_configENS1_25partition_config_selectorILNS1_17partition_subalgoE9EllbEEZZNS1_14partition_implILS5_9ELb0ES3_jPlS8_PNS0_10empty_typeENS0_5tupleIJS8_S9_EEENSB_IJS8_SA_EEENS0_18inequality_wrapperIZN2at6native12_GLOBAL__N_124unique_dim_cuda_templateImEESt5tupleIJNSF_6TensorESK_SK_EERKSK_lbbbEUlllE0_EEPmJS9_EEE10hipError_tPvRmT3_T4_T5_T6_T7_T9_mT8_P12ihipStream_tbDpT10_ENKUlT_T0_E_clISt17integral_constantIbLb0EES19_IbLb1EEEEDaS15_S16_EUlS15_E_NS1_11comp_targetILNS1_3genE3ELNS1_11target_archE908ELNS1_3gpuE7ELNS1_3repE0EEENS1_30default_config_static_selectorELNS0_4arch9wavefront6targetE1EEEvT1_
; %bb.0:
	.section	.rodata,"a",@progbits
	.p2align	6, 0x0
	.amdhsa_kernel _ZN7rocprim17ROCPRIM_400000_NS6detail17trampoline_kernelINS0_14default_configENS1_25partition_config_selectorILNS1_17partition_subalgoE9EllbEEZZNS1_14partition_implILS5_9ELb0ES3_jPlS8_PNS0_10empty_typeENS0_5tupleIJS8_S9_EEENSB_IJS8_SA_EEENS0_18inequality_wrapperIZN2at6native12_GLOBAL__N_124unique_dim_cuda_templateImEESt5tupleIJNSF_6TensorESK_SK_EERKSK_lbbbEUlllE0_EEPmJS9_EEE10hipError_tPvRmT3_T4_T5_T6_T7_T9_mT8_P12ihipStream_tbDpT10_ENKUlT_T0_E_clISt17integral_constantIbLb0EES19_IbLb1EEEEDaS15_S16_EUlS15_E_NS1_11comp_targetILNS1_3genE3ELNS1_11target_archE908ELNS1_3gpuE7ELNS1_3repE0EEENS1_30default_config_static_selectorELNS0_4arch9wavefront6targetE1EEEvT1_
		.amdhsa_group_segment_fixed_size 0
		.amdhsa_private_segment_fixed_size 0
		.amdhsa_kernarg_size 136
		.amdhsa_user_sgpr_count 2
		.amdhsa_user_sgpr_dispatch_ptr 0
		.amdhsa_user_sgpr_queue_ptr 0
		.amdhsa_user_sgpr_kernarg_segment_ptr 1
		.amdhsa_user_sgpr_dispatch_id 0
		.amdhsa_user_sgpr_kernarg_preload_length 0
		.amdhsa_user_sgpr_kernarg_preload_offset 0
		.amdhsa_user_sgpr_private_segment_size 0
		.amdhsa_uses_dynamic_stack 0
		.amdhsa_enable_private_segment 0
		.amdhsa_system_sgpr_workgroup_id_x 1
		.amdhsa_system_sgpr_workgroup_id_y 0
		.amdhsa_system_sgpr_workgroup_id_z 0
		.amdhsa_system_sgpr_workgroup_info 0
		.amdhsa_system_vgpr_workitem_id 0
		.amdhsa_next_free_vgpr 1
		.amdhsa_next_free_sgpr 0
		.amdhsa_accum_offset 4
		.amdhsa_reserve_vcc 0
		.amdhsa_float_round_mode_32 0
		.amdhsa_float_round_mode_16_64 0
		.amdhsa_float_denorm_mode_32 3
		.amdhsa_float_denorm_mode_16_64 3
		.amdhsa_dx10_clamp 1
		.amdhsa_ieee_mode 1
		.amdhsa_fp16_overflow 0
		.amdhsa_tg_split 0
		.amdhsa_exception_fp_ieee_invalid_op 0
		.amdhsa_exception_fp_denorm_src 0
		.amdhsa_exception_fp_ieee_div_zero 0
		.amdhsa_exception_fp_ieee_overflow 0
		.amdhsa_exception_fp_ieee_underflow 0
		.amdhsa_exception_fp_ieee_inexact 0
		.amdhsa_exception_int_div_zero 0
	.end_amdhsa_kernel
	.section	.text._ZN7rocprim17ROCPRIM_400000_NS6detail17trampoline_kernelINS0_14default_configENS1_25partition_config_selectorILNS1_17partition_subalgoE9EllbEEZZNS1_14partition_implILS5_9ELb0ES3_jPlS8_PNS0_10empty_typeENS0_5tupleIJS8_S9_EEENSB_IJS8_SA_EEENS0_18inequality_wrapperIZN2at6native12_GLOBAL__N_124unique_dim_cuda_templateImEESt5tupleIJNSF_6TensorESK_SK_EERKSK_lbbbEUlllE0_EEPmJS9_EEE10hipError_tPvRmT3_T4_T5_T6_T7_T9_mT8_P12ihipStream_tbDpT10_ENKUlT_T0_E_clISt17integral_constantIbLb0EES19_IbLb1EEEEDaS15_S16_EUlS15_E_NS1_11comp_targetILNS1_3genE3ELNS1_11target_archE908ELNS1_3gpuE7ELNS1_3repE0EEENS1_30default_config_static_selectorELNS0_4arch9wavefront6targetE1EEEvT1_,"axG",@progbits,_ZN7rocprim17ROCPRIM_400000_NS6detail17trampoline_kernelINS0_14default_configENS1_25partition_config_selectorILNS1_17partition_subalgoE9EllbEEZZNS1_14partition_implILS5_9ELb0ES3_jPlS8_PNS0_10empty_typeENS0_5tupleIJS8_S9_EEENSB_IJS8_SA_EEENS0_18inequality_wrapperIZN2at6native12_GLOBAL__N_124unique_dim_cuda_templateImEESt5tupleIJNSF_6TensorESK_SK_EERKSK_lbbbEUlllE0_EEPmJS9_EEE10hipError_tPvRmT3_T4_T5_T6_T7_T9_mT8_P12ihipStream_tbDpT10_ENKUlT_T0_E_clISt17integral_constantIbLb0EES19_IbLb1EEEEDaS15_S16_EUlS15_E_NS1_11comp_targetILNS1_3genE3ELNS1_11target_archE908ELNS1_3gpuE7ELNS1_3repE0EEENS1_30default_config_static_selectorELNS0_4arch9wavefront6targetE1EEEvT1_,comdat
.Lfunc_end1722:
	.size	_ZN7rocprim17ROCPRIM_400000_NS6detail17trampoline_kernelINS0_14default_configENS1_25partition_config_selectorILNS1_17partition_subalgoE9EllbEEZZNS1_14partition_implILS5_9ELb0ES3_jPlS8_PNS0_10empty_typeENS0_5tupleIJS8_S9_EEENSB_IJS8_SA_EEENS0_18inequality_wrapperIZN2at6native12_GLOBAL__N_124unique_dim_cuda_templateImEESt5tupleIJNSF_6TensorESK_SK_EERKSK_lbbbEUlllE0_EEPmJS9_EEE10hipError_tPvRmT3_T4_T5_T6_T7_T9_mT8_P12ihipStream_tbDpT10_ENKUlT_T0_E_clISt17integral_constantIbLb0EES19_IbLb1EEEEDaS15_S16_EUlS15_E_NS1_11comp_targetILNS1_3genE3ELNS1_11target_archE908ELNS1_3gpuE7ELNS1_3repE0EEENS1_30default_config_static_selectorELNS0_4arch9wavefront6targetE1EEEvT1_, .Lfunc_end1722-_ZN7rocprim17ROCPRIM_400000_NS6detail17trampoline_kernelINS0_14default_configENS1_25partition_config_selectorILNS1_17partition_subalgoE9EllbEEZZNS1_14partition_implILS5_9ELb0ES3_jPlS8_PNS0_10empty_typeENS0_5tupleIJS8_S9_EEENSB_IJS8_SA_EEENS0_18inequality_wrapperIZN2at6native12_GLOBAL__N_124unique_dim_cuda_templateImEESt5tupleIJNSF_6TensorESK_SK_EERKSK_lbbbEUlllE0_EEPmJS9_EEE10hipError_tPvRmT3_T4_T5_T6_T7_T9_mT8_P12ihipStream_tbDpT10_ENKUlT_T0_E_clISt17integral_constantIbLb0EES19_IbLb1EEEEDaS15_S16_EUlS15_E_NS1_11comp_targetILNS1_3genE3ELNS1_11target_archE908ELNS1_3gpuE7ELNS1_3repE0EEENS1_30default_config_static_selectorELNS0_4arch9wavefront6targetE1EEEvT1_
                                        ; -- End function
	.set _ZN7rocprim17ROCPRIM_400000_NS6detail17trampoline_kernelINS0_14default_configENS1_25partition_config_selectorILNS1_17partition_subalgoE9EllbEEZZNS1_14partition_implILS5_9ELb0ES3_jPlS8_PNS0_10empty_typeENS0_5tupleIJS8_S9_EEENSB_IJS8_SA_EEENS0_18inequality_wrapperIZN2at6native12_GLOBAL__N_124unique_dim_cuda_templateImEESt5tupleIJNSF_6TensorESK_SK_EERKSK_lbbbEUlllE0_EEPmJS9_EEE10hipError_tPvRmT3_T4_T5_T6_T7_T9_mT8_P12ihipStream_tbDpT10_ENKUlT_T0_E_clISt17integral_constantIbLb0EES19_IbLb1EEEEDaS15_S16_EUlS15_E_NS1_11comp_targetILNS1_3genE3ELNS1_11target_archE908ELNS1_3gpuE7ELNS1_3repE0EEENS1_30default_config_static_selectorELNS0_4arch9wavefront6targetE1EEEvT1_.num_vgpr, 0
	.set _ZN7rocprim17ROCPRIM_400000_NS6detail17trampoline_kernelINS0_14default_configENS1_25partition_config_selectorILNS1_17partition_subalgoE9EllbEEZZNS1_14partition_implILS5_9ELb0ES3_jPlS8_PNS0_10empty_typeENS0_5tupleIJS8_S9_EEENSB_IJS8_SA_EEENS0_18inequality_wrapperIZN2at6native12_GLOBAL__N_124unique_dim_cuda_templateImEESt5tupleIJNSF_6TensorESK_SK_EERKSK_lbbbEUlllE0_EEPmJS9_EEE10hipError_tPvRmT3_T4_T5_T6_T7_T9_mT8_P12ihipStream_tbDpT10_ENKUlT_T0_E_clISt17integral_constantIbLb0EES19_IbLb1EEEEDaS15_S16_EUlS15_E_NS1_11comp_targetILNS1_3genE3ELNS1_11target_archE908ELNS1_3gpuE7ELNS1_3repE0EEENS1_30default_config_static_selectorELNS0_4arch9wavefront6targetE1EEEvT1_.num_agpr, 0
	.set _ZN7rocprim17ROCPRIM_400000_NS6detail17trampoline_kernelINS0_14default_configENS1_25partition_config_selectorILNS1_17partition_subalgoE9EllbEEZZNS1_14partition_implILS5_9ELb0ES3_jPlS8_PNS0_10empty_typeENS0_5tupleIJS8_S9_EEENSB_IJS8_SA_EEENS0_18inequality_wrapperIZN2at6native12_GLOBAL__N_124unique_dim_cuda_templateImEESt5tupleIJNSF_6TensorESK_SK_EERKSK_lbbbEUlllE0_EEPmJS9_EEE10hipError_tPvRmT3_T4_T5_T6_T7_T9_mT8_P12ihipStream_tbDpT10_ENKUlT_T0_E_clISt17integral_constantIbLb0EES19_IbLb1EEEEDaS15_S16_EUlS15_E_NS1_11comp_targetILNS1_3genE3ELNS1_11target_archE908ELNS1_3gpuE7ELNS1_3repE0EEENS1_30default_config_static_selectorELNS0_4arch9wavefront6targetE1EEEvT1_.numbered_sgpr, 0
	.set _ZN7rocprim17ROCPRIM_400000_NS6detail17trampoline_kernelINS0_14default_configENS1_25partition_config_selectorILNS1_17partition_subalgoE9EllbEEZZNS1_14partition_implILS5_9ELb0ES3_jPlS8_PNS0_10empty_typeENS0_5tupleIJS8_S9_EEENSB_IJS8_SA_EEENS0_18inequality_wrapperIZN2at6native12_GLOBAL__N_124unique_dim_cuda_templateImEESt5tupleIJNSF_6TensorESK_SK_EERKSK_lbbbEUlllE0_EEPmJS9_EEE10hipError_tPvRmT3_T4_T5_T6_T7_T9_mT8_P12ihipStream_tbDpT10_ENKUlT_T0_E_clISt17integral_constantIbLb0EES19_IbLb1EEEEDaS15_S16_EUlS15_E_NS1_11comp_targetILNS1_3genE3ELNS1_11target_archE908ELNS1_3gpuE7ELNS1_3repE0EEENS1_30default_config_static_selectorELNS0_4arch9wavefront6targetE1EEEvT1_.num_named_barrier, 0
	.set _ZN7rocprim17ROCPRIM_400000_NS6detail17trampoline_kernelINS0_14default_configENS1_25partition_config_selectorILNS1_17partition_subalgoE9EllbEEZZNS1_14partition_implILS5_9ELb0ES3_jPlS8_PNS0_10empty_typeENS0_5tupleIJS8_S9_EEENSB_IJS8_SA_EEENS0_18inequality_wrapperIZN2at6native12_GLOBAL__N_124unique_dim_cuda_templateImEESt5tupleIJNSF_6TensorESK_SK_EERKSK_lbbbEUlllE0_EEPmJS9_EEE10hipError_tPvRmT3_T4_T5_T6_T7_T9_mT8_P12ihipStream_tbDpT10_ENKUlT_T0_E_clISt17integral_constantIbLb0EES19_IbLb1EEEEDaS15_S16_EUlS15_E_NS1_11comp_targetILNS1_3genE3ELNS1_11target_archE908ELNS1_3gpuE7ELNS1_3repE0EEENS1_30default_config_static_selectorELNS0_4arch9wavefront6targetE1EEEvT1_.private_seg_size, 0
	.set _ZN7rocprim17ROCPRIM_400000_NS6detail17trampoline_kernelINS0_14default_configENS1_25partition_config_selectorILNS1_17partition_subalgoE9EllbEEZZNS1_14partition_implILS5_9ELb0ES3_jPlS8_PNS0_10empty_typeENS0_5tupleIJS8_S9_EEENSB_IJS8_SA_EEENS0_18inequality_wrapperIZN2at6native12_GLOBAL__N_124unique_dim_cuda_templateImEESt5tupleIJNSF_6TensorESK_SK_EERKSK_lbbbEUlllE0_EEPmJS9_EEE10hipError_tPvRmT3_T4_T5_T6_T7_T9_mT8_P12ihipStream_tbDpT10_ENKUlT_T0_E_clISt17integral_constantIbLb0EES19_IbLb1EEEEDaS15_S16_EUlS15_E_NS1_11comp_targetILNS1_3genE3ELNS1_11target_archE908ELNS1_3gpuE7ELNS1_3repE0EEENS1_30default_config_static_selectorELNS0_4arch9wavefront6targetE1EEEvT1_.uses_vcc, 0
	.set _ZN7rocprim17ROCPRIM_400000_NS6detail17trampoline_kernelINS0_14default_configENS1_25partition_config_selectorILNS1_17partition_subalgoE9EllbEEZZNS1_14partition_implILS5_9ELb0ES3_jPlS8_PNS0_10empty_typeENS0_5tupleIJS8_S9_EEENSB_IJS8_SA_EEENS0_18inequality_wrapperIZN2at6native12_GLOBAL__N_124unique_dim_cuda_templateImEESt5tupleIJNSF_6TensorESK_SK_EERKSK_lbbbEUlllE0_EEPmJS9_EEE10hipError_tPvRmT3_T4_T5_T6_T7_T9_mT8_P12ihipStream_tbDpT10_ENKUlT_T0_E_clISt17integral_constantIbLb0EES19_IbLb1EEEEDaS15_S16_EUlS15_E_NS1_11comp_targetILNS1_3genE3ELNS1_11target_archE908ELNS1_3gpuE7ELNS1_3repE0EEENS1_30default_config_static_selectorELNS0_4arch9wavefront6targetE1EEEvT1_.uses_flat_scratch, 0
	.set _ZN7rocprim17ROCPRIM_400000_NS6detail17trampoline_kernelINS0_14default_configENS1_25partition_config_selectorILNS1_17partition_subalgoE9EllbEEZZNS1_14partition_implILS5_9ELb0ES3_jPlS8_PNS0_10empty_typeENS0_5tupleIJS8_S9_EEENSB_IJS8_SA_EEENS0_18inequality_wrapperIZN2at6native12_GLOBAL__N_124unique_dim_cuda_templateImEESt5tupleIJNSF_6TensorESK_SK_EERKSK_lbbbEUlllE0_EEPmJS9_EEE10hipError_tPvRmT3_T4_T5_T6_T7_T9_mT8_P12ihipStream_tbDpT10_ENKUlT_T0_E_clISt17integral_constantIbLb0EES19_IbLb1EEEEDaS15_S16_EUlS15_E_NS1_11comp_targetILNS1_3genE3ELNS1_11target_archE908ELNS1_3gpuE7ELNS1_3repE0EEENS1_30default_config_static_selectorELNS0_4arch9wavefront6targetE1EEEvT1_.has_dyn_sized_stack, 0
	.set _ZN7rocprim17ROCPRIM_400000_NS6detail17trampoline_kernelINS0_14default_configENS1_25partition_config_selectorILNS1_17partition_subalgoE9EllbEEZZNS1_14partition_implILS5_9ELb0ES3_jPlS8_PNS0_10empty_typeENS0_5tupleIJS8_S9_EEENSB_IJS8_SA_EEENS0_18inequality_wrapperIZN2at6native12_GLOBAL__N_124unique_dim_cuda_templateImEESt5tupleIJNSF_6TensorESK_SK_EERKSK_lbbbEUlllE0_EEPmJS9_EEE10hipError_tPvRmT3_T4_T5_T6_T7_T9_mT8_P12ihipStream_tbDpT10_ENKUlT_T0_E_clISt17integral_constantIbLb0EES19_IbLb1EEEEDaS15_S16_EUlS15_E_NS1_11comp_targetILNS1_3genE3ELNS1_11target_archE908ELNS1_3gpuE7ELNS1_3repE0EEENS1_30default_config_static_selectorELNS0_4arch9wavefront6targetE1EEEvT1_.has_recursion, 0
	.set _ZN7rocprim17ROCPRIM_400000_NS6detail17trampoline_kernelINS0_14default_configENS1_25partition_config_selectorILNS1_17partition_subalgoE9EllbEEZZNS1_14partition_implILS5_9ELb0ES3_jPlS8_PNS0_10empty_typeENS0_5tupleIJS8_S9_EEENSB_IJS8_SA_EEENS0_18inequality_wrapperIZN2at6native12_GLOBAL__N_124unique_dim_cuda_templateImEESt5tupleIJNSF_6TensorESK_SK_EERKSK_lbbbEUlllE0_EEPmJS9_EEE10hipError_tPvRmT3_T4_T5_T6_T7_T9_mT8_P12ihipStream_tbDpT10_ENKUlT_T0_E_clISt17integral_constantIbLb0EES19_IbLb1EEEEDaS15_S16_EUlS15_E_NS1_11comp_targetILNS1_3genE3ELNS1_11target_archE908ELNS1_3gpuE7ELNS1_3repE0EEENS1_30default_config_static_selectorELNS0_4arch9wavefront6targetE1EEEvT1_.has_indirect_call, 0
	.section	.AMDGPU.csdata,"",@progbits
; Kernel info:
; codeLenInByte = 0
; TotalNumSgprs: 6
; NumVgprs: 0
; NumAgprs: 0
; TotalNumVgprs: 0
; ScratchSize: 0
; MemoryBound: 0
; FloatMode: 240
; IeeeMode: 1
; LDSByteSize: 0 bytes/workgroup (compile time only)
; SGPRBlocks: 0
; VGPRBlocks: 0
; NumSGPRsForWavesPerEU: 6
; NumVGPRsForWavesPerEU: 1
; AccumOffset: 4
; Occupancy: 8
; WaveLimiterHint : 0
; COMPUTE_PGM_RSRC2:SCRATCH_EN: 0
; COMPUTE_PGM_RSRC2:USER_SGPR: 2
; COMPUTE_PGM_RSRC2:TRAP_HANDLER: 0
; COMPUTE_PGM_RSRC2:TGID_X_EN: 1
; COMPUTE_PGM_RSRC2:TGID_Y_EN: 0
; COMPUTE_PGM_RSRC2:TGID_Z_EN: 0
; COMPUTE_PGM_RSRC2:TIDIG_COMP_CNT: 0
; COMPUTE_PGM_RSRC3_GFX90A:ACCUM_OFFSET: 0
; COMPUTE_PGM_RSRC3_GFX90A:TG_SPLIT: 0
	.section	.text._ZN7rocprim17ROCPRIM_400000_NS6detail17trampoline_kernelINS0_14default_configENS1_25partition_config_selectorILNS1_17partition_subalgoE9EllbEEZZNS1_14partition_implILS5_9ELb0ES3_jPlS8_PNS0_10empty_typeENS0_5tupleIJS8_S9_EEENSB_IJS8_SA_EEENS0_18inequality_wrapperIZN2at6native12_GLOBAL__N_124unique_dim_cuda_templateImEESt5tupleIJNSF_6TensorESK_SK_EERKSK_lbbbEUlllE0_EEPmJS9_EEE10hipError_tPvRmT3_T4_T5_T6_T7_T9_mT8_P12ihipStream_tbDpT10_ENKUlT_T0_E_clISt17integral_constantIbLb0EES19_IbLb1EEEEDaS15_S16_EUlS15_E_NS1_11comp_targetILNS1_3genE2ELNS1_11target_archE906ELNS1_3gpuE6ELNS1_3repE0EEENS1_30default_config_static_selectorELNS0_4arch9wavefront6targetE1EEEvT1_,"axG",@progbits,_ZN7rocprim17ROCPRIM_400000_NS6detail17trampoline_kernelINS0_14default_configENS1_25partition_config_selectorILNS1_17partition_subalgoE9EllbEEZZNS1_14partition_implILS5_9ELb0ES3_jPlS8_PNS0_10empty_typeENS0_5tupleIJS8_S9_EEENSB_IJS8_SA_EEENS0_18inequality_wrapperIZN2at6native12_GLOBAL__N_124unique_dim_cuda_templateImEESt5tupleIJNSF_6TensorESK_SK_EERKSK_lbbbEUlllE0_EEPmJS9_EEE10hipError_tPvRmT3_T4_T5_T6_T7_T9_mT8_P12ihipStream_tbDpT10_ENKUlT_T0_E_clISt17integral_constantIbLb0EES19_IbLb1EEEEDaS15_S16_EUlS15_E_NS1_11comp_targetILNS1_3genE2ELNS1_11target_archE906ELNS1_3gpuE6ELNS1_3repE0EEENS1_30default_config_static_selectorELNS0_4arch9wavefront6targetE1EEEvT1_,comdat
	.globl	_ZN7rocprim17ROCPRIM_400000_NS6detail17trampoline_kernelINS0_14default_configENS1_25partition_config_selectorILNS1_17partition_subalgoE9EllbEEZZNS1_14partition_implILS5_9ELb0ES3_jPlS8_PNS0_10empty_typeENS0_5tupleIJS8_S9_EEENSB_IJS8_SA_EEENS0_18inequality_wrapperIZN2at6native12_GLOBAL__N_124unique_dim_cuda_templateImEESt5tupleIJNSF_6TensorESK_SK_EERKSK_lbbbEUlllE0_EEPmJS9_EEE10hipError_tPvRmT3_T4_T5_T6_T7_T9_mT8_P12ihipStream_tbDpT10_ENKUlT_T0_E_clISt17integral_constantIbLb0EES19_IbLb1EEEEDaS15_S16_EUlS15_E_NS1_11comp_targetILNS1_3genE2ELNS1_11target_archE906ELNS1_3gpuE6ELNS1_3repE0EEENS1_30default_config_static_selectorELNS0_4arch9wavefront6targetE1EEEvT1_ ; -- Begin function _ZN7rocprim17ROCPRIM_400000_NS6detail17trampoline_kernelINS0_14default_configENS1_25partition_config_selectorILNS1_17partition_subalgoE9EllbEEZZNS1_14partition_implILS5_9ELb0ES3_jPlS8_PNS0_10empty_typeENS0_5tupleIJS8_S9_EEENSB_IJS8_SA_EEENS0_18inequality_wrapperIZN2at6native12_GLOBAL__N_124unique_dim_cuda_templateImEESt5tupleIJNSF_6TensorESK_SK_EERKSK_lbbbEUlllE0_EEPmJS9_EEE10hipError_tPvRmT3_T4_T5_T6_T7_T9_mT8_P12ihipStream_tbDpT10_ENKUlT_T0_E_clISt17integral_constantIbLb0EES19_IbLb1EEEEDaS15_S16_EUlS15_E_NS1_11comp_targetILNS1_3genE2ELNS1_11target_archE906ELNS1_3gpuE6ELNS1_3repE0EEENS1_30default_config_static_selectorELNS0_4arch9wavefront6targetE1EEEvT1_
	.p2align	8
	.type	_ZN7rocprim17ROCPRIM_400000_NS6detail17trampoline_kernelINS0_14default_configENS1_25partition_config_selectorILNS1_17partition_subalgoE9EllbEEZZNS1_14partition_implILS5_9ELb0ES3_jPlS8_PNS0_10empty_typeENS0_5tupleIJS8_S9_EEENSB_IJS8_SA_EEENS0_18inequality_wrapperIZN2at6native12_GLOBAL__N_124unique_dim_cuda_templateImEESt5tupleIJNSF_6TensorESK_SK_EERKSK_lbbbEUlllE0_EEPmJS9_EEE10hipError_tPvRmT3_T4_T5_T6_T7_T9_mT8_P12ihipStream_tbDpT10_ENKUlT_T0_E_clISt17integral_constantIbLb0EES19_IbLb1EEEEDaS15_S16_EUlS15_E_NS1_11comp_targetILNS1_3genE2ELNS1_11target_archE906ELNS1_3gpuE6ELNS1_3repE0EEENS1_30default_config_static_selectorELNS0_4arch9wavefront6targetE1EEEvT1_,@function
_ZN7rocprim17ROCPRIM_400000_NS6detail17trampoline_kernelINS0_14default_configENS1_25partition_config_selectorILNS1_17partition_subalgoE9EllbEEZZNS1_14partition_implILS5_9ELb0ES3_jPlS8_PNS0_10empty_typeENS0_5tupleIJS8_S9_EEENSB_IJS8_SA_EEENS0_18inequality_wrapperIZN2at6native12_GLOBAL__N_124unique_dim_cuda_templateImEESt5tupleIJNSF_6TensorESK_SK_EERKSK_lbbbEUlllE0_EEPmJS9_EEE10hipError_tPvRmT3_T4_T5_T6_T7_T9_mT8_P12ihipStream_tbDpT10_ENKUlT_T0_E_clISt17integral_constantIbLb0EES19_IbLb1EEEEDaS15_S16_EUlS15_E_NS1_11comp_targetILNS1_3genE2ELNS1_11target_archE906ELNS1_3gpuE6ELNS1_3repE0EEENS1_30default_config_static_selectorELNS0_4arch9wavefront6targetE1EEEvT1_: ; @_ZN7rocprim17ROCPRIM_400000_NS6detail17trampoline_kernelINS0_14default_configENS1_25partition_config_selectorILNS1_17partition_subalgoE9EllbEEZZNS1_14partition_implILS5_9ELb0ES3_jPlS8_PNS0_10empty_typeENS0_5tupleIJS8_S9_EEENSB_IJS8_SA_EEENS0_18inequality_wrapperIZN2at6native12_GLOBAL__N_124unique_dim_cuda_templateImEESt5tupleIJNSF_6TensorESK_SK_EERKSK_lbbbEUlllE0_EEPmJS9_EEE10hipError_tPvRmT3_T4_T5_T6_T7_T9_mT8_P12ihipStream_tbDpT10_ENKUlT_T0_E_clISt17integral_constantIbLb0EES19_IbLb1EEEEDaS15_S16_EUlS15_E_NS1_11comp_targetILNS1_3genE2ELNS1_11target_archE906ELNS1_3gpuE6ELNS1_3repE0EEENS1_30default_config_static_selectorELNS0_4arch9wavefront6targetE1EEEvT1_
; %bb.0:
	.section	.rodata,"a",@progbits
	.p2align	6, 0x0
	.amdhsa_kernel _ZN7rocprim17ROCPRIM_400000_NS6detail17trampoline_kernelINS0_14default_configENS1_25partition_config_selectorILNS1_17partition_subalgoE9EllbEEZZNS1_14partition_implILS5_9ELb0ES3_jPlS8_PNS0_10empty_typeENS0_5tupleIJS8_S9_EEENSB_IJS8_SA_EEENS0_18inequality_wrapperIZN2at6native12_GLOBAL__N_124unique_dim_cuda_templateImEESt5tupleIJNSF_6TensorESK_SK_EERKSK_lbbbEUlllE0_EEPmJS9_EEE10hipError_tPvRmT3_T4_T5_T6_T7_T9_mT8_P12ihipStream_tbDpT10_ENKUlT_T0_E_clISt17integral_constantIbLb0EES19_IbLb1EEEEDaS15_S16_EUlS15_E_NS1_11comp_targetILNS1_3genE2ELNS1_11target_archE906ELNS1_3gpuE6ELNS1_3repE0EEENS1_30default_config_static_selectorELNS0_4arch9wavefront6targetE1EEEvT1_
		.amdhsa_group_segment_fixed_size 0
		.amdhsa_private_segment_fixed_size 0
		.amdhsa_kernarg_size 136
		.amdhsa_user_sgpr_count 2
		.amdhsa_user_sgpr_dispatch_ptr 0
		.amdhsa_user_sgpr_queue_ptr 0
		.amdhsa_user_sgpr_kernarg_segment_ptr 1
		.amdhsa_user_sgpr_dispatch_id 0
		.amdhsa_user_sgpr_kernarg_preload_length 0
		.amdhsa_user_sgpr_kernarg_preload_offset 0
		.amdhsa_user_sgpr_private_segment_size 0
		.amdhsa_uses_dynamic_stack 0
		.amdhsa_enable_private_segment 0
		.amdhsa_system_sgpr_workgroup_id_x 1
		.amdhsa_system_sgpr_workgroup_id_y 0
		.amdhsa_system_sgpr_workgroup_id_z 0
		.amdhsa_system_sgpr_workgroup_info 0
		.amdhsa_system_vgpr_workitem_id 0
		.amdhsa_next_free_vgpr 1
		.amdhsa_next_free_sgpr 0
		.amdhsa_accum_offset 4
		.amdhsa_reserve_vcc 0
		.amdhsa_float_round_mode_32 0
		.amdhsa_float_round_mode_16_64 0
		.amdhsa_float_denorm_mode_32 3
		.amdhsa_float_denorm_mode_16_64 3
		.amdhsa_dx10_clamp 1
		.amdhsa_ieee_mode 1
		.amdhsa_fp16_overflow 0
		.amdhsa_tg_split 0
		.amdhsa_exception_fp_ieee_invalid_op 0
		.amdhsa_exception_fp_denorm_src 0
		.amdhsa_exception_fp_ieee_div_zero 0
		.amdhsa_exception_fp_ieee_overflow 0
		.amdhsa_exception_fp_ieee_underflow 0
		.amdhsa_exception_fp_ieee_inexact 0
		.amdhsa_exception_int_div_zero 0
	.end_amdhsa_kernel
	.section	.text._ZN7rocprim17ROCPRIM_400000_NS6detail17trampoline_kernelINS0_14default_configENS1_25partition_config_selectorILNS1_17partition_subalgoE9EllbEEZZNS1_14partition_implILS5_9ELb0ES3_jPlS8_PNS0_10empty_typeENS0_5tupleIJS8_S9_EEENSB_IJS8_SA_EEENS0_18inequality_wrapperIZN2at6native12_GLOBAL__N_124unique_dim_cuda_templateImEESt5tupleIJNSF_6TensorESK_SK_EERKSK_lbbbEUlllE0_EEPmJS9_EEE10hipError_tPvRmT3_T4_T5_T6_T7_T9_mT8_P12ihipStream_tbDpT10_ENKUlT_T0_E_clISt17integral_constantIbLb0EES19_IbLb1EEEEDaS15_S16_EUlS15_E_NS1_11comp_targetILNS1_3genE2ELNS1_11target_archE906ELNS1_3gpuE6ELNS1_3repE0EEENS1_30default_config_static_selectorELNS0_4arch9wavefront6targetE1EEEvT1_,"axG",@progbits,_ZN7rocprim17ROCPRIM_400000_NS6detail17trampoline_kernelINS0_14default_configENS1_25partition_config_selectorILNS1_17partition_subalgoE9EllbEEZZNS1_14partition_implILS5_9ELb0ES3_jPlS8_PNS0_10empty_typeENS0_5tupleIJS8_S9_EEENSB_IJS8_SA_EEENS0_18inequality_wrapperIZN2at6native12_GLOBAL__N_124unique_dim_cuda_templateImEESt5tupleIJNSF_6TensorESK_SK_EERKSK_lbbbEUlllE0_EEPmJS9_EEE10hipError_tPvRmT3_T4_T5_T6_T7_T9_mT8_P12ihipStream_tbDpT10_ENKUlT_T0_E_clISt17integral_constantIbLb0EES19_IbLb1EEEEDaS15_S16_EUlS15_E_NS1_11comp_targetILNS1_3genE2ELNS1_11target_archE906ELNS1_3gpuE6ELNS1_3repE0EEENS1_30default_config_static_selectorELNS0_4arch9wavefront6targetE1EEEvT1_,comdat
.Lfunc_end1723:
	.size	_ZN7rocprim17ROCPRIM_400000_NS6detail17trampoline_kernelINS0_14default_configENS1_25partition_config_selectorILNS1_17partition_subalgoE9EllbEEZZNS1_14partition_implILS5_9ELb0ES3_jPlS8_PNS0_10empty_typeENS0_5tupleIJS8_S9_EEENSB_IJS8_SA_EEENS0_18inequality_wrapperIZN2at6native12_GLOBAL__N_124unique_dim_cuda_templateImEESt5tupleIJNSF_6TensorESK_SK_EERKSK_lbbbEUlllE0_EEPmJS9_EEE10hipError_tPvRmT3_T4_T5_T6_T7_T9_mT8_P12ihipStream_tbDpT10_ENKUlT_T0_E_clISt17integral_constantIbLb0EES19_IbLb1EEEEDaS15_S16_EUlS15_E_NS1_11comp_targetILNS1_3genE2ELNS1_11target_archE906ELNS1_3gpuE6ELNS1_3repE0EEENS1_30default_config_static_selectorELNS0_4arch9wavefront6targetE1EEEvT1_, .Lfunc_end1723-_ZN7rocprim17ROCPRIM_400000_NS6detail17trampoline_kernelINS0_14default_configENS1_25partition_config_selectorILNS1_17partition_subalgoE9EllbEEZZNS1_14partition_implILS5_9ELb0ES3_jPlS8_PNS0_10empty_typeENS0_5tupleIJS8_S9_EEENSB_IJS8_SA_EEENS0_18inequality_wrapperIZN2at6native12_GLOBAL__N_124unique_dim_cuda_templateImEESt5tupleIJNSF_6TensorESK_SK_EERKSK_lbbbEUlllE0_EEPmJS9_EEE10hipError_tPvRmT3_T4_T5_T6_T7_T9_mT8_P12ihipStream_tbDpT10_ENKUlT_T0_E_clISt17integral_constantIbLb0EES19_IbLb1EEEEDaS15_S16_EUlS15_E_NS1_11comp_targetILNS1_3genE2ELNS1_11target_archE906ELNS1_3gpuE6ELNS1_3repE0EEENS1_30default_config_static_selectorELNS0_4arch9wavefront6targetE1EEEvT1_
                                        ; -- End function
	.set _ZN7rocprim17ROCPRIM_400000_NS6detail17trampoline_kernelINS0_14default_configENS1_25partition_config_selectorILNS1_17partition_subalgoE9EllbEEZZNS1_14partition_implILS5_9ELb0ES3_jPlS8_PNS0_10empty_typeENS0_5tupleIJS8_S9_EEENSB_IJS8_SA_EEENS0_18inequality_wrapperIZN2at6native12_GLOBAL__N_124unique_dim_cuda_templateImEESt5tupleIJNSF_6TensorESK_SK_EERKSK_lbbbEUlllE0_EEPmJS9_EEE10hipError_tPvRmT3_T4_T5_T6_T7_T9_mT8_P12ihipStream_tbDpT10_ENKUlT_T0_E_clISt17integral_constantIbLb0EES19_IbLb1EEEEDaS15_S16_EUlS15_E_NS1_11comp_targetILNS1_3genE2ELNS1_11target_archE906ELNS1_3gpuE6ELNS1_3repE0EEENS1_30default_config_static_selectorELNS0_4arch9wavefront6targetE1EEEvT1_.num_vgpr, 0
	.set _ZN7rocprim17ROCPRIM_400000_NS6detail17trampoline_kernelINS0_14default_configENS1_25partition_config_selectorILNS1_17partition_subalgoE9EllbEEZZNS1_14partition_implILS5_9ELb0ES3_jPlS8_PNS0_10empty_typeENS0_5tupleIJS8_S9_EEENSB_IJS8_SA_EEENS0_18inequality_wrapperIZN2at6native12_GLOBAL__N_124unique_dim_cuda_templateImEESt5tupleIJNSF_6TensorESK_SK_EERKSK_lbbbEUlllE0_EEPmJS9_EEE10hipError_tPvRmT3_T4_T5_T6_T7_T9_mT8_P12ihipStream_tbDpT10_ENKUlT_T0_E_clISt17integral_constantIbLb0EES19_IbLb1EEEEDaS15_S16_EUlS15_E_NS1_11comp_targetILNS1_3genE2ELNS1_11target_archE906ELNS1_3gpuE6ELNS1_3repE0EEENS1_30default_config_static_selectorELNS0_4arch9wavefront6targetE1EEEvT1_.num_agpr, 0
	.set _ZN7rocprim17ROCPRIM_400000_NS6detail17trampoline_kernelINS0_14default_configENS1_25partition_config_selectorILNS1_17partition_subalgoE9EllbEEZZNS1_14partition_implILS5_9ELb0ES3_jPlS8_PNS0_10empty_typeENS0_5tupleIJS8_S9_EEENSB_IJS8_SA_EEENS0_18inequality_wrapperIZN2at6native12_GLOBAL__N_124unique_dim_cuda_templateImEESt5tupleIJNSF_6TensorESK_SK_EERKSK_lbbbEUlllE0_EEPmJS9_EEE10hipError_tPvRmT3_T4_T5_T6_T7_T9_mT8_P12ihipStream_tbDpT10_ENKUlT_T0_E_clISt17integral_constantIbLb0EES19_IbLb1EEEEDaS15_S16_EUlS15_E_NS1_11comp_targetILNS1_3genE2ELNS1_11target_archE906ELNS1_3gpuE6ELNS1_3repE0EEENS1_30default_config_static_selectorELNS0_4arch9wavefront6targetE1EEEvT1_.numbered_sgpr, 0
	.set _ZN7rocprim17ROCPRIM_400000_NS6detail17trampoline_kernelINS0_14default_configENS1_25partition_config_selectorILNS1_17partition_subalgoE9EllbEEZZNS1_14partition_implILS5_9ELb0ES3_jPlS8_PNS0_10empty_typeENS0_5tupleIJS8_S9_EEENSB_IJS8_SA_EEENS0_18inequality_wrapperIZN2at6native12_GLOBAL__N_124unique_dim_cuda_templateImEESt5tupleIJNSF_6TensorESK_SK_EERKSK_lbbbEUlllE0_EEPmJS9_EEE10hipError_tPvRmT3_T4_T5_T6_T7_T9_mT8_P12ihipStream_tbDpT10_ENKUlT_T0_E_clISt17integral_constantIbLb0EES19_IbLb1EEEEDaS15_S16_EUlS15_E_NS1_11comp_targetILNS1_3genE2ELNS1_11target_archE906ELNS1_3gpuE6ELNS1_3repE0EEENS1_30default_config_static_selectorELNS0_4arch9wavefront6targetE1EEEvT1_.num_named_barrier, 0
	.set _ZN7rocprim17ROCPRIM_400000_NS6detail17trampoline_kernelINS0_14default_configENS1_25partition_config_selectorILNS1_17partition_subalgoE9EllbEEZZNS1_14partition_implILS5_9ELb0ES3_jPlS8_PNS0_10empty_typeENS0_5tupleIJS8_S9_EEENSB_IJS8_SA_EEENS0_18inequality_wrapperIZN2at6native12_GLOBAL__N_124unique_dim_cuda_templateImEESt5tupleIJNSF_6TensorESK_SK_EERKSK_lbbbEUlllE0_EEPmJS9_EEE10hipError_tPvRmT3_T4_T5_T6_T7_T9_mT8_P12ihipStream_tbDpT10_ENKUlT_T0_E_clISt17integral_constantIbLb0EES19_IbLb1EEEEDaS15_S16_EUlS15_E_NS1_11comp_targetILNS1_3genE2ELNS1_11target_archE906ELNS1_3gpuE6ELNS1_3repE0EEENS1_30default_config_static_selectorELNS0_4arch9wavefront6targetE1EEEvT1_.private_seg_size, 0
	.set _ZN7rocprim17ROCPRIM_400000_NS6detail17trampoline_kernelINS0_14default_configENS1_25partition_config_selectorILNS1_17partition_subalgoE9EllbEEZZNS1_14partition_implILS5_9ELb0ES3_jPlS8_PNS0_10empty_typeENS0_5tupleIJS8_S9_EEENSB_IJS8_SA_EEENS0_18inequality_wrapperIZN2at6native12_GLOBAL__N_124unique_dim_cuda_templateImEESt5tupleIJNSF_6TensorESK_SK_EERKSK_lbbbEUlllE0_EEPmJS9_EEE10hipError_tPvRmT3_T4_T5_T6_T7_T9_mT8_P12ihipStream_tbDpT10_ENKUlT_T0_E_clISt17integral_constantIbLb0EES19_IbLb1EEEEDaS15_S16_EUlS15_E_NS1_11comp_targetILNS1_3genE2ELNS1_11target_archE906ELNS1_3gpuE6ELNS1_3repE0EEENS1_30default_config_static_selectorELNS0_4arch9wavefront6targetE1EEEvT1_.uses_vcc, 0
	.set _ZN7rocprim17ROCPRIM_400000_NS6detail17trampoline_kernelINS0_14default_configENS1_25partition_config_selectorILNS1_17partition_subalgoE9EllbEEZZNS1_14partition_implILS5_9ELb0ES3_jPlS8_PNS0_10empty_typeENS0_5tupleIJS8_S9_EEENSB_IJS8_SA_EEENS0_18inequality_wrapperIZN2at6native12_GLOBAL__N_124unique_dim_cuda_templateImEESt5tupleIJNSF_6TensorESK_SK_EERKSK_lbbbEUlllE0_EEPmJS9_EEE10hipError_tPvRmT3_T4_T5_T6_T7_T9_mT8_P12ihipStream_tbDpT10_ENKUlT_T0_E_clISt17integral_constantIbLb0EES19_IbLb1EEEEDaS15_S16_EUlS15_E_NS1_11comp_targetILNS1_3genE2ELNS1_11target_archE906ELNS1_3gpuE6ELNS1_3repE0EEENS1_30default_config_static_selectorELNS0_4arch9wavefront6targetE1EEEvT1_.uses_flat_scratch, 0
	.set _ZN7rocprim17ROCPRIM_400000_NS6detail17trampoline_kernelINS0_14default_configENS1_25partition_config_selectorILNS1_17partition_subalgoE9EllbEEZZNS1_14partition_implILS5_9ELb0ES3_jPlS8_PNS0_10empty_typeENS0_5tupleIJS8_S9_EEENSB_IJS8_SA_EEENS0_18inequality_wrapperIZN2at6native12_GLOBAL__N_124unique_dim_cuda_templateImEESt5tupleIJNSF_6TensorESK_SK_EERKSK_lbbbEUlllE0_EEPmJS9_EEE10hipError_tPvRmT3_T4_T5_T6_T7_T9_mT8_P12ihipStream_tbDpT10_ENKUlT_T0_E_clISt17integral_constantIbLb0EES19_IbLb1EEEEDaS15_S16_EUlS15_E_NS1_11comp_targetILNS1_3genE2ELNS1_11target_archE906ELNS1_3gpuE6ELNS1_3repE0EEENS1_30default_config_static_selectorELNS0_4arch9wavefront6targetE1EEEvT1_.has_dyn_sized_stack, 0
	.set _ZN7rocprim17ROCPRIM_400000_NS6detail17trampoline_kernelINS0_14default_configENS1_25partition_config_selectorILNS1_17partition_subalgoE9EllbEEZZNS1_14partition_implILS5_9ELb0ES3_jPlS8_PNS0_10empty_typeENS0_5tupleIJS8_S9_EEENSB_IJS8_SA_EEENS0_18inequality_wrapperIZN2at6native12_GLOBAL__N_124unique_dim_cuda_templateImEESt5tupleIJNSF_6TensorESK_SK_EERKSK_lbbbEUlllE0_EEPmJS9_EEE10hipError_tPvRmT3_T4_T5_T6_T7_T9_mT8_P12ihipStream_tbDpT10_ENKUlT_T0_E_clISt17integral_constantIbLb0EES19_IbLb1EEEEDaS15_S16_EUlS15_E_NS1_11comp_targetILNS1_3genE2ELNS1_11target_archE906ELNS1_3gpuE6ELNS1_3repE0EEENS1_30default_config_static_selectorELNS0_4arch9wavefront6targetE1EEEvT1_.has_recursion, 0
	.set _ZN7rocprim17ROCPRIM_400000_NS6detail17trampoline_kernelINS0_14default_configENS1_25partition_config_selectorILNS1_17partition_subalgoE9EllbEEZZNS1_14partition_implILS5_9ELb0ES3_jPlS8_PNS0_10empty_typeENS0_5tupleIJS8_S9_EEENSB_IJS8_SA_EEENS0_18inequality_wrapperIZN2at6native12_GLOBAL__N_124unique_dim_cuda_templateImEESt5tupleIJNSF_6TensorESK_SK_EERKSK_lbbbEUlllE0_EEPmJS9_EEE10hipError_tPvRmT3_T4_T5_T6_T7_T9_mT8_P12ihipStream_tbDpT10_ENKUlT_T0_E_clISt17integral_constantIbLb0EES19_IbLb1EEEEDaS15_S16_EUlS15_E_NS1_11comp_targetILNS1_3genE2ELNS1_11target_archE906ELNS1_3gpuE6ELNS1_3repE0EEENS1_30default_config_static_selectorELNS0_4arch9wavefront6targetE1EEEvT1_.has_indirect_call, 0
	.section	.AMDGPU.csdata,"",@progbits
; Kernel info:
; codeLenInByte = 0
; TotalNumSgprs: 6
; NumVgprs: 0
; NumAgprs: 0
; TotalNumVgprs: 0
; ScratchSize: 0
; MemoryBound: 0
; FloatMode: 240
; IeeeMode: 1
; LDSByteSize: 0 bytes/workgroup (compile time only)
; SGPRBlocks: 0
; VGPRBlocks: 0
; NumSGPRsForWavesPerEU: 6
; NumVGPRsForWavesPerEU: 1
; AccumOffset: 4
; Occupancy: 8
; WaveLimiterHint : 0
; COMPUTE_PGM_RSRC2:SCRATCH_EN: 0
; COMPUTE_PGM_RSRC2:USER_SGPR: 2
; COMPUTE_PGM_RSRC2:TRAP_HANDLER: 0
; COMPUTE_PGM_RSRC2:TGID_X_EN: 1
; COMPUTE_PGM_RSRC2:TGID_Y_EN: 0
; COMPUTE_PGM_RSRC2:TGID_Z_EN: 0
; COMPUTE_PGM_RSRC2:TIDIG_COMP_CNT: 0
; COMPUTE_PGM_RSRC3_GFX90A:ACCUM_OFFSET: 0
; COMPUTE_PGM_RSRC3_GFX90A:TG_SPLIT: 0
	.section	.text._ZN7rocprim17ROCPRIM_400000_NS6detail17trampoline_kernelINS0_14default_configENS1_25partition_config_selectorILNS1_17partition_subalgoE9EllbEEZZNS1_14partition_implILS5_9ELb0ES3_jPlS8_PNS0_10empty_typeENS0_5tupleIJS8_S9_EEENSB_IJS8_SA_EEENS0_18inequality_wrapperIZN2at6native12_GLOBAL__N_124unique_dim_cuda_templateImEESt5tupleIJNSF_6TensorESK_SK_EERKSK_lbbbEUlllE0_EEPmJS9_EEE10hipError_tPvRmT3_T4_T5_T6_T7_T9_mT8_P12ihipStream_tbDpT10_ENKUlT_T0_E_clISt17integral_constantIbLb0EES19_IbLb1EEEEDaS15_S16_EUlS15_E_NS1_11comp_targetILNS1_3genE10ELNS1_11target_archE1200ELNS1_3gpuE4ELNS1_3repE0EEENS1_30default_config_static_selectorELNS0_4arch9wavefront6targetE1EEEvT1_,"axG",@progbits,_ZN7rocprim17ROCPRIM_400000_NS6detail17trampoline_kernelINS0_14default_configENS1_25partition_config_selectorILNS1_17partition_subalgoE9EllbEEZZNS1_14partition_implILS5_9ELb0ES3_jPlS8_PNS0_10empty_typeENS0_5tupleIJS8_S9_EEENSB_IJS8_SA_EEENS0_18inequality_wrapperIZN2at6native12_GLOBAL__N_124unique_dim_cuda_templateImEESt5tupleIJNSF_6TensorESK_SK_EERKSK_lbbbEUlllE0_EEPmJS9_EEE10hipError_tPvRmT3_T4_T5_T6_T7_T9_mT8_P12ihipStream_tbDpT10_ENKUlT_T0_E_clISt17integral_constantIbLb0EES19_IbLb1EEEEDaS15_S16_EUlS15_E_NS1_11comp_targetILNS1_3genE10ELNS1_11target_archE1200ELNS1_3gpuE4ELNS1_3repE0EEENS1_30default_config_static_selectorELNS0_4arch9wavefront6targetE1EEEvT1_,comdat
	.globl	_ZN7rocprim17ROCPRIM_400000_NS6detail17trampoline_kernelINS0_14default_configENS1_25partition_config_selectorILNS1_17partition_subalgoE9EllbEEZZNS1_14partition_implILS5_9ELb0ES3_jPlS8_PNS0_10empty_typeENS0_5tupleIJS8_S9_EEENSB_IJS8_SA_EEENS0_18inequality_wrapperIZN2at6native12_GLOBAL__N_124unique_dim_cuda_templateImEESt5tupleIJNSF_6TensorESK_SK_EERKSK_lbbbEUlllE0_EEPmJS9_EEE10hipError_tPvRmT3_T4_T5_T6_T7_T9_mT8_P12ihipStream_tbDpT10_ENKUlT_T0_E_clISt17integral_constantIbLb0EES19_IbLb1EEEEDaS15_S16_EUlS15_E_NS1_11comp_targetILNS1_3genE10ELNS1_11target_archE1200ELNS1_3gpuE4ELNS1_3repE0EEENS1_30default_config_static_selectorELNS0_4arch9wavefront6targetE1EEEvT1_ ; -- Begin function _ZN7rocprim17ROCPRIM_400000_NS6detail17trampoline_kernelINS0_14default_configENS1_25partition_config_selectorILNS1_17partition_subalgoE9EllbEEZZNS1_14partition_implILS5_9ELb0ES3_jPlS8_PNS0_10empty_typeENS0_5tupleIJS8_S9_EEENSB_IJS8_SA_EEENS0_18inequality_wrapperIZN2at6native12_GLOBAL__N_124unique_dim_cuda_templateImEESt5tupleIJNSF_6TensorESK_SK_EERKSK_lbbbEUlllE0_EEPmJS9_EEE10hipError_tPvRmT3_T4_T5_T6_T7_T9_mT8_P12ihipStream_tbDpT10_ENKUlT_T0_E_clISt17integral_constantIbLb0EES19_IbLb1EEEEDaS15_S16_EUlS15_E_NS1_11comp_targetILNS1_3genE10ELNS1_11target_archE1200ELNS1_3gpuE4ELNS1_3repE0EEENS1_30default_config_static_selectorELNS0_4arch9wavefront6targetE1EEEvT1_
	.p2align	8
	.type	_ZN7rocprim17ROCPRIM_400000_NS6detail17trampoline_kernelINS0_14default_configENS1_25partition_config_selectorILNS1_17partition_subalgoE9EllbEEZZNS1_14partition_implILS5_9ELb0ES3_jPlS8_PNS0_10empty_typeENS0_5tupleIJS8_S9_EEENSB_IJS8_SA_EEENS0_18inequality_wrapperIZN2at6native12_GLOBAL__N_124unique_dim_cuda_templateImEESt5tupleIJNSF_6TensorESK_SK_EERKSK_lbbbEUlllE0_EEPmJS9_EEE10hipError_tPvRmT3_T4_T5_T6_T7_T9_mT8_P12ihipStream_tbDpT10_ENKUlT_T0_E_clISt17integral_constantIbLb0EES19_IbLb1EEEEDaS15_S16_EUlS15_E_NS1_11comp_targetILNS1_3genE10ELNS1_11target_archE1200ELNS1_3gpuE4ELNS1_3repE0EEENS1_30default_config_static_selectorELNS0_4arch9wavefront6targetE1EEEvT1_,@function
_ZN7rocprim17ROCPRIM_400000_NS6detail17trampoline_kernelINS0_14default_configENS1_25partition_config_selectorILNS1_17partition_subalgoE9EllbEEZZNS1_14partition_implILS5_9ELb0ES3_jPlS8_PNS0_10empty_typeENS0_5tupleIJS8_S9_EEENSB_IJS8_SA_EEENS0_18inequality_wrapperIZN2at6native12_GLOBAL__N_124unique_dim_cuda_templateImEESt5tupleIJNSF_6TensorESK_SK_EERKSK_lbbbEUlllE0_EEPmJS9_EEE10hipError_tPvRmT3_T4_T5_T6_T7_T9_mT8_P12ihipStream_tbDpT10_ENKUlT_T0_E_clISt17integral_constantIbLb0EES19_IbLb1EEEEDaS15_S16_EUlS15_E_NS1_11comp_targetILNS1_3genE10ELNS1_11target_archE1200ELNS1_3gpuE4ELNS1_3repE0EEENS1_30default_config_static_selectorELNS0_4arch9wavefront6targetE1EEEvT1_: ; @_ZN7rocprim17ROCPRIM_400000_NS6detail17trampoline_kernelINS0_14default_configENS1_25partition_config_selectorILNS1_17partition_subalgoE9EllbEEZZNS1_14partition_implILS5_9ELb0ES3_jPlS8_PNS0_10empty_typeENS0_5tupleIJS8_S9_EEENSB_IJS8_SA_EEENS0_18inequality_wrapperIZN2at6native12_GLOBAL__N_124unique_dim_cuda_templateImEESt5tupleIJNSF_6TensorESK_SK_EERKSK_lbbbEUlllE0_EEPmJS9_EEE10hipError_tPvRmT3_T4_T5_T6_T7_T9_mT8_P12ihipStream_tbDpT10_ENKUlT_T0_E_clISt17integral_constantIbLb0EES19_IbLb1EEEEDaS15_S16_EUlS15_E_NS1_11comp_targetILNS1_3genE10ELNS1_11target_archE1200ELNS1_3gpuE4ELNS1_3repE0EEENS1_30default_config_static_selectorELNS0_4arch9wavefront6targetE1EEEvT1_
; %bb.0:
	.section	.rodata,"a",@progbits
	.p2align	6, 0x0
	.amdhsa_kernel _ZN7rocprim17ROCPRIM_400000_NS6detail17trampoline_kernelINS0_14default_configENS1_25partition_config_selectorILNS1_17partition_subalgoE9EllbEEZZNS1_14partition_implILS5_9ELb0ES3_jPlS8_PNS0_10empty_typeENS0_5tupleIJS8_S9_EEENSB_IJS8_SA_EEENS0_18inequality_wrapperIZN2at6native12_GLOBAL__N_124unique_dim_cuda_templateImEESt5tupleIJNSF_6TensorESK_SK_EERKSK_lbbbEUlllE0_EEPmJS9_EEE10hipError_tPvRmT3_T4_T5_T6_T7_T9_mT8_P12ihipStream_tbDpT10_ENKUlT_T0_E_clISt17integral_constantIbLb0EES19_IbLb1EEEEDaS15_S16_EUlS15_E_NS1_11comp_targetILNS1_3genE10ELNS1_11target_archE1200ELNS1_3gpuE4ELNS1_3repE0EEENS1_30default_config_static_selectorELNS0_4arch9wavefront6targetE1EEEvT1_
		.amdhsa_group_segment_fixed_size 0
		.amdhsa_private_segment_fixed_size 0
		.amdhsa_kernarg_size 136
		.amdhsa_user_sgpr_count 2
		.amdhsa_user_sgpr_dispatch_ptr 0
		.amdhsa_user_sgpr_queue_ptr 0
		.amdhsa_user_sgpr_kernarg_segment_ptr 1
		.amdhsa_user_sgpr_dispatch_id 0
		.amdhsa_user_sgpr_kernarg_preload_length 0
		.amdhsa_user_sgpr_kernarg_preload_offset 0
		.amdhsa_user_sgpr_private_segment_size 0
		.amdhsa_uses_dynamic_stack 0
		.amdhsa_enable_private_segment 0
		.amdhsa_system_sgpr_workgroup_id_x 1
		.amdhsa_system_sgpr_workgroup_id_y 0
		.amdhsa_system_sgpr_workgroup_id_z 0
		.amdhsa_system_sgpr_workgroup_info 0
		.amdhsa_system_vgpr_workitem_id 0
		.amdhsa_next_free_vgpr 1
		.amdhsa_next_free_sgpr 0
		.amdhsa_accum_offset 4
		.amdhsa_reserve_vcc 0
		.amdhsa_float_round_mode_32 0
		.amdhsa_float_round_mode_16_64 0
		.amdhsa_float_denorm_mode_32 3
		.amdhsa_float_denorm_mode_16_64 3
		.amdhsa_dx10_clamp 1
		.amdhsa_ieee_mode 1
		.amdhsa_fp16_overflow 0
		.amdhsa_tg_split 0
		.amdhsa_exception_fp_ieee_invalid_op 0
		.amdhsa_exception_fp_denorm_src 0
		.amdhsa_exception_fp_ieee_div_zero 0
		.amdhsa_exception_fp_ieee_overflow 0
		.amdhsa_exception_fp_ieee_underflow 0
		.amdhsa_exception_fp_ieee_inexact 0
		.amdhsa_exception_int_div_zero 0
	.end_amdhsa_kernel
	.section	.text._ZN7rocprim17ROCPRIM_400000_NS6detail17trampoline_kernelINS0_14default_configENS1_25partition_config_selectorILNS1_17partition_subalgoE9EllbEEZZNS1_14partition_implILS5_9ELb0ES3_jPlS8_PNS0_10empty_typeENS0_5tupleIJS8_S9_EEENSB_IJS8_SA_EEENS0_18inequality_wrapperIZN2at6native12_GLOBAL__N_124unique_dim_cuda_templateImEESt5tupleIJNSF_6TensorESK_SK_EERKSK_lbbbEUlllE0_EEPmJS9_EEE10hipError_tPvRmT3_T4_T5_T6_T7_T9_mT8_P12ihipStream_tbDpT10_ENKUlT_T0_E_clISt17integral_constantIbLb0EES19_IbLb1EEEEDaS15_S16_EUlS15_E_NS1_11comp_targetILNS1_3genE10ELNS1_11target_archE1200ELNS1_3gpuE4ELNS1_3repE0EEENS1_30default_config_static_selectorELNS0_4arch9wavefront6targetE1EEEvT1_,"axG",@progbits,_ZN7rocprim17ROCPRIM_400000_NS6detail17trampoline_kernelINS0_14default_configENS1_25partition_config_selectorILNS1_17partition_subalgoE9EllbEEZZNS1_14partition_implILS5_9ELb0ES3_jPlS8_PNS0_10empty_typeENS0_5tupleIJS8_S9_EEENSB_IJS8_SA_EEENS0_18inequality_wrapperIZN2at6native12_GLOBAL__N_124unique_dim_cuda_templateImEESt5tupleIJNSF_6TensorESK_SK_EERKSK_lbbbEUlllE0_EEPmJS9_EEE10hipError_tPvRmT3_T4_T5_T6_T7_T9_mT8_P12ihipStream_tbDpT10_ENKUlT_T0_E_clISt17integral_constantIbLb0EES19_IbLb1EEEEDaS15_S16_EUlS15_E_NS1_11comp_targetILNS1_3genE10ELNS1_11target_archE1200ELNS1_3gpuE4ELNS1_3repE0EEENS1_30default_config_static_selectorELNS0_4arch9wavefront6targetE1EEEvT1_,comdat
.Lfunc_end1724:
	.size	_ZN7rocprim17ROCPRIM_400000_NS6detail17trampoline_kernelINS0_14default_configENS1_25partition_config_selectorILNS1_17partition_subalgoE9EllbEEZZNS1_14partition_implILS5_9ELb0ES3_jPlS8_PNS0_10empty_typeENS0_5tupleIJS8_S9_EEENSB_IJS8_SA_EEENS0_18inequality_wrapperIZN2at6native12_GLOBAL__N_124unique_dim_cuda_templateImEESt5tupleIJNSF_6TensorESK_SK_EERKSK_lbbbEUlllE0_EEPmJS9_EEE10hipError_tPvRmT3_T4_T5_T6_T7_T9_mT8_P12ihipStream_tbDpT10_ENKUlT_T0_E_clISt17integral_constantIbLb0EES19_IbLb1EEEEDaS15_S16_EUlS15_E_NS1_11comp_targetILNS1_3genE10ELNS1_11target_archE1200ELNS1_3gpuE4ELNS1_3repE0EEENS1_30default_config_static_selectorELNS0_4arch9wavefront6targetE1EEEvT1_, .Lfunc_end1724-_ZN7rocprim17ROCPRIM_400000_NS6detail17trampoline_kernelINS0_14default_configENS1_25partition_config_selectorILNS1_17partition_subalgoE9EllbEEZZNS1_14partition_implILS5_9ELb0ES3_jPlS8_PNS0_10empty_typeENS0_5tupleIJS8_S9_EEENSB_IJS8_SA_EEENS0_18inequality_wrapperIZN2at6native12_GLOBAL__N_124unique_dim_cuda_templateImEESt5tupleIJNSF_6TensorESK_SK_EERKSK_lbbbEUlllE0_EEPmJS9_EEE10hipError_tPvRmT3_T4_T5_T6_T7_T9_mT8_P12ihipStream_tbDpT10_ENKUlT_T0_E_clISt17integral_constantIbLb0EES19_IbLb1EEEEDaS15_S16_EUlS15_E_NS1_11comp_targetILNS1_3genE10ELNS1_11target_archE1200ELNS1_3gpuE4ELNS1_3repE0EEENS1_30default_config_static_selectorELNS0_4arch9wavefront6targetE1EEEvT1_
                                        ; -- End function
	.set _ZN7rocprim17ROCPRIM_400000_NS6detail17trampoline_kernelINS0_14default_configENS1_25partition_config_selectorILNS1_17partition_subalgoE9EllbEEZZNS1_14partition_implILS5_9ELb0ES3_jPlS8_PNS0_10empty_typeENS0_5tupleIJS8_S9_EEENSB_IJS8_SA_EEENS0_18inequality_wrapperIZN2at6native12_GLOBAL__N_124unique_dim_cuda_templateImEESt5tupleIJNSF_6TensorESK_SK_EERKSK_lbbbEUlllE0_EEPmJS9_EEE10hipError_tPvRmT3_T4_T5_T6_T7_T9_mT8_P12ihipStream_tbDpT10_ENKUlT_T0_E_clISt17integral_constantIbLb0EES19_IbLb1EEEEDaS15_S16_EUlS15_E_NS1_11comp_targetILNS1_3genE10ELNS1_11target_archE1200ELNS1_3gpuE4ELNS1_3repE0EEENS1_30default_config_static_selectorELNS0_4arch9wavefront6targetE1EEEvT1_.num_vgpr, 0
	.set _ZN7rocprim17ROCPRIM_400000_NS6detail17trampoline_kernelINS0_14default_configENS1_25partition_config_selectorILNS1_17partition_subalgoE9EllbEEZZNS1_14partition_implILS5_9ELb0ES3_jPlS8_PNS0_10empty_typeENS0_5tupleIJS8_S9_EEENSB_IJS8_SA_EEENS0_18inequality_wrapperIZN2at6native12_GLOBAL__N_124unique_dim_cuda_templateImEESt5tupleIJNSF_6TensorESK_SK_EERKSK_lbbbEUlllE0_EEPmJS9_EEE10hipError_tPvRmT3_T4_T5_T6_T7_T9_mT8_P12ihipStream_tbDpT10_ENKUlT_T0_E_clISt17integral_constantIbLb0EES19_IbLb1EEEEDaS15_S16_EUlS15_E_NS1_11comp_targetILNS1_3genE10ELNS1_11target_archE1200ELNS1_3gpuE4ELNS1_3repE0EEENS1_30default_config_static_selectorELNS0_4arch9wavefront6targetE1EEEvT1_.num_agpr, 0
	.set _ZN7rocprim17ROCPRIM_400000_NS6detail17trampoline_kernelINS0_14default_configENS1_25partition_config_selectorILNS1_17partition_subalgoE9EllbEEZZNS1_14partition_implILS5_9ELb0ES3_jPlS8_PNS0_10empty_typeENS0_5tupleIJS8_S9_EEENSB_IJS8_SA_EEENS0_18inequality_wrapperIZN2at6native12_GLOBAL__N_124unique_dim_cuda_templateImEESt5tupleIJNSF_6TensorESK_SK_EERKSK_lbbbEUlllE0_EEPmJS9_EEE10hipError_tPvRmT3_T4_T5_T6_T7_T9_mT8_P12ihipStream_tbDpT10_ENKUlT_T0_E_clISt17integral_constantIbLb0EES19_IbLb1EEEEDaS15_S16_EUlS15_E_NS1_11comp_targetILNS1_3genE10ELNS1_11target_archE1200ELNS1_3gpuE4ELNS1_3repE0EEENS1_30default_config_static_selectorELNS0_4arch9wavefront6targetE1EEEvT1_.numbered_sgpr, 0
	.set _ZN7rocprim17ROCPRIM_400000_NS6detail17trampoline_kernelINS0_14default_configENS1_25partition_config_selectorILNS1_17partition_subalgoE9EllbEEZZNS1_14partition_implILS5_9ELb0ES3_jPlS8_PNS0_10empty_typeENS0_5tupleIJS8_S9_EEENSB_IJS8_SA_EEENS0_18inequality_wrapperIZN2at6native12_GLOBAL__N_124unique_dim_cuda_templateImEESt5tupleIJNSF_6TensorESK_SK_EERKSK_lbbbEUlllE0_EEPmJS9_EEE10hipError_tPvRmT3_T4_T5_T6_T7_T9_mT8_P12ihipStream_tbDpT10_ENKUlT_T0_E_clISt17integral_constantIbLb0EES19_IbLb1EEEEDaS15_S16_EUlS15_E_NS1_11comp_targetILNS1_3genE10ELNS1_11target_archE1200ELNS1_3gpuE4ELNS1_3repE0EEENS1_30default_config_static_selectorELNS0_4arch9wavefront6targetE1EEEvT1_.num_named_barrier, 0
	.set _ZN7rocprim17ROCPRIM_400000_NS6detail17trampoline_kernelINS0_14default_configENS1_25partition_config_selectorILNS1_17partition_subalgoE9EllbEEZZNS1_14partition_implILS5_9ELb0ES3_jPlS8_PNS0_10empty_typeENS0_5tupleIJS8_S9_EEENSB_IJS8_SA_EEENS0_18inequality_wrapperIZN2at6native12_GLOBAL__N_124unique_dim_cuda_templateImEESt5tupleIJNSF_6TensorESK_SK_EERKSK_lbbbEUlllE0_EEPmJS9_EEE10hipError_tPvRmT3_T4_T5_T6_T7_T9_mT8_P12ihipStream_tbDpT10_ENKUlT_T0_E_clISt17integral_constantIbLb0EES19_IbLb1EEEEDaS15_S16_EUlS15_E_NS1_11comp_targetILNS1_3genE10ELNS1_11target_archE1200ELNS1_3gpuE4ELNS1_3repE0EEENS1_30default_config_static_selectorELNS0_4arch9wavefront6targetE1EEEvT1_.private_seg_size, 0
	.set _ZN7rocprim17ROCPRIM_400000_NS6detail17trampoline_kernelINS0_14default_configENS1_25partition_config_selectorILNS1_17partition_subalgoE9EllbEEZZNS1_14partition_implILS5_9ELb0ES3_jPlS8_PNS0_10empty_typeENS0_5tupleIJS8_S9_EEENSB_IJS8_SA_EEENS0_18inequality_wrapperIZN2at6native12_GLOBAL__N_124unique_dim_cuda_templateImEESt5tupleIJNSF_6TensorESK_SK_EERKSK_lbbbEUlllE0_EEPmJS9_EEE10hipError_tPvRmT3_T4_T5_T6_T7_T9_mT8_P12ihipStream_tbDpT10_ENKUlT_T0_E_clISt17integral_constantIbLb0EES19_IbLb1EEEEDaS15_S16_EUlS15_E_NS1_11comp_targetILNS1_3genE10ELNS1_11target_archE1200ELNS1_3gpuE4ELNS1_3repE0EEENS1_30default_config_static_selectorELNS0_4arch9wavefront6targetE1EEEvT1_.uses_vcc, 0
	.set _ZN7rocprim17ROCPRIM_400000_NS6detail17trampoline_kernelINS0_14default_configENS1_25partition_config_selectorILNS1_17partition_subalgoE9EllbEEZZNS1_14partition_implILS5_9ELb0ES3_jPlS8_PNS0_10empty_typeENS0_5tupleIJS8_S9_EEENSB_IJS8_SA_EEENS0_18inequality_wrapperIZN2at6native12_GLOBAL__N_124unique_dim_cuda_templateImEESt5tupleIJNSF_6TensorESK_SK_EERKSK_lbbbEUlllE0_EEPmJS9_EEE10hipError_tPvRmT3_T4_T5_T6_T7_T9_mT8_P12ihipStream_tbDpT10_ENKUlT_T0_E_clISt17integral_constantIbLb0EES19_IbLb1EEEEDaS15_S16_EUlS15_E_NS1_11comp_targetILNS1_3genE10ELNS1_11target_archE1200ELNS1_3gpuE4ELNS1_3repE0EEENS1_30default_config_static_selectorELNS0_4arch9wavefront6targetE1EEEvT1_.uses_flat_scratch, 0
	.set _ZN7rocprim17ROCPRIM_400000_NS6detail17trampoline_kernelINS0_14default_configENS1_25partition_config_selectorILNS1_17partition_subalgoE9EllbEEZZNS1_14partition_implILS5_9ELb0ES3_jPlS8_PNS0_10empty_typeENS0_5tupleIJS8_S9_EEENSB_IJS8_SA_EEENS0_18inequality_wrapperIZN2at6native12_GLOBAL__N_124unique_dim_cuda_templateImEESt5tupleIJNSF_6TensorESK_SK_EERKSK_lbbbEUlllE0_EEPmJS9_EEE10hipError_tPvRmT3_T4_T5_T6_T7_T9_mT8_P12ihipStream_tbDpT10_ENKUlT_T0_E_clISt17integral_constantIbLb0EES19_IbLb1EEEEDaS15_S16_EUlS15_E_NS1_11comp_targetILNS1_3genE10ELNS1_11target_archE1200ELNS1_3gpuE4ELNS1_3repE0EEENS1_30default_config_static_selectorELNS0_4arch9wavefront6targetE1EEEvT1_.has_dyn_sized_stack, 0
	.set _ZN7rocprim17ROCPRIM_400000_NS6detail17trampoline_kernelINS0_14default_configENS1_25partition_config_selectorILNS1_17partition_subalgoE9EllbEEZZNS1_14partition_implILS5_9ELb0ES3_jPlS8_PNS0_10empty_typeENS0_5tupleIJS8_S9_EEENSB_IJS8_SA_EEENS0_18inequality_wrapperIZN2at6native12_GLOBAL__N_124unique_dim_cuda_templateImEESt5tupleIJNSF_6TensorESK_SK_EERKSK_lbbbEUlllE0_EEPmJS9_EEE10hipError_tPvRmT3_T4_T5_T6_T7_T9_mT8_P12ihipStream_tbDpT10_ENKUlT_T0_E_clISt17integral_constantIbLb0EES19_IbLb1EEEEDaS15_S16_EUlS15_E_NS1_11comp_targetILNS1_3genE10ELNS1_11target_archE1200ELNS1_3gpuE4ELNS1_3repE0EEENS1_30default_config_static_selectorELNS0_4arch9wavefront6targetE1EEEvT1_.has_recursion, 0
	.set _ZN7rocprim17ROCPRIM_400000_NS6detail17trampoline_kernelINS0_14default_configENS1_25partition_config_selectorILNS1_17partition_subalgoE9EllbEEZZNS1_14partition_implILS5_9ELb0ES3_jPlS8_PNS0_10empty_typeENS0_5tupleIJS8_S9_EEENSB_IJS8_SA_EEENS0_18inequality_wrapperIZN2at6native12_GLOBAL__N_124unique_dim_cuda_templateImEESt5tupleIJNSF_6TensorESK_SK_EERKSK_lbbbEUlllE0_EEPmJS9_EEE10hipError_tPvRmT3_T4_T5_T6_T7_T9_mT8_P12ihipStream_tbDpT10_ENKUlT_T0_E_clISt17integral_constantIbLb0EES19_IbLb1EEEEDaS15_S16_EUlS15_E_NS1_11comp_targetILNS1_3genE10ELNS1_11target_archE1200ELNS1_3gpuE4ELNS1_3repE0EEENS1_30default_config_static_selectorELNS0_4arch9wavefront6targetE1EEEvT1_.has_indirect_call, 0
	.section	.AMDGPU.csdata,"",@progbits
; Kernel info:
; codeLenInByte = 0
; TotalNumSgprs: 6
; NumVgprs: 0
; NumAgprs: 0
; TotalNumVgprs: 0
; ScratchSize: 0
; MemoryBound: 0
; FloatMode: 240
; IeeeMode: 1
; LDSByteSize: 0 bytes/workgroup (compile time only)
; SGPRBlocks: 0
; VGPRBlocks: 0
; NumSGPRsForWavesPerEU: 6
; NumVGPRsForWavesPerEU: 1
; AccumOffset: 4
; Occupancy: 8
; WaveLimiterHint : 0
; COMPUTE_PGM_RSRC2:SCRATCH_EN: 0
; COMPUTE_PGM_RSRC2:USER_SGPR: 2
; COMPUTE_PGM_RSRC2:TRAP_HANDLER: 0
; COMPUTE_PGM_RSRC2:TGID_X_EN: 1
; COMPUTE_PGM_RSRC2:TGID_Y_EN: 0
; COMPUTE_PGM_RSRC2:TGID_Z_EN: 0
; COMPUTE_PGM_RSRC2:TIDIG_COMP_CNT: 0
; COMPUTE_PGM_RSRC3_GFX90A:ACCUM_OFFSET: 0
; COMPUTE_PGM_RSRC3_GFX90A:TG_SPLIT: 0
	.section	.text._ZN7rocprim17ROCPRIM_400000_NS6detail17trampoline_kernelINS0_14default_configENS1_25partition_config_selectorILNS1_17partition_subalgoE9EllbEEZZNS1_14partition_implILS5_9ELb0ES3_jPlS8_PNS0_10empty_typeENS0_5tupleIJS8_S9_EEENSB_IJS8_SA_EEENS0_18inequality_wrapperIZN2at6native12_GLOBAL__N_124unique_dim_cuda_templateImEESt5tupleIJNSF_6TensorESK_SK_EERKSK_lbbbEUlllE0_EEPmJS9_EEE10hipError_tPvRmT3_T4_T5_T6_T7_T9_mT8_P12ihipStream_tbDpT10_ENKUlT_T0_E_clISt17integral_constantIbLb0EES19_IbLb1EEEEDaS15_S16_EUlS15_E_NS1_11comp_targetILNS1_3genE9ELNS1_11target_archE1100ELNS1_3gpuE3ELNS1_3repE0EEENS1_30default_config_static_selectorELNS0_4arch9wavefront6targetE1EEEvT1_,"axG",@progbits,_ZN7rocprim17ROCPRIM_400000_NS6detail17trampoline_kernelINS0_14default_configENS1_25partition_config_selectorILNS1_17partition_subalgoE9EllbEEZZNS1_14partition_implILS5_9ELb0ES3_jPlS8_PNS0_10empty_typeENS0_5tupleIJS8_S9_EEENSB_IJS8_SA_EEENS0_18inequality_wrapperIZN2at6native12_GLOBAL__N_124unique_dim_cuda_templateImEESt5tupleIJNSF_6TensorESK_SK_EERKSK_lbbbEUlllE0_EEPmJS9_EEE10hipError_tPvRmT3_T4_T5_T6_T7_T9_mT8_P12ihipStream_tbDpT10_ENKUlT_T0_E_clISt17integral_constantIbLb0EES19_IbLb1EEEEDaS15_S16_EUlS15_E_NS1_11comp_targetILNS1_3genE9ELNS1_11target_archE1100ELNS1_3gpuE3ELNS1_3repE0EEENS1_30default_config_static_selectorELNS0_4arch9wavefront6targetE1EEEvT1_,comdat
	.globl	_ZN7rocprim17ROCPRIM_400000_NS6detail17trampoline_kernelINS0_14default_configENS1_25partition_config_selectorILNS1_17partition_subalgoE9EllbEEZZNS1_14partition_implILS5_9ELb0ES3_jPlS8_PNS0_10empty_typeENS0_5tupleIJS8_S9_EEENSB_IJS8_SA_EEENS0_18inequality_wrapperIZN2at6native12_GLOBAL__N_124unique_dim_cuda_templateImEESt5tupleIJNSF_6TensorESK_SK_EERKSK_lbbbEUlllE0_EEPmJS9_EEE10hipError_tPvRmT3_T4_T5_T6_T7_T9_mT8_P12ihipStream_tbDpT10_ENKUlT_T0_E_clISt17integral_constantIbLb0EES19_IbLb1EEEEDaS15_S16_EUlS15_E_NS1_11comp_targetILNS1_3genE9ELNS1_11target_archE1100ELNS1_3gpuE3ELNS1_3repE0EEENS1_30default_config_static_selectorELNS0_4arch9wavefront6targetE1EEEvT1_ ; -- Begin function _ZN7rocprim17ROCPRIM_400000_NS6detail17trampoline_kernelINS0_14default_configENS1_25partition_config_selectorILNS1_17partition_subalgoE9EllbEEZZNS1_14partition_implILS5_9ELb0ES3_jPlS8_PNS0_10empty_typeENS0_5tupleIJS8_S9_EEENSB_IJS8_SA_EEENS0_18inequality_wrapperIZN2at6native12_GLOBAL__N_124unique_dim_cuda_templateImEESt5tupleIJNSF_6TensorESK_SK_EERKSK_lbbbEUlllE0_EEPmJS9_EEE10hipError_tPvRmT3_T4_T5_T6_T7_T9_mT8_P12ihipStream_tbDpT10_ENKUlT_T0_E_clISt17integral_constantIbLb0EES19_IbLb1EEEEDaS15_S16_EUlS15_E_NS1_11comp_targetILNS1_3genE9ELNS1_11target_archE1100ELNS1_3gpuE3ELNS1_3repE0EEENS1_30default_config_static_selectorELNS0_4arch9wavefront6targetE1EEEvT1_
	.p2align	8
	.type	_ZN7rocprim17ROCPRIM_400000_NS6detail17trampoline_kernelINS0_14default_configENS1_25partition_config_selectorILNS1_17partition_subalgoE9EllbEEZZNS1_14partition_implILS5_9ELb0ES3_jPlS8_PNS0_10empty_typeENS0_5tupleIJS8_S9_EEENSB_IJS8_SA_EEENS0_18inequality_wrapperIZN2at6native12_GLOBAL__N_124unique_dim_cuda_templateImEESt5tupleIJNSF_6TensorESK_SK_EERKSK_lbbbEUlllE0_EEPmJS9_EEE10hipError_tPvRmT3_T4_T5_T6_T7_T9_mT8_P12ihipStream_tbDpT10_ENKUlT_T0_E_clISt17integral_constantIbLb0EES19_IbLb1EEEEDaS15_S16_EUlS15_E_NS1_11comp_targetILNS1_3genE9ELNS1_11target_archE1100ELNS1_3gpuE3ELNS1_3repE0EEENS1_30default_config_static_selectorELNS0_4arch9wavefront6targetE1EEEvT1_,@function
_ZN7rocprim17ROCPRIM_400000_NS6detail17trampoline_kernelINS0_14default_configENS1_25partition_config_selectorILNS1_17partition_subalgoE9EllbEEZZNS1_14partition_implILS5_9ELb0ES3_jPlS8_PNS0_10empty_typeENS0_5tupleIJS8_S9_EEENSB_IJS8_SA_EEENS0_18inequality_wrapperIZN2at6native12_GLOBAL__N_124unique_dim_cuda_templateImEESt5tupleIJNSF_6TensorESK_SK_EERKSK_lbbbEUlllE0_EEPmJS9_EEE10hipError_tPvRmT3_T4_T5_T6_T7_T9_mT8_P12ihipStream_tbDpT10_ENKUlT_T0_E_clISt17integral_constantIbLb0EES19_IbLb1EEEEDaS15_S16_EUlS15_E_NS1_11comp_targetILNS1_3genE9ELNS1_11target_archE1100ELNS1_3gpuE3ELNS1_3repE0EEENS1_30default_config_static_selectorELNS0_4arch9wavefront6targetE1EEEvT1_: ; @_ZN7rocprim17ROCPRIM_400000_NS6detail17trampoline_kernelINS0_14default_configENS1_25partition_config_selectorILNS1_17partition_subalgoE9EllbEEZZNS1_14partition_implILS5_9ELb0ES3_jPlS8_PNS0_10empty_typeENS0_5tupleIJS8_S9_EEENSB_IJS8_SA_EEENS0_18inequality_wrapperIZN2at6native12_GLOBAL__N_124unique_dim_cuda_templateImEESt5tupleIJNSF_6TensorESK_SK_EERKSK_lbbbEUlllE0_EEPmJS9_EEE10hipError_tPvRmT3_T4_T5_T6_T7_T9_mT8_P12ihipStream_tbDpT10_ENKUlT_T0_E_clISt17integral_constantIbLb0EES19_IbLb1EEEEDaS15_S16_EUlS15_E_NS1_11comp_targetILNS1_3genE9ELNS1_11target_archE1100ELNS1_3gpuE3ELNS1_3repE0EEENS1_30default_config_static_selectorELNS0_4arch9wavefront6targetE1EEEvT1_
; %bb.0:
	.section	.rodata,"a",@progbits
	.p2align	6, 0x0
	.amdhsa_kernel _ZN7rocprim17ROCPRIM_400000_NS6detail17trampoline_kernelINS0_14default_configENS1_25partition_config_selectorILNS1_17partition_subalgoE9EllbEEZZNS1_14partition_implILS5_9ELb0ES3_jPlS8_PNS0_10empty_typeENS0_5tupleIJS8_S9_EEENSB_IJS8_SA_EEENS0_18inequality_wrapperIZN2at6native12_GLOBAL__N_124unique_dim_cuda_templateImEESt5tupleIJNSF_6TensorESK_SK_EERKSK_lbbbEUlllE0_EEPmJS9_EEE10hipError_tPvRmT3_T4_T5_T6_T7_T9_mT8_P12ihipStream_tbDpT10_ENKUlT_T0_E_clISt17integral_constantIbLb0EES19_IbLb1EEEEDaS15_S16_EUlS15_E_NS1_11comp_targetILNS1_3genE9ELNS1_11target_archE1100ELNS1_3gpuE3ELNS1_3repE0EEENS1_30default_config_static_selectorELNS0_4arch9wavefront6targetE1EEEvT1_
		.amdhsa_group_segment_fixed_size 0
		.amdhsa_private_segment_fixed_size 0
		.amdhsa_kernarg_size 136
		.amdhsa_user_sgpr_count 2
		.amdhsa_user_sgpr_dispatch_ptr 0
		.amdhsa_user_sgpr_queue_ptr 0
		.amdhsa_user_sgpr_kernarg_segment_ptr 1
		.amdhsa_user_sgpr_dispatch_id 0
		.amdhsa_user_sgpr_kernarg_preload_length 0
		.amdhsa_user_sgpr_kernarg_preload_offset 0
		.amdhsa_user_sgpr_private_segment_size 0
		.amdhsa_uses_dynamic_stack 0
		.amdhsa_enable_private_segment 0
		.amdhsa_system_sgpr_workgroup_id_x 1
		.amdhsa_system_sgpr_workgroup_id_y 0
		.amdhsa_system_sgpr_workgroup_id_z 0
		.amdhsa_system_sgpr_workgroup_info 0
		.amdhsa_system_vgpr_workitem_id 0
		.amdhsa_next_free_vgpr 1
		.amdhsa_next_free_sgpr 0
		.amdhsa_accum_offset 4
		.amdhsa_reserve_vcc 0
		.amdhsa_float_round_mode_32 0
		.amdhsa_float_round_mode_16_64 0
		.amdhsa_float_denorm_mode_32 3
		.amdhsa_float_denorm_mode_16_64 3
		.amdhsa_dx10_clamp 1
		.amdhsa_ieee_mode 1
		.amdhsa_fp16_overflow 0
		.amdhsa_tg_split 0
		.amdhsa_exception_fp_ieee_invalid_op 0
		.amdhsa_exception_fp_denorm_src 0
		.amdhsa_exception_fp_ieee_div_zero 0
		.amdhsa_exception_fp_ieee_overflow 0
		.amdhsa_exception_fp_ieee_underflow 0
		.amdhsa_exception_fp_ieee_inexact 0
		.amdhsa_exception_int_div_zero 0
	.end_amdhsa_kernel
	.section	.text._ZN7rocprim17ROCPRIM_400000_NS6detail17trampoline_kernelINS0_14default_configENS1_25partition_config_selectorILNS1_17partition_subalgoE9EllbEEZZNS1_14partition_implILS5_9ELb0ES3_jPlS8_PNS0_10empty_typeENS0_5tupleIJS8_S9_EEENSB_IJS8_SA_EEENS0_18inequality_wrapperIZN2at6native12_GLOBAL__N_124unique_dim_cuda_templateImEESt5tupleIJNSF_6TensorESK_SK_EERKSK_lbbbEUlllE0_EEPmJS9_EEE10hipError_tPvRmT3_T4_T5_T6_T7_T9_mT8_P12ihipStream_tbDpT10_ENKUlT_T0_E_clISt17integral_constantIbLb0EES19_IbLb1EEEEDaS15_S16_EUlS15_E_NS1_11comp_targetILNS1_3genE9ELNS1_11target_archE1100ELNS1_3gpuE3ELNS1_3repE0EEENS1_30default_config_static_selectorELNS0_4arch9wavefront6targetE1EEEvT1_,"axG",@progbits,_ZN7rocprim17ROCPRIM_400000_NS6detail17trampoline_kernelINS0_14default_configENS1_25partition_config_selectorILNS1_17partition_subalgoE9EllbEEZZNS1_14partition_implILS5_9ELb0ES3_jPlS8_PNS0_10empty_typeENS0_5tupleIJS8_S9_EEENSB_IJS8_SA_EEENS0_18inequality_wrapperIZN2at6native12_GLOBAL__N_124unique_dim_cuda_templateImEESt5tupleIJNSF_6TensorESK_SK_EERKSK_lbbbEUlllE0_EEPmJS9_EEE10hipError_tPvRmT3_T4_T5_T6_T7_T9_mT8_P12ihipStream_tbDpT10_ENKUlT_T0_E_clISt17integral_constantIbLb0EES19_IbLb1EEEEDaS15_S16_EUlS15_E_NS1_11comp_targetILNS1_3genE9ELNS1_11target_archE1100ELNS1_3gpuE3ELNS1_3repE0EEENS1_30default_config_static_selectorELNS0_4arch9wavefront6targetE1EEEvT1_,comdat
.Lfunc_end1725:
	.size	_ZN7rocprim17ROCPRIM_400000_NS6detail17trampoline_kernelINS0_14default_configENS1_25partition_config_selectorILNS1_17partition_subalgoE9EllbEEZZNS1_14partition_implILS5_9ELb0ES3_jPlS8_PNS0_10empty_typeENS0_5tupleIJS8_S9_EEENSB_IJS8_SA_EEENS0_18inequality_wrapperIZN2at6native12_GLOBAL__N_124unique_dim_cuda_templateImEESt5tupleIJNSF_6TensorESK_SK_EERKSK_lbbbEUlllE0_EEPmJS9_EEE10hipError_tPvRmT3_T4_T5_T6_T7_T9_mT8_P12ihipStream_tbDpT10_ENKUlT_T0_E_clISt17integral_constantIbLb0EES19_IbLb1EEEEDaS15_S16_EUlS15_E_NS1_11comp_targetILNS1_3genE9ELNS1_11target_archE1100ELNS1_3gpuE3ELNS1_3repE0EEENS1_30default_config_static_selectorELNS0_4arch9wavefront6targetE1EEEvT1_, .Lfunc_end1725-_ZN7rocprim17ROCPRIM_400000_NS6detail17trampoline_kernelINS0_14default_configENS1_25partition_config_selectorILNS1_17partition_subalgoE9EllbEEZZNS1_14partition_implILS5_9ELb0ES3_jPlS8_PNS0_10empty_typeENS0_5tupleIJS8_S9_EEENSB_IJS8_SA_EEENS0_18inequality_wrapperIZN2at6native12_GLOBAL__N_124unique_dim_cuda_templateImEESt5tupleIJNSF_6TensorESK_SK_EERKSK_lbbbEUlllE0_EEPmJS9_EEE10hipError_tPvRmT3_T4_T5_T6_T7_T9_mT8_P12ihipStream_tbDpT10_ENKUlT_T0_E_clISt17integral_constantIbLb0EES19_IbLb1EEEEDaS15_S16_EUlS15_E_NS1_11comp_targetILNS1_3genE9ELNS1_11target_archE1100ELNS1_3gpuE3ELNS1_3repE0EEENS1_30default_config_static_selectorELNS0_4arch9wavefront6targetE1EEEvT1_
                                        ; -- End function
	.set _ZN7rocprim17ROCPRIM_400000_NS6detail17trampoline_kernelINS0_14default_configENS1_25partition_config_selectorILNS1_17partition_subalgoE9EllbEEZZNS1_14partition_implILS5_9ELb0ES3_jPlS8_PNS0_10empty_typeENS0_5tupleIJS8_S9_EEENSB_IJS8_SA_EEENS0_18inequality_wrapperIZN2at6native12_GLOBAL__N_124unique_dim_cuda_templateImEESt5tupleIJNSF_6TensorESK_SK_EERKSK_lbbbEUlllE0_EEPmJS9_EEE10hipError_tPvRmT3_T4_T5_T6_T7_T9_mT8_P12ihipStream_tbDpT10_ENKUlT_T0_E_clISt17integral_constantIbLb0EES19_IbLb1EEEEDaS15_S16_EUlS15_E_NS1_11comp_targetILNS1_3genE9ELNS1_11target_archE1100ELNS1_3gpuE3ELNS1_3repE0EEENS1_30default_config_static_selectorELNS0_4arch9wavefront6targetE1EEEvT1_.num_vgpr, 0
	.set _ZN7rocprim17ROCPRIM_400000_NS6detail17trampoline_kernelINS0_14default_configENS1_25partition_config_selectorILNS1_17partition_subalgoE9EllbEEZZNS1_14partition_implILS5_9ELb0ES3_jPlS8_PNS0_10empty_typeENS0_5tupleIJS8_S9_EEENSB_IJS8_SA_EEENS0_18inequality_wrapperIZN2at6native12_GLOBAL__N_124unique_dim_cuda_templateImEESt5tupleIJNSF_6TensorESK_SK_EERKSK_lbbbEUlllE0_EEPmJS9_EEE10hipError_tPvRmT3_T4_T5_T6_T7_T9_mT8_P12ihipStream_tbDpT10_ENKUlT_T0_E_clISt17integral_constantIbLb0EES19_IbLb1EEEEDaS15_S16_EUlS15_E_NS1_11comp_targetILNS1_3genE9ELNS1_11target_archE1100ELNS1_3gpuE3ELNS1_3repE0EEENS1_30default_config_static_selectorELNS0_4arch9wavefront6targetE1EEEvT1_.num_agpr, 0
	.set _ZN7rocprim17ROCPRIM_400000_NS6detail17trampoline_kernelINS0_14default_configENS1_25partition_config_selectorILNS1_17partition_subalgoE9EllbEEZZNS1_14partition_implILS5_9ELb0ES3_jPlS8_PNS0_10empty_typeENS0_5tupleIJS8_S9_EEENSB_IJS8_SA_EEENS0_18inequality_wrapperIZN2at6native12_GLOBAL__N_124unique_dim_cuda_templateImEESt5tupleIJNSF_6TensorESK_SK_EERKSK_lbbbEUlllE0_EEPmJS9_EEE10hipError_tPvRmT3_T4_T5_T6_T7_T9_mT8_P12ihipStream_tbDpT10_ENKUlT_T0_E_clISt17integral_constantIbLb0EES19_IbLb1EEEEDaS15_S16_EUlS15_E_NS1_11comp_targetILNS1_3genE9ELNS1_11target_archE1100ELNS1_3gpuE3ELNS1_3repE0EEENS1_30default_config_static_selectorELNS0_4arch9wavefront6targetE1EEEvT1_.numbered_sgpr, 0
	.set _ZN7rocprim17ROCPRIM_400000_NS6detail17trampoline_kernelINS0_14default_configENS1_25partition_config_selectorILNS1_17partition_subalgoE9EllbEEZZNS1_14partition_implILS5_9ELb0ES3_jPlS8_PNS0_10empty_typeENS0_5tupleIJS8_S9_EEENSB_IJS8_SA_EEENS0_18inequality_wrapperIZN2at6native12_GLOBAL__N_124unique_dim_cuda_templateImEESt5tupleIJNSF_6TensorESK_SK_EERKSK_lbbbEUlllE0_EEPmJS9_EEE10hipError_tPvRmT3_T4_T5_T6_T7_T9_mT8_P12ihipStream_tbDpT10_ENKUlT_T0_E_clISt17integral_constantIbLb0EES19_IbLb1EEEEDaS15_S16_EUlS15_E_NS1_11comp_targetILNS1_3genE9ELNS1_11target_archE1100ELNS1_3gpuE3ELNS1_3repE0EEENS1_30default_config_static_selectorELNS0_4arch9wavefront6targetE1EEEvT1_.num_named_barrier, 0
	.set _ZN7rocprim17ROCPRIM_400000_NS6detail17trampoline_kernelINS0_14default_configENS1_25partition_config_selectorILNS1_17partition_subalgoE9EllbEEZZNS1_14partition_implILS5_9ELb0ES3_jPlS8_PNS0_10empty_typeENS0_5tupleIJS8_S9_EEENSB_IJS8_SA_EEENS0_18inequality_wrapperIZN2at6native12_GLOBAL__N_124unique_dim_cuda_templateImEESt5tupleIJNSF_6TensorESK_SK_EERKSK_lbbbEUlllE0_EEPmJS9_EEE10hipError_tPvRmT3_T4_T5_T6_T7_T9_mT8_P12ihipStream_tbDpT10_ENKUlT_T0_E_clISt17integral_constantIbLb0EES19_IbLb1EEEEDaS15_S16_EUlS15_E_NS1_11comp_targetILNS1_3genE9ELNS1_11target_archE1100ELNS1_3gpuE3ELNS1_3repE0EEENS1_30default_config_static_selectorELNS0_4arch9wavefront6targetE1EEEvT1_.private_seg_size, 0
	.set _ZN7rocprim17ROCPRIM_400000_NS6detail17trampoline_kernelINS0_14default_configENS1_25partition_config_selectorILNS1_17partition_subalgoE9EllbEEZZNS1_14partition_implILS5_9ELb0ES3_jPlS8_PNS0_10empty_typeENS0_5tupleIJS8_S9_EEENSB_IJS8_SA_EEENS0_18inequality_wrapperIZN2at6native12_GLOBAL__N_124unique_dim_cuda_templateImEESt5tupleIJNSF_6TensorESK_SK_EERKSK_lbbbEUlllE0_EEPmJS9_EEE10hipError_tPvRmT3_T4_T5_T6_T7_T9_mT8_P12ihipStream_tbDpT10_ENKUlT_T0_E_clISt17integral_constantIbLb0EES19_IbLb1EEEEDaS15_S16_EUlS15_E_NS1_11comp_targetILNS1_3genE9ELNS1_11target_archE1100ELNS1_3gpuE3ELNS1_3repE0EEENS1_30default_config_static_selectorELNS0_4arch9wavefront6targetE1EEEvT1_.uses_vcc, 0
	.set _ZN7rocprim17ROCPRIM_400000_NS6detail17trampoline_kernelINS0_14default_configENS1_25partition_config_selectorILNS1_17partition_subalgoE9EllbEEZZNS1_14partition_implILS5_9ELb0ES3_jPlS8_PNS0_10empty_typeENS0_5tupleIJS8_S9_EEENSB_IJS8_SA_EEENS0_18inequality_wrapperIZN2at6native12_GLOBAL__N_124unique_dim_cuda_templateImEESt5tupleIJNSF_6TensorESK_SK_EERKSK_lbbbEUlllE0_EEPmJS9_EEE10hipError_tPvRmT3_T4_T5_T6_T7_T9_mT8_P12ihipStream_tbDpT10_ENKUlT_T0_E_clISt17integral_constantIbLb0EES19_IbLb1EEEEDaS15_S16_EUlS15_E_NS1_11comp_targetILNS1_3genE9ELNS1_11target_archE1100ELNS1_3gpuE3ELNS1_3repE0EEENS1_30default_config_static_selectorELNS0_4arch9wavefront6targetE1EEEvT1_.uses_flat_scratch, 0
	.set _ZN7rocprim17ROCPRIM_400000_NS6detail17trampoline_kernelINS0_14default_configENS1_25partition_config_selectorILNS1_17partition_subalgoE9EllbEEZZNS1_14partition_implILS5_9ELb0ES3_jPlS8_PNS0_10empty_typeENS0_5tupleIJS8_S9_EEENSB_IJS8_SA_EEENS0_18inequality_wrapperIZN2at6native12_GLOBAL__N_124unique_dim_cuda_templateImEESt5tupleIJNSF_6TensorESK_SK_EERKSK_lbbbEUlllE0_EEPmJS9_EEE10hipError_tPvRmT3_T4_T5_T6_T7_T9_mT8_P12ihipStream_tbDpT10_ENKUlT_T0_E_clISt17integral_constantIbLb0EES19_IbLb1EEEEDaS15_S16_EUlS15_E_NS1_11comp_targetILNS1_3genE9ELNS1_11target_archE1100ELNS1_3gpuE3ELNS1_3repE0EEENS1_30default_config_static_selectorELNS0_4arch9wavefront6targetE1EEEvT1_.has_dyn_sized_stack, 0
	.set _ZN7rocprim17ROCPRIM_400000_NS6detail17trampoline_kernelINS0_14default_configENS1_25partition_config_selectorILNS1_17partition_subalgoE9EllbEEZZNS1_14partition_implILS5_9ELb0ES3_jPlS8_PNS0_10empty_typeENS0_5tupleIJS8_S9_EEENSB_IJS8_SA_EEENS0_18inequality_wrapperIZN2at6native12_GLOBAL__N_124unique_dim_cuda_templateImEESt5tupleIJNSF_6TensorESK_SK_EERKSK_lbbbEUlllE0_EEPmJS9_EEE10hipError_tPvRmT3_T4_T5_T6_T7_T9_mT8_P12ihipStream_tbDpT10_ENKUlT_T0_E_clISt17integral_constantIbLb0EES19_IbLb1EEEEDaS15_S16_EUlS15_E_NS1_11comp_targetILNS1_3genE9ELNS1_11target_archE1100ELNS1_3gpuE3ELNS1_3repE0EEENS1_30default_config_static_selectorELNS0_4arch9wavefront6targetE1EEEvT1_.has_recursion, 0
	.set _ZN7rocprim17ROCPRIM_400000_NS6detail17trampoline_kernelINS0_14default_configENS1_25partition_config_selectorILNS1_17partition_subalgoE9EllbEEZZNS1_14partition_implILS5_9ELb0ES3_jPlS8_PNS0_10empty_typeENS0_5tupleIJS8_S9_EEENSB_IJS8_SA_EEENS0_18inequality_wrapperIZN2at6native12_GLOBAL__N_124unique_dim_cuda_templateImEESt5tupleIJNSF_6TensorESK_SK_EERKSK_lbbbEUlllE0_EEPmJS9_EEE10hipError_tPvRmT3_T4_T5_T6_T7_T9_mT8_P12ihipStream_tbDpT10_ENKUlT_T0_E_clISt17integral_constantIbLb0EES19_IbLb1EEEEDaS15_S16_EUlS15_E_NS1_11comp_targetILNS1_3genE9ELNS1_11target_archE1100ELNS1_3gpuE3ELNS1_3repE0EEENS1_30default_config_static_selectorELNS0_4arch9wavefront6targetE1EEEvT1_.has_indirect_call, 0
	.section	.AMDGPU.csdata,"",@progbits
; Kernel info:
; codeLenInByte = 0
; TotalNumSgprs: 6
; NumVgprs: 0
; NumAgprs: 0
; TotalNumVgprs: 0
; ScratchSize: 0
; MemoryBound: 0
; FloatMode: 240
; IeeeMode: 1
; LDSByteSize: 0 bytes/workgroup (compile time only)
; SGPRBlocks: 0
; VGPRBlocks: 0
; NumSGPRsForWavesPerEU: 6
; NumVGPRsForWavesPerEU: 1
; AccumOffset: 4
; Occupancy: 8
; WaveLimiterHint : 0
; COMPUTE_PGM_RSRC2:SCRATCH_EN: 0
; COMPUTE_PGM_RSRC2:USER_SGPR: 2
; COMPUTE_PGM_RSRC2:TRAP_HANDLER: 0
; COMPUTE_PGM_RSRC2:TGID_X_EN: 1
; COMPUTE_PGM_RSRC2:TGID_Y_EN: 0
; COMPUTE_PGM_RSRC2:TGID_Z_EN: 0
; COMPUTE_PGM_RSRC2:TIDIG_COMP_CNT: 0
; COMPUTE_PGM_RSRC3_GFX90A:ACCUM_OFFSET: 0
; COMPUTE_PGM_RSRC3_GFX90A:TG_SPLIT: 0
	.section	.text._ZN7rocprim17ROCPRIM_400000_NS6detail17trampoline_kernelINS0_14default_configENS1_25partition_config_selectorILNS1_17partition_subalgoE9EllbEEZZNS1_14partition_implILS5_9ELb0ES3_jPlS8_PNS0_10empty_typeENS0_5tupleIJS8_S9_EEENSB_IJS8_SA_EEENS0_18inequality_wrapperIZN2at6native12_GLOBAL__N_124unique_dim_cuda_templateImEESt5tupleIJNSF_6TensorESK_SK_EERKSK_lbbbEUlllE0_EEPmJS9_EEE10hipError_tPvRmT3_T4_T5_T6_T7_T9_mT8_P12ihipStream_tbDpT10_ENKUlT_T0_E_clISt17integral_constantIbLb0EES19_IbLb1EEEEDaS15_S16_EUlS15_E_NS1_11comp_targetILNS1_3genE8ELNS1_11target_archE1030ELNS1_3gpuE2ELNS1_3repE0EEENS1_30default_config_static_selectorELNS0_4arch9wavefront6targetE1EEEvT1_,"axG",@progbits,_ZN7rocprim17ROCPRIM_400000_NS6detail17trampoline_kernelINS0_14default_configENS1_25partition_config_selectorILNS1_17partition_subalgoE9EllbEEZZNS1_14partition_implILS5_9ELb0ES3_jPlS8_PNS0_10empty_typeENS0_5tupleIJS8_S9_EEENSB_IJS8_SA_EEENS0_18inequality_wrapperIZN2at6native12_GLOBAL__N_124unique_dim_cuda_templateImEESt5tupleIJNSF_6TensorESK_SK_EERKSK_lbbbEUlllE0_EEPmJS9_EEE10hipError_tPvRmT3_T4_T5_T6_T7_T9_mT8_P12ihipStream_tbDpT10_ENKUlT_T0_E_clISt17integral_constantIbLb0EES19_IbLb1EEEEDaS15_S16_EUlS15_E_NS1_11comp_targetILNS1_3genE8ELNS1_11target_archE1030ELNS1_3gpuE2ELNS1_3repE0EEENS1_30default_config_static_selectorELNS0_4arch9wavefront6targetE1EEEvT1_,comdat
	.globl	_ZN7rocprim17ROCPRIM_400000_NS6detail17trampoline_kernelINS0_14default_configENS1_25partition_config_selectorILNS1_17partition_subalgoE9EllbEEZZNS1_14partition_implILS5_9ELb0ES3_jPlS8_PNS0_10empty_typeENS0_5tupleIJS8_S9_EEENSB_IJS8_SA_EEENS0_18inequality_wrapperIZN2at6native12_GLOBAL__N_124unique_dim_cuda_templateImEESt5tupleIJNSF_6TensorESK_SK_EERKSK_lbbbEUlllE0_EEPmJS9_EEE10hipError_tPvRmT3_T4_T5_T6_T7_T9_mT8_P12ihipStream_tbDpT10_ENKUlT_T0_E_clISt17integral_constantIbLb0EES19_IbLb1EEEEDaS15_S16_EUlS15_E_NS1_11comp_targetILNS1_3genE8ELNS1_11target_archE1030ELNS1_3gpuE2ELNS1_3repE0EEENS1_30default_config_static_selectorELNS0_4arch9wavefront6targetE1EEEvT1_ ; -- Begin function _ZN7rocprim17ROCPRIM_400000_NS6detail17trampoline_kernelINS0_14default_configENS1_25partition_config_selectorILNS1_17partition_subalgoE9EllbEEZZNS1_14partition_implILS5_9ELb0ES3_jPlS8_PNS0_10empty_typeENS0_5tupleIJS8_S9_EEENSB_IJS8_SA_EEENS0_18inequality_wrapperIZN2at6native12_GLOBAL__N_124unique_dim_cuda_templateImEESt5tupleIJNSF_6TensorESK_SK_EERKSK_lbbbEUlllE0_EEPmJS9_EEE10hipError_tPvRmT3_T4_T5_T6_T7_T9_mT8_P12ihipStream_tbDpT10_ENKUlT_T0_E_clISt17integral_constantIbLb0EES19_IbLb1EEEEDaS15_S16_EUlS15_E_NS1_11comp_targetILNS1_3genE8ELNS1_11target_archE1030ELNS1_3gpuE2ELNS1_3repE0EEENS1_30default_config_static_selectorELNS0_4arch9wavefront6targetE1EEEvT1_
	.p2align	8
	.type	_ZN7rocprim17ROCPRIM_400000_NS6detail17trampoline_kernelINS0_14default_configENS1_25partition_config_selectorILNS1_17partition_subalgoE9EllbEEZZNS1_14partition_implILS5_9ELb0ES3_jPlS8_PNS0_10empty_typeENS0_5tupleIJS8_S9_EEENSB_IJS8_SA_EEENS0_18inequality_wrapperIZN2at6native12_GLOBAL__N_124unique_dim_cuda_templateImEESt5tupleIJNSF_6TensorESK_SK_EERKSK_lbbbEUlllE0_EEPmJS9_EEE10hipError_tPvRmT3_T4_T5_T6_T7_T9_mT8_P12ihipStream_tbDpT10_ENKUlT_T0_E_clISt17integral_constantIbLb0EES19_IbLb1EEEEDaS15_S16_EUlS15_E_NS1_11comp_targetILNS1_3genE8ELNS1_11target_archE1030ELNS1_3gpuE2ELNS1_3repE0EEENS1_30default_config_static_selectorELNS0_4arch9wavefront6targetE1EEEvT1_,@function
_ZN7rocprim17ROCPRIM_400000_NS6detail17trampoline_kernelINS0_14default_configENS1_25partition_config_selectorILNS1_17partition_subalgoE9EllbEEZZNS1_14partition_implILS5_9ELb0ES3_jPlS8_PNS0_10empty_typeENS0_5tupleIJS8_S9_EEENSB_IJS8_SA_EEENS0_18inequality_wrapperIZN2at6native12_GLOBAL__N_124unique_dim_cuda_templateImEESt5tupleIJNSF_6TensorESK_SK_EERKSK_lbbbEUlllE0_EEPmJS9_EEE10hipError_tPvRmT3_T4_T5_T6_T7_T9_mT8_P12ihipStream_tbDpT10_ENKUlT_T0_E_clISt17integral_constantIbLb0EES19_IbLb1EEEEDaS15_S16_EUlS15_E_NS1_11comp_targetILNS1_3genE8ELNS1_11target_archE1030ELNS1_3gpuE2ELNS1_3repE0EEENS1_30default_config_static_selectorELNS0_4arch9wavefront6targetE1EEEvT1_: ; @_ZN7rocprim17ROCPRIM_400000_NS6detail17trampoline_kernelINS0_14default_configENS1_25partition_config_selectorILNS1_17partition_subalgoE9EllbEEZZNS1_14partition_implILS5_9ELb0ES3_jPlS8_PNS0_10empty_typeENS0_5tupleIJS8_S9_EEENSB_IJS8_SA_EEENS0_18inequality_wrapperIZN2at6native12_GLOBAL__N_124unique_dim_cuda_templateImEESt5tupleIJNSF_6TensorESK_SK_EERKSK_lbbbEUlllE0_EEPmJS9_EEE10hipError_tPvRmT3_T4_T5_T6_T7_T9_mT8_P12ihipStream_tbDpT10_ENKUlT_T0_E_clISt17integral_constantIbLb0EES19_IbLb1EEEEDaS15_S16_EUlS15_E_NS1_11comp_targetILNS1_3genE8ELNS1_11target_archE1030ELNS1_3gpuE2ELNS1_3repE0EEENS1_30default_config_static_selectorELNS0_4arch9wavefront6targetE1EEEvT1_
; %bb.0:
	.section	.rodata,"a",@progbits
	.p2align	6, 0x0
	.amdhsa_kernel _ZN7rocprim17ROCPRIM_400000_NS6detail17trampoline_kernelINS0_14default_configENS1_25partition_config_selectorILNS1_17partition_subalgoE9EllbEEZZNS1_14partition_implILS5_9ELb0ES3_jPlS8_PNS0_10empty_typeENS0_5tupleIJS8_S9_EEENSB_IJS8_SA_EEENS0_18inequality_wrapperIZN2at6native12_GLOBAL__N_124unique_dim_cuda_templateImEESt5tupleIJNSF_6TensorESK_SK_EERKSK_lbbbEUlllE0_EEPmJS9_EEE10hipError_tPvRmT3_T4_T5_T6_T7_T9_mT8_P12ihipStream_tbDpT10_ENKUlT_T0_E_clISt17integral_constantIbLb0EES19_IbLb1EEEEDaS15_S16_EUlS15_E_NS1_11comp_targetILNS1_3genE8ELNS1_11target_archE1030ELNS1_3gpuE2ELNS1_3repE0EEENS1_30default_config_static_selectorELNS0_4arch9wavefront6targetE1EEEvT1_
		.amdhsa_group_segment_fixed_size 0
		.amdhsa_private_segment_fixed_size 0
		.amdhsa_kernarg_size 136
		.amdhsa_user_sgpr_count 2
		.amdhsa_user_sgpr_dispatch_ptr 0
		.amdhsa_user_sgpr_queue_ptr 0
		.amdhsa_user_sgpr_kernarg_segment_ptr 1
		.amdhsa_user_sgpr_dispatch_id 0
		.amdhsa_user_sgpr_kernarg_preload_length 0
		.amdhsa_user_sgpr_kernarg_preload_offset 0
		.amdhsa_user_sgpr_private_segment_size 0
		.amdhsa_uses_dynamic_stack 0
		.amdhsa_enable_private_segment 0
		.amdhsa_system_sgpr_workgroup_id_x 1
		.amdhsa_system_sgpr_workgroup_id_y 0
		.amdhsa_system_sgpr_workgroup_id_z 0
		.amdhsa_system_sgpr_workgroup_info 0
		.amdhsa_system_vgpr_workitem_id 0
		.amdhsa_next_free_vgpr 1
		.amdhsa_next_free_sgpr 0
		.amdhsa_accum_offset 4
		.amdhsa_reserve_vcc 0
		.amdhsa_float_round_mode_32 0
		.amdhsa_float_round_mode_16_64 0
		.amdhsa_float_denorm_mode_32 3
		.amdhsa_float_denorm_mode_16_64 3
		.amdhsa_dx10_clamp 1
		.amdhsa_ieee_mode 1
		.amdhsa_fp16_overflow 0
		.amdhsa_tg_split 0
		.amdhsa_exception_fp_ieee_invalid_op 0
		.amdhsa_exception_fp_denorm_src 0
		.amdhsa_exception_fp_ieee_div_zero 0
		.amdhsa_exception_fp_ieee_overflow 0
		.amdhsa_exception_fp_ieee_underflow 0
		.amdhsa_exception_fp_ieee_inexact 0
		.amdhsa_exception_int_div_zero 0
	.end_amdhsa_kernel
	.section	.text._ZN7rocprim17ROCPRIM_400000_NS6detail17trampoline_kernelINS0_14default_configENS1_25partition_config_selectorILNS1_17partition_subalgoE9EllbEEZZNS1_14partition_implILS5_9ELb0ES3_jPlS8_PNS0_10empty_typeENS0_5tupleIJS8_S9_EEENSB_IJS8_SA_EEENS0_18inequality_wrapperIZN2at6native12_GLOBAL__N_124unique_dim_cuda_templateImEESt5tupleIJNSF_6TensorESK_SK_EERKSK_lbbbEUlllE0_EEPmJS9_EEE10hipError_tPvRmT3_T4_T5_T6_T7_T9_mT8_P12ihipStream_tbDpT10_ENKUlT_T0_E_clISt17integral_constantIbLb0EES19_IbLb1EEEEDaS15_S16_EUlS15_E_NS1_11comp_targetILNS1_3genE8ELNS1_11target_archE1030ELNS1_3gpuE2ELNS1_3repE0EEENS1_30default_config_static_selectorELNS0_4arch9wavefront6targetE1EEEvT1_,"axG",@progbits,_ZN7rocprim17ROCPRIM_400000_NS6detail17trampoline_kernelINS0_14default_configENS1_25partition_config_selectorILNS1_17partition_subalgoE9EllbEEZZNS1_14partition_implILS5_9ELb0ES3_jPlS8_PNS0_10empty_typeENS0_5tupleIJS8_S9_EEENSB_IJS8_SA_EEENS0_18inequality_wrapperIZN2at6native12_GLOBAL__N_124unique_dim_cuda_templateImEESt5tupleIJNSF_6TensorESK_SK_EERKSK_lbbbEUlllE0_EEPmJS9_EEE10hipError_tPvRmT3_T4_T5_T6_T7_T9_mT8_P12ihipStream_tbDpT10_ENKUlT_T0_E_clISt17integral_constantIbLb0EES19_IbLb1EEEEDaS15_S16_EUlS15_E_NS1_11comp_targetILNS1_3genE8ELNS1_11target_archE1030ELNS1_3gpuE2ELNS1_3repE0EEENS1_30default_config_static_selectorELNS0_4arch9wavefront6targetE1EEEvT1_,comdat
.Lfunc_end1726:
	.size	_ZN7rocprim17ROCPRIM_400000_NS6detail17trampoline_kernelINS0_14default_configENS1_25partition_config_selectorILNS1_17partition_subalgoE9EllbEEZZNS1_14partition_implILS5_9ELb0ES3_jPlS8_PNS0_10empty_typeENS0_5tupleIJS8_S9_EEENSB_IJS8_SA_EEENS0_18inequality_wrapperIZN2at6native12_GLOBAL__N_124unique_dim_cuda_templateImEESt5tupleIJNSF_6TensorESK_SK_EERKSK_lbbbEUlllE0_EEPmJS9_EEE10hipError_tPvRmT3_T4_T5_T6_T7_T9_mT8_P12ihipStream_tbDpT10_ENKUlT_T0_E_clISt17integral_constantIbLb0EES19_IbLb1EEEEDaS15_S16_EUlS15_E_NS1_11comp_targetILNS1_3genE8ELNS1_11target_archE1030ELNS1_3gpuE2ELNS1_3repE0EEENS1_30default_config_static_selectorELNS0_4arch9wavefront6targetE1EEEvT1_, .Lfunc_end1726-_ZN7rocprim17ROCPRIM_400000_NS6detail17trampoline_kernelINS0_14default_configENS1_25partition_config_selectorILNS1_17partition_subalgoE9EllbEEZZNS1_14partition_implILS5_9ELb0ES3_jPlS8_PNS0_10empty_typeENS0_5tupleIJS8_S9_EEENSB_IJS8_SA_EEENS0_18inequality_wrapperIZN2at6native12_GLOBAL__N_124unique_dim_cuda_templateImEESt5tupleIJNSF_6TensorESK_SK_EERKSK_lbbbEUlllE0_EEPmJS9_EEE10hipError_tPvRmT3_T4_T5_T6_T7_T9_mT8_P12ihipStream_tbDpT10_ENKUlT_T0_E_clISt17integral_constantIbLb0EES19_IbLb1EEEEDaS15_S16_EUlS15_E_NS1_11comp_targetILNS1_3genE8ELNS1_11target_archE1030ELNS1_3gpuE2ELNS1_3repE0EEENS1_30default_config_static_selectorELNS0_4arch9wavefront6targetE1EEEvT1_
                                        ; -- End function
	.set _ZN7rocprim17ROCPRIM_400000_NS6detail17trampoline_kernelINS0_14default_configENS1_25partition_config_selectorILNS1_17partition_subalgoE9EllbEEZZNS1_14partition_implILS5_9ELb0ES3_jPlS8_PNS0_10empty_typeENS0_5tupleIJS8_S9_EEENSB_IJS8_SA_EEENS0_18inequality_wrapperIZN2at6native12_GLOBAL__N_124unique_dim_cuda_templateImEESt5tupleIJNSF_6TensorESK_SK_EERKSK_lbbbEUlllE0_EEPmJS9_EEE10hipError_tPvRmT3_T4_T5_T6_T7_T9_mT8_P12ihipStream_tbDpT10_ENKUlT_T0_E_clISt17integral_constantIbLb0EES19_IbLb1EEEEDaS15_S16_EUlS15_E_NS1_11comp_targetILNS1_3genE8ELNS1_11target_archE1030ELNS1_3gpuE2ELNS1_3repE0EEENS1_30default_config_static_selectorELNS0_4arch9wavefront6targetE1EEEvT1_.num_vgpr, 0
	.set _ZN7rocprim17ROCPRIM_400000_NS6detail17trampoline_kernelINS0_14default_configENS1_25partition_config_selectorILNS1_17partition_subalgoE9EllbEEZZNS1_14partition_implILS5_9ELb0ES3_jPlS8_PNS0_10empty_typeENS0_5tupleIJS8_S9_EEENSB_IJS8_SA_EEENS0_18inequality_wrapperIZN2at6native12_GLOBAL__N_124unique_dim_cuda_templateImEESt5tupleIJNSF_6TensorESK_SK_EERKSK_lbbbEUlllE0_EEPmJS9_EEE10hipError_tPvRmT3_T4_T5_T6_T7_T9_mT8_P12ihipStream_tbDpT10_ENKUlT_T0_E_clISt17integral_constantIbLb0EES19_IbLb1EEEEDaS15_S16_EUlS15_E_NS1_11comp_targetILNS1_3genE8ELNS1_11target_archE1030ELNS1_3gpuE2ELNS1_3repE0EEENS1_30default_config_static_selectorELNS0_4arch9wavefront6targetE1EEEvT1_.num_agpr, 0
	.set _ZN7rocprim17ROCPRIM_400000_NS6detail17trampoline_kernelINS0_14default_configENS1_25partition_config_selectorILNS1_17partition_subalgoE9EllbEEZZNS1_14partition_implILS5_9ELb0ES3_jPlS8_PNS0_10empty_typeENS0_5tupleIJS8_S9_EEENSB_IJS8_SA_EEENS0_18inequality_wrapperIZN2at6native12_GLOBAL__N_124unique_dim_cuda_templateImEESt5tupleIJNSF_6TensorESK_SK_EERKSK_lbbbEUlllE0_EEPmJS9_EEE10hipError_tPvRmT3_T4_T5_T6_T7_T9_mT8_P12ihipStream_tbDpT10_ENKUlT_T0_E_clISt17integral_constantIbLb0EES19_IbLb1EEEEDaS15_S16_EUlS15_E_NS1_11comp_targetILNS1_3genE8ELNS1_11target_archE1030ELNS1_3gpuE2ELNS1_3repE0EEENS1_30default_config_static_selectorELNS0_4arch9wavefront6targetE1EEEvT1_.numbered_sgpr, 0
	.set _ZN7rocprim17ROCPRIM_400000_NS6detail17trampoline_kernelINS0_14default_configENS1_25partition_config_selectorILNS1_17partition_subalgoE9EllbEEZZNS1_14partition_implILS5_9ELb0ES3_jPlS8_PNS0_10empty_typeENS0_5tupleIJS8_S9_EEENSB_IJS8_SA_EEENS0_18inequality_wrapperIZN2at6native12_GLOBAL__N_124unique_dim_cuda_templateImEESt5tupleIJNSF_6TensorESK_SK_EERKSK_lbbbEUlllE0_EEPmJS9_EEE10hipError_tPvRmT3_T4_T5_T6_T7_T9_mT8_P12ihipStream_tbDpT10_ENKUlT_T0_E_clISt17integral_constantIbLb0EES19_IbLb1EEEEDaS15_S16_EUlS15_E_NS1_11comp_targetILNS1_3genE8ELNS1_11target_archE1030ELNS1_3gpuE2ELNS1_3repE0EEENS1_30default_config_static_selectorELNS0_4arch9wavefront6targetE1EEEvT1_.num_named_barrier, 0
	.set _ZN7rocprim17ROCPRIM_400000_NS6detail17trampoline_kernelINS0_14default_configENS1_25partition_config_selectorILNS1_17partition_subalgoE9EllbEEZZNS1_14partition_implILS5_9ELb0ES3_jPlS8_PNS0_10empty_typeENS0_5tupleIJS8_S9_EEENSB_IJS8_SA_EEENS0_18inequality_wrapperIZN2at6native12_GLOBAL__N_124unique_dim_cuda_templateImEESt5tupleIJNSF_6TensorESK_SK_EERKSK_lbbbEUlllE0_EEPmJS9_EEE10hipError_tPvRmT3_T4_T5_T6_T7_T9_mT8_P12ihipStream_tbDpT10_ENKUlT_T0_E_clISt17integral_constantIbLb0EES19_IbLb1EEEEDaS15_S16_EUlS15_E_NS1_11comp_targetILNS1_3genE8ELNS1_11target_archE1030ELNS1_3gpuE2ELNS1_3repE0EEENS1_30default_config_static_selectorELNS0_4arch9wavefront6targetE1EEEvT1_.private_seg_size, 0
	.set _ZN7rocprim17ROCPRIM_400000_NS6detail17trampoline_kernelINS0_14default_configENS1_25partition_config_selectorILNS1_17partition_subalgoE9EllbEEZZNS1_14partition_implILS5_9ELb0ES3_jPlS8_PNS0_10empty_typeENS0_5tupleIJS8_S9_EEENSB_IJS8_SA_EEENS0_18inequality_wrapperIZN2at6native12_GLOBAL__N_124unique_dim_cuda_templateImEESt5tupleIJNSF_6TensorESK_SK_EERKSK_lbbbEUlllE0_EEPmJS9_EEE10hipError_tPvRmT3_T4_T5_T6_T7_T9_mT8_P12ihipStream_tbDpT10_ENKUlT_T0_E_clISt17integral_constantIbLb0EES19_IbLb1EEEEDaS15_S16_EUlS15_E_NS1_11comp_targetILNS1_3genE8ELNS1_11target_archE1030ELNS1_3gpuE2ELNS1_3repE0EEENS1_30default_config_static_selectorELNS0_4arch9wavefront6targetE1EEEvT1_.uses_vcc, 0
	.set _ZN7rocprim17ROCPRIM_400000_NS6detail17trampoline_kernelINS0_14default_configENS1_25partition_config_selectorILNS1_17partition_subalgoE9EllbEEZZNS1_14partition_implILS5_9ELb0ES3_jPlS8_PNS0_10empty_typeENS0_5tupleIJS8_S9_EEENSB_IJS8_SA_EEENS0_18inequality_wrapperIZN2at6native12_GLOBAL__N_124unique_dim_cuda_templateImEESt5tupleIJNSF_6TensorESK_SK_EERKSK_lbbbEUlllE0_EEPmJS9_EEE10hipError_tPvRmT3_T4_T5_T6_T7_T9_mT8_P12ihipStream_tbDpT10_ENKUlT_T0_E_clISt17integral_constantIbLb0EES19_IbLb1EEEEDaS15_S16_EUlS15_E_NS1_11comp_targetILNS1_3genE8ELNS1_11target_archE1030ELNS1_3gpuE2ELNS1_3repE0EEENS1_30default_config_static_selectorELNS0_4arch9wavefront6targetE1EEEvT1_.uses_flat_scratch, 0
	.set _ZN7rocprim17ROCPRIM_400000_NS6detail17trampoline_kernelINS0_14default_configENS1_25partition_config_selectorILNS1_17partition_subalgoE9EllbEEZZNS1_14partition_implILS5_9ELb0ES3_jPlS8_PNS0_10empty_typeENS0_5tupleIJS8_S9_EEENSB_IJS8_SA_EEENS0_18inequality_wrapperIZN2at6native12_GLOBAL__N_124unique_dim_cuda_templateImEESt5tupleIJNSF_6TensorESK_SK_EERKSK_lbbbEUlllE0_EEPmJS9_EEE10hipError_tPvRmT3_T4_T5_T6_T7_T9_mT8_P12ihipStream_tbDpT10_ENKUlT_T0_E_clISt17integral_constantIbLb0EES19_IbLb1EEEEDaS15_S16_EUlS15_E_NS1_11comp_targetILNS1_3genE8ELNS1_11target_archE1030ELNS1_3gpuE2ELNS1_3repE0EEENS1_30default_config_static_selectorELNS0_4arch9wavefront6targetE1EEEvT1_.has_dyn_sized_stack, 0
	.set _ZN7rocprim17ROCPRIM_400000_NS6detail17trampoline_kernelINS0_14default_configENS1_25partition_config_selectorILNS1_17partition_subalgoE9EllbEEZZNS1_14partition_implILS5_9ELb0ES3_jPlS8_PNS0_10empty_typeENS0_5tupleIJS8_S9_EEENSB_IJS8_SA_EEENS0_18inequality_wrapperIZN2at6native12_GLOBAL__N_124unique_dim_cuda_templateImEESt5tupleIJNSF_6TensorESK_SK_EERKSK_lbbbEUlllE0_EEPmJS9_EEE10hipError_tPvRmT3_T4_T5_T6_T7_T9_mT8_P12ihipStream_tbDpT10_ENKUlT_T0_E_clISt17integral_constantIbLb0EES19_IbLb1EEEEDaS15_S16_EUlS15_E_NS1_11comp_targetILNS1_3genE8ELNS1_11target_archE1030ELNS1_3gpuE2ELNS1_3repE0EEENS1_30default_config_static_selectorELNS0_4arch9wavefront6targetE1EEEvT1_.has_recursion, 0
	.set _ZN7rocprim17ROCPRIM_400000_NS6detail17trampoline_kernelINS0_14default_configENS1_25partition_config_selectorILNS1_17partition_subalgoE9EllbEEZZNS1_14partition_implILS5_9ELb0ES3_jPlS8_PNS0_10empty_typeENS0_5tupleIJS8_S9_EEENSB_IJS8_SA_EEENS0_18inequality_wrapperIZN2at6native12_GLOBAL__N_124unique_dim_cuda_templateImEESt5tupleIJNSF_6TensorESK_SK_EERKSK_lbbbEUlllE0_EEPmJS9_EEE10hipError_tPvRmT3_T4_T5_T6_T7_T9_mT8_P12ihipStream_tbDpT10_ENKUlT_T0_E_clISt17integral_constantIbLb0EES19_IbLb1EEEEDaS15_S16_EUlS15_E_NS1_11comp_targetILNS1_3genE8ELNS1_11target_archE1030ELNS1_3gpuE2ELNS1_3repE0EEENS1_30default_config_static_selectorELNS0_4arch9wavefront6targetE1EEEvT1_.has_indirect_call, 0
	.section	.AMDGPU.csdata,"",@progbits
; Kernel info:
; codeLenInByte = 0
; TotalNumSgprs: 6
; NumVgprs: 0
; NumAgprs: 0
; TotalNumVgprs: 0
; ScratchSize: 0
; MemoryBound: 0
; FloatMode: 240
; IeeeMode: 1
; LDSByteSize: 0 bytes/workgroup (compile time only)
; SGPRBlocks: 0
; VGPRBlocks: 0
; NumSGPRsForWavesPerEU: 6
; NumVGPRsForWavesPerEU: 1
; AccumOffset: 4
; Occupancy: 8
; WaveLimiterHint : 0
; COMPUTE_PGM_RSRC2:SCRATCH_EN: 0
; COMPUTE_PGM_RSRC2:USER_SGPR: 2
; COMPUTE_PGM_RSRC2:TRAP_HANDLER: 0
; COMPUTE_PGM_RSRC2:TGID_X_EN: 1
; COMPUTE_PGM_RSRC2:TGID_Y_EN: 0
; COMPUTE_PGM_RSRC2:TGID_Z_EN: 0
; COMPUTE_PGM_RSRC2:TIDIG_COMP_CNT: 0
; COMPUTE_PGM_RSRC3_GFX90A:ACCUM_OFFSET: 0
; COMPUTE_PGM_RSRC3_GFX90A:TG_SPLIT: 0
	.text
	.p2alignl 6, 3212836864
	.fill 256, 4, 3212836864
	.section	.AMDGPU.gpr_maximums,"",@progbits
	.set amdgpu.max_num_vgpr, 119
	.set amdgpu.max_num_agpr, 0
	.set amdgpu.max_num_sgpr, 96
	.text
	.type	__hip_cuid_22fe1fe4f6eb96de,@object ; @__hip_cuid_22fe1fe4f6eb96de
	.section	.bss,"aw",@nobits
	.globl	__hip_cuid_22fe1fe4f6eb96de
__hip_cuid_22fe1fe4f6eb96de:
	.byte	0                               ; 0x0
	.size	__hip_cuid_22fe1fe4f6eb96de, 1

	.ident	"AMD clang version 22.0.0git (https://github.com/RadeonOpenCompute/llvm-project roc-7.2.4 26084 f58b06dce1f9c15707c5f808fd002e18c2accf7e)"
	.section	".note.GNU-stack","",@progbits
	.addrsig
	.addrsig_sym __hip_cuid_22fe1fe4f6eb96de
	.amdgpu_metadata
---
amdhsa.kernels:
  - .agpr_count:     0
    .args:           []
    .group_segment_fixed_size: 0
    .kernarg_segment_align: 4
    .kernarg_segment_size: 0
    .language:       OpenCL C
    .language_version:
      - 2
      - 0
    .max_flat_workgroup_size: 1024
    .name:           _ZN7rocprim17ROCPRIM_400000_NS6detail44device_merge_sort_compile_time_verifier_archINS1_11comp_targetILNS1_3genE0ELNS1_11target_archE4294967295ELNS1_3gpuE0ELNS1_3repE0EEES8_NS0_14default_configES9_NS1_37merge_sort_block_sort_config_selectorIlNS0_10empty_typeEEENS1_38merge_sort_block_merge_config_selectorIlSB_EEEEvv
    .private_segment_fixed_size: 0
    .sgpr_count:     6
    .sgpr_spill_count: 0
    .symbol:         _ZN7rocprim17ROCPRIM_400000_NS6detail44device_merge_sort_compile_time_verifier_archINS1_11comp_targetILNS1_3genE0ELNS1_11target_archE4294967295ELNS1_3gpuE0ELNS1_3repE0EEES8_NS0_14default_configES9_NS1_37merge_sort_block_sort_config_selectorIlNS0_10empty_typeEEENS1_38merge_sort_block_merge_config_selectorIlSB_EEEEvv.kd
    .uniform_work_group_size: 1
    .uses_dynamic_stack: false
    .vgpr_count:     0
    .vgpr_spill_count: 0
    .wavefront_size: 64
  - .agpr_count:     0
    .args:           []
    .group_segment_fixed_size: 0
    .kernarg_segment_align: 4
    .kernarg_segment_size: 0
    .language:       OpenCL C
    .language_version:
      - 2
      - 0
    .max_flat_workgroup_size: 1024
    .name:           _ZN7rocprim17ROCPRIM_400000_NS6detail44device_merge_sort_compile_time_verifier_archINS1_11comp_targetILNS1_3genE5ELNS1_11target_archE942ELNS1_3gpuE9ELNS1_3repE0EEES8_NS0_14default_configES9_NS1_37merge_sort_block_sort_config_selectorIlNS0_10empty_typeEEENS1_38merge_sort_block_merge_config_selectorIlSB_EEEEvv
    .private_segment_fixed_size: 0
    .sgpr_count:     6
    .sgpr_spill_count: 0
    .symbol:         _ZN7rocprim17ROCPRIM_400000_NS6detail44device_merge_sort_compile_time_verifier_archINS1_11comp_targetILNS1_3genE5ELNS1_11target_archE942ELNS1_3gpuE9ELNS1_3repE0EEES8_NS0_14default_configES9_NS1_37merge_sort_block_sort_config_selectorIlNS0_10empty_typeEEENS1_38merge_sort_block_merge_config_selectorIlSB_EEEEvv.kd
    .uniform_work_group_size: 1
    .uses_dynamic_stack: false
    .vgpr_count:     0
    .vgpr_spill_count: 0
    .wavefront_size: 64
  - .agpr_count:     0
    .args:           []
    .group_segment_fixed_size: 0
    .kernarg_segment_align: 4
    .kernarg_segment_size: 0
    .language:       OpenCL C
    .language_version:
      - 2
      - 0
    .max_flat_workgroup_size: 1024
    .name:           _ZN7rocprim17ROCPRIM_400000_NS6detail44device_merge_sort_compile_time_verifier_archINS1_11comp_targetILNS1_3genE4ELNS1_11target_archE910ELNS1_3gpuE8ELNS1_3repE0EEES8_NS0_14default_configES9_NS1_37merge_sort_block_sort_config_selectorIlNS0_10empty_typeEEENS1_38merge_sort_block_merge_config_selectorIlSB_EEEEvv
    .private_segment_fixed_size: 0
    .sgpr_count:     6
    .sgpr_spill_count: 0
    .symbol:         _ZN7rocprim17ROCPRIM_400000_NS6detail44device_merge_sort_compile_time_verifier_archINS1_11comp_targetILNS1_3genE4ELNS1_11target_archE910ELNS1_3gpuE8ELNS1_3repE0EEES8_NS0_14default_configES9_NS1_37merge_sort_block_sort_config_selectorIlNS0_10empty_typeEEENS1_38merge_sort_block_merge_config_selectorIlSB_EEEEvv.kd
    .uniform_work_group_size: 1
    .uses_dynamic_stack: false
    .vgpr_count:     0
    .vgpr_spill_count: 0
    .wavefront_size: 64
  - .agpr_count:     0
    .args:           []
    .group_segment_fixed_size: 0
    .kernarg_segment_align: 4
    .kernarg_segment_size: 0
    .language:       OpenCL C
    .language_version:
      - 2
      - 0
    .max_flat_workgroup_size: 1024
    .name:           _ZN7rocprim17ROCPRIM_400000_NS6detail44device_merge_sort_compile_time_verifier_archINS1_11comp_targetILNS1_3genE3ELNS1_11target_archE908ELNS1_3gpuE7ELNS1_3repE0EEES8_NS0_14default_configES9_NS1_37merge_sort_block_sort_config_selectorIlNS0_10empty_typeEEENS1_38merge_sort_block_merge_config_selectorIlSB_EEEEvv
    .private_segment_fixed_size: 0
    .sgpr_count:     6
    .sgpr_spill_count: 0
    .symbol:         _ZN7rocprim17ROCPRIM_400000_NS6detail44device_merge_sort_compile_time_verifier_archINS1_11comp_targetILNS1_3genE3ELNS1_11target_archE908ELNS1_3gpuE7ELNS1_3repE0EEES8_NS0_14default_configES9_NS1_37merge_sort_block_sort_config_selectorIlNS0_10empty_typeEEENS1_38merge_sort_block_merge_config_selectorIlSB_EEEEvv.kd
    .uniform_work_group_size: 1
    .uses_dynamic_stack: false
    .vgpr_count:     0
    .vgpr_spill_count: 0
    .wavefront_size: 64
  - .agpr_count:     0
    .args:           []
    .group_segment_fixed_size: 0
    .kernarg_segment_align: 4
    .kernarg_segment_size: 0
    .language:       OpenCL C
    .language_version:
      - 2
      - 0
    .max_flat_workgroup_size: 1024
    .name:           _ZN7rocprim17ROCPRIM_400000_NS6detail44device_merge_sort_compile_time_verifier_archINS1_11comp_targetILNS1_3genE2ELNS1_11target_archE906ELNS1_3gpuE6ELNS1_3repE0EEES8_NS0_14default_configES9_NS1_37merge_sort_block_sort_config_selectorIlNS0_10empty_typeEEENS1_38merge_sort_block_merge_config_selectorIlSB_EEEEvv
    .private_segment_fixed_size: 0
    .sgpr_count:     6
    .sgpr_spill_count: 0
    .symbol:         _ZN7rocprim17ROCPRIM_400000_NS6detail44device_merge_sort_compile_time_verifier_archINS1_11comp_targetILNS1_3genE2ELNS1_11target_archE906ELNS1_3gpuE6ELNS1_3repE0EEES8_NS0_14default_configES9_NS1_37merge_sort_block_sort_config_selectorIlNS0_10empty_typeEEENS1_38merge_sort_block_merge_config_selectorIlSB_EEEEvv.kd
    .uniform_work_group_size: 1
    .uses_dynamic_stack: false
    .vgpr_count:     0
    .vgpr_spill_count: 0
    .wavefront_size: 64
  - .agpr_count:     0
    .args:           []
    .group_segment_fixed_size: 0
    .kernarg_segment_align: 4
    .kernarg_segment_size: 0
    .language:       OpenCL C
    .language_version:
      - 2
      - 0
    .max_flat_workgroup_size: 1024
    .name:           _ZN7rocprim17ROCPRIM_400000_NS6detail44device_merge_sort_compile_time_verifier_archINS1_11comp_targetILNS1_3genE10ELNS1_11target_archE1201ELNS1_3gpuE5ELNS1_3repE0EEES8_NS0_14default_configES9_NS1_37merge_sort_block_sort_config_selectorIlNS0_10empty_typeEEENS1_38merge_sort_block_merge_config_selectorIlSB_EEEEvv
    .private_segment_fixed_size: 0
    .sgpr_count:     6
    .sgpr_spill_count: 0
    .symbol:         _ZN7rocprim17ROCPRIM_400000_NS6detail44device_merge_sort_compile_time_verifier_archINS1_11comp_targetILNS1_3genE10ELNS1_11target_archE1201ELNS1_3gpuE5ELNS1_3repE0EEES8_NS0_14default_configES9_NS1_37merge_sort_block_sort_config_selectorIlNS0_10empty_typeEEENS1_38merge_sort_block_merge_config_selectorIlSB_EEEEvv.kd
    .uniform_work_group_size: 1
    .uses_dynamic_stack: false
    .vgpr_count:     0
    .vgpr_spill_count: 0
    .wavefront_size: 64
  - .agpr_count:     0
    .args:           []
    .group_segment_fixed_size: 0
    .kernarg_segment_align: 4
    .kernarg_segment_size: 0
    .language:       OpenCL C
    .language_version:
      - 2
      - 0
    .max_flat_workgroup_size: 1024
    .name:           _ZN7rocprim17ROCPRIM_400000_NS6detail44device_merge_sort_compile_time_verifier_archINS1_11comp_targetILNS1_3genE10ELNS1_11target_archE1200ELNS1_3gpuE4ELNS1_3repE0EEENS3_ILS4_10ELS5_1201ELS6_5ELS7_0EEENS0_14default_configESA_NS1_37merge_sort_block_sort_config_selectorIlNS0_10empty_typeEEENS1_38merge_sort_block_merge_config_selectorIlSC_EEEEvv
    .private_segment_fixed_size: 0
    .sgpr_count:     6
    .sgpr_spill_count: 0
    .symbol:         _ZN7rocprim17ROCPRIM_400000_NS6detail44device_merge_sort_compile_time_verifier_archINS1_11comp_targetILNS1_3genE10ELNS1_11target_archE1200ELNS1_3gpuE4ELNS1_3repE0EEENS3_ILS4_10ELS5_1201ELS6_5ELS7_0EEENS0_14default_configESA_NS1_37merge_sort_block_sort_config_selectorIlNS0_10empty_typeEEENS1_38merge_sort_block_merge_config_selectorIlSC_EEEEvv.kd
    .uniform_work_group_size: 1
    .uses_dynamic_stack: false
    .vgpr_count:     0
    .vgpr_spill_count: 0
    .wavefront_size: 64
  - .agpr_count:     0
    .args:           []
    .group_segment_fixed_size: 0
    .kernarg_segment_align: 4
    .kernarg_segment_size: 0
    .language:       OpenCL C
    .language_version:
      - 2
      - 0
    .max_flat_workgroup_size: 1024
    .name:           _ZN7rocprim17ROCPRIM_400000_NS6detail44device_merge_sort_compile_time_verifier_archINS1_11comp_targetILNS1_3genE9ELNS1_11target_archE1100ELNS1_3gpuE3ELNS1_3repE0EEES8_NS0_14default_configES9_NS1_37merge_sort_block_sort_config_selectorIlNS0_10empty_typeEEENS1_38merge_sort_block_merge_config_selectorIlSB_EEEEvv
    .private_segment_fixed_size: 0
    .sgpr_count:     6
    .sgpr_spill_count: 0
    .symbol:         _ZN7rocprim17ROCPRIM_400000_NS6detail44device_merge_sort_compile_time_verifier_archINS1_11comp_targetILNS1_3genE9ELNS1_11target_archE1100ELNS1_3gpuE3ELNS1_3repE0EEES8_NS0_14default_configES9_NS1_37merge_sort_block_sort_config_selectorIlNS0_10empty_typeEEENS1_38merge_sort_block_merge_config_selectorIlSB_EEEEvv.kd
    .uniform_work_group_size: 1
    .uses_dynamic_stack: false
    .vgpr_count:     0
    .vgpr_spill_count: 0
    .wavefront_size: 64
  - .agpr_count:     0
    .args:           []
    .group_segment_fixed_size: 0
    .kernarg_segment_align: 4
    .kernarg_segment_size: 0
    .language:       OpenCL C
    .language_version:
      - 2
      - 0
    .max_flat_workgroup_size: 1024
    .name:           _ZN7rocprim17ROCPRIM_400000_NS6detail44device_merge_sort_compile_time_verifier_archINS1_11comp_targetILNS1_3genE8ELNS1_11target_archE1030ELNS1_3gpuE2ELNS1_3repE0EEES8_NS0_14default_configES9_NS1_37merge_sort_block_sort_config_selectorIlNS0_10empty_typeEEENS1_38merge_sort_block_merge_config_selectorIlSB_EEEEvv
    .private_segment_fixed_size: 0
    .sgpr_count:     6
    .sgpr_spill_count: 0
    .symbol:         _ZN7rocprim17ROCPRIM_400000_NS6detail44device_merge_sort_compile_time_verifier_archINS1_11comp_targetILNS1_3genE8ELNS1_11target_archE1030ELNS1_3gpuE2ELNS1_3repE0EEES8_NS0_14default_configES9_NS1_37merge_sort_block_sort_config_selectorIlNS0_10empty_typeEEENS1_38merge_sort_block_merge_config_selectorIlSB_EEEEvv.kd
    .uniform_work_group_size: 1
    .uses_dynamic_stack: false
    .vgpr_count:     0
    .vgpr_spill_count: 0
    .wavefront_size: 64
  - .agpr_count:     0
    .args:
      - .offset:         0
        .size:           72
        .value_kind:     by_value
      - .offset:         72
        .size:           4
        .value_kind:     hidden_block_count_x
      - .offset:         76
        .size:           4
        .value_kind:     hidden_block_count_y
      - .offset:         80
        .size:           4
        .value_kind:     hidden_block_count_z
      - .offset:         84
        .size:           2
        .value_kind:     hidden_group_size_x
      - .offset:         86
        .size:           2
        .value_kind:     hidden_group_size_y
      - .offset:         88
        .size:           2
        .value_kind:     hidden_group_size_z
      - .offset:         90
        .size:           2
        .value_kind:     hidden_remainder_x
      - .offset:         92
        .size:           2
        .value_kind:     hidden_remainder_y
      - .offset:         94
        .size:           2
        .value_kind:     hidden_remainder_z
      - .offset:         112
        .size:           8
        .value_kind:     hidden_global_offset_x
      - .offset:         120
        .size:           8
        .value_kind:     hidden_global_offset_y
      - .offset:         128
        .size:           8
        .value_kind:     hidden_global_offset_z
      - .offset:         136
        .size:           2
        .value_kind:     hidden_grid_dims
    .group_segment_fixed_size: 16896
    .kernarg_segment_align: 8
    .kernarg_segment_size: 328
    .language:       OpenCL C
    .language_version:
      - 2
      - 0
    .max_flat_workgroup_size: 256
    .name:           _ZN7rocprim17ROCPRIM_400000_NS6detail17trampoline_kernelINS0_14default_configENS1_37merge_sort_block_sort_config_selectorIlNS0_10empty_typeEEEZNS1_21merge_sort_block_sortIS3_PlS8_PS5_S9_ZN2at6native12_GLOBAL__N_124unique_dim_cuda_templateIhEESt5tupleIJNSA_6TensorESF_SF_EERKSF_lbbbEUlllE_EE10hipError_tT0_T1_T2_T3_mRjT4_P12ihipStream_tbNS1_7vsmem_tEEUlT_E_NS1_11comp_targetILNS1_3genE0ELNS1_11target_archE4294967295ELNS1_3gpuE0ELNS1_3repE0EEENS1_30default_config_static_selectorELNS0_4arch9wavefront6targetE1EEEvSM_
    .private_segment_fixed_size: 0
    .sgpr_count:     72
    .sgpr_spill_count: 0
    .symbol:         _ZN7rocprim17ROCPRIM_400000_NS6detail17trampoline_kernelINS0_14default_configENS1_37merge_sort_block_sort_config_selectorIlNS0_10empty_typeEEEZNS1_21merge_sort_block_sortIS3_PlS8_PS5_S9_ZN2at6native12_GLOBAL__N_124unique_dim_cuda_templateIhEESt5tupleIJNSA_6TensorESF_SF_EERKSF_lbbbEUlllE_EE10hipError_tT0_T1_T2_T3_mRjT4_P12ihipStream_tbNS1_7vsmem_tEEUlT_E_NS1_11comp_targetILNS1_3genE0ELNS1_11target_archE4294967295ELNS1_3gpuE0ELNS1_3repE0EEENS1_30default_config_static_selectorELNS0_4arch9wavefront6targetE1EEEvSM_.kd
    .uniform_work_group_size: 1
    .uses_dynamic_stack: false
    .vgpr_count:     55
    .vgpr_spill_count: 0
    .wavefront_size: 64
  - .agpr_count:     0
    .args:
      - .offset:         0
        .size:           72
        .value_kind:     by_value
    .group_segment_fixed_size: 0
    .kernarg_segment_align: 8
    .kernarg_segment_size: 72
    .language:       OpenCL C
    .language_version:
      - 2
      - 0
    .max_flat_workgroup_size: 256
    .name:           _ZN7rocprim17ROCPRIM_400000_NS6detail17trampoline_kernelINS0_14default_configENS1_37merge_sort_block_sort_config_selectorIlNS0_10empty_typeEEEZNS1_21merge_sort_block_sortIS3_PlS8_PS5_S9_ZN2at6native12_GLOBAL__N_124unique_dim_cuda_templateIhEESt5tupleIJNSA_6TensorESF_SF_EERKSF_lbbbEUlllE_EE10hipError_tT0_T1_T2_T3_mRjT4_P12ihipStream_tbNS1_7vsmem_tEEUlT_E_NS1_11comp_targetILNS1_3genE5ELNS1_11target_archE942ELNS1_3gpuE9ELNS1_3repE0EEENS1_30default_config_static_selectorELNS0_4arch9wavefront6targetE1EEEvSM_
    .private_segment_fixed_size: 0
    .sgpr_count:     6
    .sgpr_spill_count: 0
    .symbol:         _ZN7rocprim17ROCPRIM_400000_NS6detail17trampoline_kernelINS0_14default_configENS1_37merge_sort_block_sort_config_selectorIlNS0_10empty_typeEEEZNS1_21merge_sort_block_sortIS3_PlS8_PS5_S9_ZN2at6native12_GLOBAL__N_124unique_dim_cuda_templateIhEESt5tupleIJNSA_6TensorESF_SF_EERKSF_lbbbEUlllE_EE10hipError_tT0_T1_T2_T3_mRjT4_P12ihipStream_tbNS1_7vsmem_tEEUlT_E_NS1_11comp_targetILNS1_3genE5ELNS1_11target_archE942ELNS1_3gpuE9ELNS1_3repE0EEENS1_30default_config_static_selectorELNS0_4arch9wavefront6targetE1EEEvSM_.kd
    .uniform_work_group_size: 1
    .uses_dynamic_stack: false
    .vgpr_count:     0
    .vgpr_spill_count: 0
    .wavefront_size: 64
  - .agpr_count:     0
    .args:
      - .offset:         0
        .size:           72
        .value_kind:     by_value
    .group_segment_fixed_size: 0
    .kernarg_segment_align: 8
    .kernarg_segment_size: 72
    .language:       OpenCL C
    .language_version:
      - 2
      - 0
    .max_flat_workgroup_size: 256
    .name:           _ZN7rocprim17ROCPRIM_400000_NS6detail17trampoline_kernelINS0_14default_configENS1_37merge_sort_block_sort_config_selectorIlNS0_10empty_typeEEEZNS1_21merge_sort_block_sortIS3_PlS8_PS5_S9_ZN2at6native12_GLOBAL__N_124unique_dim_cuda_templateIhEESt5tupleIJNSA_6TensorESF_SF_EERKSF_lbbbEUlllE_EE10hipError_tT0_T1_T2_T3_mRjT4_P12ihipStream_tbNS1_7vsmem_tEEUlT_E_NS1_11comp_targetILNS1_3genE4ELNS1_11target_archE910ELNS1_3gpuE8ELNS1_3repE0EEENS1_30default_config_static_selectorELNS0_4arch9wavefront6targetE1EEEvSM_
    .private_segment_fixed_size: 0
    .sgpr_count:     6
    .sgpr_spill_count: 0
    .symbol:         _ZN7rocprim17ROCPRIM_400000_NS6detail17trampoline_kernelINS0_14default_configENS1_37merge_sort_block_sort_config_selectorIlNS0_10empty_typeEEEZNS1_21merge_sort_block_sortIS3_PlS8_PS5_S9_ZN2at6native12_GLOBAL__N_124unique_dim_cuda_templateIhEESt5tupleIJNSA_6TensorESF_SF_EERKSF_lbbbEUlllE_EE10hipError_tT0_T1_T2_T3_mRjT4_P12ihipStream_tbNS1_7vsmem_tEEUlT_E_NS1_11comp_targetILNS1_3genE4ELNS1_11target_archE910ELNS1_3gpuE8ELNS1_3repE0EEENS1_30default_config_static_selectorELNS0_4arch9wavefront6targetE1EEEvSM_.kd
    .uniform_work_group_size: 1
    .uses_dynamic_stack: false
    .vgpr_count:     0
    .vgpr_spill_count: 0
    .wavefront_size: 64
  - .agpr_count:     0
    .args:
      - .offset:         0
        .size:           72
        .value_kind:     by_value
    .group_segment_fixed_size: 0
    .kernarg_segment_align: 8
    .kernarg_segment_size: 72
    .language:       OpenCL C
    .language_version:
      - 2
      - 0
    .max_flat_workgroup_size: 256
    .name:           _ZN7rocprim17ROCPRIM_400000_NS6detail17trampoline_kernelINS0_14default_configENS1_37merge_sort_block_sort_config_selectorIlNS0_10empty_typeEEEZNS1_21merge_sort_block_sortIS3_PlS8_PS5_S9_ZN2at6native12_GLOBAL__N_124unique_dim_cuda_templateIhEESt5tupleIJNSA_6TensorESF_SF_EERKSF_lbbbEUlllE_EE10hipError_tT0_T1_T2_T3_mRjT4_P12ihipStream_tbNS1_7vsmem_tEEUlT_E_NS1_11comp_targetILNS1_3genE3ELNS1_11target_archE908ELNS1_3gpuE7ELNS1_3repE0EEENS1_30default_config_static_selectorELNS0_4arch9wavefront6targetE1EEEvSM_
    .private_segment_fixed_size: 0
    .sgpr_count:     6
    .sgpr_spill_count: 0
    .symbol:         _ZN7rocprim17ROCPRIM_400000_NS6detail17trampoline_kernelINS0_14default_configENS1_37merge_sort_block_sort_config_selectorIlNS0_10empty_typeEEEZNS1_21merge_sort_block_sortIS3_PlS8_PS5_S9_ZN2at6native12_GLOBAL__N_124unique_dim_cuda_templateIhEESt5tupleIJNSA_6TensorESF_SF_EERKSF_lbbbEUlllE_EE10hipError_tT0_T1_T2_T3_mRjT4_P12ihipStream_tbNS1_7vsmem_tEEUlT_E_NS1_11comp_targetILNS1_3genE3ELNS1_11target_archE908ELNS1_3gpuE7ELNS1_3repE0EEENS1_30default_config_static_selectorELNS0_4arch9wavefront6targetE1EEEvSM_.kd
    .uniform_work_group_size: 1
    .uses_dynamic_stack: false
    .vgpr_count:     0
    .vgpr_spill_count: 0
    .wavefront_size: 64
  - .agpr_count:     0
    .args:
      - .offset:         0
        .size:           72
        .value_kind:     by_value
    .group_segment_fixed_size: 0
    .kernarg_segment_align: 8
    .kernarg_segment_size: 72
    .language:       OpenCL C
    .language_version:
      - 2
      - 0
    .max_flat_workgroup_size: 256
    .name:           _ZN7rocprim17ROCPRIM_400000_NS6detail17trampoline_kernelINS0_14default_configENS1_37merge_sort_block_sort_config_selectorIlNS0_10empty_typeEEEZNS1_21merge_sort_block_sortIS3_PlS8_PS5_S9_ZN2at6native12_GLOBAL__N_124unique_dim_cuda_templateIhEESt5tupleIJNSA_6TensorESF_SF_EERKSF_lbbbEUlllE_EE10hipError_tT0_T1_T2_T3_mRjT4_P12ihipStream_tbNS1_7vsmem_tEEUlT_E_NS1_11comp_targetILNS1_3genE2ELNS1_11target_archE906ELNS1_3gpuE6ELNS1_3repE0EEENS1_30default_config_static_selectorELNS0_4arch9wavefront6targetE1EEEvSM_
    .private_segment_fixed_size: 0
    .sgpr_count:     6
    .sgpr_spill_count: 0
    .symbol:         _ZN7rocprim17ROCPRIM_400000_NS6detail17trampoline_kernelINS0_14default_configENS1_37merge_sort_block_sort_config_selectorIlNS0_10empty_typeEEEZNS1_21merge_sort_block_sortIS3_PlS8_PS5_S9_ZN2at6native12_GLOBAL__N_124unique_dim_cuda_templateIhEESt5tupleIJNSA_6TensorESF_SF_EERKSF_lbbbEUlllE_EE10hipError_tT0_T1_T2_T3_mRjT4_P12ihipStream_tbNS1_7vsmem_tEEUlT_E_NS1_11comp_targetILNS1_3genE2ELNS1_11target_archE906ELNS1_3gpuE6ELNS1_3repE0EEENS1_30default_config_static_selectorELNS0_4arch9wavefront6targetE1EEEvSM_.kd
    .uniform_work_group_size: 1
    .uses_dynamic_stack: false
    .vgpr_count:     0
    .vgpr_spill_count: 0
    .wavefront_size: 64
  - .agpr_count:     0
    .args:
      - .offset:         0
        .size:           72
        .value_kind:     by_value
    .group_segment_fixed_size: 0
    .kernarg_segment_align: 8
    .kernarg_segment_size: 72
    .language:       OpenCL C
    .language_version:
      - 2
      - 0
    .max_flat_workgroup_size: 256
    .name:           _ZN7rocprim17ROCPRIM_400000_NS6detail17trampoline_kernelINS0_14default_configENS1_37merge_sort_block_sort_config_selectorIlNS0_10empty_typeEEEZNS1_21merge_sort_block_sortIS3_PlS8_PS5_S9_ZN2at6native12_GLOBAL__N_124unique_dim_cuda_templateIhEESt5tupleIJNSA_6TensorESF_SF_EERKSF_lbbbEUlllE_EE10hipError_tT0_T1_T2_T3_mRjT4_P12ihipStream_tbNS1_7vsmem_tEEUlT_E_NS1_11comp_targetILNS1_3genE10ELNS1_11target_archE1201ELNS1_3gpuE5ELNS1_3repE0EEENS1_30default_config_static_selectorELNS0_4arch9wavefront6targetE1EEEvSM_
    .private_segment_fixed_size: 0
    .sgpr_count:     6
    .sgpr_spill_count: 0
    .symbol:         _ZN7rocprim17ROCPRIM_400000_NS6detail17trampoline_kernelINS0_14default_configENS1_37merge_sort_block_sort_config_selectorIlNS0_10empty_typeEEEZNS1_21merge_sort_block_sortIS3_PlS8_PS5_S9_ZN2at6native12_GLOBAL__N_124unique_dim_cuda_templateIhEESt5tupleIJNSA_6TensorESF_SF_EERKSF_lbbbEUlllE_EE10hipError_tT0_T1_T2_T3_mRjT4_P12ihipStream_tbNS1_7vsmem_tEEUlT_E_NS1_11comp_targetILNS1_3genE10ELNS1_11target_archE1201ELNS1_3gpuE5ELNS1_3repE0EEENS1_30default_config_static_selectorELNS0_4arch9wavefront6targetE1EEEvSM_.kd
    .uniform_work_group_size: 1
    .uses_dynamic_stack: false
    .vgpr_count:     0
    .vgpr_spill_count: 0
    .wavefront_size: 64
  - .agpr_count:     0
    .args:
      - .offset:         0
        .size:           72
        .value_kind:     by_value
    .group_segment_fixed_size: 0
    .kernarg_segment_align: 8
    .kernarg_segment_size: 72
    .language:       OpenCL C
    .language_version:
      - 2
      - 0
    .max_flat_workgroup_size: 512
    .name:           _ZN7rocprim17ROCPRIM_400000_NS6detail17trampoline_kernelINS0_14default_configENS1_37merge_sort_block_sort_config_selectorIlNS0_10empty_typeEEEZNS1_21merge_sort_block_sortIS3_PlS8_PS5_S9_ZN2at6native12_GLOBAL__N_124unique_dim_cuda_templateIhEESt5tupleIJNSA_6TensorESF_SF_EERKSF_lbbbEUlllE_EE10hipError_tT0_T1_T2_T3_mRjT4_P12ihipStream_tbNS1_7vsmem_tEEUlT_E_NS1_11comp_targetILNS1_3genE10ELNS1_11target_archE1200ELNS1_3gpuE4ELNS1_3repE0EEENS1_30default_config_static_selectorELNS0_4arch9wavefront6targetE1EEEvSM_
    .private_segment_fixed_size: 0
    .sgpr_count:     6
    .sgpr_spill_count: 0
    .symbol:         _ZN7rocprim17ROCPRIM_400000_NS6detail17trampoline_kernelINS0_14default_configENS1_37merge_sort_block_sort_config_selectorIlNS0_10empty_typeEEEZNS1_21merge_sort_block_sortIS3_PlS8_PS5_S9_ZN2at6native12_GLOBAL__N_124unique_dim_cuda_templateIhEESt5tupleIJNSA_6TensorESF_SF_EERKSF_lbbbEUlllE_EE10hipError_tT0_T1_T2_T3_mRjT4_P12ihipStream_tbNS1_7vsmem_tEEUlT_E_NS1_11comp_targetILNS1_3genE10ELNS1_11target_archE1200ELNS1_3gpuE4ELNS1_3repE0EEENS1_30default_config_static_selectorELNS0_4arch9wavefront6targetE1EEEvSM_.kd
    .uniform_work_group_size: 1
    .uses_dynamic_stack: false
    .vgpr_count:     0
    .vgpr_spill_count: 0
    .wavefront_size: 64
  - .agpr_count:     0
    .args:
      - .offset:         0
        .size:           72
        .value_kind:     by_value
    .group_segment_fixed_size: 0
    .kernarg_segment_align: 8
    .kernarg_segment_size: 72
    .language:       OpenCL C
    .language_version:
      - 2
      - 0
    .max_flat_workgroup_size: 256
    .name:           _ZN7rocprim17ROCPRIM_400000_NS6detail17trampoline_kernelINS0_14default_configENS1_37merge_sort_block_sort_config_selectorIlNS0_10empty_typeEEEZNS1_21merge_sort_block_sortIS3_PlS8_PS5_S9_ZN2at6native12_GLOBAL__N_124unique_dim_cuda_templateIhEESt5tupleIJNSA_6TensorESF_SF_EERKSF_lbbbEUlllE_EE10hipError_tT0_T1_T2_T3_mRjT4_P12ihipStream_tbNS1_7vsmem_tEEUlT_E_NS1_11comp_targetILNS1_3genE9ELNS1_11target_archE1100ELNS1_3gpuE3ELNS1_3repE0EEENS1_30default_config_static_selectorELNS0_4arch9wavefront6targetE1EEEvSM_
    .private_segment_fixed_size: 0
    .sgpr_count:     6
    .sgpr_spill_count: 0
    .symbol:         _ZN7rocprim17ROCPRIM_400000_NS6detail17trampoline_kernelINS0_14default_configENS1_37merge_sort_block_sort_config_selectorIlNS0_10empty_typeEEEZNS1_21merge_sort_block_sortIS3_PlS8_PS5_S9_ZN2at6native12_GLOBAL__N_124unique_dim_cuda_templateIhEESt5tupleIJNSA_6TensorESF_SF_EERKSF_lbbbEUlllE_EE10hipError_tT0_T1_T2_T3_mRjT4_P12ihipStream_tbNS1_7vsmem_tEEUlT_E_NS1_11comp_targetILNS1_3genE9ELNS1_11target_archE1100ELNS1_3gpuE3ELNS1_3repE0EEENS1_30default_config_static_selectorELNS0_4arch9wavefront6targetE1EEEvSM_.kd
    .uniform_work_group_size: 1
    .uses_dynamic_stack: false
    .vgpr_count:     0
    .vgpr_spill_count: 0
    .wavefront_size: 64
  - .agpr_count:     0
    .args:
      - .offset:         0
        .size:           72
        .value_kind:     by_value
    .group_segment_fixed_size: 0
    .kernarg_segment_align: 8
    .kernarg_segment_size: 72
    .language:       OpenCL C
    .language_version:
      - 2
      - 0
    .max_flat_workgroup_size: 256
    .name:           _ZN7rocprim17ROCPRIM_400000_NS6detail17trampoline_kernelINS0_14default_configENS1_37merge_sort_block_sort_config_selectorIlNS0_10empty_typeEEEZNS1_21merge_sort_block_sortIS3_PlS8_PS5_S9_ZN2at6native12_GLOBAL__N_124unique_dim_cuda_templateIhEESt5tupleIJNSA_6TensorESF_SF_EERKSF_lbbbEUlllE_EE10hipError_tT0_T1_T2_T3_mRjT4_P12ihipStream_tbNS1_7vsmem_tEEUlT_E_NS1_11comp_targetILNS1_3genE8ELNS1_11target_archE1030ELNS1_3gpuE2ELNS1_3repE0EEENS1_30default_config_static_selectorELNS0_4arch9wavefront6targetE1EEEvSM_
    .private_segment_fixed_size: 0
    .sgpr_count:     6
    .sgpr_spill_count: 0
    .symbol:         _ZN7rocprim17ROCPRIM_400000_NS6detail17trampoline_kernelINS0_14default_configENS1_37merge_sort_block_sort_config_selectorIlNS0_10empty_typeEEEZNS1_21merge_sort_block_sortIS3_PlS8_PS5_S9_ZN2at6native12_GLOBAL__N_124unique_dim_cuda_templateIhEESt5tupleIJNSA_6TensorESF_SF_EERKSF_lbbbEUlllE_EE10hipError_tT0_T1_T2_T3_mRjT4_P12ihipStream_tbNS1_7vsmem_tEEUlT_E_NS1_11comp_targetILNS1_3genE8ELNS1_11target_archE1030ELNS1_3gpuE2ELNS1_3repE0EEENS1_30default_config_static_selectorELNS0_4arch9wavefront6targetE1EEEvSM_.kd
    .uniform_work_group_size: 1
    .uses_dynamic_stack: false
    .vgpr_count:     0
    .vgpr_spill_count: 0
    .wavefront_size: 64
  - .agpr_count:     0
    .args:
      - .offset:         0
        .size:           56
        .value_kind:     by_value
    .group_segment_fixed_size: 0
    .kernarg_segment_align: 8
    .kernarg_segment_size: 56
    .language:       OpenCL C
    .language_version:
      - 2
      - 0
    .max_flat_workgroup_size: 128
    .name:           _ZN7rocprim17ROCPRIM_400000_NS6detail17trampoline_kernelINS0_14default_configENS1_38merge_sort_block_merge_config_selectorIlNS0_10empty_typeEEEZZNS1_27merge_sort_block_merge_implIS3_PlPS5_mZN2at6native12_GLOBAL__N_124unique_dim_cuda_templateIhEESt5tupleIJNSA_6TensorESF_SF_EERKSF_lbbbEUlllE_EE10hipError_tT0_T1_T2_jT3_P12ihipStream_tbPNSt15iterator_traitsISL_E10value_typeEPNSR_ISM_E10value_typeEPSN_NS1_7vsmem_tEENKUlT_SL_SM_SN_E_clIS8_S8_S9_S9_EESK_S10_SL_SM_SN_EUlS10_E_NS1_11comp_targetILNS1_3genE0ELNS1_11target_archE4294967295ELNS1_3gpuE0ELNS1_3repE0EEENS1_48merge_mergepath_partition_config_static_selectorELNS0_4arch9wavefront6targetE1EEEvSM_
    .private_segment_fixed_size: 0
    .sgpr_count:     36
    .sgpr_spill_count: 0
    .symbol:         _ZN7rocprim17ROCPRIM_400000_NS6detail17trampoline_kernelINS0_14default_configENS1_38merge_sort_block_merge_config_selectorIlNS0_10empty_typeEEEZZNS1_27merge_sort_block_merge_implIS3_PlPS5_mZN2at6native12_GLOBAL__N_124unique_dim_cuda_templateIhEESt5tupleIJNSA_6TensorESF_SF_EERKSF_lbbbEUlllE_EE10hipError_tT0_T1_T2_jT3_P12ihipStream_tbPNSt15iterator_traitsISL_E10value_typeEPNSR_ISM_E10value_typeEPSN_NS1_7vsmem_tEENKUlT_SL_SM_SN_E_clIS8_S8_S9_S9_EESK_S10_SL_SM_SN_EUlS10_E_NS1_11comp_targetILNS1_3genE0ELNS1_11target_archE4294967295ELNS1_3gpuE0ELNS1_3repE0EEENS1_48merge_mergepath_partition_config_static_selectorELNS0_4arch9wavefront6targetE1EEEvSM_.kd
    .uniform_work_group_size: 1
    .uses_dynamic_stack: false
    .vgpr_count:     23
    .vgpr_spill_count: 0
    .wavefront_size: 64
  - .agpr_count:     0
    .args:
      - .offset:         0
        .size:           56
        .value_kind:     by_value
    .group_segment_fixed_size: 0
    .kernarg_segment_align: 8
    .kernarg_segment_size: 56
    .language:       OpenCL C
    .language_version:
      - 2
      - 0
    .max_flat_workgroup_size: 128
    .name:           _ZN7rocprim17ROCPRIM_400000_NS6detail17trampoline_kernelINS0_14default_configENS1_38merge_sort_block_merge_config_selectorIlNS0_10empty_typeEEEZZNS1_27merge_sort_block_merge_implIS3_PlPS5_mZN2at6native12_GLOBAL__N_124unique_dim_cuda_templateIhEESt5tupleIJNSA_6TensorESF_SF_EERKSF_lbbbEUlllE_EE10hipError_tT0_T1_T2_jT3_P12ihipStream_tbPNSt15iterator_traitsISL_E10value_typeEPNSR_ISM_E10value_typeEPSN_NS1_7vsmem_tEENKUlT_SL_SM_SN_E_clIS8_S8_S9_S9_EESK_S10_SL_SM_SN_EUlS10_E_NS1_11comp_targetILNS1_3genE10ELNS1_11target_archE1201ELNS1_3gpuE5ELNS1_3repE0EEENS1_48merge_mergepath_partition_config_static_selectorELNS0_4arch9wavefront6targetE1EEEvSM_
    .private_segment_fixed_size: 0
    .sgpr_count:     6
    .sgpr_spill_count: 0
    .symbol:         _ZN7rocprim17ROCPRIM_400000_NS6detail17trampoline_kernelINS0_14default_configENS1_38merge_sort_block_merge_config_selectorIlNS0_10empty_typeEEEZZNS1_27merge_sort_block_merge_implIS3_PlPS5_mZN2at6native12_GLOBAL__N_124unique_dim_cuda_templateIhEESt5tupleIJNSA_6TensorESF_SF_EERKSF_lbbbEUlllE_EE10hipError_tT0_T1_T2_jT3_P12ihipStream_tbPNSt15iterator_traitsISL_E10value_typeEPNSR_ISM_E10value_typeEPSN_NS1_7vsmem_tEENKUlT_SL_SM_SN_E_clIS8_S8_S9_S9_EESK_S10_SL_SM_SN_EUlS10_E_NS1_11comp_targetILNS1_3genE10ELNS1_11target_archE1201ELNS1_3gpuE5ELNS1_3repE0EEENS1_48merge_mergepath_partition_config_static_selectorELNS0_4arch9wavefront6targetE1EEEvSM_.kd
    .uniform_work_group_size: 1
    .uses_dynamic_stack: false
    .vgpr_count:     0
    .vgpr_spill_count: 0
    .wavefront_size: 64
  - .agpr_count:     0
    .args:
      - .offset:         0
        .size:           56
        .value_kind:     by_value
    .group_segment_fixed_size: 0
    .kernarg_segment_align: 8
    .kernarg_segment_size: 56
    .language:       OpenCL C
    .language_version:
      - 2
      - 0
    .max_flat_workgroup_size: 128
    .name:           _ZN7rocprim17ROCPRIM_400000_NS6detail17trampoline_kernelINS0_14default_configENS1_38merge_sort_block_merge_config_selectorIlNS0_10empty_typeEEEZZNS1_27merge_sort_block_merge_implIS3_PlPS5_mZN2at6native12_GLOBAL__N_124unique_dim_cuda_templateIhEESt5tupleIJNSA_6TensorESF_SF_EERKSF_lbbbEUlllE_EE10hipError_tT0_T1_T2_jT3_P12ihipStream_tbPNSt15iterator_traitsISL_E10value_typeEPNSR_ISM_E10value_typeEPSN_NS1_7vsmem_tEENKUlT_SL_SM_SN_E_clIS8_S8_S9_S9_EESK_S10_SL_SM_SN_EUlS10_E_NS1_11comp_targetILNS1_3genE5ELNS1_11target_archE942ELNS1_3gpuE9ELNS1_3repE0EEENS1_48merge_mergepath_partition_config_static_selectorELNS0_4arch9wavefront6targetE1EEEvSM_
    .private_segment_fixed_size: 0
    .sgpr_count:     6
    .sgpr_spill_count: 0
    .symbol:         _ZN7rocprim17ROCPRIM_400000_NS6detail17trampoline_kernelINS0_14default_configENS1_38merge_sort_block_merge_config_selectorIlNS0_10empty_typeEEEZZNS1_27merge_sort_block_merge_implIS3_PlPS5_mZN2at6native12_GLOBAL__N_124unique_dim_cuda_templateIhEESt5tupleIJNSA_6TensorESF_SF_EERKSF_lbbbEUlllE_EE10hipError_tT0_T1_T2_jT3_P12ihipStream_tbPNSt15iterator_traitsISL_E10value_typeEPNSR_ISM_E10value_typeEPSN_NS1_7vsmem_tEENKUlT_SL_SM_SN_E_clIS8_S8_S9_S9_EESK_S10_SL_SM_SN_EUlS10_E_NS1_11comp_targetILNS1_3genE5ELNS1_11target_archE942ELNS1_3gpuE9ELNS1_3repE0EEENS1_48merge_mergepath_partition_config_static_selectorELNS0_4arch9wavefront6targetE1EEEvSM_.kd
    .uniform_work_group_size: 1
    .uses_dynamic_stack: false
    .vgpr_count:     0
    .vgpr_spill_count: 0
    .wavefront_size: 64
  - .agpr_count:     0
    .args:
      - .offset:         0
        .size:           56
        .value_kind:     by_value
    .group_segment_fixed_size: 0
    .kernarg_segment_align: 8
    .kernarg_segment_size: 56
    .language:       OpenCL C
    .language_version:
      - 2
      - 0
    .max_flat_workgroup_size: 128
    .name:           _ZN7rocprim17ROCPRIM_400000_NS6detail17trampoline_kernelINS0_14default_configENS1_38merge_sort_block_merge_config_selectorIlNS0_10empty_typeEEEZZNS1_27merge_sort_block_merge_implIS3_PlPS5_mZN2at6native12_GLOBAL__N_124unique_dim_cuda_templateIhEESt5tupleIJNSA_6TensorESF_SF_EERKSF_lbbbEUlllE_EE10hipError_tT0_T1_T2_jT3_P12ihipStream_tbPNSt15iterator_traitsISL_E10value_typeEPNSR_ISM_E10value_typeEPSN_NS1_7vsmem_tEENKUlT_SL_SM_SN_E_clIS8_S8_S9_S9_EESK_S10_SL_SM_SN_EUlS10_E_NS1_11comp_targetILNS1_3genE4ELNS1_11target_archE910ELNS1_3gpuE8ELNS1_3repE0EEENS1_48merge_mergepath_partition_config_static_selectorELNS0_4arch9wavefront6targetE1EEEvSM_
    .private_segment_fixed_size: 0
    .sgpr_count:     6
    .sgpr_spill_count: 0
    .symbol:         _ZN7rocprim17ROCPRIM_400000_NS6detail17trampoline_kernelINS0_14default_configENS1_38merge_sort_block_merge_config_selectorIlNS0_10empty_typeEEEZZNS1_27merge_sort_block_merge_implIS3_PlPS5_mZN2at6native12_GLOBAL__N_124unique_dim_cuda_templateIhEESt5tupleIJNSA_6TensorESF_SF_EERKSF_lbbbEUlllE_EE10hipError_tT0_T1_T2_jT3_P12ihipStream_tbPNSt15iterator_traitsISL_E10value_typeEPNSR_ISM_E10value_typeEPSN_NS1_7vsmem_tEENKUlT_SL_SM_SN_E_clIS8_S8_S9_S9_EESK_S10_SL_SM_SN_EUlS10_E_NS1_11comp_targetILNS1_3genE4ELNS1_11target_archE910ELNS1_3gpuE8ELNS1_3repE0EEENS1_48merge_mergepath_partition_config_static_selectorELNS0_4arch9wavefront6targetE1EEEvSM_.kd
    .uniform_work_group_size: 1
    .uses_dynamic_stack: false
    .vgpr_count:     0
    .vgpr_spill_count: 0
    .wavefront_size: 64
  - .agpr_count:     0
    .args:
      - .offset:         0
        .size:           56
        .value_kind:     by_value
    .group_segment_fixed_size: 0
    .kernarg_segment_align: 8
    .kernarg_segment_size: 56
    .language:       OpenCL C
    .language_version:
      - 2
      - 0
    .max_flat_workgroup_size: 128
    .name:           _ZN7rocprim17ROCPRIM_400000_NS6detail17trampoline_kernelINS0_14default_configENS1_38merge_sort_block_merge_config_selectorIlNS0_10empty_typeEEEZZNS1_27merge_sort_block_merge_implIS3_PlPS5_mZN2at6native12_GLOBAL__N_124unique_dim_cuda_templateIhEESt5tupleIJNSA_6TensorESF_SF_EERKSF_lbbbEUlllE_EE10hipError_tT0_T1_T2_jT3_P12ihipStream_tbPNSt15iterator_traitsISL_E10value_typeEPNSR_ISM_E10value_typeEPSN_NS1_7vsmem_tEENKUlT_SL_SM_SN_E_clIS8_S8_S9_S9_EESK_S10_SL_SM_SN_EUlS10_E_NS1_11comp_targetILNS1_3genE3ELNS1_11target_archE908ELNS1_3gpuE7ELNS1_3repE0EEENS1_48merge_mergepath_partition_config_static_selectorELNS0_4arch9wavefront6targetE1EEEvSM_
    .private_segment_fixed_size: 0
    .sgpr_count:     6
    .sgpr_spill_count: 0
    .symbol:         _ZN7rocprim17ROCPRIM_400000_NS6detail17trampoline_kernelINS0_14default_configENS1_38merge_sort_block_merge_config_selectorIlNS0_10empty_typeEEEZZNS1_27merge_sort_block_merge_implIS3_PlPS5_mZN2at6native12_GLOBAL__N_124unique_dim_cuda_templateIhEESt5tupleIJNSA_6TensorESF_SF_EERKSF_lbbbEUlllE_EE10hipError_tT0_T1_T2_jT3_P12ihipStream_tbPNSt15iterator_traitsISL_E10value_typeEPNSR_ISM_E10value_typeEPSN_NS1_7vsmem_tEENKUlT_SL_SM_SN_E_clIS8_S8_S9_S9_EESK_S10_SL_SM_SN_EUlS10_E_NS1_11comp_targetILNS1_3genE3ELNS1_11target_archE908ELNS1_3gpuE7ELNS1_3repE0EEENS1_48merge_mergepath_partition_config_static_selectorELNS0_4arch9wavefront6targetE1EEEvSM_.kd
    .uniform_work_group_size: 1
    .uses_dynamic_stack: false
    .vgpr_count:     0
    .vgpr_spill_count: 0
    .wavefront_size: 64
  - .agpr_count:     0
    .args:
      - .offset:         0
        .size:           56
        .value_kind:     by_value
    .group_segment_fixed_size: 0
    .kernarg_segment_align: 8
    .kernarg_segment_size: 56
    .language:       OpenCL C
    .language_version:
      - 2
      - 0
    .max_flat_workgroup_size: 128
    .name:           _ZN7rocprim17ROCPRIM_400000_NS6detail17trampoline_kernelINS0_14default_configENS1_38merge_sort_block_merge_config_selectorIlNS0_10empty_typeEEEZZNS1_27merge_sort_block_merge_implIS3_PlPS5_mZN2at6native12_GLOBAL__N_124unique_dim_cuda_templateIhEESt5tupleIJNSA_6TensorESF_SF_EERKSF_lbbbEUlllE_EE10hipError_tT0_T1_T2_jT3_P12ihipStream_tbPNSt15iterator_traitsISL_E10value_typeEPNSR_ISM_E10value_typeEPSN_NS1_7vsmem_tEENKUlT_SL_SM_SN_E_clIS8_S8_S9_S9_EESK_S10_SL_SM_SN_EUlS10_E_NS1_11comp_targetILNS1_3genE2ELNS1_11target_archE906ELNS1_3gpuE6ELNS1_3repE0EEENS1_48merge_mergepath_partition_config_static_selectorELNS0_4arch9wavefront6targetE1EEEvSM_
    .private_segment_fixed_size: 0
    .sgpr_count:     6
    .sgpr_spill_count: 0
    .symbol:         _ZN7rocprim17ROCPRIM_400000_NS6detail17trampoline_kernelINS0_14default_configENS1_38merge_sort_block_merge_config_selectorIlNS0_10empty_typeEEEZZNS1_27merge_sort_block_merge_implIS3_PlPS5_mZN2at6native12_GLOBAL__N_124unique_dim_cuda_templateIhEESt5tupleIJNSA_6TensorESF_SF_EERKSF_lbbbEUlllE_EE10hipError_tT0_T1_T2_jT3_P12ihipStream_tbPNSt15iterator_traitsISL_E10value_typeEPNSR_ISM_E10value_typeEPSN_NS1_7vsmem_tEENKUlT_SL_SM_SN_E_clIS8_S8_S9_S9_EESK_S10_SL_SM_SN_EUlS10_E_NS1_11comp_targetILNS1_3genE2ELNS1_11target_archE906ELNS1_3gpuE6ELNS1_3repE0EEENS1_48merge_mergepath_partition_config_static_selectorELNS0_4arch9wavefront6targetE1EEEvSM_.kd
    .uniform_work_group_size: 1
    .uses_dynamic_stack: false
    .vgpr_count:     0
    .vgpr_spill_count: 0
    .wavefront_size: 64
  - .agpr_count:     0
    .args:
      - .offset:         0
        .size:           56
        .value_kind:     by_value
    .group_segment_fixed_size: 0
    .kernarg_segment_align: 8
    .kernarg_segment_size: 56
    .language:       OpenCL C
    .language_version:
      - 2
      - 0
    .max_flat_workgroup_size: 128
    .name:           _ZN7rocprim17ROCPRIM_400000_NS6detail17trampoline_kernelINS0_14default_configENS1_38merge_sort_block_merge_config_selectorIlNS0_10empty_typeEEEZZNS1_27merge_sort_block_merge_implIS3_PlPS5_mZN2at6native12_GLOBAL__N_124unique_dim_cuda_templateIhEESt5tupleIJNSA_6TensorESF_SF_EERKSF_lbbbEUlllE_EE10hipError_tT0_T1_T2_jT3_P12ihipStream_tbPNSt15iterator_traitsISL_E10value_typeEPNSR_ISM_E10value_typeEPSN_NS1_7vsmem_tEENKUlT_SL_SM_SN_E_clIS8_S8_S9_S9_EESK_S10_SL_SM_SN_EUlS10_E_NS1_11comp_targetILNS1_3genE9ELNS1_11target_archE1100ELNS1_3gpuE3ELNS1_3repE0EEENS1_48merge_mergepath_partition_config_static_selectorELNS0_4arch9wavefront6targetE1EEEvSM_
    .private_segment_fixed_size: 0
    .sgpr_count:     6
    .sgpr_spill_count: 0
    .symbol:         _ZN7rocprim17ROCPRIM_400000_NS6detail17trampoline_kernelINS0_14default_configENS1_38merge_sort_block_merge_config_selectorIlNS0_10empty_typeEEEZZNS1_27merge_sort_block_merge_implIS3_PlPS5_mZN2at6native12_GLOBAL__N_124unique_dim_cuda_templateIhEESt5tupleIJNSA_6TensorESF_SF_EERKSF_lbbbEUlllE_EE10hipError_tT0_T1_T2_jT3_P12ihipStream_tbPNSt15iterator_traitsISL_E10value_typeEPNSR_ISM_E10value_typeEPSN_NS1_7vsmem_tEENKUlT_SL_SM_SN_E_clIS8_S8_S9_S9_EESK_S10_SL_SM_SN_EUlS10_E_NS1_11comp_targetILNS1_3genE9ELNS1_11target_archE1100ELNS1_3gpuE3ELNS1_3repE0EEENS1_48merge_mergepath_partition_config_static_selectorELNS0_4arch9wavefront6targetE1EEEvSM_.kd
    .uniform_work_group_size: 1
    .uses_dynamic_stack: false
    .vgpr_count:     0
    .vgpr_spill_count: 0
    .wavefront_size: 64
  - .agpr_count:     0
    .args:
      - .offset:         0
        .size:           56
        .value_kind:     by_value
    .group_segment_fixed_size: 0
    .kernarg_segment_align: 8
    .kernarg_segment_size: 56
    .language:       OpenCL C
    .language_version:
      - 2
      - 0
    .max_flat_workgroup_size: 128
    .name:           _ZN7rocprim17ROCPRIM_400000_NS6detail17trampoline_kernelINS0_14default_configENS1_38merge_sort_block_merge_config_selectorIlNS0_10empty_typeEEEZZNS1_27merge_sort_block_merge_implIS3_PlPS5_mZN2at6native12_GLOBAL__N_124unique_dim_cuda_templateIhEESt5tupleIJNSA_6TensorESF_SF_EERKSF_lbbbEUlllE_EE10hipError_tT0_T1_T2_jT3_P12ihipStream_tbPNSt15iterator_traitsISL_E10value_typeEPNSR_ISM_E10value_typeEPSN_NS1_7vsmem_tEENKUlT_SL_SM_SN_E_clIS8_S8_S9_S9_EESK_S10_SL_SM_SN_EUlS10_E_NS1_11comp_targetILNS1_3genE8ELNS1_11target_archE1030ELNS1_3gpuE2ELNS1_3repE0EEENS1_48merge_mergepath_partition_config_static_selectorELNS0_4arch9wavefront6targetE1EEEvSM_
    .private_segment_fixed_size: 0
    .sgpr_count:     6
    .sgpr_spill_count: 0
    .symbol:         _ZN7rocprim17ROCPRIM_400000_NS6detail17trampoline_kernelINS0_14default_configENS1_38merge_sort_block_merge_config_selectorIlNS0_10empty_typeEEEZZNS1_27merge_sort_block_merge_implIS3_PlPS5_mZN2at6native12_GLOBAL__N_124unique_dim_cuda_templateIhEESt5tupleIJNSA_6TensorESF_SF_EERKSF_lbbbEUlllE_EE10hipError_tT0_T1_T2_jT3_P12ihipStream_tbPNSt15iterator_traitsISL_E10value_typeEPNSR_ISM_E10value_typeEPSN_NS1_7vsmem_tEENKUlT_SL_SM_SN_E_clIS8_S8_S9_S9_EESK_S10_SL_SM_SN_EUlS10_E_NS1_11comp_targetILNS1_3genE8ELNS1_11target_archE1030ELNS1_3gpuE2ELNS1_3repE0EEENS1_48merge_mergepath_partition_config_static_selectorELNS0_4arch9wavefront6targetE1EEEvSM_.kd
    .uniform_work_group_size: 1
    .uses_dynamic_stack: false
    .vgpr_count:     0
    .vgpr_spill_count: 0
    .wavefront_size: 64
  - .agpr_count:     0
    .args:
      - .offset:         0
        .size:           88
        .value_kind:     by_value
      - .offset:         88
        .size:           4
        .value_kind:     hidden_block_count_x
      - .offset:         92
        .size:           4
        .value_kind:     hidden_block_count_y
      - .offset:         96
        .size:           4
        .value_kind:     hidden_block_count_z
      - .offset:         100
        .size:           2
        .value_kind:     hidden_group_size_x
      - .offset:         102
        .size:           2
        .value_kind:     hidden_group_size_y
      - .offset:         104
        .size:           2
        .value_kind:     hidden_group_size_z
      - .offset:         106
        .size:           2
        .value_kind:     hidden_remainder_x
      - .offset:         108
        .size:           2
        .value_kind:     hidden_remainder_y
      - .offset:         110
        .size:           2
        .value_kind:     hidden_remainder_z
      - .offset:         128
        .size:           8
        .value_kind:     hidden_global_offset_x
      - .offset:         136
        .size:           8
        .value_kind:     hidden_global_offset_y
      - .offset:         144
        .size:           8
        .value_kind:     hidden_global_offset_z
      - .offset:         152
        .size:           2
        .value_kind:     hidden_grid_dims
    .group_segment_fixed_size: 8448
    .kernarg_segment_align: 8
    .kernarg_segment_size: 344
    .language:       OpenCL C
    .language_version:
      - 2
      - 0
    .max_flat_workgroup_size: 128
    .name:           _ZN7rocprim17ROCPRIM_400000_NS6detail17trampoline_kernelINS0_14default_configENS1_38merge_sort_block_merge_config_selectorIlNS0_10empty_typeEEEZZNS1_27merge_sort_block_merge_implIS3_PlPS5_mZN2at6native12_GLOBAL__N_124unique_dim_cuda_templateIhEESt5tupleIJNSA_6TensorESF_SF_EERKSF_lbbbEUlllE_EE10hipError_tT0_T1_T2_jT3_P12ihipStream_tbPNSt15iterator_traitsISL_E10value_typeEPNSR_ISM_E10value_typeEPSN_NS1_7vsmem_tEENKUlT_SL_SM_SN_E_clIS8_S8_S9_S9_EESK_S10_SL_SM_SN_EUlS10_E0_NS1_11comp_targetILNS1_3genE0ELNS1_11target_archE4294967295ELNS1_3gpuE0ELNS1_3repE0EEENS1_38merge_mergepath_config_static_selectorELNS0_4arch9wavefront6targetE1EEEvSM_
    .private_segment_fixed_size: 0
    .sgpr_count:     58
    .sgpr_spill_count: 0
    .symbol:         _ZN7rocprim17ROCPRIM_400000_NS6detail17trampoline_kernelINS0_14default_configENS1_38merge_sort_block_merge_config_selectorIlNS0_10empty_typeEEEZZNS1_27merge_sort_block_merge_implIS3_PlPS5_mZN2at6native12_GLOBAL__N_124unique_dim_cuda_templateIhEESt5tupleIJNSA_6TensorESF_SF_EERKSF_lbbbEUlllE_EE10hipError_tT0_T1_T2_jT3_P12ihipStream_tbPNSt15iterator_traitsISL_E10value_typeEPNSR_ISM_E10value_typeEPSN_NS1_7vsmem_tEENKUlT_SL_SM_SN_E_clIS8_S8_S9_S9_EESK_S10_SL_SM_SN_EUlS10_E0_NS1_11comp_targetILNS1_3genE0ELNS1_11target_archE4294967295ELNS1_3gpuE0ELNS1_3repE0EEENS1_38merge_mergepath_config_static_selectorELNS0_4arch9wavefront6targetE1EEEvSM_.kd
    .uniform_work_group_size: 1
    .uses_dynamic_stack: false
    .vgpr_count:     38
    .vgpr_spill_count: 0
    .wavefront_size: 64
  - .agpr_count:     0
    .args:
      - .offset:         0
        .size:           88
        .value_kind:     by_value
    .group_segment_fixed_size: 0
    .kernarg_segment_align: 8
    .kernarg_segment_size: 88
    .language:       OpenCL C
    .language_version:
      - 2
      - 0
    .max_flat_workgroup_size: 512
    .name:           _ZN7rocprim17ROCPRIM_400000_NS6detail17trampoline_kernelINS0_14default_configENS1_38merge_sort_block_merge_config_selectorIlNS0_10empty_typeEEEZZNS1_27merge_sort_block_merge_implIS3_PlPS5_mZN2at6native12_GLOBAL__N_124unique_dim_cuda_templateIhEESt5tupleIJNSA_6TensorESF_SF_EERKSF_lbbbEUlllE_EE10hipError_tT0_T1_T2_jT3_P12ihipStream_tbPNSt15iterator_traitsISL_E10value_typeEPNSR_ISM_E10value_typeEPSN_NS1_7vsmem_tEENKUlT_SL_SM_SN_E_clIS8_S8_S9_S9_EESK_S10_SL_SM_SN_EUlS10_E0_NS1_11comp_targetILNS1_3genE10ELNS1_11target_archE1201ELNS1_3gpuE5ELNS1_3repE0EEENS1_38merge_mergepath_config_static_selectorELNS0_4arch9wavefront6targetE1EEEvSM_
    .private_segment_fixed_size: 0
    .sgpr_count:     6
    .sgpr_spill_count: 0
    .symbol:         _ZN7rocprim17ROCPRIM_400000_NS6detail17trampoline_kernelINS0_14default_configENS1_38merge_sort_block_merge_config_selectorIlNS0_10empty_typeEEEZZNS1_27merge_sort_block_merge_implIS3_PlPS5_mZN2at6native12_GLOBAL__N_124unique_dim_cuda_templateIhEESt5tupleIJNSA_6TensorESF_SF_EERKSF_lbbbEUlllE_EE10hipError_tT0_T1_T2_jT3_P12ihipStream_tbPNSt15iterator_traitsISL_E10value_typeEPNSR_ISM_E10value_typeEPSN_NS1_7vsmem_tEENKUlT_SL_SM_SN_E_clIS8_S8_S9_S9_EESK_S10_SL_SM_SN_EUlS10_E0_NS1_11comp_targetILNS1_3genE10ELNS1_11target_archE1201ELNS1_3gpuE5ELNS1_3repE0EEENS1_38merge_mergepath_config_static_selectorELNS0_4arch9wavefront6targetE1EEEvSM_.kd
    .uniform_work_group_size: 1
    .uses_dynamic_stack: false
    .vgpr_count:     0
    .vgpr_spill_count: 0
    .wavefront_size: 64
  - .agpr_count:     0
    .args:
      - .offset:         0
        .size:           88
        .value_kind:     by_value
    .group_segment_fixed_size: 0
    .kernarg_segment_align: 8
    .kernarg_segment_size: 88
    .language:       OpenCL C
    .language_version:
      - 2
      - 0
    .max_flat_workgroup_size: 128
    .name:           _ZN7rocprim17ROCPRIM_400000_NS6detail17trampoline_kernelINS0_14default_configENS1_38merge_sort_block_merge_config_selectorIlNS0_10empty_typeEEEZZNS1_27merge_sort_block_merge_implIS3_PlPS5_mZN2at6native12_GLOBAL__N_124unique_dim_cuda_templateIhEESt5tupleIJNSA_6TensorESF_SF_EERKSF_lbbbEUlllE_EE10hipError_tT0_T1_T2_jT3_P12ihipStream_tbPNSt15iterator_traitsISL_E10value_typeEPNSR_ISM_E10value_typeEPSN_NS1_7vsmem_tEENKUlT_SL_SM_SN_E_clIS8_S8_S9_S9_EESK_S10_SL_SM_SN_EUlS10_E0_NS1_11comp_targetILNS1_3genE5ELNS1_11target_archE942ELNS1_3gpuE9ELNS1_3repE0EEENS1_38merge_mergepath_config_static_selectorELNS0_4arch9wavefront6targetE1EEEvSM_
    .private_segment_fixed_size: 0
    .sgpr_count:     6
    .sgpr_spill_count: 0
    .symbol:         _ZN7rocprim17ROCPRIM_400000_NS6detail17trampoline_kernelINS0_14default_configENS1_38merge_sort_block_merge_config_selectorIlNS0_10empty_typeEEEZZNS1_27merge_sort_block_merge_implIS3_PlPS5_mZN2at6native12_GLOBAL__N_124unique_dim_cuda_templateIhEESt5tupleIJNSA_6TensorESF_SF_EERKSF_lbbbEUlllE_EE10hipError_tT0_T1_T2_jT3_P12ihipStream_tbPNSt15iterator_traitsISL_E10value_typeEPNSR_ISM_E10value_typeEPSN_NS1_7vsmem_tEENKUlT_SL_SM_SN_E_clIS8_S8_S9_S9_EESK_S10_SL_SM_SN_EUlS10_E0_NS1_11comp_targetILNS1_3genE5ELNS1_11target_archE942ELNS1_3gpuE9ELNS1_3repE0EEENS1_38merge_mergepath_config_static_selectorELNS0_4arch9wavefront6targetE1EEEvSM_.kd
    .uniform_work_group_size: 1
    .uses_dynamic_stack: false
    .vgpr_count:     0
    .vgpr_spill_count: 0
    .wavefront_size: 64
  - .agpr_count:     0
    .args:
      - .offset:         0
        .size:           88
        .value_kind:     by_value
    .group_segment_fixed_size: 0
    .kernarg_segment_align: 8
    .kernarg_segment_size: 88
    .language:       OpenCL C
    .language_version:
      - 2
      - 0
    .max_flat_workgroup_size: 256
    .name:           _ZN7rocprim17ROCPRIM_400000_NS6detail17trampoline_kernelINS0_14default_configENS1_38merge_sort_block_merge_config_selectorIlNS0_10empty_typeEEEZZNS1_27merge_sort_block_merge_implIS3_PlPS5_mZN2at6native12_GLOBAL__N_124unique_dim_cuda_templateIhEESt5tupleIJNSA_6TensorESF_SF_EERKSF_lbbbEUlllE_EE10hipError_tT0_T1_T2_jT3_P12ihipStream_tbPNSt15iterator_traitsISL_E10value_typeEPNSR_ISM_E10value_typeEPSN_NS1_7vsmem_tEENKUlT_SL_SM_SN_E_clIS8_S8_S9_S9_EESK_S10_SL_SM_SN_EUlS10_E0_NS1_11comp_targetILNS1_3genE4ELNS1_11target_archE910ELNS1_3gpuE8ELNS1_3repE0EEENS1_38merge_mergepath_config_static_selectorELNS0_4arch9wavefront6targetE1EEEvSM_
    .private_segment_fixed_size: 0
    .sgpr_count:     6
    .sgpr_spill_count: 0
    .symbol:         _ZN7rocprim17ROCPRIM_400000_NS6detail17trampoline_kernelINS0_14default_configENS1_38merge_sort_block_merge_config_selectorIlNS0_10empty_typeEEEZZNS1_27merge_sort_block_merge_implIS3_PlPS5_mZN2at6native12_GLOBAL__N_124unique_dim_cuda_templateIhEESt5tupleIJNSA_6TensorESF_SF_EERKSF_lbbbEUlllE_EE10hipError_tT0_T1_T2_jT3_P12ihipStream_tbPNSt15iterator_traitsISL_E10value_typeEPNSR_ISM_E10value_typeEPSN_NS1_7vsmem_tEENKUlT_SL_SM_SN_E_clIS8_S8_S9_S9_EESK_S10_SL_SM_SN_EUlS10_E0_NS1_11comp_targetILNS1_3genE4ELNS1_11target_archE910ELNS1_3gpuE8ELNS1_3repE0EEENS1_38merge_mergepath_config_static_selectorELNS0_4arch9wavefront6targetE1EEEvSM_.kd
    .uniform_work_group_size: 1
    .uses_dynamic_stack: false
    .vgpr_count:     0
    .vgpr_spill_count: 0
    .wavefront_size: 64
  - .agpr_count:     0
    .args:
      - .offset:         0
        .size:           88
        .value_kind:     by_value
    .group_segment_fixed_size: 0
    .kernarg_segment_align: 8
    .kernarg_segment_size: 88
    .language:       OpenCL C
    .language_version:
      - 2
      - 0
    .max_flat_workgroup_size: 128
    .name:           _ZN7rocprim17ROCPRIM_400000_NS6detail17trampoline_kernelINS0_14default_configENS1_38merge_sort_block_merge_config_selectorIlNS0_10empty_typeEEEZZNS1_27merge_sort_block_merge_implIS3_PlPS5_mZN2at6native12_GLOBAL__N_124unique_dim_cuda_templateIhEESt5tupleIJNSA_6TensorESF_SF_EERKSF_lbbbEUlllE_EE10hipError_tT0_T1_T2_jT3_P12ihipStream_tbPNSt15iterator_traitsISL_E10value_typeEPNSR_ISM_E10value_typeEPSN_NS1_7vsmem_tEENKUlT_SL_SM_SN_E_clIS8_S8_S9_S9_EESK_S10_SL_SM_SN_EUlS10_E0_NS1_11comp_targetILNS1_3genE3ELNS1_11target_archE908ELNS1_3gpuE7ELNS1_3repE0EEENS1_38merge_mergepath_config_static_selectorELNS0_4arch9wavefront6targetE1EEEvSM_
    .private_segment_fixed_size: 0
    .sgpr_count:     6
    .sgpr_spill_count: 0
    .symbol:         _ZN7rocprim17ROCPRIM_400000_NS6detail17trampoline_kernelINS0_14default_configENS1_38merge_sort_block_merge_config_selectorIlNS0_10empty_typeEEEZZNS1_27merge_sort_block_merge_implIS3_PlPS5_mZN2at6native12_GLOBAL__N_124unique_dim_cuda_templateIhEESt5tupleIJNSA_6TensorESF_SF_EERKSF_lbbbEUlllE_EE10hipError_tT0_T1_T2_jT3_P12ihipStream_tbPNSt15iterator_traitsISL_E10value_typeEPNSR_ISM_E10value_typeEPSN_NS1_7vsmem_tEENKUlT_SL_SM_SN_E_clIS8_S8_S9_S9_EESK_S10_SL_SM_SN_EUlS10_E0_NS1_11comp_targetILNS1_3genE3ELNS1_11target_archE908ELNS1_3gpuE7ELNS1_3repE0EEENS1_38merge_mergepath_config_static_selectorELNS0_4arch9wavefront6targetE1EEEvSM_.kd
    .uniform_work_group_size: 1
    .uses_dynamic_stack: false
    .vgpr_count:     0
    .vgpr_spill_count: 0
    .wavefront_size: 64
  - .agpr_count:     0
    .args:
      - .offset:         0
        .size:           88
        .value_kind:     by_value
    .group_segment_fixed_size: 0
    .kernarg_segment_align: 8
    .kernarg_segment_size: 88
    .language:       OpenCL C
    .language_version:
      - 2
      - 0
    .max_flat_workgroup_size: 256
    .name:           _ZN7rocprim17ROCPRIM_400000_NS6detail17trampoline_kernelINS0_14default_configENS1_38merge_sort_block_merge_config_selectorIlNS0_10empty_typeEEEZZNS1_27merge_sort_block_merge_implIS3_PlPS5_mZN2at6native12_GLOBAL__N_124unique_dim_cuda_templateIhEESt5tupleIJNSA_6TensorESF_SF_EERKSF_lbbbEUlllE_EE10hipError_tT0_T1_T2_jT3_P12ihipStream_tbPNSt15iterator_traitsISL_E10value_typeEPNSR_ISM_E10value_typeEPSN_NS1_7vsmem_tEENKUlT_SL_SM_SN_E_clIS8_S8_S9_S9_EESK_S10_SL_SM_SN_EUlS10_E0_NS1_11comp_targetILNS1_3genE2ELNS1_11target_archE906ELNS1_3gpuE6ELNS1_3repE0EEENS1_38merge_mergepath_config_static_selectorELNS0_4arch9wavefront6targetE1EEEvSM_
    .private_segment_fixed_size: 0
    .sgpr_count:     6
    .sgpr_spill_count: 0
    .symbol:         _ZN7rocprim17ROCPRIM_400000_NS6detail17trampoline_kernelINS0_14default_configENS1_38merge_sort_block_merge_config_selectorIlNS0_10empty_typeEEEZZNS1_27merge_sort_block_merge_implIS3_PlPS5_mZN2at6native12_GLOBAL__N_124unique_dim_cuda_templateIhEESt5tupleIJNSA_6TensorESF_SF_EERKSF_lbbbEUlllE_EE10hipError_tT0_T1_T2_jT3_P12ihipStream_tbPNSt15iterator_traitsISL_E10value_typeEPNSR_ISM_E10value_typeEPSN_NS1_7vsmem_tEENKUlT_SL_SM_SN_E_clIS8_S8_S9_S9_EESK_S10_SL_SM_SN_EUlS10_E0_NS1_11comp_targetILNS1_3genE2ELNS1_11target_archE906ELNS1_3gpuE6ELNS1_3repE0EEENS1_38merge_mergepath_config_static_selectorELNS0_4arch9wavefront6targetE1EEEvSM_.kd
    .uniform_work_group_size: 1
    .uses_dynamic_stack: false
    .vgpr_count:     0
    .vgpr_spill_count: 0
    .wavefront_size: 64
  - .agpr_count:     0
    .args:
      - .offset:         0
        .size:           88
        .value_kind:     by_value
    .group_segment_fixed_size: 0
    .kernarg_segment_align: 8
    .kernarg_segment_size: 88
    .language:       OpenCL C
    .language_version:
      - 2
      - 0
    .max_flat_workgroup_size: 512
    .name:           _ZN7rocprim17ROCPRIM_400000_NS6detail17trampoline_kernelINS0_14default_configENS1_38merge_sort_block_merge_config_selectorIlNS0_10empty_typeEEEZZNS1_27merge_sort_block_merge_implIS3_PlPS5_mZN2at6native12_GLOBAL__N_124unique_dim_cuda_templateIhEESt5tupleIJNSA_6TensorESF_SF_EERKSF_lbbbEUlllE_EE10hipError_tT0_T1_T2_jT3_P12ihipStream_tbPNSt15iterator_traitsISL_E10value_typeEPNSR_ISM_E10value_typeEPSN_NS1_7vsmem_tEENKUlT_SL_SM_SN_E_clIS8_S8_S9_S9_EESK_S10_SL_SM_SN_EUlS10_E0_NS1_11comp_targetILNS1_3genE9ELNS1_11target_archE1100ELNS1_3gpuE3ELNS1_3repE0EEENS1_38merge_mergepath_config_static_selectorELNS0_4arch9wavefront6targetE1EEEvSM_
    .private_segment_fixed_size: 0
    .sgpr_count:     6
    .sgpr_spill_count: 0
    .symbol:         _ZN7rocprim17ROCPRIM_400000_NS6detail17trampoline_kernelINS0_14default_configENS1_38merge_sort_block_merge_config_selectorIlNS0_10empty_typeEEEZZNS1_27merge_sort_block_merge_implIS3_PlPS5_mZN2at6native12_GLOBAL__N_124unique_dim_cuda_templateIhEESt5tupleIJNSA_6TensorESF_SF_EERKSF_lbbbEUlllE_EE10hipError_tT0_T1_T2_jT3_P12ihipStream_tbPNSt15iterator_traitsISL_E10value_typeEPNSR_ISM_E10value_typeEPSN_NS1_7vsmem_tEENKUlT_SL_SM_SN_E_clIS8_S8_S9_S9_EESK_S10_SL_SM_SN_EUlS10_E0_NS1_11comp_targetILNS1_3genE9ELNS1_11target_archE1100ELNS1_3gpuE3ELNS1_3repE0EEENS1_38merge_mergepath_config_static_selectorELNS0_4arch9wavefront6targetE1EEEvSM_.kd
    .uniform_work_group_size: 1
    .uses_dynamic_stack: false
    .vgpr_count:     0
    .vgpr_spill_count: 0
    .wavefront_size: 64
  - .agpr_count:     0
    .args:
      - .offset:         0
        .size:           88
        .value_kind:     by_value
    .group_segment_fixed_size: 0
    .kernarg_segment_align: 8
    .kernarg_segment_size: 88
    .language:       OpenCL C
    .language_version:
      - 2
      - 0
    .max_flat_workgroup_size: 1024
    .name:           _ZN7rocprim17ROCPRIM_400000_NS6detail17trampoline_kernelINS0_14default_configENS1_38merge_sort_block_merge_config_selectorIlNS0_10empty_typeEEEZZNS1_27merge_sort_block_merge_implIS3_PlPS5_mZN2at6native12_GLOBAL__N_124unique_dim_cuda_templateIhEESt5tupleIJNSA_6TensorESF_SF_EERKSF_lbbbEUlllE_EE10hipError_tT0_T1_T2_jT3_P12ihipStream_tbPNSt15iterator_traitsISL_E10value_typeEPNSR_ISM_E10value_typeEPSN_NS1_7vsmem_tEENKUlT_SL_SM_SN_E_clIS8_S8_S9_S9_EESK_S10_SL_SM_SN_EUlS10_E0_NS1_11comp_targetILNS1_3genE8ELNS1_11target_archE1030ELNS1_3gpuE2ELNS1_3repE0EEENS1_38merge_mergepath_config_static_selectorELNS0_4arch9wavefront6targetE1EEEvSM_
    .private_segment_fixed_size: 0
    .sgpr_count:     6
    .sgpr_spill_count: 0
    .symbol:         _ZN7rocprim17ROCPRIM_400000_NS6detail17trampoline_kernelINS0_14default_configENS1_38merge_sort_block_merge_config_selectorIlNS0_10empty_typeEEEZZNS1_27merge_sort_block_merge_implIS3_PlPS5_mZN2at6native12_GLOBAL__N_124unique_dim_cuda_templateIhEESt5tupleIJNSA_6TensorESF_SF_EERKSF_lbbbEUlllE_EE10hipError_tT0_T1_T2_jT3_P12ihipStream_tbPNSt15iterator_traitsISL_E10value_typeEPNSR_ISM_E10value_typeEPSN_NS1_7vsmem_tEENKUlT_SL_SM_SN_E_clIS8_S8_S9_S9_EESK_S10_SL_SM_SN_EUlS10_E0_NS1_11comp_targetILNS1_3genE8ELNS1_11target_archE1030ELNS1_3gpuE2ELNS1_3repE0EEENS1_38merge_mergepath_config_static_selectorELNS0_4arch9wavefront6targetE1EEEvSM_.kd
    .uniform_work_group_size: 1
    .uses_dynamic_stack: false
    .vgpr_count:     0
    .vgpr_spill_count: 0
    .wavefront_size: 64
  - .agpr_count:     0
    .args:
      - .offset:         0
        .size:           64
        .value_kind:     by_value
    .group_segment_fixed_size: 0
    .kernarg_segment_align: 8
    .kernarg_segment_size: 64
    .language:       OpenCL C
    .language_version:
      - 2
      - 0
    .max_flat_workgroup_size: 256
    .name:           _ZN7rocprim17ROCPRIM_400000_NS6detail17trampoline_kernelINS0_14default_configENS1_38merge_sort_block_merge_config_selectorIlNS0_10empty_typeEEEZZNS1_27merge_sort_block_merge_implIS3_PlPS5_mZN2at6native12_GLOBAL__N_124unique_dim_cuda_templateIhEESt5tupleIJNSA_6TensorESF_SF_EERKSF_lbbbEUlllE_EE10hipError_tT0_T1_T2_jT3_P12ihipStream_tbPNSt15iterator_traitsISL_E10value_typeEPNSR_ISM_E10value_typeEPSN_NS1_7vsmem_tEENKUlT_SL_SM_SN_E_clIS8_S8_S9_S9_EESK_S10_SL_SM_SN_EUlS10_E1_NS1_11comp_targetILNS1_3genE0ELNS1_11target_archE4294967295ELNS1_3gpuE0ELNS1_3repE0EEENS1_36merge_oddeven_config_static_selectorELNS0_4arch9wavefront6targetE1EEEvSM_
    .private_segment_fixed_size: 0
    .sgpr_count:     50
    .sgpr_spill_count: 0
    .symbol:         _ZN7rocprim17ROCPRIM_400000_NS6detail17trampoline_kernelINS0_14default_configENS1_38merge_sort_block_merge_config_selectorIlNS0_10empty_typeEEEZZNS1_27merge_sort_block_merge_implIS3_PlPS5_mZN2at6native12_GLOBAL__N_124unique_dim_cuda_templateIhEESt5tupleIJNSA_6TensorESF_SF_EERKSF_lbbbEUlllE_EE10hipError_tT0_T1_T2_jT3_P12ihipStream_tbPNSt15iterator_traitsISL_E10value_typeEPNSR_ISM_E10value_typeEPSN_NS1_7vsmem_tEENKUlT_SL_SM_SN_E_clIS8_S8_S9_S9_EESK_S10_SL_SM_SN_EUlS10_E1_NS1_11comp_targetILNS1_3genE0ELNS1_11target_archE4294967295ELNS1_3gpuE0ELNS1_3repE0EEENS1_36merge_oddeven_config_static_selectorELNS0_4arch9wavefront6targetE1EEEvSM_.kd
    .uniform_work_group_size: 1
    .uses_dynamic_stack: false
    .vgpr_count:     19
    .vgpr_spill_count: 0
    .wavefront_size: 64
  - .agpr_count:     0
    .args:
      - .offset:         0
        .size:           64
        .value_kind:     by_value
    .group_segment_fixed_size: 0
    .kernarg_segment_align: 8
    .kernarg_segment_size: 64
    .language:       OpenCL C
    .language_version:
      - 2
      - 0
    .max_flat_workgroup_size: 256
    .name:           _ZN7rocprim17ROCPRIM_400000_NS6detail17trampoline_kernelINS0_14default_configENS1_38merge_sort_block_merge_config_selectorIlNS0_10empty_typeEEEZZNS1_27merge_sort_block_merge_implIS3_PlPS5_mZN2at6native12_GLOBAL__N_124unique_dim_cuda_templateIhEESt5tupleIJNSA_6TensorESF_SF_EERKSF_lbbbEUlllE_EE10hipError_tT0_T1_T2_jT3_P12ihipStream_tbPNSt15iterator_traitsISL_E10value_typeEPNSR_ISM_E10value_typeEPSN_NS1_7vsmem_tEENKUlT_SL_SM_SN_E_clIS8_S8_S9_S9_EESK_S10_SL_SM_SN_EUlS10_E1_NS1_11comp_targetILNS1_3genE10ELNS1_11target_archE1201ELNS1_3gpuE5ELNS1_3repE0EEENS1_36merge_oddeven_config_static_selectorELNS0_4arch9wavefront6targetE1EEEvSM_
    .private_segment_fixed_size: 0
    .sgpr_count:     6
    .sgpr_spill_count: 0
    .symbol:         _ZN7rocprim17ROCPRIM_400000_NS6detail17trampoline_kernelINS0_14default_configENS1_38merge_sort_block_merge_config_selectorIlNS0_10empty_typeEEEZZNS1_27merge_sort_block_merge_implIS3_PlPS5_mZN2at6native12_GLOBAL__N_124unique_dim_cuda_templateIhEESt5tupleIJNSA_6TensorESF_SF_EERKSF_lbbbEUlllE_EE10hipError_tT0_T1_T2_jT3_P12ihipStream_tbPNSt15iterator_traitsISL_E10value_typeEPNSR_ISM_E10value_typeEPSN_NS1_7vsmem_tEENKUlT_SL_SM_SN_E_clIS8_S8_S9_S9_EESK_S10_SL_SM_SN_EUlS10_E1_NS1_11comp_targetILNS1_3genE10ELNS1_11target_archE1201ELNS1_3gpuE5ELNS1_3repE0EEENS1_36merge_oddeven_config_static_selectorELNS0_4arch9wavefront6targetE1EEEvSM_.kd
    .uniform_work_group_size: 1
    .uses_dynamic_stack: false
    .vgpr_count:     0
    .vgpr_spill_count: 0
    .wavefront_size: 64
  - .agpr_count:     0
    .args:
      - .offset:         0
        .size:           64
        .value_kind:     by_value
    .group_segment_fixed_size: 0
    .kernarg_segment_align: 8
    .kernarg_segment_size: 64
    .language:       OpenCL C
    .language_version:
      - 2
      - 0
    .max_flat_workgroup_size: 256
    .name:           _ZN7rocprim17ROCPRIM_400000_NS6detail17trampoline_kernelINS0_14default_configENS1_38merge_sort_block_merge_config_selectorIlNS0_10empty_typeEEEZZNS1_27merge_sort_block_merge_implIS3_PlPS5_mZN2at6native12_GLOBAL__N_124unique_dim_cuda_templateIhEESt5tupleIJNSA_6TensorESF_SF_EERKSF_lbbbEUlllE_EE10hipError_tT0_T1_T2_jT3_P12ihipStream_tbPNSt15iterator_traitsISL_E10value_typeEPNSR_ISM_E10value_typeEPSN_NS1_7vsmem_tEENKUlT_SL_SM_SN_E_clIS8_S8_S9_S9_EESK_S10_SL_SM_SN_EUlS10_E1_NS1_11comp_targetILNS1_3genE5ELNS1_11target_archE942ELNS1_3gpuE9ELNS1_3repE0EEENS1_36merge_oddeven_config_static_selectorELNS0_4arch9wavefront6targetE1EEEvSM_
    .private_segment_fixed_size: 0
    .sgpr_count:     6
    .sgpr_spill_count: 0
    .symbol:         _ZN7rocprim17ROCPRIM_400000_NS6detail17trampoline_kernelINS0_14default_configENS1_38merge_sort_block_merge_config_selectorIlNS0_10empty_typeEEEZZNS1_27merge_sort_block_merge_implIS3_PlPS5_mZN2at6native12_GLOBAL__N_124unique_dim_cuda_templateIhEESt5tupleIJNSA_6TensorESF_SF_EERKSF_lbbbEUlllE_EE10hipError_tT0_T1_T2_jT3_P12ihipStream_tbPNSt15iterator_traitsISL_E10value_typeEPNSR_ISM_E10value_typeEPSN_NS1_7vsmem_tEENKUlT_SL_SM_SN_E_clIS8_S8_S9_S9_EESK_S10_SL_SM_SN_EUlS10_E1_NS1_11comp_targetILNS1_3genE5ELNS1_11target_archE942ELNS1_3gpuE9ELNS1_3repE0EEENS1_36merge_oddeven_config_static_selectorELNS0_4arch9wavefront6targetE1EEEvSM_.kd
    .uniform_work_group_size: 1
    .uses_dynamic_stack: false
    .vgpr_count:     0
    .vgpr_spill_count: 0
    .wavefront_size: 64
  - .agpr_count:     0
    .args:
      - .offset:         0
        .size:           64
        .value_kind:     by_value
    .group_segment_fixed_size: 0
    .kernarg_segment_align: 8
    .kernarg_segment_size: 64
    .language:       OpenCL C
    .language_version:
      - 2
      - 0
    .max_flat_workgroup_size: 256
    .name:           _ZN7rocprim17ROCPRIM_400000_NS6detail17trampoline_kernelINS0_14default_configENS1_38merge_sort_block_merge_config_selectorIlNS0_10empty_typeEEEZZNS1_27merge_sort_block_merge_implIS3_PlPS5_mZN2at6native12_GLOBAL__N_124unique_dim_cuda_templateIhEESt5tupleIJNSA_6TensorESF_SF_EERKSF_lbbbEUlllE_EE10hipError_tT0_T1_T2_jT3_P12ihipStream_tbPNSt15iterator_traitsISL_E10value_typeEPNSR_ISM_E10value_typeEPSN_NS1_7vsmem_tEENKUlT_SL_SM_SN_E_clIS8_S8_S9_S9_EESK_S10_SL_SM_SN_EUlS10_E1_NS1_11comp_targetILNS1_3genE4ELNS1_11target_archE910ELNS1_3gpuE8ELNS1_3repE0EEENS1_36merge_oddeven_config_static_selectorELNS0_4arch9wavefront6targetE1EEEvSM_
    .private_segment_fixed_size: 0
    .sgpr_count:     6
    .sgpr_spill_count: 0
    .symbol:         _ZN7rocprim17ROCPRIM_400000_NS6detail17trampoline_kernelINS0_14default_configENS1_38merge_sort_block_merge_config_selectorIlNS0_10empty_typeEEEZZNS1_27merge_sort_block_merge_implIS3_PlPS5_mZN2at6native12_GLOBAL__N_124unique_dim_cuda_templateIhEESt5tupleIJNSA_6TensorESF_SF_EERKSF_lbbbEUlllE_EE10hipError_tT0_T1_T2_jT3_P12ihipStream_tbPNSt15iterator_traitsISL_E10value_typeEPNSR_ISM_E10value_typeEPSN_NS1_7vsmem_tEENKUlT_SL_SM_SN_E_clIS8_S8_S9_S9_EESK_S10_SL_SM_SN_EUlS10_E1_NS1_11comp_targetILNS1_3genE4ELNS1_11target_archE910ELNS1_3gpuE8ELNS1_3repE0EEENS1_36merge_oddeven_config_static_selectorELNS0_4arch9wavefront6targetE1EEEvSM_.kd
    .uniform_work_group_size: 1
    .uses_dynamic_stack: false
    .vgpr_count:     0
    .vgpr_spill_count: 0
    .wavefront_size: 64
  - .agpr_count:     0
    .args:
      - .offset:         0
        .size:           64
        .value_kind:     by_value
    .group_segment_fixed_size: 0
    .kernarg_segment_align: 8
    .kernarg_segment_size: 64
    .language:       OpenCL C
    .language_version:
      - 2
      - 0
    .max_flat_workgroup_size: 256
    .name:           _ZN7rocprim17ROCPRIM_400000_NS6detail17trampoline_kernelINS0_14default_configENS1_38merge_sort_block_merge_config_selectorIlNS0_10empty_typeEEEZZNS1_27merge_sort_block_merge_implIS3_PlPS5_mZN2at6native12_GLOBAL__N_124unique_dim_cuda_templateIhEESt5tupleIJNSA_6TensorESF_SF_EERKSF_lbbbEUlllE_EE10hipError_tT0_T1_T2_jT3_P12ihipStream_tbPNSt15iterator_traitsISL_E10value_typeEPNSR_ISM_E10value_typeEPSN_NS1_7vsmem_tEENKUlT_SL_SM_SN_E_clIS8_S8_S9_S9_EESK_S10_SL_SM_SN_EUlS10_E1_NS1_11comp_targetILNS1_3genE3ELNS1_11target_archE908ELNS1_3gpuE7ELNS1_3repE0EEENS1_36merge_oddeven_config_static_selectorELNS0_4arch9wavefront6targetE1EEEvSM_
    .private_segment_fixed_size: 0
    .sgpr_count:     6
    .sgpr_spill_count: 0
    .symbol:         _ZN7rocprim17ROCPRIM_400000_NS6detail17trampoline_kernelINS0_14default_configENS1_38merge_sort_block_merge_config_selectorIlNS0_10empty_typeEEEZZNS1_27merge_sort_block_merge_implIS3_PlPS5_mZN2at6native12_GLOBAL__N_124unique_dim_cuda_templateIhEESt5tupleIJNSA_6TensorESF_SF_EERKSF_lbbbEUlllE_EE10hipError_tT0_T1_T2_jT3_P12ihipStream_tbPNSt15iterator_traitsISL_E10value_typeEPNSR_ISM_E10value_typeEPSN_NS1_7vsmem_tEENKUlT_SL_SM_SN_E_clIS8_S8_S9_S9_EESK_S10_SL_SM_SN_EUlS10_E1_NS1_11comp_targetILNS1_3genE3ELNS1_11target_archE908ELNS1_3gpuE7ELNS1_3repE0EEENS1_36merge_oddeven_config_static_selectorELNS0_4arch9wavefront6targetE1EEEvSM_.kd
    .uniform_work_group_size: 1
    .uses_dynamic_stack: false
    .vgpr_count:     0
    .vgpr_spill_count: 0
    .wavefront_size: 64
  - .agpr_count:     0
    .args:
      - .offset:         0
        .size:           64
        .value_kind:     by_value
    .group_segment_fixed_size: 0
    .kernarg_segment_align: 8
    .kernarg_segment_size: 64
    .language:       OpenCL C
    .language_version:
      - 2
      - 0
    .max_flat_workgroup_size: 256
    .name:           _ZN7rocprim17ROCPRIM_400000_NS6detail17trampoline_kernelINS0_14default_configENS1_38merge_sort_block_merge_config_selectorIlNS0_10empty_typeEEEZZNS1_27merge_sort_block_merge_implIS3_PlPS5_mZN2at6native12_GLOBAL__N_124unique_dim_cuda_templateIhEESt5tupleIJNSA_6TensorESF_SF_EERKSF_lbbbEUlllE_EE10hipError_tT0_T1_T2_jT3_P12ihipStream_tbPNSt15iterator_traitsISL_E10value_typeEPNSR_ISM_E10value_typeEPSN_NS1_7vsmem_tEENKUlT_SL_SM_SN_E_clIS8_S8_S9_S9_EESK_S10_SL_SM_SN_EUlS10_E1_NS1_11comp_targetILNS1_3genE2ELNS1_11target_archE906ELNS1_3gpuE6ELNS1_3repE0EEENS1_36merge_oddeven_config_static_selectorELNS0_4arch9wavefront6targetE1EEEvSM_
    .private_segment_fixed_size: 0
    .sgpr_count:     6
    .sgpr_spill_count: 0
    .symbol:         _ZN7rocprim17ROCPRIM_400000_NS6detail17trampoline_kernelINS0_14default_configENS1_38merge_sort_block_merge_config_selectorIlNS0_10empty_typeEEEZZNS1_27merge_sort_block_merge_implIS3_PlPS5_mZN2at6native12_GLOBAL__N_124unique_dim_cuda_templateIhEESt5tupleIJNSA_6TensorESF_SF_EERKSF_lbbbEUlllE_EE10hipError_tT0_T1_T2_jT3_P12ihipStream_tbPNSt15iterator_traitsISL_E10value_typeEPNSR_ISM_E10value_typeEPSN_NS1_7vsmem_tEENKUlT_SL_SM_SN_E_clIS8_S8_S9_S9_EESK_S10_SL_SM_SN_EUlS10_E1_NS1_11comp_targetILNS1_3genE2ELNS1_11target_archE906ELNS1_3gpuE6ELNS1_3repE0EEENS1_36merge_oddeven_config_static_selectorELNS0_4arch9wavefront6targetE1EEEvSM_.kd
    .uniform_work_group_size: 1
    .uses_dynamic_stack: false
    .vgpr_count:     0
    .vgpr_spill_count: 0
    .wavefront_size: 64
  - .agpr_count:     0
    .args:
      - .offset:         0
        .size:           64
        .value_kind:     by_value
    .group_segment_fixed_size: 0
    .kernarg_segment_align: 8
    .kernarg_segment_size: 64
    .language:       OpenCL C
    .language_version:
      - 2
      - 0
    .max_flat_workgroup_size: 256
    .name:           _ZN7rocprim17ROCPRIM_400000_NS6detail17trampoline_kernelINS0_14default_configENS1_38merge_sort_block_merge_config_selectorIlNS0_10empty_typeEEEZZNS1_27merge_sort_block_merge_implIS3_PlPS5_mZN2at6native12_GLOBAL__N_124unique_dim_cuda_templateIhEESt5tupleIJNSA_6TensorESF_SF_EERKSF_lbbbEUlllE_EE10hipError_tT0_T1_T2_jT3_P12ihipStream_tbPNSt15iterator_traitsISL_E10value_typeEPNSR_ISM_E10value_typeEPSN_NS1_7vsmem_tEENKUlT_SL_SM_SN_E_clIS8_S8_S9_S9_EESK_S10_SL_SM_SN_EUlS10_E1_NS1_11comp_targetILNS1_3genE9ELNS1_11target_archE1100ELNS1_3gpuE3ELNS1_3repE0EEENS1_36merge_oddeven_config_static_selectorELNS0_4arch9wavefront6targetE1EEEvSM_
    .private_segment_fixed_size: 0
    .sgpr_count:     6
    .sgpr_spill_count: 0
    .symbol:         _ZN7rocprim17ROCPRIM_400000_NS6detail17trampoline_kernelINS0_14default_configENS1_38merge_sort_block_merge_config_selectorIlNS0_10empty_typeEEEZZNS1_27merge_sort_block_merge_implIS3_PlPS5_mZN2at6native12_GLOBAL__N_124unique_dim_cuda_templateIhEESt5tupleIJNSA_6TensorESF_SF_EERKSF_lbbbEUlllE_EE10hipError_tT0_T1_T2_jT3_P12ihipStream_tbPNSt15iterator_traitsISL_E10value_typeEPNSR_ISM_E10value_typeEPSN_NS1_7vsmem_tEENKUlT_SL_SM_SN_E_clIS8_S8_S9_S9_EESK_S10_SL_SM_SN_EUlS10_E1_NS1_11comp_targetILNS1_3genE9ELNS1_11target_archE1100ELNS1_3gpuE3ELNS1_3repE0EEENS1_36merge_oddeven_config_static_selectorELNS0_4arch9wavefront6targetE1EEEvSM_.kd
    .uniform_work_group_size: 1
    .uses_dynamic_stack: false
    .vgpr_count:     0
    .vgpr_spill_count: 0
    .wavefront_size: 64
  - .agpr_count:     0
    .args:
      - .offset:         0
        .size:           64
        .value_kind:     by_value
    .group_segment_fixed_size: 0
    .kernarg_segment_align: 8
    .kernarg_segment_size: 64
    .language:       OpenCL C
    .language_version:
      - 2
      - 0
    .max_flat_workgroup_size: 256
    .name:           _ZN7rocprim17ROCPRIM_400000_NS6detail17trampoline_kernelINS0_14default_configENS1_38merge_sort_block_merge_config_selectorIlNS0_10empty_typeEEEZZNS1_27merge_sort_block_merge_implIS3_PlPS5_mZN2at6native12_GLOBAL__N_124unique_dim_cuda_templateIhEESt5tupleIJNSA_6TensorESF_SF_EERKSF_lbbbEUlllE_EE10hipError_tT0_T1_T2_jT3_P12ihipStream_tbPNSt15iterator_traitsISL_E10value_typeEPNSR_ISM_E10value_typeEPSN_NS1_7vsmem_tEENKUlT_SL_SM_SN_E_clIS8_S8_S9_S9_EESK_S10_SL_SM_SN_EUlS10_E1_NS1_11comp_targetILNS1_3genE8ELNS1_11target_archE1030ELNS1_3gpuE2ELNS1_3repE0EEENS1_36merge_oddeven_config_static_selectorELNS0_4arch9wavefront6targetE1EEEvSM_
    .private_segment_fixed_size: 0
    .sgpr_count:     6
    .sgpr_spill_count: 0
    .symbol:         _ZN7rocprim17ROCPRIM_400000_NS6detail17trampoline_kernelINS0_14default_configENS1_38merge_sort_block_merge_config_selectorIlNS0_10empty_typeEEEZZNS1_27merge_sort_block_merge_implIS3_PlPS5_mZN2at6native12_GLOBAL__N_124unique_dim_cuda_templateIhEESt5tupleIJNSA_6TensorESF_SF_EERKSF_lbbbEUlllE_EE10hipError_tT0_T1_T2_jT3_P12ihipStream_tbPNSt15iterator_traitsISL_E10value_typeEPNSR_ISM_E10value_typeEPSN_NS1_7vsmem_tEENKUlT_SL_SM_SN_E_clIS8_S8_S9_S9_EESK_S10_SL_SM_SN_EUlS10_E1_NS1_11comp_targetILNS1_3genE8ELNS1_11target_archE1030ELNS1_3gpuE2ELNS1_3repE0EEENS1_36merge_oddeven_config_static_selectorELNS0_4arch9wavefront6targetE1EEEvSM_.kd
    .uniform_work_group_size: 1
    .uses_dynamic_stack: false
    .vgpr_count:     0
    .vgpr_spill_count: 0
    .wavefront_size: 64
  - .agpr_count:     0
    .args:
      - .offset:         0
        .size:           40
        .value_kind:     by_value
      - .offset:         40
        .size:           4
        .value_kind:     hidden_block_count_x
      - .offset:         44
        .size:           4
        .value_kind:     hidden_block_count_y
      - .offset:         48
        .size:           4
        .value_kind:     hidden_block_count_z
      - .offset:         52
        .size:           2
        .value_kind:     hidden_group_size_x
      - .offset:         54
        .size:           2
        .value_kind:     hidden_group_size_y
      - .offset:         56
        .size:           2
        .value_kind:     hidden_group_size_z
      - .offset:         58
        .size:           2
        .value_kind:     hidden_remainder_x
      - .offset:         60
        .size:           2
        .value_kind:     hidden_remainder_y
      - .offset:         62
        .size:           2
        .value_kind:     hidden_remainder_z
      - .offset:         80
        .size:           8
        .value_kind:     hidden_global_offset_x
      - .offset:         88
        .size:           8
        .value_kind:     hidden_global_offset_y
      - .offset:         96
        .size:           8
        .value_kind:     hidden_global_offset_z
      - .offset:         104
        .size:           2
        .value_kind:     hidden_grid_dims
    .group_segment_fixed_size: 0
    .kernarg_segment_align: 8
    .kernarg_segment_size: 296
    .language:       OpenCL C
    .language_version:
      - 2
      - 0
    .max_flat_workgroup_size: 128
    .name:           _ZN7rocprim17ROCPRIM_400000_NS6detail17trampoline_kernelINS0_14default_configENS1_25transform_config_selectorIlLb1EEEZNS1_14transform_implILb1ES3_S5_PlS7_NS0_8identityIlEEEE10hipError_tT2_T3_mT4_P12ihipStream_tbEUlT_E_NS1_11comp_targetILNS1_3genE0ELNS1_11target_archE4294967295ELNS1_3gpuE0ELNS1_3repE0EEENS1_30default_config_static_selectorELNS0_4arch9wavefront6targetE1EEEvT1_
    .private_segment_fixed_size: 0
    .sgpr_count:     18
    .sgpr_spill_count: 0
    .symbol:         _ZN7rocprim17ROCPRIM_400000_NS6detail17trampoline_kernelINS0_14default_configENS1_25transform_config_selectorIlLb1EEEZNS1_14transform_implILb1ES3_S5_PlS7_NS0_8identityIlEEEE10hipError_tT2_T3_mT4_P12ihipStream_tbEUlT_E_NS1_11comp_targetILNS1_3genE0ELNS1_11target_archE4294967295ELNS1_3gpuE0ELNS1_3repE0EEENS1_30default_config_static_selectorELNS0_4arch9wavefront6targetE1EEEvT1_.kd
    .uniform_work_group_size: 1
    .uses_dynamic_stack: false
    .vgpr_count:     3
    .vgpr_spill_count: 0
    .wavefront_size: 64
  - .agpr_count:     0
    .args:
      - .offset:         0
        .size:           40
        .value_kind:     by_value
    .group_segment_fixed_size: 0
    .kernarg_segment_align: 8
    .kernarg_segment_size: 40
    .language:       OpenCL C
    .language_version:
      - 2
      - 0
    .max_flat_workgroup_size: 1024
    .name:           _ZN7rocprim17ROCPRIM_400000_NS6detail17trampoline_kernelINS0_14default_configENS1_25transform_config_selectorIlLb1EEEZNS1_14transform_implILb1ES3_S5_PlS7_NS0_8identityIlEEEE10hipError_tT2_T3_mT4_P12ihipStream_tbEUlT_E_NS1_11comp_targetILNS1_3genE10ELNS1_11target_archE1201ELNS1_3gpuE5ELNS1_3repE0EEENS1_30default_config_static_selectorELNS0_4arch9wavefront6targetE1EEEvT1_
    .private_segment_fixed_size: 0
    .sgpr_count:     6
    .sgpr_spill_count: 0
    .symbol:         _ZN7rocprim17ROCPRIM_400000_NS6detail17trampoline_kernelINS0_14default_configENS1_25transform_config_selectorIlLb1EEEZNS1_14transform_implILb1ES3_S5_PlS7_NS0_8identityIlEEEE10hipError_tT2_T3_mT4_P12ihipStream_tbEUlT_E_NS1_11comp_targetILNS1_3genE10ELNS1_11target_archE1201ELNS1_3gpuE5ELNS1_3repE0EEENS1_30default_config_static_selectorELNS0_4arch9wavefront6targetE1EEEvT1_.kd
    .uniform_work_group_size: 1
    .uses_dynamic_stack: false
    .vgpr_count:     0
    .vgpr_spill_count: 0
    .wavefront_size: 64
  - .agpr_count:     0
    .args:
      - .offset:         0
        .size:           40
        .value_kind:     by_value
    .group_segment_fixed_size: 0
    .kernarg_segment_align: 8
    .kernarg_segment_size: 40
    .language:       OpenCL C
    .language_version:
      - 2
      - 0
    .max_flat_workgroup_size: 512
    .name:           _ZN7rocprim17ROCPRIM_400000_NS6detail17trampoline_kernelINS0_14default_configENS1_25transform_config_selectorIlLb1EEEZNS1_14transform_implILb1ES3_S5_PlS7_NS0_8identityIlEEEE10hipError_tT2_T3_mT4_P12ihipStream_tbEUlT_E_NS1_11comp_targetILNS1_3genE5ELNS1_11target_archE942ELNS1_3gpuE9ELNS1_3repE0EEENS1_30default_config_static_selectorELNS0_4arch9wavefront6targetE1EEEvT1_
    .private_segment_fixed_size: 0
    .sgpr_count:     6
    .sgpr_spill_count: 0
    .symbol:         _ZN7rocprim17ROCPRIM_400000_NS6detail17trampoline_kernelINS0_14default_configENS1_25transform_config_selectorIlLb1EEEZNS1_14transform_implILb1ES3_S5_PlS7_NS0_8identityIlEEEE10hipError_tT2_T3_mT4_P12ihipStream_tbEUlT_E_NS1_11comp_targetILNS1_3genE5ELNS1_11target_archE942ELNS1_3gpuE9ELNS1_3repE0EEENS1_30default_config_static_selectorELNS0_4arch9wavefront6targetE1EEEvT1_.kd
    .uniform_work_group_size: 1
    .uses_dynamic_stack: false
    .vgpr_count:     0
    .vgpr_spill_count: 0
    .wavefront_size: 64
  - .agpr_count:     0
    .args:
      - .offset:         0
        .size:           40
        .value_kind:     by_value
    .group_segment_fixed_size: 0
    .kernarg_segment_align: 8
    .kernarg_segment_size: 40
    .language:       OpenCL C
    .language_version:
      - 2
      - 0
    .max_flat_workgroup_size: 1024
    .name:           _ZN7rocprim17ROCPRIM_400000_NS6detail17trampoline_kernelINS0_14default_configENS1_25transform_config_selectorIlLb1EEEZNS1_14transform_implILb1ES3_S5_PlS7_NS0_8identityIlEEEE10hipError_tT2_T3_mT4_P12ihipStream_tbEUlT_E_NS1_11comp_targetILNS1_3genE4ELNS1_11target_archE910ELNS1_3gpuE8ELNS1_3repE0EEENS1_30default_config_static_selectorELNS0_4arch9wavefront6targetE1EEEvT1_
    .private_segment_fixed_size: 0
    .sgpr_count:     6
    .sgpr_spill_count: 0
    .symbol:         _ZN7rocprim17ROCPRIM_400000_NS6detail17trampoline_kernelINS0_14default_configENS1_25transform_config_selectorIlLb1EEEZNS1_14transform_implILb1ES3_S5_PlS7_NS0_8identityIlEEEE10hipError_tT2_T3_mT4_P12ihipStream_tbEUlT_E_NS1_11comp_targetILNS1_3genE4ELNS1_11target_archE910ELNS1_3gpuE8ELNS1_3repE0EEENS1_30default_config_static_selectorELNS0_4arch9wavefront6targetE1EEEvT1_.kd
    .uniform_work_group_size: 1
    .uses_dynamic_stack: false
    .vgpr_count:     0
    .vgpr_spill_count: 0
    .wavefront_size: 64
  - .agpr_count:     0
    .args:
      - .offset:         0
        .size:           40
        .value_kind:     by_value
    .group_segment_fixed_size: 0
    .kernarg_segment_align: 8
    .kernarg_segment_size: 40
    .language:       OpenCL C
    .language_version:
      - 2
      - 0
    .max_flat_workgroup_size: 128
    .name:           _ZN7rocprim17ROCPRIM_400000_NS6detail17trampoline_kernelINS0_14default_configENS1_25transform_config_selectorIlLb1EEEZNS1_14transform_implILb1ES3_S5_PlS7_NS0_8identityIlEEEE10hipError_tT2_T3_mT4_P12ihipStream_tbEUlT_E_NS1_11comp_targetILNS1_3genE3ELNS1_11target_archE908ELNS1_3gpuE7ELNS1_3repE0EEENS1_30default_config_static_selectorELNS0_4arch9wavefront6targetE1EEEvT1_
    .private_segment_fixed_size: 0
    .sgpr_count:     6
    .sgpr_spill_count: 0
    .symbol:         _ZN7rocprim17ROCPRIM_400000_NS6detail17trampoline_kernelINS0_14default_configENS1_25transform_config_selectorIlLb1EEEZNS1_14transform_implILb1ES3_S5_PlS7_NS0_8identityIlEEEE10hipError_tT2_T3_mT4_P12ihipStream_tbEUlT_E_NS1_11comp_targetILNS1_3genE3ELNS1_11target_archE908ELNS1_3gpuE7ELNS1_3repE0EEENS1_30default_config_static_selectorELNS0_4arch9wavefront6targetE1EEEvT1_.kd
    .uniform_work_group_size: 1
    .uses_dynamic_stack: false
    .vgpr_count:     0
    .vgpr_spill_count: 0
    .wavefront_size: 64
  - .agpr_count:     0
    .args:
      - .offset:         0
        .size:           40
        .value_kind:     by_value
    .group_segment_fixed_size: 0
    .kernarg_segment_align: 8
    .kernarg_segment_size: 40
    .language:       OpenCL C
    .language_version:
      - 2
      - 0
    .max_flat_workgroup_size: 512
    .name:           _ZN7rocprim17ROCPRIM_400000_NS6detail17trampoline_kernelINS0_14default_configENS1_25transform_config_selectorIlLb1EEEZNS1_14transform_implILb1ES3_S5_PlS7_NS0_8identityIlEEEE10hipError_tT2_T3_mT4_P12ihipStream_tbEUlT_E_NS1_11comp_targetILNS1_3genE2ELNS1_11target_archE906ELNS1_3gpuE6ELNS1_3repE0EEENS1_30default_config_static_selectorELNS0_4arch9wavefront6targetE1EEEvT1_
    .private_segment_fixed_size: 0
    .sgpr_count:     6
    .sgpr_spill_count: 0
    .symbol:         _ZN7rocprim17ROCPRIM_400000_NS6detail17trampoline_kernelINS0_14default_configENS1_25transform_config_selectorIlLb1EEEZNS1_14transform_implILb1ES3_S5_PlS7_NS0_8identityIlEEEE10hipError_tT2_T3_mT4_P12ihipStream_tbEUlT_E_NS1_11comp_targetILNS1_3genE2ELNS1_11target_archE906ELNS1_3gpuE6ELNS1_3repE0EEENS1_30default_config_static_selectorELNS0_4arch9wavefront6targetE1EEEvT1_.kd
    .uniform_work_group_size: 1
    .uses_dynamic_stack: false
    .vgpr_count:     0
    .vgpr_spill_count: 0
    .wavefront_size: 64
  - .agpr_count:     0
    .args:
      - .offset:         0
        .size:           40
        .value_kind:     by_value
    .group_segment_fixed_size: 0
    .kernarg_segment_align: 8
    .kernarg_segment_size: 40
    .language:       OpenCL C
    .language_version:
      - 2
      - 0
    .max_flat_workgroup_size: 1024
    .name:           _ZN7rocprim17ROCPRIM_400000_NS6detail17trampoline_kernelINS0_14default_configENS1_25transform_config_selectorIlLb1EEEZNS1_14transform_implILb1ES3_S5_PlS7_NS0_8identityIlEEEE10hipError_tT2_T3_mT4_P12ihipStream_tbEUlT_E_NS1_11comp_targetILNS1_3genE9ELNS1_11target_archE1100ELNS1_3gpuE3ELNS1_3repE0EEENS1_30default_config_static_selectorELNS0_4arch9wavefront6targetE1EEEvT1_
    .private_segment_fixed_size: 0
    .sgpr_count:     6
    .sgpr_spill_count: 0
    .symbol:         _ZN7rocprim17ROCPRIM_400000_NS6detail17trampoline_kernelINS0_14default_configENS1_25transform_config_selectorIlLb1EEEZNS1_14transform_implILb1ES3_S5_PlS7_NS0_8identityIlEEEE10hipError_tT2_T3_mT4_P12ihipStream_tbEUlT_E_NS1_11comp_targetILNS1_3genE9ELNS1_11target_archE1100ELNS1_3gpuE3ELNS1_3repE0EEENS1_30default_config_static_selectorELNS0_4arch9wavefront6targetE1EEEvT1_.kd
    .uniform_work_group_size: 1
    .uses_dynamic_stack: false
    .vgpr_count:     0
    .vgpr_spill_count: 0
    .wavefront_size: 64
  - .agpr_count:     0
    .args:
      - .offset:         0
        .size:           40
        .value_kind:     by_value
    .group_segment_fixed_size: 0
    .kernarg_segment_align: 8
    .kernarg_segment_size: 40
    .language:       OpenCL C
    .language_version:
      - 2
      - 0
    .max_flat_workgroup_size: 1024
    .name:           _ZN7rocprim17ROCPRIM_400000_NS6detail17trampoline_kernelINS0_14default_configENS1_25transform_config_selectorIlLb1EEEZNS1_14transform_implILb1ES3_S5_PlS7_NS0_8identityIlEEEE10hipError_tT2_T3_mT4_P12ihipStream_tbEUlT_E_NS1_11comp_targetILNS1_3genE8ELNS1_11target_archE1030ELNS1_3gpuE2ELNS1_3repE0EEENS1_30default_config_static_selectorELNS0_4arch9wavefront6targetE1EEEvT1_
    .private_segment_fixed_size: 0
    .sgpr_count:     6
    .sgpr_spill_count: 0
    .symbol:         _ZN7rocprim17ROCPRIM_400000_NS6detail17trampoline_kernelINS0_14default_configENS1_25transform_config_selectorIlLb1EEEZNS1_14transform_implILb1ES3_S5_PlS7_NS0_8identityIlEEEE10hipError_tT2_T3_mT4_P12ihipStream_tbEUlT_E_NS1_11comp_targetILNS1_3genE8ELNS1_11target_archE1030ELNS1_3gpuE2ELNS1_3repE0EEENS1_30default_config_static_selectorELNS0_4arch9wavefront6targetE1EEEvT1_.kd
    .uniform_work_group_size: 1
    .uses_dynamic_stack: false
    .vgpr_count:     0
    .vgpr_spill_count: 0
    .wavefront_size: 64
  - .agpr_count:     0
    .args:
      - .offset:         0
        .size:           40
        .value_kind:     by_value
    .group_segment_fixed_size: 0
    .kernarg_segment_align: 8
    .kernarg_segment_size: 40
    .language:       OpenCL C
    .language_version:
      - 2
      - 0
    .max_flat_workgroup_size: 128
    .name:           _ZN7rocprim17ROCPRIM_400000_NS6detail17trampoline_kernelINS0_14default_configENS1_25transform_config_selectorINS0_10empty_typeELb1EEEZNS1_14transform_implILb1ES3_S6_PS5_S8_NS0_8identityIS5_EEEE10hipError_tT2_T3_mT4_P12ihipStream_tbEUlT_E_NS1_11comp_targetILNS1_3genE0ELNS1_11target_archE4294967295ELNS1_3gpuE0ELNS1_3repE0EEENS1_30default_config_static_selectorELNS0_4arch9wavefront6targetE1EEEvT1_
    .private_segment_fixed_size: 0
    .sgpr_count:     6
    .sgpr_spill_count: 0
    .symbol:         _ZN7rocprim17ROCPRIM_400000_NS6detail17trampoline_kernelINS0_14default_configENS1_25transform_config_selectorINS0_10empty_typeELb1EEEZNS1_14transform_implILb1ES3_S6_PS5_S8_NS0_8identityIS5_EEEE10hipError_tT2_T3_mT4_P12ihipStream_tbEUlT_E_NS1_11comp_targetILNS1_3genE0ELNS1_11target_archE4294967295ELNS1_3gpuE0ELNS1_3repE0EEENS1_30default_config_static_selectorELNS0_4arch9wavefront6targetE1EEEvT1_.kd
    .uniform_work_group_size: 1
    .uses_dynamic_stack: false
    .vgpr_count:     0
    .vgpr_spill_count: 0
    .wavefront_size: 64
  - .agpr_count:     0
    .args:
      - .offset:         0
        .size:           40
        .value_kind:     by_value
    .group_segment_fixed_size: 0
    .kernarg_segment_align: 8
    .kernarg_segment_size: 40
    .language:       OpenCL C
    .language_version:
      - 2
      - 0
    .max_flat_workgroup_size: 1024
    .name:           _ZN7rocprim17ROCPRIM_400000_NS6detail17trampoline_kernelINS0_14default_configENS1_25transform_config_selectorINS0_10empty_typeELb1EEEZNS1_14transform_implILb1ES3_S6_PS5_S8_NS0_8identityIS5_EEEE10hipError_tT2_T3_mT4_P12ihipStream_tbEUlT_E_NS1_11comp_targetILNS1_3genE10ELNS1_11target_archE1201ELNS1_3gpuE5ELNS1_3repE0EEENS1_30default_config_static_selectorELNS0_4arch9wavefront6targetE1EEEvT1_
    .private_segment_fixed_size: 0
    .sgpr_count:     6
    .sgpr_spill_count: 0
    .symbol:         _ZN7rocprim17ROCPRIM_400000_NS6detail17trampoline_kernelINS0_14default_configENS1_25transform_config_selectorINS0_10empty_typeELb1EEEZNS1_14transform_implILb1ES3_S6_PS5_S8_NS0_8identityIS5_EEEE10hipError_tT2_T3_mT4_P12ihipStream_tbEUlT_E_NS1_11comp_targetILNS1_3genE10ELNS1_11target_archE1201ELNS1_3gpuE5ELNS1_3repE0EEENS1_30default_config_static_selectorELNS0_4arch9wavefront6targetE1EEEvT1_.kd
    .uniform_work_group_size: 1
    .uses_dynamic_stack: false
    .vgpr_count:     0
    .vgpr_spill_count: 0
    .wavefront_size: 64
  - .agpr_count:     0
    .args:
      - .offset:         0
        .size:           40
        .value_kind:     by_value
    .group_segment_fixed_size: 0
    .kernarg_segment_align: 8
    .kernarg_segment_size: 40
    .language:       OpenCL C
    .language_version:
      - 2
      - 0
    .max_flat_workgroup_size: 256
    .name:           _ZN7rocprim17ROCPRIM_400000_NS6detail17trampoline_kernelINS0_14default_configENS1_25transform_config_selectorINS0_10empty_typeELb1EEEZNS1_14transform_implILb1ES3_S6_PS5_S8_NS0_8identityIS5_EEEE10hipError_tT2_T3_mT4_P12ihipStream_tbEUlT_E_NS1_11comp_targetILNS1_3genE5ELNS1_11target_archE942ELNS1_3gpuE9ELNS1_3repE0EEENS1_30default_config_static_selectorELNS0_4arch9wavefront6targetE1EEEvT1_
    .private_segment_fixed_size: 0
    .sgpr_count:     6
    .sgpr_spill_count: 0
    .symbol:         _ZN7rocprim17ROCPRIM_400000_NS6detail17trampoline_kernelINS0_14default_configENS1_25transform_config_selectorINS0_10empty_typeELb1EEEZNS1_14transform_implILb1ES3_S6_PS5_S8_NS0_8identityIS5_EEEE10hipError_tT2_T3_mT4_P12ihipStream_tbEUlT_E_NS1_11comp_targetILNS1_3genE5ELNS1_11target_archE942ELNS1_3gpuE9ELNS1_3repE0EEENS1_30default_config_static_selectorELNS0_4arch9wavefront6targetE1EEEvT1_.kd
    .uniform_work_group_size: 1
    .uses_dynamic_stack: false
    .vgpr_count:     0
    .vgpr_spill_count: 0
    .wavefront_size: 64
  - .agpr_count:     0
    .args:
      - .offset:         0
        .size:           40
        .value_kind:     by_value
    .group_segment_fixed_size: 0
    .kernarg_segment_align: 8
    .kernarg_segment_size: 40
    .language:       OpenCL C
    .language_version:
      - 2
      - 0
    .max_flat_workgroup_size: 1024
    .name:           _ZN7rocprim17ROCPRIM_400000_NS6detail17trampoline_kernelINS0_14default_configENS1_25transform_config_selectorINS0_10empty_typeELb1EEEZNS1_14transform_implILb1ES3_S6_PS5_S8_NS0_8identityIS5_EEEE10hipError_tT2_T3_mT4_P12ihipStream_tbEUlT_E_NS1_11comp_targetILNS1_3genE4ELNS1_11target_archE910ELNS1_3gpuE8ELNS1_3repE0EEENS1_30default_config_static_selectorELNS0_4arch9wavefront6targetE1EEEvT1_
    .private_segment_fixed_size: 0
    .sgpr_count:     6
    .sgpr_spill_count: 0
    .symbol:         _ZN7rocprim17ROCPRIM_400000_NS6detail17trampoline_kernelINS0_14default_configENS1_25transform_config_selectorINS0_10empty_typeELb1EEEZNS1_14transform_implILb1ES3_S6_PS5_S8_NS0_8identityIS5_EEEE10hipError_tT2_T3_mT4_P12ihipStream_tbEUlT_E_NS1_11comp_targetILNS1_3genE4ELNS1_11target_archE910ELNS1_3gpuE8ELNS1_3repE0EEENS1_30default_config_static_selectorELNS0_4arch9wavefront6targetE1EEEvT1_.kd
    .uniform_work_group_size: 1
    .uses_dynamic_stack: false
    .vgpr_count:     0
    .vgpr_spill_count: 0
    .wavefront_size: 64
  - .agpr_count:     0
    .args:
      - .offset:         0
        .size:           40
        .value_kind:     by_value
    .group_segment_fixed_size: 0
    .kernarg_segment_align: 8
    .kernarg_segment_size: 40
    .language:       OpenCL C
    .language_version:
      - 2
      - 0
    .max_flat_workgroup_size: 128
    .name:           _ZN7rocprim17ROCPRIM_400000_NS6detail17trampoline_kernelINS0_14default_configENS1_25transform_config_selectorINS0_10empty_typeELb1EEEZNS1_14transform_implILb1ES3_S6_PS5_S8_NS0_8identityIS5_EEEE10hipError_tT2_T3_mT4_P12ihipStream_tbEUlT_E_NS1_11comp_targetILNS1_3genE3ELNS1_11target_archE908ELNS1_3gpuE7ELNS1_3repE0EEENS1_30default_config_static_selectorELNS0_4arch9wavefront6targetE1EEEvT1_
    .private_segment_fixed_size: 0
    .sgpr_count:     6
    .sgpr_spill_count: 0
    .symbol:         _ZN7rocprim17ROCPRIM_400000_NS6detail17trampoline_kernelINS0_14default_configENS1_25transform_config_selectorINS0_10empty_typeELb1EEEZNS1_14transform_implILb1ES3_S6_PS5_S8_NS0_8identityIS5_EEEE10hipError_tT2_T3_mT4_P12ihipStream_tbEUlT_E_NS1_11comp_targetILNS1_3genE3ELNS1_11target_archE908ELNS1_3gpuE7ELNS1_3repE0EEENS1_30default_config_static_selectorELNS0_4arch9wavefront6targetE1EEEvT1_.kd
    .uniform_work_group_size: 1
    .uses_dynamic_stack: false
    .vgpr_count:     0
    .vgpr_spill_count: 0
    .wavefront_size: 64
  - .agpr_count:     0
    .args:
      - .offset:         0
        .size:           40
        .value_kind:     by_value
    .group_segment_fixed_size: 0
    .kernarg_segment_align: 8
    .kernarg_segment_size: 40
    .language:       OpenCL C
    .language_version:
      - 2
      - 0
    .max_flat_workgroup_size: 512
    .name:           _ZN7rocprim17ROCPRIM_400000_NS6detail17trampoline_kernelINS0_14default_configENS1_25transform_config_selectorINS0_10empty_typeELb1EEEZNS1_14transform_implILb1ES3_S6_PS5_S8_NS0_8identityIS5_EEEE10hipError_tT2_T3_mT4_P12ihipStream_tbEUlT_E_NS1_11comp_targetILNS1_3genE2ELNS1_11target_archE906ELNS1_3gpuE6ELNS1_3repE0EEENS1_30default_config_static_selectorELNS0_4arch9wavefront6targetE1EEEvT1_
    .private_segment_fixed_size: 0
    .sgpr_count:     6
    .sgpr_spill_count: 0
    .symbol:         _ZN7rocprim17ROCPRIM_400000_NS6detail17trampoline_kernelINS0_14default_configENS1_25transform_config_selectorINS0_10empty_typeELb1EEEZNS1_14transform_implILb1ES3_S6_PS5_S8_NS0_8identityIS5_EEEE10hipError_tT2_T3_mT4_P12ihipStream_tbEUlT_E_NS1_11comp_targetILNS1_3genE2ELNS1_11target_archE906ELNS1_3gpuE6ELNS1_3repE0EEENS1_30default_config_static_selectorELNS0_4arch9wavefront6targetE1EEEvT1_.kd
    .uniform_work_group_size: 1
    .uses_dynamic_stack: false
    .vgpr_count:     0
    .vgpr_spill_count: 0
    .wavefront_size: 64
  - .agpr_count:     0
    .args:
      - .offset:         0
        .size:           40
        .value_kind:     by_value
    .group_segment_fixed_size: 0
    .kernarg_segment_align: 8
    .kernarg_segment_size: 40
    .language:       OpenCL C
    .language_version:
      - 2
      - 0
    .max_flat_workgroup_size: 1024
    .name:           _ZN7rocprim17ROCPRIM_400000_NS6detail17trampoline_kernelINS0_14default_configENS1_25transform_config_selectorINS0_10empty_typeELb1EEEZNS1_14transform_implILb1ES3_S6_PS5_S8_NS0_8identityIS5_EEEE10hipError_tT2_T3_mT4_P12ihipStream_tbEUlT_E_NS1_11comp_targetILNS1_3genE9ELNS1_11target_archE1100ELNS1_3gpuE3ELNS1_3repE0EEENS1_30default_config_static_selectorELNS0_4arch9wavefront6targetE1EEEvT1_
    .private_segment_fixed_size: 0
    .sgpr_count:     6
    .sgpr_spill_count: 0
    .symbol:         _ZN7rocprim17ROCPRIM_400000_NS6detail17trampoline_kernelINS0_14default_configENS1_25transform_config_selectorINS0_10empty_typeELb1EEEZNS1_14transform_implILb1ES3_S6_PS5_S8_NS0_8identityIS5_EEEE10hipError_tT2_T3_mT4_P12ihipStream_tbEUlT_E_NS1_11comp_targetILNS1_3genE9ELNS1_11target_archE1100ELNS1_3gpuE3ELNS1_3repE0EEENS1_30default_config_static_selectorELNS0_4arch9wavefront6targetE1EEEvT1_.kd
    .uniform_work_group_size: 1
    .uses_dynamic_stack: false
    .vgpr_count:     0
    .vgpr_spill_count: 0
    .wavefront_size: 64
  - .agpr_count:     0
    .args:
      - .offset:         0
        .size:           40
        .value_kind:     by_value
    .group_segment_fixed_size: 0
    .kernarg_segment_align: 8
    .kernarg_segment_size: 40
    .language:       OpenCL C
    .language_version:
      - 2
      - 0
    .max_flat_workgroup_size: 1024
    .name:           _ZN7rocprim17ROCPRIM_400000_NS6detail17trampoline_kernelINS0_14default_configENS1_25transform_config_selectorINS0_10empty_typeELb1EEEZNS1_14transform_implILb1ES3_S6_PS5_S8_NS0_8identityIS5_EEEE10hipError_tT2_T3_mT4_P12ihipStream_tbEUlT_E_NS1_11comp_targetILNS1_3genE8ELNS1_11target_archE1030ELNS1_3gpuE2ELNS1_3repE0EEENS1_30default_config_static_selectorELNS0_4arch9wavefront6targetE1EEEvT1_
    .private_segment_fixed_size: 0
    .sgpr_count:     6
    .sgpr_spill_count: 0
    .symbol:         _ZN7rocprim17ROCPRIM_400000_NS6detail17trampoline_kernelINS0_14default_configENS1_25transform_config_selectorINS0_10empty_typeELb1EEEZNS1_14transform_implILb1ES3_S6_PS5_S8_NS0_8identityIS5_EEEE10hipError_tT2_T3_mT4_P12ihipStream_tbEUlT_E_NS1_11comp_targetILNS1_3genE8ELNS1_11target_archE1030ELNS1_3gpuE2ELNS1_3repE0EEENS1_30default_config_static_selectorELNS0_4arch9wavefront6targetE1EEEvT1_.kd
    .uniform_work_group_size: 1
    .uses_dynamic_stack: false
    .vgpr_count:     0
    .vgpr_spill_count: 0
    .wavefront_size: 64
  - .agpr_count:     0
    .args:
      - .offset:         0
        .size:           64
        .value_kind:     by_value
    .group_segment_fixed_size: 2048
    .kernarg_segment_align: 8
    .kernarg_segment_size: 64
    .language:       OpenCL C
    .language_version:
      - 2
      - 0
    .max_flat_workgroup_size: 128
    .name:           _ZN7rocprim17ROCPRIM_400000_NS6detail17trampoline_kernelINS0_14default_configENS1_35adjacent_difference_config_selectorILb0ElEEZNS1_24adjacent_difference_implIS3_Lb0ELb0EPlS7_ZN2at6native12_GLOBAL__N_124unique_dim_cuda_templateIhEESt5tupleIJNS8_6TensorESD_SD_EERKSD_lbbbEUlllE1_EE10hipError_tPvRmT2_T3_mT4_P12ihipStream_tbEUlT_E_NS1_11comp_targetILNS1_3genE0ELNS1_11target_archE4294967295ELNS1_3gpuE0ELNS1_3repE0EEENS1_30default_config_static_selectorELNS0_4arch9wavefront6targetE1EEEvT1_
    .private_segment_fixed_size: 0
    .sgpr_count:     38
    .sgpr_spill_count: 0
    .symbol:         _ZN7rocprim17ROCPRIM_400000_NS6detail17trampoline_kernelINS0_14default_configENS1_35adjacent_difference_config_selectorILb0ElEEZNS1_24adjacent_difference_implIS3_Lb0ELb0EPlS7_ZN2at6native12_GLOBAL__N_124unique_dim_cuda_templateIhEESt5tupleIJNS8_6TensorESD_SD_EERKSD_lbbbEUlllE1_EE10hipError_tPvRmT2_T3_mT4_P12ihipStream_tbEUlT_E_NS1_11comp_targetILNS1_3genE0ELNS1_11target_archE4294967295ELNS1_3gpuE0ELNS1_3repE0EEENS1_30default_config_static_selectorELNS0_4arch9wavefront6targetE1EEEvT1_.kd
    .uniform_work_group_size: 1
    .uses_dynamic_stack: false
    .vgpr_count:     12
    .vgpr_spill_count: 0
    .wavefront_size: 64
  - .agpr_count:     0
    .args:
      - .offset:         0
        .size:           64
        .value_kind:     by_value
    .group_segment_fixed_size: 0
    .kernarg_segment_align: 8
    .kernarg_segment_size: 64
    .language:       OpenCL C
    .language_version:
      - 2
      - 0
    .max_flat_workgroup_size: 128
    .name:           _ZN7rocprim17ROCPRIM_400000_NS6detail17trampoline_kernelINS0_14default_configENS1_35adjacent_difference_config_selectorILb0ElEEZNS1_24adjacent_difference_implIS3_Lb0ELb0EPlS7_ZN2at6native12_GLOBAL__N_124unique_dim_cuda_templateIhEESt5tupleIJNS8_6TensorESD_SD_EERKSD_lbbbEUlllE1_EE10hipError_tPvRmT2_T3_mT4_P12ihipStream_tbEUlT_E_NS1_11comp_targetILNS1_3genE10ELNS1_11target_archE1201ELNS1_3gpuE5ELNS1_3repE0EEENS1_30default_config_static_selectorELNS0_4arch9wavefront6targetE1EEEvT1_
    .private_segment_fixed_size: 0
    .sgpr_count:     6
    .sgpr_spill_count: 0
    .symbol:         _ZN7rocprim17ROCPRIM_400000_NS6detail17trampoline_kernelINS0_14default_configENS1_35adjacent_difference_config_selectorILb0ElEEZNS1_24adjacent_difference_implIS3_Lb0ELb0EPlS7_ZN2at6native12_GLOBAL__N_124unique_dim_cuda_templateIhEESt5tupleIJNS8_6TensorESD_SD_EERKSD_lbbbEUlllE1_EE10hipError_tPvRmT2_T3_mT4_P12ihipStream_tbEUlT_E_NS1_11comp_targetILNS1_3genE10ELNS1_11target_archE1201ELNS1_3gpuE5ELNS1_3repE0EEENS1_30default_config_static_selectorELNS0_4arch9wavefront6targetE1EEEvT1_.kd
    .uniform_work_group_size: 1
    .uses_dynamic_stack: false
    .vgpr_count:     0
    .vgpr_spill_count: 0
    .wavefront_size: 64
  - .agpr_count:     0
    .args:
      - .offset:         0
        .size:           64
        .value_kind:     by_value
    .group_segment_fixed_size: 0
    .kernarg_segment_align: 8
    .kernarg_segment_size: 64
    .language:       OpenCL C
    .language_version:
      - 2
      - 0
    .max_flat_workgroup_size: 64
    .name:           _ZN7rocprim17ROCPRIM_400000_NS6detail17trampoline_kernelINS0_14default_configENS1_35adjacent_difference_config_selectorILb0ElEEZNS1_24adjacent_difference_implIS3_Lb0ELb0EPlS7_ZN2at6native12_GLOBAL__N_124unique_dim_cuda_templateIhEESt5tupleIJNS8_6TensorESD_SD_EERKSD_lbbbEUlllE1_EE10hipError_tPvRmT2_T3_mT4_P12ihipStream_tbEUlT_E_NS1_11comp_targetILNS1_3genE5ELNS1_11target_archE942ELNS1_3gpuE9ELNS1_3repE0EEENS1_30default_config_static_selectorELNS0_4arch9wavefront6targetE1EEEvT1_
    .private_segment_fixed_size: 0
    .sgpr_count:     6
    .sgpr_spill_count: 0
    .symbol:         _ZN7rocprim17ROCPRIM_400000_NS6detail17trampoline_kernelINS0_14default_configENS1_35adjacent_difference_config_selectorILb0ElEEZNS1_24adjacent_difference_implIS3_Lb0ELb0EPlS7_ZN2at6native12_GLOBAL__N_124unique_dim_cuda_templateIhEESt5tupleIJNS8_6TensorESD_SD_EERKSD_lbbbEUlllE1_EE10hipError_tPvRmT2_T3_mT4_P12ihipStream_tbEUlT_E_NS1_11comp_targetILNS1_3genE5ELNS1_11target_archE942ELNS1_3gpuE9ELNS1_3repE0EEENS1_30default_config_static_selectorELNS0_4arch9wavefront6targetE1EEEvT1_.kd
    .uniform_work_group_size: 1
    .uses_dynamic_stack: false
    .vgpr_count:     0
    .vgpr_spill_count: 0
    .wavefront_size: 64
  - .agpr_count:     0
    .args:
      - .offset:         0
        .size:           64
        .value_kind:     by_value
    .group_segment_fixed_size: 0
    .kernarg_segment_align: 8
    .kernarg_segment_size: 64
    .language:       OpenCL C
    .language_version:
      - 2
      - 0
    .max_flat_workgroup_size: 256
    .name:           _ZN7rocprim17ROCPRIM_400000_NS6detail17trampoline_kernelINS0_14default_configENS1_35adjacent_difference_config_selectorILb0ElEEZNS1_24adjacent_difference_implIS3_Lb0ELb0EPlS7_ZN2at6native12_GLOBAL__N_124unique_dim_cuda_templateIhEESt5tupleIJNS8_6TensorESD_SD_EERKSD_lbbbEUlllE1_EE10hipError_tPvRmT2_T3_mT4_P12ihipStream_tbEUlT_E_NS1_11comp_targetILNS1_3genE4ELNS1_11target_archE910ELNS1_3gpuE8ELNS1_3repE0EEENS1_30default_config_static_selectorELNS0_4arch9wavefront6targetE1EEEvT1_
    .private_segment_fixed_size: 0
    .sgpr_count:     6
    .sgpr_spill_count: 0
    .symbol:         _ZN7rocprim17ROCPRIM_400000_NS6detail17trampoline_kernelINS0_14default_configENS1_35adjacent_difference_config_selectorILb0ElEEZNS1_24adjacent_difference_implIS3_Lb0ELb0EPlS7_ZN2at6native12_GLOBAL__N_124unique_dim_cuda_templateIhEESt5tupleIJNS8_6TensorESD_SD_EERKSD_lbbbEUlllE1_EE10hipError_tPvRmT2_T3_mT4_P12ihipStream_tbEUlT_E_NS1_11comp_targetILNS1_3genE4ELNS1_11target_archE910ELNS1_3gpuE8ELNS1_3repE0EEENS1_30default_config_static_selectorELNS0_4arch9wavefront6targetE1EEEvT1_.kd
    .uniform_work_group_size: 1
    .uses_dynamic_stack: false
    .vgpr_count:     0
    .vgpr_spill_count: 0
    .wavefront_size: 64
  - .agpr_count:     0
    .args:
      - .offset:         0
        .size:           64
        .value_kind:     by_value
    .group_segment_fixed_size: 0
    .kernarg_segment_align: 8
    .kernarg_segment_size: 64
    .language:       OpenCL C
    .language_version:
      - 2
      - 0
    .max_flat_workgroup_size: 128
    .name:           _ZN7rocprim17ROCPRIM_400000_NS6detail17trampoline_kernelINS0_14default_configENS1_35adjacent_difference_config_selectorILb0ElEEZNS1_24adjacent_difference_implIS3_Lb0ELb0EPlS7_ZN2at6native12_GLOBAL__N_124unique_dim_cuda_templateIhEESt5tupleIJNS8_6TensorESD_SD_EERKSD_lbbbEUlllE1_EE10hipError_tPvRmT2_T3_mT4_P12ihipStream_tbEUlT_E_NS1_11comp_targetILNS1_3genE3ELNS1_11target_archE908ELNS1_3gpuE7ELNS1_3repE0EEENS1_30default_config_static_selectorELNS0_4arch9wavefront6targetE1EEEvT1_
    .private_segment_fixed_size: 0
    .sgpr_count:     6
    .sgpr_spill_count: 0
    .symbol:         _ZN7rocprim17ROCPRIM_400000_NS6detail17trampoline_kernelINS0_14default_configENS1_35adjacent_difference_config_selectorILb0ElEEZNS1_24adjacent_difference_implIS3_Lb0ELb0EPlS7_ZN2at6native12_GLOBAL__N_124unique_dim_cuda_templateIhEESt5tupleIJNS8_6TensorESD_SD_EERKSD_lbbbEUlllE1_EE10hipError_tPvRmT2_T3_mT4_P12ihipStream_tbEUlT_E_NS1_11comp_targetILNS1_3genE3ELNS1_11target_archE908ELNS1_3gpuE7ELNS1_3repE0EEENS1_30default_config_static_selectorELNS0_4arch9wavefront6targetE1EEEvT1_.kd
    .uniform_work_group_size: 1
    .uses_dynamic_stack: false
    .vgpr_count:     0
    .vgpr_spill_count: 0
    .wavefront_size: 64
  - .agpr_count:     0
    .args:
      - .offset:         0
        .size:           64
        .value_kind:     by_value
    .group_segment_fixed_size: 0
    .kernarg_segment_align: 8
    .kernarg_segment_size: 64
    .language:       OpenCL C
    .language_version:
      - 2
      - 0
    .max_flat_workgroup_size: 128
    .name:           _ZN7rocprim17ROCPRIM_400000_NS6detail17trampoline_kernelINS0_14default_configENS1_35adjacent_difference_config_selectorILb0ElEEZNS1_24adjacent_difference_implIS3_Lb0ELb0EPlS7_ZN2at6native12_GLOBAL__N_124unique_dim_cuda_templateIhEESt5tupleIJNS8_6TensorESD_SD_EERKSD_lbbbEUlllE1_EE10hipError_tPvRmT2_T3_mT4_P12ihipStream_tbEUlT_E_NS1_11comp_targetILNS1_3genE2ELNS1_11target_archE906ELNS1_3gpuE6ELNS1_3repE0EEENS1_30default_config_static_selectorELNS0_4arch9wavefront6targetE1EEEvT1_
    .private_segment_fixed_size: 0
    .sgpr_count:     6
    .sgpr_spill_count: 0
    .symbol:         _ZN7rocprim17ROCPRIM_400000_NS6detail17trampoline_kernelINS0_14default_configENS1_35adjacent_difference_config_selectorILb0ElEEZNS1_24adjacent_difference_implIS3_Lb0ELb0EPlS7_ZN2at6native12_GLOBAL__N_124unique_dim_cuda_templateIhEESt5tupleIJNS8_6TensorESD_SD_EERKSD_lbbbEUlllE1_EE10hipError_tPvRmT2_T3_mT4_P12ihipStream_tbEUlT_E_NS1_11comp_targetILNS1_3genE2ELNS1_11target_archE906ELNS1_3gpuE6ELNS1_3repE0EEENS1_30default_config_static_selectorELNS0_4arch9wavefront6targetE1EEEvT1_.kd
    .uniform_work_group_size: 1
    .uses_dynamic_stack: false
    .vgpr_count:     0
    .vgpr_spill_count: 0
    .wavefront_size: 64
  - .agpr_count:     0
    .args:
      - .offset:         0
        .size:           64
        .value_kind:     by_value
    .group_segment_fixed_size: 0
    .kernarg_segment_align: 8
    .kernarg_segment_size: 64
    .language:       OpenCL C
    .language_version:
      - 2
      - 0
    .max_flat_workgroup_size: 512
    .name:           _ZN7rocprim17ROCPRIM_400000_NS6detail17trampoline_kernelINS0_14default_configENS1_35adjacent_difference_config_selectorILb0ElEEZNS1_24adjacent_difference_implIS3_Lb0ELb0EPlS7_ZN2at6native12_GLOBAL__N_124unique_dim_cuda_templateIhEESt5tupleIJNS8_6TensorESD_SD_EERKSD_lbbbEUlllE1_EE10hipError_tPvRmT2_T3_mT4_P12ihipStream_tbEUlT_E_NS1_11comp_targetILNS1_3genE9ELNS1_11target_archE1100ELNS1_3gpuE3ELNS1_3repE0EEENS1_30default_config_static_selectorELNS0_4arch9wavefront6targetE1EEEvT1_
    .private_segment_fixed_size: 0
    .sgpr_count:     6
    .sgpr_spill_count: 0
    .symbol:         _ZN7rocprim17ROCPRIM_400000_NS6detail17trampoline_kernelINS0_14default_configENS1_35adjacent_difference_config_selectorILb0ElEEZNS1_24adjacent_difference_implIS3_Lb0ELb0EPlS7_ZN2at6native12_GLOBAL__N_124unique_dim_cuda_templateIhEESt5tupleIJNS8_6TensorESD_SD_EERKSD_lbbbEUlllE1_EE10hipError_tPvRmT2_T3_mT4_P12ihipStream_tbEUlT_E_NS1_11comp_targetILNS1_3genE9ELNS1_11target_archE1100ELNS1_3gpuE3ELNS1_3repE0EEENS1_30default_config_static_selectorELNS0_4arch9wavefront6targetE1EEEvT1_.kd
    .uniform_work_group_size: 1
    .uses_dynamic_stack: false
    .vgpr_count:     0
    .vgpr_spill_count: 0
    .wavefront_size: 64
  - .agpr_count:     0
    .args:
      - .offset:         0
        .size:           64
        .value_kind:     by_value
    .group_segment_fixed_size: 0
    .kernarg_segment_align: 8
    .kernarg_segment_size: 64
    .language:       OpenCL C
    .language_version:
      - 2
      - 0
    .max_flat_workgroup_size: 1024
    .name:           _ZN7rocprim17ROCPRIM_400000_NS6detail17trampoline_kernelINS0_14default_configENS1_35adjacent_difference_config_selectorILb0ElEEZNS1_24adjacent_difference_implIS3_Lb0ELb0EPlS7_ZN2at6native12_GLOBAL__N_124unique_dim_cuda_templateIhEESt5tupleIJNS8_6TensorESD_SD_EERKSD_lbbbEUlllE1_EE10hipError_tPvRmT2_T3_mT4_P12ihipStream_tbEUlT_E_NS1_11comp_targetILNS1_3genE8ELNS1_11target_archE1030ELNS1_3gpuE2ELNS1_3repE0EEENS1_30default_config_static_selectorELNS0_4arch9wavefront6targetE1EEEvT1_
    .private_segment_fixed_size: 0
    .sgpr_count:     6
    .sgpr_spill_count: 0
    .symbol:         _ZN7rocprim17ROCPRIM_400000_NS6detail17trampoline_kernelINS0_14default_configENS1_35adjacent_difference_config_selectorILb0ElEEZNS1_24adjacent_difference_implIS3_Lb0ELb0EPlS7_ZN2at6native12_GLOBAL__N_124unique_dim_cuda_templateIhEESt5tupleIJNS8_6TensorESD_SD_EERKSD_lbbbEUlllE1_EE10hipError_tPvRmT2_T3_mT4_P12ihipStream_tbEUlT_E_NS1_11comp_targetILNS1_3genE8ELNS1_11target_archE1030ELNS1_3gpuE2ELNS1_3repE0EEENS1_30default_config_static_selectorELNS0_4arch9wavefront6targetE1EEEvT1_.kd
    .uniform_work_group_size: 1
    .uses_dynamic_stack: false
    .vgpr_count:     0
    .vgpr_spill_count: 0
    .wavefront_size: 64
  - .agpr_count:     0
    .args:
      - .offset:         0
        .size:           56
        .value_kind:     by_value
      - .offset:         56
        .size:           4
        .value_kind:     hidden_block_count_x
      - .offset:         60
        .size:           4
        .value_kind:     hidden_block_count_y
      - .offset:         64
        .size:           4
        .value_kind:     hidden_block_count_z
      - .offset:         68
        .size:           2
        .value_kind:     hidden_group_size_x
      - .offset:         70
        .size:           2
        .value_kind:     hidden_group_size_y
      - .offset:         72
        .size:           2
        .value_kind:     hidden_group_size_z
      - .offset:         74
        .size:           2
        .value_kind:     hidden_remainder_x
      - .offset:         76
        .size:           2
        .value_kind:     hidden_remainder_y
      - .offset:         78
        .size:           2
        .value_kind:     hidden_remainder_z
      - .offset:         96
        .size:           8
        .value_kind:     hidden_global_offset_x
      - .offset:         104
        .size:           8
        .value_kind:     hidden_global_offset_y
      - .offset:         112
        .size:           8
        .value_kind:     hidden_global_offset_z
      - .offset:         120
        .size:           2
        .value_kind:     hidden_grid_dims
    .group_segment_fixed_size: 0
    .kernarg_segment_align: 8
    .kernarg_segment_size: 312
    .language:       OpenCL C
    .language_version:
      - 2
      - 0
    .max_flat_workgroup_size: 128
    .name:           _ZN7rocprim17ROCPRIM_400000_NS6detail17trampoline_kernelINS0_14default_configENS1_25transform_config_selectorIlLb0EEEZNS1_14transform_implILb0ES3_S5_NS0_18transform_iteratorINS0_17counting_iteratorImlEEZNS1_24adjacent_difference_implIS3_Lb1ELb0EPlSB_ZN2at6native12_GLOBAL__N_124unique_dim_cuda_templateIhEESt5tupleIJNSC_6TensorESH_SH_EERKSH_lbbbEUlllE1_EE10hipError_tPvRmT2_T3_mT4_P12ihipStream_tbEUlmE_lEESB_NS0_8identityIvEEEESM_SP_SQ_mSR_ST_bEUlT_E_NS1_11comp_targetILNS1_3genE0ELNS1_11target_archE4294967295ELNS1_3gpuE0ELNS1_3repE0EEENS1_30default_config_static_selectorELNS0_4arch9wavefront6targetE1EEEvT1_
    .private_segment_fixed_size: 0
    .sgpr_count:     18
    .sgpr_spill_count: 0
    .symbol:         _ZN7rocprim17ROCPRIM_400000_NS6detail17trampoline_kernelINS0_14default_configENS1_25transform_config_selectorIlLb0EEEZNS1_14transform_implILb0ES3_S5_NS0_18transform_iteratorINS0_17counting_iteratorImlEEZNS1_24adjacent_difference_implIS3_Lb1ELb0EPlSB_ZN2at6native12_GLOBAL__N_124unique_dim_cuda_templateIhEESt5tupleIJNSC_6TensorESH_SH_EERKSH_lbbbEUlllE1_EE10hipError_tPvRmT2_T3_mT4_P12ihipStream_tbEUlmE_lEESB_NS0_8identityIvEEEESM_SP_SQ_mSR_ST_bEUlT_E_NS1_11comp_targetILNS1_3genE0ELNS1_11target_archE4294967295ELNS1_3gpuE0ELNS1_3repE0EEENS1_30default_config_static_selectorELNS0_4arch9wavefront6targetE1EEEvT1_.kd
    .uniform_work_group_size: 1
    .uses_dynamic_stack: false
    .vgpr_count:     8
    .vgpr_spill_count: 0
    .wavefront_size: 64
  - .agpr_count:     0
    .args:
      - .offset:         0
        .size:           56
        .value_kind:     by_value
    .group_segment_fixed_size: 0
    .kernarg_segment_align: 8
    .kernarg_segment_size: 56
    .language:       OpenCL C
    .language_version:
      - 2
      - 0
    .max_flat_workgroup_size: 512
    .name:           _ZN7rocprim17ROCPRIM_400000_NS6detail17trampoline_kernelINS0_14default_configENS1_25transform_config_selectorIlLb0EEEZNS1_14transform_implILb0ES3_S5_NS0_18transform_iteratorINS0_17counting_iteratorImlEEZNS1_24adjacent_difference_implIS3_Lb1ELb0EPlSB_ZN2at6native12_GLOBAL__N_124unique_dim_cuda_templateIhEESt5tupleIJNSC_6TensorESH_SH_EERKSH_lbbbEUlllE1_EE10hipError_tPvRmT2_T3_mT4_P12ihipStream_tbEUlmE_lEESB_NS0_8identityIvEEEESM_SP_SQ_mSR_ST_bEUlT_E_NS1_11comp_targetILNS1_3genE5ELNS1_11target_archE942ELNS1_3gpuE9ELNS1_3repE0EEENS1_30default_config_static_selectorELNS0_4arch9wavefront6targetE1EEEvT1_
    .private_segment_fixed_size: 0
    .sgpr_count:     6
    .sgpr_spill_count: 0
    .symbol:         _ZN7rocprim17ROCPRIM_400000_NS6detail17trampoline_kernelINS0_14default_configENS1_25transform_config_selectorIlLb0EEEZNS1_14transform_implILb0ES3_S5_NS0_18transform_iteratorINS0_17counting_iteratorImlEEZNS1_24adjacent_difference_implIS3_Lb1ELb0EPlSB_ZN2at6native12_GLOBAL__N_124unique_dim_cuda_templateIhEESt5tupleIJNSC_6TensorESH_SH_EERKSH_lbbbEUlllE1_EE10hipError_tPvRmT2_T3_mT4_P12ihipStream_tbEUlmE_lEESB_NS0_8identityIvEEEESM_SP_SQ_mSR_ST_bEUlT_E_NS1_11comp_targetILNS1_3genE5ELNS1_11target_archE942ELNS1_3gpuE9ELNS1_3repE0EEENS1_30default_config_static_selectorELNS0_4arch9wavefront6targetE1EEEvT1_.kd
    .uniform_work_group_size: 1
    .uses_dynamic_stack: false
    .vgpr_count:     0
    .vgpr_spill_count: 0
    .wavefront_size: 64
  - .agpr_count:     0
    .args:
      - .offset:         0
        .size:           56
        .value_kind:     by_value
    .group_segment_fixed_size: 0
    .kernarg_segment_align: 8
    .kernarg_segment_size: 56
    .language:       OpenCL C
    .language_version:
      - 2
      - 0
    .max_flat_workgroup_size: 256
    .name:           _ZN7rocprim17ROCPRIM_400000_NS6detail17trampoline_kernelINS0_14default_configENS1_25transform_config_selectorIlLb0EEEZNS1_14transform_implILb0ES3_S5_NS0_18transform_iteratorINS0_17counting_iteratorImlEEZNS1_24adjacent_difference_implIS3_Lb1ELb0EPlSB_ZN2at6native12_GLOBAL__N_124unique_dim_cuda_templateIhEESt5tupleIJNSC_6TensorESH_SH_EERKSH_lbbbEUlllE1_EE10hipError_tPvRmT2_T3_mT4_P12ihipStream_tbEUlmE_lEESB_NS0_8identityIvEEEESM_SP_SQ_mSR_ST_bEUlT_E_NS1_11comp_targetILNS1_3genE4ELNS1_11target_archE910ELNS1_3gpuE8ELNS1_3repE0EEENS1_30default_config_static_selectorELNS0_4arch9wavefront6targetE1EEEvT1_
    .private_segment_fixed_size: 0
    .sgpr_count:     6
    .sgpr_spill_count: 0
    .symbol:         _ZN7rocprim17ROCPRIM_400000_NS6detail17trampoline_kernelINS0_14default_configENS1_25transform_config_selectorIlLb0EEEZNS1_14transform_implILb0ES3_S5_NS0_18transform_iteratorINS0_17counting_iteratorImlEEZNS1_24adjacent_difference_implIS3_Lb1ELb0EPlSB_ZN2at6native12_GLOBAL__N_124unique_dim_cuda_templateIhEESt5tupleIJNSC_6TensorESH_SH_EERKSH_lbbbEUlllE1_EE10hipError_tPvRmT2_T3_mT4_P12ihipStream_tbEUlmE_lEESB_NS0_8identityIvEEEESM_SP_SQ_mSR_ST_bEUlT_E_NS1_11comp_targetILNS1_3genE4ELNS1_11target_archE910ELNS1_3gpuE8ELNS1_3repE0EEENS1_30default_config_static_selectorELNS0_4arch9wavefront6targetE1EEEvT1_.kd
    .uniform_work_group_size: 1
    .uses_dynamic_stack: false
    .vgpr_count:     0
    .vgpr_spill_count: 0
    .wavefront_size: 64
  - .agpr_count:     0
    .args:
      - .offset:         0
        .size:           56
        .value_kind:     by_value
    .group_segment_fixed_size: 0
    .kernarg_segment_align: 8
    .kernarg_segment_size: 56
    .language:       OpenCL C
    .language_version:
      - 2
      - 0
    .max_flat_workgroup_size: 128
    .name:           _ZN7rocprim17ROCPRIM_400000_NS6detail17trampoline_kernelINS0_14default_configENS1_25transform_config_selectorIlLb0EEEZNS1_14transform_implILb0ES3_S5_NS0_18transform_iteratorINS0_17counting_iteratorImlEEZNS1_24adjacent_difference_implIS3_Lb1ELb0EPlSB_ZN2at6native12_GLOBAL__N_124unique_dim_cuda_templateIhEESt5tupleIJNSC_6TensorESH_SH_EERKSH_lbbbEUlllE1_EE10hipError_tPvRmT2_T3_mT4_P12ihipStream_tbEUlmE_lEESB_NS0_8identityIvEEEESM_SP_SQ_mSR_ST_bEUlT_E_NS1_11comp_targetILNS1_3genE3ELNS1_11target_archE908ELNS1_3gpuE7ELNS1_3repE0EEENS1_30default_config_static_selectorELNS0_4arch9wavefront6targetE1EEEvT1_
    .private_segment_fixed_size: 0
    .sgpr_count:     6
    .sgpr_spill_count: 0
    .symbol:         _ZN7rocprim17ROCPRIM_400000_NS6detail17trampoline_kernelINS0_14default_configENS1_25transform_config_selectorIlLb0EEEZNS1_14transform_implILb0ES3_S5_NS0_18transform_iteratorINS0_17counting_iteratorImlEEZNS1_24adjacent_difference_implIS3_Lb1ELb0EPlSB_ZN2at6native12_GLOBAL__N_124unique_dim_cuda_templateIhEESt5tupleIJNSC_6TensorESH_SH_EERKSH_lbbbEUlllE1_EE10hipError_tPvRmT2_T3_mT4_P12ihipStream_tbEUlmE_lEESB_NS0_8identityIvEEEESM_SP_SQ_mSR_ST_bEUlT_E_NS1_11comp_targetILNS1_3genE3ELNS1_11target_archE908ELNS1_3gpuE7ELNS1_3repE0EEENS1_30default_config_static_selectorELNS0_4arch9wavefront6targetE1EEEvT1_.kd
    .uniform_work_group_size: 1
    .uses_dynamic_stack: false
    .vgpr_count:     0
    .vgpr_spill_count: 0
    .wavefront_size: 64
  - .agpr_count:     0
    .args:
      - .offset:         0
        .size:           56
        .value_kind:     by_value
    .group_segment_fixed_size: 0
    .kernarg_segment_align: 8
    .kernarg_segment_size: 56
    .language:       OpenCL C
    .language_version:
      - 2
      - 0
    .max_flat_workgroup_size: 512
    .name:           _ZN7rocprim17ROCPRIM_400000_NS6detail17trampoline_kernelINS0_14default_configENS1_25transform_config_selectorIlLb0EEEZNS1_14transform_implILb0ES3_S5_NS0_18transform_iteratorINS0_17counting_iteratorImlEEZNS1_24adjacent_difference_implIS3_Lb1ELb0EPlSB_ZN2at6native12_GLOBAL__N_124unique_dim_cuda_templateIhEESt5tupleIJNSC_6TensorESH_SH_EERKSH_lbbbEUlllE1_EE10hipError_tPvRmT2_T3_mT4_P12ihipStream_tbEUlmE_lEESB_NS0_8identityIvEEEESM_SP_SQ_mSR_ST_bEUlT_E_NS1_11comp_targetILNS1_3genE2ELNS1_11target_archE906ELNS1_3gpuE6ELNS1_3repE0EEENS1_30default_config_static_selectorELNS0_4arch9wavefront6targetE1EEEvT1_
    .private_segment_fixed_size: 0
    .sgpr_count:     6
    .sgpr_spill_count: 0
    .symbol:         _ZN7rocprim17ROCPRIM_400000_NS6detail17trampoline_kernelINS0_14default_configENS1_25transform_config_selectorIlLb0EEEZNS1_14transform_implILb0ES3_S5_NS0_18transform_iteratorINS0_17counting_iteratorImlEEZNS1_24adjacent_difference_implIS3_Lb1ELb0EPlSB_ZN2at6native12_GLOBAL__N_124unique_dim_cuda_templateIhEESt5tupleIJNSC_6TensorESH_SH_EERKSH_lbbbEUlllE1_EE10hipError_tPvRmT2_T3_mT4_P12ihipStream_tbEUlmE_lEESB_NS0_8identityIvEEEESM_SP_SQ_mSR_ST_bEUlT_E_NS1_11comp_targetILNS1_3genE2ELNS1_11target_archE906ELNS1_3gpuE6ELNS1_3repE0EEENS1_30default_config_static_selectorELNS0_4arch9wavefront6targetE1EEEvT1_.kd
    .uniform_work_group_size: 1
    .uses_dynamic_stack: false
    .vgpr_count:     0
    .vgpr_spill_count: 0
    .wavefront_size: 64
  - .agpr_count:     0
    .args:
      - .offset:         0
        .size:           56
        .value_kind:     by_value
    .group_segment_fixed_size: 0
    .kernarg_segment_align: 8
    .kernarg_segment_size: 56
    .language:       OpenCL C
    .language_version:
      - 2
      - 0
    .max_flat_workgroup_size: 1024
    .name:           _ZN7rocprim17ROCPRIM_400000_NS6detail17trampoline_kernelINS0_14default_configENS1_25transform_config_selectorIlLb0EEEZNS1_14transform_implILb0ES3_S5_NS0_18transform_iteratorINS0_17counting_iteratorImlEEZNS1_24adjacent_difference_implIS3_Lb1ELb0EPlSB_ZN2at6native12_GLOBAL__N_124unique_dim_cuda_templateIhEESt5tupleIJNSC_6TensorESH_SH_EERKSH_lbbbEUlllE1_EE10hipError_tPvRmT2_T3_mT4_P12ihipStream_tbEUlmE_lEESB_NS0_8identityIvEEEESM_SP_SQ_mSR_ST_bEUlT_E_NS1_11comp_targetILNS1_3genE10ELNS1_11target_archE1201ELNS1_3gpuE5ELNS1_3repE0EEENS1_30default_config_static_selectorELNS0_4arch9wavefront6targetE1EEEvT1_
    .private_segment_fixed_size: 0
    .sgpr_count:     6
    .sgpr_spill_count: 0
    .symbol:         _ZN7rocprim17ROCPRIM_400000_NS6detail17trampoline_kernelINS0_14default_configENS1_25transform_config_selectorIlLb0EEEZNS1_14transform_implILb0ES3_S5_NS0_18transform_iteratorINS0_17counting_iteratorImlEEZNS1_24adjacent_difference_implIS3_Lb1ELb0EPlSB_ZN2at6native12_GLOBAL__N_124unique_dim_cuda_templateIhEESt5tupleIJNSC_6TensorESH_SH_EERKSH_lbbbEUlllE1_EE10hipError_tPvRmT2_T3_mT4_P12ihipStream_tbEUlmE_lEESB_NS0_8identityIvEEEESM_SP_SQ_mSR_ST_bEUlT_E_NS1_11comp_targetILNS1_3genE10ELNS1_11target_archE1201ELNS1_3gpuE5ELNS1_3repE0EEENS1_30default_config_static_selectorELNS0_4arch9wavefront6targetE1EEEvT1_.kd
    .uniform_work_group_size: 1
    .uses_dynamic_stack: false
    .vgpr_count:     0
    .vgpr_spill_count: 0
    .wavefront_size: 64
  - .agpr_count:     0
    .args:
      - .offset:         0
        .size:           56
        .value_kind:     by_value
    .group_segment_fixed_size: 0
    .kernarg_segment_align: 8
    .kernarg_segment_size: 56
    .language:       OpenCL C
    .language_version:
      - 2
      - 0
    .max_flat_workgroup_size: 512
    .name:           _ZN7rocprim17ROCPRIM_400000_NS6detail17trampoline_kernelINS0_14default_configENS1_25transform_config_selectorIlLb0EEEZNS1_14transform_implILb0ES3_S5_NS0_18transform_iteratorINS0_17counting_iteratorImlEEZNS1_24adjacent_difference_implIS3_Lb1ELb0EPlSB_ZN2at6native12_GLOBAL__N_124unique_dim_cuda_templateIhEESt5tupleIJNSC_6TensorESH_SH_EERKSH_lbbbEUlllE1_EE10hipError_tPvRmT2_T3_mT4_P12ihipStream_tbEUlmE_lEESB_NS0_8identityIvEEEESM_SP_SQ_mSR_ST_bEUlT_E_NS1_11comp_targetILNS1_3genE10ELNS1_11target_archE1200ELNS1_3gpuE4ELNS1_3repE0EEENS1_30default_config_static_selectorELNS0_4arch9wavefront6targetE1EEEvT1_
    .private_segment_fixed_size: 0
    .sgpr_count:     6
    .sgpr_spill_count: 0
    .symbol:         _ZN7rocprim17ROCPRIM_400000_NS6detail17trampoline_kernelINS0_14default_configENS1_25transform_config_selectorIlLb0EEEZNS1_14transform_implILb0ES3_S5_NS0_18transform_iteratorINS0_17counting_iteratorImlEEZNS1_24adjacent_difference_implIS3_Lb1ELb0EPlSB_ZN2at6native12_GLOBAL__N_124unique_dim_cuda_templateIhEESt5tupleIJNSC_6TensorESH_SH_EERKSH_lbbbEUlllE1_EE10hipError_tPvRmT2_T3_mT4_P12ihipStream_tbEUlmE_lEESB_NS0_8identityIvEEEESM_SP_SQ_mSR_ST_bEUlT_E_NS1_11comp_targetILNS1_3genE10ELNS1_11target_archE1200ELNS1_3gpuE4ELNS1_3repE0EEENS1_30default_config_static_selectorELNS0_4arch9wavefront6targetE1EEEvT1_.kd
    .uniform_work_group_size: 1
    .uses_dynamic_stack: false
    .vgpr_count:     0
    .vgpr_spill_count: 0
    .wavefront_size: 64
  - .agpr_count:     0
    .args:
      - .offset:         0
        .size:           56
        .value_kind:     by_value
    .group_segment_fixed_size: 0
    .kernarg_segment_align: 8
    .kernarg_segment_size: 56
    .language:       OpenCL C
    .language_version:
      - 2
      - 0
    .max_flat_workgroup_size: 512
    .name:           _ZN7rocprim17ROCPRIM_400000_NS6detail17trampoline_kernelINS0_14default_configENS1_25transform_config_selectorIlLb0EEEZNS1_14transform_implILb0ES3_S5_NS0_18transform_iteratorINS0_17counting_iteratorImlEEZNS1_24adjacent_difference_implIS3_Lb1ELb0EPlSB_ZN2at6native12_GLOBAL__N_124unique_dim_cuda_templateIhEESt5tupleIJNSC_6TensorESH_SH_EERKSH_lbbbEUlllE1_EE10hipError_tPvRmT2_T3_mT4_P12ihipStream_tbEUlmE_lEESB_NS0_8identityIvEEEESM_SP_SQ_mSR_ST_bEUlT_E_NS1_11comp_targetILNS1_3genE9ELNS1_11target_archE1100ELNS1_3gpuE3ELNS1_3repE0EEENS1_30default_config_static_selectorELNS0_4arch9wavefront6targetE1EEEvT1_
    .private_segment_fixed_size: 0
    .sgpr_count:     6
    .sgpr_spill_count: 0
    .symbol:         _ZN7rocprim17ROCPRIM_400000_NS6detail17trampoline_kernelINS0_14default_configENS1_25transform_config_selectorIlLb0EEEZNS1_14transform_implILb0ES3_S5_NS0_18transform_iteratorINS0_17counting_iteratorImlEEZNS1_24adjacent_difference_implIS3_Lb1ELb0EPlSB_ZN2at6native12_GLOBAL__N_124unique_dim_cuda_templateIhEESt5tupleIJNSC_6TensorESH_SH_EERKSH_lbbbEUlllE1_EE10hipError_tPvRmT2_T3_mT4_P12ihipStream_tbEUlmE_lEESB_NS0_8identityIvEEEESM_SP_SQ_mSR_ST_bEUlT_E_NS1_11comp_targetILNS1_3genE9ELNS1_11target_archE1100ELNS1_3gpuE3ELNS1_3repE0EEENS1_30default_config_static_selectorELNS0_4arch9wavefront6targetE1EEEvT1_.kd
    .uniform_work_group_size: 1
    .uses_dynamic_stack: false
    .vgpr_count:     0
    .vgpr_spill_count: 0
    .wavefront_size: 64
  - .agpr_count:     0
    .args:
      - .offset:         0
        .size:           56
        .value_kind:     by_value
    .group_segment_fixed_size: 0
    .kernarg_segment_align: 8
    .kernarg_segment_size: 56
    .language:       OpenCL C
    .language_version:
      - 2
      - 0
    .max_flat_workgroup_size: 512
    .name:           _ZN7rocprim17ROCPRIM_400000_NS6detail17trampoline_kernelINS0_14default_configENS1_25transform_config_selectorIlLb0EEEZNS1_14transform_implILb0ES3_S5_NS0_18transform_iteratorINS0_17counting_iteratorImlEEZNS1_24adjacent_difference_implIS3_Lb1ELb0EPlSB_ZN2at6native12_GLOBAL__N_124unique_dim_cuda_templateIhEESt5tupleIJNSC_6TensorESH_SH_EERKSH_lbbbEUlllE1_EE10hipError_tPvRmT2_T3_mT4_P12ihipStream_tbEUlmE_lEESB_NS0_8identityIvEEEESM_SP_SQ_mSR_ST_bEUlT_E_NS1_11comp_targetILNS1_3genE8ELNS1_11target_archE1030ELNS1_3gpuE2ELNS1_3repE0EEENS1_30default_config_static_selectorELNS0_4arch9wavefront6targetE1EEEvT1_
    .private_segment_fixed_size: 0
    .sgpr_count:     6
    .sgpr_spill_count: 0
    .symbol:         _ZN7rocprim17ROCPRIM_400000_NS6detail17trampoline_kernelINS0_14default_configENS1_25transform_config_selectorIlLb0EEEZNS1_14transform_implILb0ES3_S5_NS0_18transform_iteratorINS0_17counting_iteratorImlEEZNS1_24adjacent_difference_implIS3_Lb1ELb0EPlSB_ZN2at6native12_GLOBAL__N_124unique_dim_cuda_templateIhEESt5tupleIJNSC_6TensorESH_SH_EERKSH_lbbbEUlllE1_EE10hipError_tPvRmT2_T3_mT4_P12ihipStream_tbEUlmE_lEESB_NS0_8identityIvEEEESM_SP_SQ_mSR_ST_bEUlT_E_NS1_11comp_targetILNS1_3genE8ELNS1_11target_archE1030ELNS1_3gpuE2ELNS1_3repE0EEENS1_30default_config_static_selectorELNS0_4arch9wavefront6targetE1EEEvT1_.kd
    .uniform_work_group_size: 1
    .uses_dynamic_stack: false
    .vgpr_count:     0
    .vgpr_spill_count: 0
    .wavefront_size: 64
  - .agpr_count:     0
    .args:
      - .offset:         0
        .size:           64
        .value_kind:     by_value
    .group_segment_fixed_size: 8448
    .kernarg_segment_align: 8
    .kernarg_segment_size: 64
    .language:       OpenCL C
    .language_version:
      - 2
      - 0
    .max_flat_workgroup_size: 512
    .name:           _ZN7rocprim17ROCPRIM_400000_NS6detail17trampoline_kernelINS0_14default_configENS1_35adjacent_difference_config_selectorILb1ElEEZNS1_24adjacent_difference_implIS3_Lb1ELb0EPlS7_ZN2at6native12_GLOBAL__N_124unique_dim_cuda_templateIhEESt5tupleIJNS8_6TensorESD_SD_EERKSD_lbbbEUlllE1_EE10hipError_tPvRmT2_T3_mT4_P12ihipStream_tbEUlT_E_NS1_11comp_targetILNS1_3genE0ELNS1_11target_archE4294967295ELNS1_3gpuE0ELNS1_3repE0EEENS1_30default_config_static_selectorELNS0_4arch9wavefront6targetE1EEEvT1_
    .private_segment_fixed_size: 0
    .sgpr_count:     42
    .sgpr_spill_count: 0
    .symbol:         _ZN7rocprim17ROCPRIM_400000_NS6detail17trampoline_kernelINS0_14default_configENS1_35adjacent_difference_config_selectorILb1ElEEZNS1_24adjacent_difference_implIS3_Lb1ELb0EPlS7_ZN2at6native12_GLOBAL__N_124unique_dim_cuda_templateIhEESt5tupleIJNS8_6TensorESD_SD_EERKSD_lbbbEUlllE1_EE10hipError_tPvRmT2_T3_mT4_P12ihipStream_tbEUlT_E_NS1_11comp_targetILNS1_3genE0ELNS1_11target_archE4294967295ELNS1_3gpuE0ELNS1_3repE0EEENS1_30default_config_static_selectorELNS0_4arch9wavefront6targetE1EEEvT1_.kd
    .uniform_work_group_size: 1
    .uses_dynamic_stack: false
    .vgpr_count:     16
    .vgpr_spill_count: 0
    .wavefront_size: 64
  - .agpr_count:     0
    .args:
      - .offset:         0
        .size:           64
        .value_kind:     by_value
    .group_segment_fixed_size: 0
    .kernarg_segment_align: 8
    .kernarg_segment_size: 64
    .language:       OpenCL C
    .language_version:
      - 2
      - 0
    .max_flat_workgroup_size: 32
    .name:           _ZN7rocprim17ROCPRIM_400000_NS6detail17trampoline_kernelINS0_14default_configENS1_35adjacent_difference_config_selectorILb1ElEEZNS1_24adjacent_difference_implIS3_Lb1ELb0EPlS7_ZN2at6native12_GLOBAL__N_124unique_dim_cuda_templateIhEESt5tupleIJNS8_6TensorESD_SD_EERKSD_lbbbEUlllE1_EE10hipError_tPvRmT2_T3_mT4_P12ihipStream_tbEUlT_E_NS1_11comp_targetILNS1_3genE10ELNS1_11target_archE1201ELNS1_3gpuE5ELNS1_3repE0EEENS1_30default_config_static_selectorELNS0_4arch9wavefront6targetE1EEEvT1_
    .private_segment_fixed_size: 0
    .sgpr_count:     6
    .sgpr_spill_count: 0
    .symbol:         _ZN7rocprim17ROCPRIM_400000_NS6detail17trampoline_kernelINS0_14default_configENS1_35adjacent_difference_config_selectorILb1ElEEZNS1_24adjacent_difference_implIS3_Lb1ELb0EPlS7_ZN2at6native12_GLOBAL__N_124unique_dim_cuda_templateIhEESt5tupleIJNS8_6TensorESD_SD_EERKSD_lbbbEUlllE1_EE10hipError_tPvRmT2_T3_mT4_P12ihipStream_tbEUlT_E_NS1_11comp_targetILNS1_3genE10ELNS1_11target_archE1201ELNS1_3gpuE5ELNS1_3repE0EEENS1_30default_config_static_selectorELNS0_4arch9wavefront6targetE1EEEvT1_.kd
    .uniform_work_group_size: 1
    .uses_dynamic_stack: false
    .vgpr_count:     0
    .vgpr_spill_count: 0
    .wavefront_size: 64
  - .agpr_count:     0
    .args:
      - .offset:         0
        .size:           64
        .value_kind:     by_value
    .group_segment_fixed_size: 0
    .kernarg_segment_align: 8
    .kernarg_segment_size: 64
    .language:       OpenCL C
    .language_version:
      - 2
      - 0
    .max_flat_workgroup_size: 256
    .name:           _ZN7rocprim17ROCPRIM_400000_NS6detail17trampoline_kernelINS0_14default_configENS1_35adjacent_difference_config_selectorILb1ElEEZNS1_24adjacent_difference_implIS3_Lb1ELb0EPlS7_ZN2at6native12_GLOBAL__N_124unique_dim_cuda_templateIhEESt5tupleIJNS8_6TensorESD_SD_EERKSD_lbbbEUlllE1_EE10hipError_tPvRmT2_T3_mT4_P12ihipStream_tbEUlT_E_NS1_11comp_targetILNS1_3genE5ELNS1_11target_archE942ELNS1_3gpuE9ELNS1_3repE0EEENS1_30default_config_static_selectorELNS0_4arch9wavefront6targetE1EEEvT1_
    .private_segment_fixed_size: 0
    .sgpr_count:     6
    .sgpr_spill_count: 0
    .symbol:         _ZN7rocprim17ROCPRIM_400000_NS6detail17trampoline_kernelINS0_14default_configENS1_35adjacent_difference_config_selectorILb1ElEEZNS1_24adjacent_difference_implIS3_Lb1ELb0EPlS7_ZN2at6native12_GLOBAL__N_124unique_dim_cuda_templateIhEESt5tupleIJNS8_6TensorESD_SD_EERKSD_lbbbEUlllE1_EE10hipError_tPvRmT2_T3_mT4_P12ihipStream_tbEUlT_E_NS1_11comp_targetILNS1_3genE5ELNS1_11target_archE942ELNS1_3gpuE9ELNS1_3repE0EEENS1_30default_config_static_selectorELNS0_4arch9wavefront6targetE1EEEvT1_.kd
    .uniform_work_group_size: 1
    .uses_dynamic_stack: false
    .vgpr_count:     0
    .vgpr_spill_count: 0
    .wavefront_size: 64
  - .agpr_count:     0
    .args:
      - .offset:         0
        .size:           64
        .value_kind:     by_value
    .group_segment_fixed_size: 0
    .kernarg_segment_align: 8
    .kernarg_segment_size: 64
    .language:       OpenCL C
    .language_version:
      - 2
      - 0
    .max_flat_workgroup_size: 512
    .name:           _ZN7rocprim17ROCPRIM_400000_NS6detail17trampoline_kernelINS0_14default_configENS1_35adjacent_difference_config_selectorILb1ElEEZNS1_24adjacent_difference_implIS3_Lb1ELb0EPlS7_ZN2at6native12_GLOBAL__N_124unique_dim_cuda_templateIhEESt5tupleIJNS8_6TensorESD_SD_EERKSD_lbbbEUlllE1_EE10hipError_tPvRmT2_T3_mT4_P12ihipStream_tbEUlT_E_NS1_11comp_targetILNS1_3genE4ELNS1_11target_archE910ELNS1_3gpuE8ELNS1_3repE0EEENS1_30default_config_static_selectorELNS0_4arch9wavefront6targetE1EEEvT1_
    .private_segment_fixed_size: 0
    .sgpr_count:     6
    .sgpr_spill_count: 0
    .symbol:         _ZN7rocprim17ROCPRIM_400000_NS6detail17trampoline_kernelINS0_14default_configENS1_35adjacent_difference_config_selectorILb1ElEEZNS1_24adjacent_difference_implIS3_Lb1ELb0EPlS7_ZN2at6native12_GLOBAL__N_124unique_dim_cuda_templateIhEESt5tupleIJNS8_6TensorESD_SD_EERKSD_lbbbEUlllE1_EE10hipError_tPvRmT2_T3_mT4_P12ihipStream_tbEUlT_E_NS1_11comp_targetILNS1_3genE4ELNS1_11target_archE910ELNS1_3gpuE8ELNS1_3repE0EEENS1_30default_config_static_selectorELNS0_4arch9wavefront6targetE1EEEvT1_.kd
    .uniform_work_group_size: 1
    .uses_dynamic_stack: false
    .vgpr_count:     0
    .vgpr_spill_count: 0
    .wavefront_size: 64
  - .agpr_count:     0
    .args:
      - .offset:         0
        .size:           64
        .value_kind:     by_value
    .group_segment_fixed_size: 0
    .kernarg_segment_align: 8
    .kernarg_segment_size: 64
    .language:       OpenCL C
    .language_version:
      - 2
      - 0
    .max_flat_workgroup_size: 512
    .name:           _ZN7rocprim17ROCPRIM_400000_NS6detail17trampoline_kernelINS0_14default_configENS1_35adjacent_difference_config_selectorILb1ElEEZNS1_24adjacent_difference_implIS3_Lb1ELb0EPlS7_ZN2at6native12_GLOBAL__N_124unique_dim_cuda_templateIhEESt5tupleIJNS8_6TensorESD_SD_EERKSD_lbbbEUlllE1_EE10hipError_tPvRmT2_T3_mT4_P12ihipStream_tbEUlT_E_NS1_11comp_targetILNS1_3genE3ELNS1_11target_archE908ELNS1_3gpuE7ELNS1_3repE0EEENS1_30default_config_static_selectorELNS0_4arch9wavefront6targetE1EEEvT1_
    .private_segment_fixed_size: 0
    .sgpr_count:     6
    .sgpr_spill_count: 0
    .symbol:         _ZN7rocprim17ROCPRIM_400000_NS6detail17trampoline_kernelINS0_14default_configENS1_35adjacent_difference_config_selectorILb1ElEEZNS1_24adjacent_difference_implIS3_Lb1ELb0EPlS7_ZN2at6native12_GLOBAL__N_124unique_dim_cuda_templateIhEESt5tupleIJNS8_6TensorESD_SD_EERKSD_lbbbEUlllE1_EE10hipError_tPvRmT2_T3_mT4_P12ihipStream_tbEUlT_E_NS1_11comp_targetILNS1_3genE3ELNS1_11target_archE908ELNS1_3gpuE7ELNS1_3repE0EEENS1_30default_config_static_selectorELNS0_4arch9wavefront6targetE1EEEvT1_.kd
    .uniform_work_group_size: 1
    .uses_dynamic_stack: false
    .vgpr_count:     0
    .vgpr_spill_count: 0
    .wavefront_size: 64
  - .agpr_count:     0
    .args:
      - .offset:         0
        .size:           64
        .value_kind:     by_value
    .group_segment_fixed_size: 0
    .kernarg_segment_align: 8
    .kernarg_segment_size: 64
    .language:       OpenCL C
    .language_version:
      - 2
      - 0
    .max_flat_workgroup_size: 128
    .name:           _ZN7rocprim17ROCPRIM_400000_NS6detail17trampoline_kernelINS0_14default_configENS1_35adjacent_difference_config_selectorILb1ElEEZNS1_24adjacent_difference_implIS3_Lb1ELb0EPlS7_ZN2at6native12_GLOBAL__N_124unique_dim_cuda_templateIhEESt5tupleIJNS8_6TensorESD_SD_EERKSD_lbbbEUlllE1_EE10hipError_tPvRmT2_T3_mT4_P12ihipStream_tbEUlT_E_NS1_11comp_targetILNS1_3genE2ELNS1_11target_archE906ELNS1_3gpuE6ELNS1_3repE0EEENS1_30default_config_static_selectorELNS0_4arch9wavefront6targetE1EEEvT1_
    .private_segment_fixed_size: 0
    .sgpr_count:     6
    .sgpr_spill_count: 0
    .symbol:         _ZN7rocprim17ROCPRIM_400000_NS6detail17trampoline_kernelINS0_14default_configENS1_35adjacent_difference_config_selectorILb1ElEEZNS1_24adjacent_difference_implIS3_Lb1ELb0EPlS7_ZN2at6native12_GLOBAL__N_124unique_dim_cuda_templateIhEESt5tupleIJNS8_6TensorESD_SD_EERKSD_lbbbEUlllE1_EE10hipError_tPvRmT2_T3_mT4_P12ihipStream_tbEUlT_E_NS1_11comp_targetILNS1_3genE2ELNS1_11target_archE906ELNS1_3gpuE6ELNS1_3repE0EEENS1_30default_config_static_selectorELNS0_4arch9wavefront6targetE1EEEvT1_.kd
    .uniform_work_group_size: 1
    .uses_dynamic_stack: false
    .vgpr_count:     0
    .vgpr_spill_count: 0
    .wavefront_size: 64
  - .agpr_count:     0
    .args:
      - .offset:         0
        .size:           64
        .value_kind:     by_value
    .group_segment_fixed_size: 0
    .kernarg_segment_align: 8
    .kernarg_segment_size: 64
    .language:       OpenCL C
    .language_version:
      - 2
      - 0
    .max_flat_workgroup_size: 128
    .name:           _ZN7rocprim17ROCPRIM_400000_NS6detail17trampoline_kernelINS0_14default_configENS1_35adjacent_difference_config_selectorILb1ElEEZNS1_24adjacent_difference_implIS3_Lb1ELb0EPlS7_ZN2at6native12_GLOBAL__N_124unique_dim_cuda_templateIhEESt5tupleIJNS8_6TensorESD_SD_EERKSD_lbbbEUlllE1_EE10hipError_tPvRmT2_T3_mT4_P12ihipStream_tbEUlT_E_NS1_11comp_targetILNS1_3genE9ELNS1_11target_archE1100ELNS1_3gpuE3ELNS1_3repE0EEENS1_30default_config_static_selectorELNS0_4arch9wavefront6targetE1EEEvT1_
    .private_segment_fixed_size: 0
    .sgpr_count:     6
    .sgpr_spill_count: 0
    .symbol:         _ZN7rocprim17ROCPRIM_400000_NS6detail17trampoline_kernelINS0_14default_configENS1_35adjacent_difference_config_selectorILb1ElEEZNS1_24adjacent_difference_implIS3_Lb1ELb0EPlS7_ZN2at6native12_GLOBAL__N_124unique_dim_cuda_templateIhEESt5tupleIJNS8_6TensorESD_SD_EERKSD_lbbbEUlllE1_EE10hipError_tPvRmT2_T3_mT4_P12ihipStream_tbEUlT_E_NS1_11comp_targetILNS1_3genE9ELNS1_11target_archE1100ELNS1_3gpuE3ELNS1_3repE0EEENS1_30default_config_static_selectorELNS0_4arch9wavefront6targetE1EEEvT1_.kd
    .uniform_work_group_size: 1
    .uses_dynamic_stack: false
    .vgpr_count:     0
    .vgpr_spill_count: 0
    .wavefront_size: 64
  - .agpr_count:     0
    .args:
      - .offset:         0
        .size:           64
        .value_kind:     by_value
    .group_segment_fixed_size: 0
    .kernarg_segment_align: 8
    .kernarg_segment_size: 64
    .language:       OpenCL C
    .language_version:
      - 2
      - 0
    .max_flat_workgroup_size: 32
    .name:           _ZN7rocprim17ROCPRIM_400000_NS6detail17trampoline_kernelINS0_14default_configENS1_35adjacent_difference_config_selectorILb1ElEEZNS1_24adjacent_difference_implIS3_Lb1ELb0EPlS7_ZN2at6native12_GLOBAL__N_124unique_dim_cuda_templateIhEESt5tupleIJNS8_6TensorESD_SD_EERKSD_lbbbEUlllE1_EE10hipError_tPvRmT2_T3_mT4_P12ihipStream_tbEUlT_E_NS1_11comp_targetILNS1_3genE8ELNS1_11target_archE1030ELNS1_3gpuE2ELNS1_3repE0EEENS1_30default_config_static_selectorELNS0_4arch9wavefront6targetE1EEEvT1_
    .private_segment_fixed_size: 0
    .sgpr_count:     6
    .sgpr_spill_count: 0
    .symbol:         _ZN7rocprim17ROCPRIM_400000_NS6detail17trampoline_kernelINS0_14default_configENS1_35adjacent_difference_config_selectorILb1ElEEZNS1_24adjacent_difference_implIS3_Lb1ELb0EPlS7_ZN2at6native12_GLOBAL__N_124unique_dim_cuda_templateIhEESt5tupleIJNS8_6TensorESD_SD_EERKSD_lbbbEUlllE1_EE10hipError_tPvRmT2_T3_mT4_P12ihipStream_tbEUlT_E_NS1_11comp_targetILNS1_3genE8ELNS1_11target_archE1030ELNS1_3gpuE2ELNS1_3repE0EEENS1_30default_config_static_selectorELNS0_4arch9wavefront6targetE1EEEvT1_.kd
    .uniform_work_group_size: 1
    .uses_dynamic_stack: false
    .vgpr_count:     0
    .vgpr_spill_count: 0
    .wavefront_size: 64
  - .agpr_count:     0
    .args:
      - .address_space:  global
        .offset:         0
        .size:           8
        .value_kind:     global_buffer
      - .offset:         8
        .size:           4
        .value_kind:     by_value
      - .offset:         12
        .size:           1
        .value_kind:     by_value
      - .offset:         16
        .size:           4
        .value_kind:     by_value
      - .address_space:  global
        .offset:         24
        .size:           8
        .value_kind:     global_buffer
      - .offset:         32
        .size:           4
        .value_kind:     hidden_block_count_x
      - .offset:         36
        .size:           4
        .value_kind:     hidden_block_count_y
      - .offset:         40
        .size:           4
        .value_kind:     hidden_block_count_z
      - .offset:         44
        .size:           2
        .value_kind:     hidden_group_size_x
      - .offset:         46
        .size:           2
        .value_kind:     hidden_group_size_y
      - .offset:         48
        .size:           2
        .value_kind:     hidden_group_size_z
      - .offset:         50
        .size:           2
        .value_kind:     hidden_remainder_x
      - .offset:         52
        .size:           2
        .value_kind:     hidden_remainder_y
      - .offset:         54
        .size:           2
        .value_kind:     hidden_remainder_z
      - .offset:         72
        .size:           8
        .value_kind:     hidden_global_offset_x
      - .offset:         80
        .size:           8
        .value_kind:     hidden_global_offset_y
      - .offset:         88
        .size:           8
        .value_kind:     hidden_global_offset_z
      - .offset:         96
        .size:           2
        .value_kind:     hidden_grid_dims
    .group_segment_fixed_size: 0
    .kernarg_segment_align: 8
    .kernarg_segment_size: 288
    .language:       OpenCL C
    .language_version:
      - 2
      - 0
    .max_flat_workgroup_size: 256
    .name:           _ZN7rocprim17ROCPRIM_400000_NS6detail31init_lookback_scan_state_kernelINS1_19lookback_scan_stateIlLb0ELb1EEENS1_16block_id_wrapperIjLb0EEEEEvT_jT0_jPNS7_10value_typeE
    .private_segment_fixed_size: 0
    .sgpr_count:     19
    .sgpr_spill_count: 0
    .symbol:         _ZN7rocprim17ROCPRIM_400000_NS6detail31init_lookback_scan_state_kernelINS1_19lookback_scan_stateIlLb0ELb1EEENS1_16block_id_wrapperIjLb0EEEEEvT_jT0_jPNS7_10value_typeE.kd
    .uniform_work_group_size: 1
    .uses_dynamic_stack: false
    .vgpr_count:     10
    .vgpr_spill_count: 0
    .wavefront_size: 64
  - .agpr_count:     0
    .args:
      - .offset:         0
        .size:           104
        .value_kind:     by_value
    .group_segment_fixed_size: 12288
    .kernarg_segment_align: 8
    .kernarg_segment_size: 104
    .language:       OpenCL C
    .language_version:
      - 2
      - 0
    .max_flat_workgroup_size: 256
    .name:           _ZN7rocprim17ROCPRIM_400000_NS6detail17trampoline_kernelINS0_14default_configENS1_20scan_config_selectorIlEEZZNS1_9scan_implILNS1_25lookback_scan_determinismE0ELb0ELb0ES3_PlS8_lN6thrust23THRUST_200600_302600_NS4plusIvEElEEDaPvRmT3_T4_T5_mT6_P12ihipStream_tbENKUlT_T0_E_clISt17integral_constantIbLb0EESQ_EEDaSL_SM_EUlSL_E_NS1_11comp_targetILNS1_3genE0ELNS1_11target_archE4294967295ELNS1_3gpuE0ELNS1_3repE0EEENS1_30default_config_static_selectorELNS0_4arch9wavefront6targetE1EEEvT1_
    .private_segment_fixed_size: 0
    .sgpr_count:     38
    .sgpr_spill_count: 0
    .symbol:         _ZN7rocprim17ROCPRIM_400000_NS6detail17trampoline_kernelINS0_14default_configENS1_20scan_config_selectorIlEEZZNS1_9scan_implILNS1_25lookback_scan_determinismE0ELb0ELb0ES3_PlS8_lN6thrust23THRUST_200600_302600_NS4plusIvEElEEDaPvRmT3_T4_T5_mT6_P12ihipStream_tbENKUlT_T0_E_clISt17integral_constantIbLb0EESQ_EEDaSL_SM_EUlSL_E_NS1_11comp_targetILNS1_3genE0ELNS1_11target_archE4294967295ELNS1_3gpuE0ELNS1_3repE0EEENS1_30default_config_static_selectorELNS0_4arch9wavefront6targetE1EEEvT1_.kd
    .uniform_work_group_size: 1
    .uses_dynamic_stack: false
    .vgpr_count:     52
    .vgpr_spill_count: 0
    .wavefront_size: 64
  - .agpr_count:     0
    .args:
      - .offset:         0
        .size:           104
        .value_kind:     by_value
    .group_segment_fixed_size: 0
    .kernarg_segment_align: 8
    .kernarg_segment_size: 104
    .language:       OpenCL C
    .language_version:
      - 2
      - 0
    .max_flat_workgroup_size: 256
    .name:           _ZN7rocprim17ROCPRIM_400000_NS6detail17trampoline_kernelINS0_14default_configENS1_20scan_config_selectorIlEEZZNS1_9scan_implILNS1_25lookback_scan_determinismE0ELb0ELb0ES3_PlS8_lN6thrust23THRUST_200600_302600_NS4plusIvEElEEDaPvRmT3_T4_T5_mT6_P12ihipStream_tbENKUlT_T0_E_clISt17integral_constantIbLb0EESQ_EEDaSL_SM_EUlSL_E_NS1_11comp_targetILNS1_3genE5ELNS1_11target_archE942ELNS1_3gpuE9ELNS1_3repE0EEENS1_30default_config_static_selectorELNS0_4arch9wavefront6targetE1EEEvT1_
    .private_segment_fixed_size: 0
    .sgpr_count:     6
    .sgpr_spill_count: 0
    .symbol:         _ZN7rocprim17ROCPRIM_400000_NS6detail17trampoline_kernelINS0_14default_configENS1_20scan_config_selectorIlEEZZNS1_9scan_implILNS1_25lookback_scan_determinismE0ELb0ELb0ES3_PlS8_lN6thrust23THRUST_200600_302600_NS4plusIvEElEEDaPvRmT3_T4_T5_mT6_P12ihipStream_tbENKUlT_T0_E_clISt17integral_constantIbLb0EESQ_EEDaSL_SM_EUlSL_E_NS1_11comp_targetILNS1_3genE5ELNS1_11target_archE942ELNS1_3gpuE9ELNS1_3repE0EEENS1_30default_config_static_selectorELNS0_4arch9wavefront6targetE1EEEvT1_.kd
    .uniform_work_group_size: 1
    .uses_dynamic_stack: false
    .vgpr_count:     0
    .vgpr_spill_count: 0
    .wavefront_size: 64
  - .agpr_count:     0
    .args:
      - .offset:         0
        .size:           104
        .value_kind:     by_value
    .group_segment_fixed_size: 0
    .kernarg_segment_align: 8
    .kernarg_segment_size: 104
    .language:       OpenCL C
    .language_version:
      - 2
      - 0
    .max_flat_workgroup_size: 128
    .name:           _ZN7rocprim17ROCPRIM_400000_NS6detail17trampoline_kernelINS0_14default_configENS1_20scan_config_selectorIlEEZZNS1_9scan_implILNS1_25lookback_scan_determinismE0ELb0ELb0ES3_PlS8_lN6thrust23THRUST_200600_302600_NS4plusIvEElEEDaPvRmT3_T4_T5_mT6_P12ihipStream_tbENKUlT_T0_E_clISt17integral_constantIbLb0EESQ_EEDaSL_SM_EUlSL_E_NS1_11comp_targetILNS1_3genE4ELNS1_11target_archE910ELNS1_3gpuE8ELNS1_3repE0EEENS1_30default_config_static_selectorELNS0_4arch9wavefront6targetE1EEEvT1_
    .private_segment_fixed_size: 0
    .sgpr_count:     6
    .sgpr_spill_count: 0
    .symbol:         _ZN7rocprim17ROCPRIM_400000_NS6detail17trampoline_kernelINS0_14default_configENS1_20scan_config_selectorIlEEZZNS1_9scan_implILNS1_25lookback_scan_determinismE0ELb0ELb0ES3_PlS8_lN6thrust23THRUST_200600_302600_NS4plusIvEElEEDaPvRmT3_T4_T5_mT6_P12ihipStream_tbENKUlT_T0_E_clISt17integral_constantIbLb0EESQ_EEDaSL_SM_EUlSL_E_NS1_11comp_targetILNS1_3genE4ELNS1_11target_archE910ELNS1_3gpuE8ELNS1_3repE0EEENS1_30default_config_static_selectorELNS0_4arch9wavefront6targetE1EEEvT1_.kd
    .uniform_work_group_size: 1
    .uses_dynamic_stack: false
    .vgpr_count:     0
    .vgpr_spill_count: 0
    .wavefront_size: 64
  - .agpr_count:     0
    .args:
      - .offset:         0
        .size:           104
        .value_kind:     by_value
    .group_segment_fixed_size: 0
    .kernarg_segment_align: 8
    .kernarg_segment_size: 104
    .language:       OpenCL C
    .language_version:
      - 2
      - 0
    .max_flat_workgroup_size: 256
    .name:           _ZN7rocprim17ROCPRIM_400000_NS6detail17trampoline_kernelINS0_14default_configENS1_20scan_config_selectorIlEEZZNS1_9scan_implILNS1_25lookback_scan_determinismE0ELb0ELb0ES3_PlS8_lN6thrust23THRUST_200600_302600_NS4plusIvEElEEDaPvRmT3_T4_T5_mT6_P12ihipStream_tbENKUlT_T0_E_clISt17integral_constantIbLb0EESQ_EEDaSL_SM_EUlSL_E_NS1_11comp_targetILNS1_3genE3ELNS1_11target_archE908ELNS1_3gpuE7ELNS1_3repE0EEENS1_30default_config_static_selectorELNS0_4arch9wavefront6targetE1EEEvT1_
    .private_segment_fixed_size: 0
    .sgpr_count:     6
    .sgpr_spill_count: 0
    .symbol:         _ZN7rocprim17ROCPRIM_400000_NS6detail17trampoline_kernelINS0_14default_configENS1_20scan_config_selectorIlEEZZNS1_9scan_implILNS1_25lookback_scan_determinismE0ELb0ELb0ES3_PlS8_lN6thrust23THRUST_200600_302600_NS4plusIvEElEEDaPvRmT3_T4_T5_mT6_P12ihipStream_tbENKUlT_T0_E_clISt17integral_constantIbLb0EESQ_EEDaSL_SM_EUlSL_E_NS1_11comp_targetILNS1_3genE3ELNS1_11target_archE908ELNS1_3gpuE7ELNS1_3repE0EEENS1_30default_config_static_selectorELNS0_4arch9wavefront6targetE1EEEvT1_.kd
    .uniform_work_group_size: 1
    .uses_dynamic_stack: false
    .vgpr_count:     0
    .vgpr_spill_count: 0
    .wavefront_size: 64
  - .agpr_count:     0
    .args:
      - .offset:         0
        .size:           104
        .value_kind:     by_value
    .group_segment_fixed_size: 0
    .kernarg_segment_align: 8
    .kernarg_segment_size: 104
    .language:       OpenCL C
    .language_version:
      - 2
      - 0
    .max_flat_workgroup_size: 64
    .name:           _ZN7rocprim17ROCPRIM_400000_NS6detail17trampoline_kernelINS0_14default_configENS1_20scan_config_selectorIlEEZZNS1_9scan_implILNS1_25lookback_scan_determinismE0ELb0ELb0ES3_PlS8_lN6thrust23THRUST_200600_302600_NS4plusIvEElEEDaPvRmT3_T4_T5_mT6_P12ihipStream_tbENKUlT_T0_E_clISt17integral_constantIbLb0EESQ_EEDaSL_SM_EUlSL_E_NS1_11comp_targetILNS1_3genE2ELNS1_11target_archE906ELNS1_3gpuE6ELNS1_3repE0EEENS1_30default_config_static_selectorELNS0_4arch9wavefront6targetE1EEEvT1_
    .private_segment_fixed_size: 0
    .sgpr_count:     6
    .sgpr_spill_count: 0
    .symbol:         _ZN7rocprim17ROCPRIM_400000_NS6detail17trampoline_kernelINS0_14default_configENS1_20scan_config_selectorIlEEZZNS1_9scan_implILNS1_25lookback_scan_determinismE0ELb0ELb0ES3_PlS8_lN6thrust23THRUST_200600_302600_NS4plusIvEElEEDaPvRmT3_T4_T5_mT6_P12ihipStream_tbENKUlT_T0_E_clISt17integral_constantIbLb0EESQ_EEDaSL_SM_EUlSL_E_NS1_11comp_targetILNS1_3genE2ELNS1_11target_archE906ELNS1_3gpuE6ELNS1_3repE0EEENS1_30default_config_static_selectorELNS0_4arch9wavefront6targetE1EEEvT1_.kd
    .uniform_work_group_size: 1
    .uses_dynamic_stack: false
    .vgpr_count:     0
    .vgpr_spill_count: 0
    .wavefront_size: 64
  - .agpr_count:     0
    .args:
      - .offset:         0
        .size:           104
        .value_kind:     by_value
    .group_segment_fixed_size: 0
    .kernarg_segment_align: 8
    .kernarg_segment_size: 104
    .language:       OpenCL C
    .language_version:
      - 2
      - 0
    .max_flat_workgroup_size: 256
    .name:           _ZN7rocprim17ROCPRIM_400000_NS6detail17trampoline_kernelINS0_14default_configENS1_20scan_config_selectorIlEEZZNS1_9scan_implILNS1_25lookback_scan_determinismE0ELb0ELb0ES3_PlS8_lN6thrust23THRUST_200600_302600_NS4plusIvEElEEDaPvRmT3_T4_T5_mT6_P12ihipStream_tbENKUlT_T0_E_clISt17integral_constantIbLb0EESQ_EEDaSL_SM_EUlSL_E_NS1_11comp_targetILNS1_3genE10ELNS1_11target_archE1201ELNS1_3gpuE5ELNS1_3repE0EEENS1_30default_config_static_selectorELNS0_4arch9wavefront6targetE1EEEvT1_
    .private_segment_fixed_size: 0
    .sgpr_count:     6
    .sgpr_spill_count: 0
    .symbol:         _ZN7rocprim17ROCPRIM_400000_NS6detail17trampoline_kernelINS0_14default_configENS1_20scan_config_selectorIlEEZZNS1_9scan_implILNS1_25lookback_scan_determinismE0ELb0ELb0ES3_PlS8_lN6thrust23THRUST_200600_302600_NS4plusIvEElEEDaPvRmT3_T4_T5_mT6_P12ihipStream_tbENKUlT_T0_E_clISt17integral_constantIbLb0EESQ_EEDaSL_SM_EUlSL_E_NS1_11comp_targetILNS1_3genE10ELNS1_11target_archE1201ELNS1_3gpuE5ELNS1_3repE0EEENS1_30default_config_static_selectorELNS0_4arch9wavefront6targetE1EEEvT1_.kd
    .uniform_work_group_size: 1
    .uses_dynamic_stack: false
    .vgpr_count:     0
    .vgpr_spill_count: 0
    .wavefront_size: 64
  - .agpr_count:     0
    .args:
      - .offset:         0
        .size:           104
        .value_kind:     by_value
    .group_segment_fixed_size: 0
    .kernarg_segment_align: 8
    .kernarg_segment_size: 104
    .language:       OpenCL C
    .language_version:
      - 2
      - 0
    .max_flat_workgroup_size: 256
    .name:           _ZN7rocprim17ROCPRIM_400000_NS6detail17trampoline_kernelINS0_14default_configENS1_20scan_config_selectorIlEEZZNS1_9scan_implILNS1_25lookback_scan_determinismE0ELb0ELb0ES3_PlS8_lN6thrust23THRUST_200600_302600_NS4plusIvEElEEDaPvRmT3_T4_T5_mT6_P12ihipStream_tbENKUlT_T0_E_clISt17integral_constantIbLb0EESQ_EEDaSL_SM_EUlSL_E_NS1_11comp_targetILNS1_3genE10ELNS1_11target_archE1200ELNS1_3gpuE4ELNS1_3repE0EEENS1_30default_config_static_selectorELNS0_4arch9wavefront6targetE1EEEvT1_
    .private_segment_fixed_size: 0
    .sgpr_count:     6
    .sgpr_spill_count: 0
    .symbol:         _ZN7rocprim17ROCPRIM_400000_NS6detail17trampoline_kernelINS0_14default_configENS1_20scan_config_selectorIlEEZZNS1_9scan_implILNS1_25lookback_scan_determinismE0ELb0ELb0ES3_PlS8_lN6thrust23THRUST_200600_302600_NS4plusIvEElEEDaPvRmT3_T4_T5_mT6_P12ihipStream_tbENKUlT_T0_E_clISt17integral_constantIbLb0EESQ_EEDaSL_SM_EUlSL_E_NS1_11comp_targetILNS1_3genE10ELNS1_11target_archE1200ELNS1_3gpuE4ELNS1_3repE0EEENS1_30default_config_static_selectorELNS0_4arch9wavefront6targetE1EEEvT1_.kd
    .uniform_work_group_size: 1
    .uses_dynamic_stack: false
    .vgpr_count:     0
    .vgpr_spill_count: 0
    .wavefront_size: 64
  - .agpr_count:     0
    .args:
      - .offset:         0
        .size:           104
        .value_kind:     by_value
    .group_segment_fixed_size: 0
    .kernarg_segment_align: 8
    .kernarg_segment_size: 104
    .language:       OpenCL C
    .language_version:
      - 2
      - 0
    .max_flat_workgroup_size: 256
    .name:           _ZN7rocprim17ROCPRIM_400000_NS6detail17trampoline_kernelINS0_14default_configENS1_20scan_config_selectorIlEEZZNS1_9scan_implILNS1_25lookback_scan_determinismE0ELb0ELb0ES3_PlS8_lN6thrust23THRUST_200600_302600_NS4plusIvEElEEDaPvRmT3_T4_T5_mT6_P12ihipStream_tbENKUlT_T0_E_clISt17integral_constantIbLb0EESQ_EEDaSL_SM_EUlSL_E_NS1_11comp_targetILNS1_3genE9ELNS1_11target_archE1100ELNS1_3gpuE3ELNS1_3repE0EEENS1_30default_config_static_selectorELNS0_4arch9wavefront6targetE1EEEvT1_
    .private_segment_fixed_size: 0
    .sgpr_count:     6
    .sgpr_spill_count: 0
    .symbol:         _ZN7rocprim17ROCPRIM_400000_NS6detail17trampoline_kernelINS0_14default_configENS1_20scan_config_selectorIlEEZZNS1_9scan_implILNS1_25lookback_scan_determinismE0ELb0ELb0ES3_PlS8_lN6thrust23THRUST_200600_302600_NS4plusIvEElEEDaPvRmT3_T4_T5_mT6_P12ihipStream_tbENKUlT_T0_E_clISt17integral_constantIbLb0EESQ_EEDaSL_SM_EUlSL_E_NS1_11comp_targetILNS1_3genE9ELNS1_11target_archE1100ELNS1_3gpuE3ELNS1_3repE0EEENS1_30default_config_static_selectorELNS0_4arch9wavefront6targetE1EEEvT1_.kd
    .uniform_work_group_size: 1
    .uses_dynamic_stack: false
    .vgpr_count:     0
    .vgpr_spill_count: 0
    .wavefront_size: 64
  - .agpr_count:     0
    .args:
      - .offset:         0
        .size:           104
        .value_kind:     by_value
    .group_segment_fixed_size: 0
    .kernarg_segment_align: 8
    .kernarg_segment_size: 104
    .language:       OpenCL C
    .language_version:
      - 2
      - 0
    .max_flat_workgroup_size: 256
    .name:           _ZN7rocprim17ROCPRIM_400000_NS6detail17trampoline_kernelINS0_14default_configENS1_20scan_config_selectorIlEEZZNS1_9scan_implILNS1_25lookback_scan_determinismE0ELb0ELb0ES3_PlS8_lN6thrust23THRUST_200600_302600_NS4plusIvEElEEDaPvRmT3_T4_T5_mT6_P12ihipStream_tbENKUlT_T0_E_clISt17integral_constantIbLb0EESQ_EEDaSL_SM_EUlSL_E_NS1_11comp_targetILNS1_3genE8ELNS1_11target_archE1030ELNS1_3gpuE2ELNS1_3repE0EEENS1_30default_config_static_selectorELNS0_4arch9wavefront6targetE1EEEvT1_
    .private_segment_fixed_size: 0
    .sgpr_count:     6
    .sgpr_spill_count: 0
    .symbol:         _ZN7rocprim17ROCPRIM_400000_NS6detail17trampoline_kernelINS0_14default_configENS1_20scan_config_selectorIlEEZZNS1_9scan_implILNS1_25lookback_scan_determinismE0ELb0ELb0ES3_PlS8_lN6thrust23THRUST_200600_302600_NS4plusIvEElEEDaPvRmT3_T4_T5_mT6_P12ihipStream_tbENKUlT_T0_E_clISt17integral_constantIbLb0EESQ_EEDaSL_SM_EUlSL_E_NS1_11comp_targetILNS1_3genE8ELNS1_11target_archE1030ELNS1_3gpuE2ELNS1_3repE0EEENS1_30default_config_static_selectorELNS0_4arch9wavefront6targetE1EEEvT1_.kd
    .uniform_work_group_size: 1
    .uses_dynamic_stack: false
    .vgpr_count:     0
    .vgpr_spill_count: 0
    .wavefront_size: 64
  - .agpr_count:     0
    .args:
      - .offset:         0
        .size:           40
        .value_kind:     by_value
    .group_segment_fixed_size: 12288
    .kernarg_segment_align: 8
    .kernarg_segment_size: 40
    .language:       OpenCL C
    .language_version:
      - 2
      - 0
    .max_flat_workgroup_size: 256
    .name:           _ZN7rocprim17ROCPRIM_400000_NS6detail17trampoline_kernelINS0_14default_configENS1_20scan_config_selectorIlEEZZNS1_9scan_implILNS1_25lookback_scan_determinismE0ELb0ELb0ES3_PlS8_lN6thrust23THRUST_200600_302600_NS4plusIvEElEEDaPvRmT3_T4_T5_mT6_P12ihipStream_tbENKUlT_T0_E_clISt17integral_constantIbLb0EESQ_EEDaSL_SM_EUlSL_E0_NS1_11comp_targetILNS1_3genE0ELNS1_11target_archE4294967295ELNS1_3gpuE0ELNS1_3repE0EEENS1_30default_config_static_selectorELNS0_4arch9wavefront6targetE1EEEvT1_
    .private_segment_fixed_size: 0
    .sgpr_count:     26
    .sgpr_spill_count: 0
    .symbol:         _ZN7rocprim17ROCPRIM_400000_NS6detail17trampoline_kernelINS0_14default_configENS1_20scan_config_selectorIlEEZZNS1_9scan_implILNS1_25lookback_scan_determinismE0ELb0ELb0ES3_PlS8_lN6thrust23THRUST_200600_302600_NS4plusIvEElEEDaPvRmT3_T4_T5_mT6_P12ihipStream_tbENKUlT_T0_E_clISt17integral_constantIbLb0EESQ_EEDaSL_SM_EUlSL_E0_NS1_11comp_targetILNS1_3genE0ELNS1_11target_archE4294967295ELNS1_3gpuE0ELNS1_3repE0EEENS1_30default_config_static_selectorELNS0_4arch9wavefront6targetE1EEEvT1_.kd
    .uniform_work_group_size: 1
    .uses_dynamic_stack: false
    .vgpr_count:     35
    .vgpr_spill_count: 0
    .wavefront_size: 64
  - .agpr_count:     0
    .args:
      - .offset:         0
        .size:           40
        .value_kind:     by_value
    .group_segment_fixed_size: 0
    .kernarg_segment_align: 8
    .kernarg_segment_size: 40
    .language:       OpenCL C
    .language_version:
      - 2
      - 0
    .max_flat_workgroup_size: 256
    .name:           _ZN7rocprim17ROCPRIM_400000_NS6detail17trampoline_kernelINS0_14default_configENS1_20scan_config_selectorIlEEZZNS1_9scan_implILNS1_25lookback_scan_determinismE0ELb0ELb0ES3_PlS8_lN6thrust23THRUST_200600_302600_NS4plusIvEElEEDaPvRmT3_T4_T5_mT6_P12ihipStream_tbENKUlT_T0_E_clISt17integral_constantIbLb0EESQ_EEDaSL_SM_EUlSL_E0_NS1_11comp_targetILNS1_3genE5ELNS1_11target_archE942ELNS1_3gpuE9ELNS1_3repE0EEENS1_30default_config_static_selectorELNS0_4arch9wavefront6targetE1EEEvT1_
    .private_segment_fixed_size: 0
    .sgpr_count:     6
    .sgpr_spill_count: 0
    .symbol:         _ZN7rocprim17ROCPRIM_400000_NS6detail17trampoline_kernelINS0_14default_configENS1_20scan_config_selectorIlEEZZNS1_9scan_implILNS1_25lookback_scan_determinismE0ELb0ELb0ES3_PlS8_lN6thrust23THRUST_200600_302600_NS4plusIvEElEEDaPvRmT3_T4_T5_mT6_P12ihipStream_tbENKUlT_T0_E_clISt17integral_constantIbLb0EESQ_EEDaSL_SM_EUlSL_E0_NS1_11comp_targetILNS1_3genE5ELNS1_11target_archE942ELNS1_3gpuE9ELNS1_3repE0EEENS1_30default_config_static_selectorELNS0_4arch9wavefront6targetE1EEEvT1_.kd
    .uniform_work_group_size: 1
    .uses_dynamic_stack: false
    .vgpr_count:     0
    .vgpr_spill_count: 0
    .wavefront_size: 64
  - .agpr_count:     0
    .args:
      - .offset:         0
        .size:           40
        .value_kind:     by_value
    .group_segment_fixed_size: 0
    .kernarg_segment_align: 8
    .kernarg_segment_size: 40
    .language:       OpenCL C
    .language_version:
      - 2
      - 0
    .max_flat_workgroup_size: 128
    .name:           _ZN7rocprim17ROCPRIM_400000_NS6detail17trampoline_kernelINS0_14default_configENS1_20scan_config_selectorIlEEZZNS1_9scan_implILNS1_25lookback_scan_determinismE0ELb0ELb0ES3_PlS8_lN6thrust23THRUST_200600_302600_NS4plusIvEElEEDaPvRmT3_T4_T5_mT6_P12ihipStream_tbENKUlT_T0_E_clISt17integral_constantIbLb0EESQ_EEDaSL_SM_EUlSL_E0_NS1_11comp_targetILNS1_3genE4ELNS1_11target_archE910ELNS1_3gpuE8ELNS1_3repE0EEENS1_30default_config_static_selectorELNS0_4arch9wavefront6targetE1EEEvT1_
    .private_segment_fixed_size: 0
    .sgpr_count:     6
    .sgpr_spill_count: 0
    .symbol:         _ZN7rocprim17ROCPRIM_400000_NS6detail17trampoline_kernelINS0_14default_configENS1_20scan_config_selectorIlEEZZNS1_9scan_implILNS1_25lookback_scan_determinismE0ELb0ELb0ES3_PlS8_lN6thrust23THRUST_200600_302600_NS4plusIvEElEEDaPvRmT3_T4_T5_mT6_P12ihipStream_tbENKUlT_T0_E_clISt17integral_constantIbLb0EESQ_EEDaSL_SM_EUlSL_E0_NS1_11comp_targetILNS1_3genE4ELNS1_11target_archE910ELNS1_3gpuE8ELNS1_3repE0EEENS1_30default_config_static_selectorELNS0_4arch9wavefront6targetE1EEEvT1_.kd
    .uniform_work_group_size: 1
    .uses_dynamic_stack: false
    .vgpr_count:     0
    .vgpr_spill_count: 0
    .wavefront_size: 64
  - .agpr_count:     0
    .args:
      - .offset:         0
        .size:           40
        .value_kind:     by_value
    .group_segment_fixed_size: 0
    .kernarg_segment_align: 8
    .kernarg_segment_size: 40
    .language:       OpenCL C
    .language_version:
      - 2
      - 0
    .max_flat_workgroup_size: 256
    .name:           _ZN7rocprim17ROCPRIM_400000_NS6detail17trampoline_kernelINS0_14default_configENS1_20scan_config_selectorIlEEZZNS1_9scan_implILNS1_25lookback_scan_determinismE0ELb0ELb0ES3_PlS8_lN6thrust23THRUST_200600_302600_NS4plusIvEElEEDaPvRmT3_T4_T5_mT6_P12ihipStream_tbENKUlT_T0_E_clISt17integral_constantIbLb0EESQ_EEDaSL_SM_EUlSL_E0_NS1_11comp_targetILNS1_3genE3ELNS1_11target_archE908ELNS1_3gpuE7ELNS1_3repE0EEENS1_30default_config_static_selectorELNS0_4arch9wavefront6targetE1EEEvT1_
    .private_segment_fixed_size: 0
    .sgpr_count:     6
    .sgpr_spill_count: 0
    .symbol:         _ZN7rocprim17ROCPRIM_400000_NS6detail17trampoline_kernelINS0_14default_configENS1_20scan_config_selectorIlEEZZNS1_9scan_implILNS1_25lookback_scan_determinismE0ELb0ELb0ES3_PlS8_lN6thrust23THRUST_200600_302600_NS4plusIvEElEEDaPvRmT3_T4_T5_mT6_P12ihipStream_tbENKUlT_T0_E_clISt17integral_constantIbLb0EESQ_EEDaSL_SM_EUlSL_E0_NS1_11comp_targetILNS1_3genE3ELNS1_11target_archE908ELNS1_3gpuE7ELNS1_3repE0EEENS1_30default_config_static_selectorELNS0_4arch9wavefront6targetE1EEEvT1_.kd
    .uniform_work_group_size: 1
    .uses_dynamic_stack: false
    .vgpr_count:     0
    .vgpr_spill_count: 0
    .wavefront_size: 64
  - .agpr_count:     0
    .args:
      - .offset:         0
        .size:           40
        .value_kind:     by_value
    .group_segment_fixed_size: 0
    .kernarg_segment_align: 8
    .kernarg_segment_size: 40
    .language:       OpenCL C
    .language_version:
      - 2
      - 0
    .max_flat_workgroup_size: 64
    .name:           _ZN7rocprim17ROCPRIM_400000_NS6detail17trampoline_kernelINS0_14default_configENS1_20scan_config_selectorIlEEZZNS1_9scan_implILNS1_25lookback_scan_determinismE0ELb0ELb0ES3_PlS8_lN6thrust23THRUST_200600_302600_NS4plusIvEElEEDaPvRmT3_T4_T5_mT6_P12ihipStream_tbENKUlT_T0_E_clISt17integral_constantIbLb0EESQ_EEDaSL_SM_EUlSL_E0_NS1_11comp_targetILNS1_3genE2ELNS1_11target_archE906ELNS1_3gpuE6ELNS1_3repE0EEENS1_30default_config_static_selectorELNS0_4arch9wavefront6targetE1EEEvT1_
    .private_segment_fixed_size: 0
    .sgpr_count:     6
    .sgpr_spill_count: 0
    .symbol:         _ZN7rocprim17ROCPRIM_400000_NS6detail17trampoline_kernelINS0_14default_configENS1_20scan_config_selectorIlEEZZNS1_9scan_implILNS1_25lookback_scan_determinismE0ELb0ELb0ES3_PlS8_lN6thrust23THRUST_200600_302600_NS4plusIvEElEEDaPvRmT3_T4_T5_mT6_P12ihipStream_tbENKUlT_T0_E_clISt17integral_constantIbLb0EESQ_EEDaSL_SM_EUlSL_E0_NS1_11comp_targetILNS1_3genE2ELNS1_11target_archE906ELNS1_3gpuE6ELNS1_3repE0EEENS1_30default_config_static_selectorELNS0_4arch9wavefront6targetE1EEEvT1_.kd
    .uniform_work_group_size: 1
    .uses_dynamic_stack: false
    .vgpr_count:     0
    .vgpr_spill_count: 0
    .wavefront_size: 64
  - .agpr_count:     0
    .args:
      - .offset:         0
        .size:           40
        .value_kind:     by_value
    .group_segment_fixed_size: 0
    .kernarg_segment_align: 8
    .kernarg_segment_size: 40
    .language:       OpenCL C
    .language_version:
      - 2
      - 0
    .max_flat_workgroup_size: 256
    .name:           _ZN7rocprim17ROCPRIM_400000_NS6detail17trampoline_kernelINS0_14default_configENS1_20scan_config_selectorIlEEZZNS1_9scan_implILNS1_25lookback_scan_determinismE0ELb0ELb0ES3_PlS8_lN6thrust23THRUST_200600_302600_NS4plusIvEElEEDaPvRmT3_T4_T5_mT6_P12ihipStream_tbENKUlT_T0_E_clISt17integral_constantIbLb0EESQ_EEDaSL_SM_EUlSL_E0_NS1_11comp_targetILNS1_3genE10ELNS1_11target_archE1201ELNS1_3gpuE5ELNS1_3repE0EEENS1_30default_config_static_selectorELNS0_4arch9wavefront6targetE1EEEvT1_
    .private_segment_fixed_size: 0
    .sgpr_count:     6
    .sgpr_spill_count: 0
    .symbol:         _ZN7rocprim17ROCPRIM_400000_NS6detail17trampoline_kernelINS0_14default_configENS1_20scan_config_selectorIlEEZZNS1_9scan_implILNS1_25lookback_scan_determinismE0ELb0ELb0ES3_PlS8_lN6thrust23THRUST_200600_302600_NS4plusIvEElEEDaPvRmT3_T4_T5_mT6_P12ihipStream_tbENKUlT_T0_E_clISt17integral_constantIbLb0EESQ_EEDaSL_SM_EUlSL_E0_NS1_11comp_targetILNS1_3genE10ELNS1_11target_archE1201ELNS1_3gpuE5ELNS1_3repE0EEENS1_30default_config_static_selectorELNS0_4arch9wavefront6targetE1EEEvT1_.kd
    .uniform_work_group_size: 1
    .uses_dynamic_stack: false
    .vgpr_count:     0
    .vgpr_spill_count: 0
    .wavefront_size: 64
  - .agpr_count:     0
    .args:
      - .offset:         0
        .size:           40
        .value_kind:     by_value
    .group_segment_fixed_size: 0
    .kernarg_segment_align: 8
    .kernarg_segment_size: 40
    .language:       OpenCL C
    .language_version:
      - 2
      - 0
    .max_flat_workgroup_size: 256
    .name:           _ZN7rocprim17ROCPRIM_400000_NS6detail17trampoline_kernelINS0_14default_configENS1_20scan_config_selectorIlEEZZNS1_9scan_implILNS1_25lookback_scan_determinismE0ELb0ELb0ES3_PlS8_lN6thrust23THRUST_200600_302600_NS4plusIvEElEEDaPvRmT3_T4_T5_mT6_P12ihipStream_tbENKUlT_T0_E_clISt17integral_constantIbLb0EESQ_EEDaSL_SM_EUlSL_E0_NS1_11comp_targetILNS1_3genE10ELNS1_11target_archE1200ELNS1_3gpuE4ELNS1_3repE0EEENS1_30default_config_static_selectorELNS0_4arch9wavefront6targetE1EEEvT1_
    .private_segment_fixed_size: 0
    .sgpr_count:     6
    .sgpr_spill_count: 0
    .symbol:         _ZN7rocprim17ROCPRIM_400000_NS6detail17trampoline_kernelINS0_14default_configENS1_20scan_config_selectorIlEEZZNS1_9scan_implILNS1_25lookback_scan_determinismE0ELb0ELb0ES3_PlS8_lN6thrust23THRUST_200600_302600_NS4plusIvEElEEDaPvRmT3_T4_T5_mT6_P12ihipStream_tbENKUlT_T0_E_clISt17integral_constantIbLb0EESQ_EEDaSL_SM_EUlSL_E0_NS1_11comp_targetILNS1_3genE10ELNS1_11target_archE1200ELNS1_3gpuE4ELNS1_3repE0EEENS1_30default_config_static_selectorELNS0_4arch9wavefront6targetE1EEEvT1_.kd
    .uniform_work_group_size: 1
    .uses_dynamic_stack: false
    .vgpr_count:     0
    .vgpr_spill_count: 0
    .wavefront_size: 64
  - .agpr_count:     0
    .args:
      - .offset:         0
        .size:           40
        .value_kind:     by_value
    .group_segment_fixed_size: 0
    .kernarg_segment_align: 8
    .kernarg_segment_size: 40
    .language:       OpenCL C
    .language_version:
      - 2
      - 0
    .max_flat_workgroup_size: 256
    .name:           _ZN7rocprim17ROCPRIM_400000_NS6detail17trampoline_kernelINS0_14default_configENS1_20scan_config_selectorIlEEZZNS1_9scan_implILNS1_25lookback_scan_determinismE0ELb0ELb0ES3_PlS8_lN6thrust23THRUST_200600_302600_NS4plusIvEElEEDaPvRmT3_T4_T5_mT6_P12ihipStream_tbENKUlT_T0_E_clISt17integral_constantIbLb0EESQ_EEDaSL_SM_EUlSL_E0_NS1_11comp_targetILNS1_3genE9ELNS1_11target_archE1100ELNS1_3gpuE3ELNS1_3repE0EEENS1_30default_config_static_selectorELNS0_4arch9wavefront6targetE1EEEvT1_
    .private_segment_fixed_size: 0
    .sgpr_count:     6
    .sgpr_spill_count: 0
    .symbol:         _ZN7rocprim17ROCPRIM_400000_NS6detail17trampoline_kernelINS0_14default_configENS1_20scan_config_selectorIlEEZZNS1_9scan_implILNS1_25lookback_scan_determinismE0ELb0ELb0ES3_PlS8_lN6thrust23THRUST_200600_302600_NS4plusIvEElEEDaPvRmT3_T4_T5_mT6_P12ihipStream_tbENKUlT_T0_E_clISt17integral_constantIbLb0EESQ_EEDaSL_SM_EUlSL_E0_NS1_11comp_targetILNS1_3genE9ELNS1_11target_archE1100ELNS1_3gpuE3ELNS1_3repE0EEENS1_30default_config_static_selectorELNS0_4arch9wavefront6targetE1EEEvT1_.kd
    .uniform_work_group_size: 1
    .uses_dynamic_stack: false
    .vgpr_count:     0
    .vgpr_spill_count: 0
    .wavefront_size: 64
  - .agpr_count:     0
    .args:
      - .offset:         0
        .size:           40
        .value_kind:     by_value
    .group_segment_fixed_size: 0
    .kernarg_segment_align: 8
    .kernarg_segment_size: 40
    .language:       OpenCL C
    .language_version:
      - 2
      - 0
    .max_flat_workgroup_size: 256
    .name:           _ZN7rocprim17ROCPRIM_400000_NS6detail17trampoline_kernelINS0_14default_configENS1_20scan_config_selectorIlEEZZNS1_9scan_implILNS1_25lookback_scan_determinismE0ELb0ELb0ES3_PlS8_lN6thrust23THRUST_200600_302600_NS4plusIvEElEEDaPvRmT3_T4_T5_mT6_P12ihipStream_tbENKUlT_T0_E_clISt17integral_constantIbLb0EESQ_EEDaSL_SM_EUlSL_E0_NS1_11comp_targetILNS1_3genE8ELNS1_11target_archE1030ELNS1_3gpuE2ELNS1_3repE0EEENS1_30default_config_static_selectorELNS0_4arch9wavefront6targetE1EEEvT1_
    .private_segment_fixed_size: 0
    .sgpr_count:     6
    .sgpr_spill_count: 0
    .symbol:         _ZN7rocprim17ROCPRIM_400000_NS6detail17trampoline_kernelINS0_14default_configENS1_20scan_config_selectorIlEEZZNS1_9scan_implILNS1_25lookback_scan_determinismE0ELb0ELb0ES3_PlS8_lN6thrust23THRUST_200600_302600_NS4plusIvEElEEDaPvRmT3_T4_T5_mT6_P12ihipStream_tbENKUlT_T0_E_clISt17integral_constantIbLb0EESQ_EEDaSL_SM_EUlSL_E0_NS1_11comp_targetILNS1_3genE8ELNS1_11target_archE1030ELNS1_3gpuE2ELNS1_3repE0EEENS1_30default_config_static_selectorELNS0_4arch9wavefront6targetE1EEEvT1_.kd
    .uniform_work_group_size: 1
    .uses_dynamic_stack: false
    .vgpr_count:     0
    .vgpr_spill_count: 0
    .wavefront_size: 64
  - .agpr_count:     0
    .args:
      - .address_space:  global
        .offset:         0
        .size:           8
        .value_kind:     global_buffer
      - .offset:         8
        .size:           4
        .value_kind:     by_value
      - .address_space:  global
        .offset:         16
        .size:           8
        .value_kind:     global_buffer
      - .offset:         24
        .size:           4
        .value_kind:     by_value
      - .address_space:  global
        .offset:         32
        .size:           8
        .value_kind:     global_buffer
      - .offset:         40
        .size:           4
        .value_kind:     hidden_block_count_x
      - .offset:         44
        .size:           4
        .value_kind:     hidden_block_count_y
      - .offset:         48
        .size:           4
        .value_kind:     hidden_block_count_z
      - .offset:         52
        .size:           2
        .value_kind:     hidden_group_size_x
      - .offset:         54
        .size:           2
        .value_kind:     hidden_group_size_y
      - .offset:         56
        .size:           2
        .value_kind:     hidden_group_size_z
      - .offset:         58
        .size:           2
        .value_kind:     hidden_remainder_x
      - .offset:         60
        .size:           2
        .value_kind:     hidden_remainder_y
      - .offset:         62
        .size:           2
        .value_kind:     hidden_remainder_z
      - .offset:         80
        .size:           8
        .value_kind:     hidden_global_offset_x
      - .offset:         88
        .size:           8
        .value_kind:     hidden_global_offset_y
      - .offset:         96
        .size:           8
        .value_kind:     hidden_global_offset_z
      - .offset:         104
        .size:           2
        .value_kind:     hidden_grid_dims
    .group_segment_fixed_size: 0
    .kernarg_segment_align: 8
    .kernarg_segment_size: 296
    .language:       OpenCL C
    .language_version:
      - 2
      - 0
    .max_flat_workgroup_size: 256
    .name:           _ZN7rocprim17ROCPRIM_400000_NS6detail31init_lookback_scan_state_kernelINS1_19lookback_scan_stateIlLb1ELb1EEENS1_16block_id_wrapperIjLb1EEEEEvT_jT0_jPNS7_10value_typeE
    .private_segment_fixed_size: 0
    .sgpr_count:     22
    .sgpr_spill_count: 0
    .symbol:         _ZN7rocprim17ROCPRIM_400000_NS6detail31init_lookback_scan_state_kernelINS1_19lookback_scan_stateIlLb1ELb1EEENS1_16block_id_wrapperIjLb1EEEEEvT_jT0_jPNS7_10value_typeE.kd
    .uniform_work_group_size: 1
    .uses_dynamic_stack: false
    .vgpr_count:     10
    .vgpr_spill_count: 0
    .wavefront_size: 64
  - .agpr_count:     0
    .args:
      - .offset:         0
        .size:           104
        .value_kind:     by_value
    .group_segment_fixed_size: 0
    .kernarg_segment_align: 8
    .kernarg_segment_size: 104
    .language:       OpenCL C
    .language_version:
      - 2
      - 0
    .max_flat_workgroup_size: 256
    .name:           _ZN7rocprim17ROCPRIM_400000_NS6detail17trampoline_kernelINS0_14default_configENS1_20scan_config_selectorIlEEZZNS1_9scan_implILNS1_25lookback_scan_determinismE0ELb0ELb0ES3_PlS8_lN6thrust23THRUST_200600_302600_NS4plusIvEElEEDaPvRmT3_T4_T5_mT6_P12ihipStream_tbENKUlT_T0_E_clISt17integral_constantIbLb1EESQ_EEDaSL_SM_EUlSL_E_NS1_11comp_targetILNS1_3genE0ELNS1_11target_archE4294967295ELNS1_3gpuE0ELNS1_3repE0EEENS1_30default_config_static_selectorELNS0_4arch9wavefront6targetE1EEEvT1_
    .private_segment_fixed_size: 0
    .sgpr_count:     6
    .sgpr_spill_count: 0
    .symbol:         _ZN7rocprim17ROCPRIM_400000_NS6detail17trampoline_kernelINS0_14default_configENS1_20scan_config_selectorIlEEZZNS1_9scan_implILNS1_25lookback_scan_determinismE0ELb0ELb0ES3_PlS8_lN6thrust23THRUST_200600_302600_NS4plusIvEElEEDaPvRmT3_T4_T5_mT6_P12ihipStream_tbENKUlT_T0_E_clISt17integral_constantIbLb1EESQ_EEDaSL_SM_EUlSL_E_NS1_11comp_targetILNS1_3genE0ELNS1_11target_archE4294967295ELNS1_3gpuE0ELNS1_3repE0EEENS1_30default_config_static_selectorELNS0_4arch9wavefront6targetE1EEEvT1_.kd
    .uniform_work_group_size: 1
    .uses_dynamic_stack: false
    .vgpr_count:     0
    .vgpr_spill_count: 0
    .wavefront_size: 64
  - .agpr_count:     0
    .args:
      - .offset:         0
        .size:           104
        .value_kind:     by_value
    .group_segment_fixed_size: 0
    .kernarg_segment_align: 8
    .kernarg_segment_size: 104
    .language:       OpenCL C
    .language_version:
      - 2
      - 0
    .max_flat_workgroup_size: 256
    .name:           _ZN7rocprim17ROCPRIM_400000_NS6detail17trampoline_kernelINS0_14default_configENS1_20scan_config_selectorIlEEZZNS1_9scan_implILNS1_25lookback_scan_determinismE0ELb0ELb0ES3_PlS8_lN6thrust23THRUST_200600_302600_NS4plusIvEElEEDaPvRmT3_T4_T5_mT6_P12ihipStream_tbENKUlT_T0_E_clISt17integral_constantIbLb1EESQ_EEDaSL_SM_EUlSL_E_NS1_11comp_targetILNS1_3genE5ELNS1_11target_archE942ELNS1_3gpuE9ELNS1_3repE0EEENS1_30default_config_static_selectorELNS0_4arch9wavefront6targetE1EEEvT1_
    .private_segment_fixed_size: 0
    .sgpr_count:     6
    .sgpr_spill_count: 0
    .symbol:         _ZN7rocprim17ROCPRIM_400000_NS6detail17trampoline_kernelINS0_14default_configENS1_20scan_config_selectorIlEEZZNS1_9scan_implILNS1_25lookback_scan_determinismE0ELb0ELb0ES3_PlS8_lN6thrust23THRUST_200600_302600_NS4plusIvEElEEDaPvRmT3_T4_T5_mT6_P12ihipStream_tbENKUlT_T0_E_clISt17integral_constantIbLb1EESQ_EEDaSL_SM_EUlSL_E_NS1_11comp_targetILNS1_3genE5ELNS1_11target_archE942ELNS1_3gpuE9ELNS1_3repE0EEENS1_30default_config_static_selectorELNS0_4arch9wavefront6targetE1EEEvT1_.kd
    .uniform_work_group_size: 1
    .uses_dynamic_stack: false
    .vgpr_count:     0
    .vgpr_spill_count: 0
    .wavefront_size: 64
  - .agpr_count:     0
    .args:
      - .offset:         0
        .size:           104
        .value_kind:     by_value
    .group_segment_fixed_size: 0
    .kernarg_segment_align: 8
    .kernarg_segment_size: 104
    .language:       OpenCL C
    .language_version:
      - 2
      - 0
    .max_flat_workgroup_size: 128
    .name:           _ZN7rocprim17ROCPRIM_400000_NS6detail17trampoline_kernelINS0_14default_configENS1_20scan_config_selectorIlEEZZNS1_9scan_implILNS1_25lookback_scan_determinismE0ELb0ELb0ES3_PlS8_lN6thrust23THRUST_200600_302600_NS4plusIvEElEEDaPvRmT3_T4_T5_mT6_P12ihipStream_tbENKUlT_T0_E_clISt17integral_constantIbLb1EESQ_EEDaSL_SM_EUlSL_E_NS1_11comp_targetILNS1_3genE4ELNS1_11target_archE910ELNS1_3gpuE8ELNS1_3repE0EEENS1_30default_config_static_selectorELNS0_4arch9wavefront6targetE1EEEvT1_
    .private_segment_fixed_size: 0
    .sgpr_count:     6
    .sgpr_spill_count: 0
    .symbol:         _ZN7rocprim17ROCPRIM_400000_NS6detail17trampoline_kernelINS0_14default_configENS1_20scan_config_selectorIlEEZZNS1_9scan_implILNS1_25lookback_scan_determinismE0ELb0ELb0ES3_PlS8_lN6thrust23THRUST_200600_302600_NS4plusIvEElEEDaPvRmT3_T4_T5_mT6_P12ihipStream_tbENKUlT_T0_E_clISt17integral_constantIbLb1EESQ_EEDaSL_SM_EUlSL_E_NS1_11comp_targetILNS1_3genE4ELNS1_11target_archE910ELNS1_3gpuE8ELNS1_3repE0EEENS1_30default_config_static_selectorELNS0_4arch9wavefront6targetE1EEEvT1_.kd
    .uniform_work_group_size: 1
    .uses_dynamic_stack: false
    .vgpr_count:     0
    .vgpr_spill_count: 0
    .wavefront_size: 64
  - .agpr_count:     0
    .args:
      - .offset:         0
        .size:           104
        .value_kind:     by_value
    .group_segment_fixed_size: 0
    .kernarg_segment_align: 8
    .kernarg_segment_size: 104
    .language:       OpenCL C
    .language_version:
      - 2
      - 0
    .max_flat_workgroup_size: 256
    .name:           _ZN7rocprim17ROCPRIM_400000_NS6detail17trampoline_kernelINS0_14default_configENS1_20scan_config_selectorIlEEZZNS1_9scan_implILNS1_25lookback_scan_determinismE0ELb0ELb0ES3_PlS8_lN6thrust23THRUST_200600_302600_NS4plusIvEElEEDaPvRmT3_T4_T5_mT6_P12ihipStream_tbENKUlT_T0_E_clISt17integral_constantIbLb1EESQ_EEDaSL_SM_EUlSL_E_NS1_11comp_targetILNS1_3genE3ELNS1_11target_archE908ELNS1_3gpuE7ELNS1_3repE0EEENS1_30default_config_static_selectorELNS0_4arch9wavefront6targetE1EEEvT1_
    .private_segment_fixed_size: 0
    .sgpr_count:     6
    .sgpr_spill_count: 0
    .symbol:         _ZN7rocprim17ROCPRIM_400000_NS6detail17trampoline_kernelINS0_14default_configENS1_20scan_config_selectorIlEEZZNS1_9scan_implILNS1_25lookback_scan_determinismE0ELb0ELb0ES3_PlS8_lN6thrust23THRUST_200600_302600_NS4plusIvEElEEDaPvRmT3_T4_T5_mT6_P12ihipStream_tbENKUlT_T0_E_clISt17integral_constantIbLb1EESQ_EEDaSL_SM_EUlSL_E_NS1_11comp_targetILNS1_3genE3ELNS1_11target_archE908ELNS1_3gpuE7ELNS1_3repE0EEENS1_30default_config_static_selectorELNS0_4arch9wavefront6targetE1EEEvT1_.kd
    .uniform_work_group_size: 1
    .uses_dynamic_stack: false
    .vgpr_count:     0
    .vgpr_spill_count: 0
    .wavefront_size: 64
  - .agpr_count:     0
    .args:
      - .offset:         0
        .size:           104
        .value_kind:     by_value
    .group_segment_fixed_size: 0
    .kernarg_segment_align: 8
    .kernarg_segment_size: 104
    .language:       OpenCL C
    .language_version:
      - 2
      - 0
    .max_flat_workgroup_size: 64
    .name:           _ZN7rocprim17ROCPRIM_400000_NS6detail17trampoline_kernelINS0_14default_configENS1_20scan_config_selectorIlEEZZNS1_9scan_implILNS1_25lookback_scan_determinismE0ELb0ELb0ES3_PlS8_lN6thrust23THRUST_200600_302600_NS4plusIvEElEEDaPvRmT3_T4_T5_mT6_P12ihipStream_tbENKUlT_T0_E_clISt17integral_constantIbLb1EESQ_EEDaSL_SM_EUlSL_E_NS1_11comp_targetILNS1_3genE2ELNS1_11target_archE906ELNS1_3gpuE6ELNS1_3repE0EEENS1_30default_config_static_selectorELNS0_4arch9wavefront6targetE1EEEvT1_
    .private_segment_fixed_size: 0
    .sgpr_count:     6
    .sgpr_spill_count: 0
    .symbol:         _ZN7rocprim17ROCPRIM_400000_NS6detail17trampoline_kernelINS0_14default_configENS1_20scan_config_selectorIlEEZZNS1_9scan_implILNS1_25lookback_scan_determinismE0ELb0ELb0ES3_PlS8_lN6thrust23THRUST_200600_302600_NS4plusIvEElEEDaPvRmT3_T4_T5_mT6_P12ihipStream_tbENKUlT_T0_E_clISt17integral_constantIbLb1EESQ_EEDaSL_SM_EUlSL_E_NS1_11comp_targetILNS1_3genE2ELNS1_11target_archE906ELNS1_3gpuE6ELNS1_3repE0EEENS1_30default_config_static_selectorELNS0_4arch9wavefront6targetE1EEEvT1_.kd
    .uniform_work_group_size: 1
    .uses_dynamic_stack: false
    .vgpr_count:     0
    .vgpr_spill_count: 0
    .wavefront_size: 64
  - .agpr_count:     0
    .args:
      - .offset:         0
        .size:           104
        .value_kind:     by_value
    .group_segment_fixed_size: 0
    .kernarg_segment_align: 8
    .kernarg_segment_size: 104
    .language:       OpenCL C
    .language_version:
      - 2
      - 0
    .max_flat_workgroup_size: 256
    .name:           _ZN7rocprim17ROCPRIM_400000_NS6detail17trampoline_kernelINS0_14default_configENS1_20scan_config_selectorIlEEZZNS1_9scan_implILNS1_25lookback_scan_determinismE0ELb0ELb0ES3_PlS8_lN6thrust23THRUST_200600_302600_NS4plusIvEElEEDaPvRmT3_T4_T5_mT6_P12ihipStream_tbENKUlT_T0_E_clISt17integral_constantIbLb1EESQ_EEDaSL_SM_EUlSL_E_NS1_11comp_targetILNS1_3genE10ELNS1_11target_archE1201ELNS1_3gpuE5ELNS1_3repE0EEENS1_30default_config_static_selectorELNS0_4arch9wavefront6targetE1EEEvT1_
    .private_segment_fixed_size: 0
    .sgpr_count:     6
    .sgpr_spill_count: 0
    .symbol:         _ZN7rocprim17ROCPRIM_400000_NS6detail17trampoline_kernelINS0_14default_configENS1_20scan_config_selectorIlEEZZNS1_9scan_implILNS1_25lookback_scan_determinismE0ELb0ELb0ES3_PlS8_lN6thrust23THRUST_200600_302600_NS4plusIvEElEEDaPvRmT3_T4_T5_mT6_P12ihipStream_tbENKUlT_T0_E_clISt17integral_constantIbLb1EESQ_EEDaSL_SM_EUlSL_E_NS1_11comp_targetILNS1_3genE10ELNS1_11target_archE1201ELNS1_3gpuE5ELNS1_3repE0EEENS1_30default_config_static_selectorELNS0_4arch9wavefront6targetE1EEEvT1_.kd
    .uniform_work_group_size: 1
    .uses_dynamic_stack: false
    .vgpr_count:     0
    .vgpr_spill_count: 0
    .wavefront_size: 64
  - .agpr_count:     0
    .args:
      - .offset:         0
        .size:           104
        .value_kind:     by_value
    .group_segment_fixed_size: 0
    .kernarg_segment_align: 8
    .kernarg_segment_size: 104
    .language:       OpenCL C
    .language_version:
      - 2
      - 0
    .max_flat_workgroup_size: 256
    .name:           _ZN7rocprim17ROCPRIM_400000_NS6detail17trampoline_kernelINS0_14default_configENS1_20scan_config_selectorIlEEZZNS1_9scan_implILNS1_25lookback_scan_determinismE0ELb0ELb0ES3_PlS8_lN6thrust23THRUST_200600_302600_NS4plusIvEElEEDaPvRmT3_T4_T5_mT6_P12ihipStream_tbENKUlT_T0_E_clISt17integral_constantIbLb1EESQ_EEDaSL_SM_EUlSL_E_NS1_11comp_targetILNS1_3genE10ELNS1_11target_archE1200ELNS1_3gpuE4ELNS1_3repE0EEENS1_30default_config_static_selectorELNS0_4arch9wavefront6targetE1EEEvT1_
    .private_segment_fixed_size: 0
    .sgpr_count:     6
    .sgpr_spill_count: 0
    .symbol:         _ZN7rocprim17ROCPRIM_400000_NS6detail17trampoline_kernelINS0_14default_configENS1_20scan_config_selectorIlEEZZNS1_9scan_implILNS1_25lookback_scan_determinismE0ELb0ELb0ES3_PlS8_lN6thrust23THRUST_200600_302600_NS4plusIvEElEEDaPvRmT3_T4_T5_mT6_P12ihipStream_tbENKUlT_T0_E_clISt17integral_constantIbLb1EESQ_EEDaSL_SM_EUlSL_E_NS1_11comp_targetILNS1_3genE10ELNS1_11target_archE1200ELNS1_3gpuE4ELNS1_3repE0EEENS1_30default_config_static_selectorELNS0_4arch9wavefront6targetE1EEEvT1_.kd
    .uniform_work_group_size: 1
    .uses_dynamic_stack: false
    .vgpr_count:     0
    .vgpr_spill_count: 0
    .wavefront_size: 64
  - .agpr_count:     0
    .args:
      - .offset:         0
        .size:           104
        .value_kind:     by_value
    .group_segment_fixed_size: 0
    .kernarg_segment_align: 8
    .kernarg_segment_size: 104
    .language:       OpenCL C
    .language_version:
      - 2
      - 0
    .max_flat_workgroup_size: 256
    .name:           _ZN7rocprim17ROCPRIM_400000_NS6detail17trampoline_kernelINS0_14default_configENS1_20scan_config_selectorIlEEZZNS1_9scan_implILNS1_25lookback_scan_determinismE0ELb0ELb0ES3_PlS8_lN6thrust23THRUST_200600_302600_NS4plusIvEElEEDaPvRmT3_T4_T5_mT6_P12ihipStream_tbENKUlT_T0_E_clISt17integral_constantIbLb1EESQ_EEDaSL_SM_EUlSL_E_NS1_11comp_targetILNS1_3genE9ELNS1_11target_archE1100ELNS1_3gpuE3ELNS1_3repE0EEENS1_30default_config_static_selectorELNS0_4arch9wavefront6targetE1EEEvT1_
    .private_segment_fixed_size: 0
    .sgpr_count:     6
    .sgpr_spill_count: 0
    .symbol:         _ZN7rocprim17ROCPRIM_400000_NS6detail17trampoline_kernelINS0_14default_configENS1_20scan_config_selectorIlEEZZNS1_9scan_implILNS1_25lookback_scan_determinismE0ELb0ELb0ES3_PlS8_lN6thrust23THRUST_200600_302600_NS4plusIvEElEEDaPvRmT3_T4_T5_mT6_P12ihipStream_tbENKUlT_T0_E_clISt17integral_constantIbLb1EESQ_EEDaSL_SM_EUlSL_E_NS1_11comp_targetILNS1_3genE9ELNS1_11target_archE1100ELNS1_3gpuE3ELNS1_3repE0EEENS1_30default_config_static_selectorELNS0_4arch9wavefront6targetE1EEEvT1_.kd
    .uniform_work_group_size: 1
    .uses_dynamic_stack: false
    .vgpr_count:     0
    .vgpr_spill_count: 0
    .wavefront_size: 64
  - .agpr_count:     0
    .args:
      - .offset:         0
        .size:           104
        .value_kind:     by_value
    .group_segment_fixed_size: 0
    .kernarg_segment_align: 8
    .kernarg_segment_size: 104
    .language:       OpenCL C
    .language_version:
      - 2
      - 0
    .max_flat_workgroup_size: 256
    .name:           _ZN7rocprim17ROCPRIM_400000_NS6detail17trampoline_kernelINS0_14default_configENS1_20scan_config_selectorIlEEZZNS1_9scan_implILNS1_25lookback_scan_determinismE0ELb0ELb0ES3_PlS8_lN6thrust23THRUST_200600_302600_NS4plusIvEElEEDaPvRmT3_T4_T5_mT6_P12ihipStream_tbENKUlT_T0_E_clISt17integral_constantIbLb1EESQ_EEDaSL_SM_EUlSL_E_NS1_11comp_targetILNS1_3genE8ELNS1_11target_archE1030ELNS1_3gpuE2ELNS1_3repE0EEENS1_30default_config_static_selectorELNS0_4arch9wavefront6targetE1EEEvT1_
    .private_segment_fixed_size: 0
    .sgpr_count:     6
    .sgpr_spill_count: 0
    .symbol:         _ZN7rocprim17ROCPRIM_400000_NS6detail17trampoline_kernelINS0_14default_configENS1_20scan_config_selectorIlEEZZNS1_9scan_implILNS1_25lookback_scan_determinismE0ELb0ELb0ES3_PlS8_lN6thrust23THRUST_200600_302600_NS4plusIvEElEEDaPvRmT3_T4_T5_mT6_P12ihipStream_tbENKUlT_T0_E_clISt17integral_constantIbLb1EESQ_EEDaSL_SM_EUlSL_E_NS1_11comp_targetILNS1_3genE8ELNS1_11target_archE1030ELNS1_3gpuE2ELNS1_3repE0EEENS1_30default_config_static_selectorELNS0_4arch9wavefront6targetE1EEEvT1_.kd
    .uniform_work_group_size: 1
    .uses_dynamic_stack: false
    .vgpr_count:     0
    .vgpr_spill_count: 0
    .wavefront_size: 64
  - .agpr_count:     0
    .args:
      - .offset:         0
        .size:           40
        .value_kind:     by_value
    .group_segment_fixed_size: 12288
    .kernarg_segment_align: 8
    .kernarg_segment_size: 40
    .language:       OpenCL C
    .language_version:
      - 2
      - 0
    .max_flat_workgroup_size: 256
    .name:           _ZN7rocprim17ROCPRIM_400000_NS6detail17trampoline_kernelINS0_14default_configENS1_20scan_config_selectorIlEEZZNS1_9scan_implILNS1_25lookback_scan_determinismE0ELb0ELb0ES3_PlS8_lN6thrust23THRUST_200600_302600_NS4plusIvEElEEDaPvRmT3_T4_T5_mT6_P12ihipStream_tbENKUlT_T0_E_clISt17integral_constantIbLb1EESQ_EEDaSL_SM_EUlSL_E0_NS1_11comp_targetILNS1_3genE0ELNS1_11target_archE4294967295ELNS1_3gpuE0ELNS1_3repE0EEENS1_30default_config_static_selectorELNS0_4arch9wavefront6targetE1EEEvT1_
    .private_segment_fixed_size: 0
    .sgpr_count:     26
    .sgpr_spill_count: 0
    .symbol:         _ZN7rocprim17ROCPRIM_400000_NS6detail17trampoline_kernelINS0_14default_configENS1_20scan_config_selectorIlEEZZNS1_9scan_implILNS1_25lookback_scan_determinismE0ELb0ELb0ES3_PlS8_lN6thrust23THRUST_200600_302600_NS4plusIvEElEEDaPvRmT3_T4_T5_mT6_P12ihipStream_tbENKUlT_T0_E_clISt17integral_constantIbLb1EESQ_EEDaSL_SM_EUlSL_E0_NS1_11comp_targetILNS1_3genE0ELNS1_11target_archE4294967295ELNS1_3gpuE0ELNS1_3repE0EEENS1_30default_config_static_selectorELNS0_4arch9wavefront6targetE1EEEvT1_.kd
    .uniform_work_group_size: 1
    .uses_dynamic_stack: false
    .vgpr_count:     35
    .vgpr_spill_count: 0
    .wavefront_size: 64
  - .agpr_count:     0
    .args:
      - .offset:         0
        .size:           40
        .value_kind:     by_value
    .group_segment_fixed_size: 0
    .kernarg_segment_align: 8
    .kernarg_segment_size: 40
    .language:       OpenCL C
    .language_version:
      - 2
      - 0
    .max_flat_workgroup_size: 256
    .name:           _ZN7rocprim17ROCPRIM_400000_NS6detail17trampoline_kernelINS0_14default_configENS1_20scan_config_selectorIlEEZZNS1_9scan_implILNS1_25lookback_scan_determinismE0ELb0ELb0ES3_PlS8_lN6thrust23THRUST_200600_302600_NS4plusIvEElEEDaPvRmT3_T4_T5_mT6_P12ihipStream_tbENKUlT_T0_E_clISt17integral_constantIbLb1EESQ_EEDaSL_SM_EUlSL_E0_NS1_11comp_targetILNS1_3genE5ELNS1_11target_archE942ELNS1_3gpuE9ELNS1_3repE0EEENS1_30default_config_static_selectorELNS0_4arch9wavefront6targetE1EEEvT1_
    .private_segment_fixed_size: 0
    .sgpr_count:     6
    .sgpr_spill_count: 0
    .symbol:         _ZN7rocprim17ROCPRIM_400000_NS6detail17trampoline_kernelINS0_14default_configENS1_20scan_config_selectorIlEEZZNS1_9scan_implILNS1_25lookback_scan_determinismE0ELb0ELb0ES3_PlS8_lN6thrust23THRUST_200600_302600_NS4plusIvEElEEDaPvRmT3_T4_T5_mT6_P12ihipStream_tbENKUlT_T0_E_clISt17integral_constantIbLb1EESQ_EEDaSL_SM_EUlSL_E0_NS1_11comp_targetILNS1_3genE5ELNS1_11target_archE942ELNS1_3gpuE9ELNS1_3repE0EEENS1_30default_config_static_selectorELNS0_4arch9wavefront6targetE1EEEvT1_.kd
    .uniform_work_group_size: 1
    .uses_dynamic_stack: false
    .vgpr_count:     0
    .vgpr_spill_count: 0
    .wavefront_size: 64
  - .agpr_count:     0
    .args:
      - .offset:         0
        .size:           40
        .value_kind:     by_value
    .group_segment_fixed_size: 0
    .kernarg_segment_align: 8
    .kernarg_segment_size: 40
    .language:       OpenCL C
    .language_version:
      - 2
      - 0
    .max_flat_workgroup_size: 128
    .name:           _ZN7rocprim17ROCPRIM_400000_NS6detail17trampoline_kernelINS0_14default_configENS1_20scan_config_selectorIlEEZZNS1_9scan_implILNS1_25lookback_scan_determinismE0ELb0ELb0ES3_PlS8_lN6thrust23THRUST_200600_302600_NS4plusIvEElEEDaPvRmT3_T4_T5_mT6_P12ihipStream_tbENKUlT_T0_E_clISt17integral_constantIbLb1EESQ_EEDaSL_SM_EUlSL_E0_NS1_11comp_targetILNS1_3genE4ELNS1_11target_archE910ELNS1_3gpuE8ELNS1_3repE0EEENS1_30default_config_static_selectorELNS0_4arch9wavefront6targetE1EEEvT1_
    .private_segment_fixed_size: 0
    .sgpr_count:     6
    .sgpr_spill_count: 0
    .symbol:         _ZN7rocprim17ROCPRIM_400000_NS6detail17trampoline_kernelINS0_14default_configENS1_20scan_config_selectorIlEEZZNS1_9scan_implILNS1_25lookback_scan_determinismE0ELb0ELb0ES3_PlS8_lN6thrust23THRUST_200600_302600_NS4plusIvEElEEDaPvRmT3_T4_T5_mT6_P12ihipStream_tbENKUlT_T0_E_clISt17integral_constantIbLb1EESQ_EEDaSL_SM_EUlSL_E0_NS1_11comp_targetILNS1_3genE4ELNS1_11target_archE910ELNS1_3gpuE8ELNS1_3repE0EEENS1_30default_config_static_selectorELNS0_4arch9wavefront6targetE1EEEvT1_.kd
    .uniform_work_group_size: 1
    .uses_dynamic_stack: false
    .vgpr_count:     0
    .vgpr_spill_count: 0
    .wavefront_size: 64
  - .agpr_count:     0
    .args:
      - .offset:         0
        .size:           40
        .value_kind:     by_value
    .group_segment_fixed_size: 0
    .kernarg_segment_align: 8
    .kernarg_segment_size: 40
    .language:       OpenCL C
    .language_version:
      - 2
      - 0
    .max_flat_workgroup_size: 256
    .name:           _ZN7rocprim17ROCPRIM_400000_NS6detail17trampoline_kernelINS0_14default_configENS1_20scan_config_selectorIlEEZZNS1_9scan_implILNS1_25lookback_scan_determinismE0ELb0ELb0ES3_PlS8_lN6thrust23THRUST_200600_302600_NS4plusIvEElEEDaPvRmT3_T4_T5_mT6_P12ihipStream_tbENKUlT_T0_E_clISt17integral_constantIbLb1EESQ_EEDaSL_SM_EUlSL_E0_NS1_11comp_targetILNS1_3genE3ELNS1_11target_archE908ELNS1_3gpuE7ELNS1_3repE0EEENS1_30default_config_static_selectorELNS0_4arch9wavefront6targetE1EEEvT1_
    .private_segment_fixed_size: 0
    .sgpr_count:     6
    .sgpr_spill_count: 0
    .symbol:         _ZN7rocprim17ROCPRIM_400000_NS6detail17trampoline_kernelINS0_14default_configENS1_20scan_config_selectorIlEEZZNS1_9scan_implILNS1_25lookback_scan_determinismE0ELb0ELb0ES3_PlS8_lN6thrust23THRUST_200600_302600_NS4plusIvEElEEDaPvRmT3_T4_T5_mT6_P12ihipStream_tbENKUlT_T0_E_clISt17integral_constantIbLb1EESQ_EEDaSL_SM_EUlSL_E0_NS1_11comp_targetILNS1_3genE3ELNS1_11target_archE908ELNS1_3gpuE7ELNS1_3repE0EEENS1_30default_config_static_selectorELNS0_4arch9wavefront6targetE1EEEvT1_.kd
    .uniform_work_group_size: 1
    .uses_dynamic_stack: false
    .vgpr_count:     0
    .vgpr_spill_count: 0
    .wavefront_size: 64
  - .agpr_count:     0
    .args:
      - .offset:         0
        .size:           40
        .value_kind:     by_value
    .group_segment_fixed_size: 0
    .kernarg_segment_align: 8
    .kernarg_segment_size: 40
    .language:       OpenCL C
    .language_version:
      - 2
      - 0
    .max_flat_workgroup_size: 64
    .name:           _ZN7rocprim17ROCPRIM_400000_NS6detail17trampoline_kernelINS0_14default_configENS1_20scan_config_selectorIlEEZZNS1_9scan_implILNS1_25lookback_scan_determinismE0ELb0ELb0ES3_PlS8_lN6thrust23THRUST_200600_302600_NS4plusIvEElEEDaPvRmT3_T4_T5_mT6_P12ihipStream_tbENKUlT_T0_E_clISt17integral_constantIbLb1EESQ_EEDaSL_SM_EUlSL_E0_NS1_11comp_targetILNS1_3genE2ELNS1_11target_archE906ELNS1_3gpuE6ELNS1_3repE0EEENS1_30default_config_static_selectorELNS0_4arch9wavefront6targetE1EEEvT1_
    .private_segment_fixed_size: 0
    .sgpr_count:     6
    .sgpr_spill_count: 0
    .symbol:         _ZN7rocprim17ROCPRIM_400000_NS6detail17trampoline_kernelINS0_14default_configENS1_20scan_config_selectorIlEEZZNS1_9scan_implILNS1_25lookback_scan_determinismE0ELb0ELb0ES3_PlS8_lN6thrust23THRUST_200600_302600_NS4plusIvEElEEDaPvRmT3_T4_T5_mT6_P12ihipStream_tbENKUlT_T0_E_clISt17integral_constantIbLb1EESQ_EEDaSL_SM_EUlSL_E0_NS1_11comp_targetILNS1_3genE2ELNS1_11target_archE906ELNS1_3gpuE6ELNS1_3repE0EEENS1_30default_config_static_selectorELNS0_4arch9wavefront6targetE1EEEvT1_.kd
    .uniform_work_group_size: 1
    .uses_dynamic_stack: false
    .vgpr_count:     0
    .vgpr_spill_count: 0
    .wavefront_size: 64
  - .agpr_count:     0
    .args:
      - .offset:         0
        .size:           40
        .value_kind:     by_value
    .group_segment_fixed_size: 0
    .kernarg_segment_align: 8
    .kernarg_segment_size: 40
    .language:       OpenCL C
    .language_version:
      - 2
      - 0
    .max_flat_workgroup_size: 256
    .name:           _ZN7rocprim17ROCPRIM_400000_NS6detail17trampoline_kernelINS0_14default_configENS1_20scan_config_selectorIlEEZZNS1_9scan_implILNS1_25lookback_scan_determinismE0ELb0ELb0ES3_PlS8_lN6thrust23THRUST_200600_302600_NS4plusIvEElEEDaPvRmT3_T4_T5_mT6_P12ihipStream_tbENKUlT_T0_E_clISt17integral_constantIbLb1EESQ_EEDaSL_SM_EUlSL_E0_NS1_11comp_targetILNS1_3genE10ELNS1_11target_archE1201ELNS1_3gpuE5ELNS1_3repE0EEENS1_30default_config_static_selectorELNS0_4arch9wavefront6targetE1EEEvT1_
    .private_segment_fixed_size: 0
    .sgpr_count:     6
    .sgpr_spill_count: 0
    .symbol:         _ZN7rocprim17ROCPRIM_400000_NS6detail17trampoline_kernelINS0_14default_configENS1_20scan_config_selectorIlEEZZNS1_9scan_implILNS1_25lookback_scan_determinismE0ELb0ELb0ES3_PlS8_lN6thrust23THRUST_200600_302600_NS4plusIvEElEEDaPvRmT3_T4_T5_mT6_P12ihipStream_tbENKUlT_T0_E_clISt17integral_constantIbLb1EESQ_EEDaSL_SM_EUlSL_E0_NS1_11comp_targetILNS1_3genE10ELNS1_11target_archE1201ELNS1_3gpuE5ELNS1_3repE0EEENS1_30default_config_static_selectorELNS0_4arch9wavefront6targetE1EEEvT1_.kd
    .uniform_work_group_size: 1
    .uses_dynamic_stack: false
    .vgpr_count:     0
    .vgpr_spill_count: 0
    .wavefront_size: 64
  - .agpr_count:     0
    .args:
      - .offset:         0
        .size:           40
        .value_kind:     by_value
    .group_segment_fixed_size: 0
    .kernarg_segment_align: 8
    .kernarg_segment_size: 40
    .language:       OpenCL C
    .language_version:
      - 2
      - 0
    .max_flat_workgroup_size: 256
    .name:           _ZN7rocprim17ROCPRIM_400000_NS6detail17trampoline_kernelINS0_14default_configENS1_20scan_config_selectorIlEEZZNS1_9scan_implILNS1_25lookback_scan_determinismE0ELb0ELb0ES3_PlS8_lN6thrust23THRUST_200600_302600_NS4plusIvEElEEDaPvRmT3_T4_T5_mT6_P12ihipStream_tbENKUlT_T0_E_clISt17integral_constantIbLb1EESQ_EEDaSL_SM_EUlSL_E0_NS1_11comp_targetILNS1_3genE10ELNS1_11target_archE1200ELNS1_3gpuE4ELNS1_3repE0EEENS1_30default_config_static_selectorELNS0_4arch9wavefront6targetE1EEEvT1_
    .private_segment_fixed_size: 0
    .sgpr_count:     6
    .sgpr_spill_count: 0
    .symbol:         _ZN7rocprim17ROCPRIM_400000_NS6detail17trampoline_kernelINS0_14default_configENS1_20scan_config_selectorIlEEZZNS1_9scan_implILNS1_25lookback_scan_determinismE0ELb0ELb0ES3_PlS8_lN6thrust23THRUST_200600_302600_NS4plusIvEElEEDaPvRmT3_T4_T5_mT6_P12ihipStream_tbENKUlT_T0_E_clISt17integral_constantIbLb1EESQ_EEDaSL_SM_EUlSL_E0_NS1_11comp_targetILNS1_3genE10ELNS1_11target_archE1200ELNS1_3gpuE4ELNS1_3repE0EEENS1_30default_config_static_selectorELNS0_4arch9wavefront6targetE1EEEvT1_.kd
    .uniform_work_group_size: 1
    .uses_dynamic_stack: false
    .vgpr_count:     0
    .vgpr_spill_count: 0
    .wavefront_size: 64
  - .agpr_count:     0
    .args:
      - .offset:         0
        .size:           40
        .value_kind:     by_value
    .group_segment_fixed_size: 0
    .kernarg_segment_align: 8
    .kernarg_segment_size: 40
    .language:       OpenCL C
    .language_version:
      - 2
      - 0
    .max_flat_workgroup_size: 256
    .name:           _ZN7rocprim17ROCPRIM_400000_NS6detail17trampoline_kernelINS0_14default_configENS1_20scan_config_selectorIlEEZZNS1_9scan_implILNS1_25lookback_scan_determinismE0ELb0ELb0ES3_PlS8_lN6thrust23THRUST_200600_302600_NS4plusIvEElEEDaPvRmT3_T4_T5_mT6_P12ihipStream_tbENKUlT_T0_E_clISt17integral_constantIbLb1EESQ_EEDaSL_SM_EUlSL_E0_NS1_11comp_targetILNS1_3genE9ELNS1_11target_archE1100ELNS1_3gpuE3ELNS1_3repE0EEENS1_30default_config_static_selectorELNS0_4arch9wavefront6targetE1EEEvT1_
    .private_segment_fixed_size: 0
    .sgpr_count:     6
    .sgpr_spill_count: 0
    .symbol:         _ZN7rocprim17ROCPRIM_400000_NS6detail17trampoline_kernelINS0_14default_configENS1_20scan_config_selectorIlEEZZNS1_9scan_implILNS1_25lookback_scan_determinismE0ELb0ELb0ES3_PlS8_lN6thrust23THRUST_200600_302600_NS4plusIvEElEEDaPvRmT3_T4_T5_mT6_P12ihipStream_tbENKUlT_T0_E_clISt17integral_constantIbLb1EESQ_EEDaSL_SM_EUlSL_E0_NS1_11comp_targetILNS1_3genE9ELNS1_11target_archE1100ELNS1_3gpuE3ELNS1_3repE0EEENS1_30default_config_static_selectorELNS0_4arch9wavefront6targetE1EEEvT1_.kd
    .uniform_work_group_size: 1
    .uses_dynamic_stack: false
    .vgpr_count:     0
    .vgpr_spill_count: 0
    .wavefront_size: 64
  - .agpr_count:     0
    .args:
      - .offset:         0
        .size:           40
        .value_kind:     by_value
    .group_segment_fixed_size: 0
    .kernarg_segment_align: 8
    .kernarg_segment_size: 40
    .language:       OpenCL C
    .language_version:
      - 2
      - 0
    .max_flat_workgroup_size: 256
    .name:           _ZN7rocprim17ROCPRIM_400000_NS6detail17trampoline_kernelINS0_14default_configENS1_20scan_config_selectorIlEEZZNS1_9scan_implILNS1_25lookback_scan_determinismE0ELb0ELb0ES3_PlS8_lN6thrust23THRUST_200600_302600_NS4plusIvEElEEDaPvRmT3_T4_T5_mT6_P12ihipStream_tbENKUlT_T0_E_clISt17integral_constantIbLb1EESQ_EEDaSL_SM_EUlSL_E0_NS1_11comp_targetILNS1_3genE8ELNS1_11target_archE1030ELNS1_3gpuE2ELNS1_3repE0EEENS1_30default_config_static_selectorELNS0_4arch9wavefront6targetE1EEEvT1_
    .private_segment_fixed_size: 0
    .sgpr_count:     6
    .sgpr_spill_count: 0
    .symbol:         _ZN7rocprim17ROCPRIM_400000_NS6detail17trampoline_kernelINS0_14default_configENS1_20scan_config_selectorIlEEZZNS1_9scan_implILNS1_25lookback_scan_determinismE0ELb0ELb0ES3_PlS8_lN6thrust23THRUST_200600_302600_NS4plusIvEElEEDaPvRmT3_T4_T5_mT6_P12ihipStream_tbENKUlT_T0_E_clISt17integral_constantIbLb1EESQ_EEDaSL_SM_EUlSL_E0_NS1_11comp_targetILNS1_3genE8ELNS1_11target_archE1030ELNS1_3gpuE2ELNS1_3repE0EEENS1_30default_config_static_selectorELNS0_4arch9wavefront6targetE1EEEvT1_.kd
    .uniform_work_group_size: 1
    .uses_dynamic_stack: false
    .vgpr_count:     0
    .vgpr_spill_count: 0
    .wavefront_size: 64
  - .agpr_count:     0
    .args:
      - .address_space:  global
        .offset:         0
        .size:           8
        .value_kind:     global_buffer
      - .offset:         8
        .size:           4
        .value_kind:     by_value
      - .offset:         12
        .size:           1
        .value_kind:     by_value
      - .offset:         16
        .size:           4
        .value_kind:     by_value
      - .address_space:  global
        .offset:         24
        .size:           8
        .value_kind:     global_buffer
      - .offset:         32
        .size:           4
        .value_kind:     hidden_block_count_x
      - .offset:         36
        .size:           4
        .value_kind:     hidden_block_count_y
      - .offset:         40
        .size:           4
        .value_kind:     hidden_block_count_z
      - .offset:         44
        .size:           2
        .value_kind:     hidden_group_size_x
      - .offset:         46
        .size:           2
        .value_kind:     hidden_group_size_y
      - .offset:         48
        .size:           2
        .value_kind:     hidden_group_size_z
      - .offset:         50
        .size:           2
        .value_kind:     hidden_remainder_x
      - .offset:         52
        .size:           2
        .value_kind:     hidden_remainder_y
      - .offset:         54
        .size:           2
        .value_kind:     hidden_remainder_z
      - .offset:         72
        .size:           8
        .value_kind:     hidden_global_offset_x
      - .offset:         80
        .size:           8
        .value_kind:     hidden_global_offset_y
      - .offset:         88
        .size:           8
        .value_kind:     hidden_global_offset_z
      - .offset:         96
        .size:           2
        .value_kind:     hidden_grid_dims
    .group_segment_fixed_size: 0
    .kernarg_segment_align: 8
    .kernarg_segment_size: 288
    .language:       OpenCL C
    .language_version:
      - 2
      - 0
    .max_flat_workgroup_size: 256
    .name:           _ZN7rocprim17ROCPRIM_400000_NS6detail31init_lookback_scan_state_kernelINS1_19lookback_scan_stateIlLb1ELb1EEENS1_16block_id_wrapperIjLb0EEEEEvT_jT0_jPNS7_10value_typeE
    .private_segment_fixed_size: 0
    .sgpr_count:     20
    .sgpr_spill_count: 0
    .symbol:         _ZN7rocprim17ROCPRIM_400000_NS6detail31init_lookback_scan_state_kernelINS1_19lookback_scan_stateIlLb1ELb1EEENS1_16block_id_wrapperIjLb0EEEEEvT_jT0_jPNS7_10value_typeE.kd
    .uniform_work_group_size: 1
    .uses_dynamic_stack: false
    .vgpr_count:     10
    .vgpr_spill_count: 0
    .wavefront_size: 64
  - .agpr_count:     0
    .args:
      - .offset:         0
        .size:           104
        .value_kind:     by_value
    .group_segment_fixed_size: 0
    .kernarg_segment_align: 8
    .kernarg_segment_size: 104
    .language:       OpenCL C
    .language_version:
      - 2
      - 0
    .max_flat_workgroup_size: 256
    .name:           _ZN7rocprim17ROCPRIM_400000_NS6detail17trampoline_kernelINS0_14default_configENS1_20scan_config_selectorIlEEZZNS1_9scan_implILNS1_25lookback_scan_determinismE0ELb0ELb0ES3_PlS8_lN6thrust23THRUST_200600_302600_NS4plusIvEElEEDaPvRmT3_T4_T5_mT6_P12ihipStream_tbENKUlT_T0_E_clISt17integral_constantIbLb1EESP_IbLb0EEEEDaSL_SM_EUlSL_E_NS1_11comp_targetILNS1_3genE0ELNS1_11target_archE4294967295ELNS1_3gpuE0ELNS1_3repE0EEENS1_30default_config_static_selectorELNS0_4arch9wavefront6targetE1EEEvT1_
    .private_segment_fixed_size: 0
    .sgpr_count:     6
    .sgpr_spill_count: 0
    .symbol:         _ZN7rocprim17ROCPRIM_400000_NS6detail17trampoline_kernelINS0_14default_configENS1_20scan_config_selectorIlEEZZNS1_9scan_implILNS1_25lookback_scan_determinismE0ELb0ELb0ES3_PlS8_lN6thrust23THRUST_200600_302600_NS4plusIvEElEEDaPvRmT3_T4_T5_mT6_P12ihipStream_tbENKUlT_T0_E_clISt17integral_constantIbLb1EESP_IbLb0EEEEDaSL_SM_EUlSL_E_NS1_11comp_targetILNS1_3genE0ELNS1_11target_archE4294967295ELNS1_3gpuE0ELNS1_3repE0EEENS1_30default_config_static_selectorELNS0_4arch9wavefront6targetE1EEEvT1_.kd
    .uniform_work_group_size: 1
    .uses_dynamic_stack: false
    .vgpr_count:     0
    .vgpr_spill_count: 0
    .wavefront_size: 64
  - .agpr_count:     0
    .args:
      - .offset:         0
        .size:           104
        .value_kind:     by_value
    .group_segment_fixed_size: 0
    .kernarg_segment_align: 8
    .kernarg_segment_size: 104
    .language:       OpenCL C
    .language_version:
      - 2
      - 0
    .max_flat_workgroup_size: 256
    .name:           _ZN7rocprim17ROCPRIM_400000_NS6detail17trampoline_kernelINS0_14default_configENS1_20scan_config_selectorIlEEZZNS1_9scan_implILNS1_25lookback_scan_determinismE0ELb0ELb0ES3_PlS8_lN6thrust23THRUST_200600_302600_NS4plusIvEElEEDaPvRmT3_T4_T5_mT6_P12ihipStream_tbENKUlT_T0_E_clISt17integral_constantIbLb1EESP_IbLb0EEEEDaSL_SM_EUlSL_E_NS1_11comp_targetILNS1_3genE5ELNS1_11target_archE942ELNS1_3gpuE9ELNS1_3repE0EEENS1_30default_config_static_selectorELNS0_4arch9wavefront6targetE1EEEvT1_
    .private_segment_fixed_size: 0
    .sgpr_count:     6
    .sgpr_spill_count: 0
    .symbol:         _ZN7rocprim17ROCPRIM_400000_NS6detail17trampoline_kernelINS0_14default_configENS1_20scan_config_selectorIlEEZZNS1_9scan_implILNS1_25lookback_scan_determinismE0ELb0ELb0ES3_PlS8_lN6thrust23THRUST_200600_302600_NS4plusIvEElEEDaPvRmT3_T4_T5_mT6_P12ihipStream_tbENKUlT_T0_E_clISt17integral_constantIbLb1EESP_IbLb0EEEEDaSL_SM_EUlSL_E_NS1_11comp_targetILNS1_3genE5ELNS1_11target_archE942ELNS1_3gpuE9ELNS1_3repE0EEENS1_30default_config_static_selectorELNS0_4arch9wavefront6targetE1EEEvT1_.kd
    .uniform_work_group_size: 1
    .uses_dynamic_stack: false
    .vgpr_count:     0
    .vgpr_spill_count: 0
    .wavefront_size: 64
  - .agpr_count:     0
    .args:
      - .offset:         0
        .size:           104
        .value_kind:     by_value
    .group_segment_fixed_size: 0
    .kernarg_segment_align: 8
    .kernarg_segment_size: 104
    .language:       OpenCL C
    .language_version:
      - 2
      - 0
    .max_flat_workgroup_size: 128
    .name:           _ZN7rocprim17ROCPRIM_400000_NS6detail17trampoline_kernelINS0_14default_configENS1_20scan_config_selectorIlEEZZNS1_9scan_implILNS1_25lookback_scan_determinismE0ELb0ELb0ES3_PlS8_lN6thrust23THRUST_200600_302600_NS4plusIvEElEEDaPvRmT3_T4_T5_mT6_P12ihipStream_tbENKUlT_T0_E_clISt17integral_constantIbLb1EESP_IbLb0EEEEDaSL_SM_EUlSL_E_NS1_11comp_targetILNS1_3genE4ELNS1_11target_archE910ELNS1_3gpuE8ELNS1_3repE0EEENS1_30default_config_static_selectorELNS0_4arch9wavefront6targetE1EEEvT1_
    .private_segment_fixed_size: 0
    .sgpr_count:     6
    .sgpr_spill_count: 0
    .symbol:         _ZN7rocprim17ROCPRIM_400000_NS6detail17trampoline_kernelINS0_14default_configENS1_20scan_config_selectorIlEEZZNS1_9scan_implILNS1_25lookback_scan_determinismE0ELb0ELb0ES3_PlS8_lN6thrust23THRUST_200600_302600_NS4plusIvEElEEDaPvRmT3_T4_T5_mT6_P12ihipStream_tbENKUlT_T0_E_clISt17integral_constantIbLb1EESP_IbLb0EEEEDaSL_SM_EUlSL_E_NS1_11comp_targetILNS1_3genE4ELNS1_11target_archE910ELNS1_3gpuE8ELNS1_3repE0EEENS1_30default_config_static_selectorELNS0_4arch9wavefront6targetE1EEEvT1_.kd
    .uniform_work_group_size: 1
    .uses_dynamic_stack: false
    .vgpr_count:     0
    .vgpr_spill_count: 0
    .wavefront_size: 64
  - .agpr_count:     0
    .args:
      - .offset:         0
        .size:           104
        .value_kind:     by_value
    .group_segment_fixed_size: 0
    .kernarg_segment_align: 8
    .kernarg_segment_size: 104
    .language:       OpenCL C
    .language_version:
      - 2
      - 0
    .max_flat_workgroup_size: 256
    .name:           _ZN7rocprim17ROCPRIM_400000_NS6detail17trampoline_kernelINS0_14default_configENS1_20scan_config_selectorIlEEZZNS1_9scan_implILNS1_25lookback_scan_determinismE0ELb0ELb0ES3_PlS8_lN6thrust23THRUST_200600_302600_NS4plusIvEElEEDaPvRmT3_T4_T5_mT6_P12ihipStream_tbENKUlT_T0_E_clISt17integral_constantIbLb1EESP_IbLb0EEEEDaSL_SM_EUlSL_E_NS1_11comp_targetILNS1_3genE3ELNS1_11target_archE908ELNS1_3gpuE7ELNS1_3repE0EEENS1_30default_config_static_selectorELNS0_4arch9wavefront6targetE1EEEvT1_
    .private_segment_fixed_size: 0
    .sgpr_count:     6
    .sgpr_spill_count: 0
    .symbol:         _ZN7rocprim17ROCPRIM_400000_NS6detail17trampoline_kernelINS0_14default_configENS1_20scan_config_selectorIlEEZZNS1_9scan_implILNS1_25lookback_scan_determinismE0ELb0ELb0ES3_PlS8_lN6thrust23THRUST_200600_302600_NS4plusIvEElEEDaPvRmT3_T4_T5_mT6_P12ihipStream_tbENKUlT_T0_E_clISt17integral_constantIbLb1EESP_IbLb0EEEEDaSL_SM_EUlSL_E_NS1_11comp_targetILNS1_3genE3ELNS1_11target_archE908ELNS1_3gpuE7ELNS1_3repE0EEENS1_30default_config_static_selectorELNS0_4arch9wavefront6targetE1EEEvT1_.kd
    .uniform_work_group_size: 1
    .uses_dynamic_stack: false
    .vgpr_count:     0
    .vgpr_spill_count: 0
    .wavefront_size: 64
  - .agpr_count:     0
    .args:
      - .offset:         0
        .size:           104
        .value_kind:     by_value
    .group_segment_fixed_size: 0
    .kernarg_segment_align: 8
    .kernarg_segment_size: 104
    .language:       OpenCL C
    .language_version:
      - 2
      - 0
    .max_flat_workgroup_size: 64
    .name:           _ZN7rocprim17ROCPRIM_400000_NS6detail17trampoline_kernelINS0_14default_configENS1_20scan_config_selectorIlEEZZNS1_9scan_implILNS1_25lookback_scan_determinismE0ELb0ELb0ES3_PlS8_lN6thrust23THRUST_200600_302600_NS4plusIvEElEEDaPvRmT3_T4_T5_mT6_P12ihipStream_tbENKUlT_T0_E_clISt17integral_constantIbLb1EESP_IbLb0EEEEDaSL_SM_EUlSL_E_NS1_11comp_targetILNS1_3genE2ELNS1_11target_archE906ELNS1_3gpuE6ELNS1_3repE0EEENS1_30default_config_static_selectorELNS0_4arch9wavefront6targetE1EEEvT1_
    .private_segment_fixed_size: 0
    .sgpr_count:     6
    .sgpr_spill_count: 0
    .symbol:         _ZN7rocprim17ROCPRIM_400000_NS6detail17trampoline_kernelINS0_14default_configENS1_20scan_config_selectorIlEEZZNS1_9scan_implILNS1_25lookback_scan_determinismE0ELb0ELb0ES3_PlS8_lN6thrust23THRUST_200600_302600_NS4plusIvEElEEDaPvRmT3_T4_T5_mT6_P12ihipStream_tbENKUlT_T0_E_clISt17integral_constantIbLb1EESP_IbLb0EEEEDaSL_SM_EUlSL_E_NS1_11comp_targetILNS1_3genE2ELNS1_11target_archE906ELNS1_3gpuE6ELNS1_3repE0EEENS1_30default_config_static_selectorELNS0_4arch9wavefront6targetE1EEEvT1_.kd
    .uniform_work_group_size: 1
    .uses_dynamic_stack: false
    .vgpr_count:     0
    .vgpr_spill_count: 0
    .wavefront_size: 64
  - .agpr_count:     0
    .args:
      - .offset:         0
        .size:           104
        .value_kind:     by_value
    .group_segment_fixed_size: 0
    .kernarg_segment_align: 8
    .kernarg_segment_size: 104
    .language:       OpenCL C
    .language_version:
      - 2
      - 0
    .max_flat_workgroup_size: 256
    .name:           _ZN7rocprim17ROCPRIM_400000_NS6detail17trampoline_kernelINS0_14default_configENS1_20scan_config_selectorIlEEZZNS1_9scan_implILNS1_25lookback_scan_determinismE0ELb0ELb0ES3_PlS8_lN6thrust23THRUST_200600_302600_NS4plusIvEElEEDaPvRmT3_T4_T5_mT6_P12ihipStream_tbENKUlT_T0_E_clISt17integral_constantIbLb1EESP_IbLb0EEEEDaSL_SM_EUlSL_E_NS1_11comp_targetILNS1_3genE10ELNS1_11target_archE1201ELNS1_3gpuE5ELNS1_3repE0EEENS1_30default_config_static_selectorELNS0_4arch9wavefront6targetE1EEEvT1_
    .private_segment_fixed_size: 0
    .sgpr_count:     6
    .sgpr_spill_count: 0
    .symbol:         _ZN7rocprim17ROCPRIM_400000_NS6detail17trampoline_kernelINS0_14default_configENS1_20scan_config_selectorIlEEZZNS1_9scan_implILNS1_25lookback_scan_determinismE0ELb0ELb0ES3_PlS8_lN6thrust23THRUST_200600_302600_NS4plusIvEElEEDaPvRmT3_T4_T5_mT6_P12ihipStream_tbENKUlT_T0_E_clISt17integral_constantIbLb1EESP_IbLb0EEEEDaSL_SM_EUlSL_E_NS1_11comp_targetILNS1_3genE10ELNS1_11target_archE1201ELNS1_3gpuE5ELNS1_3repE0EEENS1_30default_config_static_selectorELNS0_4arch9wavefront6targetE1EEEvT1_.kd
    .uniform_work_group_size: 1
    .uses_dynamic_stack: false
    .vgpr_count:     0
    .vgpr_spill_count: 0
    .wavefront_size: 64
  - .agpr_count:     0
    .args:
      - .offset:         0
        .size:           104
        .value_kind:     by_value
    .group_segment_fixed_size: 0
    .kernarg_segment_align: 8
    .kernarg_segment_size: 104
    .language:       OpenCL C
    .language_version:
      - 2
      - 0
    .max_flat_workgroup_size: 256
    .name:           _ZN7rocprim17ROCPRIM_400000_NS6detail17trampoline_kernelINS0_14default_configENS1_20scan_config_selectorIlEEZZNS1_9scan_implILNS1_25lookback_scan_determinismE0ELb0ELb0ES3_PlS8_lN6thrust23THRUST_200600_302600_NS4plusIvEElEEDaPvRmT3_T4_T5_mT6_P12ihipStream_tbENKUlT_T0_E_clISt17integral_constantIbLb1EESP_IbLb0EEEEDaSL_SM_EUlSL_E_NS1_11comp_targetILNS1_3genE10ELNS1_11target_archE1200ELNS1_3gpuE4ELNS1_3repE0EEENS1_30default_config_static_selectorELNS0_4arch9wavefront6targetE1EEEvT1_
    .private_segment_fixed_size: 0
    .sgpr_count:     6
    .sgpr_spill_count: 0
    .symbol:         _ZN7rocprim17ROCPRIM_400000_NS6detail17trampoline_kernelINS0_14default_configENS1_20scan_config_selectorIlEEZZNS1_9scan_implILNS1_25lookback_scan_determinismE0ELb0ELb0ES3_PlS8_lN6thrust23THRUST_200600_302600_NS4plusIvEElEEDaPvRmT3_T4_T5_mT6_P12ihipStream_tbENKUlT_T0_E_clISt17integral_constantIbLb1EESP_IbLb0EEEEDaSL_SM_EUlSL_E_NS1_11comp_targetILNS1_3genE10ELNS1_11target_archE1200ELNS1_3gpuE4ELNS1_3repE0EEENS1_30default_config_static_selectorELNS0_4arch9wavefront6targetE1EEEvT1_.kd
    .uniform_work_group_size: 1
    .uses_dynamic_stack: false
    .vgpr_count:     0
    .vgpr_spill_count: 0
    .wavefront_size: 64
  - .agpr_count:     0
    .args:
      - .offset:         0
        .size:           104
        .value_kind:     by_value
    .group_segment_fixed_size: 0
    .kernarg_segment_align: 8
    .kernarg_segment_size: 104
    .language:       OpenCL C
    .language_version:
      - 2
      - 0
    .max_flat_workgroup_size: 256
    .name:           _ZN7rocprim17ROCPRIM_400000_NS6detail17trampoline_kernelINS0_14default_configENS1_20scan_config_selectorIlEEZZNS1_9scan_implILNS1_25lookback_scan_determinismE0ELb0ELb0ES3_PlS8_lN6thrust23THRUST_200600_302600_NS4plusIvEElEEDaPvRmT3_T4_T5_mT6_P12ihipStream_tbENKUlT_T0_E_clISt17integral_constantIbLb1EESP_IbLb0EEEEDaSL_SM_EUlSL_E_NS1_11comp_targetILNS1_3genE9ELNS1_11target_archE1100ELNS1_3gpuE3ELNS1_3repE0EEENS1_30default_config_static_selectorELNS0_4arch9wavefront6targetE1EEEvT1_
    .private_segment_fixed_size: 0
    .sgpr_count:     6
    .sgpr_spill_count: 0
    .symbol:         _ZN7rocprim17ROCPRIM_400000_NS6detail17trampoline_kernelINS0_14default_configENS1_20scan_config_selectorIlEEZZNS1_9scan_implILNS1_25lookback_scan_determinismE0ELb0ELb0ES3_PlS8_lN6thrust23THRUST_200600_302600_NS4plusIvEElEEDaPvRmT3_T4_T5_mT6_P12ihipStream_tbENKUlT_T0_E_clISt17integral_constantIbLb1EESP_IbLb0EEEEDaSL_SM_EUlSL_E_NS1_11comp_targetILNS1_3genE9ELNS1_11target_archE1100ELNS1_3gpuE3ELNS1_3repE0EEENS1_30default_config_static_selectorELNS0_4arch9wavefront6targetE1EEEvT1_.kd
    .uniform_work_group_size: 1
    .uses_dynamic_stack: false
    .vgpr_count:     0
    .vgpr_spill_count: 0
    .wavefront_size: 64
  - .agpr_count:     0
    .args:
      - .offset:         0
        .size:           104
        .value_kind:     by_value
    .group_segment_fixed_size: 0
    .kernarg_segment_align: 8
    .kernarg_segment_size: 104
    .language:       OpenCL C
    .language_version:
      - 2
      - 0
    .max_flat_workgroup_size: 256
    .name:           _ZN7rocprim17ROCPRIM_400000_NS6detail17trampoline_kernelINS0_14default_configENS1_20scan_config_selectorIlEEZZNS1_9scan_implILNS1_25lookback_scan_determinismE0ELb0ELb0ES3_PlS8_lN6thrust23THRUST_200600_302600_NS4plusIvEElEEDaPvRmT3_T4_T5_mT6_P12ihipStream_tbENKUlT_T0_E_clISt17integral_constantIbLb1EESP_IbLb0EEEEDaSL_SM_EUlSL_E_NS1_11comp_targetILNS1_3genE8ELNS1_11target_archE1030ELNS1_3gpuE2ELNS1_3repE0EEENS1_30default_config_static_selectorELNS0_4arch9wavefront6targetE1EEEvT1_
    .private_segment_fixed_size: 0
    .sgpr_count:     6
    .sgpr_spill_count: 0
    .symbol:         _ZN7rocprim17ROCPRIM_400000_NS6detail17trampoline_kernelINS0_14default_configENS1_20scan_config_selectorIlEEZZNS1_9scan_implILNS1_25lookback_scan_determinismE0ELb0ELb0ES3_PlS8_lN6thrust23THRUST_200600_302600_NS4plusIvEElEEDaPvRmT3_T4_T5_mT6_P12ihipStream_tbENKUlT_T0_E_clISt17integral_constantIbLb1EESP_IbLb0EEEEDaSL_SM_EUlSL_E_NS1_11comp_targetILNS1_3genE8ELNS1_11target_archE1030ELNS1_3gpuE2ELNS1_3repE0EEENS1_30default_config_static_selectorELNS0_4arch9wavefront6targetE1EEEvT1_.kd
    .uniform_work_group_size: 1
    .uses_dynamic_stack: false
    .vgpr_count:     0
    .vgpr_spill_count: 0
    .wavefront_size: 64
  - .agpr_count:     0
    .args:
      - .offset:         0
        .size:           40
        .value_kind:     by_value
    .group_segment_fixed_size: 12288
    .kernarg_segment_align: 8
    .kernarg_segment_size: 40
    .language:       OpenCL C
    .language_version:
      - 2
      - 0
    .max_flat_workgroup_size: 256
    .name:           _ZN7rocprim17ROCPRIM_400000_NS6detail17trampoline_kernelINS0_14default_configENS1_20scan_config_selectorIlEEZZNS1_9scan_implILNS1_25lookback_scan_determinismE0ELb0ELb0ES3_PlS8_lN6thrust23THRUST_200600_302600_NS4plusIvEElEEDaPvRmT3_T4_T5_mT6_P12ihipStream_tbENKUlT_T0_E_clISt17integral_constantIbLb1EESP_IbLb0EEEEDaSL_SM_EUlSL_E0_NS1_11comp_targetILNS1_3genE0ELNS1_11target_archE4294967295ELNS1_3gpuE0ELNS1_3repE0EEENS1_30default_config_static_selectorELNS0_4arch9wavefront6targetE1EEEvT1_
    .private_segment_fixed_size: 0
    .sgpr_count:     26
    .sgpr_spill_count: 0
    .symbol:         _ZN7rocprim17ROCPRIM_400000_NS6detail17trampoline_kernelINS0_14default_configENS1_20scan_config_selectorIlEEZZNS1_9scan_implILNS1_25lookback_scan_determinismE0ELb0ELb0ES3_PlS8_lN6thrust23THRUST_200600_302600_NS4plusIvEElEEDaPvRmT3_T4_T5_mT6_P12ihipStream_tbENKUlT_T0_E_clISt17integral_constantIbLb1EESP_IbLb0EEEEDaSL_SM_EUlSL_E0_NS1_11comp_targetILNS1_3genE0ELNS1_11target_archE4294967295ELNS1_3gpuE0ELNS1_3repE0EEENS1_30default_config_static_selectorELNS0_4arch9wavefront6targetE1EEEvT1_.kd
    .uniform_work_group_size: 1
    .uses_dynamic_stack: false
    .vgpr_count:     35
    .vgpr_spill_count: 0
    .wavefront_size: 64
  - .agpr_count:     0
    .args:
      - .offset:         0
        .size:           40
        .value_kind:     by_value
    .group_segment_fixed_size: 0
    .kernarg_segment_align: 8
    .kernarg_segment_size: 40
    .language:       OpenCL C
    .language_version:
      - 2
      - 0
    .max_flat_workgroup_size: 256
    .name:           _ZN7rocprim17ROCPRIM_400000_NS6detail17trampoline_kernelINS0_14default_configENS1_20scan_config_selectorIlEEZZNS1_9scan_implILNS1_25lookback_scan_determinismE0ELb0ELb0ES3_PlS8_lN6thrust23THRUST_200600_302600_NS4plusIvEElEEDaPvRmT3_T4_T5_mT6_P12ihipStream_tbENKUlT_T0_E_clISt17integral_constantIbLb1EESP_IbLb0EEEEDaSL_SM_EUlSL_E0_NS1_11comp_targetILNS1_3genE5ELNS1_11target_archE942ELNS1_3gpuE9ELNS1_3repE0EEENS1_30default_config_static_selectorELNS0_4arch9wavefront6targetE1EEEvT1_
    .private_segment_fixed_size: 0
    .sgpr_count:     6
    .sgpr_spill_count: 0
    .symbol:         _ZN7rocprim17ROCPRIM_400000_NS6detail17trampoline_kernelINS0_14default_configENS1_20scan_config_selectorIlEEZZNS1_9scan_implILNS1_25lookback_scan_determinismE0ELb0ELb0ES3_PlS8_lN6thrust23THRUST_200600_302600_NS4plusIvEElEEDaPvRmT3_T4_T5_mT6_P12ihipStream_tbENKUlT_T0_E_clISt17integral_constantIbLb1EESP_IbLb0EEEEDaSL_SM_EUlSL_E0_NS1_11comp_targetILNS1_3genE5ELNS1_11target_archE942ELNS1_3gpuE9ELNS1_3repE0EEENS1_30default_config_static_selectorELNS0_4arch9wavefront6targetE1EEEvT1_.kd
    .uniform_work_group_size: 1
    .uses_dynamic_stack: false
    .vgpr_count:     0
    .vgpr_spill_count: 0
    .wavefront_size: 64
  - .agpr_count:     0
    .args:
      - .offset:         0
        .size:           40
        .value_kind:     by_value
    .group_segment_fixed_size: 0
    .kernarg_segment_align: 8
    .kernarg_segment_size: 40
    .language:       OpenCL C
    .language_version:
      - 2
      - 0
    .max_flat_workgroup_size: 128
    .name:           _ZN7rocprim17ROCPRIM_400000_NS6detail17trampoline_kernelINS0_14default_configENS1_20scan_config_selectorIlEEZZNS1_9scan_implILNS1_25lookback_scan_determinismE0ELb0ELb0ES3_PlS8_lN6thrust23THRUST_200600_302600_NS4plusIvEElEEDaPvRmT3_T4_T5_mT6_P12ihipStream_tbENKUlT_T0_E_clISt17integral_constantIbLb1EESP_IbLb0EEEEDaSL_SM_EUlSL_E0_NS1_11comp_targetILNS1_3genE4ELNS1_11target_archE910ELNS1_3gpuE8ELNS1_3repE0EEENS1_30default_config_static_selectorELNS0_4arch9wavefront6targetE1EEEvT1_
    .private_segment_fixed_size: 0
    .sgpr_count:     6
    .sgpr_spill_count: 0
    .symbol:         _ZN7rocprim17ROCPRIM_400000_NS6detail17trampoline_kernelINS0_14default_configENS1_20scan_config_selectorIlEEZZNS1_9scan_implILNS1_25lookback_scan_determinismE0ELb0ELb0ES3_PlS8_lN6thrust23THRUST_200600_302600_NS4plusIvEElEEDaPvRmT3_T4_T5_mT6_P12ihipStream_tbENKUlT_T0_E_clISt17integral_constantIbLb1EESP_IbLb0EEEEDaSL_SM_EUlSL_E0_NS1_11comp_targetILNS1_3genE4ELNS1_11target_archE910ELNS1_3gpuE8ELNS1_3repE0EEENS1_30default_config_static_selectorELNS0_4arch9wavefront6targetE1EEEvT1_.kd
    .uniform_work_group_size: 1
    .uses_dynamic_stack: false
    .vgpr_count:     0
    .vgpr_spill_count: 0
    .wavefront_size: 64
  - .agpr_count:     0
    .args:
      - .offset:         0
        .size:           40
        .value_kind:     by_value
    .group_segment_fixed_size: 0
    .kernarg_segment_align: 8
    .kernarg_segment_size: 40
    .language:       OpenCL C
    .language_version:
      - 2
      - 0
    .max_flat_workgroup_size: 256
    .name:           _ZN7rocprim17ROCPRIM_400000_NS6detail17trampoline_kernelINS0_14default_configENS1_20scan_config_selectorIlEEZZNS1_9scan_implILNS1_25lookback_scan_determinismE0ELb0ELb0ES3_PlS8_lN6thrust23THRUST_200600_302600_NS4plusIvEElEEDaPvRmT3_T4_T5_mT6_P12ihipStream_tbENKUlT_T0_E_clISt17integral_constantIbLb1EESP_IbLb0EEEEDaSL_SM_EUlSL_E0_NS1_11comp_targetILNS1_3genE3ELNS1_11target_archE908ELNS1_3gpuE7ELNS1_3repE0EEENS1_30default_config_static_selectorELNS0_4arch9wavefront6targetE1EEEvT1_
    .private_segment_fixed_size: 0
    .sgpr_count:     6
    .sgpr_spill_count: 0
    .symbol:         _ZN7rocprim17ROCPRIM_400000_NS6detail17trampoline_kernelINS0_14default_configENS1_20scan_config_selectorIlEEZZNS1_9scan_implILNS1_25lookback_scan_determinismE0ELb0ELb0ES3_PlS8_lN6thrust23THRUST_200600_302600_NS4plusIvEElEEDaPvRmT3_T4_T5_mT6_P12ihipStream_tbENKUlT_T0_E_clISt17integral_constantIbLb1EESP_IbLb0EEEEDaSL_SM_EUlSL_E0_NS1_11comp_targetILNS1_3genE3ELNS1_11target_archE908ELNS1_3gpuE7ELNS1_3repE0EEENS1_30default_config_static_selectorELNS0_4arch9wavefront6targetE1EEEvT1_.kd
    .uniform_work_group_size: 1
    .uses_dynamic_stack: false
    .vgpr_count:     0
    .vgpr_spill_count: 0
    .wavefront_size: 64
  - .agpr_count:     0
    .args:
      - .offset:         0
        .size:           40
        .value_kind:     by_value
    .group_segment_fixed_size: 0
    .kernarg_segment_align: 8
    .kernarg_segment_size: 40
    .language:       OpenCL C
    .language_version:
      - 2
      - 0
    .max_flat_workgroup_size: 64
    .name:           _ZN7rocprim17ROCPRIM_400000_NS6detail17trampoline_kernelINS0_14default_configENS1_20scan_config_selectorIlEEZZNS1_9scan_implILNS1_25lookback_scan_determinismE0ELb0ELb0ES3_PlS8_lN6thrust23THRUST_200600_302600_NS4plusIvEElEEDaPvRmT3_T4_T5_mT6_P12ihipStream_tbENKUlT_T0_E_clISt17integral_constantIbLb1EESP_IbLb0EEEEDaSL_SM_EUlSL_E0_NS1_11comp_targetILNS1_3genE2ELNS1_11target_archE906ELNS1_3gpuE6ELNS1_3repE0EEENS1_30default_config_static_selectorELNS0_4arch9wavefront6targetE1EEEvT1_
    .private_segment_fixed_size: 0
    .sgpr_count:     6
    .sgpr_spill_count: 0
    .symbol:         _ZN7rocprim17ROCPRIM_400000_NS6detail17trampoline_kernelINS0_14default_configENS1_20scan_config_selectorIlEEZZNS1_9scan_implILNS1_25lookback_scan_determinismE0ELb0ELb0ES3_PlS8_lN6thrust23THRUST_200600_302600_NS4plusIvEElEEDaPvRmT3_T4_T5_mT6_P12ihipStream_tbENKUlT_T0_E_clISt17integral_constantIbLb1EESP_IbLb0EEEEDaSL_SM_EUlSL_E0_NS1_11comp_targetILNS1_3genE2ELNS1_11target_archE906ELNS1_3gpuE6ELNS1_3repE0EEENS1_30default_config_static_selectorELNS0_4arch9wavefront6targetE1EEEvT1_.kd
    .uniform_work_group_size: 1
    .uses_dynamic_stack: false
    .vgpr_count:     0
    .vgpr_spill_count: 0
    .wavefront_size: 64
  - .agpr_count:     0
    .args:
      - .offset:         0
        .size:           40
        .value_kind:     by_value
    .group_segment_fixed_size: 0
    .kernarg_segment_align: 8
    .kernarg_segment_size: 40
    .language:       OpenCL C
    .language_version:
      - 2
      - 0
    .max_flat_workgroup_size: 256
    .name:           _ZN7rocprim17ROCPRIM_400000_NS6detail17trampoline_kernelINS0_14default_configENS1_20scan_config_selectorIlEEZZNS1_9scan_implILNS1_25lookback_scan_determinismE0ELb0ELb0ES3_PlS8_lN6thrust23THRUST_200600_302600_NS4plusIvEElEEDaPvRmT3_T4_T5_mT6_P12ihipStream_tbENKUlT_T0_E_clISt17integral_constantIbLb1EESP_IbLb0EEEEDaSL_SM_EUlSL_E0_NS1_11comp_targetILNS1_3genE10ELNS1_11target_archE1201ELNS1_3gpuE5ELNS1_3repE0EEENS1_30default_config_static_selectorELNS0_4arch9wavefront6targetE1EEEvT1_
    .private_segment_fixed_size: 0
    .sgpr_count:     6
    .sgpr_spill_count: 0
    .symbol:         _ZN7rocprim17ROCPRIM_400000_NS6detail17trampoline_kernelINS0_14default_configENS1_20scan_config_selectorIlEEZZNS1_9scan_implILNS1_25lookback_scan_determinismE0ELb0ELb0ES3_PlS8_lN6thrust23THRUST_200600_302600_NS4plusIvEElEEDaPvRmT3_T4_T5_mT6_P12ihipStream_tbENKUlT_T0_E_clISt17integral_constantIbLb1EESP_IbLb0EEEEDaSL_SM_EUlSL_E0_NS1_11comp_targetILNS1_3genE10ELNS1_11target_archE1201ELNS1_3gpuE5ELNS1_3repE0EEENS1_30default_config_static_selectorELNS0_4arch9wavefront6targetE1EEEvT1_.kd
    .uniform_work_group_size: 1
    .uses_dynamic_stack: false
    .vgpr_count:     0
    .vgpr_spill_count: 0
    .wavefront_size: 64
  - .agpr_count:     0
    .args:
      - .offset:         0
        .size:           40
        .value_kind:     by_value
    .group_segment_fixed_size: 0
    .kernarg_segment_align: 8
    .kernarg_segment_size: 40
    .language:       OpenCL C
    .language_version:
      - 2
      - 0
    .max_flat_workgroup_size: 256
    .name:           _ZN7rocprim17ROCPRIM_400000_NS6detail17trampoline_kernelINS0_14default_configENS1_20scan_config_selectorIlEEZZNS1_9scan_implILNS1_25lookback_scan_determinismE0ELb0ELb0ES3_PlS8_lN6thrust23THRUST_200600_302600_NS4plusIvEElEEDaPvRmT3_T4_T5_mT6_P12ihipStream_tbENKUlT_T0_E_clISt17integral_constantIbLb1EESP_IbLb0EEEEDaSL_SM_EUlSL_E0_NS1_11comp_targetILNS1_3genE10ELNS1_11target_archE1200ELNS1_3gpuE4ELNS1_3repE0EEENS1_30default_config_static_selectorELNS0_4arch9wavefront6targetE1EEEvT1_
    .private_segment_fixed_size: 0
    .sgpr_count:     6
    .sgpr_spill_count: 0
    .symbol:         _ZN7rocprim17ROCPRIM_400000_NS6detail17trampoline_kernelINS0_14default_configENS1_20scan_config_selectorIlEEZZNS1_9scan_implILNS1_25lookback_scan_determinismE0ELb0ELb0ES3_PlS8_lN6thrust23THRUST_200600_302600_NS4plusIvEElEEDaPvRmT3_T4_T5_mT6_P12ihipStream_tbENKUlT_T0_E_clISt17integral_constantIbLb1EESP_IbLb0EEEEDaSL_SM_EUlSL_E0_NS1_11comp_targetILNS1_3genE10ELNS1_11target_archE1200ELNS1_3gpuE4ELNS1_3repE0EEENS1_30default_config_static_selectorELNS0_4arch9wavefront6targetE1EEEvT1_.kd
    .uniform_work_group_size: 1
    .uses_dynamic_stack: false
    .vgpr_count:     0
    .vgpr_spill_count: 0
    .wavefront_size: 64
  - .agpr_count:     0
    .args:
      - .offset:         0
        .size:           40
        .value_kind:     by_value
    .group_segment_fixed_size: 0
    .kernarg_segment_align: 8
    .kernarg_segment_size: 40
    .language:       OpenCL C
    .language_version:
      - 2
      - 0
    .max_flat_workgroup_size: 256
    .name:           _ZN7rocprim17ROCPRIM_400000_NS6detail17trampoline_kernelINS0_14default_configENS1_20scan_config_selectorIlEEZZNS1_9scan_implILNS1_25lookback_scan_determinismE0ELb0ELb0ES3_PlS8_lN6thrust23THRUST_200600_302600_NS4plusIvEElEEDaPvRmT3_T4_T5_mT6_P12ihipStream_tbENKUlT_T0_E_clISt17integral_constantIbLb1EESP_IbLb0EEEEDaSL_SM_EUlSL_E0_NS1_11comp_targetILNS1_3genE9ELNS1_11target_archE1100ELNS1_3gpuE3ELNS1_3repE0EEENS1_30default_config_static_selectorELNS0_4arch9wavefront6targetE1EEEvT1_
    .private_segment_fixed_size: 0
    .sgpr_count:     6
    .sgpr_spill_count: 0
    .symbol:         _ZN7rocprim17ROCPRIM_400000_NS6detail17trampoline_kernelINS0_14default_configENS1_20scan_config_selectorIlEEZZNS1_9scan_implILNS1_25lookback_scan_determinismE0ELb0ELb0ES3_PlS8_lN6thrust23THRUST_200600_302600_NS4plusIvEElEEDaPvRmT3_T4_T5_mT6_P12ihipStream_tbENKUlT_T0_E_clISt17integral_constantIbLb1EESP_IbLb0EEEEDaSL_SM_EUlSL_E0_NS1_11comp_targetILNS1_3genE9ELNS1_11target_archE1100ELNS1_3gpuE3ELNS1_3repE0EEENS1_30default_config_static_selectorELNS0_4arch9wavefront6targetE1EEEvT1_.kd
    .uniform_work_group_size: 1
    .uses_dynamic_stack: false
    .vgpr_count:     0
    .vgpr_spill_count: 0
    .wavefront_size: 64
  - .agpr_count:     0
    .args:
      - .offset:         0
        .size:           40
        .value_kind:     by_value
    .group_segment_fixed_size: 0
    .kernarg_segment_align: 8
    .kernarg_segment_size: 40
    .language:       OpenCL C
    .language_version:
      - 2
      - 0
    .max_flat_workgroup_size: 256
    .name:           _ZN7rocprim17ROCPRIM_400000_NS6detail17trampoline_kernelINS0_14default_configENS1_20scan_config_selectorIlEEZZNS1_9scan_implILNS1_25lookback_scan_determinismE0ELb0ELb0ES3_PlS8_lN6thrust23THRUST_200600_302600_NS4plusIvEElEEDaPvRmT3_T4_T5_mT6_P12ihipStream_tbENKUlT_T0_E_clISt17integral_constantIbLb1EESP_IbLb0EEEEDaSL_SM_EUlSL_E0_NS1_11comp_targetILNS1_3genE8ELNS1_11target_archE1030ELNS1_3gpuE2ELNS1_3repE0EEENS1_30default_config_static_selectorELNS0_4arch9wavefront6targetE1EEEvT1_
    .private_segment_fixed_size: 0
    .sgpr_count:     6
    .sgpr_spill_count: 0
    .symbol:         _ZN7rocprim17ROCPRIM_400000_NS6detail17trampoline_kernelINS0_14default_configENS1_20scan_config_selectorIlEEZZNS1_9scan_implILNS1_25lookback_scan_determinismE0ELb0ELb0ES3_PlS8_lN6thrust23THRUST_200600_302600_NS4plusIvEElEEDaPvRmT3_T4_T5_mT6_P12ihipStream_tbENKUlT_T0_E_clISt17integral_constantIbLb1EESP_IbLb0EEEEDaSL_SM_EUlSL_E0_NS1_11comp_targetILNS1_3genE8ELNS1_11target_archE1030ELNS1_3gpuE2ELNS1_3repE0EEENS1_30default_config_static_selectorELNS0_4arch9wavefront6targetE1EEEvT1_.kd
    .uniform_work_group_size: 1
    .uses_dynamic_stack: false
    .vgpr_count:     0
    .vgpr_spill_count: 0
    .wavefront_size: 64
  - .agpr_count:     0
    .args:
      - .address_space:  global
        .offset:         0
        .size:           8
        .value_kind:     global_buffer
      - .offset:         8
        .size:           4
        .value_kind:     by_value
      - .address_space:  global
        .offset:         16
        .size:           8
        .value_kind:     global_buffer
      - .offset:         24
        .size:           4
        .value_kind:     by_value
      - .address_space:  global
        .offset:         32
        .size:           8
        .value_kind:     global_buffer
      - .offset:         40
        .size:           4
        .value_kind:     hidden_block_count_x
      - .offset:         44
        .size:           4
        .value_kind:     hidden_block_count_y
      - .offset:         48
        .size:           4
        .value_kind:     hidden_block_count_z
      - .offset:         52
        .size:           2
        .value_kind:     hidden_group_size_x
      - .offset:         54
        .size:           2
        .value_kind:     hidden_group_size_y
      - .offset:         56
        .size:           2
        .value_kind:     hidden_group_size_z
      - .offset:         58
        .size:           2
        .value_kind:     hidden_remainder_x
      - .offset:         60
        .size:           2
        .value_kind:     hidden_remainder_y
      - .offset:         62
        .size:           2
        .value_kind:     hidden_remainder_z
      - .offset:         80
        .size:           8
        .value_kind:     hidden_global_offset_x
      - .offset:         88
        .size:           8
        .value_kind:     hidden_global_offset_y
      - .offset:         96
        .size:           8
        .value_kind:     hidden_global_offset_z
      - .offset:         104
        .size:           2
        .value_kind:     hidden_grid_dims
    .group_segment_fixed_size: 0
    .kernarg_segment_align: 8
    .kernarg_segment_size: 296
    .language:       OpenCL C
    .language_version:
      - 2
      - 0
    .max_flat_workgroup_size: 256
    .name:           _ZN7rocprim17ROCPRIM_400000_NS6detail31init_lookback_scan_state_kernelINS1_19lookback_scan_stateIlLb0ELb1EEENS1_16block_id_wrapperIjLb1EEEEEvT_jT0_jPNS7_10value_typeE
    .private_segment_fixed_size: 0
    .sgpr_count:     21
    .sgpr_spill_count: 0
    .symbol:         _ZN7rocprim17ROCPRIM_400000_NS6detail31init_lookback_scan_state_kernelINS1_19lookback_scan_stateIlLb0ELb1EEENS1_16block_id_wrapperIjLb1EEEEEvT_jT0_jPNS7_10value_typeE.kd
    .uniform_work_group_size: 1
    .uses_dynamic_stack: false
    .vgpr_count:     10
    .vgpr_spill_count: 0
    .wavefront_size: 64
  - .agpr_count:     0
    .args:
      - .offset:         0
        .size:           104
        .value_kind:     by_value
    .group_segment_fixed_size: 12288
    .kernarg_segment_align: 8
    .kernarg_segment_size: 104
    .language:       OpenCL C
    .language_version:
      - 2
      - 0
    .max_flat_workgroup_size: 256
    .name:           _ZN7rocprim17ROCPRIM_400000_NS6detail17trampoline_kernelINS0_14default_configENS1_20scan_config_selectorIlEEZZNS1_9scan_implILNS1_25lookback_scan_determinismE0ELb0ELb0ES3_PlS8_lN6thrust23THRUST_200600_302600_NS4plusIvEElEEDaPvRmT3_T4_T5_mT6_P12ihipStream_tbENKUlT_T0_E_clISt17integral_constantIbLb0EESP_IbLb1EEEEDaSL_SM_EUlSL_E_NS1_11comp_targetILNS1_3genE0ELNS1_11target_archE4294967295ELNS1_3gpuE0ELNS1_3repE0EEENS1_30default_config_static_selectorELNS0_4arch9wavefront6targetE1EEEvT1_
    .private_segment_fixed_size: 0
    .sgpr_count:     42
    .sgpr_spill_count: 0
    .symbol:         _ZN7rocprim17ROCPRIM_400000_NS6detail17trampoline_kernelINS0_14default_configENS1_20scan_config_selectorIlEEZZNS1_9scan_implILNS1_25lookback_scan_determinismE0ELb0ELb0ES3_PlS8_lN6thrust23THRUST_200600_302600_NS4plusIvEElEEDaPvRmT3_T4_T5_mT6_P12ihipStream_tbENKUlT_T0_E_clISt17integral_constantIbLb0EESP_IbLb1EEEEDaSL_SM_EUlSL_E_NS1_11comp_targetILNS1_3genE0ELNS1_11target_archE4294967295ELNS1_3gpuE0ELNS1_3repE0EEENS1_30default_config_static_selectorELNS0_4arch9wavefront6targetE1EEEvT1_.kd
    .uniform_work_group_size: 1
    .uses_dynamic_stack: false
    .vgpr_count:     52
    .vgpr_spill_count: 0
    .wavefront_size: 64
  - .agpr_count:     0
    .args:
      - .offset:         0
        .size:           104
        .value_kind:     by_value
    .group_segment_fixed_size: 0
    .kernarg_segment_align: 8
    .kernarg_segment_size: 104
    .language:       OpenCL C
    .language_version:
      - 2
      - 0
    .max_flat_workgroup_size: 256
    .name:           _ZN7rocprim17ROCPRIM_400000_NS6detail17trampoline_kernelINS0_14default_configENS1_20scan_config_selectorIlEEZZNS1_9scan_implILNS1_25lookback_scan_determinismE0ELb0ELb0ES3_PlS8_lN6thrust23THRUST_200600_302600_NS4plusIvEElEEDaPvRmT3_T4_T5_mT6_P12ihipStream_tbENKUlT_T0_E_clISt17integral_constantIbLb0EESP_IbLb1EEEEDaSL_SM_EUlSL_E_NS1_11comp_targetILNS1_3genE5ELNS1_11target_archE942ELNS1_3gpuE9ELNS1_3repE0EEENS1_30default_config_static_selectorELNS0_4arch9wavefront6targetE1EEEvT1_
    .private_segment_fixed_size: 0
    .sgpr_count:     6
    .sgpr_spill_count: 0
    .symbol:         _ZN7rocprim17ROCPRIM_400000_NS6detail17trampoline_kernelINS0_14default_configENS1_20scan_config_selectorIlEEZZNS1_9scan_implILNS1_25lookback_scan_determinismE0ELb0ELb0ES3_PlS8_lN6thrust23THRUST_200600_302600_NS4plusIvEElEEDaPvRmT3_T4_T5_mT6_P12ihipStream_tbENKUlT_T0_E_clISt17integral_constantIbLb0EESP_IbLb1EEEEDaSL_SM_EUlSL_E_NS1_11comp_targetILNS1_3genE5ELNS1_11target_archE942ELNS1_3gpuE9ELNS1_3repE0EEENS1_30default_config_static_selectorELNS0_4arch9wavefront6targetE1EEEvT1_.kd
    .uniform_work_group_size: 1
    .uses_dynamic_stack: false
    .vgpr_count:     0
    .vgpr_spill_count: 0
    .wavefront_size: 64
  - .agpr_count:     0
    .args:
      - .offset:         0
        .size:           104
        .value_kind:     by_value
    .group_segment_fixed_size: 0
    .kernarg_segment_align: 8
    .kernarg_segment_size: 104
    .language:       OpenCL C
    .language_version:
      - 2
      - 0
    .max_flat_workgroup_size: 128
    .name:           _ZN7rocprim17ROCPRIM_400000_NS6detail17trampoline_kernelINS0_14default_configENS1_20scan_config_selectorIlEEZZNS1_9scan_implILNS1_25lookback_scan_determinismE0ELb0ELb0ES3_PlS8_lN6thrust23THRUST_200600_302600_NS4plusIvEElEEDaPvRmT3_T4_T5_mT6_P12ihipStream_tbENKUlT_T0_E_clISt17integral_constantIbLb0EESP_IbLb1EEEEDaSL_SM_EUlSL_E_NS1_11comp_targetILNS1_3genE4ELNS1_11target_archE910ELNS1_3gpuE8ELNS1_3repE0EEENS1_30default_config_static_selectorELNS0_4arch9wavefront6targetE1EEEvT1_
    .private_segment_fixed_size: 0
    .sgpr_count:     6
    .sgpr_spill_count: 0
    .symbol:         _ZN7rocprim17ROCPRIM_400000_NS6detail17trampoline_kernelINS0_14default_configENS1_20scan_config_selectorIlEEZZNS1_9scan_implILNS1_25lookback_scan_determinismE0ELb0ELb0ES3_PlS8_lN6thrust23THRUST_200600_302600_NS4plusIvEElEEDaPvRmT3_T4_T5_mT6_P12ihipStream_tbENKUlT_T0_E_clISt17integral_constantIbLb0EESP_IbLb1EEEEDaSL_SM_EUlSL_E_NS1_11comp_targetILNS1_3genE4ELNS1_11target_archE910ELNS1_3gpuE8ELNS1_3repE0EEENS1_30default_config_static_selectorELNS0_4arch9wavefront6targetE1EEEvT1_.kd
    .uniform_work_group_size: 1
    .uses_dynamic_stack: false
    .vgpr_count:     0
    .vgpr_spill_count: 0
    .wavefront_size: 64
  - .agpr_count:     0
    .args:
      - .offset:         0
        .size:           104
        .value_kind:     by_value
    .group_segment_fixed_size: 0
    .kernarg_segment_align: 8
    .kernarg_segment_size: 104
    .language:       OpenCL C
    .language_version:
      - 2
      - 0
    .max_flat_workgroup_size: 256
    .name:           _ZN7rocprim17ROCPRIM_400000_NS6detail17trampoline_kernelINS0_14default_configENS1_20scan_config_selectorIlEEZZNS1_9scan_implILNS1_25lookback_scan_determinismE0ELb0ELb0ES3_PlS8_lN6thrust23THRUST_200600_302600_NS4plusIvEElEEDaPvRmT3_T4_T5_mT6_P12ihipStream_tbENKUlT_T0_E_clISt17integral_constantIbLb0EESP_IbLb1EEEEDaSL_SM_EUlSL_E_NS1_11comp_targetILNS1_3genE3ELNS1_11target_archE908ELNS1_3gpuE7ELNS1_3repE0EEENS1_30default_config_static_selectorELNS0_4arch9wavefront6targetE1EEEvT1_
    .private_segment_fixed_size: 0
    .sgpr_count:     6
    .sgpr_spill_count: 0
    .symbol:         _ZN7rocprim17ROCPRIM_400000_NS6detail17trampoline_kernelINS0_14default_configENS1_20scan_config_selectorIlEEZZNS1_9scan_implILNS1_25lookback_scan_determinismE0ELb0ELb0ES3_PlS8_lN6thrust23THRUST_200600_302600_NS4plusIvEElEEDaPvRmT3_T4_T5_mT6_P12ihipStream_tbENKUlT_T0_E_clISt17integral_constantIbLb0EESP_IbLb1EEEEDaSL_SM_EUlSL_E_NS1_11comp_targetILNS1_3genE3ELNS1_11target_archE908ELNS1_3gpuE7ELNS1_3repE0EEENS1_30default_config_static_selectorELNS0_4arch9wavefront6targetE1EEEvT1_.kd
    .uniform_work_group_size: 1
    .uses_dynamic_stack: false
    .vgpr_count:     0
    .vgpr_spill_count: 0
    .wavefront_size: 64
  - .agpr_count:     0
    .args:
      - .offset:         0
        .size:           104
        .value_kind:     by_value
    .group_segment_fixed_size: 0
    .kernarg_segment_align: 8
    .kernarg_segment_size: 104
    .language:       OpenCL C
    .language_version:
      - 2
      - 0
    .max_flat_workgroup_size: 64
    .name:           _ZN7rocprim17ROCPRIM_400000_NS6detail17trampoline_kernelINS0_14default_configENS1_20scan_config_selectorIlEEZZNS1_9scan_implILNS1_25lookback_scan_determinismE0ELb0ELb0ES3_PlS8_lN6thrust23THRUST_200600_302600_NS4plusIvEElEEDaPvRmT3_T4_T5_mT6_P12ihipStream_tbENKUlT_T0_E_clISt17integral_constantIbLb0EESP_IbLb1EEEEDaSL_SM_EUlSL_E_NS1_11comp_targetILNS1_3genE2ELNS1_11target_archE906ELNS1_3gpuE6ELNS1_3repE0EEENS1_30default_config_static_selectorELNS0_4arch9wavefront6targetE1EEEvT1_
    .private_segment_fixed_size: 0
    .sgpr_count:     6
    .sgpr_spill_count: 0
    .symbol:         _ZN7rocprim17ROCPRIM_400000_NS6detail17trampoline_kernelINS0_14default_configENS1_20scan_config_selectorIlEEZZNS1_9scan_implILNS1_25lookback_scan_determinismE0ELb0ELb0ES3_PlS8_lN6thrust23THRUST_200600_302600_NS4plusIvEElEEDaPvRmT3_T4_T5_mT6_P12ihipStream_tbENKUlT_T0_E_clISt17integral_constantIbLb0EESP_IbLb1EEEEDaSL_SM_EUlSL_E_NS1_11comp_targetILNS1_3genE2ELNS1_11target_archE906ELNS1_3gpuE6ELNS1_3repE0EEENS1_30default_config_static_selectorELNS0_4arch9wavefront6targetE1EEEvT1_.kd
    .uniform_work_group_size: 1
    .uses_dynamic_stack: false
    .vgpr_count:     0
    .vgpr_spill_count: 0
    .wavefront_size: 64
  - .agpr_count:     0
    .args:
      - .offset:         0
        .size:           104
        .value_kind:     by_value
    .group_segment_fixed_size: 0
    .kernarg_segment_align: 8
    .kernarg_segment_size: 104
    .language:       OpenCL C
    .language_version:
      - 2
      - 0
    .max_flat_workgroup_size: 256
    .name:           _ZN7rocprim17ROCPRIM_400000_NS6detail17trampoline_kernelINS0_14default_configENS1_20scan_config_selectorIlEEZZNS1_9scan_implILNS1_25lookback_scan_determinismE0ELb0ELb0ES3_PlS8_lN6thrust23THRUST_200600_302600_NS4plusIvEElEEDaPvRmT3_T4_T5_mT6_P12ihipStream_tbENKUlT_T0_E_clISt17integral_constantIbLb0EESP_IbLb1EEEEDaSL_SM_EUlSL_E_NS1_11comp_targetILNS1_3genE10ELNS1_11target_archE1201ELNS1_3gpuE5ELNS1_3repE0EEENS1_30default_config_static_selectorELNS0_4arch9wavefront6targetE1EEEvT1_
    .private_segment_fixed_size: 0
    .sgpr_count:     6
    .sgpr_spill_count: 0
    .symbol:         _ZN7rocprim17ROCPRIM_400000_NS6detail17trampoline_kernelINS0_14default_configENS1_20scan_config_selectorIlEEZZNS1_9scan_implILNS1_25lookback_scan_determinismE0ELb0ELb0ES3_PlS8_lN6thrust23THRUST_200600_302600_NS4plusIvEElEEDaPvRmT3_T4_T5_mT6_P12ihipStream_tbENKUlT_T0_E_clISt17integral_constantIbLb0EESP_IbLb1EEEEDaSL_SM_EUlSL_E_NS1_11comp_targetILNS1_3genE10ELNS1_11target_archE1201ELNS1_3gpuE5ELNS1_3repE0EEENS1_30default_config_static_selectorELNS0_4arch9wavefront6targetE1EEEvT1_.kd
    .uniform_work_group_size: 1
    .uses_dynamic_stack: false
    .vgpr_count:     0
    .vgpr_spill_count: 0
    .wavefront_size: 64
  - .agpr_count:     0
    .args:
      - .offset:         0
        .size:           104
        .value_kind:     by_value
    .group_segment_fixed_size: 0
    .kernarg_segment_align: 8
    .kernarg_segment_size: 104
    .language:       OpenCL C
    .language_version:
      - 2
      - 0
    .max_flat_workgroup_size: 256
    .name:           _ZN7rocprim17ROCPRIM_400000_NS6detail17trampoline_kernelINS0_14default_configENS1_20scan_config_selectorIlEEZZNS1_9scan_implILNS1_25lookback_scan_determinismE0ELb0ELb0ES3_PlS8_lN6thrust23THRUST_200600_302600_NS4plusIvEElEEDaPvRmT3_T4_T5_mT6_P12ihipStream_tbENKUlT_T0_E_clISt17integral_constantIbLb0EESP_IbLb1EEEEDaSL_SM_EUlSL_E_NS1_11comp_targetILNS1_3genE10ELNS1_11target_archE1200ELNS1_3gpuE4ELNS1_3repE0EEENS1_30default_config_static_selectorELNS0_4arch9wavefront6targetE1EEEvT1_
    .private_segment_fixed_size: 0
    .sgpr_count:     6
    .sgpr_spill_count: 0
    .symbol:         _ZN7rocprim17ROCPRIM_400000_NS6detail17trampoline_kernelINS0_14default_configENS1_20scan_config_selectorIlEEZZNS1_9scan_implILNS1_25lookback_scan_determinismE0ELb0ELb0ES3_PlS8_lN6thrust23THRUST_200600_302600_NS4plusIvEElEEDaPvRmT3_T4_T5_mT6_P12ihipStream_tbENKUlT_T0_E_clISt17integral_constantIbLb0EESP_IbLb1EEEEDaSL_SM_EUlSL_E_NS1_11comp_targetILNS1_3genE10ELNS1_11target_archE1200ELNS1_3gpuE4ELNS1_3repE0EEENS1_30default_config_static_selectorELNS0_4arch9wavefront6targetE1EEEvT1_.kd
    .uniform_work_group_size: 1
    .uses_dynamic_stack: false
    .vgpr_count:     0
    .vgpr_spill_count: 0
    .wavefront_size: 64
  - .agpr_count:     0
    .args:
      - .offset:         0
        .size:           104
        .value_kind:     by_value
    .group_segment_fixed_size: 0
    .kernarg_segment_align: 8
    .kernarg_segment_size: 104
    .language:       OpenCL C
    .language_version:
      - 2
      - 0
    .max_flat_workgroup_size: 256
    .name:           _ZN7rocprim17ROCPRIM_400000_NS6detail17trampoline_kernelINS0_14default_configENS1_20scan_config_selectorIlEEZZNS1_9scan_implILNS1_25lookback_scan_determinismE0ELb0ELb0ES3_PlS8_lN6thrust23THRUST_200600_302600_NS4plusIvEElEEDaPvRmT3_T4_T5_mT6_P12ihipStream_tbENKUlT_T0_E_clISt17integral_constantIbLb0EESP_IbLb1EEEEDaSL_SM_EUlSL_E_NS1_11comp_targetILNS1_3genE9ELNS1_11target_archE1100ELNS1_3gpuE3ELNS1_3repE0EEENS1_30default_config_static_selectorELNS0_4arch9wavefront6targetE1EEEvT1_
    .private_segment_fixed_size: 0
    .sgpr_count:     6
    .sgpr_spill_count: 0
    .symbol:         _ZN7rocprim17ROCPRIM_400000_NS6detail17trampoline_kernelINS0_14default_configENS1_20scan_config_selectorIlEEZZNS1_9scan_implILNS1_25lookback_scan_determinismE0ELb0ELb0ES3_PlS8_lN6thrust23THRUST_200600_302600_NS4plusIvEElEEDaPvRmT3_T4_T5_mT6_P12ihipStream_tbENKUlT_T0_E_clISt17integral_constantIbLb0EESP_IbLb1EEEEDaSL_SM_EUlSL_E_NS1_11comp_targetILNS1_3genE9ELNS1_11target_archE1100ELNS1_3gpuE3ELNS1_3repE0EEENS1_30default_config_static_selectorELNS0_4arch9wavefront6targetE1EEEvT1_.kd
    .uniform_work_group_size: 1
    .uses_dynamic_stack: false
    .vgpr_count:     0
    .vgpr_spill_count: 0
    .wavefront_size: 64
  - .agpr_count:     0
    .args:
      - .offset:         0
        .size:           104
        .value_kind:     by_value
    .group_segment_fixed_size: 0
    .kernarg_segment_align: 8
    .kernarg_segment_size: 104
    .language:       OpenCL C
    .language_version:
      - 2
      - 0
    .max_flat_workgroup_size: 256
    .name:           _ZN7rocprim17ROCPRIM_400000_NS6detail17trampoline_kernelINS0_14default_configENS1_20scan_config_selectorIlEEZZNS1_9scan_implILNS1_25lookback_scan_determinismE0ELb0ELb0ES3_PlS8_lN6thrust23THRUST_200600_302600_NS4plusIvEElEEDaPvRmT3_T4_T5_mT6_P12ihipStream_tbENKUlT_T0_E_clISt17integral_constantIbLb0EESP_IbLb1EEEEDaSL_SM_EUlSL_E_NS1_11comp_targetILNS1_3genE8ELNS1_11target_archE1030ELNS1_3gpuE2ELNS1_3repE0EEENS1_30default_config_static_selectorELNS0_4arch9wavefront6targetE1EEEvT1_
    .private_segment_fixed_size: 0
    .sgpr_count:     6
    .sgpr_spill_count: 0
    .symbol:         _ZN7rocprim17ROCPRIM_400000_NS6detail17trampoline_kernelINS0_14default_configENS1_20scan_config_selectorIlEEZZNS1_9scan_implILNS1_25lookback_scan_determinismE0ELb0ELb0ES3_PlS8_lN6thrust23THRUST_200600_302600_NS4plusIvEElEEDaPvRmT3_T4_T5_mT6_P12ihipStream_tbENKUlT_T0_E_clISt17integral_constantIbLb0EESP_IbLb1EEEEDaSL_SM_EUlSL_E_NS1_11comp_targetILNS1_3genE8ELNS1_11target_archE1030ELNS1_3gpuE2ELNS1_3repE0EEENS1_30default_config_static_selectorELNS0_4arch9wavefront6targetE1EEEvT1_.kd
    .uniform_work_group_size: 1
    .uses_dynamic_stack: false
    .vgpr_count:     0
    .vgpr_spill_count: 0
    .wavefront_size: 64
  - .agpr_count:     0
    .args:
      - .offset:         0
        .size:           40
        .value_kind:     by_value
    .group_segment_fixed_size: 12288
    .kernarg_segment_align: 8
    .kernarg_segment_size: 40
    .language:       OpenCL C
    .language_version:
      - 2
      - 0
    .max_flat_workgroup_size: 256
    .name:           _ZN7rocprim17ROCPRIM_400000_NS6detail17trampoline_kernelINS0_14default_configENS1_20scan_config_selectorIlEEZZNS1_9scan_implILNS1_25lookback_scan_determinismE0ELb0ELb0ES3_PlS8_lN6thrust23THRUST_200600_302600_NS4plusIvEElEEDaPvRmT3_T4_T5_mT6_P12ihipStream_tbENKUlT_T0_E_clISt17integral_constantIbLb0EESP_IbLb1EEEEDaSL_SM_EUlSL_E0_NS1_11comp_targetILNS1_3genE0ELNS1_11target_archE4294967295ELNS1_3gpuE0ELNS1_3repE0EEENS1_30default_config_static_selectorELNS0_4arch9wavefront6targetE1EEEvT1_
    .private_segment_fixed_size: 0
    .sgpr_count:     26
    .sgpr_spill_count: 0
    .symbol:         _ZN7rocprim17ROCPRIM_400000_NS6detail17trampoline_kernelINS0_14default_configENS1_20scan_config_selectorIlEEZZNS1_9scan_implILNS1_25lookback_scan_determinismE0ELb0ELb0ES3_PlS8_lN6thrust23THRUST_200600_302600_NS4plusIvEElEEDaPvRmT3_T4_T5_mT6_P12ihipStream_tbENKUlT_T0_E_clISt17integral_constantIbLb0EESP_IbLb1EEEEDaSL_SM_EUlSL_E0_NS1_11comp_targetILNS1_3genE0ELNS1_11target_archE4294967295ELNS1_3gpuE0ELNS1_3repE0EEENS1_30default_config_static_selectorELNS0_4arch9wavefront6targetE1EEEvT1_.kd
    .uniform_work_group_size: 1
    .uses_dynamic_stack: false
    .vgpr_count:     35
    .vgpr_spill_count: 0
    .wavefront_size: 64
  - .agpr_count:     0
    .args:
      - .offset:         0
        .size:           40
        .value_kind:     by_value
    .group_segment_fixed_size: 0
    .kernarg_segment_align: 8
    .kernarg_segment_size: 40
    .language:       OpenCL C
    .language_version:
      - 2
      - 0
    .max_flat_workgroup_size: 256
    .name:           _ZN7rocprim17ROCPRIM_400000_NS6detail17trampoline_kernelINS0_14default_configENS1_20scan_config_selectorIlEEZZNS1_9scan_implILNS1_25lookback_scan_determinismE0ELb0ELb0ES3_PlS8_lN6thrust23THRUST_200600_302600_NS4plusIvEElEEDaPvRmT3_T4_T5_mT6_P12ihipStream_tbENKUlT_T0_E_clISt17integral_constantIbLb0EESP_IbLb1EEEEDaSL_SM_EUlSL_E0_NS1_11comp_targetILNS1_3genE5ELNS1_11target_archE942ELNS1_3gpuE9ELNS1_3repE0EEENS1_30default_config_static_selectorELNS0_4arch9wavefront6targetE1EEEvT1_
    .private_segment_fixed_size: 0
    .sgpr_count:     6
    .sgpr_spill_count: 0
    .symbol:         _ZN7rocprim17ROCPRIM_400000_NS6detail17trampoline_kernelINS0_14default_configENS1_20scan_config_selectorIlEEZZNS1_9scan_implILNS1_25lookback_scan_determinismE0ELb0ELb0ES3_PlS8_lN6thrust23THRUST_200600_302600_NS4plusIvEElEEDaPvRmT3_T4_T5_mT6_P12ihipStream_tbENKUlT_T0_E_clISt17integral_constantIbLb0EESP_IbLb1EEEEDaSL_SM_EUlSL_E0_NS1_11comp_targetILNS1_3genE5ELNS1_11target_archE942ELNS1_3gpuE9ELNS1_3repE0EEENS1_30default_config_static_selectorELNS0_4arch9wavefront6targetE1EEEvT1_.kd
    .uniform_work_group_size: 1
    .uses_dynamic_stack: false
    .vgpr_count:     0
    .vgpr_spill_count: 0
    .wavefront_size: 64
  - .agpr_count:     0
    .args:
      - .offset:         0
        .size:           40
        .value_kind:     by_value
    .group_segment_fixed_size: 0
    .kernarg_segment_align: 8
    .kernarg_segment_size: 40
    .language:       OpenCL C
    .language_version:
      - 2
      - 0
    .max_flat_workgroup_size: 128
    .name:           _ZN7rocprim17ROCPRIM_400000_NS6detail17trampoline_kernelINS0_14default_configENS1_20scan_config_selectorIlEEZZNS1_9scan_implILNS1_25lookback_scan_determinismE0ELb0ELb0ES3_PlS8_lN6thrust23THRUST_200600_302600_NS4plusIvEElEEDaPvRmT3_T4_T5_mT6_P12ihipStream_tbENKUlT_T0_E_clISt17integral_constantIbLb0EESP_IbLb1EEEEDaSL_SM_EUlSL_E0_NS1_11comp_targetILNS1_3genE4ELNS1_11target_archE910ELNS1_3gpuE8ELNS1_3repE0EEENS1_30default_config_static_selectorELNS0_4arch9wavefront6targetE1EEEvT1_
    .private_segment_fixed_size: 0
    .sgpr_count:     6
    .sgpr_spill_count: 0
    .symbol:         _ZN7rocprim17ROCPRIM_400000_NS6detail17trampoline_kernelINS0_14default_configENS1_20scan_config_selectorIlEEZZNS1_9scan_implILNS1_25lookback_scan_determinismE0ELb0ELb0ES3_PlS8_lN6thrust23THRUST_200600_302600_NS4plusIvEElEEDaPvRmT3_T4_T5_mT6_P12ihipStream_tbENKUlT_T0_E_clISt17integral_constantIbLb0EESP_IbLb1EEEEDaSL_SM_EUlSL_E0_NS1_11comp_targetILNS1_3genE4ELNS1_11target_archE910ELNS1_3gpuE8ELNS1_3repE0EEENS1_30default_config_static_selectorELNS0_4arch9wavefront6targetE1EEEvT1_.kd
    .uniform_work_group_size: 1
    .uses_dynamic_stack: false
    .vgpr_count:     0
    .vgpr_spill_count: 0
    .wavefront_size: 64
  - .agpr_count:     0
    .args:
      - .offset:         0
        .size:           40
        .value_kind:     by_value
    .group_segment_fixed_size: 0
    .kernarg_segment_align: 8
    .kernarg_segment_size: 40
    .language:       OpenCL C
    .language_version:
      - 2
      - 0
    .max_flat_workgroup_size: 256
    .name:           _ZN7rocprim17ROCPRIM_400000_NS6detail17trampoline_kernelINS0_14default_configENS1_20scan_config_selectorIlEEZZNS1_9scan_implILNS1_25lookback_scan_determinismE0ELb0ELb0ES3_PlS8_lN6thrust23THRUST_200600_302600_NS4plusIvEElEEDaPvRmT3_T4_T5_mT6_P12ihipStream_tbENKUlT_T0_E_clISt17integral_constantIbLb0EESP_IbLb1EEEEDaSL_SM_EUlSL_E0_NS1_11comp_targetILNS1_3genE3ELNS1_11target_archE908ELNS1_3gpuE7ELNS1_3repE0EEENS1_30default_config_static_selectorELNS0_4arch9wavefront6targetE1EEEvT1_
    .private_segment_fixed_size: 0
    .sgpr_count:     6
    .sgpr_spill_count: 0
    .symbol:         _ZN7rocprim17ROCPRIM_400000_NS6detail17trampoline_kernelINS0_14default_configENS1_20scan_config_selectorIlEEZZNS1_9scan_implILNS1_25lookback_scan_determinismE0ELb0ELb0ES3_PlS8_lN6thrust23THRUST_200600_302600_NS4plusIvEElEEDaPvRmT3_T4_T5_mT6_P12ihipStream_tbENKUlT_T0_E_clISt17integral_constantIbLb0EESP_IbLb1EEEEDaSL_SM_EUlSL_E0_NS1_11comp_targetILNS1_3genE3ELNS1_11target_archE908ELNS1_3gpuE7ELNS1_3repE0EEENS1_30default_config_static_selectorELNS0_4arch9wavefront6targetE1EEEvT1_.kd
    .uniform_work_group_size: 1
    .uses_dynamic_stack: false
    .vgpr_count:     0
    .vgpr_spill_count: 0
    .wavefront_size: 64
  - .agpr_count:     0
    .args:
      - .offset:         0
        .size:           40
        .value_kind:     by_value
    .group_segment_fixed_size: 0
    .kernarg_segment_align: 8
    .kernarg_segment_size: 40
    .language:       OpenCL C
    .language_version:
      - 2
      - 0
    .max_flat_workgroup_size: 64
    .name:           _ZN7rocprim17ROCPRIM_400000_NS6detail17trampoline_kernelINS0_14default_configENS1_20scan_config_selectorIlEEZZNS1_9scan_implILNS1_25lookback_scan_determinismE0ELb0ELb0ES3_PlS8_lN6thrust23THRUST_200600_302600_NS4plusIvEElEEDaPvRmT3_T4_T5_mT6_P12ihipStream_tbENKUlT_T0_E_clISt17integral_constantIbLb0EESP_IbLb1EEEEDaSL_SM_EUlSL_E0_NS1_11comp_targetILNS1_3genE2ELNS1_11target_archE906ELNS1_3gpuE6ELNS1_3repE0EEENS1_30default_config_static_selectorELNS0_4arch9wavefront6targetE1EEEvT1_
    .private_segment_fixed_size: 0
    .sgpr_count:     6
    .sgpr_spill_count: 0
    .symbol:         _ZN7rocprim17ROCPRIM_400000_NS6detail17trampoline_kernelINS0_14default_configENS1_20scan_config_selectorIlEEZZNS1_9scan_implILNS1_25lookback_scan_determinismE0ELb0ELb0ES3_PlS8_lN6thrust23THRUST_200600_302600_NS4plusIvEElEEDaPvRmT3_T4_T5_mT6_P12ihipStream_tbENKUlT_T0_E_clISt17integral_constantIbLb0EESP_IbLb1EEEEDaSL_SM_EUlSL_E0_NS1_11comp_targetILNS1_3genE2ELNS1_11target_archE906ELNS1_3gpuE6ELNS1_3repE0EEENS1_30default_config_static_selectorELNS0_4arch9wavefront6targetE1EEEvT1_.kd
    .uniform_work_group_size: 1
    .uses_dynamic_stack: false
    .vgpr_count:     0
    .vgpr_spill_count: 0
    .wavefront_size: 64
  - .agpr_count:     0
    .args:
      - .offset:         0
        .size:           40
        .value_kind:     by_value
    .group_segment_fixed_size: 0
    .kernarg_segment_align: 8
    .kernarg_segment_size: 40
    .language:       OpenCL C
    .language_version:
      - 2
      - 0
    .max_flat_workgroup_size: 256
    .name:           _ZN7rocprim17ROCPRIM_400000_NS6detail17trampoline_kernelINS0_14default_configENS1_20scan_config_selectorIlEEZZNS1_9scan_implILNS1_25lookback_scan_determinismE0ELb0ELb0ES3_PlS8_lN6thrust23THRUST_200600_302600_NS4plusIvEElEEDaPvRmT3_T4_T5_mT6_P12ihipStream_tbENKUlT_T0_E_clISt17integral_constantIbLb0EESP_IbLb1EEEEDaSL_SM_EUlSL_E0_NS1_11comp_targetILNS1_3genE10ELNS1_11target_archE1201ELNS1_3gpuE5ELNS1_3repE0EEENS1_30default_config_static_selectorELNS0_4arch9wavefront6targetE1EEEvT1_
    .private_segment_fixed_size: 0
    .sgpr_count:     6
    .sgpr_spill_count: 0
    .symbol:         _ZN7rocprim17ROCPRIM_400000_NS6detail17trampoline_kernelINS0_14default_configENS1_20scan_config_selectorIlEEZZNS1_9scan_implILNS1_25lookback_scan_determinismE0ELb0ELb0ES3_PlS8_lN6thrust23THRUST_200600_302600_NS4plusIvEElEEDaPvRmT3_T4_T5_mT6_P12ihipStream_tbENKUlT_T0_E_clISt17integral_constantIbLb0EESP_IbLb1EEEEDaSL_SM_EUlSL_E0_NS1_11comp_targetILNS1_3genE10ELNS1_11target_archE1201ELNS1_3gpuE5ELNS1_3repE0EEENS1_30default_config_static_selectorELNS0_4arch9wavefront6targetE1EEEvT1_.kd
    .uniform_work_group_size: 1
    .uses_dynamic_stack: false
    .vgpr_count:     0
    .vgpr_spill_count: 0
    .wavefront_size: 64
  - .agpr_count:     0
    .args:
      - .offset:         0
        .size:           40
        .value_kind:     by_value
    .group_segment_fixed_size: 0
    .kernarg_segment_align: 8
    .kernarg_segment_size: 40
    .language:       OpenCL C
    .language_version:
      - 2
      - 0
    .max_flat_workgroup_size: 256
    .name:           _ZN7rocprim17ROCPRIM_400000_NS6detail17trampoline_kernelINS0_14default_configENS1_20scan_config_selectorIlEEZZNS1_9scan_implILNS1_25lookback_scan_determinismE0ELb0ELb0ES3_PlS8_lN6thrust23THRUST_200600_302600_NS4plusIvEElEEDaPvRmT3_T4_T5_mT6_P12ihipStream_tbENKUlT_T0_E_clISt17integral_constantIbLb0EESP_IbLb1EEEEDaSL_SM_EUlSL_E0_NS1_11comp_targetILNS1_3genE10ELNS1_11target_archE1200ELNS1_3gpuE4ELNS1_3repE0EEENS1_30default_config_static_selectorELNS0_4arch9wavefront6targetE1EEEvT1_
    .private_segment_fixed_size: 0
    .sgpr_count:     6
    .sgpr_spill_count: 0
    .symbol:         _ZN7rocprim17ROCPRIM_400000_NS6detail17trampoline_kernelINS0_14default_configENS1_20scan_config_selectorIlEEZZNS1_9scan_implILNS1_25lookback_scan_determinismE0ELb0ELb0ES3_PlS8_lN6thrust23THRUST_200600_302600_NS4plusIvEElEEDaPvRmT3_T4_T5_mT6_P12ihipStream_tbENKUlT_T0_E_clISt17integral_constantIbLb0EESP_IbLb1EEEEDaSL_SM_EUlSL_E0_NS1_11comp_targetILNS1_3genE10ELNS1_11target_archE1200ELNS1_3gpuE4ELNS1_3repE0EEENS1_30default_config_static_selectorELNS0_4arch9wavefront6targetE1EEEvT1_.kd
    .uniform_work_group_size: 1
    .uses_dynamic_stack: false
    .vgpr_count:     0
    .vgpr_spill_count: 0
    .wavefront_size: 64
  - .agpr_count:     0
    .args:
      - .offset:         0
        .size:           40
        .value_kind:     by_value
    .group_segment_fixed_size: 0
    .kernarg_segment_align: 8
    .kernarg_segment_size: 40
    .language:       OpenCL C
    .language_version:
      - 2
      - 0
    .max_flat_workgroup_size: 256
    .name:           _ZN7rocprim17ROCPRIM_400000_NS6detail17trampoline_kernelINS0_14default_configENS1_20scan_config_selectorIlEEZZNS1_9scan_implILNS1_25lookback_scan_determinismE0ELb0ELb0ES3_PlS8_lN6thrust23THRUST_200600_302600_NS4plusIvEElEEDaPvRmT3_T4_T5_mT6_P12ihipStream_tbENKUlT_T0_E_clISt17integral_constantIbLb0EESP_IbLb1EEEEDaSL_SM_EUlSL_E0_NS1_11comp_targetILNS1_3genE9ELNS1_11target_archE1100ELNS1_3gpuE3ELNS1_3repE0EEENS1_30default_config_static_selectorELNS0_4arch9wavefront6targetE1EEEvT1_
    .private_segment_fixed_size: 0
    .sgpr_count:     6
    .sgpr_spill_count: 0
    .symbol:         _ZN7rocprim17ROCPRIM_400000_NS6detail17trampoline_kernelINS0_14default_configENS1_20scan_config_selectorIlEEZZNS1_9scan_implILNS1_25lookback_scan_determinismE0ELb0ELb0ES3_PlS8_lN6thrust23THRUST_200600_302600_NS4plusIvEElEEDaPvRmT3_T4_T5_mT6_P12ihipStream_tbENKUlT_T0_E_clISt17integral_constantIbLb0EESP_IbLb1EEEEDaSL_SM_EUlSL_E0_NS1_11comp_targetILNS1_3genE9ELNS1_11target_archE1100ELNS1_3gpuE3ELNS1_3repE0EEENS1_30default_config_static_selectorELNS0_4arch9wavefront6targetE1EEEvT1_.kd
    .uniform_work_group_size: 1
    .uses_dynamic_stack: false
    .vgpr_count:     0
    .vgpr_spill_count: 0
    .wavefront_size: 64
  - .agpr_count:     0
    .args:
      - .offset:         0
        .size:           40
        .value_kind:     by_value
    .group_segment_fixed_size: 0
    .kernarg_segment_align: 8
    .kernarg_segment_size: 40
    .language:       OpenCL C
    .language_version:
      - 2
      - 0
    .max_flat_workgroup_size: 256
    .name:           _ZN7rocprim17ROCPRIM_400000_NS6detail17trampoline_kernelINS0_14default_configENS1_20scan_config_selectorIlEEZZNS1_9scan_implILNS1_25lookback_scan_determinismE0ELb0ELb0ES3_PlS8_lN6thrust23THRUST_200600_302600_NS4plusIvEElEEDaPvRmT3_T4_T5_mT6_P12ihipStream_tbENKUlT_T0_E_clISt17integral_constantIbLb0EESP_IbLb1EEEEDaSL_SM_EUlSL_E0_NS1_11comp_targetILNS1_3genE8ELNS1_11target_archE1030ELNS1_3gpuE2ELNS1_3repE0EEENS1_30default_config_static_selectorELNS0_4arch9wavefront6targetE1EEEvT1_
    .private_segment_fixed_size: 0
    .sgpr_count:     6
    .sgpr_spill_count: 0
    .symbol:         _ZN7rocprim17ROCPRIM_400000_NS6detail17trampoline_kernelINS0_14default_configENS1_20scan_config_selectorIlEEZZNS1_9scan_implILNS1_25lookback_scan_determinismE0ELb0ELb0ES3_PlS8_lN6thrust23THRUST_200600_302600_NS4plusIvEElEEDaPvRmT3_T4_T5_mT6_P12ihipStream_tbENKUlT_T0_E_clISt17integral_constantIbLb0EESP_IbLb1EEEEDaSL_SM_EUlSL_E0_NS1_11comp_targetILNS1_3genE8ELNS1_11target_archE1030ELNS1_3gpuE2ELNS1_3repE0EEENS1_30default_config_static_selectorELNS0_4arch9wavefront6targetE1EEEvT1_.kd
    .uniform_work_group_size: 1
    .uses_dynamic_stack: false
    .vgpr_count:     0
    .vgpr_spill_count: 0
    .wavefront_size: 64
  - .agpr_count:     0
    .args:
      - .offset:         0
        .size:           32
        .value_kind:     by_value
      - .offset:         32
        .size:           8
        .value_kind:     by_value
      - .offset:         40
        .size:           8
        .value_kind:     by_value
    .group_segment_fixed_size: 0
    .kernarg_segment_align: 8
    .kernarg_segment_size: 48
    .language:       OpenCL C
    .language_version:
      - 2
      - 0
    .max_flat_workgroup_size: 256
    .name:           _ZN6thrust23THRUST_200600_302600_NS11hip_rocprim14__parallel_for6kernelILj256ENS1_11__transform17unary_transform_fIPlNS0_20permutation_iteratorIS6_PKlEENS4_14no_stencil_tagENS1_8identityENS4_21always_true_predicateEEElLj1EEEvT0_T1_SG_
    .private_segment_fixed_size: 0
    .sgpr_count:     16
    .sgpr_spill_count: 0
    .symbol:         _ZN6thrust23THRUST_200600_302600_NS11hip_rocprim14__parallel_for6kernelILj256ENS1_11__transform17unary_transform_fIPlNS0_20permutation_iteratorIS6_PKlEENS4_14no_stencil_tagENS1_8identityENS4_21always_true_predicateEEElLj1EEEvT0_T1_SG_.kd
    .uniform_work_group_size: 1
    .uses_dynamic_stack: false
    .vgpr_count:     8
    .vgpr_spill_count: 0
    .wavefront_size: 64
  - .agpr_count:     0
    .args:
      - .address_space:  global
        .offset:         0
        .size:           8
        .value_kind:     global_buffer
      - .offset:         8
        .size:           4
        .value_kind:     by_value
      - .offset:         12
        .size:           1
        .value_kind:     by_value
      - .offset:         16
        .size:           4
        .value_kind:     by_value
      - .address_space:  global
        .offset:         24
        .size:           8
        .value_kind:     global_buffer
      - .offset:         32
        .size:           4
        .value_kind:     hidden_block_count_x
      - .offset:         36
        .size:           4
        .value_kind:     hidden_block_count_y
      - .offset:         40
        .size:           4
        .value_kind:     hidden_block_count_z
      - .offset:         44
        .size:           2
        .value_kind:     hidden_group_size_x
      - .offset:         46
        .size:           2
        .value_kind:     hidden_group_size_y
      - .offset:         48
        .size:           2
        .value_kind:     hidden_group_size_z
      - .offset:         50
        .size:           2
        .value_kind:     hidden_remainder_x
      - .offset:         52
        .size:           2
        .value_kind:     hidden_remainder_y
      - .offset:         54
        .size:           2
        .value_kind:     hidden_remainder_z
      - .offset:         72
        .size:           8
        .value_kind:     hidden_global_offset_x
      - .offset:         80
        .size:           8
        .value_kind:     hidden_global_offset_y
      - .offset:         88
        .size:           8
        .value_kind:     hidden_global_offset_z
      - .offset:         96
        .size:           2
        .value_kind:     hidden_grid_dims
    .group_segment_fixed_size: 0
    .kernarg_segment_align: 8
    .kernarg_segment_size: 288
    .language:       OpenCL C
    .language_version:
      - 2
      - 0
    .max_flat_workgroup_size: 256
    .name:           _ZN7rocprim17ROCPRIM_400000_NS6detail31init_lookback_scan_state_kernelINS1_19lookback_scan_stateIjLb0ELb1EEENS1_16block_id_wrapperIjLb0EEEEEvT_jT0_jPNS7_10value_typeE
    .private_segment_fixed_size: 0
    .sgpr_count:     15
    .sgpr_spill_count: 0
    .symbol:         _ZN7rocprim17ROCPRIM_400000_NS6detail31init_lookback_scan_state_kernelINS1_19lookback_scan_stateIjLb0ELb1EEENS1_16block_id_wrapperIjLb0EEEEEvT_jT0_jPNS7_10value_typeE.kd
    .uniform_work_group_size: 1
    .uses_dynamic_stack: false
    .vgpr_count:     6
    .vgpr_spill_count: 0
    .wavefront_size: 64
  - .agpr_count:     0
    .args:
      - .offset:         0
        .size:           120
        .value_kind:     by_value
    .group_segment_fixed_size: 28680
    .kernarg_segment_align: 8
    .kernarg_segment_size: 120
    .language:       OpenCL C
    .language_version:
      - 2
      - 0
    .max_flat_workgroup_size: 512
    .name:           _ZN7rocprim17ROCPRIM_400000_NS6detail17trampoline_kernelINS0_14default_configENS1_25partition_config_selectorILNS1_17partition_subalgoE8ElNS0_10empty_typeEbEEZZNS1_14partition_implILS5_8ELb0ES3_jPlPS6_PKS6_NS0_5tupleIJS9_S6_EEENSD_IJSA_SA_EEENS0_18inequality_wrapperIZN2at6native12_GLOBAL__N_124unique_dim_cuda_templateIhEESt5tupleIJNSH_6TensorESM_SM_EERKSM_lbbbEUlllE0_EEPmJS6_EEE10hipError_tPvRmT3_T4_T5_T6_T7_T9_mT8_P12ihipStream_tbDpT10_ENKUlT_T0_E_clISt17integral_constantIbLb0EES1C_EEDaS17_S18_EUlS17_E_NS1_11comp_targetILNS1_3genE0ELNS1_11target_archE4294967295ELNS1_3gpuE0ELNS1_3repE0EEENS1_30default_config_static_selectorELNS0_4arch9wavefront6targetE1EEEvT1_
    .private_segment_fixed_size: 0
    .sgpr_count:     56
    .sgpr_spill_count: 0
    .symbol:         _ZN7rocprim17ROCPRIM_400000_NS6detail17trampoline_kernelINS0_14default_configENS1_25partition_config_selectorILNS1_17partition_subalgoE8ElNS0_10empty_typeEbEEZZNS1_14partition_implILS5_8ELb0ES3_jPlPS6_PKS6_NS0_5tupleIJS9_S6_EEENSD_IJSA_SA_EEENS0_18inequality_wrapperIZN2at6native12_GLOBAL__N_124unique_dim_cuda_templateIhEESt5tupleIJNSH_6TensorESM_SM_EERKSM_lbbbEUlllE0_EEPmJS6_EEE10hipError_tPvRmT3_T4_T5_T6_T7_T9_mT8_P12ihipStream_tbDpT10_ENKUlT_T0_E_clISt17integral_constantIbLb0EES1C_EEDaS17_S18_EUlS17_E_NS1_11comp_targetILNS1_3genE0ELNS1_11target_archE4294967295ELNS1_3gpuE0ELNS1_3repE0EEENS1_30default_config_static_selectorELNS0_4arch9wavefront6targetE1EEEvT1_.kd
    .uniform_work_group_size: 1
    .uses_dynamic_stack: false
    .vgpr_count:     58
    .vgpr_spill_count: 0
    .wavefront_size: 64
  - .agpr_count:     0
    .args:
      - .offset:         0
        .size:           120
        .value_kind:     by_value
    .group_segment_fixed_size: 0
    .kernarg_segment_align: 8
    .kernarg_segment_size: 120
    .language:       OpenCL C
    .language_version:
      - 2
      - 0
    .max_flat_workgroup_size: 512
    .name:           _ZN7rocprim17ROCPRIM_400000_NS6detail17trampoline_kernelINS0_14default_configENS1_25partition_config_selectorILNS1_17partition_subalgoE8ElNS0_10empty_typeEbEEZZNS1_14partition_implILS5_8ELb0ES3_jPlPS6_PKS6_NS0_5tupleIJS9_S6_EEENSD_IJSA_SA_EEENS0_18inequality_wrapperIZN2at6native12_GLOBAL__N_124unique_dim_cuda_templateIhEESt5tupleIJNSH_6TensorESM_SM_EERKSM_lbbbEUlllE0_EEPmJS6_EEE10hipError_tPvRmT3_T4_T5_T6_T7_T9_mT8_P12ihipStream_tbDpT10_ENKUlT_T0_E_clISt17integral_constantIbLb0EES1C_EEDaS17_S18_EUlS17_E_NS1_11comp_targetILNS1_3genE5ELNS1_11target_archE942ELNS1_3gpuE9ELNS1_3repE0EEENS1_30default_config_static_selectorELNS0_4arch9wavefront6targetE1EEEvT1_
    .private_segment_fixed_size: 0
    .sgpr_count:     6
    .sgpr_spill_count: 0
    .symbol:         _ZN7rocprim17ROCPRIM_400000_NS6detail17trampoline_kernelINS0_14default_configENS1_25partition_config_selectorILNS1_17partition_subalgoE8ElNS0_10empty_typeEbEEZZNS1_14partition_implILS5_8ELb0ES3_jPlPS6_PKS6_NS0_5tupleIJS9_S6_EEENSD_IJSA_SA_EEENS0_18inequality_wrapperIZN2at6native12_GLOBAL__N_124unique_dim_cuda_templateIhEESt5tupleIJNSH_6TensorESM_SM_EERKSM_lbbbEUlllE0_EEPmJS6_EEE10hipError_tPvRmT3_T4_T5_T6_T7_T9_mT8_P12ihipStream_tbDpT10_ENKUlT_T0_E_clISt17integral_constantIbLb0EES1C_EEDaS17_S18_EUlS17_E_NS1_11comp_targetILNS1_3genE5ELNS1_11target_archE942ELNS1_3gpuE9ELNS1_3repE0EEENS1_30default_config_static_selectorELNS0_4arch9wavefront6targetE1EEEvT1_.kd
    .uniform_work_group_size: 1
    .uses_dynamic_stack: false
    .vgpr_count:     0
    .vgpr_spill_count: 0
    .wavefront_size: 64
  - .agpr_count:     0
    .args:
      - .offset:         0
        .size:           120
        .value_kind:     by_value
    .group_segment_fixed_size: 0
    .kernarg_segment_align: 8
    .kernarg_segment_size: 120
    .language:       OpenCL C
    .language_version:
      - 2
      - 0
    .max_flat_workgroup_size: 256
    .name:           _ZN7rocprim17ROCPRIM_400000_NS6detail17trampoline_kernelINS0_14default_configENS1_25partition_config_selectorILNS1_17partition_subalgoE8ElNS0_10empty_typeEbEEZZNS1_14partition_implILS5_8ELb0ES3_jPlPS6_PKS6_NS0_5tupleIJS9_S6_EEENSD_IJSA_SA_EEENS0_18inequality_wrapperIZN2at6native12_GLOBAL__N_124unique_dim_cuda_templateIhEESt5tupleIJNSH_6TensorESM_SM_EERKSM_lbbbEUlllE0_EEPmJS6_EEE10hipError_tPvRmT3_T4_T5_T6_T7_T9_mT8_P12ihipStream_tbDpT10_ENKUlT_T0_E_clISt17integral_constantIbLb0EES1C_EEDaS17_S18_EUlS17_E_NS1_11comp_targetILNS1_3genE4ELNS1_11target_archE910ELNS1_3gpuE8ELNS1_3repE0EEENS1_30default_config_static_selectorELNS0_4arch9wavefront6targetE1EEEvT1_
    .private_segment_fixed_size: 0
    .sgpr_count:     6
    .sgpr_spill_count: 0
    .symbol:         _ZN7rocprim17ROCPRIM_400000_NS6detail17trampoline_kernelINS0_14default_configENS1_25partition_config_selectorILNS1_17partition_subalgoE8ElNS0_10empty_typeEbEEZZNS1_14partition_implILS5_8ELb0ES3_jPlPS6_PKS6_NS0_5tupleIJS9_S6_EEENSD_IJSA_SA_EEENS0_18inequality_wrapperIZN2at6native12_GLOBAL__N_124unique_dim_cuda_templateIhEESt5tupleIJNSH_6TensorESM_SM_EERKSM_lbbbEUlllE0_EEPmJS6_EEE10hipError_tPvRmT3_T4_T5_T6_T7_T9_mT8_P12ihipStream_tbDpT10_ENKUlT_T0_E_clISt17integral_constantIbLb0EES1C_EEDaS17_S18_EUlS17_E_NS1_11comp_targetILNS1_3genE4ELNS1_11target_archE910ELNS1_3gpuE8ELNS1_3repE0EEENS1_30default_config_static_selectorELNS0_4arch9wavefront6targetE1EEEvT1_.kd
    .uniform_work_group_size: 1
    .uses_dynamic_stack: false
    .vgpr_count:     0
    .vgpr_spill_count: 0
    .wavefront_size: 64
  - .agpr_count:     0
    .args:
      - .offset:         0
        .size:           120
        .value_kind:     by_value
    .group_segment_fixed_size: 0
    .kernarg_segment_align: 8
    .kernarg_segment_size: 120
    .language:       OpenCL C
    .language_version:
      - 2
      - 0
    .max_flat_workgroup_size: 512
    .name:           _ZN7rocprim17ROCPRIM_400000_NS6detail17trampoline_kernelINS0_14default_configENS1_25partition_config_selectorILNS1_17partition_subalgoE8ElNS0_10empty_typeEbEEZZNS1_14partition_implILS5_8ELb0ES3_jPlPS6_PKS6_NS0_5tupleIJS9_S6_EEENSD_IJSA_SA_EEENS0_18inequality_wrapperIZN2at6native12_GLOBAL__N_124unique_dim_cuda_templateIhEESt5tupleIJNSH_6TensorESM_SM_EERKSM_lbbbEUlllE0_EEPmJS6_EEE10hipError_tPvRmT3_T4_T5_T6_T7_T9_mT8_P12ihipStream_tbDpT10_ENKUlT_T0_E_clISt17integral_constantIbLb0EES1C_EEDaS17_S18_EUlS17_E_NS1_11comp_targetILNS1_3genE3ELNS1_11target_archE908ELNS1_3gpuE7ELNS1_3repE0EEENS1_30default_config_static_selectorELNS0_4arch9wavefront6targetE1EEEvT1_
    .private_segment_fixed_size: 0
    .sgpr_count:     6
    .sgpr_spill_count: 0
    .symbol:         _ZN7rocprim17ROCPRIM_400000_NS6detail17trampoline_kernelINS0_14default_configENS1_25partition_config_selectorILNS1_17partition_subalgoE8ElNS0_10empty_typeEbEEZZNS1_14partition_implILS5_8ELb0ES3_jPlPS6_PKS6_NS0_5tupleIJS9_S6_EEENSD_IJSA_SA_EEENS0_18inequality_wrapperIZN2at6native12_GLOBAL__N_124unique_dim_cuda_templateIhEESt5tupleIJNSH_6TensorESM_SM_EERKSM_lbbbEUlllE0_EEPmJS6_EEE10hipError_tPvRmT3_T4_T5_T6_T7_T9_mT8_P12ihipStream_tbDpT10_ENKUlT_T0_E_clISt17integral_constantIbLb0EES1C_EEDaS17_S18_EUlS17_E_NS1_11comp_targetILNS1_3genE3ELNS1_11target_archE908ELNS1_3gpuE7ELNS1_3repE0EEENS1_30default_config_static_selectorELNS0_4arch9wavefront6targetE1EEEvT1_.kd
    .uniform_work_group_size: 1
    .uses_dynamic_stack: false
    .vgpr_count:     0
    .vgpr_spill_count: 0
    .wavefront_size: 64
  - .agpr_count:     0
    .args:
      - .offset:         0
        .size:           120
        .value_kind:     by_value
    .group_segment_fixed_size: 0
    .kernarg_segment_align: 8
    .kernarg_segment_size: 120
    .language:       OpenCL C
    .language_version:
      - 2
      - 0
    .max_flat_workgroup_size: 256
    .name:           _ZN7rocprim17ROCPRIM_400000_NS6detail17trampoline_kernelINS0_14default_configENS1_25partition_config_selectorILNS1_17partition_subalgoE8ElNS0_10empty_typeEbEEZZNS1_14partition_implILS5_8ELb0ES3_jPlPS6_PKS6_NS0_5tupleIJS9_S6_EEENSD_IJSA_SA_EEENS0_18inequality_wrapperIZN2at6native12_GLOBAL__N_124unique_dim_cuda_templateIhEESt5tupleIJNSH_6TensorESM_SM_EERKSM_lbbbEUlllE0_EEPmJS6_EEE10hipError_tPvRmT3_T4_T5_T6_T7_T9_mT8_P12ihipStream_tbDpT10_ENKUlT_T0_E_clISt17integral_constantIbLb0EES1C_EEDaS17_S18_EUlS17_E_NS1_11comp_targetILNS1_3genE2ELNS1_11target_archE906ELNS1_3gpuE6ELNS1_3repE0EEENS1_30default_config_static_selectorELNS0_4arch9wavefront6targetE1EEEvT1_
    .private_segment_fixed_size: 0
    .sgpr_count:     6
    .sgpr_spill_count: 0
    .symbol:         _ZN7rocprim17ROCPRIM_400000_NS6detail17trampoline_kernelINS0_14default_configENS1_25partition_config_selectorILNS1_17partition_subalgoE8ElNS0_10empty_typeEbEEZZNS1_14partition_implILS5_8ELb0ES3_jPlPS6_PKS6_NS0_5tupleIJS9_S6_EEENSD_IJSA_SA_EEENS0_18inequality_wrapperIZN2at6native12_GLOBAL__N_124unique_dim_cuda_templateIhEESt5tupleIJNSH_6TensorESM_SM_EERKSM_lbbbEUlllE0_EEPmJS6_EEE10hipError_tPvRmT3_T4_T5_T6_T7_T9_mT8_P12ihipStream_tbDpT10_ENKUlT_T0_E_clISt17integral_constantIbLb0EES1C_EEDaS17_S18_EUlS17_E_NS1_11comp_targetILNS1_3genE2ELNS1_11target_archE906ELNS1_3gpuE6ELNS1_3repE0EEENS1_30default_config_static_selectorELNS0_4arch9wavefront6targetE1EEEvT1_.kd
    .uniform_work_group_size: 1
    .uses_dynamic_stack: false
    .vgpr_count:     0
    .vgpr_spill_count: 0
    .wavefront_size: 64
  - .agpr_count:     0
    .args:
      - .offset:         0
        .size:           120
        .value_kind:     by_value
    .group_segment_fixed_size: 0
    .kernarg_segment_align: 8
    .kernarg_segment_size: 120
    .language:       OpenCL C
    .language_version:
      - 2
      - 0
    .max_flat_workgroup_size: 384
    .name:           _ZN7rocprim17ROCPRIM_400000_NS6detail17trampoline_kernelINS0_14default_configENS1_25partition_config_selectorILNS1_17partition_subalgoE8ElNS0_10empty_typeEbEEZZNS1_14partition_implILS5_8ELb0ES3_jPlPS6_PKS6_NS0_5tupleIJS9_S6_EEENSD_IJSA_SA_EEENS0_18inequality_wrapperIZN2at6native12_GLOBAL__N_124unique_dim_cuda_templateIhEESt5tupleIJNSH_6TensorESM_SM_EERKSM_lbbbEUlllE0_EEPmJS6_EEE10hipError_tPvRmT3_T4_T5_T6_T7_T9_mT8_P12ihipStream_tbDpT10_ENKUlT_T0_E_clISt17integral_constantIbLb0EES1C_EEDaS17_S18_EUlS17_E_NS1_11comp_targetILNS1_3genE10ELNS1_11target_archE1200ELNS1_3gpuE4ELNS1_3repE0EEENS1_30default_config_static_selectorELNS0_4arch9wavefront6targetE1EEEvT1_
    .private_segment_fixed_size: 0
    .sgpr_count:     6
    .sgpr_spill_count: 0
    .symbol:         _ZN7rocprim17ROCPRIM_400000_NS6detail17trampoline_kernelINS0_14default_configENS1_25partition_config_selectorILNS1_17partition_subalgoE8ElNS0_10empty_typeEbEEZZNS1_14partition_implILS5_8ELb0ES3_jPlPS6_PKS6_NS0_5tupleIJS9_S6_EEENSD_IJSA_SA_EEENS0_18inequality_wrapperIZN2at6native12_GLOBAL__N_124unique_dim_cuda_templateIhEESt5tupleIJNSH_6TensorESM_SM_EERKSM_lbbbEUlllE0_EEPmJS6_EEE10hipError_tPvRmT3_T4_T5_T6_T7_T9_mT8_P12ihipStream_tbDpT10_ENKUlT_T0_E_clISt17integral_constantIbLb0EES1C_EEDaS17_S18_EUlS17_E_NS1_11comp_targetILNS1_3genE10ELNS1_11target_archE1200ELNS1_3gpuE4ELNS1_3repE0EEENS1_30default_config_static_selectorELNS0_4arch9wavefront6targetE1EEEvT1_.kd
    .uniform_work_group_size: 1
    .uses_dynamic_stack: false
    .vgpr_count:     0
    .vgpr_spill_count: 0
    .wavefront_size: 64
  - .agpr_count:     0
    .args:
      - .offset:         0
        .size:           120
        .value_kind:     by_value
    .group_segment_fixed_size: 0
    .kernarg_segment_align: 8
    .kernarg_segment_size: 120
    .language:       OpenCL C
    .language_version:
      - 2
      - 0
    .max_flat_workgroup_size: 512
    .name:           _ZN7rocprim17ROCPRIM_400000_NS6detail17trampoline_kernelINS0_14default_configENS1_25partition_config_selectorILNS1_17partition_subalgoE8ElNS0_10empty_typeEbEEZZNS1_14partition_implILS5_8ELb0ES3_jPlPS6_PKS6_NS0_5tupleIJS9_S6_EEENSD_IJSA_SA_EEENS0_18inequality_wrapperIZN2at6native12_GLOBAL__N_124unique_dim_cuda_templateIhEESt5tupleIJNSH_6TensorESM_SM_EERKSM_lbbbEUlllE0_EEPmJS6_EEE10hipError_tPvRmT3_T4_T5_T6_T7_T9_mT8_P12ihipStream_tbDpT10_ENKUlT_T0_E_clISt17integral_constantIbLb0EES1C_EEDaS17_S18_EUlS17_E_NS1_11comp_targetILNS1_3genE9ELNS1_11target_archE1100ELNS1_3gpuE3ELNS1_3repE0EEENS1_30default_config_static_selectorELNS0_4arch9wavefront6targetE1EEEvT1_
    .private_segment_fixed_size: 0
    .sgpr_count:     6
    .sgpr_spill_count: 0
    .symbol:         _ZN7rocprim17ROCPRIM_400000_NS6detail17trampoline_kernelINS0_14default_configENS1_25partition_config_selectorILNS1_17partition_subalgoE8ElNS0_10empty_typeEbEEZZNS1_14partition_implILS5_8ELb0ES3_jPlPS6_PKS6_NS0_5tupleIJS9_S6_EEENSD_IJSA_SA_EEENS0_18inequality_wrapperIZN2at6native12_GLOBAL__N_124unique_dim_cuda_templateIhEESt5tupleIJNSH_6TensorESM_SM_EERKSM_lbbbEUlllE0_EEPmJS6_EEE10hipError_tPvRmT3_T4_T5_T6_T7_T9_mT8_P12ihipStream_tbDpT10_ENKUlT_T0_E_clISt17integral_constantIbLb0EES1C_EEDaS17_S18_EUlS17_E_NS1_11comp_targetILNS1_3genE9ELNS1_11target_archE1100ELNS1_3gpuE3ELNS1_3repE0EEENS1_30default_config_static_selectorELNS0_4arch9wavefront6targetE1EEEvT1_.kd
    .uniform_work_group_size: 1
    .uses_dynamic_stack: false
    .vgpr_count:     0
    .vgpr_spill_count: 0
    .wavefront_size: 64
  - .agpr_count:     0
    .args:
      - .offset:         0
        .size:           120
        .value_kind:     by_value
    .group_segment_fixed_size: 0
    .kernarg_segment_align: 8
    .kernarg_segment_size: 120
    .language:       OpenCL C
    .language_version:
      - 2
      - 0
    .max_flat_workgroup_size: 512
    .name:           _ZN7rocprim17ROCPRIM_400000_NS6detail17trampoline_kernelINS0_14default_configENS1_25partition_config_selectorILNS1_17partition_subalgoE8ElNS0_10empty_typeEbEEZZNS1_14partition_implILS5_8ELb0ES3_jPlPS6_PKS6_NS0_5tupleIJS9_S6_EEENSD_IJSA_SA_EEENS0_18inequality_wrapperIZN2at6native12_GLOBAL__N_124unique_dim_cuda_templateIhEESt5tupleIJNSH_6TensorESM_SM_EERKSM_lbbbEUlllE0_EEPmJS6_EEE10hipError_tPvRmT3_T4_T5_T6_T7_T9_mT8_P12ihipStream_tbDpT10_ENKUlT_T0_E_clISt17integral_constantIbLb0EES1C_EEDaS17_S18_EUlS17_E_NS1_11comp_targetILNS1_3genE8ELNS1_11target_archE1030ELNS1_3gpuE2ELNS1_3repE0EEENS1_30default_config_static_selectorELNS0_4arch9wavefront6targetE1EEEvT1_
    .private_segment_fixed_size: 0
    .sgpr_count:     6
    .sgpr_spill_count: 0
    .symbol:         _ZN7rocprim17ROCPRIM_400000_NS6detail17trampoline_kernelINS0_14default_configENS1_25partition_config_selectorILNS1_17partition_subalgoE8ElNS0_10empty_typeEbEEZZNS1_14partition_implILS5_8ELb0ES3_jPlPS6_PKS6_NS0_5tupleIJS9_S6_EEENSD_IJSA_SA_EEENS0_18inequality_wrapperIZN2at6native12_GLOBAL__N_124unique_dim_cuda_templateIhEESt5tupleIJNSH_6TensorESM_SM_EERKSM_lbbbEUlllE0_EEPmJS6_EEE10hipError_tPvRmT3_T4_T5_T6_T7_T9_mT8_P12ihipStream_tbDpT10_ENKUlT_T0_E_clISt17integral_constantIbLb0EES1C_EEDaS17_S18_EUlS17_E_NS1_11comp_targetILNS1_3genE8ELNS1_11target_archE1030ELNS1_3gpuE2ELNS1_3repE0EEENS1_30default_config_static_selectorELNS0_4arch9wavefront6targetE1EEEvT1_.kd
    .uniform_work_group_size: 1
    .uses_dynamic_stack: false
    .vgpr_count:     0
    .vgpr_spill_count: 0
    .wavefront_size: 64
  - .agpr_count:     0
    .args:
      - .offset:         0
        .size:           40
        .value_kind:     by_value
      - .offset:         40
        .size:           4
        .value_kind:     hidden_block_count_x
      - .offset:         44
        .size:           4
        .value_kind:     hidden_block_count_y
      - .offset:         48
        .size:           4
        .value_kind:     hidden_block_count_z
      - .offset:         52
        .size:           2
        .value_kind:     hidden_group_size_x
      - .offset:         54
        .size:           2
        .value_kind:     hidden_group_size_y
      - .offset:         56
        .size:           2
        .value_kind:     hidden_group_size_z
      - .offset:         58
        .size:           2
        .value_kind:     hidden_remainder_x
      - .offset:         60
        .size:           2
        .value_kind:     hidden_remainder_y
      - .offset:         62
        .size:           2
        .value_kind:     hidden_remainder_z
      - .offset:         80
        .size:           8
        .value_kind:     hidden_global_offset_x
      - .offset:         88
        .size:           8
        .value_kind:     hidden_global_offset_y
      - .offset:         96
        .size:           8
        .value_kind:     hidden_global_offset_z
      - .offset:         104
        .size:           2
        .value_kind:     hidden_grid_dims
    .group_segment_fixed_size: 0
    .kernarg_segment_align: 8
    .kernarg_segment_size: 296
    .language:       OpenCL C
    .language_version:
      - 2
      - 0
    .max_flat_workgroup_size: 128
    .name:           _ZN7rocprim17ROCPRIM_400000_NS6detail17trampoline_kernelINS0_14default_configENS1_25transform_config_selectorImLb1EEEZNS1_14transform_implILb1ES3_S5_PmS7_NS0_8identityIvEEEE10hipError_tT2_T3_mT4_P12ihipStream_tbEUlT_E_NS1_11comp_targetILNS1_3genE0ELNS1_11target_archE4294967295ELNS1_3gpuE0ELNS1_3repE0EEENS1_30default_config_static_selectorELNS0_4arch9wavefront6targetE1EEEvT1_
    .private_segment_fixed_size: 0
    .sgpr_count:     18
    .sgpr_spill_count: 0
    .symbol:         _ZN7rocprim17ROCPRIM_400000_NS6detail17trampoline_kernelINS0_14default_configENS1_25transform_config_selectorImLb1EEEZNS1_14transform_implILb1ES3_S5_PmS7_NS0_8identityIvEEEE10hipError_tT2_T3_mT4_P12ihipStream_tbEUlT_E_NS1_11comp_targetILNS1_3genE0ELNS1_11target_archE4294967295ELNS1_3gpuE0ELNS1_3repE0EEENS1_30default_config_static_selectorELNS0_4arch9wavefront6targetE1EEEvT1_.kd
    .uniform_work_group_size: 1
    .uses_dynamic_stack: false
    .vgpr_count:     3
    .vgpr_spill_count: 0
    .wavefront_size: 64
  - .agpr_count:     0
    .args:
      - .offset:         0
        .size:           40
        .value_kind:     by_value
    .group_segment_fixed_size: 0
    .kernarg_segment_align: 8
    .kernarg_segment_size: 40
    .language:       OpenCL C
    .language_version:
      - 2
      - 0
    .max_flat_workgroup_size: 1024
    .name:           _ZN7rocprim17ROCPRIM_400000_NS6detail17trampoline_kernelINS0_14default_configENS1_25transform_config_selectorImLb1EEEZNS1_14transform_implILb1ES3_S5_PmS7_NS0_8identityIvEEEE10hipError_tT2_T3_mT4_P12ihipStream_tbEUlT_E_NS1_11comp_targetILNS1_3genE10ELNS1_11target_archE1201ELNS1_3gpuE5ELNS1_3repE0EEENS1_30default_config_static_selectorELNS0_4arch9wavefront6targetE1EEEvT1_
    .private_segment_fixed_size: 0
    .sgpr_count:     6
    .sgpr_spill_count: 0
    .symbol:         _ZN7rocprim17ROCPRIM_400000_NS6detail17trampoline_kernelINS0_14default_configENS1_25transform_config_selectorImLb1EEEZNS1_14transform_implILb1ES3_S5_PmS7_NS0_8identityIvEEEE10hipError_tT2_T3_mT4_P12ihipStream_tbEUlT_E_NS1_11comp_targetILNS1_3genE10ELNS1_11target_archE1201ELNS1_3gpuE5ELNS1_3repE0EEENS1_30default_config_static_selectorELNS0_4arch9wavefront6targetE1EEEvT1_.kd
    .uniform_work_group_size: 1
    .uses_dynamic_stack: false
    .vgpr_count:     0
    .vgpr_spill_count: 0
    .wavefront_size: 64
  - .agpr_count:     0
    .args:
      - .offset:         0
        .size:           40
        .value_kind:     by_value
    .group_segment_fixed_size: 0
    .kernarg_segment_align: 8
    .kernarg_segment_size: 40
    .language:       OpenCL C
    .language_version:
      - 2
      - 0
    .max_flat_workgroup_size: 512
    .name:           _ZN7rocprim17ROCPRIM_400000_NS6detail17trampoline_kernelINS0_14default_configENS1_25transform_config_selectorImLb1EEEZNS1_14transform_implILb1ES3_S5_PmS7_NS0_8identityIvEEEE10hipError_tT2_T3_mT4_P12ihipStream_tbEUlT_E_NS1_11comp_targetILNS1_3genE5ELNS1_11target_archE942ELNS1_3gpuE9ELNS1_3repE0EEENS1_30default_config_static_selectorELNS0_4arch9wavefront6targetE1EEEvT1_
    .private_segment_fixed_size: 0
    .sgpr_count:     6
    .sgpr_spill_count: 0
    .symbol:         _ZN7rocprim17ROCPRIM_400000_NS6detail17trampoline_kernelINS0_14default_configENS1_25transform_config_selectorImLb1EEEZNS1_14transform_implILb1ES3_S5_PmS7_NS0_8identityIvEEEE10hipError_tT2_T3_mT4_P12ihipStream_tbEUlT_E_NS1_11comp_targetILNS1_3genE5ELNS1_11target_archE942ELNS1_3gpuE9ELNS1_3repE0EEENS1_30default_config_static_selectorELNS0_4arch9wavefront6targetE1EEEvT1_.kd
    .uniform_work_group_size: 1
    .uses_dynamic_stack: false
    .vgpr_count:     0
    .vgpr_spill_count: 0
    .wavefront_size: 64
  - .agpr_count:     0
    .args:
      - .offset:         0
        .size:           40
        .value_kind:     by_value
    .group_segment_fixed_size: 0
    .kernarg_segment_align: 8
    .kernarg_segment_size: 40
    .language:       OpenCL C
    .language_version:
      - 2
      - 0
    .max_flat_workgroup_size: 1024
    .name:           _ZN7rocprim17ROCPRIM_400000_NS6detail17trampoline_kernelINS0_14default_configENS1_25transform_config_selectorImLb1EEEZNS1_14transform_implILb1ES3_S5_PmS7_NS0_8identityIvEEEE10hipError_tT2_T3_mT4_P12ihipStream_tbEUlT_E_NS1_11comp_targetILNS1_3genE4ELNS1_11target_archE910ELNS1_3gpuE8ELNS1_3repE0EEENS1_30default_config_static_selectorELNS0_4arch9wavefront6targetE1EEEvT1_
    .private_segment_fixed_size: 0
    .sgpr_count:     6
    .sgpr_spill_count: 0
    .symbol:         _ZN7rocprim17ROCPRIM_400000_NS6detail17trampoline_kernelINS0_14default_configENS1_25transform_config_selectorImLb1EEEZNS1_14transform_implILb1ES3_S5_PmS7_NS0_8identityIvEEEE10hipError_tT2_T3_mT4_P12ihipStream_tbEUlT_E_NS1_11comp_targetILNS1_3genE4ELNS1_11target_archE910ELNS1_3gpuE8ELNS1_3repE0EEENS1_30default_config_static_selectorELNS0_4arch9wavefront6targetE1EEEvT1_.kd
    .uniform_work_group_size: 1
    .uses_dynamic_stack: false
    .vgpr_count:     0
    .vgpr_spill_count: 0
    .wavefront_size: 64
  - .agpr_count:     0
    .args:
      - .offset:         0
        .size:           40
        .value_kind:     by_value
    .group_segment_fixed_size: 0
    .kernarg_segment_align: 8
    .kernarg_segment_size: 40
    .language:       OpenCL C
    .language_version:
      - 2
      - 0
    .max_flat_workgroup_size: 128
    .name:           _ZN7rocprim17ROCPRIM_400000_NS6detail17trampoline_kernelINS0_14default_configENS1_25transform_config_selectorImLb1EEEZNS1_14transform_implILb1ES3_S5_PmS7_NS0_8identityIvEEEE10hipError_tT2_T3_mT4_P12ihipStream_tbEUlT_E_NS1_11comp_targetILNS1_3genE3ELNS1_11target_archE908ELNS1_3gpuE7ELNS1_3repE0EEENS1_30default_config_static_selectorELNS0_4arch9wavefront6targetE1EEEvT1_
    .private_segment_fixed_size: 0
    .sgpr_count:     6
    .sgpr_spill_count: 0
    .symbol:         _ZN7rocprim17ROCPRIM_400000_NS6detail17trampoline_kernelINS0_14default_configENS1_25transform_config_selectorImLb1EEEZNS1_14transform_implILb1ES3_S5_PmS7_NS0_8identityIvEEEE10hipError_tT2_T3_mT4_P12ihipStream_tbEUlT_E_NS1_11comp_targetILNS1_3genE3ELNS1_11target_archE908ELNS1_3gpuE7ELNS1_3repE0EEENS1_30default_config_static_selectorELNS0_4arch9wavefront6targetE1EEEvT1_.kd
    .uniform_work_group_size: 1
    .uses_dynamic_stack: false
    .vgpr_count:     0
    .vgpr_spill_count: 0
    .wavefront_size: 64
  - .agpr_count:     0
    .args:
      - .offset:         0
        .size:           40
        .value_kind:     by_value
    .group_segment_fixed_size: 0
    .kernarg_segment_align: 8
    .kernarg_segment_size: 40
    .language:       OpenCL C
    .language_version:
      - 2
      - 0
    .max_flat_workgroup_size: 512
    .name:           _ZN7rocprim17ROCPRIM_400000_NS6detail17trampoline_kernelINS0_14default_configENS1_25transform_config_selectorImLb1EEEZNS1_14transform_implILb1ES3_S5_PmS7_NS0_8identityIvEEEE10hipError_tT2_T3_mT4_P12ihipStream_tbEUlT_E_NS1_11comp_targetILNS1_3genE2ELNS1_11target_archE906ELNS1_3gpuE6ELNS1_3repE0EEENS1_30default_config_static_selectorELNS0_4arch9wavefront6targetE1EEEvT1_
    .private_segment_fixed_size: 0
    .sgpr_count:     6
    .sgpr_spill_count: 0
    .symbol:         _ZN7rocprim17ROCPRIM_400000_NS6detail17trampoline_kernelINS0_14default_configENS1_25transform_config_selectorImLb1EEEZNS1_14transform_implILb1ES3_S5_PmS7_NS0_8identityIvEEEE10hipError_tT2_T3_mT4_P12ihipStream_tbEUlT_E_NS1_11comp_targetILNS1_3genE2ELNS1_11target_archE906ELNS1_3gpuE6ELNS1_3repE0EEENS1_30default_config_static_selectorELNS0_4arch9wavefront6targetE1EEEvT1_.kd
    .uniform_work_group_size: 1
    .uses_dynamic_stack: false
    .vgpr_count:     0
    .vgpr_spill_count: 0
    .wavefront_size: 64
  - .agpr_count:     0
    .args:
      - .offset:         0
        .size:           40
        .value_kind:     by_value
    .group_segment_fixed_size: 0
    .kernarg_segment_align: 8
    .kernarg_segment_size: 40
    .language:       OpenCL C
    .language_version:
      - 2
      - 0
    .max_flat_workgroup_size: 1024
    .name:           _ZN7rocprim17ROCPRIM_400000_NS6detail17trampoline_kernelINS0_14default_configENS1_25transform_config_selectorImLb1EEEZNS1_14transform_implILb1ES3_S5_PmS7_NS0_8identityIvEEEE10hipError_tT2_T3_mT4_P12ihipStream_tbEUlT_E_NS1_11comp_targetILNS1_3genE9ELNS1_11target_archE1100ELNS1_3gpuE3ELNS1_3repE0EEENS1_30default_config_static_selectorELNS0_4arch9wavefront6targetE1EEEvT1_
    .private_segment_fixed_size: 0
    .sgpr_count:     6
    .sgpr_spill_count: 0
    .symbol:         _ZN7rocprim17ROCPRIM_400000_NS6detail17trampoline_kernelINS0_14default_configENS1_25transform_config_selectorImLb1EEEZNS1_14transform_implILb1ES3_S5_PmS7_NS0_8identityIvEEEE10hipError_tT2_T3_mT4_P12ihipStream_tbEUlT_E_NS1_11comp_targetILNS1_3genE9ELNS1_11target_archE1100ELNS1_3gpuE3ELNS1_3repE0EEENS1_30default_config_static_selectorELNS0_4arch9wavefront6targetE1EEEvT1_.kd
    .uniform_work_group_size: 1
    .uses_dynamic_stack: false
    .vgpr_count:     0
    .vgpr_spill_count: 0
    .wavefront_size: 64
  - .agpr_count:     0
    .args:
      - .offset:         0
        .size:           40
        .value_kind:     by_value
    .group_segment_fixed_size: 0
    .kernarg_segment_align: 8
    .kernarg_segment_size: 40
    .language:       OpenCL C
    .language_version:
      - 2
      - 0
    .max_flat_workgroup_size: 1024
    .name:           _ZN7rocprim17ROCPRIM_400000_NS6detail17trampoline_kernelINS0_14default_configENS1_25transform_config_selectorImLb1EEEZNS1_14transform_implILb1ES3_S5_PmS7_NS0_8identityIvEEEE10hipError_tT2_T3_mT4_P12ihipStream_tbEUlT_E_NS1_11comp_targetILNS1_3genE8ELNS1_11target_archE1030ELNS1_3gpuE2ELNS1_3repE0EEENS1_30default_config_static_selectorELNS0_4arch9wavefront6targetE1EEEvT1_
    .private_segment_fixed_size: 0
    .sgpr_count:     6
    .sgpr_spill_count: 0
    .symbol:         _ZN7rocprim17ROCPRIM_400000_NS6detail17trampoline_kernelINS0_14default_configENS1_25transform_config_selectorImLb1EEEZNS1_14transform_implILb1ES3_S5_PmS7_NS0_8identityIvEEEE10hipError_tT2_T3_mT4_P12ihipStream_tbEUlT_E_NS1_11comp_targetILNS1_3genE8ELNS1_11target_archE1030ELNS1_3gpuE2ELNS1_3repE0EEENS1_30default_config_static_selectorELNS0_4arch9wavefront6targetE1EEEvT1_.kd
    .uniform_work_group_size: 1
    .uses_dynamic_stack: false
    .vgpr_count:     0
    .vgpr_spill_count: 0
    .wavefront_size: 64
  - .agpr_count:     0
    .args:
      - .address_space:  global
        .offset:         0
        .size:           8
        .value_kind:     global_buffer
      - .offset:         8
        .size:           4
        .value_kind:     by_value
      - .address_space:  global
        .offset:         16
        .size:           8
        .value_kind:     global_buffer
      - .offset:         24
        .size:           4
        .value_kind:     by_value
      - .address_space:  global
        .offset:         32
        .size:           8
        .value_kind:     global_buffer
      - .offset:         40
        .size:           4
        .value_kind:     hidden_block_count_x
      - .offset:         44
        .size:           4
        .value_kind:     hidden_block_count_y
      - .offset:         48
        .size:           4
        .value_kind:     hidden_block_count_z
      - .offset:         52
        .size:           2
        .value_kind:     hidden_group_size_x
      - .offset:         54
        .size:           2
        .value_kind:     hidden_group_size_y
      - .offset:         56
        .size:           2
        .value_kind:     hidden_group_size_z
      - .offset:         58
        .size:           2
        .value_kind:     hidden_remainder_x
      - .offset:         60
        .size:           2
        .value_kind:     hidden_remainder_y
      - .offset:         62
        .size:           2
        .value_kind:     hidden_remainder_z
      - .offset:         80
        .size:           8
        .value_kind:     hidden_global_offset_x
      - .offset:         88
        .size:           8
        .value_kind:     hidden_global_offset_y
      - .offset:         96
        .size:           8
        .value_kind:     hidden_global_offset_z
      - .offset:         104
        .size:           2
        .value_kind:     hidden_grid_dims
    .group_segment_fixed_size: 0
    .kernarg_segment_align: 8
    .kernarg_segment_size: 296
    .language:       OpenCL C
    .language_version:
      - 2
      - 0
    .max_flat_workgroup_size: 256
    .name:           _ZN7rocprim17ROCPRIM_400000_NS6detail31init_lookback_scan_state_kernelINS1_19lookback_scan_stateIjLb1ELb1EEENS1_16block_id_wrapperIjLb1EEEEEvT_jT0_jPNS7_10value_typeE
    .private_segment_fixed_size: 0
    .sgpr_count:     20
    .sgpr_spill_count: 0
    .symbol:         _ZN7rocprim17ROCPRIM_400000_NS6detail31init_lookback_scan_state_kernelINS1_19lookback_scan_stateIjLb1ELb1EEENS1_16block_id_wrapperIjLb1EEEEEvT_jT0_jPNS7_10value_typeE.kd
    .uniform_work_group_size: 1
    .uses_dynamic_stack: false
    .vgpr_count:     6
    .vgpr_spill_count: 0
    .wavefront_size: 64
  - .agpr_count:     0
    .args:
      - .offset:         0
        .size:           136
        .value_kind:     by_value
    .group_segment_fixed_size: 0
    .kernarg_segment_align: 8
    .kernarg_segment_size: 136
    .language:       OpenCL C
    .language_version:
      - 2
      - 0
    .max_flat_workgroup_size: 512
    .name:           _ZN7rocprim17ROCPRIM_400000_NS6detail17trampoline_kernelINS0_14default_configENS1_25partition_config_selectorILNS1_17partition_subalgoE8ElNS0_10empty_typeEbEEZZNS1_14partition_implILS5_8ELb0ES3_jPlPS6_PKS6_NS0_5tupleIJS9_S6_EEENSD_IJSA_SA_EEENS0_18inequality_wrapperIZN2at6native12_GLOBAL__N_124unique_dim_cuda_templateIhEESt5tupleIJNSH_6TensorESM_SM_EERKSM_lbbbEUlllE0_EEPmJS6_EEE10hipError_tPvRmT3_T4_T5_T6_T7_T9_mT8_P12ihipStream_tbDpT10_ENKUlT_T0_E_clISt17integral_constantIbLb1EES1C_EEDaS17_S18_EUlS17_E_NS1_11comp_targetILNS1_3genE0ELNS1_11target_archE4294967295ELNS1_3gpuE0ELNS1_3repE0EEENS1_30default_config_static_selectorELNS0_4arch9wavefront6targetE1EEEvT1_
    .private_segment_fixed_size: 0
    .sgpr_count:     6
    .sgpr_spill_count: 0
    .symbol:         _ZN7rocprim17ROCPRIM_400000_NS6detail17trampoline_kernelINS0_14default_configENS1_25partition_config_selectorILNS1_17partition_subalgoE8ElNS0_10empty_typeEbEEZZNS1_14partition_implILS5_8ELb0ES3_jPlPS6_PKS6_NS0_5tupleIJS9_S6_EEENSD_IJSA_SA_EEENS0_18inequality_wrapperIZN2at6native12_GLOBAL__N_124unique_dim_cuda_templateIhEESt5tupleIJNSH_6TensorESM_SM_EERKSM_lbbbEUlllE0_EEPmJS6_EEE10hipError_tPvRmT3_T4_T5_T6_T7_T9_mT8_P12ihipStream_tbDpT10_ENKUlT_T0_E_clISt17integral_constantIbLb1EES1C_EEDaS17_S18_EUlS17_E_NS1_11comp_targetILNS1_3genE0ELNS1_11target_archE4294967295ELNS1_3gpuE0ELNS1_3repE0EEENS1_30default_config_static_selectorELNS0_4arch9wavefront6targetE1EEEvT1_.kd
    .uniform_work_group_size: 1
    .uses_dynamic_stack: false
    .vgpr_count:     0
    .vgpr_spill_count: 0
    .wavefront_size: 64
  - .agpr_count:     0
    .args:
      - .offset:         0
        .size:           136
        .value_kind:     by_value
    .group_segment_fixed_size: 0
    .kernarg_segment_align: 8
    .kernarg_segment_size: 136
    .language:       OpenCL C
    .language_version:
      - 2
      - 0
    .max_flat_workgroup_size: 512
    .name:           _ZN7rocprim17ROCPRIM_400000_NS6detail17trampoline_kernelINS0_14default_configENS1_25partition_config_selectorILNS1_17partition_subalgoE8ElNS0_10empty_typeEbEEZZNS1_14partition_implILS5_8ELb0ES3_jPlPS6_PKS6_NS0_5tupleIJS9_S6_EEENSD_IJSA_SA_EEENS0_18inequality_wrapperIZN2at6native12_GLOBAL__N_124unique_dim_cuda_templateIhEESt5tupleIJNSH_6TensorESM_SM_EERKSM_lbbbEUlllE0_EEPmJS6_EEE10hipError_tPvRmT3_T4_T5_T6_T7_T9_mT8_P12ihipStream_tbDpT10_ENKUlT_T0_E_clISt17integral_constantIbLb1EES1C_EEDaS17_S18_EUlS17_E_NS1_11comp_targetILNS1_3genE5ELNS1_11target_archE942ELNS1_3gpuE9ELNS1_3repE0EEENS1_30default_config_static_selectorELNS0_4arch9wavefront6targetE1EEEvT1_
    .private_segment_fixed_size: 0
    .sgpr_count:     6
    .sgpr_spill_count: 0
    .symbol:         _ZN7rocprim17ROCPRIM_400000_NS6detail17trampoline_kernelINS0_14default_configENS1_25partition_config_selectorILNS1_17partition_subalgoE8ElNS0_10empty_typeEbEEZZNS1_14partition_implILS5_8ELb0ES3_jPlPS6_PKS6_NS0_5tupleIJS9_S6_EEENSD_IJSA_SA_EEENS0_18inequality_wrapperIZN2at6native12_GLOBAL__N_124unique_dim_cuda_templateIhEESt5tupleIJNSH_6TensorESM_SM_EERKSM_lbbbEUlllE0_EEPmJS6_EEE10hipError_tPvRmT3_T4_T5_T6_T7_T9_mT8_P12ihipStream_tbDpT10_ENKUlT_T0_E_clISt17integral_constantIbLb1EES1C_EEDaS17_S18_EUlS17_E_NS1_11comp_targetILNS1_3genE5ELNS1_11target_archE942ELNS1_3gpuE9ELNS1_3repE0EEENS1_30default_config_static_selectorELNS0_4arch9wavefront6targetE1EEEvT1_.kd
    .uniform_work_group_size: 1
    .uses_dynamic_stack: false
    .vgpr_count:     0
    .vgpr_spill_count: 0
    .wavefront_size: 64
  - .agpr_count:     0
    .args:
      - .offset:         0
        .size:           136
        .value_kind:     by_value
    .group_segment_fixed_size: 0
    .kernarg_segment_align: 8
    .kernarg_segment_size: 136
    .language:       OpenCL C
    .language_version:
      - 2
      - 0
    .max_flat_workgroup_size: 256
    .name:           _ZN7rocprim17ROCPRIM_400000_NS6detail17trampoline_kernelINS0_14default_configENS1_25partition_config_selectorILNS1_17partition_subalgoE8ElNS0_10empty_typeEbEEZZNS1_14partition_implILS5_8ELb0ES3_jPlPS6_PKS6_NS0_5tupleIJS9_S6_EEENSD_IJSA_SA_EEENS0_18inequality_wrapperIZN2at6native12_GLOBAL__N_124unique_dim_cuda_templateIhEESt5tupleIJNSH_6TensorESM_SM_EERKSM_lbbbEUlllE0_EEPmJS6_EEE10hipError_tPvRmT3_T4_T5_T6_T7_T9_mT8_P12ihipStream_tbDpT10_ENKUlT_T0_E_clISt17integral_constantIbLb1EES1C_EEDaS17_S18_EUlS17_E_NS1_11comp_targetILNS1_3genE4ELNS1_11target_archE910ELNS1_3gpuE8ELNS1_3repE0EEENS1_30default_config_static_selectorELNS0_4arch9wavefront6targetE1EEEvT1_
    .private_segment_fixed_size: 0
    .sgpr_count:     6
    .sgpr_spill_count: 0
    .symbol:         _ZN7rocprim17ROCPRIM_400000_NS6detail17trampoline_kernelINS0_14default_configENS1_25partition_config_selectorILNS1_17partition_subalgoE8ElNS0_10empty_typeEbEEZZNS1_14partition_implILS5_8ELb0ES3_jPlPS6_PKS6_NS0_5tupleIJS9_S6_EEENSD_IJSA_SA_EEENS0_18inequality_wrapperIZN2at6native12_GLOBAL__N_124unique_dim_cuda_templateIhEESt5tupleIJNSH_6TensorESM_SM_EERKSM_lbbbEUlllE0_EEPmJS6_EEE10hipError_tPvRmT3_T4_T5_T6_T7_T9_mT8_P12ihipStream_tbDpT10_ENKUlT_T0_E_clISt17integral_constantIbLb1EES1C_EEDaS17_S18_EUlS17_E_NS1_11comp_targetILNS1_3genE4ELNS1_11target_archE910ELNS1_3gpuE8ELNS1_3repE0EEENS1_30default_config_static_selectorELNS0_4arch9wavefront6targetE1EEEvT1_.kd
    .uniform_work_group_size: 1
    .uses_dynamic_stack: false
    .vgpr_count:     0
    .vgpr_spill_count: 0
    .wavefront_size: 64
  - .agpr_count:     0
    .args:
      - .offset:         0
        .size:           136
        .value_kind:     by_value
    .group_segment_fixed_size: 0
    .kernarg_segment_align: 8
    .kernarg_segment_size: 136
    .language:       OpenCL C
    .language_version:
      - 2
      - 0
    .max_flat_workgroup_size: 512
    .name:           _ZN7rocprim17ROCPRIM_400000_NS6detail17trampoline_kernelINS0_14default_configENS1_25partition_config_selectorILNS1_17partition_subalgoE8ElNS0_10empty_typeEbEEZZNS1_14partition_implILS5_8ELb0ES3_jPlPS6_PKS6_NS0_5tupleIJS9_S6_EEENSD_IJSA_SA_EEENS0_18inequality_wrapperIZN2at6native12_GLOBAL__N_124unique_dim_cuda_templateIhEESt5tupleIJNSH_6TensorESM_SM_EERKSM_lbbbEUlllE0_EEPmJS6_EEE10hipError_tPvRmT3_T4_T5_T6_T7_T9_mT8_P12ihipStream_tbDpT10_ENKUlT_T0_E_clISt17integral_constantIbLb1EES1C_EEDaS17_S18_EUlS17_E_NS1_11comp_targetILNS1_3genE3ELNS1_11target_archE908ELNS1_3gpuE7ELNS1_3repE0EEENS1_30default_config_static_selectorELNS0_4arch9wavefront6targetE1EEEvT1_
    .private_segment_fixed_size: 0
    .sgpr_count:     6
    .sgpr_spill_count: 0
    .symbol:         _ZN7rocprim17ROCPRIM_400000_NS6detail17trampoline_kernelINS0_14default_configENS1_25partition_config_selectorILNS1_17partition_subalgoE8ElNS0_10empty_typeEbEEZZNS1_14partition_implILS5_8ELb0ES3_jPlPS6_PKS6_NS0_5tupleIJS9_S6_EEENSD_IJSA_SA_EEENS0_18inequality_wrapperIZN2at6native12_GLOBAL__N_124unique_dim_cuda_templateIhEESt5tupleIJNSH_6TensorESM_SM_EERKSM_lbbbEUlllE0_EEPmJS6_EEE10hipError_tPvRmT3_T4_T5_T6_T7_T9_mT8_P12ihipStream_tbDpT10_ENKUlT_T0_E_clISt17integral_constantIbLb1EES1C_EEDaS17_S18_EUlS17_E_NS1_11comp_targetILNS1_3genE3ELNS1_11target_archE908ELNS1_3gpuE7ELNS1_3repE0EEENS1_30default_config_static_selectorELNS0_4arch9wavefront6targetE1EEEvT1_.kd
    .uniform_work_group_size: 1
    .uses_dynamic_stack: false
    .vgpr_count:     0
    .vgpr_spill_count: 0
    .wavefront_size: 64
  - .agpr_count:     0
    .args:
      - .offset:         0
        .size:           136
        .value_kind:     by_value
    .group_segment_fixed_size: 0
    .kernarg_segment_align: 8
    .kernarg_segment_size: 136
    .language:       OpenCL C
    .language_version:
      - 2
      - 0
    .max_flat_workgroup_size: 256
    .name:           _ZN7rocprim17ROCPRIM_400000_NS6detail17trampoline_kernelINS0_14default_configENS1_25partition_config_selectorILNS1_17partition_subalgoE8ElNS0_10empty_typeEbEEZZNS1_14partition_implILS5_8ELb0ES3_jPlPS6_PKS6_NS0_5tupleIJS9_S6_EEENSD_IJSA_SA_EEENS0_18inequality_wrapperIZN2at6native12_GLOBAL__N_124unique_dim_cuda_templateIhEESt5tupleIJNSH_6TensorESM_SM_EERKSM_lbbbEUlllE0_EEPmJS6_EEE10hipError_tPvRmT3_T4_T5_T6_T7_T9_mT8_P12ihipStream_tbDpT10_ENKUlT_T0_E_clISt17integral_constantIbLb1EES1C_EEDaS17_S18_EUlS17_E_NS1_11comp_targetILNS1_3genE2ELNS1_11target_archE906ELNS1_3gpuE6ELNS1_3repE0EEENS1_30default_config_static_selectorELNS0_4arch9wavefront6targetE1EEEvT1_
    .private_segment_fixed_size: 0
    .sgpr_count:     6
    .sgpr_spill_count: 0
    .symbol:         _ZN7rocprim17ROCPRIM_400000_NS6detail17trampoline_kernelINS0_14default_configENS1_25partition_config_selectorILNS1_17partition_subalgoE8ElNS0_10empty_typeEbEEZZNS1_14partition_implILS5_8ELb0ES3_jPlPS6_PKS6_NS0_5tupleIJS9_S6_EEENSD_IJSA_SA_EEENS0_18inequality_wrapperIZN2at6native12_GLOBAL__N_124unique_dim_cuda_templateIhEESt5tupleIJNSH_6TensorESM_SM_EERKSM_lbbbEUlllE0_EEPmJS6_EEE10hipError_tPvRmT3_T4_T5_T6_T7_T9_mT8_P12ihipStream_tbDpT10_ENKUlT_T0_E_clISt17integral_constantIbLb1EES1C_EEDaS17_S18_EUlS17_E_NS1_11comp_targetILNS1_3genE2ELNS1_11target_archE906ELNS1_3gpuE6ELNS1_3repE0EEENS1_30default_config_static_selectorELNS0_4arch9wavefront6targetE1EEEvT1_.kd
    .uniform_work_group_size: 1
    .uses_dynamic_stack: false
    .vgpr_count:     0
    .vgpr_spill_count: 0
    .wavefront_size: 64
  - .agpr_count:     0
    .args:
      - .offset:         0
        .size:           136
        .value_kind:     by_value
    .group_segment_fixed_size: 0
    .kernarg_segment_align: 8
    .kernarg_segment_size: 136
    .language:       OpenCL C
    .language_version:
      - 2
      - 0
    .max_flat_workgroup_size: 384
    .name:           _ZN7rocprim17ROCPRIM_400000_NS6detail17trampoline_kernelINS0_14default_configENS1_25partition_config_selectorILNS1_17partition_subalgoE8ElNS0_10empty_typeEbEEZZNS1_14partition_implILS5_8ELb0ES3_jPlPS6_PKS6_NS0_5tupleIJS9_S6_EEENSD_IJSA_SA_EEENS0_18inequality_wrapperIZN2at6native12_GLOBAL__N_124unique_dim_cuda_templateIhEESt5tupleIJNSH_6TensorESM_SM_EERKSM_lbbbEUlllE0_EEPmJS6_EEE10hipError_tPvRmT3_T4_T5_T6_T7_T9_mT8_P12ihipStream_tbDpT10_ENKUlT_T0_E_clISt17integral_constantIbLb1EES1C_EEDaS17_S18_EUlS17_E_NS1_11comp_targetILNS1_3genE10ELNS1_11target_archE1200ELNS1_3gpuE4ELNS1_3repE0EEENS1_30default_config_static_selectorELNS0_4arch9wavefront6targetE1EEEvT1_
    .private_segment_fixed_size: 0
    .sgpr_count:     6
    .sgpr_spill_count: 0
    .symbol:         _ZN7rocprim17ROCPRIM_400000_NS6detail17trampoline_kernelINS0_14default_configENS1_25partition_config_selectorILNS1_17partition_subalgoE8ElNS0_10empty_typeEbEEZZNS1_14partition_implILS5_8ELb0ES3_jPlPS6_PKS6_NS0_5tupleIJS9_S6_EEENSD_IJSA_SA_EEENS0_18inequality_wrapperIZN2at6native12_GLOBAL__N_124unique_dim_cuda_templateIhEESt5tupleIJNSH_6TensorESM_SM_EERKSM_lbbbEUlllE0_EEPmJS6_EEE10hipError_tPvRmT3_T4_T5_T6_T7_T9_mT8_P12ihipStream_tbDpT10_ENKUlT_T0_E_clISt17integral_constantIbLb1EES1C_EEDaS17_S18_EUlS17_E_NS1_11comp_targetILNS1_3genE10ELNS1_11target_archE1200ELNS1_3gpuE4ELNS1_3repE0EEENS1_30default_config_static_selectorELNS0_4arch9wavefront6targetE1EEEvT1_.kd
    .uniform_work_group_size: 1
    .uses_dynamic_stack: false
    .vgpr_count:     0
    .vgpr_spill_count: 0
    .wavefront_size: 64
  - .agpr_count:     0
    .args:
      - .offset:         0
        .size:           136
        .value_kind:     by_value
    .group_segment_fixed_size: 0
    .kernarg_segment_align: 8
    .kernarg_segment_size: 136
    .language:       OpenCL C
    .language_version:
      - 2
      - 0
    .max_flat_workgroup_size: 512
    .name:           _ZN7rocprim17ROCPRIM_400000_NS6detail17trampoline_kernelINS0_14default_configENS1_25partition_config_selectorILNS1_17partition_subalgoE8ElNS0_10empty_typeEbEEZZNS1_14partition_implILS5_8ELb0ES3_jPlPS6_PKS6_NS0_5tupleIJS9_S6_EEENSD_IJSA_SA_EEENS0_18inequality_wrapperIZN2at6native12_GLOBAL__N_124unique_dim_cuda_templateIhEESt5tupleIJNSH_6TensorESM_SM_EERKSM_lbbbEUlllE0_EEPmJS6_EEE10hipError_tPvRmT3_T4_T5_T6_T7_T9_mT8_P12ihipStream_tbDpT10_ENKUlT_T0_E_clISt17integral_constantIbLb1EES1C_EEDaS17_S18_EUlS17_E_NS1_11comp_targetILNS1_3genE9ELNS1_11target_archE1100ELNS1_3gpuE3ELNS1_3repE0EEENS1_30default_config_static_selectorELNS0_4arch9wavefront6targetE1EEEvT1_
    .private_segment_fixed_size: 0
    .sgpr_count:     6
    .sgpr_spill_count: 0
    .symbol:         _ZN7rocprim17ROCPRIM_400000_NS6detail17trampoline_kernelINS0_14default_configENS1_25partition_config_selectorILNS1_17partition_subalgoE8ElNS0_10empty_typeEbEEZZNS1_14partition_implILS5_8ELb0ES3_jPlPS6_PKS6_NS0_5tupleIJS9_S6_EEENSD_IJSA_SA_EEENS0_18inequality_wrapperIZN2at6native12_GLOBAL__N_124unique_dim_cuda_templateIhEESt5tupleIJNSH_6TensorESM_SM_EERKSM_lbbbEUlllE0_EEPmJS6_EEE10hipError_tPvRmT3_T4_T5_T6_T7_T9_mT8_P12ihipStream_tbDpT10_ENKUlT_T0_E_clISt17integral_constantIbLb1EES1C_EEDaS17_S18_EUlS17_E_NS1_11comp_targetILNS1_3genE9ELNS1_11target_archE1100ELNS1_3gpuE3ELNS1_3repE0EEENS1_30default_config_static_selectorELNS0_4arch9wavefront6targetE1EEEvT1_.kd
    .uniform_work_group_size: 1
    .uses_dynamic_stack: false
    .vgpr_count:     0
    .vgpr_spill_count: 0
    .wavefront_size: 64
  - .agpr_count:     0
    .args:
      - .offset:         0
        .size:           136
        .value_kind:     by_value
    .group_segment_fixed_size: 0
    .kernarg_segment_align: 8
    .kernarg_segment_size: 136
    .language:       OpenCL C
    .language_version:
      - 2
      - 0
    .max_flat_workgroup_size: 512
    .name:           _ZN7rocprim17ROCPRIM_400000_NS6detail17trampoline_kernelINS0_14default_configENS1_25partition_config_selectorILNS1_17partition_subalgoE8ElNS0_10empty_typeEbEEZZNS1_14partition_implILS5_8ELb0ES3_jPlPS6_PKS6_NS0_5tupleIJS9_S6_EEENSD_IJSA_SA_EEENS0_18inequality_wrapperIZN2at6native12_GLOBAL__N_124unique_dim_cuda_templateIhEESt5tupleIJNSH_6TensorESM_SM_EERKSM_lbbbEUlllE0_EEPmJS6_EEE10hipError_tPvRmT3_T4_T5_T6_T7_T9_mT8_P12ihipStream_tbDpT10_ENKUlT_T0_E_clISt17integral_constantIbLb1EES1C_EEDaS17_S18_EUlS17_E_NS1_11comp_targetILNS1_3genE8ELNS1_11target_archE1030ELNS1_3gpuE2ELNS1_3repE0EEENS1_30default_config_static_selectorELNS0_4arch9wavefront6targetE1EEEvT1_
    .private_segment_fixed_size: 0
    .sgpr_count:     6
    .sgpr_spill_count: 0
    .symbol:         _ZN7rocprim17ROCPRIM_400000_NS6detail17trampoline_kernelINS0_14default_configENS1_25partition_config_selectorILNS1_17partition_subalgoE8ElNS0_10empty_typeEbEEZZNS1_14partition_implILS5_8ELb0ES3_jPlPS6_PKS6_NS0_5tupleIJS9_S6_EEENSD_IJSA_SA_EEENS0_18inequality_wrapperIZN2at6native12_GLOBAL__N_124unique_dim_cuda_templateIhEESt5tupleIJNSH_6TensorESM_SM_EERKSM_lbbbEUlllE0_EEPmJS6_EEE10hipError_tPvRmT3_T4_T5_T6_T7_T9_mT8_P12ihipStream_tbDpT10_ENKUlT_T0_E_clISt17integral_constantIbLb1EES1C_EEDaS17_S18_EUlS17_E_NS1_11comp_targetILNS1_3genE8ELNS1_11target_archE1030ELNS1_3gpuE2ELNS1_3repE0EEENS1_30default_config_static_selectorELNS0_4arch9wavefront6targetE1EEEvT1_.kd
    .uniform_work_group_size: 1
    .uses_dynamic_stack: false
    .vgpr_count:     0
    .vgpr_spill_count: 0
    .wavefront_size: 64
  - .agpr_count:     0
    .args:
      - .address_space:  global
        .offset:         0
        .size:           8
        .value_kind:     global_buffer
      - .offset:         8
        .size:           4
        .value_kind:     by_value
      - .offset:         12
        .size:           1
        .value_kind:     by_value
      - .offset:         16
        .size:           4
        .value_kind:     by_value
      - .address_space:  global
        .offset:         24
        .size:           8
        .value_kind:     global_buffer
      - .offset:         32
        .size:           4
        .value_kind:     hidden_block_count_x
      - .offset:         36
        .size:           4
        .value_kind:     hidden_block_count_y
      - .offset:         40
        .size:           4
        .value_kind:     hidden_block_count_z
      - .offset:         44
        .size:           2
        .value_kind:     hidden_group_size_x
      - .offset:         46
        .size:           2
        .value_kind:     hidden_group_size_y
      - .offset:         48
        .size:           2
        .value_kind:     hidden_group_size_z
      - .offset:         50
        .size:           2
        .value_kind:     hidden_remainder_x
      - .offset:         52
        .size:           2
        .value_kind:     hidden_remainder_y
      - .offset:         54
        .size:           2
        .value_kind:     hidden_remainder_z
      - .offset:         72
        .size:           8
        .value_kind:     hidden_global_offset_x
      - .offset:         80
        .size:           8
        .value_kind:     hidden_global_offset_y
      - .offset:         88
        .size:           8
        .value_kind:     hidden_global_offset_z
      - .offset:         96
        .size:           2
        .value_kind:     hidden_grid_dims
    .group_segment_fixed_size: 0
    .kernarg_segment_align: 8
    .kernarg_segment_size: 288
    .language:       OpenCL C
    .language_version:
      - 2
      - 0
    .max_flat_workgroup_size: 256
    .name:           _ZN7rocprim17ROCPRIM_400000_NS6detail31init_lookback_scan_state_kernelINS1_19lookback_scan_stateIjLb1ELb1EEENS1_16block_id_wrapperIjLb0EEEEEvT_jT0_jPNS7_10value_typeE
    .private_segment_fixed_size: 0
    .sgpr_count:     18
    .sgpr_spill_count: 0
    .symbol:         _ZN7rocprim17ROCPRIM_400000_NS6detail31init_lookback_scan_state_kernelINS1_19lookback_scan_stateIjLb1ELb1EEENS1_16block_id_wrapperIjLb0EEEEEvT_jT0_jPNS7_10value_typeE.kd
    .uniform_work_group_size: 1
    .uses_dynamic_stack: false
    .vgpr_count:     6
    .vgpr_spill_count: 0
    .wavefront_size: 64
  - .agpr_count:     0
    .args:
      - .offset:         0
        .size:           120
        .value_kind:     by_value
    .group_segment_fixed_size: 0
    .kernarg_segment_align: 8
    .kernarg_segment_size: 120
    .language:       OpenCL C
    .language_version:
      - 2
      - 0
    .max_flat_workgroup_size: 512
    .name:           _ZN7rocprim17ROCPRIM_400000_NS6detail17trampoline_kernelINS0_14default_configENS1_25partition_config_selectorILNS1_17partition_subalgoE8ElNS0_10empty_typeEbEEZZNS1_14partition_implILS5_8ELb0ES3_jPlPS6_PKS6_NS0_5tupleIJS9_S6_EEENSD_IJSA_SA_EEENS0_18inequality_wrapperIZN2at6native12_GLOBAL__N_124unique_dim_cuda_templateIhEESt5tupleIJNSH_6TensorESM_SM_EERKSM_lbbbEUlllE0_EEPmJS6_EEE10hipError_tPvRmT3_T4_T5_T6_T7_T9_mT8_P12ihipStream_tbDpT10_ENKUlT_T0_E_clISt17integral_constantIbLb1EES1B_IbLb0EEEEDaS17_S18_EUlS17_E_NS1_11comp_targetILNS1_3genE0ELNS1_11target_archE4294967295ELNS1_3gpuE0ELNS1_3repE0EEENS1_30default_config_static_selectorELNS0_4arch9wavefront6targetE1EEEvT1_
    .private_segment_fixed_size: 0
    .sgpr_count:     6
    .sgpr_spill_count: 0
    .symbol:         _ZN7rocprim17ROCPRIM_400000_NS6detail17trampoline_kernelINS0_14default_configENS1_25partition_config_selectorILNS1_17partition_subalgoE8ElNS0_10empty_typeEbEEZZNS1_14partition_implILS5_8ELb0ES3_jPlPS6_PKS6_NS0_5tupleIJS9_S6_EEENSD_IJSA_SA_EEENS0_18inequality_wrapperIZN2at6native12_GLOBAL__N_124unique_dim_cuda_templateIhEESt5tupleIJNSH_6TensorESM_SM_EERKSM_lbbbEUlllE0_EEPmJS6_EEE10hipError_tPvRmT3_T4_T5_T6_T7_T9_mT8_P12ihipStream_tbDpT10_ENKUlT_T0_E_clISt17integral_constantIbLb1EES1B_IbLb0EEEEDaS17_S18_EUlS17_E_NS1_11comp_targetILNS1_3genE0ELNS1_11target_archE4294967295ELNS1_3gpuE0ELNS1_3repE0EEENS1_30default_config_static_selectorELNS0_4arch9wavefront6targetE1EEEvT1_.kd
    .uniform_work_group_size: 1
    .uses_dynamic_stack: false
    .vgpr_count:     0
    .vgpr_spill_count: 0
    .wavefront_size: 64
  - .agpr_count:     0
    .args:
      - .offset:         0
        .size:           120
        .value_kind:     by_value
    .group_segment_fixed_size: 0
    .kernarg_segment_align: 8
    .kernarg_segment_size: 120
    .language:       OpenCL C
    .language_version:
      - 2
      - 0
    .max_flat_workgroup_size: 512
    .name:           _ZN7rocprim17ROCPRIM_400000_NS6detail17trampoline_kernelINS0_14default_configENS1_25partition_config_selectorILNS1_17partition_subalgoE8ElNS0_10empty_typeEbEEZZNS1_14partition_implILS5_8ELb0ES3_jPlPS6_PKS6_NS0_5tupleIJS9_S6_EEENSD_IJSA_SA_EEENS0_18inequality_wrapperIZN2at6native12_GLOBAL__N_124unique_dim_cuda_templateIhEESt5tupleIJNSH_6TensorESM_SM_EERKSM_lbbbEUlllE0_EEPmJS6_EEE10hipError_tPvRmT3_T4_T5_T6_T7_T9_mT8_P12ihipStream_tbDpT10_ENKUlT_T0_E_clISt17integral_constantIbLb1EES1B_IbLb0EEEEDaS17_S18_EUlS17_E_NS1_11comp_targetILNS1_3genE5ELNS1_11target_archE942ELNS1_3gpuE9ELNS1_3repE0EEENS1_30default_config_static_selectorELNS0_4arch9wavefront6targetE1EEEvT1_
    .private_segment_fixed_size: 0
    .sgpr_count:     6
    .sgpr_spill_count: 0
    .symbol:         _ZN7rocprim17ROCPRIM_400000_NS6detail17trampoline_kernelINS0_14default_configENS1_25partition_config_selectorILNS1_17partition_subalgoE8ElNS0_10empty_typeEbEEZZNS1_14partition_implILS5_8ELb0ES3_jPlPS6_PKS6_NS0_5tupleIJS9_S6_EEENSD_IJSA_SA_EEENS0_18inequality_wrapperIZN2at6native12_GLOBAL__N_124unique_dim_cuda_templateIhEESt5tupleIJNSH_6TensorESM_SM_EERKSM_lbbbEUlllE0_EEPmJS6_EEE10hipError_tPvRmT3_T4_T5_T6_T7_T9_mT8_P12ihipStream_tbDpT10_ENKUlT_T0_E_clISt17integral_constantIbLb1EES1B_IbLb0EEEEDaS17_S18_EUlS17_E_NS1_11comp_targetILNS1_3genE5ELNS1_11target_archE942ELNS1_3gpuE9ELNS1_3repE0EEENS1_30default_config_static_selectorELNS0_4arch9wavefront6targetE1EEEvT1_.kd
    .uniform_work_group_size: 1
    .uses_dynamic_stack: false
    .vgpr_count:     0
    .vgpr_spill_count: 0
    .wavefront_size: 64
  - .agpr_count:     0
    .args:
      - .offset:         0
        .size:           120
        .value_kind:     by_value
    .group_segment_fixed_size: 0
    .kernarg_segment_align: 8
    .kernarg_segment_size: 120
    .language:       OpenCL C
    .language_version:
      - 2
      - 0
    .max_flat_workgroup_size: 256
    .name:           _ZN7rocprim17ROCPRIM_400000_NS6detail17trampoline_kernelINS0_14default_configENS1_25partition_config_selectorILNS1_17partition_subalgoE8ElNS0_10empty_typeEbEEZZNS1_14partition_implILS5_8ELb0ES3_jPlPS6_PKS6_NS0_5tupleIJS9_S6_EEENSD_IJSA_SA_EEENS0_18inequality_wrapperIZN2at6native12_GLOBAL__N_124unique_dim_cuda_templateIhEESt5tupleIJNSH_6TensorESM_SM_EERKSM_lbbbEUlllE0_EEPmJS6_EEE10hipError_tPvRmT3_T4_T5_T6_T7_T9_mT8_P12ihipStream_tbDpT10_ENKUlT_T0_E_clISt17integral_constantIbLb1EES1B_IbLb0EEEEDaS17_S18_EUlS17_E_NS1_11comp_targetILNS1_3genE4ELNS1_11target_archE910ELNS1_3gpuE8ELNS1_3repE0EEENS1_30default_config_static_selectorELNS0_4arch9wavefront6targetE1EEEvT1_
    .private_segment_fixed_size: 0
    .sgpr_count:     6
    .sgpr_spill_count: 0
    .symbol:         _ZN7rocprim17ROCPRIM_400000_NS6detail17trampoline_kernelINS0_14default_configENS1_25partition_config_selectorILNS1_17partition_subalgoE8ElNS0_10empty_typeEbEEZZNS1_14partition_implILS5_8ELb0ES3_jPlPS6_PKS6_NS0_5tupleIJS9_S6_EEENSD_IJSA_SA_EEENS0_18inequality_wrapperIZN2at6native12_GLOBAL__N_124unique_dim_cuda_templateIhEESt5tupleIJNSH_6TensorESM_SM_EERKSM_lbbbEUlllE0_EEPmJS6_EEE10hipError_tPvRmT3_T4_T5_T6_T7_T9_mT8_P12ihipStream_tbDpT10_ENKUlT_T0_E_clISt17integral_constantIbLb1EES1B_IbLb0EEEEDaS17_S18_EUlS17_E_NS1_11comp_targetILNS1_3genE4ELNS1_11target_archE910ELNS1_3gpuE8ELNS1_3repE0EEENS1_30default_config_static_selectorELNS0_4arch9wavefront6targetE1EEEvT1_.kd
    .uniform_work_group_size: 1
    .uses_dynamic_stack: false
    .vgpr_count:     0
    .vgpr_spill_count: 0
    .wavefront_size: 64
  - .agpr_count:     0
    .args:
      - .offset:         0
        .size:           120
        .value_kind:     by_value
    .group_segment_fixed_size: 0
    .kernarg_segment_align: 8
    .kernarg_segment_size: 120
    .language:       OpenCL C
    .language_version:
      - 2
      - 0
    .max_flat_workgroup_size: 512
    .name:           _ZN7rocprim17ROCPRIM_400000_NS6detail17trampoline_kernelINS0_14default_configENS1_25partition_config_selectorILNS1_17partition_subalgoE8ElNS0_10empty_typeEbEEZZNS1_14partition_implILS5_8ELb0ES3_jPlPS6_PKS6_NS0_5tupleIJS9_S6_EEENSD_IJSA_SA_EEENS0_18inequality_wrapperIZN2at6native12_GLOBAL__N_124unique_dim_cuda_templateIhEESt5tupleIJNSH_6TensorESM_SM_EERKSM_lbbbEUlllE0_EEPmJS6_EEE10hipError_tPvRmT3_T4_T5_T6_T7_T9_mT8_P12ihipStream_tbDpT10_ENKUlT_T0_E_clISt17integral_constantIbLb1EES1B_IbLb0EEEEDaS17_S18_EUlS17_E_NS1_11comp_targetILNS1_3genE3ELNS1_11target_archE908ELNS1_3gpuE7ELNS1_3repE0EEENS1_30default_config_static_selectorELNS0_4arch9wavefront6targetE1EEEvT1_
    .private_segment_fixed_size: 0
    .sgpr_count:     6
    .sgpr_spill_count: 0
    .symbol:         _ZN7rocprim17ROCPRIM_400000_NS6detail17trampoline_kernelINS0_14default_configENS1_25partition_config_selectorILNS1_17partition_subalgoE8ElNS0_10empty_typeEbEEZZNS1_14partition_implILS5_8ELb0ES3_jPlPS6_PKS6_NS0_5tupleIJS9_S6_EEENSD_IJSA_SA_EEENS0_18inequality_wrapperIZN2at6native12_GLOBAL__N_124unique_dim_cuda_templateIhEESt5tupleIJNSH_6TensorESM_SM_EERKSM_lbbbEUlllE0_EEPmJS6_EEE10hipError_tPvRmT3_T4_T5_T6_T7_T9_mT8_P12ihipStream_tbDpT10_ENKUlT_T0_E_clISt17integral_constantIbLb1EES1B_IbLb0EEEEDaS17_S18_EUlS17_E_NS1_11comp_targetILNS1_3genE3ELNS1_11target_archE908ELNS1_3gpuE7ELNS1_3repE0EEENS1_30default_config_static_selectorELNS0_4arch9wavefront6targetE1EEEvT1_.kd
    .uniform_work_group_size: 1
    .uses_dynamic_stack: false
    .vgpr_count:     0
    .vgpr_spill_count: 0
    .wavefront_size: 64
  - .agpr_count:     0
    .args:
      - .offset:         0
        .size:           120
        .value_kind:     by_value
    .group_segment_fixed_size: 0
    .kernarg_segment_align: 8
    .kernarg_segment_size: 120
    .language:       OpenCL C
    .language_version:
      - 2
      - 0
    .max_flat_workgroup_size: 256
    .name:           _ZN7rocprim17ROCPRIM_400000_NS6detail17trampoline_kernelINS0_14default_configENS1_25partition_config_selectorILNS1_17partition_subalgoE8ElNS0_10empty_typeEbEEZZNS1_14partition_implILS5_8ELb0ES3_jPlPS6_PKS6_NS0_5tupleIJS9_S6_EEENSD_IJSA_SA_EEENS0_18inequality_wrapperIZN2at6native12_GLOBAL__N_124unique_dim_cuda_templateIhEESt5tupleIJNSH_6TensorESM_SM_EERKSM_lbbbEUlllE0_EEPmJS6_EEE10hipError_tPvRmT3_T4_T5_T6_T7_T9_mT8_P12ihipStream_tbDpT10_ENKUlT_T0_E_clISt17integral_constantIbLb1EES1B_IbLb0EEEEDaS17_S18_EUlS17_E_NS1_11comp_targetILNS1_3genE2ELNS1_11target_archE906ELNS1_3gpuE6ELNS1_3repE0EEENS1_30default_config_static_selectorELNS0_4arch9wavefront6targetE1EEEvT1_
    .private_segment_fixed_size: 0
    .sgpr_count:     6
    .sgpr_spill_count: 0
    .symbol:         _ZN7rocprim17ROCPRIM_400000_NS6detail17trampoline_kernelINS0_14default_configENS1_25partition_config_selectorILNS1_17partition_subalgoE8ElNS0_10empty_typeEbEEZZNS1_14partition_implILS5_8ELb0ES3_jPlPS6_PKS6_NS0_5tupleIJS9_S6_EEENSD_IJSA_SA_EEENS0_18inequality_wrapperIZN2at6native12_GLOBAL__N_124unique_dim_cuda_templateIhEESt5tupleIJNSH_6TensorESM_SM_EERKSM_lbbbEUlllE0_EEPmJS6_EEE10hipError_tPvRmT3_T4_T5_T6_T7_T9_mT8_P12ihipStream_tbDpT10_ENKUlT_T0_E_clISt17integral_constantIbLb1EES1B_IbLb0EEEEDaS17_S18_EUlS17_E_NS1_11comp_targetILNS1_3genE2ELNS1_11target_archE906ELNS1_3gpuE6ELNS1_3repE0EEENS1_30default_config_static_selectorELNS0_4arch9wavefront6targetE1EEEvT1_.kd
    .uniform_work_group_size: 1
    .uses_dynamic_stack: false
    .vgpr_count:     0
    .vgpr_spill_count: 0
    .wavefront_size: 64
  - .agpr_count:     0
    .args:
      - .offset:         0
        .size:           120
        .value_kind:     by_value
    .group_segment_fixed_size: 0
    .kernarg_segment_align: 8
    .kernarg_segment_size: 120
    .language:       OpenCL C
    .language_version:
      - 2
      - 0
    .max_flat_workgroup_size: 384
    .name:           _ZN7rocprim17ROCPRIM_400000_NS6detail17trampoline_kernelINS0_14default_configENS1_25partition_config_selectorILNS1_17partition_subalgoE8ElNS0_10empty_typeEbEEZZNS1_14partition_implILS5_8ELb0ES3_jPlPS6_PKS6_NS0_5tupleIJS9_S6_EEENSD_IJSA_SA_EEENS0_18inequality_wrapperIZN2at6native12_GLOBAL__N_124unique_dim_cuda_templateIhEESt5tupleIJNSH_6TensorESM_SM_EERKSM_lbbbEUlllE0_EEPmJS6_EEE10hipError_tPvRmT3_T4_T5_T6_T7_T9_mT8_P12ihipStream_tbDpT10_ENKUlT_T0_E_clISt17integral_constantIbLb1EES1B_IbLb0EEEEDaS17_S18_EUlS17_E_NS1_11comp_targetILNS1_3genE10ELNS1_11target_archE1200ELNS1_3gpuE4ELNS1_3repE0EEENS1_30default_config_static_selectorELNS0_4arch9wavefront6targetE1EEEvT1_
    .private_segment_fixed_size: 0
    .sgpr_count:     6
    .sgpr_spill_count: 0
    .symbol:         _ZN7rocprim17ROCPRIM_400000_NS6detail17trampoline_kernelINS0_14default_configENS1_25partition_config_selectorILNS1_17partition_subalgoE8ElNS0_10empty_typeEbEEZZNS1_14partition_implILS5_8ELb0ES3_jPlPS6_PKS6_NS0_5tupleIJS9_S6_EEENSD_IJSA_SA_EEENS0_18inequality_wrapperIZN2at6native12_GLOBAL__N_124unique_dim_cuda_templateIhEESt5tupleIJNSH_6TensorESM_SM_EERKSM_lbbbEUlllE0_EEPmJS6_EEE10hipError_tPvRmT3_T4_T5_T6_T7_T9_mT8_P12ihipStream_tbDpT10_ENKUlT_T0_E_clISt17integral_constantIbLb1EES1B_IbLb0EEEEDaS17_S18_EUlS17_E_NS1_11comp_targetILNS1_3genE10ELNS1_11target_archE1200ELNS1_3gpuE4ELNS1_3repE0EEENS1_30default_config_static_selectorELNS0_4arch9wavefront6targetE1EEEvT1_.kd
    .uniform_work_group_size: 1
    .uses_dynamic_stack: false
    .vgpr_count:     0
    .vgpr_spill_count: 0
    .wavefront_size: 64
  - .agpr_count:     0
    .args:
      - .offset:         0
        .size:           120
        .value_kind:     by_value
    .group_segment_fixed_size: 0
    .kernarg_segment_align: 8
    .kernarg_segment_size: 120
    .language:       OpenCL C
    .language_version:
      - 2
      - 0
    .max_flat_workgroup_size: 512
    .name:           _ZN7rocprim17ROCPRIM_400000_NS6detail17trampoline_kernelINS0_14default_configENS1_25partition_config_selectorILNS1_17partition_subalgoE8ElNS0_10empty_typeEbEEZZNS1_14partition_implILS5_8ELb0ES3_jPlPS6_PKS6_NS0_5tupleIJS9_S6_EEENSD_IJSA_SA_EEENS0_18inequality_wrapperIZN2at6native12_GLOBAL__N_124unique_dim_cuda_templateIhEESt5tupleIJNSH_6TensorESM_SM_EERKSM_lbbbEUlllE0_EEPmJS6_EEE10hipError_tPvRmT3_T4_T5_T6_T7_T9_mT8_P12ihipStream_tbDpT10_ENKUlT_T0_E_clISt17integral_constantIbLb1EES1B_IbLb0EEEEDaS17_S18_EUlS17_E_NS1_11comp_targetILNS1_3genE9ELNS1_11target_archE1100ELNS1_3gpuE3ELNS1_3repE0EEENS1_30default_config_static_selectorELNS0_4arch9wavefront6targetE1EEEvT1_
    .private_segment_fixed_size: 0
    .sgpr_count:     6
    .sgpr_spill_count: 0
    .symbol:         _ZN7rocprim17ROCPRIM_400000_NS6detail17trampoline_kernelINS0_14default_configENS1_25partition_config_selectorILNS1_17partition_subalgoE8ElNS0_10empty_typeEbEEZZNS1_14partition_implILS5_8ELb0ES3_jPlPS6_PKS6_NS0_5tupleIJS9_S6_EEENSD_IJSA_SA_EEENS0_18inequality_wrapperIZN2at6native12_GLOBAL__N_124unique_dim_cuda_templateIhEESt5tupleIJNSH_6TensorESM_SM_EERKSM_lbbbEUlllE0_EEPmJS6_EEE10hipError_tPvRmT3_T4_T5_T6_T7_T9_mT8_P12ihipStream_tbDpT10_ENKUlT_T0_E_clISt17integral_constantIbLb1EES1B_IbLb0EEEEDaS17_S18_EUlS17_E_NS1_11comp_targetILNS1_3genE9ELNS1_11target_archE1100ELNS1_3gpuE3ELNS1_3repE0EEENS1_30default_config_static_selectorELNS0_4arch9wavefront6targetE1EEEvT1_.kd
    .uniform_work_group_size: 1
    .uses_dynamic_stack: false
    .vgpr_count:     0
    .vgpr_spill_count: 0
    .wavefront_size: 64
  - .agpr_count:     0
    .args:
      - .offset:         0
        .size:           120
        .value_kind:     by_value
    .group_segment_fixed_size: 0
    .kernarg_segment_align: 8
    .kernarg_segment_size: 120
    .language:       OpenCL C
    .language_version:
      - 2
      - 0
    .max_flat_workgroup_size: 512
    .name:           _ZN7rocprim17ROCPRIM_400000_NS6detail17trampoline_kernelINS0_14default_configENS1_25partition_config_selectorILNS1_17partition_subalgoE8ElNS0_10empty_typeEbEEZZNS1_14partition_implILS5_8ELb0ES3_jPlPS6_PKS6_NS0_5tupleIJS9_S6_EEENSD_IJSA_SA_EEENS0_18inequality_wrapperIZN2at6native12_GLOBAL__N_124unique_dim_cuda_templateIhEESt5tupleIJNSH_6TensorESM_SM_EERKSM_lbbbEUlllE0_EEPmJS6_EEE10hipError_tPvRmT3_T4_T5_T6_T7_T9_mT8_P12ihipStream_tbDpT10_ENKUlT_T0_E_clISt17integral_constantIbLb1EES1B_IbLb0EEEEDaS17_S18_EUlS17_E_NS1_11comp_targetILNS1_3genE8ELNS1_11target_archE1030ELNS1_3gpuE2ELNS1_3repE0EEENS1_30default_config_static_selectorELNS0_4arch9wavefront6targetE1EEEvT1_
    .private_segment_fixed_size: 0
    .sgpr_count:     6
    .sgpr_spill_count: 0
    .symbol:         _ZN7rocprim17ROCPRIM_400000_NS6detail17trampoline_kernelINS0_14default_configENS1_25partition_config_selectorILNS1_17partition_subalgoE8ElNS0_10empty_typeEbEEZZNS1_14partition_implILS5_8ELb0ES3_jPlPS6_PKS6_NS0_5tupleIJS9_S6_EEENSD_IJSA_SA_EEENS0_18inequality_wrapperIZN2at6native12_GLOBAL__N_124unique_dim_cuda_templateIhEESt5tupleIJNSH_6TensorESM_SM_EERKSM_lbbbEUlllE0_EEPmJS6_EEE10hipError_tPvRmT3_T4_T5_T6_T7_T9_mT8_P12ihipStream_tbDpT10_ENKUlT_T0_E_clISt17integral_constantIbLb1EES1B_IbLb0EEEEDaS17_S18_EUlS17_E_NS1_11comp_targetILNS1_3genE8ELNS1_11target_archE1030ELNS1_3gpuE2ELNS1_3repE0EEENS1_30default_config_static_selectorELNS0_4arch9wavefront6targetE1EEEvT1_.kd
    .uniform_work_group_size: 1
    .uses_dynamic_stack: false
    .vgpr_count:     0
    .vgpr_spill_count: 0
    .wavefront_size: 64
  - .agpr_count:     0
    .args:
      - .address_space:  global
        .offset:         0
        .size:           8
        .value_kind:     global_buffer
      - .offset:         8
        .size:           4
        .value_kind:     by_value
      - .address_space:  global
        .offset:         16
        .size:           8
        .value_kind:     global_buffer
      - .offset:         24
        .size:           4
        .value_kind:     by_value
      - .address_space:  global
        .offset:         32
        .size:           8
        .value_kind:     global_buffer
      - .offset:         40
        .size:           4
        .value_kind:     hidden_block_count_x
      - .offset:         44
        .size:           4
        .value_kind:     hidden_block_count_y
      - .offset:         48
        .size:           4
        .value_kind:     hidden_block_count_z
      - .offset:         52
        .size:           2
        .value_kind:     hidden_group_size_x
      - .offset:         54
        .size:           2
        .value_kind:     hidden_group_size_y
      - .offset:         56
        .size:           2
        .value_kind:     hidden_group_size_z
      - .offset:         58
        .size:           2
        .value_kind:     hidden_remainder_x
      - .offset:         60
        .size:           2
        .value_kind:     hidden_remainder_y
      - .offset:         62
        .size:           2
        .value_kind:     hidden_remainder_z
      - .offset:         80
        .size:           8
        .value_kind:     hidden_global_offset_x
      - .offset:         88
        .size:           8
        .value_kind:     hidden_global_offset_y
      - .offset:         96
        .size:           8
        .value_kind:     hidden_global_offset_z
      - .offset:         104
        .size:           2
        .value_kind:     hidden_grid_dims
    .group_segment_fixed_size: 0
    .kernarg_segment_align: 8
    .kernarg_segment_size: 296
    .language:       OpenCL C
    .language_version:
      - 2
      - 0
    .max_flat_workgroup_size: 256
    .name:           _ZN7rocprim17ROCPRIM_400000_NS6detail31init_lookback_scan_state_kernelINS1_19lookback_scan_stateIjLb0ELb1EEENS1_16block_id_wrapperIjLb1EEEEEvT_jT0_jPNS7_10value_typeE
    .private_segment_fixed_size: 0
    .sgpr_count:     17
    .sgpr_spill_count: 0
    .symbol:         _ZN7rocprim17ROCPRIM_400000_NS6detail31init_lookback_scan_state_kernelINS1_19lookback_scan_stateIjLb0ELb1EEENS1_16block_id_wrapperIjLb1EEEEEvT_jT0_jPNS7_10value_typeE.kd
    .uniform_work_group_size: 1
    .uses_dynamic_stack: false
    .vgpr_count:     6
    .vgpr_spill_count: 0
    .wavefront_size: 64
  - .agpr_count:     0
    .args:
      - .offset:         0
        .size:           136
        .value_kind:     by_value
    .group_segment_fixed_size: 28680
    .kernarg_segment_align: 8
    .kernarg_segment_size: 136
    .language:       OpenCL C
    .language_version:
      - 2
      - 0
    .max_flat_workgroup_size: 512
    .name:           _ZN7rocprim17ROCPRIM_400000_NS6detail17trampoline_kernelINS0_14default_configENS1_25partition_config_selectorILNS1_17partition_subalgoE8ElNS0_10empty_typeEbEEZZNS1_14partition_implILS5_8ELb0ES3_jPlPS6_PKS6_NS0_5tupleIJS9_S6_EEENSD_IJSA_SA_EEENS0_18inequality_wrapperIZN2at6native12_GLOBAL__N_124unique_dim_cuda_templateIhEESt5tupleIJNSH_6TensorESM_SM_EERKSM_lbbbEUlllE0_EEPmJS6_EEE10hipError_tPvRmT3_T4_T5_T6_T7_T9_mT8_P12ihipStream_tbDpT10_ENKUlT_T0_E_clISt17integral_constantIbLb0EES1B_IbLb1EEEEDaS17_S18_EUlS17_E_NS1_11comp_targetILNS1_3genE0ELNS1_11target_archE4294967295ELNS1_3gpuE0ELNS1_3repE0EEENS1_30default_config_static_selectorELNS0_4arch9wavefront6targetE1EEEvT1_
    .private_segment_fixed_size: 0
    .sgpr_count:     60
    .sgpr_spill_count: 0
    .symbol:         _ZN7rocprim17ROCPRIM_400000_NS6detail17trampoline_kernelINS0_14default_configENS1_25partition_config_selectorILNS1_17partition_subalgoE8ElNS0_10empty_typeEbEEZZNS1_14partition_implILS5_8ELb0ES3_jPlPS6_PKS6_NS0_5tupleIJS9_S6_EEENSD_IJSA_SA_EEENS0_18inequality_wrapperIZN2at6native12_GLOBAL__N_124unique_dim_cuda_templateIhEESt5tupleIJNSH_6TensorESM_SM_EERKSM_lbbbEUlllE0_EEPmJS6_EEE10hipError_tPvRmT3_T4_T5_T6_T7_T9_mT8_P12ihipStream_tbDpT10_ENKUlT_T0_E_clISt17integral_constantIbLb0EES1B_IbLb1EEEEDaS17_S18_EUlS17_E_NS1_11comp_targetILNS1_3genE0ELNS1_11target_archE4294967295ELNS1_3gpuE0ELNS1_3repE0EEENS1_30default_config_static_selectorELNS0_4arch9wavefront6targetE1EEEvT1_.kd
    .uniform_work_group_size: 1
    .uses_dynamic_stack: false
    .vgpr_count:     58
    .vgpr_spill_count: 0
    .wavefront_size: 64
  - .agpr_count:     0
    .args:
      - .offset:         0
        .size:           136
        .value_kind:     by_value
    .group_segment_fixed_size: 0
    .kernarg_segment_align: 8
    .kernarg_segment_size: 136
    .language:       OpenCL C
    .language_version:
      - 2
      - 0
    .max_flat_workgroup_size: 512
    .name:           _ZN7rocprim17ROCPRIM_400000_NS6detail17trampoline_kernelINS0_14default_configENS1_25partition_config_selectorILNS1_17partition_subalgoE8ElNS0_10empty_typeEbEEZZNS1_14partition_implILS5_8ELb0ES3_jPlPS6_PKS6_NS0_5tupleIJS9_S6_EEENSD_IJSA_SA_EEENS0_18inequality_wrapperIZN2at6native12_GLOBAL__N_124unique_dim_cuda_templateIhEESt5tupleIJNSH_6TensorESM_SM_EERKSM_lbbbEUlllE0_EEPmJS6_EEE10hipError_tPvRmT3_T4_T5_T6_T7_T9_mT8_P12ihipStream_tbDpT10_ENKUlT_T0_E_clISt17integral_constantIbLb0EES1B_IbLb1EEEEDaS17_S18_EUlS17_E_NS1_11comp_targetILNS1_3genE5ELNS1_11target_archE942ELNS1_3gpuE9ELNS1_3repE0EEENS1_30default_config_static_selectorELNS0_4arch9wavefront6targetE1EEEvT1_
    .private_segment_fixed_size: 0
    .sgpr_count:     6
    .sgpr_spill_count: 0
    .symbol:         _ZN7rocprim17ROCPRIM_400000_NS6detail17trampoline_kernelINS0_14default_configENS1_25partition_config_selectorILNS1_17partition_subalgoE8ElNS0_10empty_typeEbEEZZNS1_14partition_implILS5_8ELb0ES3_jPlPS6_PKS6_NS0_5tupleIJS9_S6_EEENSD_IJSA_SA_EEENS0_18inequality_wrapperIZN2at6native12_GLOBAL__N_124unique_dim_cuda_templateIhEESt5tupleIJNSH_6TensorESM_SM_EERKSM_lbbbEUlllE0_EEPmJS6_EEE10hipError_tPvRmT3_T4_T5_T6_T7_T9_mT8_P12ihipStream_tbDpT10_ENKUlT_T0_E_clISt17integral_constantIbLb0EES1B_IbLb1EEEEDaS17_S18_EUlS17_E_NS1_11comp_targetILNS1_3genE5ELNS1_11target_archE942ELNS1_3gpuE9ELNS1_3repE0EEENS1_30default_config_static_selectorELNS0_4arch9wavefront6targetE1EEEvT1_.kd
    .uniform_work_group_size: 1
    .uses_dynamic_stack: false
    .vgpr_count:     0
    .vgpr_spill_count: 0
    .wavefront_size: 64
  - .agpr_count:     0
    .args:
      - .offset:         0
        .size:           136
        .value_kind:     by_value
    .group_segment_fixed_size: 0
    .kernarg_segment_align: 8
    .kernarg_segment_size: 136
    .language:       OpenCL C
    .language_version:
      - 2
      - 0
    .max_flat_workgroup_size: 256
    .name:           _ZN7rocprim17ROCPRIM_400000_NS6detail17trampoline_kernelINS0_14default_configENS1_25partition_config_selectorILNS1_17partition_subalgoE8ElNS0_10empty_typeEbEEZZNS1_14partition_implILS5_8ELb0ES3_jPlPS6_PKS6_NS0_5tupleIJS9_S6_EEENSD_IJSA_SA_EEENS0_18inequality_wrapperIZN2at6native12_GLOBAL__N_124unique_dim_cuda_templateIhEESt5tupleIJNSH_6TensorESM_SM_EERKSM_lbbbEUlllE0_EEPmJS6_EEE10hipError_tPvRmT3_T4_T5_T6_T7_T9_mT8_P12ihipStream_tbDpT10_ENKUlT_T0_E_clISt17integral_constantIbLb0EES1B_IbLb1EEEEDaS17_S18_EUlS17_E_NS1_11comp_targetILNS1_3genE4ELNS1_11target_archE910ELNS1_3gpuE8ELNS1_3repE0EEENS1_30default_config_static_selectorELNS0_4arch9wavefront6targetE1EEEvT1_
    .private_segment_fixed_size: 0
    .sgpr_count:     6
    .sgpr_spill_count: 0
    .symbol:         _ZN7rocprim17ROCPRIM_400000_NS6detail17trampoline_kernelINS0_14default_configENS1_25partition_config_selectorILNS1_17partition_subalgoE8ElNS0_10empty_typeEbEEZZNS1_14partition_implILS5_8ELb0ES3_jPlPS6_PKS6_NS0_5tupleIJS9_S6_EEENSD_IJSA_SA_EEENS0_18inequality_wrapperIZN2at6native12_GLOBAL__N_124unique_dim_cuda_templateIhEESt5tupleIJNSH_6TensorESM_SM_EERKSM_lbbbEUlllE0_EEPmJS6_EEE10hipError_tPvRmT3_T4_T5_T6_T7_T9_mT8_P12ihipStream_tbDpT10_ENKUlT_T0_E_clISt17integral_constantIbLb0EES1B_IbLb1EEEEDaS17_S18_EUlS17_E_NS1_11comp_targetILNS1_3genE4ELNS1_11target_archE910ELNS1_3gpuE8ELNS1_3repE0EEENS1_30default_config_static_selectorELNS0_4arch9wavefront6targetE1EEEvT1_.kd
    .uniform_work_group_size: 1
    .uses_dynamic_stack: false
    .vgpr_count:     0
    .vgpr_spill_count: 0
    .wavefront_size: 64
  - .agpr_count:     0
    .args:
      - .offset:         0
        .size:           136
        .value_kind:     by_value
    .group_segment_fixed_size: 0
    .kernarg_segment_align: 8
    .kernarg_segment_size: 136
    .language:       OpenCL C
    .language_version:
      - 2
      - 0
    .max_flat_workgroup_size: 512
    .name:           _ZN7rocprim17ROCPRIM_400000_NS6detail17trampoline_kernelINS0_14default_configENS1_25partition_config_selectorILNS1_17partition_subalgoE8ElNS0_10empty_typeEbEEZZNS1_14partition_implILS5_8ELb0ES3_jPlPS6_PKS6_NS0_5tupleIJS9_S6_EEENSD_IJSA_SA_EEENS0_18inequality_wrapperIZN2at6native12_GLOBAL__N_124unique_dim_cuda_templateIhEESt5tupleIJNSH_6TensorESM_SM_EERKSM_lbbbEUlllE0_EEPmJS6_EEE10hipError_tPvRmT3_T4_T5_T6_T7_T9_mT8_P12ihipStream_tbDpT10_ENKUlT_T0_E_clISt17integral_constantIbLb0EES1B_IbLb1EEEEDaS17_S18_EUlS17_E_NS1_11comp_targetILNS1_3genE3ELNS1_11target_archE908ELNS1_3gpuE7ELNS1_3repE0EEENS1_30default_config_static_selectorELNS0_4arch9wavefront6targetE1EEEvT1_
    .private_segment_fixed_size: 0
    .sgpr_count:     6
    .sgpr_spill_count: 0
    .symbol:         _ZN7rocprim17ROCPRIM_400000_NS6detail17trampoline_kernelINS0_14default_configENS1_25partition_config_selectorILNS1_17partition_subalgoE8ElNS0_10empty_typeEbEEZZNS1_14partition_implILS5_8ELb0ES3_jPlPS6_PKS6_NS0_5tupleIJS9_S6_EEENSD_IJSA_SA_EEENS0_18inequality_wrapperIZN2at6native12_GLOBAL__N_124unique_dim_cuda_templateIhEESt5tupleIJNSH_6TensorESM_SM_EERKSM_lbbbEUlllE0_EEPmJS6_EEE10hipError_tPvRmT3_T4_T5_T6_T7_T9_mT8_P12ihipStream_tbDpT10_ENKUlT_T0_E_clISt17integral_constantIbLb0EES1B_IbLb1EEEEDaS17_S18_EUlS17_E_NS1_11comp_targetILNS1_3genE3ELNS1_11target_archE908ELNS1_3gpuE7ELNS1_3repE0EEENS1_30default_config_static_selectorELNS0_4arch9wavefront6targetE1EEEvT1_.kd
    .uniform_work_group_size: 1
    .uses_dynamic_stack: false
    .vgpr_count:     0
    .vgpr_spill_count: 0
    .wavefront_size: 64
  - .agpr_count:     0
    .args:
      - .offset:         0
        .size:           136
        .value_kind:     by_value
    .group_segment_fixed_size: 0
    .kernarg_segment_align: 8
    .kernarg_segment_size: 136
    .language:       OpenCL C
    .language_version:
      - 2
      - 0
    .max_flat_workgroup_size: 256
    .name:           _ZN7rocprim17ROCPRIM_400000_NS6detail17trampoline_kernelINS0_14default_configENS1_25partition_config_selectorILNS1_17partition_subalgoE8ElNS0_10empty_typeEbEEZZNS1_14partition_implILS5_8ELb0ES3_jPlPS6_PKS6_NS0_5tupleIJS9_S6_EEENSD_IJSA_SA_EEENS0_18inequality_wrapperIZN2at6native12_GLOBAL__N_124unique_dim_cuda_templateIhEESt5tupleIJNSH_6TensorESM_SM_EERKSM_lbbbEUlllE0_EEPmJS6_EEE10hipError_tPvRmT3_T4_T5_T6_T7_T9_mT8_P12ihipStream_tbDpT10_ENKUlT_T0_E_clISt17integral_constantIbLb0EES1B_IbLb1EEEEDaS17_S18_EUlS17_E_NS1_11comp_targetILNS1_3genE2ELNS1_11target_archE906ELNS1_3gpuE6ELNS1_3repE0EEENS1_30default_config_static_selectorELNS0_4arch9wavefront6targetE1EEEvT1_
    .private_segment_fixed_size: 0
    .sgpr_count:     6
    .sgpr_spill_count: 0
    .symbol:         _ZN7rocprim17ROCPRIM_400000_NS6detail17trampoline_kernelINS0_14default_configENS1_25partition_config_selectorILNS1_17partition_subalgoE8ElNS0_10empty_typeEbEEZZNS1_14partition_implILS5_8ELb0ES3_jPlPS6_PKS6_NS0_5tupleIJS9_S6_EEENSD_IJSA_SA_EEENS0_18inequality_wrapperIZN2at6native12_GLOBAL__N_124unique_dim_cuda_templateIhEESt5tupleIJNSH_6TensorESM_SM_EERKSM_lbbbEUlllE0_EEPmJS6_EEE10hipError_tPvRmT3_T4_T5_T6_T7_T9_mT8_P12ihipStream_tbDpT10_ENKUlT_T0_E_clISt17integral_constantIbLb0EES1B_IbLb1EEEEDaS17_S18_EUlS17_E_NS1_11comp_targetILNS1_3genE2ELNS1_11target_archE906ELNS1_3gpuE6ELNS1_3repE0EEENS1_30default_config_static_selectorELNS0_4arch9wavefront6targetE1EEEvT1_.kd
    .uniform_work_group_size: 1
    .uses_dynamic_stack: false
    .vgpr_count:     0
    .vgpr_spill_count: 0
    .wavefront_size: 64
  - .agpr_count:     0
    .args:
      - .offset:         0
        .size:           136
        .value_kind:     by_value
    .group_segment_fixed_size: 0
    .kernarg_segment_align: 8
    .kernarg_segment_size: 136
    .language:       OpenCL C
    .language_version:
      - 2
      - 0
    .max_flat_workgroup_size: 384
    .name:           _ZN7rocprim17ROCPRIM_400000_NS6detail17trampoline_kernelINS0_14default_configENS1_25partition_config_selectorILNS1_17partition_subalgoE8ElNS0_10empty_typeEbEEZZNS1_14partition_implILS5_8ELb0ES3_jPlPS6_PKS6_NS0_5tupleIJS9_S6_EEENSD_IJSA_SA_EEENS0_18inequality_wrapperIZN2at6native12_GLOBAL__N_124unique_dim_cuda_templateIhEESt5tupleIJNSH_6TensorESM_SM_EERKSM_lbbbEUlllE0_EEPmJS6_EEE10hipError_tPvRmT3_T4_T5_T6_T7_T9_mT8_P12ihipStream_tbDpT10_ENKUlT_T0_E_clISt17integral_constantIbLb0EES1B_IbLb1EEEEDaS17_S18_EUlS17_E_NS1_11comp_targetILNS1_3genE10ELNS1_11target_archE1200ELNS1_3gpuE4ELNS1_3repE0EEENS1_30default_config_static_selectorELNS0_4arch9wavefront6targetE1EEEvT1_
    .private_segment_fixed_size: 0
    .sgpr_count:     6
    .sgpr_spill_count: 0
    .symbol:         _ZN7rocprim17ROCPRIM_400000_NS6detail17trampoline_kernelINS0_14default_configENS1_25partition_config_selectorILNS1_17partition_subalgoE8ElNS0_10empty_typeEbEEZZNS1_14partition_implILS5_8ELb0ES3_jPlPS6_PKS6_NS0_5tupleIJS9_S6_EEENSD_IJSA_SA_EEENS0_18inequality_wrapperIZN2at6native12_GLOBAL__N_124unique_dim_cuda_templateIhEESt5tupleIJNSH_6TensorESM_SM_EERKSM_lbbbEUlllE0_EEPmJS6_EEE10hipError_tPvRmT3_T4_T5_T6_T7_T9_mT8_P12ihipStream_tbDpT10_ENKUlT_T0_E_clISt17integral_constantIbLb0EES1B_IbLb1EEEEDaS17_S18_EUlS17_E_NS1_11comp_targetILNS1_3genE10ELNS1_11target_archE1200ELNS1_3gpuE4ELNS1_3repE0EEENS1_30default_config_static_selectorELNS0_4arch9wavefront6targetE1EEEvT1_.kd
    .uniform_work_group_size: 1
    .uses_dynamic_stack: false
    .vgpr_count:     0
    .vgpr_spill_count: 0
    .wavefront_size: 64
  - .agpr_count:     0
    .args:
      - .offset:         0
        .size:           136
        .value_kind:     by_value
    .group_segment_fixed_size: 0
    .kernarg_segment_align: 8
    .kernarg_segment_size: 136
    .language:       OpenCL C
    .language_version:
      - 2
      - 0
    .max_flat_workgroup_size: 512
    .name:           _ZN7rocprim17ROCPRIM_400000_NS6detail17trampoline_kernelINS0_14default_configENS1_25partition_config_selectorILNS1_17partition_subalgoE8ElNS0_10empty_typeEbEEZZNS1_14partition_implILS5_8ELb0ES3_jPlPS6_PKS6_NS0_5tupleIJS9_S6_EEENSD_IJSA_SA_EEENS0_18inequality_wrapperIZN2at6native12_GLOBAL__N_124unique_dim_cuda_templateIhEESt5tupleIJNSH_6TensorESM_SM_EERKSM_lbbbEUlllE0_EEPmJS6_EEE10hipError_tPvRmT3_T4_T5_T6_T7_T9_mT8_P12ihipStream_tbDpT10_ENKUlT_T0_E_clISt17integral_constantIbLb0EES1B_IbLb1EEEEDaS17_S18_EUlS17_E_NS1_11comp_targetILNS1_3genE9ELNS1_11target_archE1100ELNS1_3gpuE3ELNS1_3repE0EEENS1_30default_config_static_selectorELNS0_4arch9wavefront6targetE1EEEvT1_
    .private_segment_fixed_size: 0
    .sgpr_count:     6
    .sgpr_spill_count: 0
    .symbol:         _ZN7rocprim17ROCPRIM_400000_NS6detail17trampoline_kernelINS0_14default_configENS1_25partition_config_selectorILNS1_17partition_subalgoE8ElNS0_10empty_typeEbEEZZNS1_14partition_implILS5_8ELb0ES3_jPlPS6_PKS6_NS0_5tupleIJS9_S6_EEENSD_IJSA_SA_EEENS0_18inequality_wrapperIZN2at6native12_GLOBAL__N_124unique_dim_cuda_templateIhEESt5tupleIJNSH_6TensorESM_SM_EERKSM_lbbbEUlllE0_EEPmJS6_EEE10hipError_tPvRmT3_T4_T5_T6_T7_T9_mT8_P12ihipStream_tbDpT10_ENKUlT_T0_E_clISt17integral_constantIbLb0EES1B_IbLb1EEEEDaS17_S18_EUlS17_E_NS1_11comp_targetILNS1_3genE9ELNS1_11target_archE1100ELNS1_3gpuE3ELNS1_3repE0EEENS1_30default_config_static_selectorELNS0_4arch9wavefront6targetE1EEEvT1_.kd
    .uniform_work_group_size: 1
    .uses_dynamic_stack: false
    .vgpr_count:     0
    .vgpr_spill_count: 0
    .wavefront_size: 64
  - .agpr_count:     0
    .args:
      - .offset:         0
        .size:           136
        .value_kind:     by_value
    .group_segment_fixed_size: 0
    .kernarg_segment_align: 8
    .kernarg_segment_size: 136
    .language:       OpenCL C
    .language_version:
      - 2
      - 0
    .max_flat_workgroup_size: 512
    .name:           _ZN7rocprim17ROCPRIM_400000_NS6detail17trampoline_kernelINS0_14default_configENS1_25partition_config_selectorILNS1_17partition_subalgoE8ElNS0_10empty_typeEbEEZZNS1_14partition_implILS5_8ELb0ES3_jPlPS6_PKS6_NS0_5tupleIJS9_S6_EEENSD_IJSA_SA_EEENS0_18inequality_wrapperIZN2at6native12_GLOBAL__N_124unique_dim_cuda_templateIhEESt5tupleIJNSH_6TensorESM_SM_EERKSM_lbbbEUlllE0_EEPmJS6_EEE10hipError_tPvRmT3_T4_T5_T6_T7_T9_mT8_P12ihipStream_tbDpT10_ENKUlT_T0_E_clISt17integral_constantIbLb0EES1B_IbLb1EEEEDaS17_S18_EUlS17_E_NS1_11comp_targetILNS1_3genE8ELNS1_11target_archE1030ELNS1_3gpuE2ELNS1_3repE0EEENS1_30default_config_static_selectorELNS0_4arch9wavefront6targetE1EEEvT1_
    .private_segment_fixed_size: 0
    .sgpr_count:     6
    .sgpr_spill_count: 0
    .symbol:         _ZN7rocprim17ROCPRIM_400000_NS6detail17trampoline_kernelINS0_14default_configENS1_25partition_config_selectorILNS1_17partition_subalgoE8ElNS0_10empty_typeEbEEZZNS1_14partition_implILS5_8ELb0ES3_jPlPS6_PKS6_NS0_5tupleIJS9_S6_EEENSD_IJSA_SA_EEENS0_18inequality_wrapperIZN2at6native12_GLOBAL__N_124unique_dim_cuda_templateIhEESt5tupleIJNSH_6TensorESM_SM_EERKSM_lbbbEUlllE0_EEPmJS6_EEE10hipError_tPvRmT3_T4_T5_T6_T7_T9_mT8_P12ihipStream_tbDpT10_ENKUlT_T0_E_clISt17integral_constantIbLb0EES1B_IbLb1EEEEDaS17_S18_EUlS17_E_NS1_11comp_targetILNS1_3genE8ELNS1_11target_archE1030ELNS1_3gpuE2ELNS1_3repE0EEENS1_30default_config_static_selectorELNS0_4arch9wavefront6targetE1EEEvT1_.kd
    .uniform_work_group_size: 1
    .uses_dynamic_stack: false
    .vgpr_count:     0
    .vgpr_spill_count: 0
    .wavefront_size: 64
  - .agpr_count:     0
    .args:
      - .offset:         0
        .size:           120
        .value_kind:     by_value
    .group_segment_fixed_size: 5128
    .kernarg_segment_align: 8
    .kernarg_segment_size: 120
    .language:       OpenCL C
    .language_version:
      - 2
      - 0
    .max_flat_workgroup_size: 128
    .name:           _ZN7rocprim17ROCPRIM_400000_NS6detail17trampoline_kernelINS0_14default_configENS1_25partition_config_selectorILNS1_17partition_subalgoE9EllbEEZZNS1_14partition_implILS5_9ELb0ES3_jPlS8_PNS0_10empty_typeENS0_5tupleIJS8_S9_EEENSB_IJS8_SA_EEENS0_18inequality_wrapperIZN2at6native12_GLOBAL__N_124unique_dim_cuda_templateIhEESt5tupleIJNSF_6TensorESK_SK_EERKSK_lbbbEUlllE0_EEPmJS9_EEE10hipError_tPvRmT3_T4_T5_T6_T7_T9_mT8_P12ihipStream_tbDpT10_ENKUlT_T0_E_clISt17integral_constantIbLb0EES1A_EEDaS15_S16_EUlS15_E_NS1_11comp_targetILNS1_3genE0ELNS1_11target_archE4294967295ELNS1_3gpuE0ELNS1_3repE0EEENS1_30default_config_static_selectorELNS0_4arch9wavefront6targetE1EEEvT1_
    .private_segment_fixed_size: 0
    .sgpr_count:     52
    .sgpr_spill_count: 0
    .symbol:         _ZN7rocprim17ROCPRIM_400000_NS6detail17trampoline_kernelINS0_14default_configENS1_25partition_config_selectorILNS1_17partition_subalgoE9EllbEEZZNS1_14partition_implILS5_9ELb0ES3_jPlS8_PNS0_10empty_typeENS0_5tupleIJS8_S9_EEENSB_IJS8_SA_EEENS0_18inequality_wrapperIZN2at6native12_GLOBAL__N_124unique_dim_cuda_templateIhEESt5tupleIJNSF_6TensorESK_SK_EERKSK_lbbbEUlllE0_EEPmJS9_EEE10hipError_tPvRmT3_T4_T5_T6_T7_T9_mT8_P12ihipStream_tbDpT10_ENKUlT_T0_E_clISt17integral_constantIbLb0EES1A_EEDaS15_S16_EUlS15_E_NS1_11comp_targetILNS1_3genE0ELNS1_11target_archE4294967295ELNS1_3gpuE0ELNS1_3repE0EEENS1_30default_config_static_selectorELNS0_4arch9wavefront6targetE1EEEvT1_.kd
    .uniform_work_group_size: 1
    .uses_dynamic_stack: false
    .vgpr_count:     60
    .vgpr_spill_count: 0
    .wavefront_size: 64
  - .agpr_count:     0
    .args:
      - .offset:         0
        .size:           120
        .value_kind:     by_value
    .group_segment_fixed_size: 0
    .kernarg_segment_align: 8
    .kernarg_segment_size: 120
    .language:       OpenCL C
    .language_version:
      - 2
      - 0
    .max_flat_workgroup_size: 512
    .name:           _ZN7rocprim17ROCPRIM_400000_NS6detail17trampoline_kernelINS0_14default_configENS1_25partition_config_selectorILNS1_17partition_subalgoE9EllbEEZZNS1_14partition_implILS5_9ELb0ES3_jPlS8_PNS0_10empty_typeENS0_5tupleIJS8_S9_EEENSB_IJS8_SA_EEENS0_18inequality_wrapperIZN2at6native12_GLOBAL__N_124unique_dim_cuda_templateIhEESt5tupleIJNSF_6TensorESK_SK_EERKSK_lbbbEUlllE0_EEPmJS9_EEE10hipError_tPvRmT3_T4_T5_T6_T7_T9_mT8_P12ihipStream_tbDpT10_ENKUlT_T0_E_clISt17integral_constantIbLb0EES1A_EEDaS15_S16_EUlS15_E_NS1_11comp_targetILNS1_3genE5ELNS1_11target_archE942ELNS1_3gpuE9ELNS1_3repE0EEENS1_30default_config_static_selectorELNS0_4arch9wavefront6targetE1EEEvT1_
    .private_segment_fixed_size: 0
    .sgpr_count:     6
    .sgpr_spill_count: 0
    .symbol:         _ZN7rocprim17ROCPRIM_400000_NS6detail17trampoline_kernelINS0_14default_configENS1_25partition_config_selectorILNS1_17partition_subalgoE9EllbEEZZNS1_14partition_implILS5_9ELb0ES3_jPlS8_PNS0_10empty_typeENS0_5tupleIJS8_S9_EEENSB_IJS8_SA_EEENS0_18inequality_wrapperIZN2at6native12_GLOBAL__N_124unique_dim_cuda_templateIhEESt5tupleIJNSF_6TensorESK_SK_EERKSK_lbbbEUlllE0_EEPmJS9_EEE10hipError_tPvRmT3_T4_T5_T6_T7_T9_mT8_P12ihipStream_tbDpT10_ENKUlT_T0_E_clISt17integral_constantIbLb0EES1A_EEDaS15_S16_EUlS15_E_NS1_11comp_targetILNS1_3genE5ELNS1_11target_archE942ELNS1_3gpuE9ELNS1_3repE0EEENS1_30default_config_static_selectorELNS0_4arch9wavefront6targetE1EEEvT1_.kd
    .uniform_work_group_size: 1
    .uses_dynamic_stack: false
    .vgpr_count:     0
    .vgpr_spill_count: 0
    .wavefront_size: 64
  - .agpr_count:     0
    .args:
      - .offset:         0
        .size:           120
        .value_kind:     by_value
    .group_segment_fixed_size: 0
    .kernarg_segment_align: 8
    .kernarg_segment_size: 120
    .language:       OpenCL C
    .language_version:
      - 2
      - 0
    .max_flat_workgroup_size: 128
    .name:           _ZN7rocprim17ROCPRIM_400000_NS6detail17trampoline_kernelINS0_14default_configENS1_25partition_config_selectorILNS1_17partition_subalgoE9EllbEEZZNS1_14partition_implILS5_9ELb0ES3_jPlS8_PNS0_10empty_typeENS0_5tupleIJS8_S9_EEENSB_IJS8_SA_EEENS0_18inequality_wrapperIZN2at6native12_GLOBAL__N_124unique_dim_cuda_templateIhEESt5tupleIJNSF_6TensorESK_SK_EERKSK_lbbbEUlllE0_EEPmJS9_EEE10hipError_tPvRmT3_T4_T5_T6_T7_T9_mT8_P12ihipStream_tbDpT10_ENKUlT_T0_E_clISt17integral_constantIbLb0EES1A_EEDaS15_S16_EUlS15_E_NS1_11comp_targetILNS1_3genE4ELNS1_11target_archE910ELNS1_3gpuE8ELNS1_3repE0EEENS1_30default_config_static_selectorELNS0_4arch9wavefront6targetE1EEEvT1_
    .private_segment_fixed_size: 0
    .sgpr_count:     6
    .sgpr_spill_count: 0
    .symbol:         _ZN7rocprim17ROCPRIM_400000_NS6detail17trampoline_kernelINS0_14default_configENS1_25partition_config_selectorILNS1_17partition_subalgoE9EllbEEZZNS1_14partition_implILS5_9ELb0ES3_jPlS8_PNS0_10empty_typeENS0_5tupleIJS8_S9_EEENSB_IJS8_SA_EEENS0_18inequality_wrapperIZN2at6native12_GLOBAL__N_124unique_dim_cuda_templateIhEESt5tupleIJNSF_6TensorESK_SK_EERKSK_lbbbEUlllE0_EEPmJS9_EEE10hipError_tPvRmT3_T4_T5_T6_T7_T9_mT8_P12ihipStream_tbDpT10_ENKUlT_T0_E_clISt17integral_constantIbLb0EES1A_EEDaS15_S16_EUlS15_E_NS1_11comp_targetILNS1_3genE4ELNS1_11target_archE910ELNS1_3gpuE8ELNS1_3repE0EEENS1_30default_config_static_selectorELNS0_4arch9wavefront6targetE1EEEvT1_.kd
    .uniform_work_group_size: 1
    .uses_dynamic_stack: false
    .vgpr_count:     0
    .vgpr_spill_count: 0
    .wavefront_size: 64
  - .agpr_count:     0
    .args:
      - .offset:         0
        .size:           120
        .value_kind:     by_value
    .group_segment_fixed_size: 0
    .kernarg_segment_align: 8
    .kernarg_segment_size: 120
    .language:       OpenCL C
    .language_version:
      - 2
      - 0
    .max_flat_workgroup_size: 128
    .name:           _ZN7rocprim17ROCPRIM_400000_NS6detail17trampoline_kernelINS0_14default_configENS1_25partition_config_selectorILNS1_17partition_subalgoE9EllbEEZZNS1_14partition_implILS5_9ELb0ES3_jPlS8_PNS0_10empty_typeENS0_5tupleIJS8_S9_EEENSB_IJS8_SA_EEENS0_18inequality_wrapperIZN2at6native12_GLOBAL__N_124unique_dim_cuda_templateIhEESt5tupleIJNSF_6TensorESK_SK_EERKSK_lbbbEUlllE0_EEPmJS9_EEE10hipError_tPvRmT3_T4_T5_T6_T7_T9_mT8_P12ihipStream_tbDpT10_ENKUlT_T0_E_clISt17integral_constantIbLb0EES1A_EEDaS15_S16_EUlS15_E_NS1_11comp_targetILNS1_3genE3ELNS1_11target_archE908ELNS1_3gpuE7ELNS1_3repE0EEENS1_30default_config_static_selectorELNS0_4arch9wavefront6targetE1EEEvT1_
    .private_segment_fixed_size: 0
    .sgpr_count:     6
    .sgpr_spill_count: 0
    .symbol:         _ZN7rocprim17ROCPRIM_400000_NS6detail17trampoline_kernelINS0_14default_configENS1_25partition_config_selectorILNS1_17partition_subalgoE9EllbEEZZNS1_14partition_implILS5_9ELb0ES3_jPlS8_PNS0_10empty_typeENS0_5tupleIJS8_S9_EEENSB_IJS8_SA_EEENS0_18inequality_wrapperIZN2at6native12_GLOBAL__N_124unique_dim_cuda_templateIhEESt5tupleIJNSF_6TensorESK_SK_EERKSK_lbbbEUlllE0_EEPmJS9_EEE10hipError_tPvRmT3_T4_T5_T6_T7_T9_mT8_P12ihipStream_tbDpT10_ENKUlT_T0_E_clISt17integral_constantIbLb0EES1A_EEDaS15_S16_EUlS15_E_NS1_11comp_targetILNS1_3genE3ELNS1_11target_archE908ELNS1_3gpuE7ELNS1_3repE0EEENS1_30default_config_static_selectorELNS0_4arch9wavefront6targetE1EEEvT1_.kd
    .uniform_work_group_size: 1
    .uses_dynamic_stack: false
    .vgpr_count:     0
    .vgpr_spill_count: 0
    .wavefront_size: 64
  - .agpr_count:     0
    .args:
      - .offset:         0
        .size:           120
        .value_kind:     by_value
    .group_segment_fixed_size: 0
    .kernarg_segment_align: 8
    .kernarg_segment_size: 120
    .language:       OpenCL C
    .language_version:
      - 2
      - 0
    .max_flat_workgroup_size: 192
    .name:           _ZN7rocprim17ROCPRIM_400000_NS6detail17trampoline_kernelINS0_14default_configENS1_25partition_config_selectorILNS1_17partition_subalgoE9EllbEEZZNS1_14partition_implILS5_9ELb0ES3_jPlS8_PNS0_10empty_typeENS0_5tupleIJS8_S9_EEENSB_IJS8_SA_EEENS0_18inequality_wrapperIZN2at6native12_GLOBAL__N_124unique_dim_cuda_templateIhEESt5tupleIJNSF_6TensorESK_SK_EERKSK_lbbbEUlllE0_EEPmJS9_EEE10hipError_tPvRmT3_T4_T5_T6_T7_T9_mT8_P12ihipStream_tbDpT10_ENKUlT_T0_E_clISt17integral_constantIbLb0EES1A_EEDaS15_S16_EUlS15_E_NS1_11comp_targetILNS1_3genE2ELNS1_11target_archE906ELNS1_3gpuE6ELNS1_3repE0EEENS1_30default_config_static_selectorELNS0_4arch9wavefront6targetE1EEEvT1_
    .private_segment_fixed_size: 0
    .sgpr_count:     6
    .sgpr_spill_count: 0
    .symbol:         _ZN7rocprim17ROCPRIM_400000_NS6detail17trampoline_kernelINS0_14default_configENS1_25partition_config_selectorILNS1_17partition_subalgoE9EllbEEZZNS1_14partition_implILS5_9ELb0ES3_jPlS8_PNS0_10empty_typeENS0_5tupleIJS8_S9_EEENSB_IJS8_SA_EEENS0_18inequality_wrapperIZN2at6native12_GLOBAL__N_124unique_dim_cuda_templateIhEESt5tupleIJNSF_6TensorESK_SK_EERKSK_lbbbEUlllE0_EEPmJS9_EEE10hipError_tPvRmT3_T4_T5_T6_T7_T9_mT8_P12ihipStream_tbDpT10_ENKUlT_T0_E_clISt17integral_constantIbLb0EES1A_EEDaS15_S16_EUlS15_E_NS1_11comp_targetILNS1_3genE2ELNS1_11target_archE906ELNS1_3gpuE6ELNS1_3repE0EEENS1_30default_config_static_selectorELNS0_4arch9wavefront6targetE1EEEvT1_.kd
    .uniform_work_group_size: 1
    .uses_dynamic_stack: false
    .vgpr_count:     0
    .vgpr_spill_count: 0
    .wavefront_size: 64
  - .agpr_count:     0
    .args:
      - .offset:         0
        .size:           120
        .value_kind:     by_value
    .group_segment_fixed_size: 0
    .kernarg_segment_align: 8
    .kernarg_segment_size: 120
    .language:       OpenCL C
    .language_version:
      - 2
      - 0
    .max_flat_workgroup_size: 384
    .name:           _ZN7rocprim17ROCPRIM_400000_NS6detail17trampoline_kernelINS0_14default_configENS1_25partition_config_selectorILNS1_17partition_subalgoE9EllbEEZZNS1_14partition_implILS5_9ELb0ES3_jPlS8_PNS0_10empty_typeENS0_5tupleIJS8_S9_EEENSB_IJS8_SA_EEENS0_18inequality_wrapperIZN2at6native12_GLOBAL__N_124unique_dim_cuda_templateIhEESt5tupleIJNSF_6TensorESK_SK_EERKSK_lbbbEUlllE0_EEPmJS9_EEE10hipError_tPvRmT3_T4_T5_T6_T7_T9_mT8_P12ihipStream_tbDpT10_ENKUlT_T0_E_clISt17integral_constantIbLb0EES1A_EEDaS15_S16_EUlS15_E_NS1_11comp_targetILNS1_3genE10ELNS1_11target_archE1200ELNS1_3gpuE4ELNS1_3repE0EEENS1_30default_config_static_selectorELNS0_4arch9wavefront6targetE1EEEvT1_
    .private_segment_fixed_size: 0
    .sgpr_count:     6
    .sgpr_spill_count: 0
    .symbol:         _ZN7rocprim17ROCPRIM_400000_NS6detail17trampoline_kernelINS0_14default_configENS1_25partition_config_selectorILNS1_17partition_subalgoE9EllbEEZZNS1_14partition_implILS5_9ELb0ES3_jPlS8_PNS0_10empty_typeENS0_5tupleIJS8_S9_EEENSB_IJS8_SA_EEENS0_18inequality_wrapperIZN2at6native12_GLOBAL__N_124unique_dim_cuda_templateIhEESt5tupleIJNSF_6TensorESK_SK_EERKSK_lbbbEUlllE0_EEPmJS9_EEE10hipError_tPvRmT3_T4_T5_T6_T7_T9_mT8_P12ihipStream_tbDpT10_ENKUlT_T0_E_clISt17integral_constantIbLb0EES1A_EEDaS15_S16_EUlS15_E_NS1_11comp_targetILNS1_3genE10ELNS1_11target_archE1200ELNS1_3gpuE4ELNS1_3repE0EEENS1_30default_config_static_selectorELNS0_4arch9wavefront6targetE1EEEvT1_.kd
    .uniform_work_group_size: 1
    .uses_dynamic_stack: false
    .vgpr_count:     0
    .vgpr_spill_count: 0
    .wavefront_size: 64
  - .agpr_count:     0
    .args:
      - .offset:         0
        .size:           120
        .value_kind:     by_value
    .group_segment_fixed_size: 0
    .kernarg_segment_align: 8
    .kernarg_segment_size: 120
    .language:       OpenCL C
    .language_version:
      - 2
      - 0
    .max_flat_workgroup_size: 512
    .name:           _ZN7rocprim17ROCPRIM_400000_NS6detail17trampoline_kernelINS0_14default_configENS1_25partition_config_selectorILNS1_17partition_subalgoE9EllbEEZZNS1_14partition_implILS5_9ELb0ES3_jPlS8_PNS0_10empty_typeENS0_5tupleIJS8_S9_EEENSB_IJS8_SA_EEENS0_18inequality_wrapperIZN2at6native12_GLOBAL__N_124unique_dim_cuda_templateIhEESt5tupleIJNSF_6TensorESK_SK_EERKSK_lbbbEUlllE0_EEPmJS9_EEE10hipError_tPvRmT3_T4_T5_T6_T7_T9_mT8_P12ihipStream_tbDpT10_ENKUlT_T0_E_clISt17integral_constantIbLb0EES1A_EEDaS15_S16_EUlS15_E_NS1_11comp_targetILNS1_3genE9ELNS1_11target_archE1100ELNS1_3gpuE3ELNS1_3repE0EEENS1_30default_config_static_selectorELNS0_4arch9wavefront6targetE1EEEvT1_
    .private_segment_fixed_size: 0
    .sgpr_count:     6
    .sgpr_spill_count: 0
    .symbol:         _ZN7rocprim17ROCPRIM_400000_NS6detail17trampoline_kernelINS0_14default_configENS1_25partition_config_selectorILNS1_17partition_subalgoE9EllbEEZZNS1_14partition_implILS5_9ELb0ES3_jPlS8_PNS0_10empty_typeENS0_5tupleIJS8_S9_EEENSB_IJS8_SA_EEENS0_18inequality_wrapperIZN2at6native12_GLOBAL__N_124unique_dim_cuda_templateIhEESt5tupleIJNSF_6TensorESK_SK_EERKSK_lbbbEUlllE0_EEPmJS9_EEE10hipError_tPvRmT3_T4_T5_T6_T7_T9_mT8_P12ihipStream_tbDpT10_ENKUlT_T0_E_clISt17integral_constantIbLb0EES1A_EEDaS15_S16_EUlS15_E_NS1_11comp_targetILNS1_3genE9ELNS1_11target_archE1100ELNS1_3gpuE3ELNS1_3repE0EEENS1_30default_config_static_selectorELNS0_4arch9wavefront6targetE1EEEvT1_.kd
    .uniform_work_group_size: 1
    .uses_dynamic_stack: false
    .vgpr_count:     0
    .vgpr_spill_count: 0
    .wavefront_size: 64
  - .agpr_count:     0
    .args:
      - .offset:         0
        .size:           120
        .value_kind:     by_value
    .group_segment_fixed_size: 0
    .kernarg_segment_align: 8
    .kernarg_segment_size: 120
    .language:       OpenCL C
    .language_version:
      - 2
      - 0
    .max_flat_workgroup_size: 512
    .name:           _ZN7rocprim17ROCPRIM_400000_NS6detail17trampoline_kernelINS0_14default_configENS1_25partition_config_selectorILNS1_17partition_subalgoE9EllbEEZZNS1_14partition_implILS5_9ELb0ES3_jPlS8_PNS0_10empty_typeENS0_5tupleIJS8_S9_EEENSB_IJS8_SA_EEENS0_18inequality_wrapperIZN2at6native12_GLOBAL__N_124unique_dim_cuda_templateIhEESt5tupleIJNSF_6TensorESK_SK_EERKSK_lbbbEUlllE0_EEPmJS9_EEE10hipError_tPvRmT3_T4_T5_T6_T7_T9_mT8_P12ihipStream_tbDpT10_ENKUlT_T0_E_clISt17integral_constantIbLb0EES1A_EEDaS15_S16_EUlS15_E_NS1_11comp_targetILNS1_3genE8ELNS1_11target_archE1030ELNS1_3gpuE2ELNS1_3repE0EEENS1_30default_config_static_selectorELNS0_4arch9wavefront6targetE1EEEvT1_
    .private_segment_fixed_size: 0
    .sgpr_count:     6
    .sgpr_spill_count: 0
    .symbol:         _ZN7rocprim17ROCPRIM_400000_NS6detail17trampoline_kernelINS0_14default_configENS1_25partition_config_selectorILNS1_17partition_subalgoE9EllbEEZZNS1_14partition_implILS5_9ELb0ES3_jPlS8_PNS0_10empty_typeENS0_5tupleIJS8_S9_EEENSB_IJS8_SA_EEENS0_18inequality_wrapperIZN2at6native12_GLOBAL__N_124unique_dim_cuda_templateIhEESt5tupleIJNSF_6TensorESK_SK_EERKSK_lbbbEUlllE0_EEPmJS9_EEE10hipError_tPvRmT3_T4_T5_T6_T7_T9_mT8_P12ihipStream_tbDpT10_ENKUlT_T0_E_clISt17integral_constantIbLb0EES1A_EEDaS15_S16_EUlS15_E_NS1_11comp_targetILNS1_3genE8ELNS1_11target_archE1030ELNS1_3gpuE2ELNS1_3repE0EEENS1_30default_config_static_selectorELNS0_4arch9wavefront6targetE1EEEvT1_.kd
    .uniform_work_group_size: 1
    .uses_dynamic_stack: false
    .vgpr_count:     0
    .vgpr_spill_count: 0
    .wavefront_size: 64
  - .agpr_count:     0
    .args:
      - .offset:         0
        .size:           136
        .value_kind:     by_value
    .group_segment_fixed_size: 0
    .kernarg_segment_align: 8
    .kernarg_segment_size: 136
    .language:       OpenCL C
    .language_version:
      - 2
      - 0
    .max_flat_workgroup_size: 128
    .name:           _ZN7rocprim17ROCPRIM_400000_NS6detail17trampoline_kernelINS0_14default_configENS1_25partition_config_selectorILNS1_17partition_subalgoE9EllbEEZZNS1_14partition_implILS5_9ELb0ES3_jPlS8_PNS0_10empty_typeENS0_5tupleIJS8_S9_EEENSB_IJS8_SA_EEENS0_18inequality_wrapperIZN2at6native12_GLOBAL__N_124unique_dim_cuda_templateIhEESt5tupleIJNSF_6TensorESK_SK_EERKSK_lbbbEUlllE0_EEPmJS9_EEE10hipError_tPvRmT3_T4_T5_T6_T7_T9_mT8_P12ihipStream_tbDpT10_ENKUlT_T0_E_clISt17integral_constantIbLb1EES1A_EEDaS15_S16_EUlS15_E_NS1_11comp_targetILNS1_3genE0ELNS1_11target_archE4294967295ELNS1_3gpuE0ELNS1_3repE0EEENS1_30default_config_static_selectorELNS0_4arch9wavefront6targetE1EEEvT1_
    .private_segment_fixed_size: 0
    .sgpr_count:     6
    .sgpr_spill_count: 0
    .symbol:         _ZN7rocprim17ROCPRIM_400000_NS6detail17trampoline_kernelINS0_14default_configENS1_25partition_config_selectorILNS1_17partition_subalgoE9EllbEEZZNS1_14partition_implILS5_9ELb0ES3_jPlS8_PNS0_10empty_typeENS0_5tupleIJS8_S9_EEENSB_IJS8_SA_EEENS0_18inequality_wrapperIZN2at6native12_GLOBAL__N_124unique_dim_cuda_templateIhEESt5tupleIJNSF_6TensorESK_SK_EERKSK_lbbbEUlllE0_EEPmJS9_EEE10hipError_tPvRmT3_T4_T5_T6_T7_T9_mT8_P12ihipStream_tbDpT10_ENKUlT_T0_E_clISt17integral_constantIbLb1EES1A_EEDaS15_S16_EUlS15_E_NS1_11comp_targetILNS1_3genE0ELNS1_11target_archE4294967295ELNS1_3gpuE0ELNS1_3repE0EEENS1_30default_config_static_selectorELNS0_4arch9wavefront6targetE1EEEvT1_.kd
    .uniform_work_group_size: 1
    .uses_dynamic_stack: false
    .vgpr_count:     0
    .vgpr_spill_count: 0
    .wavefront_size: 64
  - .agpr_count:     0
    .args:
      - .offset:         0
        .size:           136
        .value_kind:     by_value
    .group_segment_fixed_size: 0
    .kernarg_segment_align: 8
    .kernarg_segment_size: 136
    .language:       OpenCL C
    .language_version:
      - 2
      - 0
    .max_flat_workgroup_size: 512
    .name:           _ZN7rocprim17ROCPRIM_400000_NS6detail17trampoline_kernelINS0_14default_configENS1_25partition_config_selectorILNS1_17partition_subalgoE9EllbEEZZNS1_14partition_implILS5_9ELb0ES3_jPlS8_PNS0_10empty_typeENS0_5tupleIJS8_S9_EEENSB_IJS8_SA_EEENS0_18inequality_wrapperIZN2at6native12_GLOBAL__N_124unique_dim_cuda_templateIhEESt5tupleIJNSF_6TensorESK_SK_EERKSK_lbbbEUlllE0_EEPmJS9_EEE10hipError_tPvRmT3_T4_T5_T6_T7_T9_mT8_P12ihipStream_tbDpT10_ENKUlT_T0_E_clISt17integral_constantIbLb1EES1A_EEDaS15_S16_EUlS15_E_NS1_11comp_targetILNS1_3genE5ELNS1_11target_archE942ELNS1_3gpuE9ELNS1_3repE0EEENS1_30default_config_static_selectorELNS0_4arch9wavefront6targetE1EEEvT1_
    .private_segment_fixed_size: 0
    .sgpr_count:     6
    .sgpr_spill_count: 0
    .symbol:         _ZN7rocprim17ROCPRIM_400000_NS6detail17trampoline_kernelINS0_14default_configENS1_25partition_config_selectorILNS1_17partition_subalgoE9EllbEEZZNS1_14partition_implILS5_9ELb0ES3_jPlS8_PNS0_10empty_typeENS0_5tupleIJS8_S9_EEENSB_IJS8_SA_EEENS0_18inequality_wrapperIZN2at6native12_GLOBAL__N_124unique_dim_cuda_templateIhEESt5tupleIJNSF_6TensorESK_SK_EERKSK_lbbbEUlllE0_EEPmJS9_EEE10hipError_tPvRmT3_T4_T5_T6_T7_T9_mT8_P12ihipStream_tbDpT10_ENKUlT_T0_E_clISt17integral_constantIbLb1EES1A_EEDaS15_S16_EUlS15_E_NS1_11comp_targetILNS1_3genE5ELNS1_11target_archE942ELNS1_3gpuE9ELNS1_3repE0EEENS1_30default_config_static_selectorELNS0_4arch9wavefront6targetE1EEEvT1_.kd
    .uniform_work_group_size: 1
    .uses_dynamic_stack: false
    .vgpr_count:     0
    .vgpr_spill_count: 0
    .wavefront_size: 64
  - .agpr_count:     0
    .args:
      - .offset:         0
        .size:           136
        .value_kind:     by_value
    .group_segment_fixed_size: 0
    .kernarg_segment_align: 8
    .kernarg_segment_size: 136
    .language:       OpenCL C
    .language_version:
      - 2
      - 0
    .max_flat_workgroup_size: 128
    .name:           _ZN7rocprim17ROCPRIM_400000_NS6detail17trampoline_kernelINS0_14default_configENS1_25partition_config_selectorILNS1_17partition_subalgoE9EllbEEZZNS1_14partition_implILS5_9ELb0ES3_jPlS8_PNS0_10empty_typeENS0_5tupleIJS8_S9_EEENSB_IJS8_SA_EEENS0_18inequality_wrapperIZN2at6native12_GLOBAL__N_124unique_dim_cuda_templateIhEESt5tupleIJNSF_6TensorESK_SK_EERKSK_lbbbEUlllE0_EEPmJS9_EEE10hipError_tPvRmT3_T4_T5_T6_T7_T9_mT8_P12ihipStream_tbDpT10_ENKUlT_T0_E_clISt17integral_constantIbLb1EES1A_EEDaS15_S16_EUlS15_E_NS1_11comp_targetILNS1_3genE4ELNS1_11target_archE910ELNS1_3gpuE8ELNS1_3repE0EEENS1_30default_config_static_selectorELNS0_4arch9wavefront6targetE1EEEvT1_
    .private_segment_fixed_size: 0
    .sgpr_count:     6
    .sgpr_spill_count: 0
    .symbol:         _ZN7rocprim17ROCPRIM_400000_NS6detail17trampoline_kernelINS0_14default_configENS1_25partition_config_selectorILNS1_17partition_subalgoE9EllbEEZZNS1_14partition_implILS5_9ELb0ES3_jPlS8_PNS0_10empty_typeENS0_5tupleIJS8_S9_EEENSB_IJS8_SA_EEENS0_18inequality_wrapperIZN2at6native12_GLOBAL__N_124unique_dim_cuda_templateIhEESt5tupleIJNSF_6TensorESK_SK_EERKSK_lbbbEUlllE0_EEPmJS9_EEE10hipError_tPvRmT3_T4_T5_T6_T7_T9_mT8_P12ihipStream_tbDpT10_ENKUlT_T0_E_clISt17integral_constantIbLb1EES1A_EEDaS15_S16_EUlS15_E_NS1_11comp_targetILNS1_3genE4ELNS1_11target_archE910ELNS1_3gpuE8ELNS1_3repE0EEENS1_30default_config_static_selectorELNS0_4arch9wavefront6targetE1EEEvT1_.kd
    .uniform_work_group_size: 1
    .uses_dynamic_stack: false
    .vgpr_count:     0
    .vgpr_spill_count: 0
    .wavefront_size: 64
  - .agpr_count:     0
    .args:
      - .offset:         0
        .size:           136
        .value_kind:     by_value
    .group_segment_fixed_size: 0
    .kernarg_segment_align: 8
    .kernarg_segment_size: 136
    .language:       OpenCL C
    .language_version:
      - 2
      - 0
    .max_flat_workgroup_size: 128
    .name:           _ZN7rocprim17ROCPRIM_400000_NS6detail17trampoline_kernelINS0_14default_configENS1_25partition_config_selectorILNS1_17partition_subalgoE9EllbEEZZNS1_14partition_implILS5_9ELb0ES3_jPlS8_PNS0_10empty_typeENS0_5tupleIJS8_S9_EEENSB_IJS8_SA_EEENS0_18inequality_wrapperIZN2at6native12_GLOBAL__N_124unique_dim_cuda_templateIhEESt5tupleIJNSF_6TensorESK_SK_EERKSK_lbbbEUlllE0_EEPmJS9_EEE10hipError_tPvRmT3_T4_T5_T6_T7_T9_mT8_P12ihipStream_tbDpT10_ENKUlT_T0_E_clISt17integral_constantIbLb1EES1A_EEDaS15_S16_EUlS15_E_NS1_11comp_targetILNS1_3genE3ELNS1_11target_archE908ELNS1_3gpuE7ELNS1_3repE0EEENS1_30default_config_static_selectorELNS0_4arch9wavefront6targetE1EEEvT1_
    .private_segment_fixed_size: 0
    .sgpr_count:     6
    .sgpr_spill_count: 0
    .symbol:         _ZN7rocprim17ROCPRIM_400000_NS6detail17trampoline_kernelINS0_14default_configENS1_25partition_config_selectorILNS1_17partition_subalgoE9EllbEEZZNS1_14partition_implILS5_9ELb0ES3_jPlS8_PNS0_10empty_typeENS0_5tupleIJS8_S9_EEENSB_IJS8_SA_EEENS0_18inequality_wrapperIZN2at6native12_GLOBAL__N_124unique_dim_cuda_templateIhEESt5tupleIJNSF_6TensorESK_SK_EERKSK_lbbbEUlllE0_EEPmJS9_EEE10hipError_tPvRmT3_T4_T5_T6_T7_T9_mT8_P12ihipStream_tbDpT10_ENKUlT_T0_E_clISt17integral_constantIbLb1EES1A_EEDaS15_S16_EUlS15_E_NS1_11comp_targetILNS1_3genE3ELNS1_11target_archE908ELNS1_3gpuE7ELNS1_3repE0EEENS1_30default_config_static_selectorELNS0_4arch9wavefront6targetE1EEEvT1_.kd
    .uniform_work_group_size: 1
    .uses_dynamic_stack: false
    .vgpr_count:     0
    .vgpr_spill_count: 0
    .wavefront_size: 64
  - .agpr_count:     0
    .args:
      - .offset:         0
        .size:           136
        .value_kind:     by_value
    .group_segment_fixed_size: 0
    .kernarg_segment_align: 8
    .kernarg_segment_size: 136
    .language:       OpenCL C
    .language_version:
      - 2
      - 0
    .max_flat_workgroup_size: 192
    .name:           _ZN7rocprim17ROCPRIM_400000_NS6detail17trampoline_kernelINS0_14default_configENS1_25partition_config_selectorILNS1_17partition_subalgoE9EllbEEZZNS1_14partition_implILS5_9ELb0ES3_jPlS8_PNS0_10empty_typeENS0_5tupleIJS8_S9_EEENSB_IJS8_SA_EEENS0_18inequality_wrapperIZN2at6native12_GLOBAL__N_124unique_dim_cuda_templateIhEESt5tupleIJNSF_6TensorESK_SK_EERKSK_lbbbEUlllE0_EEPmJS9_EEE10hipError_tPvRmT3_T4_T5_T6_T7_T9_mT8_P12ihipStream_tbDpT10_ENKUlT_T0_E_clISt17integral_constantIbLb1EES1A_EEDaS15_S16_EUlS15_E_NS1_11comp_targetILNS1_3genE2ELNS1_11target_archE906ELNS1_3gpuE6ELNS1_3repE0EEENS1_30default_config_static_selectorELNS0_4arch9wavefront6targetE1EEEvT1_
    .private_segment_fixed_size: 0
    .sgpr_count:     6
    .sgpr_spill_count: 0
    .symbol:         _ZN7rocprim17ROCPRIM_400000_NS6detail17trampoline_kernelINS0_14default_configENS1_25partition_config_selectorILNS1_17partition_subalgoE9EllbEEZZNS1_14partition_implILS5_9ELb0ES3_jPlS8_PNS0_10empty_typeENS0_5tupleIJS8_S9_EEENSB_IJS8_SA_EEENS0_18inequality_wrapperIZN2at6native12_GLOBAL__N_124unique_dim_cuda_templateIhEESt5tupleIJNSF_6TensorESK_SK_EERKSK_lbbbEUlllE0_EEPmJS9_EEE10hipError_tPvRmT3_T4_T5_T6_T7_T9_mT8_P12ihipStream_tbDpT10_ENKUlT_T0_E_clISt17integral_constantIbLb1EES1A_EEDaS15_S16_EUlS15_E_NS1_11comp_targetILNS1_3genE2ELNS1_11target_archE906ELNS1_3gpuE6ELNS1_3repE0EEENS1_30default_config_static_selectorELNS0_4arch9wavefront6targetE1EEEvT1_.kd
    .uniform_work_group_size: 1
    .uses_dynamic_stack: false
    .vgpr_count:     0
    .vgpr_spill_count: 0
    .wavefront_size: 64
  - .agpr_count:     0
    .args:
      - .offset:         0
        .size:           136
        .value_kind:     by_value
    .group_segment_fixed_size: 0
    .kernarg_segment_align: 8
    .kernarg_segment_size: 136
    .language:       OpenCL C
    .language_version:
      - 2
      - 0
    .max_flat_workgroup_size: 384
    .name:           _ZN7rocprim17ROCPRIM_400000_NS6detail17trampoline_kernelINS0_14default_configENS1_25partition_config_selectorILNS1_17partition_subalgoE9EllbEEZZNS1_14partition_implILS5_9ELb0ES3_jPlS8_PNS0_10empty_typeENS0_5tupleIJS8_S9_EEENSB_IJS8_SA_EEENS0_18inequality_wrapperIZN2at6native12_GLOBAL__N_124unique_dim_cuda_templateIhEESt5tupleIJNSF_6TensorESK_SK_EERKSK_lbbbEUlllE0_EEPmJS9_EEE10hipError_tPvRmT3_T4_T5_T6_T7_T9_mT8_P12ihipStream_tbDpT10_ENKUlT_T0_E_clISt17integral_constantIbLb1EES1A_EEDaS15_S16_EUlS15_E_NS1_11comp_targetILNS1_3genE10ELNS1_11target_archE1200ELNS1_3gpuE4ELNS1_3repE0EEENS1_30default_config_static_selectorELNS0_4arch9wavefront6targetE1EEEvT1_
    .private_segment_fixed_size: 0
    .sgpr_count:     6
    .sgpr_spill_count: 0
    .symbol:         _ZN7rocprim17ROCPRIM_400000_NS6detail17trampoline_kernelINS0_14default_configENS1_25partition_config_selectorILNS1_17partition_subalgoE9EllbEEZZNS1_14partition_implILS5_9ELb0ES3_jPlS8_PNS0_10empty_typeENS0_5tupleIJS8_S9_EEENSB_IJS8_SA_EEENS0_18inequality_wrapperIZN2at6native12_GLOBAL__N_124unique_dim_cuda_templateIhEESt5tupleIJNSF_6TensorESK_SK_EERKSK_lbbbEUlllE0_EEPmJS9_EEE10hipError_tPvRmT3_T4_T5_T6_T7_T9_mT8_P12ihipStream_tbDpT10_ENKUlT_T0_E_clISt17integral_constantIbLb1EES1A_EEDaS15_S16_EUlS15_E_NS1_11comp_targetILNS1_3genE10ELNS1_11target_archE1200ELNS1_3gpuE4ELNS1_3repE0EEENS1_30default_config_static_selectorELNS0_4arch9wavefront6targetE1EEEvT1_.kd
    .uniform_work_group_size: 1
    .uses_dynamic_stack: false
    .vgpr_count:     0
    .vgpr_spill_count: 0
    .wavefront_size: 64
  - .agpr_count:     0
    .args:
      - .offset:         0
        .size:           136
        .value_kind:     by_value
    .group_segment_fixed_size: 0
    .kernarg_segment_align: 8
    .kernarg_segment_size: 136
    .language:       OpenCL C
    .language_version:
      - 2
      - 0
    .max_flat_workgroup_size: 512
    .name:           _ZN7rocprim17ROCPRIM_400000_NS6detail17trampoline_kernelINS0_14default_configENS1_25partition_config_selectorILNS1_17partition_subalgoE9EllbEEZZNS1_14partition_implILS5_9ELb0ES3_jPlS8_PNS0_10empty_typeENS0_5tupleIJS8_S9_EEENSB_IJS8_SA_EEENS0_18inequality_wrapperIZN2at6native12_GLOBAL__N_124unique_dim_cuda_templateIhEESt5tupleIJNSF_6TensorESK_SK_EERKSK_lbbbEUlllE0_EEPmJS9_EEE10hipError_tPvRmT3_T4_T5_T6_T7_T9_mT8_P12ihipStream_tbDpT10_ENKUlT_T0_E_clISt17integral_constantIbLb1EES1A_EEDaS15_S16_EUlS15_E_NS1_11comp_targetILNS1_3genE9ELNS1_11target_archE1100ELNS1_3gpuE3ELNS1_3repE0EEENS1_30default_config_static_selectorELNS0_4arch9wavefront6targetE1EEEvT1_
    .private_segment_fixed_size: 0
    .sgpr_count:     6
    .sgpr_spill_count: 0
    .symbol:         _ZN7rocprim17ROCPRIM_400000_NS6detail17trampoline_kernelINS0_14default_configENS1_25partition_config_selectorILNS1_17partition_subalgoE9EllbEEZZNS1_14partition_implILS5_9ELb0ES3_jPlS8_PNS0_10empty_typeENS0_5tupleIJS8_S9_EEENSB_IJS8_SA_EEENS0_18inequality_wrapperIZN2at6native12_GLOBAL__N_124unique_dim_cuda_templateIhEESt5tupleIJNSF_6TensorESK_SK_EERKSK_lbbbEUlllE0_EEPmJS9_EEE10hipError_tPvRmT3_T4_T5_T6_T7_T9_mT8_P12ihipStream_tbDpT10_ENKUlT_T0_E_clISt17integral_constantIbLb1EES1A_EEDaS15_S16_EUlS15_E_NS1_11comp_targetILNS1_3genE9ELNS1_11target_archE1100ELNS1_3gpuE3ELNS1_3repE0EEENS1_30default_config_static_selectorELNS0_4arch9wavefront6targetE1EEEvT1_.kd
    .uniform_work_group_size: 1
    .uses_dynamic_stack: false
    .vgpr_count:     0
    .vgpr_spill_count: 0
    .wavefront_size: 64
  - .agpr_count:     0
    .args:
      - .offset:         0
        .size:           136
        .value_kind:     by_value
    .group_segment_fixed_size: 0
    .kernarg_segment_align: 8
    .kernarg_segment_size: 136
    .language:       OpenCL C
    .language_version:
      - 2
      - 0
    .max_flat_workgroup_size: 512
    .name:           _ZN7rocprim17ROCPRIM_400000_NS6detail17trampoline_kernelINS0_14default_configENS1_25partition_config_selectorILNS1_17partition_subalgoE9EllbEEZZNS1_14partition_implILS5_9ELb0ES3_jPlS8_PNS0_10empty_typeENS0_5tupleIJS8_S9_EEENSB_IJS8_SA_EEENS0_18inequality_wrapperIZN2at6native12_GLOBAL__N_124unique_dim_cuda_templateIhEESt5tupleIJNSF_6TensorESK_SK_EERKSK_lbbbEUlllE0_EEPmJS9_EEE10hipError_tPvRmT3_T4_T5_T6_T7_T9_mT8_P12ihipStream_tbDpT10_ENKUlT_T0_E_clISt17integral_constantIbLb1EES1A_EEDaS15_S16_EUlS15_E_NS1_11comp_targetILNS1_3genE8ELNS1_11target_archE1030ELNS1_3gpuE2ELNS1_3repE0EEENS1_30default_config_static_selectorELNS0_4arch9wavefront6targetE1EEEvT1_
    .private_segment_fixed_size: 0
    .sgpr_count:     6
    .sgpr_spill_count: 0
    .symbol:         _ZN7rocprim17ROCPRIM_400000_NS6detail17trampoline_kernelINS0_14default_configENS1_25partition_config_selectorILNS1_17partition_subalgoE9EllbEEZZNS1_14partition_implILS5_9ELb0ES3_jPlS8_PNS0_10empty_typeENS0_5tupleIJS8_S9_EEENSB_IJS8_SA_EEENS0_18inequality_wrapperIZN2at6native12_GLOBAL__N_124unique_dim_cuda_templateIhEESt5tupleIJNSF_6TensorESK_SK_EERKSK_lbbbEUlllE0_EEPmJS9_EEE10hipError_tPvRmT3_T4_T5_T6_T7_T9_mT8_P12ihipStream_tbDpT10_ENKUlT_T0_E_clISt17integral_constantIbLb1EES1A_EEDaS15_S16_EUlS15_E_NS1_11comp_targetILNS1_3genE8ELNS1_11target_archE1030ELNS1_3gpuE2ELNS1_3repE0EEENS1_30default_config_static_selectorELNS0_4arch9wavefront6targetE1EEEvT1_.kd
    .uniform_work_group_size: 1
    .uses_dynamic_stack: false
    .vgpr_count:     0
    .vgpr_spill_count: 0
    .wavefront_size: 64
  - .agpr_count:     0
    .args:
      - .offset:         0
        .size:           120
        .value_kind:     by_value
    .group_segment_fixed_size: 0
    .kernarg_segment_align: 8
    .kernarg_segment_size: 120
    .language:       OpenCL C
    .language_version:
      - 2
      - 0
    .max_flat_workgroup_size: 128
    .name:           _ZN7rocprim17ROCPRIM_400000_NS6detail17trampoline_kernelINS0_14default_configENS1_25partition_config_selectorILNS1_17partition_subalgoE9EllbEEZZNS1_14partition_implILS5_9ELb0ES3_jPlS8_PNS0_10empty_typeENS0_5tupleIJS8_S9_EEENSB_IJS8_SA_EEENS0_18inequality_wrapperIZN2at6native12_GLOBAL__N_124unique_dim_cuda_templateIhEESt5tupleIJNSF_6TensorESK_SK_EERKSK_lbbbEUlllE0_EEPmJS9_EEE10hipError_tPvRmT3_T4_T5_T6_T7_T9_mT8_P12ihipStream_tbDpT10_ENKUlT_T0_E_clISt17integral_constantIbLb1EES19_IbLb0EEEEDaS15_S16_EUlS15_E_NS1_11comp_targetILNS1_3genE0ELNS1_11target_archE4294967295ELNS1_3gpuE0ELNS1_3repE0EEENS1_30default_config_static_selectorELNS0_4arch9wavefront6targetE1EEEvT1_
    .private_segment_fixed_size: 0
    .sgpr_count:     6
    .sgpr_spill_count: 0
    .symbol:         _ZN7rocprim17ROCPRIM_400000_NS6detail17trampoline_kernelINS0_14default_configENS1_25partition_config_selectorILNS1_17partition_subalgoE9EllbEEZZNS1_14partition_implILS5_9ELb0ES3_jPlS8_PNS0_10empty_typeENS0_5tupleIJS8_S9_EEENSB_IJS8_SA_EEENS0_18inequality_wrapperIZN2at6native12_GLOBAL__N_124unique_dim_cuda_templateIhEESt5tupleIJNSF_6TensorESK_SK_EERKSK_lbbbEUlllE0_EEPmJS9_EEE10hipError_tPvRmT3_T4_T5_T6_T7_T9_mT8_P12ihipStream_tbDpT10_ENKUlT_T0_E_clISt17integral_constantIbLb1EES19_IbLb0EEEEDaS15_S16_EUlS15_E_NS1_11comp_targetILNS1_3genE0ELNS1_11target_archE4294967295ELNS1_3gpuE0ELNS1_3repE0EEENS1_30default_config_static_selectorELNS0_4arch9wavefront6targetE1EEEvT1_.kd
    .uniform_work_group_size: 1
    .uses_dynamic_stack: false
    .vgpr_count:     0
    .vgpr_spill_count: 0
    .wavefront_size: 64
  - .agpr_count:     0
    .args:
      - .offset:         0
        .size:           120
        .value_kind:     by_value
    .group_segment_fixed_size: 0
    .kernarg_segment_align: 8
    .kernarg_segment_size: 120
    .language:       OpenCL C
    .language_version:
      - 2
      - 0
    .max_flat_workgroup_size: 512
    .name:           _ZN7rocprim17ROCPRIM_400000_NS6detail17trampoline_kernelINS0_14default_configENS1_25partition_config_selectorILNS1_17partition_subalgoE9EllbEEZZNS1_14partition_implILS5_9ELb0ES3_jPlS8_PNS0_10empty_typeENS0_5tupleIJS8_S9_EEENSB_IJS8_SA_EEENS0_18inequality_wrapperIZN2at6native12_GLOBAL__N_124unique_dim_cuda_templateIhEESt5tupleIJNSF_6TensorESK_SK_EERKSK_lbbbEUlllE0_EEPmJS9_EEE10hipError_tPvRmT3_T4_T5_T6_T7_T9_mT8_P12ihipStream_tbDpT10_ENKUlT_T0_E_clISt17integral_constantIbLb1EES19_IbLb0EEEEDaS15_S16_EUlS15_E_NS1_11comp_targetILNS1_3genE5ELNS1_11target_archE942ELNS1_3gpuE9ELNS1_3repE0EEENS1_30default_config_static_selectorELNS0_4arch9wavefront6targetE1EEEvT1_
    .private_segment_fixed_size: 0
    .sgpr_count:     6
    .sgpr_spill_count: 0
    .symbol:         _ZN7rocprim17ROCPRIM_400000_NS6detail17trampoline_kernelINS0_14default_configENS1_25partition_config_selectorILNS1_17partition_subalgoE9EllbEEZZNS1_14partition_implILS5_9ELb0ES3_jPlS8_PNS0_10empty_typeENS0_5tupleIJS8_S9_EEENSB_IJS8_SA_EEENS0_18inequality_wrapperIZN2at6native12_GLOBAL__N_124unique_dim_cuda_templateIhEESt5tupleIJNSF_6TensorESK_SK_EERKSK_lbbbEUlllE0_EEPmJS9_EEE10hipError_tPvRmT3_T4_T5_T6_T7_T9_mT8_P12ihipStream_tbDpT10_ENKUlT_T0_E_clISt17integral_constantIbLb1EES19_IbLb0EEEEDaS15_S16_EUlS15_E_NS1_11comp_targetILNS1_3genE5ELNS1_11target_archE942ELNS1_3gpuE9ELNS1_3repE0EEENS1_30default_config_static_selectorELNS0_4arch9wavefront6targetE1EEEvT1_.kd
    .uniform_work_group_size: 1
    .uses_dynamic_stack: false
    .vgpr_count:     0
    .vgpr_spill_count: 0
    .wavefront_size: 64
  - .agpr_count:     0
    .args:
      - .offset:         0
        .size:           120
        .value_kind:     by_value
    .group_segment_fixed_size: 0
    .kernarg_segment_align: 8
    .kernarg_segment_size: 120
    .language:       OpenCL C
    .language_version:
      - 2
      - 0
    .max_flat_workgroup_size: 128
    .name:           _ZN7rocprim17ROCPRIM_400000_NS6detail17trampoline_kernelINS0_14default_configENS1_25partition_config_selectorILNS1_17partition_subalgoE9EllbEEZZNS1_14partition_implILS5_9ELb0ES3_jPlS8_PNS0_10empty_typeENS0_5tupleIJS8_S9_EEENSB_IJS8_SA_EEENS0_18inequality_wrapperIZN2at6native12_GLOBAL__N_124unique_dim_cuda_templateIhEESt5tupleIJNSF_6TensorESK_SK_EERKSK_lbbbEUlllE0_EEPmJS9_EEE10hipError_tPvRmT3_T4_T5_T6_T7_T9_mT8_P12ihipStream_tbDpT10_ENKUlT_T0_E_clISt17integral_constantIbLb1EES19_IbLb0EEEEDaS15_S16_EUlS15_E_NS1_11comp_targetILNS1_3genE4ELNS1_11target_archE910ELNS1_3gpuE8ELNS1_3repE0EEENS1_30default_config_static_selectorELNS0_4arch9wavefront6targetE1EEEvT1_
    .private_segment_fixed_size: 0
    .sgpr_count:     6
    .sgpr_spill_count: 0
    .symbol:         _ZN7rocprim17ROCPRIM_400000_NS6detail17trampoline_kernelINS0_14default_configENS1_25partition_config_selectorILNS1_17partition_subalgoE9EllbEEZZNS1_14partition_implILS5_9ELb0ES3_jPlS8_PNS0_10empty_typeENS0_5tupleIJS8_S9_EEENSB_IJS8_SA_EEENS0_18inequality_wrapperIZN2at6native12_GLOBAL__N_124unique_dim_cuda_templateIhEESt5tupleIJNSF_6TensorESK_SK_EERKSK_lbbbEUlllE0_EEPmJS9_EEE10hipError_tPvRmT3_T4_T5_T6_T7_T9_mT8_P12ihipStream_tbDpT10_ENKUlT_T0_E_clISt17integral_constantIbLb1EES19_IbLb0EEEEDaS15_S16_EUlS15_E_NS1_11comp_targetILNS1_3genE4ELNS1_11target_archE910ELNS1_3gpuE8ELNS1_3repE0EEENS1_30default_config_static_selectorELNS0_4arch9wavefront6targetE1EEEvT1_.kd
    .uniform_work_group_size: 1
    .uses_dynamic_stack: false
    .vgpr_count:     0
    .vgpr_spill_count: 0
    .wavefront_size: 64
  - .agpr_count:     0
    .args:
      - .offset:         0
        .size:           120
        .value_kind:     by_value
    .group_segment_fixed_size: 0
    .kernarg_segment_align: 8
    .kernarg_segment_size: 120
    .language:       OpenCL C
    .language_version:
      - 2
      - 0
    .max_flat_workgroup_size: 128
    .name:           _ZN7rocprim17ROCPRIM_400000_NS6detail17trampoline_kernelINS0_14default_configENS1_25partition_config_selectorILNS1_17partition_subalgoE9EllbEEZZNS1_14partition_implILS5_9ELb0ES3_jPlS8_PNS0_10empty_typeENS0_5tupleIJS8_S9_EEENSB_IJS8_SA_EEENS0_18inequality_wrapperIZN2at6native12_GLOBAL__N_124unique_dim_cuda_templateIhEESt5tupleIJNSF_6TensorESK_SK_EERKSK_lbbbEUlllE0_EEPmJS9_EEE10hipError_tPvRmT3_T4_T5_T6_T7_T9_mT8_P12ihipStream_tbDpT10_ENKUlT_T0_E_clISt17integral_constantIbLb1EES19_IbLb0EEEEDaS15_S16_EUlS15_E_NS1_11comp_targetILNS1_3genE3ELNS1_11target_archE908ELNS1_3gpuE7ELNS1_3repE0EEENS1_30default_config_static_selectorELNS0_4arch9wavefront6targetE1EEEvT1_
    .private_segment_fixed_size: 0
    .sgpr_count:     6
    .sgpr_spill_count: 0
    .symbol:         _ZN7rocprim17ROCPRIM_400000_NS6detail17trampoline_kernelINS0_14default_configENS1_25partition_config_selectorILNS1_17partition_subalgoE9EllbEEZZNS1_14partition_implILS5_9ELb0ES3_jPlS8_PNS0_10empty_typeENS0_5tupleIJS8_S9_EEENSB_IJS8_SA_EEENS0_18inequality_wrapperIZN2at6native12_GLOBAL__N_124unique_dim_cuda_templateIhEESt5tupleIJNSF_6TensorESK_SK_EERKSK_lbbbEUlllE0_EEPmJS9_EEE10hipError_tPvRmT3_T4_T5_T6_T7_T9_mT8_P12ihipStream_tbDpT10_ENKUlT_T0_E_clISt17integral_constantIbLb1EES19_IbLb0EEEEDaS15_S16_EUlS15_E_NS1_11comp_targetILNS1_3genE3ELNS1_11target_archE908ELNS1_3gpuE7ELNS1_3repE0EEENS1_30default_config_static_selectorELNS0_4arch9wavefront6targetE1EEEvT1_.kd
    .uniform_work_group_size: 1
    .uses_dynamic_stack: false
    .vgpr_count:     0
    .vgpr_spill_count: 0
    .wavefront_size: 64
  - .agpr_count:     0
    .args:
      - .offset:         0
        .size:           120
        .value_kind:     by_value
    .group_segment_fixed_size: 0
    .kernarg_segment_align: 8
    .kernarg_segment_size: 120
    .language:       OpenCL C
    .language_version:
      - 2
      - 0
    .max_flat_workgroup_size: 192
    .name:           _ZN7rocprim17ROCPRIM_400000_NS6detail17trampoline_kernelINS0_14default_configENS1_25partition_config_selectorILNS1_17partition_subalgoE9EllbEEZZNS1_14partition_implILS5_9ELb0ES3_jPlS8_PNS0_10empty_typeENS0_5tupleIJS8_S9_EEENSB_IJS8_SA_EEENS0_18inequality_wrapperIZN2at6native12_GLOBAL__N_124unique_dim_cuda_templateIhEESt5tupleIJNSF_6TensorESK_SK_EERKSK_lbbbEUlllE0_EEPmJS9_EEE10hipError_tPvRmT3_T4_T5_T6_T7_T9_mT8_P12ihipStream_tbDpT10_ENKUlT_T0_E_clISt17integral_constantIbLb1EES19_IbLb0EEEEDaS15_S16_EUlS15_E_NS1_11comp_targetILNS1_3genE2ELNS1_11target_archE906ELNS1_3gpuE6ELNS1_3repE0EEENS1_30default_config_static_selectorELNS0_4arch9wavefront6targetE1EEEvT1_
    .private_segment_fixed_size: 0
    .sgpr_count:     6
    .sgpr_spill_count: 0
    .symbol:         _ZN7rocprim17ROCPRIM_400000_NS6detail17trampoline_kernelINS0_14default_configENS1_25partition_config_selectorILNS1_17partition_subalgoE9EllbEEZZNS1_14partition_implILS5_9ELb0ES3_jPlS8_PNS0_10empty_typeENS0_5tupleIJS8_S9_EEENSB_IJS8_SA_EEENS0_18inequality_wrapperIZN2at6native12_GLOBAL__N_124unique_dim_cuda_templateIhEESt5tupleIJNSF_6TensorESK_SK_EERKSK_lbbbEUlllE0_EEPmJS9_EEE10hipError_tPvRmT3_T4_T5_T6_T7_T9_mT8_P12ihipStream_tbDpT10_ENKUlT_T0_E_clISt17integral_constantIbLb1EES19_IbLb0EEEEDaS15_S16_EUlS15_E_NS1_11comp_targetILNS1_3genE2ELNS1_11target_archE906ELNS1_3gpuE6ELNS1_3repE0EEENS1_30default_config_static_selectorELNS0_4arch9wavefront6targetE1EEEvT1_.kd
    .uniform_work_group_size: 1
    .uses_dynamic_stack: false
    .vgpr_count:     0
    .vgpr_spill_count: 0
    .wavefront_size: 64
  - .agpr_count:     0
    .args:
      - .offset:         0
        .size:           120
        .value_kind:     by_value
    .group_segment_fixed_size: 0
    .kernarg_segment_align: 8
    .kernarg_segment_size: 120
    .language:       OpenCL C
    .language_version:
      - 2
      - 0
    .max_flat_workgroup_size: 384
    .name:           _ZN7rocprim17ROCPRIM_400000_NS6detail17trampoline_kernelINS0_14default_configENS1_25partition_config_selectorILNS1_17partition_subalgoE9EllbEEZZNS1_14partition_implILS5_9ELb0ES3_jPlS8_PNS0_10empty_typeENS0_5tupleIJS8_S9_EEENSB_IJS8_SA_EEENS0_18inequality_wrapperIZN2at6native12_GLOBAL__N_124unique_dim_cuda_templateIhEESt5tupleIJNSF_6TensorESK_SK_EERKSK_lbbbEUlllE0_EEPmJS9_EEE10hipError_tPvRmT3_T4_T5_T6_T7_T9_mT8_P12ihipStream_tbDpT10_ENKUlT_T0_E_clISt17integral_constantIbLb1EES19_IbLb0EEEEDaS15_S16_EUlS15_E_NS1_11comp_targetILNS1_3genE10ELNS1_11target_archE1200ELNS1_3gpuE4ELNS1_3repE0EEENS1_30default_config_static_selectorELNS0_4arch9wavefront6targetE1EEEvT1_
    .private_segment_fixed_size: 0
    .sgpr_count:     6
    .sgpr_spill_count: 0
    .symbol:         _ZN7rocprim17ROCPRIM_400000_NS6detail17trampoline_kernelINS0_14default_configENS1_25partition_config_selectorILNS1_17partition_subalgoE9EllbEEZZNS1_14partition_implILS5_9ELb0ES3_jPlS8_PNS0_10empty_typeENS0_5tupleIJS8_S9_EEENSB_IJS8_SA_EEENS0_18inequality_wrapperIZN2at6native12_GLOBAL__N_124unique_dim_cuda_templateIhEESt5tupleIJNSF_6TensorESK_SK_EERKSK_lbbbEUlllE0_EEPmJS9_EEE10hipError_tPvRmT3_T4_T5_T6_T7_T9_mT8_P12ihipStream_tbDpT10_ENKUlT_T0_E_clISt17integral_constantIbLb1EES19_IbLb0EEEEDaS15_S16_EUlS15_E_NS1_11comp_targetILNS1_3genE10ELNS1_11target_archE1200ELNS1_3gpuE4ELNS1_3repE0EEENS1_30default_config_static_selectorELNS0_4arch9wavefront6targetE1EEEvT1_.kd
    .uniform_work_group_size: 1
    .uses_dynamic_stack: false
    .vgpr_count:     0
    .vgpr_spill_count: 0
    .wavefront_size: 64
  - .agpr_count:     0
    .args:
      - .offset:         0
        .size:           120
        .value_kind:     by_value
    .group_segment_fixed_size: 0
    .kernarg_segment_align: 8
    .kernarg_segment_size: 120
    .language:       OpenCL C
    .language_version:
      - 2
      - 0
    .max_flat_workgroup_size: 512
    .name:           _ZN7rocprim17ROCPRIM_400000_NS6detail17trampoline_kernelINS0_14default_configENS1_25partition_config_selectorILNS1_17partition_subalgoE9EllbEEZZNS1_14partition_implILS5_9ELb0ES3_jPlS8_PNS0_10empty_typeENS0_5tupleIJS8_S9_EEENSB_IJS8_SA_EEENS0_18inequality_wrapperIZN2at6native12_GLOBAL__N_124unique_dim_cuda_templateIhEESt5tupleIJNSF_6TensorESK_SK_EERKSK_lbbbEUlllE0_EEPmJS9_EEE10hipError_tPvRmT3_T4_T5_T6_T7_T9_mT8_P12ihipStream_tbDpT10_ENKUlT_T0_E_clISt17integral_constantIbLb1EES19_IbLb0EEEEDaS15_S16_EUlS15_E_NS1_11comp_targetILNS1_3genE9ELNS1_11target_archE1100ELNS1_3gpuE3ELNS1_3repE0EEENS1_30default_config_static_selectorELNS0_4arch9wavefront6targetE1EEEvT1_
    .private_segment_fixed_size: 0
    .sgpr_count:     6
    .sgpr_spill_count: 0
    .symbol:         _ZN7rocprim17ROCPRIM_400000_NS6detail17trampoline_kernelINS0_14default_configENS1_25partition_config_selectorILNS1_17partition_subalgoE9EllbEEZZNS1_14partition_implILS5_9ELb0ES3_jPlS8_PNS0_10empty_typeENS0_5tupleIJS8_S9_EEENSB_IJS8_SA_EEENS0_18inequality_wrapperIZN2at6native12_GLOBAL__N_124unique_dim_cuda_templateIhEESt5tupleIJNSF_6TensorESK_SK_EERKSK_lbbbEUlllE0_EEPmJS9_EEE10hipError_tPvRmT3_T4_T5_T6_T7_T9_mT8_P12ihipStream_tbDpT10_ENKUlT_T0_E_clISt17integral_constantIbLb1EES19_IbLb0EEEEDaS15_S16_EUlS15_E_NS1_11comp_targetILNS1_3genE9ELNS1_11target_archE1100ELNS1_3gpuE3ELNS1_3repE0EEENS1_30default_config_static_selectorELNS0_4arch9wavefront6targetE1EEEvT1_.kd
    .uniform_work_group_size: 1
    .uses_dynamic_stack: false
    .vgpr_count:     0
    .vgpr_spill_count: 0
    .wavefront_size: 64
  - .agpr_count:     0
    .args:
      - .offset:         0
        .size:           120
        .value_kind:     by_value
    .group_segment_fixed_size: 0
    .kernarg_segment_align: 8
    .kernarg_segment_size: 120
    .language:       OpenCL C
    .language_version:
      - 2
      - 0
    .max_flat_workgroup_size: 512
    .name:           _ZN7rocprim17ROCPRIM_400000_NS6detail17trampoline_kernelINS0_14default_configENS1_25partition_config_selectorILNS1_17partition_subalgoE9EllbEEZZNS1_14partition_implILS5_9ELb0ES3_jPlS8_PNS0_10empty_typeENS0_5tupleIJS8_S9_EEENSB_IJS8_SA_EEENS0_18inequality_wrapperIZN2at6native12_GLOBAL__N_124unique_dim_cuda_templateIhEESt5tupleIJNSF_6TensorESK_SK_EERKSK_lbbbEUlllE0_EEPmJS9_EEE10hipError_tPvRmT3_T4_T5_T6_T7_T9_mT8_P12ihipStream_tbDpT10_ENKUlT_T0_E_clISt17integral_constantIbLb1EES19_IbLb0EEEEDaS15_S16_EUlS15_E_NS1_11comp_targetILNS1_3genE8ELNS1_11target_archE1030ELNS1_3gpuE2ELNS1_3repE0EEENS1_30default_config_static_selectorELNS0_4arch9wavefront6targetE1EEEvT1_
    .private_segment_fixed_size: 0
    .sgpr_count:     6
    .sgpr_spill_count: 0
    .symbol:         _ZN7rocprim17ROCPRIM_400000_NS6detail17trampoline_kernelINS0_14default_configENS1_25partition_config_selectorILNS1_17partition_subalgoE9EllbEEZZNS1_14partition_implILS5_9ELb0ES3_jPlS8_PNS0_10empty_typeENS0_5tupleIJS8_S9_EEENSB_IJS8_SA_EEENS0_18inequality_wrapperIZN2at6native12_GLOBAL__N_124unique_dim_cuda_templateIhEESt5tupleIJNSF_6TensorESK_SK_EERKSK_lbbbEUlllE0_EEPmJS9_EEE10hipError_tPvRmT3_T4_T5_T6_T7_T9_mT8_P12ihipStream_tbDpT10_ENKUlT_T0_E_clISt17integral_constantIbLb1EES19_IbLb0EEEEDaS15_S16_EUlS15_E_NS1_11comp_targetILNS1_3genE8ELNS1_11target_archE1030ELNS1_3gpuE2ELNS1_3repE0EEENS1_30default_config_static_selectorELNS0_4arch9wavefront6targetE1EEEvT1_.kd
    .uniform_work_group_size: 1
    .uses_dynamic_stack: false
    .vgpr_count:     0
    .vgpr_spill_count: 0
    .wavefront_size: 64
  - .agpr_count:     0
    .args:
      - .offset:         0
        .size:           136
        .value_kind:     by_value
    .group_segment_fixed_size: 5128
    .kernarg_segment_align: 8
    .kernarg_segment_size: 136
    .language:       OpenCL C
    .language_version:
      - 2
      - 0
    .max_flat_workgroup_size: 128
    .name:           _ZN7rocprim17ROCPRIM_400000_NS6detail17trampoline_kernelINS0_14default_configENS1_25partition_config_selectorILNS1_17partition_subalgoE9EllbEEZZNS1_14partition_implILS5_9ELb0ES3_jPlS8_PNS0_10empty_typeENS0_5tupleIJS8_S9_EEENSB_IJS8_SA_EEENS0_18inequality_wrapperIZN2at6native12_GLOBAL__N_124unique_dim_cuda_templateIhEESt5tupleIJNSF_6TensorESK_SK_EERKSK_lbbbEUlllE0_EEPmJS9_EEE10hipError_tPvRmT3_T4_T5_T6_T7_T9_mT8_P12ihipStream_tbDpT10_ENKUlT_T0_E_clISt17integral_constantIbLb0EES19_IbLb1EEEEDaS15_S16_EUlS15_E_NS1_11comp_targetILNS1_3genE0ELNS1_11target_archE4294967295ELNS1_3gpuE0ELNS1_3repE0EEENS1_30default_config_static_selectorELNS0_4arch9wavefront6targetE1EEEvT1_
    .private_segment_fixed_size: 0
    .sgpr_count:     58
    .sgpr_spill_count: 0
    .symbol:         _ZN7rocprim17ROCPRIM_400000_NS6detail17trampoline_kernelINS0_14default_configENS1_25partition_config_selectorILNS1_17partition_subalgoE9EllbEEZZNS1_14partition_implILS5_9ELb0ES3_jPlS8_PNS0_10empty_typeENS0_5tupleIJS8_S9_EEENSB_IJS8_SA_EEENS0_18inequality_wrapperIZN2at6native12_GLOBAL__N_124unique_dim_cuda_templateIhEESt5tupleIJNSF_6TensorESK_SK_EERKSK_lbbbEUlllE0_EEPmJS9_EEE10hipError_tPvRmT3_T4_T5_T6_T7_T9_mT8_P12ihipStream_tbDpT10_ENKUlT_T0_E_clISt17integral_constantIbLb0EES19_IbLb1EEEEDaS15_S16_EUlS15_E_NS1_11comp_targetILNS1_3genE0ELNS1_11target_archE4294967295ELNS1_3gpuE0ELNS1_3repE0EEENS1_30default_config_static_selectorELNS0_4arch9wavefront6targetE1EEEvT1_.kd
    .uniform_work_group_size: 1
    .uses_dynamic_stack: false
    .vgpr_count:     60
    .vgpr_spill_count: 0
    .wavefront_size: 64
  - .agpr_count:     0
    .args:
      - .offset:         0
        .size:           136
        .value_kind:     by_value
    .group_segment_fixed_size: 0
    .kernarg_segment_align: 8
    .kernarg_segment_size: 136
    .language:       OpenCL C
    .language_version:
      - 2
      - 0
    .max_flat_workgroup_size: 512
    .name:           _ZN7rocprim17ROCPRIM_400000_NS6detail17trampoline_kernelINS0_14default_configENS1_25partition_config_selectorILNS1_17partition_subalgoE9EllbEEZZNS1_14partition_implILS5_9ELb0ES3_jPlS8_PNS0_10empty_typeENS0_5tupleIJS8_S9_EEENSB_IJS8_SA_EEENS0_18inequality_wrapperIZN2at6native12_GLOBAL__N_124unique_dim_cuda_templateIhEESt5tupleIJNSF_6TensorESK_SK_EERKSK_lbbbEUlllE0_EEPmJS9_EEE10hipError_tPvRmT3_T4_T5_T6_T7_T9_mT8_P12ihipStream_tbDpT10_ENKUlT_T0_E_clISt17integral_constantIbLb0EES19_IbLb1EEEEDaS15_S16_EUlS15_E_NS1_11comp_targetILNS1_3genE5ELNS1_11target_archE942ELNS1_3gpuE9ELNS1_3repE0EEENS1_30default_config_static_selectorELNS0_4arch9wavefront6targetE1EEEvT1_
    .private_segment_fixed_size: 0
    .sgpr_count:     6
    .sgpr_spill_count: 0
    .symbol:         _ZN7rocprim17ROCPRIM_400000_NS6detail17trampoline_kernelINS0_14default_configENS1_25partition_config_selectorILNS1_17partition_subalgoE9EllbEEZZNS1_14partition_implILS5_9ELb0ES3_jPlS8_PNS0_10empty_typeENS0_5tupleIJS8_S9_EEENSB_IJS8_SA_EEENS0_18inequality_wrapperIZN2at6native12_GLOBAL__N_124unique_dim_cuda_templateIhEESt5tupleIJNSF_6TensorESK_SK_EERKSK_lbbbEUlllE0_EEPmJS9_EEE10hipError_tPvRmT3_T4_T5_T6_T7_T9_mT8_P12ihipStream_tbDpT10_ENKUlT_T0_E_clISt17integral_constantIbLb0EES19_IbLb1EEEEDaS15_S16_EUlS15_E_NS1_11comp_targetILNS1_3genE5ELNS1_11target_archE942ELNS1_3gpuE9ELNS1_3repE0EEENS1_30default_config_static_selectorELNS0_4arch9wavefront6targetE1EEEvT1_.kd
    .uniform_work_group_size: 1
    .uses_dynamic_stack: false
    .vgpr_count:     0
    .vgpr_spill_count: 0
    .wavefront_size: 64
  - .agpr_count:     0
    .args:
      - .offset:         0
        .size:           136
        .value_kind:     by_value
    .group_segment_fixed_size: 0
    .kernarg_segment_align: 8
    .kernarg_segment_size: 136
    .language:       OpenCL C
    .language_version:
      - 2
      - 0
    .max_flat_workgroup_size: 128
    .name:           _ZN7rocprim17ROCPRIM_400000_NS6detail17trampoline_kernelINS0_14default_configENS1_25partition_config_selectorILNS1_17partition_subalgoE9EllbEEZZNS1_14partition_implILS5_9ELb0ES3_jPlS8_PNS0_10empty_typeENS0_5tupleIJS8_S9_EEENSB_IJS8_SA_EEENS0_18inequality_wrapperIZN2at6native12_GLOBAL__N_124unique_dim_cuda_templateIhEESt5tupleIJNSF_6TensorESK_SK_EERKSK_lbbbEUlllE0_EEPmJS9_EEE10hipError_tPvRmT3_T4_T5_T6_T7_T9_mT8_P12ihipStream_tbDpT10_ENKUlT_T0_E_clISt17integral_constantIbLb0EES19_IbLb1EEEEDaS15_S16_EUlS15_E_NS1_11comp_targetILNS1_3genE4ELNS1_11target_archE910ELNS1_3gpuE8ELNS1_3repE0EEENS1_30default_config_static_selectorELNS0_4arch9wavefront6targetE1EEEvT1_
    .private_segment_fixed_size: 0
    .sgpr_count:     6
    .sgpr_spill_count: 0
    .symbol:         _ZN7rocprim17ROCPRIM_400000_NS6detail17trampoline_kernelINS0_14default_configENS1_25partition_config_selectorILNS1_17partition_subalgoE9EllbEEZZNS1_14partition_implILS5_9ELb0ES3_jPlS8_PNS0_10empty_typeENS0_5tupleIJS8_S9_EEENSB_IJS8_SA_EEENS0_18inequality_wrapperIZN2at6native12_GLOBAL__N_124unique_dim_cuda_templateIhEESt5tupleIJNSF_6TensorESK_SK_EERKSK_lbbbEUlllE0_EEPmJS9_EEE10hipError_tPvRmT3_T4_T5_T6_T7_T9_mT8_P12ihipStream_tbDpT10_ENKUlT_T0_E_clISt17integral_constantIbLb0EES19_IbLb1EEEEDaS15_S16_EUlS15_E_NS1_11comp_targetILNS1_3genE4ELNS1_11target_archE910ELNS1_3gpuE8ELNS1_3repE0EEENS1_30default_config_static_selectorELNS0_4arch9wavefront6targetE1EEEvT1_.kd
    .uniform_work_group_size: 1
    .uses_dynamic_stack: false
    .vgpr_count:     0
    .vgpr_spill_count: 0
    .wavefront_size: 64
  - .agpr_count:     0
    .args:
      - .offset:         0
        .size:           136
        .value_kind:     by_value
    .group_segment_fixed_size: 0
    .kernarg_segment_align: 8
    .kernarg_segment_size: 136
    .language:       OpenCL C
    .language_version:
      - 2
      - 0
    .max_flat_workgroup_size: 128
    .name:           _ZN7rocprim17ROCPRIM_400000_NS6detail17trampoline_kernelINS0_14default_configENS1_25partition_config_selectorILNS1_17partition_subalgoE9EllbEEZZNS1_14partition_implILS5_9ELb0ES3_jPlS8_PNS0_10empty_typeENS0_5tupleIJS8_S9_EEENSB_IJS8_SA_EEENS0_18inequality_wrapperIZN2at6native12_GLOBAL__N_124unique_dim_cuda_templateIhEESt5tupleIJNSF_6TensorESK_SK_EERKSK_lbbbEUlllE0_EEPmJS9_EEE10hipError_tPvRmT3_T4_T5_T6_T7_T9_mT8_P12ihipStream_tbDpT10_ENKUlT_T0_E_clISt17integral_constantIbLb0EES19_IbLb1EEEEDaS15_S16_EUlS15_E_NS1_11comp_targetILNS1_3genE3ELNS1_11target_archE908ELNS1_3gpuE7ELNS1_3repE0EEENS1_30default_config_static_selectorELNS0_4arch9wavefront6targetE1EEEvT1_
    .private_segment_fixed_size: 0
    .sgpr_count:     6
    .sgpr_spill_count: 0
    .symbol:         _ZN7rocprim17ROCPRIM_400000_NS6detail17trampoline_kernelINS0_14default_configENS1_25partition_config_selectorILNS1_17partition_subalgoE9EllbEEZZNS1_14partition_implILS5_9ELb0ES3_jPlS8_PNS0_10empty_typeENS0_5tupleIJS8_S9_EEENSB_IJS8_SA_EEENS0_18inequality_wrapperIZN2at6native12_GLOBAL__N_124unique_dim_cuda_templateIhEESt5tupleIJNSF_6TensorESK_SK_EERKSK_lbbbEUlllE0_EEPmJS9_EEE10hipError_tPvRmT3_T4_T5_T6_T7_T9_mT8_P12ihipStream_tbDpT10_ENKUlT_T0_E_clISt17integral_constantIbLb0EES19_IbLb1EEEEDaS15_S16_EUlS15_E_NS1_11comp_targetILNS1_3genE3ELNS1_11target_archE908ELNS1_3gpuE7ELNS1_3repE0EEENS1_30default_config_static_selectorELNS0_4arch9wavefront6targetE1EEEvT1_.kd
    .uniform_work_group_size: 1
    .uses_dynamic_stack: false
    .vgpr_count:     0
    .vgpr_spill_count: 0
    .wavefront_size: 64
  - .agpr_count:     0
    .args:
      - .offset:         0
        .size:           136
        .value_kind:     by_value
    .group_segment_fixed_size: 0
    .kernarg_segment_align: 8
    .kernarg_segment_size: 136
    .language:       OpenCL C
    .language_version:
      - 2
      - 0
    .max_flat_workgroup_size: 192
    .name:           _ZN7rocprim17ROCPRIM_400000_NS6detail17trampoline_kernelINS0_14default_configENS1_25partition_config_selectorILNS1_17partition_subalgoE9EllbEEZZNS1_14partition_implILS5_9ELb0ES3_jPlS8_PNS0_10empty_typeENS0_5tupleIJS8_S9_EEENSB_IJS8_SA_EEENS0_18inequality_wrapperIZN2at6native12_GLOBAL__N_124unique_dim_cuda_templateIhEESt5tupleIJNSF_6TensorESK_SK_EERKSK_lbbbEUlllE0_EEPmJS9_EEE10hipError_tPvRmT3_T4_T5_T6_T7_T9_mT8_P12ihipStream_tbDpT10_ENKUlT_T0_E_clISt17integral_constantIbLb0EES19_IbLb1EEEEDaS15_S16_EUlS15_E_NS1_11comp_targetILNS1_3genE2ELNS1_11target_archE906ELNS1_3gpuE6ELNS1_3repE0EEENS1_30default_config_static_selectorELNS0_4arch9wavefront6targetE1EEEvT1_
    .private_segment_fixed_size: 0
    .sgpr_count:     6
    .sgpr_spill_count: 0
    .symbol:         _ZN7rocprim17ROCPRIM_400000_NS6detail17trampoline_kernelINS0_14default_configENS1_25partition_config_selectorILNS1_17partition_subalgoE9EllbEEZZNS1_14partition_implILS5_9ELb0ES3_jPlS8_PNS0_10empty_typeENS0_5tupleIJS8_S9_EEENSB_IJS8_SA_EEENS0_18inequality_wrapperIZN2at6native12_GLOBAL__N_124unique_dim_cuda_templateIhEESt5tupleIJNSF_6TensorESK_SK_EERKSK_lbbbEUlllE0_EEPmJS9_EEE10hipError_tPvRmT3_T4_T5_T6_T7_T9_mT8_P12ihipStream_tbDpT10_ENKUlT_T0_E_clISt17integral_constantIbLb0EES19_IbLb1EEEEDaS15_S16_EUlS15_E_NS1_11comp_targetILNS1_3genE2ELNS1_11target_archE906ELNS1_3gpuE6ELNS1_3repE0EEENS1_30default_config_static_selectorELNS0_4arch9wavefront6targetE1EEEvT1_.kd
    .uniform_work_group_size: 1
    .uses_dynamic_stack: false
    .vgpr_count:     0
    .vgpr_spill_count: 0
    .wavefront_size: 64
  - .agpr_count:     0
    .args:
      - .offset:         0
        .size:           136
        .value_kind:     by_value
    .group_segment_fixed_size: 0
    .kernarg_segment_align: 8
    .kernarg_segment_size: 136
    .language:       OpenCL C
    .language_version:
      - 2
      - 0
    .max_flat_workgroup_size: 384
    .name:           _ZN7rocprim17ROCPRIM_400000_NS6detail17trampoline_kernelINS0_14default_configENS1_25partition_config_selectorILNS1_17partition_subalgoE9EllbEEZZNS1_14partition_implILS5_9ELb0ES3_jPlS8_PNS0_10empty_typeENS0_5tupleIJS8_S9_EEENSB_IJS8_SA_EEENS0_18inequality_wrapperIZN2at6native12_GLOBAL__N_124unique_dim_cuda_templateIhEESt5tupleIJNSF_6TensorESK_SK_EERKSK_lbbbEUlllE0_EEPmJS9_EEE10hipError_tPvRmT3_T4_T5_T6_T7_T9_mT8_P12ihipStream_tbDpT10_ENKUlT_T0_E_clISt17integral_constantIbLb0EES19_IbLb1EEEEDaS15_S16_EUlS15_E_NS1_11comp_targetILNS1_3genE10ELNS1_11target_archE1200ELNS1_3gpuE4ELNS1_3repE0EEENS1_30default_config_static_selectorELNS0_4arch9wavefront6targetE1EEEvT1_
    .private_segment_fixed_size: 0
    .sgpr_count:     6
    .sgpr_spill_count: 0
    .symbol:         _ZN7rocprim17ROCPRIM_400000_NS6detail17trampoline_kernelINS0_14default_configENS1_25partition_config_selectorILNS1_17partition_subalgoE9EllbEEZZNS1_14partition_implILS5_9ELb0ES3_jPlS8_PNS0_10empty_typeENS0_5tupleIJS8_S9_EEENSB_IJS8_SA_EEENS0_18inequality_wrapperIZN2at6native12_GLOBAL__N_124unique_dim_cuda_templateIhEESt5tupleIJNSF_6TensorESK_SK_EERKSK_lbbbEUlllE0_EEPmJS9_EEE10hipError_tPvRmT3_T4_T5_T6_T7_T9_mT8_P12ihipStream_tbDpT10_ENKUlT_T0_E_clISt17integral_constantIbLb0EES19_IbLb1EEEEDaS15_S16_EUlS15_E_NS1_11comp_targetILNS1_3genE10ELNS1_11target_archE1200ELNS1_3gpuE4ELNS1_3repE0EEENS1_30default_config_static_selectorELNS0_4arch9wavefront6targetE1EEEvT1_.kd
    .uniform_work_group_size: 1
    .uses_dynamic_stack: false
    .vgpr_count:     0
    .vgpr_spill_count: 0
    .wavefront_size: 64
  - .agpr_count:     0
    .args:
      - .offset:         0
        .size:           136
        .value_kind:     by_value
    .group_segment_fixed_size: 0
    .kernarg_segment_align: 8
    .kernarg_segment_size: 136
    .language:       OpenCL C
    .language_version:
      - 2
      - 0
    .max_flat_workgroup_size: 512
    .name:           _ZN7rocprim17ROCPRIM_400000_NS6detail17trampoline_kernelINS0_14default_configENS1_25partition_config_selectorILNS1_17partition_subalgoE9EllbEEZZNS1_14partition_implILS5_9ELb0ES3_jPlS8_PNS0_10empty_typeENS0_5tupleIJS8_S9_EEENSB_IJS8_SA_EEENS0_18inequality_wrapperIZN2at6native12_GLOBAL__N_124unique_dim_cuda_templateIhEESt5tupleIJNSF_6TensorESK_SK_EERKSK_lbbbEUlllE0_EEPmJS9_EEE10hipError_tPvRmT3_T4_T5_T6_T7_T9_mT8_P12ihipStream_tbDpT10_ENKUlT_T0_E_clISt17integral_constantIbLb0EES19_IbLb1EEEEDaS15_S16_EUlS15_E_NS1_11comp_targetILNS1_3genE9ELNS1_11target_archE1100ELNS1_3gpuE3ELNS1_3repE0EEENS1_30default_config_static_selectorELNS0_4arch9wavefront6targetE1EEEvT1_
    .private_segment_fixed_size: 0
    .sgpr_count:     6
    .sgpr_spill_count: 0
    .symbol:         _ZN7rocprim17ROCPRIM_400000_NS6detail17trampoline_kernelINS0_14default_configENS1_25partition_config_selectorILNS1_17partition_subalgoE9EllbEEZZNS1_14partition_implILS5_9ELb0ES3_jPlS8_PNS0_10empty_typeENS0_5tupleIJS8_S9_EEENSB_IJS8_SA_EEENS0_18inequality_wrapperIZN2at6native12_GLOBAL__N_124unique_dim_cuda_templateIhEESt5tupleIJNSF_6TensorESK_SK_EERKSK_lbbbEUlllE0_EEPmJS9_EEE10hipError_tPvRmT3_T4_T5_T6_T7_T9_mT8_P12ihipStream_tbDpT10_ENKUlT_T0_E_clISt17integral_constantIbLb0EES19_IbLb1EEEEDaS15_S16_EUlS15_E_NS1_11comp_targetILNS1_3genE9ELNS1_11target_archE1100ELNS1_3gpuE3ELNS1_3repE0EEENS1_30default_config_static_selectorELNS0_4arch9wavefront6targetE1EEEvT1_.kd
    .uniform_work_group_size: 1
    .uses_dynamic_stack: false
    .vgpr_count:     0
    .vgpr_spill_count: 0
    .wavefront_size: 64
  - .agpr_count:     0
    .args:
      - .offset:         0
        .size:           136
        .value_kind:     by_value
    .group_segment_fixed_size: 0
    .kernarg_segment_align: 8
    .kernarg_segment_size: 136
    .language:       OpenCL C
    .language_version:
      - 2
      - 0
    .max_flat_workgroup_size: 512
    .name:           _ZN7rocprim17ROCPRIM_400000_NS6detail17trampoline_kernelINS0_14default_configENS1_25partition_config_selectorILNS1_17partition_subalgoE9EllbEEZZNS1_14partition_implILS5_9ELb0ES3_jPlS8_PNS0_10empty_typeENS0_5tupleIJS8_S9_EEENSB_IJS8_SA_EEENS0_18inequality_wrapperIZN2at6native12_GLOBAL__N_124unique_dim_cuda_templateIhEESt5tupleIJNSF_6TensorESK_SK_EERKSK_lbbbEUlllE0_EEPmJS9_EEE10hipError_tPvRmT3_T4_T5_T6_T7_T9_mT8_P12ihipStream_tbDpT10_ENKUlT_T0_E_clISt17integral_constantIbLb0EES19_IbLb1EEEEDaS15_S16_EUlS15_E_NS1_11comp_targetILNS1_3genE8ELNS1_11target_archE1030ELNS1_3gpuE2ELNS1_3repE0EEENS1_30default_config_static_selectorELNS0_4arch9wavefront6targetE1EEEvT1_
    .private_segment_fixed_size: 0
    .sgpr_count:     6
    .sgpr_spill_count: 0
    .symbol:         _ZN7rocprim17ROCPRIM_400000_NS6detail17trampoline_kernelINS0_14default_configENS1_25partition_config_selectorILNS1_17partition_subalgoE9EllbEEZZNS1_14partition_implILS5_9ELb0ES3_jPlS8_PNS0_10empty_typeENS0_5tupleIJS8_S9_EEENSB_IJS8_SA_EEENS0_18inequality_wrapperIZN2at6native12_GLOBAL__N_124unique_dim_cuda_templateIhEESt5tupleIJNSF_6TensorESK_SK_EERKSK_lbbbEUlllE0_EEPmJS9_EEE10hipError_tPvRmT3_T4_T5_T6_T7_T9_mT8_P12ihipStream_tbDpT10_ENKUlT_T0_E_clISt17integral_constantIbLb0EES19_IbLb1EEEEDaS15_S16_EUlS15_E_NS1_11comp_targetILNS1_3genE8ELNS1_11target_archE1030ELNS1_3gpuE2ELNS1_3repE0EEENS1_30default_config_static_selectorELNS0_4arch9wavefront6targetE1EEEvT1_.kd
    .uniform_work_group_size: 1
    .uses_dynamic_stack: false
    .vgpr_count:     0
    .vgpr_spill_count: 0
    .wavefront_size: 64
  - .agpr_count:     0
    .args:
      - .offset:         0
        .size:           56
        .value_kind:     by_value
    .group_segment_fixed_size: 2048
    .kernarg_segment_align: 8
    .kernarg_segment_size: 56
    .language:       OpenCL C
    .language_version:
      - 2
      - 0
    .max_flat_workgroup_size: 128
    .name:           _ZN7rocprim17ROCPRIM_400000_NS6detail17trampoline_kernelINS0_14default_configENS1_35adjacent_difference_config_selectorILb0ElEEZNS1_24adjacent_difference_implIS3_Lb0ELb0EPlS7_N6thrust23THRUST_200600_302600_NS5minusIlEEEE10hipError_tPvRmT2_T3_mT4_P12ihipStream_tbEUlT_E_NS1_11comp_targetILNS1_3genE0ELNS1_11target_archE4294967295ELNS1_3gpuE0ELNS1_3repE0EEENS1_30default_config_static_selectorELNS0_4arch9wavefront6targetE1EEEvT1_
    .private_segment_fixed_size: 0
    .sgpr_count:     28
    .sgpr_spill_count: 0
    .symbol:         _ZN7rocprim17ROCPRIM_400000_NS6detail17trampoline_kernelINS0_14default_configENS1_35adjacent_difference_config_selectorILb0ElEEZNS1_24adjacent_difference_implIS3_Lb0ELb0EPlS7_N6thrust23THRUST_200600_302600_NS5minusIlEEEE10hipError_tPvRmT2_T3_mT4_P12ihipStream_tbEUlT_E_NS1_11comp_targetILNS1_3genE0ELNS1_11target_archE4294967295ELNS1_3gpuE0ELNS1_3repE0EEENS1_30default_config_static_selectorELNS0_4arch9wavefront6targetE1EEEvT1_.kd
    .uniform_work_group_size: 1
    .uses_dynamic_stack: false
    .vgpr_count:     6
    .vgpr_spill_count: 0
    .wavefront_size: 64
  - .agpr_count:     0
    .args:
      - .offset:         0
        .size:           56
        .value_kind:     by_value
    .group_segment_fixed_size: 0
    .kernarg_segment_align: 8
    .kernarg_segment_size: 56
    .language:       OpenCL C
    .language_version:
      - 2
      - 0
    .max_flat_workgroup_size: 128
    .name:           _ZN7rocprim17ROCPRIM_400000_NS6detail17trampoline_kernelINS0_14default_configENS1_35adjacent_difference_config_selectorILb0ElEEZNS1_24adjacent_difference_implIS3_Lb0ELb0EPlS7_N6thrust23THRUST_200600_302600_NS5minusIlEEEE10hipError_tPvRmT2_T3_mT4_P12ihipStream_tbEUlT_E_NS1_11comp_targetILNS1_3genE10ELNS1_11target_archE1201ELNS1_3gpuE5ELNS1_3repE0EEENS1_30default_config_static_selectorELNS0_4arch9wavefront6targetE1EEEvT1_
    .private_segment_fixed_size: 0
    .sgpr_count:     6
    .sgpr_spill_count: 0
    .symbol:         _ZN7rocprim17ROCPRIM_400000_NS6detail17trampoline_kernelINS0_14default_configENS1_35adjacent_difference_config_selectorILb0ElEEZNS1_24adjacent_difference_implIS3_Lb0ELb0EPlS7_N6thrust23THRUST_200600_302600_NS5minusIlEEEE10hipError_tPvRmT2_T3_mT4_P12ihipStream_tbEUlT_E_NS1_11comp_targetILNS1_3genE10ELNS1_11target_archE1201ELNS1_3gpuE5ELNS1_3repE0EEENS1_30default_config_static_selectorELNS0_4arch9wavefront6targetE1EEEvT1_.kd
    .uniform_work_group_size: 1
    .uses_dynamic_stack: false
    .vgpr_count:     0
    .vgpr_spill_count: 0
    .wavefront_size: 64
  - .agpr_count:     0
    .args:
      - .offset:         0
        .size:           56
        .value_kind:     by_value
    .group_segment_fixed_size: 0
    .kernarg_segment_align: 8
    .kernarg_segment_size: 56
    .language:       OpenCL C
    .language_version:
      - 2
      - 0
    .max_flat_workgroup_size: 64
    .name:           _ZN7rocprim17ROCPRIM_400000_NS6detail17trampoline_kernelINS0_14default_configENS1_35adjacent_difference_config_selectorILb0ElEEZNS1_24adjacent_difference_implIS3_Lb0ELb0EPlS7_N6thrust23THRUST_200600_302600_NS5minusIlEEEE10hipError_tPvRmT2_T3_mT4_P12ihipStream_tbEUlT_E_NS1_11comp_targetILNS1_3genE5ELNS1_11target_archE942ELNS1_3gpuE9ELNS1_3repE0EEENS1_30default_config_static_selectorELNS0_4arch9wavefront6targetE1EEEvT1_
    .private_segment_fixed_size: 0
    .sgpr_count:     6
    .sgpr_spill_count: 0
    .symbol:         _ZN7rocprim17ROCPRIM_400000_NS6detail17trampoline_kernelINS0_14default_configENS1_35adjacent_difference_config_selectorILb0ElEEZNS1_24adjacent_difference_implIS3_Lb0ELb0EPlS7_N6thrust23THRUST_200600_302600_NS5minusIlEEEE10hipError_tPvRmT2_T3_mT4_P12ihipStream_tbEUlT_E_NS1_11comp_targetILNS1_3genE5ELNS1_11target_archE942ELNS1_3gpuE9ELNS1_3repE0EEENS1_30default_config_static_selectorELNS0_4arch9wavefront6targetE1EEEvT1_.kd
    .uniform_work_group_size: 1
    .uses_dynamic_stack: false
    .vgpr_count:     0
    .vgpr_spill_count: 0
    .wavefront_size: 64
  - .agpr_count:     0
    .args:
      - .offset:         0
        .size:           56
        .value_kind:     by_value
    .group_segment_fixed_size: 0
    .kernarg_segment_align: 8
    .kernarg_segment_size: 56
    .language:       OpenCL C
    .language_version:
      - 2
      - 0
    .max_flat_workgroup_size: 256
    .name:           _ZN7rocprim17ROCPRIM_400000_NS6detail17trampoline_kernelINS0_14default_configENS1_35adjacent_difference_config_selectorILb0ElEEZNS1_24adjacent_difference_implIS3_Lb0ELb0EPlS7_N6thrust23THRUST_200600_302600_NS5minusIlEEEE10hipError_tPvRmT2_T3_mT4_P12ihipStream_tbEUlT_E_NS1_11comp_targetILNS1_3genE4ELNS1_11target_archE910ELNS1_3gpuE8ELNS1_3repE0EEENS1_30default_config_static_selectorELNS0_4arch9wavefront6targetE1EEEvT1_
    .private_segment_fixed_size: 0
    .sgpr_count:     6
    .sgpr_spill_count: 0
    .symbol:         _ZN7rocprim17ROCPRIM_400000_NS6detail17trampoline_kernelINS0_14default_configENS1_35adjacent_difference_config_selectorILb0ElEEZNS1_24adjacent_difference_implIS3_Lb0ELb0EPlS7_N6thrust23THRUST_200600_302600_NS5minusIlEEEE10hipError_tPvRmT2_T3_mT4_P12ihipStream_tbEUlT_E_NS1_11comp_targetILNS1_3genE4ELNS1_11target_archE910ELNS1_3gpuE8ELNS1_3repE0EEENS1_30default_config_static_selectorELNS0_4arch9wavefront6targetE1EEEvT1_.kd
    .uniform_work_group_size: 1
    .uses_dynamic_stack: false
    .vgpr_count:     0
    .vgpr_spill_count: 0
    .wavefront_size: 64
  - .agpr_count:     0
    .args:
      - .offset:         0
        .size:           56
        .value_kind:     by_value
    .group_segment_fixed_size: 0
    .kernarg_segment_align: 8
    .kernarg_segment_size: 56
    .language:       OpenCL C
    .language_version:
      - 2
      - 0
    .max_flat_workgroup_size: 128
    .name:           _ZN7rocprim17ROCPRIM_400000_NS6detail17trampoline_kernelINS0_14default_configENS1_35adjacent_difference_config_selectorILb0ElEEZNS1_24adjacent_difference_implIS3_Lb0ELb0EPlS7_N6thrust23THRUST_200600_302600_NS5minusIlEEEE10hipError_tPvRmT2_T3_mT4_P12ihipStream_tbEUlT_E_NS1_11comp_targetILNS1_3genE3ELNS1_11target_archE908ELNS1_3gpuE7ELNS1_3repE0EEENS1_30default_config_static_selectorELNS0_4arch9wavefront6targetE1EEEvT1_
    .private_segment_fixed_size: 0
    .sgpr_count:     6
    .sgpr_spill_count: 0
    .symbol:         _ZN7rocprim17ROCPRIM_400000_NS6detail17trampoline_kernelINS0_14default_configENS1_35adjacent_difference_config_selectorILb0ElEEZNS1_24adjacent_difference_implIS3_Lb0ELb0EPlS7_N6thrust23THRUST_200600_302600_NS5minusIlEEEE10hipError_tPvRmT2_T3_mT4_P12ihipStream_tbEUlT_E_NS1_11comp_targetILNS1_3genE3ELNS1_11target_archE908ELNS1_3gpuE7ELNS1_3repE0EEENS1_30default_config_static_selectorELNS0_4arch9wavefront6targetE1EEEvT1_.kd
    .uniform_work_group_size: 1
    .uses_dynamic_stack: false
    .vgpr_count:     0
    .vgpr_spill_count: 0
    .wavefront_size: 64
  - .agpr_count:     0
    .args:
      - .offset:         0
        .size:           56
        .value_kind:     by_value
    .group_segment_fixed_size: 0
    .kernarg_segment_align: 8
    .kernarg_segment_size: 56
    .language:       OpenCL C
    .language_version:
      - 2
      - 0
    .max_flat_workgroup_size: 128
    .name:           _ZN7rocprim17ROCPRIM_400000_NS6detail17trampoline_kernelINS0_14default_configENS1_35adjacent_difference_config_selectorILb0ElEEZNS1_24adjacent_difference_implIS3_Lb0ELb0EPlS7_N6thrust23THRUST_200600_302600_NS5minusIlEEEE10hipError_tPvRmT2_T3_mT4_P12ihipStream_tbEUlT_E_NS1_11comp_targetILNS1_3genE2ELNS1_11target_archE906ELNS1_3gpuE6ELNS1_3repE0EEENS1_30default_config_static_selectorELNS0_4arch9wavefront6targetE1EEEvT1_
    .private_segment_fixed_size: 0
    .sgpr_count:     6
    .sgpr_spill_count: 0
    .symbol:         _ZN7rocprim17ROCPRIM_400000_NS6detail17trampoline_kernelINS0_14default_configENS1_35adjacent_difference_config_selectorILb0ElEEZNS1_24adjacent_difference_implIS3_Lb0ELb0EPlS7_N6thrust23THRUST_200600_302600_NS5minusIlEEEE10hipError_tPvRmT2_T3_mT4_P12ihipStream_tbEUlT_E_NS1_11comp_targetILNS1_3genE2ELNS1_11target_archE906ELNS1_3gpuE6ELNS1_3repE0EEENS1_30default_config_static_selectorELNS0_4arch9wavefront6targetE1EEEvT1_.kd
    .uniform_work_group_size: 1
    .uses_dynamic_stack: false
    .vgpr_count:     0
    .vgpr_spill_count: 0
    .wavefront_size: 64
  - .agpr_count:     0
    .args:
      - .offset:         0
        .size:           56
        .value_kind:     by_value
    .group_segment_fixed_size: 0
    .kernarg_segment_align: 8
    .kernarg_segment_size: 56
    .language:       OpenCL C
    .language_version:
      - 2
      - 0
    .max_flat_workgroup_size: 512
    .name:           _ZN7rocprim17ROCPRIM_400000_NS6detail17trampoline_kernelINS0_14default_configENS1_35adjacent_difference_config_selectorILb0ElEEZNS1_24adjacent_difference_implIS3_Lb0ELb0EPlS7_N6thrust23THRUST_200600_302600_NS5minusIlEEEE10hipError_tPvRmT2_T3_mT4_P12ihipStream_tbEUlT_E_NS1_11comp_targetILNS1_3genE9ELNS1_11target_archE1100ELNS1_3gpuE3ELNS1_3repE0EEENS1_30default_config_static_selectorELNS0_4arch9wavefront6targetE1EEEvT1_
    .private_segment_fixed_size: 0
    .sgpr_count:     6
    .sgpr_spill_count: 0
    .symbol:         _ZN7rocprim17ROCPRIM_400000_NS6detail17trampoline_kernelINS0_14default_configENS1_35adjacent_difference_config_selectorILb0ElEEZNS1_24adjacent_difference_implIS3_Lb0ELb0EPlS7_N6thrust23THRUST_200600_302600_NS5minusIlEEEE10hipError_tPvRmT2_T3_mT4_P12ihipStream_tbEUlT_E_NS1_11comp_targetILNS1_3genE9ELNS1_11target_archE1100ELNS1_3gpuE3ELNS1_3repE0EEENS1_30default_config_static_selectorELNS0_4arch9wavefront6targetE1EEEvT1_.kd
    .uniform_work_group_size: 1
    .uses_dynamic_stack: false
    .vgpr_count:     0
    .vgpr_spill_count: 0
    .wavefront_size: 64
  - .agpr_count:     0
    .args:
      - .offset:         0
        .size:           56
        .value_kind:     by_value
    .group_segment_fixed_size: 0
    .kernarg_segment_align: 8
    .kernarg_segment_size: 56
    .language:       OpenCL C
    .language_version:
      - 2
      - 0
    .max_flat_workgroup_size: 1024
    .name:           _ZN7rocprim17ROCPRIM_400000_NS6detail17trampoline_kernelINS0_14default_configENS1_35adjacent_difference_config_selectorILb0ElEEZNS1_24adjacent_difference_implIS3_Lb0ELb0EPlS7_N6thrust23THRUST_200600_302600_NS5minusIlEEEE10hipError_tPvRmT2_T3_mT4_P12ihipStream_tbEUlT_E_NS1_11comp_targetILNS1_3genE8ELNS1_11target_archE1030ELNS1_3gpuE2ELNS1_3repE0EEENS1_30default_config_static_selectorELNS0_4arch9wavefront6targetE1EEEvT1_
    .private_segment_fixed_size: 0
    .sgpr_count:     6
    .sgpr_spill_count: 0
    .symbol:         _ZN7rocprim17ROCPRIM_400000_NS6detail17trampoline_kernelINS0_14default_configENS1_35adjacent_difference_config_selectorILb0ElEEZNS1_24adjacent_difference_implIS3_Lb0ELb0EPlS7_N6thrust23THRUST_200600_302600_NS5minusIlEEEE10hipError_tPvRmT2_T3_mT4_P12ihipStream_tbEUlT_E_NS1_11comp_targetILNS1_3genE8ELNS1_11target_archE1030ELNS1_3gpuE2ELNS1_3repE0EEENS1_30default_config_static_selectorELNS0_4arch9wavefront6targetE1EEEvT1_.kd
    .uniform_work_group_size: 1
    .uses_dynamic_stack: false
    .vgpr_count:     0
    .vgpr_spill_count: 0
    .wavefront_size: 64
  - .agpr_count:     0
    .args:
      - .offset:         0
        .size:           56
        .value_kind:     by_value
      - .offset:         56
        .size:           4
        .value_kind:     hidden_block_count_x
      - .offset:         60
        .size:           4
        .value_kind:     hidden_block_count_y
      - .offset:         64
        .size:           4
        .value_kind:     hidden_block_count_z
      - .offset:         68
        .size:           2
        .value_kind:     hidden_group_size_x
      - .offset:         70
        .size:           2
        .value_kind:     hidden_group_size_y
      - .offset:         72
        .size:           2
        .value_kind:     hidden_group_size_z
      - .offset:         74
        .size:           2
        .value_kind:     hidden_remainder_x
      - .offset:         76
        .size:           2
        .value_kind:     hidden_remainder_y
      - .offset:         78
        .size:           2
        .value_kind:     hidden_remainder_z
      - .offset:         96
        .size:           8
        .value_kind:     hidden_global_offset_x
      - .offset:         104
        .size:           8
        .value_kind:     hidden_global_offset_y
      - .offset:         112
        .size:           8
        .value_kind:     hidden_global_offset_z
      - .offset:         120
        .size:           2
        .value_kind:     hidden_grid_dims
    .group_segment_fixed_size: 0
    .kernarg_segment_align: 8
    .kernarg_segment_size: 312
    .language:       OpenCL C
    .language_version:
      - 2
      - 0
    .max_flat_workgroup_size: 128
    .name:           _ZN7rocprim17ROCPRIM_400000_NS6detail17trampoline_kernelINS0_14default_configENS1_25transform_config_selectorIlLb0EEEZNS1_14transform_implILb0ES3_S5_NS0_18transform_iteratorINS0_17counting_iteratorImlEEZNS1_24adjacent_difference_implIS3_Lb1ELb0EPlSB_N6thrust23THRUST_200600_302600_NS5minusIlEEEE10hipError_tPvRmT2_T3_mT4_P12ihipStream_tbEUlmE_lEESB_NS0_8identityIvEEEESG_SJ_SK_mSL_SN_bEUlT_E_NS1_11comp_targetILNS1_3genE0ELNS1_11target_archE4294967295ELNS1_3gpuE0ELNS1_3repE0EEENS1_30default_config_static_selectorELNS0_4arch9wavefront6targetE1EEEvT1_
    .private_segment_fixed_size: 0
    .sgpr_count:     18
    .sgpr_spill_count: 0
    .symbol:         _ZN7rocprim17ROCPRIM_400000_NS6detail17trampoline_kernelINS0_14default_configENS1_25transform_config_selectorIlLb0EEEZNS1_14transform_implILb0ES3_S5_NS0_18transform_iteratorINS0_17counting_iteratorImlEEZNS1_24adjacent_difference_implIS3_Lb1ELb0EPlSB_N6thrust23THRUST_200600_302600_NS5minusIlEEEE10hipError_tPvRmT2_T3_mT4_P12ihipStream_tbEUlmE_lEESB_NS0_8identityIvEEEESG_SJ_SK_mSL_SN_bEUlT_E_NS1_11comp_targetILNS1_3genE0ELNS1_11target_archE4294967295ELNS1_3gpuE0ELNS1_3repE0EEENS1_30default_config_static_selectorELNS0_4arch9wavefront6targetE1EEEvT1_.kd
    .uniform_work_group_size: 1
    .uses_dynamic_stack: false
    .vgpr_count:     8
    .vgpr_spill_count: 0
    .wavefront_size: 64
  - .agpr_count:     0
    .args:
      - .offset:         0
        .size:           56
        .value_kind:     by_value
    .group_segment_fixed_size: 0
    .kernarg_segment_align: 8
    .kernarg_segment_size: 56
    .language:       OpenCL C
    .language_version:
      - 2
      - 0
    .max_flat_workgroup_size: 512
    .name:           _ZN7rocprim17ROCPRIM_400000_NS6detail17trampoline_kernelINS0_14default_configENS1_25transform_config_selectorIlLb0EEEZNS1_14transform_implILb0ES3_S5_NS0_18transform_iteratorINS0_17counting_iteratorImlEEZNS1_24adjacent_difference_implIS3_Lb1ELb0EPlSB_N6thrust23THRUST_200600_302600_NS5minusIlEEEE10hipError_tPvRmT2_T3_mT4_P12ihipStream_tbEUlmE_lEESB_NS0_8identityIvEEEESG_SJ_SK_mSL_SN_bEUlT_E_NS1_11comp_targetILNS1_3genE5ELNS1_11target_archE942ELNS1_3gpuE9ELNS1_3repE0EEENS1_30default_config_static_selectorELNS0_4arch9wavefront6targetE1EEEvT1_
    .private_segment_fixed_size: 0
    .sgpr_count:     6
    .sgpr_spill_count: 0
    .symbol:         _ZN7rocprim17ROCPRIM_400000_NS6detail17trampoline_kernelINS0_14default_configENS1_25transform_config_selectorIlLb0EEEZNS1_14transform_implILb0ES3_S5_NS0_18transform_iteratorINS0_17counting_iteratorImlEEZNS1_24adjacent_difference_implIS3_Lb1ELb0EPlSB_N6thrust23THRUST_200600_302600_NS5minusIlEEEE10hipError_tPvRmT2_T3_mT4_P12ihipStream_tbEUlmE_lEESB_NS0_8identityIvEEEESG_SJ_SK_mSL_SN_bEUlT_E_NS1_11comp_targetILNS1_3genE5ELNS1_11target_archE942ELNS1_3gpuE9ELNS1_3repE0EEENS1_30default_config_static_selectorELNS0_4arch9wavefront6targetE1EEEvT1_.kd
    .uniform_work_group_size: 1
    .uses_dynamic_stack: false
    .vgpr_count:     0
    .vgpr_spill_count: 0
    .wavefront_size: 64
  - .agpr_count:     0
    .args:
      - .offset:         0
        .size:           56
        .value_kind:     by_value
    .group_segment_fixed_size: 0
    .kernarg_segment_align: 8
    .kernarg_segment_size: 56
    .language:       OpenCL C
    .language_version:
      - 2
      - 0
    .max_flat_workgroup_size: 256
    .name:           _ZN7rocprim17ROCPRIM_400000_NS6detail17trampoline_kernelINS0_14default_configENS1_25transform_config_selectorIlLb0EEEZNS1_14transform_implILb0ES3_S5_NS0_18transform_iteratorINS0_17counting_iteratorImlEEZNS1_24adjacent_difference_implIS3_Lb1ELb0EPlSB_N6thrust23THRUST_200600_302600_NS5minusIlEEEE10hipError_tPvRmT2_T3_mT4_P12ihipStream_tbEUlmE_lEESB_NS0_8identityIvEEEESG_SJ_SK_mSL_SN_bEUlT_E_NS1_11comp_targetILNS1_3genE4ELNS1_11target_archE910ELNS1_3gpuE8ELNS1_3repE0EEENS1_30default_config_static_selectorELNS0_4arch9wavefront6targetE1EEEvT1_
    .private_segment_fixed_size: 0
    .sgpr_count:     6
    .sgpr_spill_count: 0
    .symbol:         _ZN7rocprim17ROCPRIM_400000_NS6detail17trampoline_kernelINS0_14default_configENS1_25transform_config_selectorIlLb0EEEZNS1_14transform_implILb0ES3_S5_NS0_18transform_iteratorINS0_17counting_iteratorImlEEZNS1_24adjacent_difference_implIS3_Lb1ELb0EPlSB_N6thrust23THRUST_200600_302600_NS5minusIlEEEE10hipError_tPvRmT2_T3_mT4_P12ihipStream_tbEUlmE_lEESB_NS0_8identityIvEEEESG_SJ_SK_mSL_SN_bEUlT_E_NS1_11comp_targetILNS1_3genE4ELNS1_11target_archE910ELNS1_3gpuE8ELNS1_3repE0EEENS1_30default_config_static_selectorELNS0_4arch9wavefront6targetE1EEEvT1_.kd
    .uniform_work_group_size: 1
    .uses_dynamic_stack: false
    .vgpr_count:     0
    .vgpr_spill_count: 0
    .wavefront_size: 64
  - .agpr_count:     0
    .args:
      - .offset:         0
        .size:           56
        .value_kind:     by_value
    .group_segment_fixed_size: 0
    .kernarg_segment_align: 8
    .kernarg_segment_size: 56
    .language:       OpenCL C
    .language_version:
      - 2
      - 0
    .max_flat_workgroup_size: 128
    .name:           _ZN7rocprim17ROCPRIM_400000_NS6detail17trampoline_kernelINS0_14default_configENS1_25transform_config_selectorIlLb0EEEZNS1_14transform_implILb0ES3_S5_NS0_18transform_iteratorINS0_17counting_iteratorImlEEZNS1_24adjacent_difference_implIS3_Lb1ELb0EPlSB_N6thrust23THRUST_200600_302600_NS5minusIlEEEE10hipError_tPvRmT2_T3_mT4_P12ihipStream_tbEUlmE_lEESB_NS0_8identityIvEEEESG_SJ_SK_mSL_SN_bEUlT_E_NS1_11comp_targetILNS1_3genE3ELNS1_11target_archE908ELNS1_3gpuE7ELNS1_3repE0EEENS1_30default_config_static_selectorELNS0_4arch9wavefront6targetE1EEEvT1_
    .private_segment_fixed_size: 0
    .sgpr_count:     6
    .sgpr_spill_count: 0
    .symbol:         _ZN7rocprim17ROCPRIM_400000_NS6detail17trampoline_kernelINS0_14default_configENS1_25transform_config_selectorIlLb0EEEZNS1_14transform_implILb0ES3_S5_NS0_18transform_iteratorINS0_17counting_iteratorImlEEZNS1_24adjacent_difference_implIS3_Lb1ELb0EPlSB_N6thrust23THRUST_200600_302600_NS5minusIlEEEE10hipError_tPvRmT2_T3_mT4_P12ihipStream_tbEUlmE_lEESB_NS0_8identityIvEEEESG_SJ_SK_mSL_SN_bEUlT_E_NS1_11comp_targetILNS1_3genE3ELNS1_11target_archE908ELNS1_3gpuE7ELNS1_3repE0EEENS1_30default_config_static_selectorELNS0_4arch9wavefront6targetE1EEEvT1_.kd
    .uniform_work_group_size: 1
    .uses_dynamic_stack: false
    .vgpr_count:     0
    .vgpr_spill_count: 0
    .wavefront_size: 64
  - .agpr_count:     0
    .args:
      - .offset:         0
        .size:           56
        .value_kind:     by_value
    .group_segment_fixed_size: 0
    .kernarg_segment_align: 8
    .kernarg_segment_size: 56
    .language:       OpenCL C
    .language_version:
      - 2
      - 0
    .max_flat_workgroup_size: 512
    .name:           _ZN7rocprim17ROCPRIM_400000_NS6detail17trampoline_kernelINS0_14default_configENS1_25transform_config_selectorIlLb0EEEZNS1_14transform_implILb0ES3_S5_NS0_18transform_iteratorINS0_17counting_iteratorImlEEZNS1_24adjacent_difference_implIS3_Lb1ELb0EPlSB_N6thrust23THRUST_200600_302600_NS5minusIlEEEE10hipError_tPvRmT2_T3_mT4_P12ihipStream_tbEUlmE_lEESB_NS0_8identityIvEEEESG_SJ_SK_mSL_SN_bEUlT_E_NS1_11comp_targetILNS1_3genE2ELNS1_11target_archE906ELNS1_3gpuE6ELNS1_3repE0EEENS1_30default_config_static_selectorELNS0_4arch9wavefront6targetE1EEEvT1_
    .private_segment_fixed_size: 0
    .sgpr_count:     6
    .sgpr_spill_count: 0
    .symbol:         _ZN7rocprim17ROCPRIM_400000_NS6detail17trampoline_kernelINS0_14default_configENS1_25transform_config_selectorIlLb0EEEZNS1_14transform_implILb0ES3_S5_NS0_18transform_iteratorINS0_17counting_iteratorImlEEZNS1_24adjacent_difference_implIS3_Lb1ELb0EPlSB_N6thrust23THRUST_200600_302600_NS5minusIlEEEE10hipError_tPvRmT2_T3_mT4_P12ihipStream_tbEUlmE_lEESB_NS0_8identityIvEEEESG_SJ_SK_mSL_SN_bEUlT_E_NS1_11comp_targetILNS1_3genE2ELNS1_11target_archE906ELNS1_3gpuE6ELNS1_3repE0EEENS1_30default_config_static_selectorELNS0_4arch9wavefront6targetE1EEEvT1_.kd
    .uniform_work_group_size: 1
    .uses_dynamic_stack: false
    .vgpr_count:     0
    .vgpr_spill_count: 0
    .wavefront_size: 64
  - .agpr_count:     0
    .args:
      - .offset:         0
        .size:           56
        .value_kind:     by_value
    .group_segment_fixed_size: 0
    .kernarg_segment_align: 8
    .kernarg_segment_size: 56
    .language:       OpenCL C
    .language_version:
      - 2
      - 0
    .max_flat_workgroup_size: 1024
    .name:           _ZN7rocprim17ROCPRIM_400000_NS6detail17trampoline_kernelINS0_14default_configENS1_25transform_config_selectorIlLb0EEEZNS1_14transform_implILb0ES3_S5_NS0_18transform_iteratorINS0_17counting_iteratorImlEEZNS1_24adjacent_difference_implIS3_Lb1ELb0EPlSB_N6thrust23THRUST_200600_302600_NS5minusIlEEEE10hipError_tPvRmT2_T3_mT4_P12ihipStream_tbEUlmE_lEESB_NS0_8identityIvEEEESG_SJ_SK_mSL_SN_bEUlT_E_NS1_11comp_targetILNS1_3genE10ELNS1_11target_archE1201ELNS1_3gpuE5ELNS1_3repE0EEENS1_30default_config_static_selectorELNS0_4arch9wavefront6targetE1EEEvT1_
    .private_segment_fixed_size: 0
    .sgpr_count:     6
    .sgpr_spill_count: 0
    .symbol:         _ZN7rocprim17ROCPRIM_400000_NS6detail17trampoline_kernelINS0_14default_configENS1_25transform_config_selectorIlLb0EEEZNS1_14transform_implILb0ES3_S5_NS0_18transform_iteratorINS0_17counting_iteratorImlEEZNS1_24adjacent_difference_implIS3_Lb1ELb0EPlSB_N6thrust23THRUST_200600_302600_NS5minusIlEEEE10hipError_tPvRmT2_T3_mT4_P12ihipStream_tbEUlmE_lEESB_NS0_8identityIvEEEESG_SJ_SK_mSL_SN_bEUlT_E_NS1_11comp_targetILNS1_3genE10ELNS1_11target_archE1201ELNS1_3gpuE5ELNS1_3repE0EEENS1_30default_config_static_selectorELNS0_4arch9wavefront6targetE1EEEvT1_.kd
    .uniform_work_group_size: 1
    .uses_dynamic_stack: false
    .vgpr_count:     0
    .vgpr_spill_count: 0
    .wavefront_size: 64
  - .agpr_count:     0
    .args:
      - .offset:         0
        .size:           56
        .value_kind:     by_value
    .group_segment_fixed_size: 0
    .kernarg_segment_align: 8
    .kernarg_segment_size: 56
    .language:       OpenCL C
    .language_version:
      - 2
      - 0
    .max_flat_workgroup_size: 512
    .name:           _ZN7rocprim17ROCPRIM_400000_NS6detail17trampoline_kernelINS0_14default_configENS1_25transform_config_selectorIlLb0EEEZNS1_14transform_implILb0ES3_S5_NS0_18transform_iteratorINS0_17counting_iteratorImlEEZNS1_24adjacent_difference_implIS3_Lb1ELb0EPlSB_N6thrust23THRUST_200600_302600_NS5minusIlEEEE10hipError_tPvRmT2_T3_mT4_P12ihipStream_tbEUlmE_lEESB_NS0_8identityIvEEEESG_SJ_SK_mSL_SN_bEUlT_E_NS1_11comp_targetILNS1_3genE10ELNS1_11target_archE1200ELNS1_3gpuE4ELNS1_3repE0EEENS1_30default_config_static_selectorELNS0_4arch9wavefront6targetE1EEEvT1_
    .private_segment_fixed_size: 0
    .sgpr_count:     6
    .sgpr_spill_count: 0
    .symbol:         _ZN7rocprim17ROCPRIM_400000_NS6detail17trampoline_kernelINS0_14default_configENS1_25transform_config_selectorIlLb0EEEZNS1_14transform_implILb0ES3_S5_NS0_18transform_iteratorINS0_17counting_iteratorImlEEZNS1_24adjacent_difference_implIS3_Lb1ELb0EPlSB_N6thrust23THRUST_200600_302600_NS5minusIlEEEE10hipError_tPvRmT2_T3_mT4_P12ihipStream_tbEUlmE_lEESB_NS0_8identityIvEEEESG_SJ_SK_mSL_SN_bEUlT_E_NS1_11comp_targetILNS1_3genE10ELNS1_11target_archE1200ELNS1_3gpuE4ELNS1_3repE0EEENS1_30default_config_static_selectorELNS0_4arch9wavefront6targetE1EEEvT1_.kd
    .uniform_work_group_size: 1
    .uses_dynamic_stack: false
    .vgpr_count:     0
    .vgpr_spill_count: 0
    .wavefront_size: 64
  - .agpr_count:     0
    .args:
      - .offset:         0
        .size:           56
        .value_kind:     by_value
    .group_segment_fixed_size: 0
    .kernarg_segment_align: 8
    .kernarg_segment_size: 56
    .language:       OpenCL C
    .language_version:
      - 2
      - 0
    .max_flat_workgroup_size: 512
    .name:           _ZN7rocprim17ROCPRIM_400000_NS6detail17trampoline_kernelINS0_14default_configENS1_25transform_config_selectorIlLb0EEEZNS1_14transform_implILb0ES3_S5_NS0_18transform_iteratorINS0_17counting_iteratorImlEEZNS1_24adjacent_difference_implIS3_Lb1ELb0EPlSB_N6thrust23THRUST_200600_302600_NS5minusIlEEEE10hipError_tPvRmT2_T3_mT4_P12ihipStream_tbEUlmE_lEESB_NS0_8identityIvEEEESG_SJ_SK_mSL_SN_bEUlT_E_NS1_11comp_targetILNS1_3genE9ELNS1_11target_archE1100ELNS1_3gpuE3ELNS1_3repE0EEENS1_30default_config_static_selectorELNS0_4arch9wavefront6targetE1EEEvT1_
    .private_segment_fixed_size: 0
    .sgpr_count:     6
    .sgpr_spill_count: 0
    .symbol:         _ZN7rocprim17ROCPRIM_400000_NS6detail17trampoline_kernelINS0_14default_configENS1_25transform_config_selectorIlLb0EEEZNS1_14transform_implILb0ES3_S5_NS0_18transform_iteratorINS0_17counting_iteratorImlEEZNS1_24adjacent_difference_implIS3_Lb1ELb0EPlSB_N6thrust23THRUST_200600_302600_NS5minusIlEEEE10hipError_tPvRmT2_T3_mT4_P12ihipStream_tbEUlmE_lEESB_NS0_8identityIvEEEESG_SJ_SK_mSL_SN_bEUlT_E_NS1_11comp_targetILNS1_3genE9ELNS1_11target_archE1100ELNS1_3gpuE3ELNS1_3repE0EEENS1_30default_config_static_selectorELNS0_4arch9wavefront6targetE1EEEvT1_.kd
    .uniform_work_group_size: 1
    .uses_dynamic_stack: false
    .vgpr_count:     0
    .vgpr_spill_count: 0
    .wavefront_size: 64
  - .agpr_count:     0
    .args:
      - .offset:         0
        .size:           56
        .value_kind:     by_value
    .group_segment_fixed_size: 0
    .kernarg_segment_align: 8
    .kernarg_segment_size: 56
    .language:       OpenCL C
    .language_version:
      - 2
      - 0
    .max_flat_workgroup_size: 512
    .name:           _ZN7rocprim17ROCPRIM_400000_NS6detail17trampoline_kernelINS0_14default_configENS1_25transform_config_selectorIlLb0EEEZNS1_14transform_implILb0ES3_S5_NS0_18transform_iteratorINS0_17counting_iteratorImlEEZNS1_24adjacent_difference_implIS3_Lb1ELb0EPlSB_N6thrust23THRUST_200600_302600_NS5minusIlEEEE10hipError_tPvRmT2_T3_mT4_P12ihipStream_tbEUlmE_lEESB_NS0_8identityIvEEEESG_SJ_SK_mSL_SN_bEUlT_E_NS1_11comp_targetILNS1_3genE8ELNS1_11target_archE1030ELNS1_3gpuE2ELNS1_3repE0EEENS1_30default_config_static_selectorELNS0_4arch9wavefront6targetE1EEEvT1_
    .private_segment_fixed_size: 0
    .sgpr_count:     6
    .sgpr_spill_count: 0
    .symbol:         _ZN7rocprim17ROCPRIM_400000_NS6detail17trampoline_kernelINS0_14default_configENS1_25transform_config_selectorIlLb0EEEZNS1_14transform_implILb0ES3_S5_NS0_18transform_iteratorINS0_17counting_iteratorImlEEZNS1_24adjacent_difference_implIS3_Lb1ELb0EPlSB_N6thrust23THRUST_200600_302600_NS5minusIlEEEE10hipError_tPvRmT2_T3_mT4_P12ihipStream_tbEUlmE_lEESB_NS0_8identityIvEEEESG_SJ_SK_mSL_SN_bEUlT_E_NS1_11comp_targetILNS1_3genE8ELNS1_11target_archE1030ELNS1_3gpuE2ELNS1_3repE0EEENS1_30default_config_static_selectorELNS0_4arch9wavefront6targetE1EEEvT1_.kd
    .uniform_work_group_size: 1
    .uses_dynamic_stack: false
    .vgpr_count:     0
    .vgpr_spill_count: 0
    .wavefront_size: 64
  - .agpr_count:     0
    .args:
      - .offset:         0
        .size:           56
        .value_kind:     by_value
    .group_segment_fixed_size: 8448
    .kernarg_segment_align: 8
    .kernarg_segment_size: 56
    .language:       OpenCL C
    .language_version:
      - 2
      - 0
    .max_flat_workgroup_size: 512
    .name:           _ZN7rocprim17ROCPRIM_400000_NS6detail17trampoline_kernelINS0_14default_configENS1_35adjacent_difference_config_selectorILb1ElEEZNS1_24adjacent_difference_implIS3_Lb1ELb0EPlS7_N6thrust23THRUST_200600_302600_NS5minusIlEEEE10hipError_tPvRmT2_T3_mT4_P12ihipStream_tbEUlT_E_NS1_11comp_targetILNS1_3genE0ELNS1_11target_archE4294967295ELNS1_3gpuE0ELNS1_3repE0EEENS1_30default_config_static_selectorELNS0_4arch9wavefront6targetE1EEEvT1_
    .private_segment_fixed_size: 0
    .sgpr_count:     34
    .sgpr_spill_count: 0
    .symbol:         _ZN7rocprim17ROCPRIM_400000_NS6detail17trampoline_kernelINS0_14default_configENS1_35adjacent_difference_config_selectorILb1ElEEZNS1_24adjacent_difference_implIS3_Lb1ELb0EPlS7_N6thrust23THRUST_200600_302600_NS5minusIlEEEE10hipError_tPvRmT2_T3_mT4_P12ihipStream_tbEUlT_E_NS1_11comp_targetILNS1_3genE0ELNS1_11target_archE4294967295ELNS1_3gpuE0ELNS1_3repE0EEENS1_30default_config_static_selectorELNS0_4arch9wavefront6targetE1EEEvT1_.kd
    .uniform_work_group_size: 1
    .uses_dynamic_stack: false
    .vgpr_count:     16
    .vgpr_spill_count: 0
    .wavefront_size: 64
  - .agpr_count:     0
    .args:
      - .offset:         0
        .size:           56
        .value_kind:     by_value
    .group_segment_fixed_size: 0
    .kernarg_segment_align: 8
    .kernarg_segment_size: 56
    .language:       OpenCL C
    .language_version:
      - 2
      - 0
    .max_flat_workgroup_size: 32
    .name:           _ZN7rocprim17ROCPRIM_400000_NS6detail17trampoline_kernelINS0_14default_configENS1_35adjacent_difference_config_selectorILb1ElEEZNS1_24adjacent_difference_implIS3_Lb1ELb0EPlS7_N6thrust23THRUST_200600_302600_NS5minusIlEEEE10hipError_tPvRmT2_T3_mT4_P12ihipStream_tbEUlT_E_NS1_11comp_targetILNS1_3genE10ELNS1_11target_archE1201ELNS1_3gpuE5ELNS1_3repE0EEENS1_30default_config_static_selectorELNS0_4arch9wavefront6targetE1EEEvT1_
    .private_segment_fixed_size: 0
    .sgpr_count:     6
    .sgpr_spill_count: 0
    .symbol:         _ZN7rocprim17ROCPRIM_400000_NS6detail17trampoline_kernelINS0_14default_configENS1_35adjacent_difference_config_selectorILb1ElEEZNS1_24adjacent_difference_implIS3_Lb1ELb0EPlS7_N6thrust23THRUST_200600_302600_NS5minusIlEEEE10hipError_tPvRmT2_T3_mT4_P12ihipStream_tbEUlT_E_NS1_11comp_targetILNS1_3genE10ELNS1_11target_archE1201ELNS1_3gpuE5ELNS1_3repE0EEENS1_30default_config_static_selectorELNS0_4arch9wavefront6targetE1EEEvT1_.kd
    .uniform_work_group_size: 1
    .uses_dynamic_stack: false
    .vgpr_count:     0
    .vgpr_spill_count: 0
    .wavefront_size: 64
  - .agpr_count:     0
    .args:
      - .offset:         0
        .size:           56
        .value_kind:     by_value
    .group_segment_fixed_size: 0
    .kernarg_segment_align: 8
    .kernarg_segment_size: 56
    .language:       OpenCL C
    .language_version:
      - 2
      - 0
    .max_flat_workgroup_size: 256
    .name:           _ZN7rocprim17ROCPRIM_400000_NS6detail17trampoline_kernelINS0_14default_configENS1_35adjacent_difference_config_selectorILb1ElEEZNS1_24adjacent_difference_implIS3_Lb1ELb0EPlS7_N6thrust23THRUST_200600_302600_NS5minusIlEEEE10hipError_tPvRmT2_T3_mT4_P12ihipStream_tbEUlT_E_NS1_11comp_targetILNS1_3genE5ELNS1_11target_archE942ELNS1_3gpuE9ELNS1_3repE0EEENS1_30default_config_static_selectorELNS0_4arch9wavefront6targetE1EEEvT1_
    .private_segment_fixed_size: 0
    .sgpr_count:     6
    .sgpr_spill_count: 0
    .symbol:         _ZN7rocprim17ROCPRIM_400000_NS6detail17trampoline_kernelINS0_14default_configENS1_35adjacent_difference_config_selectorILb1ElEEZNS1_24adjacent_difference_implIS3_Lb1ELb0EPlS7_N6thrust23THRUST_200600_302600_NS5minusIlEEEE10hipError_tPvRmT2_T3_mT4_P12ihipStream_tbEUlT_E_NS1_11comp_targetILNS1_3genE5ELNS1_11target_archE942ELNS1_3gpuE9ELNS1_3repE0EEENS1_30default_config_static_selectorELNS0_4arch9wavefront6targetE1EEEvT1_.kd
    .uniform_work_group_size: 1
    .uses_dynamic_stack: false
    .vgpr_count:     0
    .vgpr_spill_count: 0
    .wavefront_size: 64
  - .agpr_count:     0
    .args:
      - .offset:         0
        .size:           56
        .value_kind:     by_value
    .group_segment_fixed_size: 0
    .kernarg_segment_align: 8
    .kernarg_segment_size: 56
    .language:       OpenCL C
    .language_version:
      - 2
      - 0
    .max_flat_workgroup_size: 512
    .name:           _ZN7rocprim17ROCPRIM_400000_NS6detail17trampoline_kernelINS0_14default_configENS1_35adjacent_difference_config_selectorILb1ElEEZNS1_24adjacent_difference_implIS3_Lb1ELb0EPlS7_N6thrust23THRUST_200600_302600_NS5minusIlEEEE10hipError_tPvRmT2_T3_mT4_P12ihipStream_tbEUlT_E_NS1_11comp_targetILNS1_3genE4ELNS1_11target_archE910ELNS1_3gpuE8ELNS1_3repE0EEENS1_30default_config_static_selectorELNS0_4arch9wavefront6targetE1EEEvT1_
    .private_segment_fixed_size: 0
    .sgpr_count:     6
    .sgpr_spill_count: 0
    .symbol:         _ZN7rocprim17ROCPRIM_400000_NS6detail17trampoline_kernelINS0_14default_configENS1_35adjacent_difference_config_selectorILb1ElEEZNS1_24adjacent_difference_implIS3_Lb1ELb0EPlS7_N6thrust23THRUST_200600_302600_NS5minusIlEEEE10hipError_tPvRmT2_T3_mT4_P12ihipStream_tbEUlT_E_NS1_11comp_targetILNS1_3genE4ELNS1_11target_archE910ELNS1_3gpuE8ELNS1_3repE0EEENS1_30default_config_static_selectorELNS0_4arch9wavefront6targetE1EEEvT1_.kd
    .uniform_work_group_size: 1
    .uses_dynamic_stack: false
    .vgpr_count:     0
    .vgpr_spill_count: 0
    .wavefront_size: 64
  - .agpr_count:     0
    .args:
      - .offset:         0
        .size:           56
        .value_kind:     by_value
    .group_segment_fixed_size: 0
    .kernarg_segment_align: 8
    .kernarg_segment_size: 56
    .language:       OpenCL C
    .language_version:
      - 2
      - 0
    .max_flat_workgroup_size: 512
    .name:           _ZN7rocprim17ROCPRIM_400000_NS6detail17trampoline_kernelINS0_14default_configENS1_35adjacent_difference_config_selectorILb1ElEEZNS1_24adjacent_difference_implIS3_Lb1ELb0EPlS7_N6thrust23THRUST_200600_302600_NS5minusIlEEEE10hipError_tPvRmT2_T3_mT4_P12ihipStream_tbEUlT_E_NS1_11comp_targetILNS1_3genE3ELNS1_11target_archE908ELNS1_3gpuE7ELNS1_3repE0EEENS1_30default_config_static_selectorELNS0_4arch9wavefront6targetE1EEEvT1_
    .private_segment_fixed_size: 0
    .sgpr_count:     6
    .sgpr_spill_count: 0
    .symbol:         _ZN7rocprim17ROCPRIM_400000_NS6detail17trampoline_kernelINS0_14default_configENS1_35adjacent_difference_config_selectorILb1ElEEZNS1_24adjacent_difference_implIS3_Lb1ELb0EPlS7_N6thrust23THRUST_200600_302600_NS5minusIlEEEE10hipError_tPvRmT2_T3_mT4_P12ihipStream_tbEUlT_E_NS1_11comp_targetILNS1_3genE3ELNS1_11target_archE908ELNS1_3gpuE7ELNS1_3repE0EEENS1_30default_config_static_selectorELNS0_4arch9wavefront6targetE1EEEvT1_.kd
    .uniform_work_group_size: 1
    .uses_dynamic_stack: false
    .vgpr_count:     0
    .vgpr_spill_count: 0
    .wavefront_size: 64
  - .agpr_count:     0
    .args:
      - .offset:         0
        .size:           56
        .value_kind:     by_value
    .group_segment_fixed_size: 0
    .kernarg_segment_align: 8
    .kernarg_segment_size: 56
    .language:       OpenCL C
    .language_version:
      - 2
      - 0
    .max_flat_workgroup_size: 128
    .name:           _ZN7rocprim17ROCPRIM_400000_NS6detail17trampoline_kernelINS0_14default_configENS1_35adjacent_difference_config_selectorILb1ElEEZNS1_24adjacent_difference_implIS3_Lb1ELb0EPlS7_N6thrust23THRUST_200600_302600_NS5minusIlEEEE10hipError_tPvRmT2_T3_mT4_P12ihipStream_tbEUlT_E_NS1_11comp_targetILNS1_3genE2ELNS1_11target_archE906ELNS1_3gpuE6ELNS1_3repE0EEENS1_30default_config_static_selectorELNS0_4arch9wavefront6targetE1EEEvT1_
    .private_segment_fixed_size: 0
    .sgpr_count:     6
    .sgpr_spill_count: 0
    .symbol:         _ZN7rocprim17ROCPRIM_400000_NS6detail17trampoline_kernelINS0_14default_configENS1_35adjacent_difference_config_selectorILb1ElEEZNS1_24adjacent_difference_implIS3_Lb1ELb0EPlS7_N6thrust23THRUST_200600_302600_NS5minusIlEEEE10hipError_tPvRmT2_T3_mT4_P12ihipStream_tbEUlT_E_NS1_11comp_targetILNS1_3genE2ELNS1_11target_archE906ELNS1_3gpuE6ELNS1_3repE0EEENS1_30default_config_static_selectorELNS0_4arch9wavefront6targetE1EEEvT1_.kd
    .uniform_work_group_size: 1
    .uses_dynamic_stack: false
    .vgpr_count:     0
    .vgpr_spill_count: 0
    .wavefront_size: 64
  - .agpr_count:     0
    .args:
      - .offset:         0
        .size:           56
        .value_kind:     by_value
    .group_segment_fixed_size: 0
    .kernarg_segment_align: 8
    .kernarg_segment_size: 56
    .language:       OpenCL C
    .language_version:
      - 2
      - 0
    .max_flat_workgroup_size: 128
    .name:           _ZN7rocprim17ROCPRIM_400000_NS6detail17trampoline_kernelINS0_14default_configENS1_35adjacent_difference_config_selectorILb1ElEEZNS1_24adjacent_difference_implIS3_Lb1ELb0EPlS7_N6thrust23THRUST_200600_302600_NS5minusIlEEEE10hipError_tPvRmT2_T3_mT4_P12ihipStream_tbEUlT_E_NS1_11comp_targetILNS1_3genE9ELNS1_11target_archE1100ELNS1_3gpuE3ELNS1_3repE0EEENS1_30default_config_static_selectorELNS0_4arch9wavefront6targetE1EEEvT1_
    .private_segment_fixed_size: 0
    .sgpr_count:     6
    .sgpr_spill_count: 0
    .symbol:         _ZN7rocprim17ROCPRIM_400000_NS6detail17trampoline_kernelINS0_14default_configENS1_35adjacent_difference_config_selectorILb1ElEEZNS1_24adjacent_difference_implIS3_Lb1ELb0EPlS7_N6thrust23THRUST_200600_302600_NS5minusIlEEEE10hipError_tPvRmT2_T3_mT4_P12ihipStream_tbEUlT_E_NS1_11comp_targetILNS1_3genE9ELNS1_11target_archE1100ELNS1_3gpuE3ELNS1_3repE0EEENS1_30default_config_static_selectorELNS0_4arch9wavefront6targetE1EEEvT1_.kd
    .uniform_work_group_size: 1
    .uses_dynamic_stack: false
    .vgpr_count:     0
    .vgpr_spill_count: 0
    .wavefront_size: 64
  - .agpr_count:     0
    .args:
      - .offset:         0
        .size:           56
        .value_kind:     by_value
    .group_segment_fixed_size: 0
    .kernarg_segment_align: 8
    .kernarg_segment_size: 56
    .language:       OpenCL C
    .language_version:
      - 2
      - 0
    .max_flat_workgroup_size: 32
    .name:           _ZN7rocprim17ROCPRIM_400000_NS6detail17trampoline_kernelINS0_14default_configENS1_35adjacent_difference_config_selectorILb1ElEEZNS1_24adjacent_difference_implIS3_Lb1ELb0EPlS7_N6thrust23THRUST_200600_302600_NS5minusIlEEEE10hipError_tPvRmT2_T3_mT4_P12ihipStream_tbEUlT_E_NS1_11comp_targetILNS1_3genE8ELNS1_11target_archE1030ELNS1_3gpuE2ELNS1_3repE0EEENS1_30default_config_static_selectorELNS0_4arch9wavefront6targetE1EEEvT1_
    .private_segment_fixed_size: 0
    .sgpr_count:     6
    .sgpr_spill_count: 0
    .symbol:         _ZN7rocprim17ROCPRIM_400000_NS6detail17trampoline_kernelINS0_14default_configENS1_35adjacent_difference_config_selectorILb1ElEEZNS1_24adjacent_difference_implIS3_Lb1ELb0EPlS7_N6thrust23THRUST_200600_302600_NS5minusIlEEEE10hipError_tPvRmT2_T3_mT4_P12ihipStream_tbEUlT_E_NS1_11comp_targetILNS1_3genE8ELNS1_11target_archE1030ELNS1_3gpuE2ELNS1_3repE0EEENS1_30default_config_static_selectorELNS0_4arch9wavefront6targetE1EEEvT1_.kd
    .uniform_work_group_size: 1
    .uses_dynamic_stack: false
    .vgpr_count:     0
    .vgpr_spill_count: 0
    .wavefront_size: 64
  - .agpr_count:     0
    .args:
      - .offset:         0
        .size:           72
        .value_kind:     by_value
      - .offset:         72
        .size:           4
        .value_kind:     hidden_block_count_x
      - .offset:         76
        .size:           4
        .value_kind:     hidden_block_count_y
      - .offset:         80
        .size:           4
        .value_kind:     hidden_block_count_z
      - .offset:         84
        .size:           2
        .value_kind:     hidden_group_size_x
      - .offset:         86
        .size:           2
        .value_kind:     hidden_group_size_y
      - .offset:         88
        .size:           2
        .value_kind:     hidden_group_size_z
      - .offset:         90
        .size:           2
        .value_kind:     hidden_remainder_x
      - .offset:         92
        .size:           2
        .value_kind:     hidden_remainder_y
      - .offset:         94
        .size:           2
        .value_kind:     hidden_remainder_z
      - .offset:         112
        .size:           8
        .value_kind:     hidden_global_offset_x
      - .offset:         120
        .size:           8
        .value_kind:     hidden_global_offset_y
      - .offset:         128
        .size:           8
        .value_kind:     hidden_global_offset_z
      - .offset:         136
        .size:           2
        .value_kind:     hidden_grid_dims
    .group_segment_fixed_size: 16896
    .kernarg_segment_align: 8
    .kernarg_segment_size: 328
    .language:       OpenCL C
    .language_version:
      - 2
      - 0
    .max_flat_workgroup_size: 256
    .name:           _ZN7rocprim17ROCPRIM_400000_NS6detail17trampoline_kernelINS0_14default_configENS1_37merge_sort_block_sort_config_selectorIlNS0_10empty_typeEEEZNS1_21merge_sort_block_sortIS3_PlS8_PS5_S9_ZN2at6native12_GLOBAL__N_124unique_dim_cuda_templateIaEESt5tupleIJNSA_6TensorESF_SF_EERKSF_lbbbEUlllE_EE10hipError_tT0_T1_T2_T3_mRjT4_P12ihipStream_tbNS1_7vsmem_tEEUlT_E_NS1_11comp_targetILNS1_3genE0ELNS1_11target_archE4294967295ELNS1_3gpuE0ELNS1_3repE0EEENS1_30default_config_static_selectorELNS0_4arch9wavefront6targetE1EEEvSM_
    .private_segment_fixed_size: 0
    .sgpr_count:     72
    .sgpr_spill_count: 0
    .symbol:         _ZN7rocprim17ROCPRIM_400000_NS6detail17trampoline_kernelINS0_14default_configENS1_37merge_sort_block_sort_config_selectorIlNS0_10empty_typeEEEZNS1_21merge_sort_block_sortIS3_PlS8_PS5_S9_ZN2at6native12_GLOBAL__N_124unique_dim_cuda_templateIaEESt5tupleIJNSA_6TensorESF_SF_EERKSF_lbbbEUlllE_EE10hipError_tT0_T1_T2_T3_mRjT4_P12ihipStream_tbNS1_7vsmem_tEEUlT_E_NS1_11comp_targetILNS1_3genE0ELNS1_11target_archE4294967295ELNS1_3gpuE0ELNS1_3repE0EEENS1_30default_config_static_selectorELNS0_4arch9wavefront6targetE1EEEvSM_.kd
    .uniform_work_group_size: 1
    .uses_dynamic_stack: false
    .vgpr_count:     55
    .vgpr_spill_count: 0
    .wavefront_size: 64
  - .agpr_count:     0
    .args:
      - .offset:         0
        .size:           72
        .value_kind:     by_value
    .group_segment_fixed_size: 0
    .kernarg_segment_align: 8
    .kernarg_segment_size: 72
    .language:       OpenCL C
    .language_version:
      - 2
      - 0
    .max_flat_workgroup_size: 256
    .name:           _ZN7rocprim17ROCPRIM_400000_NS6detail17trampoline_kernelINS0_14default_configENS1_37merge_sort_block_sort_config_selectorIlNS0_10empty_typeEEEZNS1_21merge_sort_block_sortIS3_PlS8_PS5_S9_ZN2at6native12_GLOBAL__N_124unique_dim_cuda_templateIaEESt5tupleIJNSA_6TensorESF_SF_EERKSF_lbbbEUlllE_EE10hipError_tT0_T1_T2_T3_mRjT4_P12ihipStream_tbNS1_7vsmem_tEEUlT_E_NS1_11comp_targetILNS1_3genE5ELNS1_11target_archE942ELNS1_3gpuE9ELNS1_3repE0EEENS1_30default_config_static_selectorELNS0_4arch9wavefront6targetE1EEEvSM_
    .private_segment_fixed_size: 0
    .sgpr_count:     6
    .sgpr_spill_count: 0
    .symbol:         _ZN7rocprim17ROCPRIM_400000_NS6detail17trampoline_kernelINS0_14default_configENS1_37merge_sort_block_sort_config_selectorIlNS0_10empty_typeEEEZNS1_21merge_sort_block_sortIS3_PlS8_PS5_S9_ZN2at6native12_GLOBAL__N_124unique_dim_cuda_templateIaEESt5tupleIJNSA_6TensorESF_SF_EERKSF_lbbbEUlllE_EE10hipError_tT0_T1_T2_T3_mRjT4_P12ihipStream_tbNS1_7vsmem_tEEUlT_E_NS1_11comp_targetILNS1_3genE5ELNS1_11target_archE942ELNS1_3gpuE9ELNS1_3repE0EEENS1_30default_config_static_selectorELNS0_4arch9wavefront6targetE1EEEvSM_.kd
    .uniform_work_group_size: 1
    .uses_dynamic_stack: false
    .vgpr_count:     0
    .vgpr_spill_count: 0
    .wavefront_size: 64
  - .agpr_count:     0
    .args:
      - .offset:         0
        .size:           72
        .value_kind:     by_value
    .group_segment_fixed_size: 0
    .kernarg_segment_align: 8
    .kernarg_segment_size: 72
    .language:       OpenCL C
    .language_version:
      - 2
      - 0
    .max_flat_workgroup_size: 256
    .name:           _ZN7rocprim17ROCPRIM_400000_NS6detail17trampoline_kernelINS0_14default_configENS1_37merge_sort_block_sort_config_selectorIlNS0_10empty_typeEEEZNS1_21merge_sort_block_sortIS3_PlS8_PS5_S9_ZN2at6native12_GLOBAL__N_124unique_dim_cuda_templateIaEESt5tupleIJNSA_6TensorESF_SF_EERKSF_lbbbEUlllE_EE10hipError_tT0_T1_T2_T3_mRjT4_P12ihipStream_tbNS1_7vsmem_tEEUlT_E_NS1_11comp_targetILNS1_3genE4ELNS1_11target_archE910ELNS1_3gpuE8ELNS1_3repE0EEENS1_30default_config_static_selectorELNS0_4arch9wavefront6targetE1EEEvSM_
    .private_segment_fixed_size: 0
    .sgpr_count:     6
    .sgpr_spill_count: 0
    .symbol:         _ZN7rocprim17ROCPRIM_400000_NS6detail17trampoline_kernelINS0_14default_configENS1_37merge_sort_block_sort_config_selectorIlNS0_10empty_typeEEEZNS1_21merge_sort_block_sortIS3_PlS8_PS5_S9_ZN2at6native12_GLOBAL__N_124unique_dim_cuda_templateIaEESt5tupleIJNSA_6TensorESF_SF_EERKSF_lbbbEUlllE_EE10hipError_tT0_T1_T2_T3_mRjT4_P12ihipStream_tbNS1_7vsmem_tEEUlT_E_NS1_11comp_targetILNS1_3genE4ELNS1_11target_archE910ELNS1_3gpuE8ELNS1_3repE0EEENS1_30default_config_static_selectorELNS0_4arch9wavefront6targetE1EEEvSM_.kd
    .uniform_work_group_size: 1
    .uses_dynamic_stack: false
    .vgpr_count:     0
    .vgpr_spill_count: 0
    .wavefront_size: 64
  - .agpr_count:     0
    .args:
      - .offset:         0
        .size:           72
        .value_kind:     by_value
    .group_segment_fixed_size: 0
    .kernarg_segment_align: 8
    .kernarg_segment_size: 72
    .language:       OpenCL C
    .language_version:
      - 2
      - 0
    .max_flat_workgroup_size: 256
    .name:           _ZN7rocprim17ROCPRIM_400000_NS6detail17trampoline_kernelINS0_14default_configENS1_37merge_sort_block_sort_config_selectorIlNS0_10empty_typeEEEZNS1_21merge_sort_block_sortIS3_PlS8_PS5_S9_ZN2at6native12_GLOBAL__N_124unique_dim_cuda_templateIaEESt5tupleIJNSA_6TensorESF_SF_EERKSF_lbbbEUlllE_EE10hipError_tT0_T1_T2_T3_mRjT4_P12ihipStream_tbNS1_7vsmem_tEEUlT_E_NS1_11comp_targetILNS1_3genE3ELNS1_11target_archE908ELNS1_3gpuE7ELNS1_3repE0EEENS1_30default_config_static_selectorELNS0_4arch9wavefront6targetE1EEEvSM_
    .private_segment_fixed_size: 0
    .sgpr_count:     6
    .sgpr_spill_count: 0
    .symbol:         _ZN7rocprim17ROCPRIM_400000_NS6detail17trampoline_kernelINS0_14default_configENS1_37merge_sort_block_sort_config_selectorIlNS0_10empty_typeEEEZNS1_21merge_sort_block_sortIS3_PlS8_PS5_S9_ZN2at6native12_GLOBAL__N_124unique_dim_cuda_templateIaEESt5tupleIJNSA_6TensorESF_SF_EERKSF_lbbbEUlllE_EE10hipError_tT0_T1_T2_T3_mRjT4_P12ihipStream_tbNS1_7vsmem_tEEUlT_E_NS1_11comp_targetILNS1_3genE3ELNS1_11target_archE908ELNS1_3gpuE7ELNS1_3repE0EEENS1_30default_config_static_selectorELNS0_4arch9wavefront6targetE1EEEvSM_.kd
    .uniform_work_group_size: 1
    .uses_dynamic_stack: false
    .vgpr_count:     0
    .vgpr_spill_count: 0
    .wavefront_size: 64
  - .agpr_count:     0
    .args:
      - .offset:         0
        .size:           72
        .value_kind:     by_value
    .group_segment_fixed_size: 0
    .kernarg_segment_align: 8
    .kernarg_segment_size: 72
    .language:       OpenCL C
    .language_version:
      - 2
      - 0
    .max_flat_workgroup_size: 256
    .name:           _ZN7rocprim17ROCPRIM_400000_NS6detail17trampoline_kernelINS0_14default_configENS1_37merge_sort_block_sort_config_selectorIlNS0_10empty_typeEEEZNS1_21merge_sort_block_sortIS3_PlS8_PS5_S9_ZN2at6native12_GLOBAL__N_124unique_dim_cuda_templateIaEESt5tupleIJNSA_6TensorESF_SF_EERKSF_lbbbEUlllE_EE10hipError_tT0_T1_T2_T3_mRjT4_P12ihipStream_tbNS1_7vsmem_tEEUlT_E_NS1_11comp_targetILNS1_3genE2ELNS1_11target_archE906ELNS1_3gpuE6ELNS1_3repE0EEENS1_30default_config_static_selectorELNS0_4arch9wavefront6targetE1EEEvSM_
    .private_segment_fixed_size: 0
    .sgpr_count:     6
    .sgpr_spill_count: 0
    .symbol:         _ZN7rocprim17ROCPRIM_400000_NS6detail17trampoline_kernelINS0_14default_configENS1_37merge_sort_block_sort_config_selectorIlNS0_10empty_typeEEEZNS1_21merge_sort_block_sortIS3_PlS8_PS5_S9_ZN2at6native12_GLOBAL__N_124unique_dim_cuda_templateIaEESt5tupleIJNSA_6TensorESF_SF_EERKSF_lbbbEUlllE_EE10hipError_tT0_T1_T2_T3_mRjT4_P12ihipStream_tbNS1_7vsmem_tEEUlT_E_NS1_11comp_targetILNS1_3genE2ELNS1_11target_archE906ELNS1_3gpuE6ELNS1_3repE0EEENS1_30default_config_static_selectorELNS0_4arch9wavefront6targetE1EEEvSM_.kd
    .uniform_work_group_size: 1
    .uses_dynamic_stack: false
    .vgpr_count:     0
    .vgpr_spill_count: 0
    .wavefront_size: 64
  - .agpr_count:     0
    .args:
      - .offset:         0
        .size:           72
        .value_kind:     by_value
    .group_segment_fixed_size: 0
    .kernarg_segment_align: 8
    .kernarg_segment_size: 72
    .language:       OpenCL C
    .language_version:
      - 2
      - 0
    .max_flat_workgroup_size: 256
    .name:           _ZN7rocprim17ROCPRIM_400000_NS6detail17trampoline_kernelINS0_14default_configENS1_37merge_sort_block_sort_config_selectorIlNS0_10empty_typeEEEZNS1_21merge_sort_block_sortIS3_PlS8_PS5_S9_ZN2at6native12_GLOBAL__N_124unique_dim_cuda_templateIaEESt5tupleIJNSA_6TensorESF_SF_EERKSF_lbbbEUlllE_EE10hipError_tT0_T1_T2_T3_mRjT4_P12ihipStream_tbNS1_7vsmem_tEEUlT_E_NS1_11comp_targetILNS1_3genE10ELNS1_11target_archE1201ELNS1_3gpuE5ELNS1_3repE0EEENS1_30default_config_static_selectorELNS0_4arch9wavefront6targetE1EEEvSM_
    .private_segment_fixed_size: 0
    .sgpr_count:     6
    .sgpr_spill_count: 0
    .symbol:         _ZN7rocprim17ROCPRIM_400000_NS6detail17trampoline_kernelINS0_14default_configENS1_37merge_sort_block_sort_config_selectorIlNS0_10empty_typeEEEZNS1_21merge_sort_block_sortIS3_PlS8_PS5_S9_ZN2at6native12_GLOBAL__N_124unique_dim_cuda_templateIaEESt5tupleIJNSA_6TensorESF_SF_EERKSF_lbbbEUlllE_EE10hipError_tT0_T1_T2_T3_mRjT4_P12ihipStream_tbNS1_7vsmem_tEEUlT_E_NS1_11comp_targetILNS1_3genE10ELNS1_11target_archE1201ELNS1_3gpuE5ELNS1_3repE0EEENS1_30default_config_static_selectorELNS0_4arch9wavefront6targetE1EEEvSM_.kd
    .uniform_work_group_size: 1
    .uses_dynamic_stack: false
    .vgpr_count:     0
    .vgpr_spill_count: 0
    .wavefront_size: 64
  - .agpr_count:     0
    .args:
      - .offset:         0
        .size:           72
        .value_kind:     by_value
    .group_segment_fixed_size: 0
    .kernarg_segment_align: 8
    .kernarg_segment_size: 72
    .language:       OpenCL C
    .language_version:
      - 2
      - 0
    .max_flat_workgroup_size: 512
    .name:           _ZN7rocprim17ROCPRIM_400000_NS6detail17trampoline_kernelINS0_14default_configENS1_37merge_sort_block_sort_config_selectorIlNS0_10empty_typeEEEZNS1_21merge_sort_block_sortIS3_PlS8_PS5_S9_ZN2at6native12_GLOBAL__N_124unique_dim_cuda_templateIaEESt5tupleIJNSA_6TensorESF_SF_EERKSF_lbbbEUlllE_EE10hipError_tT0_T1_T2_T3_mRjT4_P12ihipStream_tbNS1_7vsmem_tEEUlT_E_NS1_11comp_targetILNS1_3genE10ELNS1_11target_archE1200ELNS1_3gpuE4ELNS1_3repE0EEENS1_30default_config_static_selectorELNS0_4arch9wavefront6targetE1EEEvSM_
    .private_segment_fixed_size: 0
    .sgpr_count:     6
    .sgpr_spill_count: 0
    .symbol:         _ZN7rocprim17ROCPRIM_400000_NS6detail17trampoline_kernelINS0_14default_configENS1_37merge_sort_block_sort_config_selectorIlNS0_10empty_typeEEEZNS1_21merge_sort_block_sortIS3_PlS8_PS5_S9_ZN2at6native12_GLOBAL__N_124unique_dim_cuda_templateIaEESt5tupleIJNSA_6TensorESF_SF_EERKSF_lbbbEUlllE_EE10hipError_tT0_T1_T2_T3_mRjT4_P12ihipStream_tbNS1_7vsmem_tEEUlT_E_NS1_11comp_targetILNS1_3genE10ELNS1_11target_archE1200ELNS1_3gpuE4ELNS1_3repE0EEENS1_30default_config_static_selectorELNS0_4arch9wavefront6targetE1EEEvSM_.kd
    .uniform_work_group_size: 1
    .uses_dynamic_stack: false
    .vgpr_count:     0
    .vgpr_spill_count: 0
    .wavefront_size: 64
  - .agpr_count:     0
    .args:
      - .offset:         0
        .size:           72
        .value_kind:     by_value
    .group_segment_fixed_size: 0
    .kernarg_segment_align: 8
    .kernarg_segment_size: 72
    .language:       OpenCL C
    .language_version:
      - 2
      - 0
    .max_flat_workgroup_size: 256
    .name:           _ZN7rocprim17ROCPRIM_400000_NS6detail17trampoline_kernelINS0_14default_configENS1_37merge_sort_block_sort_config_selectorIlNS0_10empty_typeEEEZNS1_21merge_sort_block_sortIS3_PlS8_PS5_S9_ZN2at6native12_GLOBAL__N_124unique_dim_cuda_templateIaEESt5tupleIJNSA_6TensorESF_SF_EERKSF_lbbbEUlllE_EE10hipError_tT0_T1_T2_T3_mRjT4_P12ihipStream_tbNS1_7vsmem_tEEUlT_E_NS1_11comp_targetILNS1_3genE9ELNS1_11target_archE1100ELNS1_3gpuE3ELNS1_3repE0EEENS1_30default_config_static_selectorELNS0_4arch9wavefront6targetE1EEEvSM_
    .private_segment_fixed_size: 0
    .sgpr_count:     6
    .sgpr_spill_count: 0
    .symbol:         _ZN7rocprim17ROCPRIM_400000_NS6detail17trampoline_kernelINS0_14default_configENS1_37merge_sort_block_sort_config_selectorIlNS0_10empty_typeEEEZNS1_21merge_sort_block_sortIS3_PlS8_PS5_S9_ZN2at6native12_GLOBAL__N_124unique_dim_cuda_templateIaEESt5tupleIJNSA_6TensorESF_SF_EERKSF_lbbbEUlllE_EE10hipError_tT0_T1_T2_T3_mRjT4_P12ihipStream_tbNS1_7vsmem_tEEUlT_E_NS1_11comp_targetILNS1_3genE9ELNS1_11target_archE1100ELNS1_3gpuE3ELNS1_3repE0EEENS1_30default_config_static_selectorELNS0_4arch9wavefront6targetE1EEEvSM_.kd
    .uniform_work_group_size: 1
    .uses_dynamic_stack: false
    .vgpr_count:     0
    .vgpr_spill_count: 0
    .wavefront_size: 64
  - .agpr_count:     0
    .args:
      - .offset:         0
        .size:           72
        .value_kind:     by_value
    .group_segment_fixed_size: 0
    .kernarg_segment_align: 8
    .kernarg_segment_size: 72
    .language:       OpenCL C
    .language_version:
      - 2
      - 0
    .max_flat_workgroup_size: 256
    .name:           _ZN7rocprim17ROCPRIM_400000_NS6detail17trampoline_kernelINS0_14default_configENS1_37merge_sort_block_sort_config_selectorIlNS0_10empty_typeEEEZNS1_21merge_sort_block_sortIS3_PlS8_PS5_S9_ZN2at6native12_GLOBAL__N_124unique_dim_cuda_templateIaEESt5tupleIJNSA_6TensorESF_SF_EERKSF_lbbbEUlllE_EE10hipError_tT0_T1_T2_T3_mRjT4_P12ihipStream_tbNS1_7vsmem_tEEUlT_E_NS1_11comp_targetILNS1_3genE8ELNS1_11target_archE1030ELNS1_3gpuE2ELNS1_3repE0EEENS1_30default_config_static_selectorELNS0_4arch9wavefront6targetE1EEEvSM_
    .private_segment_fixed_size: 0
    .sgpr_count:     6
    .sgpr_spill_count: 0
    .symbol:         _ZN7rocprim17ROCPRIM_400000_NS6detail17trampoline_kernelINS0_14default_configENS1_37merge_sort_block_sort_config_selectorIlNS0_10empty_typeEEEZNS1_21merge_sort_block_sortIS3_PlS8_PS5_S9_ZN2at6native12_GLOBAL__N_124unique_dim_cuda_templateIaEESt5tupleIJNSA_6TensorESF_SF_EERKSF_lbbbEUlllE_EE10hipError_tT0_T1_T2_T3_mRjT4_P12ihipStream_tbNS1_7vsmem_tEEUlT_E_NS1_11comp_targetILNS1_3genE8ELNS1_11target_archE1030ELNS1_3gpuE2ELNS1_3repE0EEENS1_30default_config_static_selectorELNS0_4arch9wavefront6targetE1EEEvSM_.kd
    .uniform_work_group_size: 1
    .uses_dynamic_stack: false
    .vgpr_count:     0
    .vgpr_spill_count: 0
    .wavefront_size: 64
  - .agpr_count:     0
    .args:
      - .offset:         0
        .size:           56
        .value_kind:     by_value
    .group_segment_fixed_size: 0
    .kernarg_segment_align: 8
    .kernarg_segment_size: 56
    .language:       OpenCL C
    .language_version:
      - 2
      - 0
    .max_flat_workgroup_size: 128
    .name:           _ZN7rocprim17ROCPRIM_400000_NS6detail17trampoline_kernelINS0_14default_configENS1_38merge_sort_block_merge_config_selectorIlNS0_10empty_typeEEEZZNS1_27merge_sort_block_merge_implIS3_PlPS5_mZN2at6native12_GLOBAL__N_124unique_dim_cuda_templateIaEESt5tupleIJNSA_6TensorESF_SF_EERKSF_lbbbEUlllE_EE10hipError_tT0_T1_T2_jT3_P12ihipStream_tbPNSt15iterator_traitsISL_E10value_typeEPNSR_ISM_E10value_typeEPSN_NS1_7vsmem_tEENKUlT_SL_SM_SN_E_clIS8_S8_S9_S9_EESK_S10_SL_SM_SN_EUlS10_E_NS1_11comp_targetILNS1_3genE0ELNS1_11target_archE4294967295ELNS1_3gpuE0ELNS1_3repE0EEENS1_48merge_mergepath_partition_config_static_selectorELNS0_4arch9wavefront6targetE1EEEvSM_
    .private_segment_fixed_size: 0
    .sgpr_count:     36
    .sgpr_spill_count: 0
    .symbol:         _ZN7rocprim17ROCPRIM_400000_NS6detail17trampoline_kernelINS0_14default_configENS1_38merge_sort_block_merge_config_selectorIlNS0_10empty_typeEEEZZNS1_27merge_sort_block_merge_implIS3_PlPS5_mZN2at6native12_GLOBAL__N_124unique_dim_cuda_templateIaEESt5tupleIJNSA_6TensorESF_SF_EERKSF_lbbbEUlllE_EE10hipError_tT0_T1_T2_jT3_P12ihipStream_tbPNSt15iterator_traitsISL_E10value_typeEPNSR_ISM_E10value_typeEPSN_NS1_7vsmem_tEENKUlT_SL_SM_SN_E_clIS8_S8_S9_S9_EESK_S10_SL_SM_SN_EUlS10_E_NS1_11comp_targetILNS1_3genE0ELNS1_11target_archE4294967295ELNS1_3gpuE0ELNS1_3repE0EEENS1_48merge_mergepath_partition_config_static_selectorELNS0_4arch9wavefront6targetE1EEEvSM_.kd
    .uniform_work_group_size: 1
    .uses_dynamic_stack: false
    .vgpr_count:     23
    .vgpr_spill_count: 0
    .wavefront_size: 64
  - .agpr_count:     0
    .args:
      - .offset:         0
        .size:           56
        .value_kind:     by_value
    .group_segment_fixed_size: 0
    .kernarg_segment_align: 8
    .kernarg_segment_size: 56
    .language:       OpenCL C
    .language_version:
      - 2
      - 0
    .max_flat_workgroup_size: 128
    .name:           _ZN7rocprim17ROCPRIM_400000_NS6detail17trampoline_kernelINS0_14default_configENS1_38merge_sort_block_merge_config_selectorIlNS0_10empty_typeEEEZZNS1_27merge_sort_block_merge_implIS3_PlPS5_mZN2at6native12_GLOBAL__N_124unique_dim_cuda_templateIaEESt5tupleIJNSA_6TensorESF_SF_EERKSF_lbbbEUlllE_EE10hipError_tT0_T1_T2_jT3_P12ihipStream_tbPNSt15iterator_traitsISL_E10value_typeEPNSR_ISM_E10value_typeEPSN_NS1_7vsmem_tEENKUlT_SL_SM_SN_E_clIS8_S8_S9_S9_EESK_S10_SL_SM_SN_EUlS10_E_NS1_11comp_targetILNS1_3genE10ELNS1_11target_archE1201ELNS1_3gpuE5ELNS1_3repE0EEENS1_48merge_mergepath_partition_config_static_selectorELNS0_4arch9wavefront6targetE1EEEvSM_
    .private_segment_fixed_size: 0
    .sgpr_count:     6
    .sgpr_spill_count: 0
    .symbol:         _ZN7rocprim17ROCPRIM_400000_NS6detail17trampoline_kernelINS0_14default_configENS1_38merge_sort_block_merge_config_selectorIlNS0_10empty_typeEEEZZNS1_27merge_sort_block_merge_implIS3_PlPS5_mZN2at6native12_GLOBAL__N_124unique_dim_cuda_templateIaEESt5tupleIJNSA_6TensorESF_SF_EERKSF_lbbbEUlllE_EE10hipError_tT0_T1_T2_jT3_P12ihipStream_tbPNSt15iterator_traitsISL_E10value_typeEPNSR_ISM_E10value_typeEPSN_NS1_7vsmem_tEENKUlT_SL_SM_SN_E_clIS8_S8_S9_S9_EESK_S10_SL_SM_SN_EUlS10_E_NS1_11comp_targetILNS1_3genE10ELNS1_11target_archE1201ELNS1_3gpuE5ELNS1_3repE0EEENS1_48merge_mergepath_partition_config_static_selectorELNS0_4arch9wavefront6targetE1EEEvSM_.kd
    .uniform_work_group_size: 1
    .uses_dynamic_stack: false
    .vgpr_count:     0
    .vgpr_spill_count: 0
    .wavefront_size: 64
  - .agpr_count:     0
    .args:
      - .offset:         0
        .size:           56
        .value_kind:     by_value
    .group_segment_fixed_size: 0
    .kernarg_segment_align: 8
    .kernarg_segment_size: 56
    .language:       OpenCL C
    .language_version:
      - 2
      - 0
    .max_flat_workgroup_size: 128
    .name:           _ZN7rocprim17ROCPRIM_400000_NS6detail17trampoline_kernelINS0_14default_configENS1_38merge_sort_block_merge_config_selectorIlNS0_10empty_typeEEEZZNS1_27merge_sort_block_merge_implIS3_PlPS5_mZN2at6native12_GLOBAL__N_124unique_dim_cuda_templateIaEESt5tupleIJNSA_6TensorESF_SF_EERKSF_lbbbEUlllE_EE10hipError_tT0_T1_T2_jT3_P12ihipStream_tbPNSt15iterator_traitsISL_E10value_typeEPNSR_ISM_E10value_typeEPSN_NS1_7vsmem_tEENKUlT_SL_SM_SN_E_clIS8_S8_S9_S9_EESK_S10_SL_SM_SN_EUlS10_E_NS1_11comp_targetILNS1_3genE5ELNS1_11target_archE942ELNS1_3gpuE9ELNS1_3repE0EEENS1_48merge_mergepath_partition_config_static_selectorELNS0_4arch9wavefront6targetE1EEEvSM_
    .private_segment_fixed_size: 0
    .sgpr_count:     6
    .sgpr_spill_count: 0
    .symbol:         _ZN7rocprim17ROCPRIM_400000_NS6detail17trampoline_kernelINS0_14default_configENS1_38merge_sort_block_merge_config_selectorIlNS0_10empty_typeEEEZZNS1_27merge_sort_block_merge_implIS3_PlPS5_mZN2at6native12_GLOBAL__N_124unique_dim_cuda_templateIaEESt5tupleIJNSA_6TensorESF_SF_EERKSF_lbbbEUlllE_EE10hipError_tT0_T1_T2_jT3_P12ihipStream_tbPNSt15iterator_traitsISL_E10value_typeEPNSR_ISM_E10value_typeEPSN_NS1_7vsmem_tEENKUlT_SL_SM_SN_E_clIS8_S8_S9_S9_EESK_S10_SL_SM_SN_EUlS10_E_NS1_11comp_targetILNS1_3genE5ELNS1_11target_archE942ELNS1_3gpuE9ELNS1_3repE0EEENS1_48merge_mergepath_partition_config_static_selectorELNS0_4arch9wavefront6targetE1EEEvSM_.kd
    .uniform_work_group_size: 1
    .uses_dynamic_stack: false
    .vgpr_count:     0
    .vgpr_spill_count: 0
    .wavefront_size: 64
  - .agpr_count:     0
    .args:
      - .offset:         0
        .size:           56
        .value_kind:     by_value
    .group_segment_fixed_size: 0
    .kernarg_segment_align: 8
    .kernarg_segment_size: 56
    .language:       OpenCL C
    .language_version:
      - 2
      - 0
    .max_flat_workgroup_size: 128
    .name:           _ZN7rocprim17ROCPRIM_400000_NS6detail17trampoline_kernelINS0_14default_configENS1_38merge_sort_block_merge_config_selectorIlNS0_10empty_typeEEEZZNS1_27merge_sort_block_merge_implIS3_PlPS5_mZN2at6native12_GLOBAL__N_124unique_dim_cuda_templateIaEESt5tupleIJNSA_6TensorESF_SF_EERKSF_lbbbEUlllE_EE10hipError_tT0_T1_T2_jT3_P12ihipStream_tbPNSt15iterator_traitsISL_E10value_typeEPNSR_ISM_E10value_typeEPSN_NS1_7vsmem_tEENKUlT_SL_SM_SN_E_clIS8_S8_S9_S9_EESK_S10_SL_SM_SN_EUlS10_E_NS1_11comp_targetILNS1_3genE4ELNS1_11target_archE910ELNS1_3gpuE8ELNS1_3repE0EEENS1_48merge_mergepath_partition_config_static_selectorELNS0_4arch9wavefront6targetE1EEEvSM_
    .private_segment_fixed_size: 0
    .sgpr_count:     6
    .sgpr_spill_count: 0
    .symbol:         _ZN7rocprim17ROCPRIM_400000_NS6detail17trampoline_kernelINS0_14default_configENS1_38merge_sort_block_merge_config_selectorIlNS0_10empty_typeEEEZZNS1_27merge_sort_block_merge_implIS3_PlPS5_mZN2at6native12_GLOBAL__N_124unique_dim_cuda_templateIaEESt5tupleIJNSA_6TensorESF_SF_EERKSF_lbbbEUlllE_EE10hipError_tT0_T1_T2_jT3_P12ihipStream_tbPNSt15iterator_traitsISL_E10value_typeEPNSR_ISM_E10value_typeEPSN_NS1_7vsmem_tEENKUlT_SL_SM_SN_E_clIS8_S8_S9_S9_EESK_S10_SL_SM_SN_EUlS10_E_NS1_11comp_targetILNS1_3genE4ELNS1_11target_archE910ELNS1_3gpuE8ELNS1_3repE0EEENS1_48merge_mergepath_partition_config_static_selectorELNS0_4arch9wavefront6targetE1EEEvSM_.kd
    .uniform_work_group_size: 1
    .uses_dynamic_stack: false
    .vgpr_count:     0
    .vgpr_spill_count: 0
    .wavefront_size: 64
  - .agpr_count:     0
    .args:
      - .offset:         0
        .size:           56
        .value_kind:     by_value
    .group_segment_fixed_size: 0
    .kernarg_segment_align: 8
    .kernarg_segment_size: 56
    .language:       OpenCL C
    .language_version:
      - 2
      - 0
    .max_flat_workgroup_size: 128
    .name:           _ZN7rocprim17ROCPRIM_400000_NS6detail17trampoline_kernelINS0_14default_configENS1_38merge_sort_block_merge_config_selectorIlNS0_10empty_typeEEEZZNS1_27merge_sort_block_merge_implIS3_PlPS5_mZN2at6native12_GLOBAL__N_124unique_dim_cuda_templateIaEESt5tupleIJNSA_6TensorESF_SF_EERKSF_lbbbEUlllE_EE10hipError_tT0_T1_T2_jT3_P12ihipStream_tbPNSt15iterator_traitsISL_E10value_typeEPNSR_ISM_E10value_typeEPSN_NS1_7vsmem_tEENKUlT_SL_SM_SN_E_clIS8_S8_S9_S9_EESK_S10_SL_SM_SN_EUlS10_E_NS1_11comp_targetILNS1_3genE3ELNS1_11target_archE908ELNS1_3gpuE7ELNS1_3repE0EEENS1_48merge_mergepath_partition_config_static_selectorELNS0_4arch9wavefront6targetE1EEEvSM_
    .private_segment_fixed_size: 0
    .sgpr_count:     6
    .sgpr_spill_count: 0
    .symbol:         _ZN7rocprim17ROCPRIM_400000_NS6detail17trampoline_kernelINS0_14default_configENS1_38merge_sort_block_merge_config_selectorIlNS0_10empty_typeEEEZZNS1_27merge_sort_block_merge_implIS3_PlPS5_mZN2at6native12_GLOBAL__N_124unique_dim_cuda_templateIaEESt5tupleIJNSA_6TensorESF_SF_EERKSF_lbbbEUlllE_EE10hipError_tT0_T1_T2_jT3_P12ihipStream_tbPNSt15iterator_traitsISL_E10value_typeEPNSR_ISM_E10value_typeEPSN_NS1_7vsmem_tEENKUlT_SL_SM_SN_E_clIS8_S8_S9_S9_EESK_S10_SL_SM_SN_EUlS10_E_NS1_11comp_targetILNS1_3genE3ELNS1_11target_archE908ELNS1_3gpuE7ELNS1_3repE0EEENS1_48merge_mergepath_partition_config_static_selectorELNS0_4arch9wavefront6targetE1EEEvSM_.kd
    .uniform_work_group_size: 1
    .uses_dynamic_stack: false
    .vgpr_count:     0
    .vgpr_spill_count: 0
    .wavefront_size: 64
  - .agpr_count:     0
    .args:
      - .offset:         0
        .size:           56
        .value_kind:     by_value
    .group_segment_fixed_size: 0
    .kernarg_segment_align: 8
    .kernarg_segment_size: 56
    .language:       OpenCL C
    .language_version:
      - 2
      - 0
    .max_flat_workgroup_size: 128
    .name:           _ZN7rocprim17ROCPRIM_400000_NS6detail17trampoline_kernelINS0_14default_configENS1_38merge_sort_block_merge_config_selectorIlNS0_10empty_typeEEEZZNS1_27merge_sort_block_merge_implIS3_PlPS5_mZN2at6native12_GLOBAL__N_124unique_dim_cuda_templateIaEESt5tupleIJNSA_6TensorESF_SF_EERKSF_lbbbEUlllE_EE10hipError_tT0_T1_T2_jT3_P12ihipStream_tbPNSt15iterator_traitsISL_E10value_typeEPNSR_ISM_E10value_typeEPSN_NS1_7vsmem_tEENKUlT_SL_SM_SN_E_clIS8_S8_S9_S9_EESK_S10_SL_SM_SN_EUlS10_E_NS1_11comp_targetILNS1_3genE2ELNS1_11target_archE906ELNS1_3gpuE6ELNS1_3repE0EEENS1_48merge_mergepath_partition_config_static_selectorELNS0_4arch9wavefront6targetE1EEEvSM_
    .private_segment_fixed_size: 0
    .sgpr_count:     6
    .sgpr_spill_count: 0
    .symbol:         _ZN7rocprim17ROCPRIM_400000_NS6detail17trampoline_kernelINS0_14default_configENS1_38merge_sort_block_merge_config_selectorIlNS0_10empty_typeEEEZZNS1_27merge_sort_block_merge_implIS3_PlPS5_mZN2at6native12_GLOBAL__N_124unique_dim_cuda_templateIaEESt5tupleIJNSA_6TensorESF_SF_EERKSF_lbbbEUlllE_EE10hipError_tT0_T1_T2_jT3_P12ihipStream_tbPNSt15iterator_traitsISL_E10value_typeEPNSR_ISM_E10value_typeEPSN_NS1_7vsmem_tEENKUlT_SL_SM_SN_E_clIS8_S8_S9_S9_EESK_S10_SL_SM_SN_EUlS10_E_NS1_11comp_targetILNS1_3genE2ELNS1_11target_archE906ELNS1_3gpuE6ELNS1_3repE0EEENS1_48merge_mergepath_partition_config_static_selectorELNS0_4arch9wavefront6targetE1EEEvSM_.kd
    .uniform_work_group_size: 1
    .uses_dynamic_stack: false
    .vgpr_count:     0
    .vgpr_spill_count: 0
    .wavefront_size: 64
  - .agpr_count:     0
    .args:
      - .offset:         0
        .size:           56
        .value_kind:     by_value
    .group_segment_fixed_size: 0
    .kernarg_segment_align: 8
    .kernarg_segment_size: 56
    .language:       OpenCL C
    .language_version:
      - 2
      - 0
    .max_flat_workgroup_size: 128
    .name:           _ZN7rocprim17ROCPRIM_400000_NS6detail17trampoline_kernelINS0_14default_configENS1_38merge_sort_block_merge_config_selectorIlNS0_10empty_typeEEEZZNS1_27merge_sort_block_merge_implIS3_PlPS5_mZN2at6native12_GLOBAL__N_124unique_dim_cuda_templateIaEESt5tupleIJNSA_6TensorESF_SF_EERKSF_lbbbEUlllE_EE10hipError_tT0_T1_T2_jT3_P12ihipStream_tbPNSt15iterator_traitsISL_E10value_typeEPNSR_ISM_E10value_typeEPSN_NS1_7vsmem_tEENKUlT_SL_SM_SN_E_clIS8_S8_S9_S9_EESK_S10_SL_SM_SN_EUlS10_E_NS1_11comp_targetILNS1_3genE9ELNS1_11target_archE1100ELNS1_3gpuE3ELNS1_3repE0EEENS1_48merge_mergepath_partition_config_static_selectorELNS0_4arch9wavefront6targetE1EEEvSM_
    .private_segment_fixed_size: 0
    .sgpr_count:     6
    .sgpr_spill_count: 0
    .symbol:         _ZN7rocprim17ROCPRIM_400000_NS6detail17trampoline_kernelINS0_14default_configENS1_38merge_sort_block_merge_config_selectorIlNS0_10empty_typeEEEZZNS1_27merge_sort_block_merge_implIS3_PlPS5_mZN2at6native12_GLOBAL__N_124unique_dim_cuda_templateIaEESt5tupleIJNSA_6TensorESF_SF_EERKSF_lbbbEUlllE_EE10hipError_tT0_T1_T2_jT3_P12ihipStream_tbPNSt15iterator_traitsISL_E10value_typeEPNSR_ISM_E10value_typeEPSN_NS1_7vsmem_tEENKUlT_SL_SM_SN_E_clIS8_S8_S9_S9_EESK_S10_SL_SM_SN_EUlS10_E_NS1_11comp_targetILNS1_3genE9ELNS1_11target_archE1100ELNS1_3gpuE3ELNS1_3repE0EEENS1_48merge_mergepath_partition_config_static_selectorELNS0_4arch9wavefront6targetE1EEEvSM_.kd
    .uniform_work_group_size: 1
    .uses_dynamic_stack: false
    .vgpr_count:     0
    .vgpr_spill_count: 0
    .wavefront_size: 64
  - .agpr_count:     0
    .args:
      - .offset:         0
        .size:           56
        .value_kind:     by_value
    .group_segment_fixed_size: 0
    .kernarg_segment_align: 8
    .kernarg_segment_size: 56
    .language:       OpenCL C
    .language_version:
      - 2
      - 0
    .max_flat_workgroup_size: 128
    .name:           _ZN7rocprim17ROCPRIM_400000_NS6detail17trampoline_kernelINS0_14default_configENS1_38merge_sort_block_merge_config_selectorIlNS0_10empty_typeEEEZZNS1_27merge_sort_block_merge_implIS3_PlPS5_mZN2at6native12_GLOBAL__N_124unique_dim_cuda_templateIaEESt5tupleIJNSA_6TensorESF_SF_EERKSF_lbbbEUlllE_EE10hipError_tT0_T1_T2_jT3_P12ihipStream_tbPNSt15iterator_traitsISL_E10value_typeEPNSR_ISM_E10value_typeEPSN_NS1_7vsmem_tEENKUlT_SL_SM_SN_E_clIS8_S8_S9_S9_EESK_S10_SL_SM_SN_EUlS10_E_NS1_11comp_targetILNS1_3genE8ELNS1_11target_archE1030ELNS1_3gpuE2ELNS1_3repE0EEENS1_48merge_mergepath_partition_config_static_selectorELNS0_4arch9wavefront6targetE1EEEvSM_
    .private_segment_fixed_size: 0
    .sgpr_count:     6
    .sgpr_spill_count: 0
    .symbol:         _ZN7rocprim17ROCPRIM_400000_NS6detail17trampoline_kernelINS0_14default_configENS1_38merge_sort_block_merge_config_selectorIlNS0_10empty_typeEEEZZNS1_27merge_sort_block_merge_implIS3_PlPS5_mZN2at6native12_GLOBAL__N_124unique_dim_cuda_templateIaEESt5tupleIJNSA_6TensorESF_SF_EERKSF_lbbbEUlllE_EE10hipError_tT0_T1_T2_jT3_P12ihipStream_tbPNSt15iterator_traitsISL_E10value_typeEPNSR_ISM_E10value_typeEPSN_NS1_7vsmem_tEENKUlT_SL_SM_SN_E_clIS8_S8_S9_S9_EESK_S10_SL_SM_SN_EUlS10_E_NS1_11comp_targetILNS1_3genE8ELNS1_11target_archE1030ELNS1_3gpuE2ELNS1_3repE0EEENS1_48merge_mergepath_partition_config_static_selectorELNS0_4arch9wavefront6targetE1EEEvSM_.kd
    .uniform_work_group_size: 1
    .uses_dynamic_stack: false
    .vgpr_count:     0
    .vgpr_spill_count: 0
    .wavefront_size: 64
  - .agpr_count:     0
    .args:
      - .offset:         0
        .size:           88
        .value_kind:     by_value
      - .offset:         88
        .size:           4
        .value_kind:     hidden_block_count_x
      - .offset:         92
        .size:           4
        .value_kind:     hidden_block_count_y
      - .offset:         96
        .size:           4
        .value_kind:     hidden_block_count_z
      - .offset:         100
        .size:           2
        .value_kind:     hidden_group_size_x
      - .offset:         102
        .size:           2
        .value_kind:     hidden_group_size_y
      - .offset:         104
        .size:           2
        .value_kind:     hidden_group_size_z
      - .offset:         106
        .size:           2
        .value_kind:     hidden_remainder_x
      - .offset:         108
        .size:           2
        .value_kind:     hidden_remainder_y
      - .offset:         110
        .size:           2
        .value_kind:     hidden_remainder_z
      - .offset:         128
        .size:           8
        .value_kind:     hidden_global_offset_x
      - .offset:         136
        .size:           8
        .value_kind:     hidden_global_offset_y
      - .offset:         144
        .size:           8
        .value_kind:     hidden_global_offset_z
      - .offset:         152
        .size:           2
        .value_kind:     hidden_grid_dims
    .group_segment_fixed_size: 8448
    .kernarg_segment_align: 8
    .kernarg_segment_size: 344
    .language:       OpenCL C
    .language_version:
      - 2
      - 0
    .max_flat_workgroup_size: 128
    .name:           _ZN7rocprim17ROCPRIM_400000_NS6detail17trampoline_kernelINS0_14default_configENS1_38merge_sort_block_merge_config_selectorIlNS0_10empty_typeEEEZZNS1_27merge_sort_block_merge_implIS3_PlPS5_mZN2at6native12_GLOBAL__N_124unique_dim_cuda_templateIaEESt5tupleIJNSA_6TensorESF_SF_EERKSF_lbbbEUlllE_EE10hipError_tT0_T1_T2_jT3_P12ihipStream_tbPNSt15iterator_traitsISL_E10value_typeEPNSR_ISM_E10value_typeEPSN_NS1_7vsmem_tEENKUlT_SL_SM_SN_E_clIS8_S8_S9_S9_EESK_S10_SL_SM_SN_EUlS10_E0_NS1_11comp_targetILNS1_3genE0ELNS1_11target_archE4294967295ELNS1_3gpuE0ELNS1_3repE0EEENS1_38merge_mergepath_config_static_selectorELNS0_4arch9wavefront6targetE1EEEvSM_
    .private_segment_fixed_size: 0
    .sgpr_count:     58
    .sgpr_spill_count: 0
    .symbol:         _ZN7rocprim17ROCPRIM_400000_NS6detail17trampoline_kernelINS0_14default_configENS1_38merge_sort_block_merge_config_selectorIlNS0_10empty_typeEEEZZNS1_27merge_sort_block_merge_implIS3_PlPS5_mZN2at6native12_GLOBAL__N_124unique_dim_cuda_templateIaEESt5tupleIJNSA_6TensorESF_SF_EERKSF_lbbbEUlllE_EE10hipError_tT0_T1_T2_jT3_P12ihipStream_tbPNSt15iterator_traitsISL_E10value_typeEPNSR_ISM_E10value_typeEPSN_NS1_7vsmem_tEENKUlT_SL_SM_SN_E_clIS8_S8_S9_S9_EESK_S10_SL_SM_SN_EUlS10_E0_NS1_11comp_targetILNS1_3genE0ELNS1_11target_archE4294967295ELNS1_3gpuE0ELNS1_3repE0EEENS1_38merge_mergepath_config_static_selectorELNS0_4arch9wavefront6targetE1EEEvSM_.kd
    .uniform_work_group_size: 1
    .uses_dynamic_stack: false
    .vgpr_count:     38
    .vgpr_spill_count: 0
    .wavefront_size: 64
  - .agpr_count:     0
    .args:
      - .offset:         0
        .size:           88
        .value_kind:     by_value
    .group_segment_fixed_size: 0
    .kernarg_segment_align: 8
    .kernarg_segment_size: 88
    .language:       OpenCL C
    .language_version:
      - 2
      - 0
    .max_flat_workgroup_size: 512
    .name:           _ZN7rocprim17ROCPRIM_400000_NS6detail17trampoline_kernelINS0_14default_configENS1_38merge_sort_block_merge_config_selectorIlNS0_10empty_typeEEEZZNS1_27merge_sort_block_merge_implIS3_PlPS5_mZN2at6native12_GLOBAL__N_124unique_dim_cuda_templateIaEESt5tupleIJNSA_6TensorESF_SF_EERKSF_lbbbEUlllE_EE10hipError_tT0_T1_T2_jT3_P12ihipStream_tbPNSt15iterator_traitsISL_E10value_typeEPNSR_ISM_E10value_typeEPSN_NS1_7vsmem_tEENKUlT_SL_SM_SN_E_clIS8_S8_S9_S9_EESK_S10_SL_SM_SN_EUlS10_E0_NS1_11comp_targetILNS1_3genE10ELNS1_11target_archE1201ELNS1_3gpuE5ELNS1_3repE0EEENS1_38merge_mergepath_config_static_selectorELNS0_4arch9wavefront6targetE1EEEvSM_
    .private_segment_fixed_size: 0
    .sgpr_count:     6
    .sgpr_spill_count: 0
    .symbol:         _ZN7rocprim17ROCPRIM_400000_NS6detail17trampoline_kernelINS0_14default_configENS1_38merge_sort_block_merge_config_selectorIlNS0_10empty_typeEEEZZNS1_27merge_sort_block_merge_implIS3_PlPS5_mZN2at6native12_GLOBAL__N_124unique_dim_cuda_templateIaEESt5tupleIJNSA_6TensorESF_SF_EERKSF_lbbbEUlllE_EE10hipError_tT0_T1_T2_jT3_P12ihipStream_tbPNSt15iterator_traitsISL_E10value_typeEPNSR_ISM_E10value_typeEPSN_NS1_7vsmem_tEENKUlT_SL_SM_SN_E_clIS8_S8_S9_S9_EESK_S10_SL_SM_SN_EUlS10_E0_NS1_11comp_targetILNS1_3genE10ELNS1_11target_archE1201ELNS1_3gpuE5ELNS1_3repE0EEENS1_38merge_mergepath_config_static_selectorELNS0_4arch9wavefront6targetE1EEEvSM_.kd
    .uniform_work_group_size: 1
    .uses_dynamic_stack: false
    .vgpr_count:     0
    .vgpr_spill_count: 0
    .wavefront_size: 64
  - .agpr_count:     0
    .args:
      - .offset:         0
        .size:           88
        .value_kind:     by_value
    .group_segment_fixed_size: 0
    .kernarg_segment_align: 8
    .kernarg_segment_size: 88
    .language:       OpenCL C
    .language_version:
      - 2
      - 0
    .max_flat_workgroup_size: 128
    .name:           _ZN7rocprim17ROCPRIM_400000_NS6detail17trampoline_kernelINS0_14default_configENS1_38merge_sort_block_merge_config_selectorIlNS0_10empty_typeEEEZZNS1_27merge_sort_block_merge_implIS3_PlPS5_mZN2at6native12_GLOBAL__N_124unique_dim_cuda_templateIaEESt5tupleIJNSA_6TensorESF_SF_EERKSF_lbbbEUlllE_EE10hipError_tT0_T1_T2_jT3_P12ihipStream_tbPNSt15iterator_traitsISL_E10value_typeEPNSR_ISM_E10value_typeEPSN_NS1_7vsmem_tEENKUlT_SL_SM_SN_E_clIS8_S8_S9_S9_EESK_S10_SL_SM_SN_EUlS10_E0_NS1_11comp_targetILNS1_3genE5ELNS1_11target_archE942ELNS1_3gpuE9ELNS1_3repE0EEENS1_38merge_mergepath_config_static_selectorELNS0_4arch9wavefront6targetE1EEEvSM_
    .private_segment_fixed_size: 0
    .sgpr_count:     6
    .sgpr_spill_count: 0
    .symbol:         _ZN7rocprim17ROCPRIM_400000_NS6detail17trampoline_kernelINS0_14default_configENS1_38merge_sort_block_merge_config_selectorIlNS0_10empty_typeEEEZZNS1_27merge_sort_block_merge_implIS3_PlPS5_mZN2at6native12_GLOBAL__N_124unique_dim_cuda_templateIaEESt5tupleIJNSA_6TensorESF_SF_EERKSF_lbbbEUlllE_EE10hipError_tT0_T1_T2_jT3_P12ihipStream_tbPNSt15iterator_traitsISL_E10value_typeEPNSR_ISM_E10value_typeEPSN_NS1_7vsmem_tEENKUlT_SL_SM_SN_E_clIS8_S8_S9_S9_EESK_S10_SL_SM_SN_EUlS10_E0_NS1_11comp_targetILNS1_3genE5ELNS1_11target_archE942ELNS1_3gpuE9ELNS1_3repE0EEENS1_38merge_mergepath_config_static_selectorELNS0_4arch9wavefront6targetE1EEEvSM_.kd
    .uniform_work_group_size: 1
    .uses_dynamic_stack: false
    .vgpr_count:     0
    .vgpr_spill_count: 0
    .wavefront_size: 64
  - .agpr_count:     0
    .args:
      - .offset:         0
        .size:           88
        .value_kind:     by_value
    .group_segment_fixed_size: 0
    .kernarg_segment_align: 8
    .kernarg_segment_size: 88
    .language:       OpenCL C
    .language_version:
      - 2
      - 0
    .max_flat_workgroup_size: 256
    .name:           _ZN7rocprim17ROCPRIM_400000_NS6detail17trampoline_kernelINS0_14default_configENS1_38merge_sort_block_merge_config_selectorIlNS0_10empty_typeEEEZZNS1_27merge_sort_block_merge_implIS3_PlPS5_mZN2at6native12_GLOBAL__N_124unique_dim_cuda_templateIaEESt5tupleIJNSA_6TensorESF_SF_EERKSF_lbbbEUlllE_EE10hipError_tT0_T1_T2_jT3_P12ihipStream_tbPNSt15iterator_traitsISL_E10value_typeEPNSR_ISM_E10value_typeEPSN_NS1_7vsmem_tEENKUlT_SL_SM_SN_E_clIS8_S8_S9_S9_EESK_S10_SL_SM_SN_EUlS10_E0_NS1_11comp_targetILNS1_3genE4ELNS1_11target_archE910ELNS1_3gpuE8ELNS1_3repE0EEENS1_38merge_mergepath_config_static_selectorELNS0_4arch9wavefront6targetE1EEEvSM_
    .private_segment_fixed_size: 0
    .sgpr_count:     6
    .sgpr_spill_count: 0
    .symbol:         _ZN7rocprim17ROCPRIM_400000_NS6detail17trampoline_kernelINS0_14default_configENS1_38merge_sort_block_merge_config_selectorIlNS0_10empty_typeEEEZZNS1_27merge_sort_block_merge_implIS3_PlPS5_mZN2at6native12_GLOBAL__N_124unique_dim_cuda_templateIaEESt5tupleIJNSA_6TensorESF_SF_EERKSF_lbbbEUlllE_EE10hipError_tT0_T1_T2_jT3_P12ihipStream_tbPNSt15iterator_traitsISL_E10value_typeEPNSR_ISM_E10value_typeEPSN_NS1_7vsmem_tEENKUlT_SL_SM_SN_E_clIS8_S8_S9_S9_EESK_S10_SL_SM_SN_EUlS10_E0_NS1_11comp_targetILNS1_3genE4ELNS1_11target_archE910ELNS1_3gpuE8ELNS1_3repE0EEENS1_38merge_mergepath_config_static_selectorELNS0_4arch9wavefront6targetE1EEEvSM_.kd
    .uniform_work_group_size: 1
    .uses_dynamic_stack: false
    .vgpr_count:     0
    .vgpr_spill_count: 0
    .wavefront_size: 64
  - .agpr_count:     0
    .args:
      - .offset:         0
        .size:           88
        .value_kind:     by_value
    .group_segment_fixed_size: 0
    .kernarg_segment_align: 8
    .kernarg_segment_size: 88
    .language:       OpenCL C
    .language_version:
      - 2
      - 0
    .max_flat_workgroup_size: 128
    .name:           _ZN7rocprim17ROCPRIM_400000_NS6detail17trampoline_kernelINS0_14default_configENS1_38merge_sort_block_merge_config_selectorIlNS0_10empty_typeEEEZZNS1_27merge_sort_block_merge_implIS3_PlPS5_mZN2at6native12_GLOBAL__N_124unique_dim_cuda_templateIaEESt5tupleIJNSA_6TensorESF_SF_EERKSF_lbbbEUlllE_EE10hipError_tT0_T1_T2_jT3_P12ihipStream_tbPNSt15iterator_traitsISL_E10value_typeEPNSR_ISM_E10value_typeEPSN_NS1_7vsmem_tEENKUlT_SL_SM_SN_E_clIS8_S8_S9_S9_EESK_S10_SL_SM_SN_EUlS10_E0_NS1_11comp_targetILNS1_3genE3ELNS1_11target_archE908ELNS1_3gpuE7ELNS1_3repE0EEENS1_38merge_mergepath_config_static_selectorELNS0_4arch9wavefront6targetE1EEEvSM_
    .private_segment_fixed_size: 0
    .sgpr_count:     6
    .sgpr_spill_count: 0
    .symbol:         _ZN7rocprim17ROCPRIM_400000_NS6detail17trampoline_kernelINS0_14default_configENS1_38merge_sort_block_merge_config_selectorIlNS0_10empty_typeEEEZZNS1_27merge_sort_block_merge_implIS3_PlPS5_mZN2at6native12_GLOBAL__N_124unique_dim_cuda_templateIaEESt5tupleIJNSA_6TensorESF_SF_EERKSF_lbbbEUlllE_EE10hipError_tT0_T1_T2_jT3_P12ihipStream_tbPNSt15iterator_traitsISL_E10value_typeEPNSR_ISM_E10value_typeEPSN_NS1_7vsmem_tEENKUlT_SL_SM_SN_E_clIS8_S8_S9_S9_EESK_S10_SL_SM_SN_EUlS10_E0_NS1_11comp_targetILNS1_3genE3ELNS1_11target_archE908ELNS1_3gpuE7ELNS1_3repE0EEENS1_38merge_mergepath_config_static_selectorELNS0_4arch9wavefront6targetE1EEEvSM_.kd
    .uniform_work_group_size: 1
    .uses_dynamic_stack: false
    .vgpr_count:     0
    .vgpr_spill_count: 0
    .wavefront_size: 64
  - .agpr_count:     0
    .args:
      - .offset:         0
        .size:           88
        .value_kind:     by_value
    .group_segment_fixed_size: 0
    .kernarg_segment_align: 8
    .kernarg_segment_size: 88
    .language:       OpenCL C
    .language_version:
      - 2
      - 0
    .max_flat_workgroup_size: 256
    .name:           _ZN7rocprim17ROCPRIM_400000_NS6detail17trampoline_kernelINS0_14default_configENS1_38merge_sort_block_merge_config_selectorIlNS0_10empty_typeEEEZZNS1_27merge_sort_block_merge_implIS3_PlPS5_mZN2at6native12_GLOBAL__N_124unique_dim_cuda_templateIaEESt5tupleIJNSA_6TensorESF_SF_EERKSF_lbbbEUlllE_EE10hipError_tT0_T1_T2_jT3_P12ihipStream_tbPNSt15iterator_traitsISL_E10value_typeEPNSR_ISM_E10value_typeEPSN_NS1_7vsmem_tEENKUlT_SL_SM_SN_E_clIS8_S8_S9_S9_EESK_S10_SL_SM_SN_EUlS10_E0_NS1_11comp_targetILNS1_3genE2ELNS1_11target_archE906ELNS1_3gpuE6ELNS1_3repE0EEENS1_38merge_mergepath_config_static_selectorELNS0_4arch9wavefront6targetE1EEEvSM_
    .private_segment_fixed_size: 0
    .sgpr_count:     6
    .sgpr_spill_count: 0
    .symbol:         _ZN7rocprim17ROCPRIM_400000_NS6detail17trampoline_kernelINS0_14default_configENS1_38merge_sort_block_merge_config_selectorIlNS0_10empty_typeEEEZZNS1_27merge_sort_block_merge_implIS3_PlPS5_mZN2at6native12_GLOBAL__N_124unique_dim_cuda_templateIaEESt5tupleIJNSA_6TensorESF_SF_EERKSF_lbbbEUlllE_EE10hipError_tT0_T1_T2_jT3_P12ihipStream_tbPNSt15iterator_traitsISL_E10value_typeEPNSR_ISM_E10value_typeEPSN_NS1_7vsmem_tEENKUlT_SL_SM_SN_E_clIS8_S8_S9_S9_EESK_S10_SL_SM_SN_EUlS10_E0_NS1_11comp_targetILNS1_3genE2ELNS1_11target_archE906ELNS1_3gpuE6ELNS1_3repE0EEENS1_38merge_mergepath_config_static_selectorELNS0_4arch9wavefront6targetE1EEEvSM_.kd
    .uniform_work_group_size: 1
    .uses_dynamic_stack: false
    .vgpr_count:     0
    .vgpr_spill_count: 0
    .wavefront_size: 64
  - .agpr_count:     0
    .args:
      - .offset:         0
        .size:           88
        .value_kind:     by_value
    .group_segment_fixed_size: 0
    .kernarg_segment_align: 8
    .kernarg_segment_size: 88
    .language:       OpenCL C
    .language_version:
      - 2
      - 0
    .max_flat_workgroup_size: 512
    .name:           _ZN7rocprim17ROCPRIM_400000_NS6detail17trampoline_kernelINS0_14default_configENS1_38merge_sort_block_merge_config_selectorIlNS0_10empty_typeEEEZZNS1_27merge_sort_block_merge_implIS3_PlPS5_mZN2at6native12_GLOBAL__N_124unique_dim_cuda_templateIaEESt5tupleIJNSA_6TensorESF_SF_EERKSF_lbbbEUlllE_EE10hipError_tT0_T1_T2_jT3_P12ihipStream_tbPNSt15iterator_traitsISL_E10value_typeEPNSR_ISM_E10value_typeEPSN_NS1_7vsmem_tEENKUlT_SL_SM_SN_E_clIS8_S8_S9_S9_EESK_S10_SL_SM_SN_EUlS10_E0_NS1_11comp_targetILNS1_3genE9ELNS1_11target_archE1100ELNS1_3gpuE3ELNS1_3repE0EEENS1_38merge_mergepath_config_static_selectorELNS0_4arch9wavefront6targetE1EEEvSM_
    .private_segment_fixed_size: 0
    .sgpr_count:     6
    .sgpr_spill_count: 0
    .symbol:         _ZN7rocprim17ROCPRIM_400000_NS6detail17trampoline_kernelINS0_14default_configENS1_38merge_sort_block_merge_config_selectorIlNS0_10empty_typeEEEZZNS1_27merge_sort_block_merge_implIS3_PlPS5_mZN2at6native12_GLOBAL__N_124unique_dim_cuda_templateIaEESt5tupleIJNSA_6TensorESF_SF_EERKSF_lbbbEUlllE_EE10hipError_tT0_T1_T2_jT3_P12ihipStream_tbPNSt15iterator_traitsISL_E10value_typeEPNSR_ISM_E10value_typeEPSN_NS1_7vsmem_tEENKUlT_SL_SM_SN_E_clIS8_S8_S9_S9_EESK_S10_SL_SM_SN_EUlS10_E0_NS1_11comp_targetILNS1_3genE9ELNS1_11target_archE1100ELNS1_3gpuE3ELNS1_3repE0EEENS1_38merge_mergepath_config_static_selectorELNS0_4arch9wavefront6targetE1EEEvSM_.kd
    .uniform_work_group_size: 1
    .uses_dynamic_stack: false
    .vgpr_count:     0
    .vgpr_spill_count: 0
    .wavefront_size: 64
  - .agpr_count:     0
    .args:
      - .offset:         0
        .size:           88
        .value_kind:     by_value
    .group_segment_fixed_size: 0
    .kernarg_segment_align: 8
    .kernarg_segment_size: 88
    .language:       OpenCL C
    .language_version:
      - 2
      - 0
    .max_flat_workgroup_size: 1024
    .name:           _ZN7rocprim17ROCPRIM_400000_NS6detail17trampoline_kernelINS0_14default_configENS1_38merge_sort_block_merge_config_selectorIlNS0_10empty_typeEEEZZNS1_27merge_sort_block_merge_implIS3_PlPS5_mZN2at6native12_GLOBAL__N_124unique_dim_cuda_templateIaEESt5tupleIJNSA_6TensorESF_SF_EERKSF_lbbbEUlllE_EE10hipError_tT0_T1_T2_jT3_P12ihipStream_tbPNSt15iterator_traitsISL_E10value_typeEPNSR_ISM_E10value_typeEPSN_NS1_7vsmem_tEENKUlT_SL_SM_SN_E_clIS8_S8_S9_S9_EESK_S10_SL_SM_SN_EUlS10_E0_NS1_11comp_targetILNS1_3genE8ELNS1_11target_archE1030ELNS1_3gpuE2ELNS1_3repE0EEENS1_38merge_mergepath_config_static_selectorELNS0_4arch9wavefront6targetE1EEEvSM_
    .private_segment_fixed_size: 0
    .sgpr_count:     6
    .sgpr_spill_count: 0
    .symbol:         _ZN7rocprim17ROCPRIM_400000_NS6detail17trampoline_kernelINS0_14default_configENS1_38merge_sort_block_merge_config_selectorIlNS0_10empty_typeEEEZZNS1_27merge_sort_block_merge_implIS3_PlPS5_mZN2at6native12_GLOBAL__N_124unique_dim_cuda_templateIaEESt5tupleIJNSA_6TensorESF_SF_EERKSF_lbbbEUlllE_EE10hipError_tT0_T1_T2_jT3_P12ihipStream_tbPNSt15iterator_traitsISL_E10value_typeEPNSR_ISM_E10value_typeEPSN_NS1_7vsmem_tEENKUlT_SL_SM_SN_E_clIS8_S8_S9_S9_EESK_S10_SL_SM_SN_EUlS10_E0_NS1_11comp_targetILNS1_3genE8ELNS1_11target_archE1030ELNS1_3gpuE2ELNS1_3repE0EEENS1_38merge_mergepath_config_static_selectorELNS0_4arch9wavefront6targetE1EEEvSM_.kd
    .uniform_work_group_size: 1
    .uses_dynamic_stack: false
    .vgpr_count:     0
    .vgpr_spill_count: 0
    .wavefront_size: 64
  - .agpr_count:     0
    .args:
      - .offset:         0
        .size:           64
        .value_kind:     by_value
    .group_segment_fixed_size: 0
    .kernarg_segment_align: 8
    .kernarg_segment_size: 64
    .language:       OpenCL C
    .language_version:
      - 2
      - 0
    .max_flat_workgroup_size: 256
    .name:           _ZN7rocprim17ROCPRIM_400000_NS6detail17trampoline_kernelINS0_14default_configENS1_38merge_sort_block_merge_config_selectorIlNS0_10empty_typeEEEZZNS1_27merge_sort_block_merge_implIS3_PlPS5_mZN2at6native12_GLOBAL__N_124unique_dim_cuda_templateIaEESt5tupleIJNSA_6TensorESF_SF_EERKSF_lbbbEUlllE_EE10hipError_tT0_T1_T2_jT3_P12ihipStream_tbPNSt15iterator_traitsISL_E10value_typeEPNSR_ISM_E10value_typeEPSN_NS1_7vsmem_tEENKUlT_SL_SM_SN_E_clIS8_S8_S9_S9_EESK_S10_SL_SM_SN_EUlS10_E1_NS1_11comp_targetILNS1_3genE0ELNS1_11target_archE4294967295ELNS1_3gpuE0ELNS1_3repE0EEENS1_36merge_oddeven_config_static_selectorELNS0_4arch9wavefront6targetE1EEEvSM_
    .private_segment_fixed_size: 0
    .sgpr_count:     50
    .sgpr_spill_count: 0
    .symbol:         _ZN7rocprim17ROCPRIM_400000_NS6detail17trampoline_kernelINS0_14default_configENS1_38merge_sort_block_merge_config_selectorIlNS0_10empty_typeEEEZZNS1_27merge_sort_block_merge_implIS3_PlPS5_mZN2at6native12_GLOBAL__N_124unique_dim_cuda_templateIaEESt5tupleIJNSA_6TensorESF_SF_EERKSF_lbbbEUlllE_EE10hipError_tT0_T1_T2_jT3_P12ihipStream_tbPNSt15iterator_traitsISL_E10value_typeEPNSR_ISM_E10value_typeEPSN_NS1_7vsmem_tEENKUlT_SL_SM_SN_E_clIS8_S8_S9_S9_EESK_S10_SL_SM_SN_EUlS10_E1_NS1_11comp_targetILNS1_3genE0ELNS1_11target_archE4294967295ELNS1_3gpuE0ELNS1_3repE0EEENS1_36merge_oddeven_config_static_selectorELNS0_4arch9wavefront6targetE1EEEvSM_.kd
    .uniform_work_group_size: 1
    .uses_dynamic_stack: false
    .vgpr_count:     19
    .vgpr_spill_count: 0
    .wavefront_size: 64
  - .agpr_count:     0
    .args:
      - .offset:         0
        .size:           64
        .value_kind:     by_value
    .group_segment_fixed_size: 0
    .kernarg_segment_align: 8
    .kernarg_segment_size: 64
    .language:       OpenCL C
    .language_version:
      - 2
      - 0
    .max_flat_workgroup_size: 256
    .name:           _ZN7rocprim17ROCPRIM_400000_NS6detail17trampoline_kernelINS0_14default_configENS1_38merge_sort_block_merge_config_selectorIlNS0_10empty_typeEEEZZNS1_27merge_sort_block_merge_implIS3_PlPS5_mZN2at6native12_GLOBAL__N_124unique_dim_cuda_templateIaEESt5tupleIJNSA_6TensorESF_SF_EERKSF_lbbbEUlllE_EE10hipError_tT0_T1_T2_jT3_P12ihipStream_tbPNSt15iterator_traitsISL_E10value_typeEPNSR_ISM_E10value_typeEPSN_NS1_7vsmem_tEENKUlT_SL_SM_SN_E_clIS8_S8_S9_S9_EESK_S10_SL_SM_SN_EUlS10_E1_NS1_11comp_targetILNS1_3genE10ELNS1_11target_archE1201ELNS1_3gpuE5ELNS1_3repE0EEENS1_36merge_oddeven_config_static_selectorELNS0_4arch9wavefront6targetE1EEEvSM_
    .private_segment_fixed_size: 0
    .sgpr_count:     6
    .sgpr_spill_count: 0
    .symbol:         _ZN7rocprim17ROCPRIM_400000_NS6detail17trampoline_kernelINS0_14default_configENS1_38merge_sort_block_merge_config_selectorIlNS0_10empty_typeEEEZZNS1_27merge_sort_block_merge_implIS3_PlPS5_mZN2at6native12_GLOBAL__N_124unique_dim_cuda_templateIaEESt5tupleIJNSA_6TensorESF_SF_EERKSF_lbbbEUlllE_EE10hipError_tT0_T1_T2_jT3_P12ihipStream_tbPNSt15iterator_traitsISL_E10value_typeEPNSR_ISM_E10value_typeEPSN_NS1_7vsmem_tEENKUlT_SL_SM_SN_E_clIS8_S8_S9_S9_EESK_S10_SL_SM_SN_EUlS10_E1_NS1_11comp_targetILNS1_3genE10ELNS1_11target_archE1201ELNS1_3gpuE5ELNS1_3repE0EEENS1_36merge_oddeven_config_static_selectorELNS0_4arch9wavefront6targetE1EEEvSM_.kd
    .uniform_work_group_size: 1
    .uses_dynamic_stack: false
    .vgpr_count:     0
    .vgpr_spill_count: 0
    .wavefront_size: 64
  - .agpr_count:     0
    .args:
      - .offset:         0
        .size:           64
        .value_kind:     by_value
    .group_segment_fixed_size: 0
    .kernarg_segment_align: 8
    .kernarg_segment_size: 64
    .language:       OpenCL C
    .language_version:
      - 2
      - 0
    .max_flat_workgroup_size: 256
    .name:           _ZN7rocprim17ROCPRIM_400000_NS6detail17trampoline_kernelINS0_14default_configENS1_38merge_sort_block_merge_config_selectorIlNS0_10empty_typeEEEZZNS1_27merge_sort_block_merge_implIS3_PlPS5_mZN2at6native12_GLOBAL__N_124unique_dim_cuda_templateIaEESt5tupleIJNSA_6TensorESF_SF_EERKSF_lbbbEUlllE_EE10hipError_tT0_T1_T2_jT3_P12ihipStream_tbPNSt15iterator_traitsISL_E10value_typeEPNSR_ISM_E10value_typeEPSN_NS1_7vsmem_tEENKUlT_SL_SM_SN_E_clIS8_S8_S9_S9_EESK_S10_SL_SM_SN_EUlS10_E1_NS1_11comp_targetILNS1_3genE5ELNS1_11target_archE942ELNS1_3gpuE9ELNS1_3repE0EEENS1_36merge_oddeven_config_static_selectorELNS0_4arch9wavefront6targetE1EEEvSM_
    .private_segment_fixed_size: 0
    .sgpr_count:     6
    .sgpr_spill_count: 0
    .symbol:         _ZN7rocprim17ROCPRIM_400000_NS6detail17trampoline_kernelINS0_14default_configENS1_38merge_sort_block_merge_config_selectorIlNS0_10empty_typeEEEZZNS1_27merge_sort_block_merge_implIS3_PlPS5_mZN2at6native12_GLOBAL__N_124unique_dim_cuda_templateIaEESt5tupleIJNSA_6TensorESF_SF_EERKSF_lbbbEUlllE_EE10hipError_tT0_T1_T2_jT3_P12ihipStream_tbPNSt15iterator_traitsISL_E10value_typeEPNSR_ISM_E10value_typeEPSN_NS1_7vsmem_tEENKUlT_SL_SM_SN_E_clIS8_S8_S9_S9_EESK_S10_SL_SM_SN_EUlS10_E1_NS1_11comp_targetILNS1_3genE5ELNS1_11target_archE942ELNS1_3gpuE9ELNS1_3repE0EEENS1_36merge_oddeven_config_static_selectorELNS0_4arch9wavefront6targetE1EEEvSM_.kd
    .uniform_work_group_size: 1
    .uses_dynamic_stack: false
    .vgpr_count:     0
    .vgpr_spill_count: 0
    .wavefront_size: 64
  - .agpr_count:     0
    .args:
      - .offset:         0
        .size:           64
        .value_kind:     by_value
    .group_segment_fixed_size: 0
    .kernarg_segment_align: 8
    .kernarg_segment_size: 64
    .language:       OpenCL C
    .language_version:
      - 2
      - 0
    .max_flat_workgroup_size: 256
    .name:           _ZN7rocprim17ROCPRIM_400000_NS6detail17trampoline_kernelINS0_14default_configENS1_38merge_sort_block_merge_config_selectorIlNS0_10empty_typeEEEZZNS1_27merge_sort_block_merge_implIS3_PlPS5_mZN2at6native12_GLOBAL__N_124unique_dim_cuda_templateIaEESt5tupleIJNSA_6TensorESF_SF_EERKSF_lbbbEUlllE_EE10hipError_tT0_T1_T2_jT3_P12ihipStream_tbPNSt15iterator_traitsISL_E10value_typeEPNSR_ISM_E10value_typeEPSN_NS1_7vsmem_tEENKUlT_SL_SM_SN_E_clIS8_S8_S9_S9_EESK_S10_SL_SM_SN_EUlS10_E1_NS1_11comp_targetILNS1_3genE4ELNS1_11target_archE910ELNS1_3gpuE8ELNS1_3repE0EEENS1_36merge_oddeven_config_static_selectorELNS0_4arch9wavefront6targetE1EEEvSM_
    .private_segment_fixed_size: 0
    .sgpr_count:     6
    .sgpr_spill_count: 0
    .symbol:         _ZN7rocprim17ROCPRIM_400000_NS6detail17trampoline_kernelINS0_14default_configENS1_38merge_sort_block_merge_config_selectorIlNS0_10empty_typeEEEZZNS1_27merge_sort_block_merge_implIS3_PlPS5_mZN2at6native12_GLOBAL__N_124unique_dim_cuda_templateIaEESt5tupleIJNSA_6TensorESF_SF_EERKSF_lbbbEUlllE_EE10hipError_tT0_T1_T2_jT3_P12ihipStream_tbPNSt15iterator_traitsISL_E10value_typeEPNSR_ISM_E10value_typeEPSN_NS1_7vsmem_tEENKUlT_SL_SM_SN_E_clIS8_S8_S9_S9_EESK_S10_SL_SM_SN_EUlS10_E1_NS1_11comp_targetILNS1_3genE4ELNS1_11target_archE910ELNS1_3gpuE8ELNS1_3repE0EEENS1_36merge_oddeven_config_static_selectorELNS0_4arch9wavefront6targetE1EEEvSM_.kd
    .uniform_work_group_size: 1
    .uses_dynamic_stack: false
    .vgpr_count:     0
    .vgpr_spill_count: 0
    .wavefront_size: 64
  - .agpr_count:     0
    .args:
      - .offset:         0
        .size:           64
        .value_kind:     by_value
    .group_segment_fixed_size: 0
    .kernarg_segment_align: 8
    .kernarg_segment_size: 64
    .language:       OpenCL C
    .language_version:
      - 2
      - 0
    .max_flat_workgroup_size: 256
    .name:           _ZN7rocprim17ROCPRIM_400000_NS6detail17trampoline_kernelINS0_14default_configENS1_38merge_sort_block_merge_config_selectorIlNS0_10empty_typeEEEZZNS1_27merge_sort_block_merge_implIS3_PlPS5_mZN2at6native12_GLOBAL__N_124unique_dim_cuda_templateIaEESt5tupleIJNSA_6TensorESF_SF_EERKSF_lbbbEUlllE_EE10hipError_tT0_T1_T2_jT3_P12ihipStream_tbPNSt15iterator_traitsISL_E10value_typeEPNSR_ISM_E10value_typeEPSN_NS1_7vsmem_tEENKUlT_SL_SM_SN_E_clIS8_S8_S9_S9_EESK_S10_SL_SM_SN_EUlS10_E1_NS1_11comp_targetILNS1_3genE3ELNS1_11target_archE908ELNS1_3gpuE7ELNS1_3repE0EEENS1_36merge_oddeven_config_static_selectorELNS0_4arch9wavefront6targetE1EEEvSM_
    .private_segment_fixed_size: 0
    .sgpr_count:     6
    .sgpr_spill_count: 0
    .symbol:         _ZN7rocprim17ROCPRIM_400000_NS6detail17trampoline_kernelINS0_14default_configENS1_38merge_sort_block_merge_config_selectorIlNS0_10empty_typeEEEZZNS1_27merge_sort_block_merge_implIS3_PlPS5_mZN2at6native12_GLOBAL__N_124unique_dim_cuda_templateIaEESt5tupleIJNSA_6TensorESF_SF_EERKSF_lbbbEUlllE_EE10hipError_tT0_T1_T2_jT3_P12ihipStream_tbPNSt15iterator_traitsISL_E10value_typeEPNSR_ISM_E10value_typeEPSN_NS1_7vsmem_tEENKUlT_SL_SM_SN_E_clIS8_S8_S9_S9_EESK_S10_SL_SM_SN_EUlS10_E1_NS1_11comp_targetILNS1_3genE3ELNS1_11target_archE908ELNS1_3gpuE7ELNS1_3repE0EEENS1_36merge_oddeven_config_static_selectorELNS0_4arch9wavefront6targetE1EEEvSM_.kd
    .uniform_work_group_size: 1
    .uses_dynamic_stack: false
    .vgpr_count:     0
    .vgpr_spill_count: 0
    .wavefront_size: 64
  - .agpr_count:     0
    .args:
      - .offset:         0
        .size:           64
        .value_kind:     by_value
    .group_segment_fixed_size: 0
    .kernarg_segment_align: 8
    .kernarg_segment_size: 64
    .language:       OpenCL C
    .language_version:
      - 2
      - 0
    .max_flat_workgroup_size: 256
    .name:           _ZN7rocprim17ROCPRIM_400000_NS6detail17trampoline_kernelINS0_14default_configENS1_38merge_sort_block_merge_config_selectorIlNS0_10empty_typeEEEZZNS1_27merge_sort_block_merge_implIS3_PlPS5_mZN2at6native12_GLOBAL__N_124unique_dim_cuda_templateIaEESt5tupleIJNSA_6TensorESF_SF_EERKSF_lbbbEUlllE_EE10hipError_tT0_T1_T2_jT3_P12ihipStream_tbPNSt15iterator_traitsISL_E10value_typeEPNSR_ISM_E10value_typeEPSN_NS1_7vsmem_tEENKUlT_SL_SM_SN_E_clIS8_S8_S9_S9_EESK_S10_SL_SM_SN_EUlS10_E1_NS1_11comp_targetILNS1_3genE2ELNS1_11target_archE906ELNS1_3gpuE6ELNS1_3repE0EEENS1_36merge_oddeven_config_static_selectorELNS0_4arch9wavefront6targetE1EEEvSM_
    .private_segment_fixed_size: 0
    .sgpr_count:     6
    .sgpr_spill_count: 0
    .symbol:         _ZN7rocprim17ROCPRIM_400000_NS6detail17trampoline_kernelINS0_14default_configENS1_38merge_sort_block_merge_config_selectorIlNS0_10empty_typeEEEZZNS1_27merge_sort_block_merge_implIS3_PlPS5_mZN2at6native12_GLOBAL__N_124unique_dim_cuda_templateIaEESt5tupleIJNSA_6TensorESF_SF_EERKSF_lbbbEUlllE_EE10hipError_tT0_T1_T2_jT3_P12ihipStream_tbPNSt15iterator_traitsISL_E10value_typeEPNSR_ISM_E10value_typeEPSN_NS1_7vsmem_tEENKUlT_SL_SM_SN_E_clIS8_S8_S9_S9_EESK_S10_SL_SM_SN_EUlS10_E1_NS1_11comp_targetILNS1_3genE2ELNS1_11target_archE906ELNS1_3gpuE6ELNS1_3repE0EEENS1_36merge_oddeven_config_static_selectorELNS0_4arch9wavefront6targetE1EEEvSM_.kd
    .uniform_work_group_size: 1
    .uses_dynamic_stack: false
    .vgpr_count:     0
    .vgpr_spill_count: 0
    .wavefront_size: 64
  - .agpr_count:     0
    .args:
      - .offset:         0
        .size:           64
        .value_kind:     by_value
    .group_segment_fixed_size: 0
    .kernarg_segment_align: 8
    .kernarg_segment_size: 64
    .language:       OpenCL C
    .language_version:
      - 2
      - 0
    .max_flat_workgroup_size: 256
    .name:           _ZN7rocprim17ROCPRIM_400000_NS6detail17trampoline_kernelINS0_14default_configENS1_38merge_sort_block_merge_config_selectorIlNS0_10empty_typeEEEZZNS1_27merge_sort_block_merge_implIS3_PlPS5_mZN2at6native12_GLOBAL__N_124unique_dim_cuda_templateIaEESt5tupleIJNSA_6TensorESF_SF_EERKSF_lbbbEUlllE_EE10hipError_tT0_T1_T2_jT3_P12ihipStream_tbPNSt15iterator_traitsISL_E10value_typeEPNSR_ISM_E10value_typeEPSN_NS1_7vsmem_tEENKUlT_SL_SM_SN_E_clIS8_S8_S9_S9_EESK_S10_SL_SM_SN_EUlS10_E1_NS1_11comp_targetILNS1_3genE9ELNS1_11target_archE1100ELNS1_3gpuE3ELNS1_3repE0EEENS1_36merge_oddeven_config_static_selectorELNS0_4arch9wavefront6targetE1EEEvSM_
    .private_segment_fixed_size: 0
    .sgpr_count:     6
    .sgpr_spill_count: 0
    .symbol:         _ZN7rocprim17ROCPRIM_400000_NS6detail17trampoline_kernelINS0_14default_configENS1_38merge_sort_block_merge_config_selectorIlNS0_10empty_typeEEEZZNS1_27merge_sort_block_merge_implIS3_PlPS5_mZN2at6native12_GLOBAL__N_124unique_dim_cuda_templateIaEESt5tupleIJNSA_6TensorESF_SF_EERKSF_lbbbEUlllE_EE10hipError_tT0_T1_T2_jT3_P12ihipStream_tbPNSt15iterator_traitsISL_E10value_typeEPNSR_ISM_E10value_typeEPSN_NS1_7vsmem_tEENKUlT_SL_SM_SN_E_clIS8_S8_S9_S9_EESK_S10_SL_SM_SN_EUlS10_E1_NS1_11comp_targetILNS1_3genE9ELNS1_11target_archE1100ELNS1_3gpuE3ELNS1_3repE0EEENS1_36merge_oddeven_config_static_selectorELNS0_4arch9wavefront6targetE1EEEvSM_.kd
    .uniform_work_group_size: 1
    .uses_dynamic_stack: false
    .vgpr_count:     0
    .vgpr_spill_count: 0
    .wavefront_size: 64
  - .agpr_count:     0
    .args:
      - .offset:         0
        .size:           64
        .value_kind:     by_value
    .group_segment_fixed_size: 0
    .kernarg_segment_align: 8
    .kernarg_segment_size: 64
    .language:       OpenCL C
    .language_version:
      - 2
      - 0
    .max_flat_workgroup_size: 256
    .name:           _ZN7rocprim17ROCPRIM_400000_NS6detail17trampoline_kernelINS0_14default_configENS1_38merge_sort_block_merge_config_selectorIlNS0_10empty_typeEEEZZNS1_27merge_sort_block_merge_implIS3_PlPS5_mZN2at6native12_GLOBAL__N_124unique_dim_cuda_templateIaEESt5tupleIJNSA_6TensorESF_SF_EERKSF_lbbbEUlllE_EE10hipError_tT0_T1_T2_jT3_P12ihipStream_tbPNSt15iterator_traitsISL_E10value_typeEPNSR_ISM_E10value_typeEPSN_NS1_7vsmem_tEENKUlT_SL_SM_SN_E_clIS8_S8_S9_S9_EESK_S10_SL_SM_SN_EUlS10_E1_NS1_11comp_targetILNS1_3genE8ELNS1_11target_archE1030ELNS1_3gpuE2ELNS1_3repE0EEENS1_36merge_oddeven_config_static_selectorELNS0_4arch9wavefront6targetE1EEEvSM_
    .private_segment_fixed_size: 0
    .sgpr_count:     6
    .sgpr_spill_count: 0
    .symbol:         _ZN7rocprim17ROCPRIM_400000_NS6detail17trampoline_kernelINS0_14default_configENS1_38merge_sort_block_merge_config_selectorIlNS0_10empty_typeEEEZZNS1_27merge_sort_block_merge_implIS3_PlPS5_mZN2at6native12_GLOBAL__N_124unique_dim_cuda_templateIaEESt5tupleIJNSA_6TensorESF_SF_EERKSF_lbbbEUlllE_EE10hipError_tT0_T1_T2_jT3_P12ihipStream_tbPNSt15iterator_traitsISL_E10value_typeEPNSR_ISM_E10value_typeEPSN_NS1_7vsmem_tEENKUlT_SL_SM_SN_E_clIS8_S8_S9_S9_EESK_S10_SL_SM_SN_EUlS10_E1_NS1_11comp_targetILNS1_3genE8ELNS1_11target_archE1030ELNS1_3gpuE2ELNS1_3repE0EEENS1_36merge_oddeven_config_static_selectorELNS0_4arch9wavefront6targetE1EEEvSM_.kd
    .uniform_work_group_size: 1
    .uses_dynamic_stack: false
    .vgpr_count:     0
    .vgpr_spill_count: 0
    .wavefront_size: 64
  - .agpr_count:     0
    .args:
      - .offset:         0
        .size:           64
        .value_kind:     by_value
    .group_segment_fixed_size: 2048
    .kernarg_segment_align: 8
    .kernarg_segment_size: 64
    .language:       OpenCL C
    .language_version:
      - 2
      - 0
    .max_flat_workgroup_size: 128
    .name:           _ZN7rocprim17ROCPRIM_400000_NS6detail17trampoline_kernelINS0_14default_configENS1_35adjacent_difference_config_selectorILb0ElEEZNS1_24adjacent_difference_implIS3_Lb0ELb0EPlS7_ZN2at6native12_GLOBAL__N_124unique_dim_cuda_templateIaEESt5tupleIJNS8_6TensorESD_SD_EERKSD_lbbbEUlllE1_EE10hipError_tPvRmT2_T3_mT4_P12ihipStream_tbEUlT_E_NS1_11comp_targetILNS1_3genE0ELNS1_11target_archE4294967295ELNS1_3gpuE0ELNS1_3repE0EEENS1_30default_config_static_selectorELNS0_4arch9wavefront6targetE1EEEvT1_
    .private_segment_fixed_size: 0
    .sgpr_count:     38
    .sgpr_spill_count: 0
    .symbol:         _ZN7rocprim17ROCPRIM_400000_NS6detail17trampoline_kernelINS0_14default_configENS1_35adjacent_difference_config_selectorILb0ElEEZNS1_24adjacent_difference_implIS3_Lb0ELb0EPlS7_ZN2at6native12_GLOBAL__N_124unique_dim_cuda_templateIaEESt5tupleIJNS8_6TensorESD_SD_EERKSD_lbbbEUlllE1_EE10hipError_tPvRmT2_T3_mT4_P12ihipStream_tbEUlT_E_NS1_11comp_targetILNS1_3genE0ELNS1_11target_archE4294967295ELNS1_3gpuE0ELNS1_3repE0EEENS1_30default_config_static_selectorELNS0_4arch9wavefront6targetE1EEEvT1_.kd
    .uniform_work_group_size: 1
    .uses_dynamic_stack: false
    .vgpr_count:     12
    .vgpr_spill_count: 0
    .wavefront_size: 64
  - .agpr_count:     0
    .args:
      - .offset:         0
        .size:           64
        .value_kind:     by_value
    .group_segment_fixed_size: 0
    .kernarg_segment_align: 8
    .kernarg_segment_size: 64
    .language:       OpenCL C
    .language_version:
      - 2
      - 0
    .max_flat_workgroup_size: 128
    .name:           _ZN7rocprim17ROCPRIM_400000_NS6detail17trampoline_kernelINS0_14default_configENS1_35adjacent_difference_config_selectorILb0ElEEZNS1_24adjacent_difference_implIS3_Lb0ELb0EPlS7_ZN2at6native12_GLOBAL__N_124unique_dim_cuda_templateIaEESt5tupleIJNS8_6TensorESD_SD_EERKSD_lbbbEUlllE1_EE10hipError_tPvRmT2_T3_mT4_P12ihipStream_tbEUlT_E_NS1_11comp_targetILNS1_3genE10ELNS1_11target_archE1201ELNS1_3gpuE5ELNS1_3repE0EEENS1_30default_config_static_selectorELNS0_4arch9wavefront6targetE1EEEvT1_
    .private_segment_fixed_size: 0
    .sgpr_count:     6
    .sgpr_spill_count: 0
    .symbol:         _ZN7rocprim17ROCPRIM_400000_NS6detail17trampoline_kernelINS0_14default_configENS1_35adjacent_difference_config_selectorILb0ElEEZNS1_24adjacent_difference_implIS3_Lb0ELb0EPlS7_ZN2at6native12_GLOBAL__N_124unique_dim_cuda_templateIaEESt5tupleIJNS8_6TensorESD_SD_EERKSD_lbbbEUlllE1_EE10hipError_tPvRmT2_T3_mT4_P12ihipStream_tbEUlT_E_NS1_11comp_targetILNS1_3genE10ELNS1_11target_archE1201ELNS1_3gpuE5ELNS1_3repE0EEENS1_30default_config_static_selectorELNS0_4arch9wavefront6targetE1EEEvT1_.kd
    .uniform_work_group_size: 1
    .uses_dynamic_stack: false
    .vgpr_count:     0
    .vgpr_spill_count: 0
    .wavefront_size: 64
  - .agpr_count:     0
    .args:
      - .offset:         0
        .size:           64
        .value_kind:     by_value
    .group_segment_fixed_size: 0
    .kernarg_segment_align: 8
    .kernarg_segment_size: 64
    .language:       OpenCL C
    .language_version:
      - 2
      - 0
    .max_flat_workgroup_size: 64
    .name:           _ZN7rocprim17ROCPRIM_400000_NS6detail17trampoline_kernelINS0_14default_configENS1_35adjacent_difference_config_selectorILb0ElEEZNS1_24adjacent_difference_implIS3_Lb0ELb0EPlS7_ZN2at6native12_GLOBAL__N_124unique_dim_cuda_templateIaEESt5tupleIJNS8_6TensorESD_SD_EERKSD_lbbbEUlllE1_EE10hipError_tPvRmT2_T3_mT4_P12ihipStream_tbEUlT_E_NS1_11comp_targetILNS1_3genE5ELNS1_11target_archE942ELNS1_3gpuE9ELNS1_3repE0EEENS1_30default_config_static_selectorELNS0_4arch9wavefront6targetE1EEEvT1_
    .private_segment_fixed_size: 0
    .sgpr_count:     6
    .sgpr_spill_count: 0
    .symbol:         _ZN7rocprim17ROCPRIM_400000_NS6detail17trampoline_kernelINS0_14default_configENS1_35adjacent_difference_config_selectorILb0ElEEZNS1_24adjacent_difference_implIS3_Lb0ELb0EPlS7_ZN2at6native12_GLOBAL__N_124unique_dim_cuda_templateIaEESt5tupleIJNS8_6TensorESD_SD_EERKSD_lbbbEUlllE1_EE10hipError_tPvRmT2_T3_mT4_P12ihipStream_tbEUlT_E_NS1_11comp_targetILNS1_3genE5ELNS1_11target_archE942ELNS1_3gpuE9ELNS1_3repE0EEENS1_30default_config_static_selectorELNS0_4arch9wavefront6targetE1EEEvT1_.kd
    .uniform_work_group_size: 1
    .uses_dynamic_stack: false
    .vgpr_count:     0
    .vgpr_spill_count: 0
    .wavefront_size: 64
  - .agpr_count:     0
    .args:
      - .offset:         0
        .size:           64
        .value_kind:     by_value
    .group_segment_fixed_size: 0
    .kernarg_segment_align: 8
    .kernarg_segment_size: 64
    .language:       OpenCL C
    .language_version:
      - 2
      - 0
    .max_flat_workgroup_size: 256
    .name:           _ZN7rocprim17ROCPRIM_400000_NS6detail17trampoline_kernelINS0_14default_configENS1_35adjacent_difference_config_selectorILb0ElEEZNS1_24adjacent_difference_implIS3_Lb0ELb0EPlS7_ZN2at6native12_GLOBAL__N_124unique_dim_cuda_templateIaEESt5tupleIJNS8_6TensorESD_SD_EERKSD_lbbbEUlllE1_EE10hipError_tPvRmT2_T3_mT4_P12ihipStream_tbEUlT_E_NS1_11comp_targetILNS1_3genE4ELNS1_11target_archE910ELNS1_3gpuE8ELNS1_3repE0EEENS1_30default_config_static_selectorELNS0_4arch9wavefront6targetE1EEEvT1_
    .private_segment_fixed_size: 0
    .sgpr_count:     6
    .sgpr_spill_count: 0
    .symbol:         _ZN7rocprim17ROCPRIM_400000_NS6detail17trampoline_kernelINS0_14default_configENS1_35adjacent_difference_config_selectorILb0ElEEZNS1_24adjacent_difference_implIS3_Lb0ELb0EPlS7_ZN2at6native12_GLOBAL__N_124unique_dim_cuda_templateIaEESt5tupleIJNS8_6TensorESD_SD_EERKSD_lbbbEUlllE1_EE10hipError_tPvRmT2_T3_mT4_P12ihipStream_tbEUlT_E_NS1_11comp_targetILNS1_3genE4ELNS1_11target_archE910ELNS1_3gpuE8ELNS1_3repE0EEENS1_30default_config_static_selectorELNS0_4arch9wavefront6targetE1EEEvT1_.kd
    .uniform_work_group_size: 1
    .uses_dynamic_stack: false
    .vgpr_count:     0
    .vgpr_spill_count: 0
    .wavefront_size: 64
  - .agpr_count:     0
    .args:
      - .offset:         0
        .size:           64
        .value_kind:     by_value
    .group_segment_fixed_size: 0
    .kernarg_segment_align: 8
    .kernarg_segment_size: 64
    .language:       OpenCL C
    .language_version:
      - 2
      - 0
    .max_flat_workgroup_size: 128
    .name:           _ZN7rocprim17ROCPRIM_400000_NS6detail17trampoline_kernelINS0_14default_configENS1_35adjacent_difference_config_selectorILb0ElEEZNS1_24adjacent_difference_implIS3_Lb0ELb0EPlS7_ZN2at6native12_GLOBAL__N_124unique_dim_cuda_templateIaEESt5tupleIJNS8_6TensorESD_SD_EERKSD_lbbbEUlllE1_EE10hipError_tPvRmT2_T3_mT4_P12ihipStream_tbEUlT_E_NS1_11comp_targetILNS1_3genE3ELNS1_11target_archE908ELNS1_3gpuE7ELNS1_3repE0EEENS1_30default_config_static_selectorELNS0_4arch9wavefront6targetE1EEEvT1_
    .private_segment_fixed_size: 0
    .sgpr_count:     6
    .sgpr_spill_count: 0
    .symbol:         _ZN7rocprim17ROCPRIM_400000_NS6detail17trampoline_kernelINS0_14default_configENS1_35adjacent_difference_config_selectorILb0ElEEZNS1_24adjacent_difference_implIS3_Lb0ELb0EPlS7_ZN2at6native12_GLOBAL__N_124unique_dim_cuda_templateIaEESt5tupleIJNS8_6TensorESD_SD_EERKSD_lbbbEUlllE1_EE10hipError_tPvRmT2_T3_mT4_P12ihipStream_tbEUlT_E_NS1_11comp_targetILNS1_3genE3ELNS1_11target_archE908ELNS1_3gpuE7ELNS1_3repE0EEENS1_30default_config_static_selectorELNS0_4arch9wavefront6targetE1EEEvT1_.kd
    .uniform_work_group_size: 1
    .uses_dynamic_stack: false
    .vgpr_count:     0
    .vgpr_spill_count: 0
    .wavefront_size: 64
  - .agpr_count:     0
    .args:
      - .offset:         0
        .size:           64
        .value_kind:     by_value
    .group_segment_fixed_size: 0
    .kernarg_segment_align: 8
    .kernarg_segment_size: 64
    .language:       OpenCL C
    .language_version:
      - 2
      - 0
    .max_flat_workgroup_size: 128
    .name:           _ZN7rocprim17ROCPRIM_400000_NS6detail17trampoline_kernelINS0_14default_configENS1_35adjacent_difference_config_selectorILb0ElEEZNS1_24adjacent_difference_implIS3_Lb0ELb0EPlS7_ZN2at6native12_GLOBAL__N_124unique_dim_cuda_templateIaEESt5tupleIJNS8_6TensorESD_SD_EERKSD_lbbbEUlllE1_EE10hipError_tPvRmT2_T3_mT4_P12ihipStream_tbEUlT_E_NS1_11comp_targetILNS1_3genE2ELNS1_11target_archE906ELNS1_3gpuE6ELNS1_3repE0EEENS1_30default_config_static_selectorELNS0_4arch9wavefront6targetE1EEEvT1_
    .private_segment_fixed_size: 0
    .sgpr_count:     6
    .sgpr_spill_count: 0
    .symbol:         _ZN7rocprim17ROCPRIM_400000_NS6detail17trampoline_kernelINS0_14default_configENS1_35adjacent_difference_config_selectorILb0ElEEZNS1_24adjacent_difference_implIS3_Lb0ELb0EPlS7_ZN2at6native12_GLOBAL__N_124unique_dim_cuda_templateIaEESt5tupleIJNS8_6TensorESD_SD_EERKSD_lbbbEUlllE1_EE10hipError_tPvRmT2_T3_mT4_P12ihipStream_tbEUlT_E_NS1_11comp_targetILNS1_3genE2ELNS1_11target_archE906ELNS1_3gpuE6ELNS1_3repE0EEENS1_30default_config_static_selectorELNS0_4arch9wavefront6targetE1EEEvT1_.kd
    .uniform_work_group_size: 1
    .uses_dynamic_stack: false
    .vgpr_count:     0
    .vgpr_spill_count: 0
    .wavefront_size: 64
  - .agpr_count:     0
    .args:
      - .offset:         0
        .size:           64
        .value_kind:     by_value
    .group_segment_fixed_size: 0
    .kernarg_segment_align: 8
    .kernarg_segment_size: 64
    .language:       OpenCL C
    .language_version:
      - 2
      - 0
    .max_flat_workgroup_size: 512
    .name:           _ZN7rocprim17ROCPRIM_400000_NS6detail17trampoline_kernelINS0_14default_configENS1_35adjacent_difference_config_selectorILb0ElEEZNS1_24adjacent_difference_implIS3_Lb0ELb0EPlS7_ZN2at6native12_GLOBAL__N_124unique_dim_cuda_templateIaEESt5tupleIJNS8_6TensorESD_SD_EERKSD_lbbbEUlllE1_EE10hipError_tPvRmT2_T3_mT4_P12ihipStream_tbEUlT_E_NS1_11comp_targetILNS1_3genE9ELNS1_11target_archE1100ELNS1_3gpuE3ELNS1_3repE0EEENS1_30default_config_static_selectorELNS0_4arch9wavefront6targetE1EEEvT1_
    .private_segment_fixed_size: 0
    .sgpr_count:     6
    .sgpr_spill_count: 0
    .symbol:         _ZN7rocprim17ROCPRIM_400000_NS6detail17trampoline_kernelINS0_14default_configENS1_35adjacent_difference_config_selectorILb0ElEEZNS1_24adjacent_difference_implIS3_Lb0ELb0EPlS7_ZN2at6native12_GLOBAL__N_124unique_dim_cuda_templateIaEESt5tupleIJNS8_6TensorESD_SD_EERKSD_lbbbEUlllE1_EE10hipError_tPvRmT2_T3_mT4_P12ihipStream_tbEUlT_E_NS1_11comp_targetILNS1_3genE9ELNS1_11target_archE1100ELNS1_3gpuE3ELNS1_3repE0EEENS1_30default_config_static_selectorELNS0_4arch9wavefront6targetE1EEEvT1_.kd
    .uniform_work_group_size: 1
    .uses_dynamic_stack: false
    .vgpr_count:     0
    .vgpr_spill_count: 0
    .wavefront_size: 64
  - .agpr_count:     0
    .args:
      - .offset:         0
        .size:           64
        .value_kind:     by_value
    .group_segment_fixed_size: 0
    .kernarg_segment_align: 8
    .kernarg_segment_size: 64
    .language:       OpenCL C
    .language_version:
      - 2
      - 0
    .max_flat_workgroup_size: 1024
    .name:           _ZN7rocprim17ROCPRIM_400000_NS6detail17trampoline_kernelINS0_14default_configENS1_35adjacent_difference_config_selectorILb0ElEEZNS1_24adjacent_difference_implIS3_Lb0ELb0EPlS7_ZN2at6native12_GLOBAL__N_124unique_dim_cuda_templateIaEESt5tupleIJNS8_6TensorESD_SD_EERKSD_lbbbEUlllE1_EE10hipError_tPvRmT2_T3_mT4_P12ihipStream_tbEUlT_E_NS1_11comp_targetILNS1_3genE8ELNS1_11target_archE1030ELNS1_3gpuE2ELNS1_3repE0EEENS1_30default_config_static_selectorELNS0_4arch9wavefront6targetE1EEEvT1_
    .private_segment_fixed_size: 0
    .sgpr_count:     6
    .sgpr_spill_count: 0
    .symbol:         _ZN7rocprim17ROCPRIM_400000_NS6detail17trampoline_kernelINS0_14default_configENS1_35adjacent_difference_config_selectorILb0ElEEZNS1_24adjacent_difference_implIS3_Lb0ELb0EPlS7_ZN2at6native12_GLOBAL__N_124unique_dim_cuda_templateIaEESt5tupleIJNS8_6TensorESD_SD_EERKSD_lbbbEUlllE1_EE10hipError_tPvRmT2_T3_mT4_P12ihipStream_tbEUlT_E_NS1_11comp_targetILNS1_3genE8ELNS1_11target_archE1030ELNS1_3gpuE2ELNS1_3repE0EEENS1_30default_config_static_selectorELNS0_4arch9wavefront6targetE1EEEvT1_.kd
    .uniform_work_group_size: 1
    .uses_dynamic_stack: false
    .vgpr_count:     0
    .vgpr_spill_count: 0
    .wavefront_size: 64
  - .agpr_count:     0
    .args:
      - .offset:         0
        .size:           56
        .value_kind:     by_value
      - .offset:         56
        .size:           4
        .value_kind:     hidden_block_count_x
      - .offset:         60
        .size:           4
        .value_kind:     hidden_block_count_y
      - .offset:         64
        .size:           4
        .value_kind:     hidden_block_count_z
      - .offset:         68
        .size:           2
        .value_kind:     hidden_group_size_x
      - .offset:         70
        .size:           2
        .value_kind:     hidden_group_size_y
      - .offset:         72
        .size:           2
        .value_kind:     hidden_group_size_z
      - .offset:         74
        .size:           2
        .value_kind:     hidden_remainder_x
      - .offset:         76
        .size:           2
        .value_kind:     hidden_remainder_y
      - .offset:         78
        .size:           2
        .value_kind:     hidden_remainder_z
      - .offset:         96
        .size:           8
        .value_kind:     hidden_global_offset_x
      - .offset:         104
        .size:           8
        .value_kind:     hidden_global_offset_y
      - .offset:         112
        .size:           8
        .value_kind:     hidden_global_offset_z
      - .offset:         120
        .size:           2
        .value_kind:     hidden_grid_dims
    .group_segment_fixed_size: 0
    .kernarg_segment_align: 8
    .kernarg_segment_size: 312
    .language:       OpenCL C
    .language_version:
      - 2
      - 0
    .max_flat_workgroup_size: 128
    .name:           _ZN7rocprim17ROCPRIM_400000_NS6detail17trampoline_kernelINS0_14default_configENS1_25transform_config_selectorIlLb0EEEZNS1_14transform_implILb0ES3_S5_NS0_18transform_iteratorINS0_17counting_iteratorImlEEZNS1_24adjacent_difference_implIS3_Lb1ELb0EPlSB_ZN2at6native12_GLOBAL__N_124unique_dim_cuda_templateIaEESt5tupleIJNSC_6TensorESH_SH_EERKSH_lbbbEUlllE1_EE10hipError_tPvRmT2_T3_mT4_P12ihipStream_tbEUlmE_lEESB_NS0_8identityIvEEEESM_SP_SQ_mSR_ST_bEUlT_E_NS1_11comp_targetILNS1_3genE0ELNS1_11target_archE4294967295ELNS1_3gpuE0ELNS1_3repE0EEENS1_30default_config_static_selectorELNS0_4arch9wavefront6targetE1EEEvT1_
    .private_segment_fixed_size: 0
    .sgpr_count:     18
    .sgpr_spill_count: 0
    .symbol:         _ZN7rocprim17ROCPRIM_400000_NS6detail17trampoline_kernelINS0_14default_configENS1_25transform_config_selectorIlLb0EEEZNS1_14transform_implILb0ES3_S5_NS0_18transform_iteratorINS0_17counting_iteratorImlEEZNS1_24adjacent_difference_implIS3_Lb1ELb0EPlSB_ZN2at6native12_GLOBAL__N_124unique_dim_cuda_templateIaEESt5tupleIJNSC_6TensorESH_SH_EERKSH_lbbbEUlllE1_EE10hipError_tPvRmT2_T3_mT4_P12ihipStream_tbEUlmE_lEESB_NS0_8identityIvEEEESM_SP_SQ_mSR_ST_bEUlT_E_NS1_11comp_targetILNS1_3genE0ELNS1_11target_archE4294967295ELNS1_3gpuE0ELNS1_3repE0EEENS1_30default_config_static_selectorELNS0_4arch9wavefront6targetE1EEEvT1_.kd
    .uniform_work_group_size: 1
    .uses_dynamic_stack: false
    .vgpr_count:     8
    .vgpr_spill_count: 0
    .wavefront_size: 64
  - .agpr_count:     0
    .args:
      - .offset:         0
        .size:           56
        .value_kind:     by_value
    .group_segment_fixed_size: 0
    .kernarg_segment_align: 8
    .kernarg_segment_size: 56
    .language:       OpenCL C
    .language_version:
      - 2
      - 0
    .max_flat_workgroup_size: 512
    .name:           _ZN7rocprim17ROCPRIM_400000_NS6detail17trampoline_kernelINS0_14default_configENS1_25transform_config_selectorIlLb0EEEZNS1_14transform_implILb0ES3_S5_NS0_18transform_iteratorINS0_17counting_iteratorImlEEZNS1_24adjacent_difference_implIS3_Lb1ELb0EPlSB_ZN2at6native12_GLOBAL__N_124unique_dim_cuda_templateIaEESt5tupleIJNSC_6TensorESH_SH_EERKSH_lbbbEUlllE1_EE10hipError_tPvRmT2_T3_mT4_P12ihipStream_tbEUlmE_lEESB_NS0_8identityIvEEEESM_SP_SQ_mSR_ST_bEUlT_E_NS1_11comp_targetILNS1_3genE5ELNS1_11target_archE942ELNS1_3gpuE9ELNS1_3repE0EEENS1_30default_config_static_selectorELNS0_4arch9wavefront6targetE1EEEvT1_
    .private_segment_fixed_size: 0
    .sgpr_count:     6
    .sgpr_spill_count: 0
    .symbol:         _ZN7rocprim17ROCPRIM_400000_NS6detail17trampoline_kernelINS0_14default_configENS1_25transform_config_selectorIlLb0EEEZNS1_14transform_implILb0ES3_S5_NS0_18transform_iteratorINS0_17counting_iteratorImlEEZNS1_24adjacent_difference_implIS3_Lb1ELb0EPlSB_ZN2at6native12_GLOBAL__N_124unique_dim_cuda_templateIaEESt5tupleIJNSC_6TensorESH_SH_EERKSH_lbbbEUlllE1_EE10hipError_tPvRmT2_T3_mT4_P12ihipStream_tbEUlmE_lEESB_NS0_8identityIvEEEESM_SP_SQ_mSR_ST_bEUlT_E_NS1_11comp_targetILNS1_3genE5ELNS1_11target_archE942ELNS1_3gpuE9ELNS1_3repE0EEENS1_30default_config_static_selectorELNS0_4arch9wavefront6targetE1EEEvT1_.kd
    .uniform_work_group_size: 1
    .uses_dynamic_stack: false
    .vgpr_count:     0
    .vgpr_spill_count: 0
    .wavefront_size: 64
  - .agpr_count:     0
    .args:
      - .offset:         0
        .size:           56
        .value_kind:     by_value
    .group_segment_fixed_size: 0
    .kernarg_segment_align: 8
    .kernarg_segment_size: 56
    .language:       OpenCL C
    .language_version:
      - 2
      - 0
    .max_flat_workgroup_size: 256
    .name:           _ZN7rocprim17ROCPRIM_400000_NS6detail17trampoline_kernelINS0_14default_configENS1_25transform_config_selectorIlLb0EEEZNS1_14transform_implILb0ES3_S5_NS0_18transform_iteratorINS0_17counting_iteratorImlEEZNS1_24adjacent_difference_implIS3_Lb1ELb0EPlSB_ZN2at6native12_GLOBAL__N_124unique_dim_cuda_templateIaEESt5tupleIJNSC_6TensorESH_SH_EERKSH_lbbbEUlllE1_EE10hipError_tPvRmT2_T3_mT4_P12ihipStream_tbEUlmE_lEESB_NS0_8identityIvEEEESM_SP_SQ_mSR_ST_bEUlT_E_NS1_11comp_targetILNS1_3genE4ELNS1_11target_archE910ELNS1_3gpuE8ELNS1_3repE0EEENS1_30default_config_static_selectorELNS0_4arch9wavefront6targetE1EEEvT1_
    .private_segment_fixed_size: 0
    .sgpr_count:     6
    .sgpr_spill_count: 0
    .symbol:         _ZN7rocprim17ROCPRIM_400000_NS6detail17trampoline_kernelINS0_14default_configENS1_25transform_config_selectorIlLb0EEEZNS1_14transform_implILb0ES3_S5_NS0_18transform_iteratorINS0_17counting_iteratorImlEEZNS1_24adjacent_difference_implIS3_Lb1ELb0EPlSB_ZN2at6native12_GLOBAL__N_124unique_dim_cuda_templateIaEESt5tupleIJNSC_6TensorESH_SH_EERKSH_lbbbEUlllE1_EE10hipError_tPvRmT2_T3_mT4_P12ihipStream_tbEUlmE_lEESB_NS0_8identityIvEEEESM_SP_SQ_mSR_ST_bEUlT_E_NS1_11comp_targetILNS1_3genE4ELNS1_11target_archE910ELNS1_3gpuE8ELNS1_3repE0EEENS1_30default_config_static_selectorELNS0_4arch9wavefront6targetE1EEEvT1_.kd
    .uniform_work_group_size: 1
    .uses_dynamic_stack: false
    .vgpr_count:     0
    .vgpr_spill_count: 0
    .wavefront_size: 64
  - .agpr_count:     0
    .args:
      - .offset:         0
        .size:           56
        .value_kind:     by_value
    .group_segment_fixed_size: 0
    .kernarg_segment_align: 8
    .kernarg_segment_size: 56
    .language:       OpenCL C
    .language_version:
      - 2
      - 0
    .max_flat_workgroup_size: 128
    .name:           _ZN7rocprim17ROCPRIM_400000_NS6detail17trampoline_kernelINS0_14default_configENS1_25transform_config_selectorIlLb0EEEZNS1_14transform_implILb0ES3_S5_NS0_18transform_iteratorINS0_17counting_iteratorImlEEZNS1_24adjacent_difference_implIS3_Lb1ELb0EPlSB_ZN2at6native12_GLOBAL__N_124unique_dim_cuda_templateIaEESt5tupleIJNSC_6TensorESH_SH_EERKSH_lbbbEUlllE1_EE10hipError_tPvRmT2_T3_mT4_P12ihipStream_tbEUlmE_lEESB_NS0_8identityIvEEEESM_SP_SQ_mSR_ST_bEUlT_E_NS1_11comp_targetILNS1_3genE3ELNS1_11target_archE908ELNS1_3gpuE7ELNS1_3repE0EEENS1_30default_config_static_selectorELNS0_4arch9wavefront6targetE1EEEvT1_
    .private_segment_fixed_size: 0
    .sgpr_count:     6
    .sgpr_spill_count: 0
    .symbol:         _ZN7rocprim17ROCPRIM_400000_NS6detail17trampoline_kernelINS0_14default_configENS1_25transform_config_selectorIlLb0EEEZNS1_14transform_implILb0ES3_S5_NS0_18transform_iteratorINS0_17counting_iteratorImlEEZNS1_24adjacent_difference_implIS3_Lb1ELb0EPlSB_ZN2at6native12_GLOBAL__N_124unique_dim_cuda_templateIaEESt5tupleIJNSC_6TensorESH_SH_EERKSH_lbbbEUlllE1_EE10hipError_tPvRmT2_T3_mT4_P12ihipStream_tbEUlmE_lEESB_NS0_8identityIvEEEESM_SP_SQ_mSR_ST_bEUlT_E_NS1_11comp_targetILNS1_3genE3ELNS1_11target_archE908ELNS1_3gpuE7ELNS1_3repE0EEENS1_30default_config_static_selectorELNS0_4arch9wavefront6targetE1EEEvT1_.kd
    .uniform_work_group_size: 1
    .uses_dynamic_stack: false
    .vgpr_count:     0
    .vgpr_spill_count: 0
    .wavefront_size: 64
  - .agpr_count:     0
    .args:
      - .offset:         0
        .size:           56
        .value_kind:     by_value
    .group_segment_fixed_size: 0
    .kernarg_segment_align: 8
    .kernarg_segment_size: 56
    .language:       OpenCL C
    .language_version:
      - 2
      - 0
    .max_flat_workgroup_size: 512
    .name:           _ZN7rocprim17ROCPRIM_400000_NS6detail17trampoline_kernelINS0_14default_configENS1_25transform_config_selectorIlLb0EEEZNS1_14transform_implILb0ES3_S5_NS0_18transform_iteratorINS0_17counting_iteratorImlEEZNS1_24adjacent_difference_implIS3_Lb1ELb0EPlSB_ZN2at6native12_GLOBAL__N_124unique_dim_cuda_templateIaEESt5tupleIJNSC_6TensorESH_SH_EERKSH_lbbbEUlllE1_EE10hipError_tPvRmT2_T3_mT4_P12ihipStream_tbEUlmE_lEESB_NS0_8identityIvEEEESM_SP_SQ_mSR_ST_bEUlT_E_NS1_11comp_targetILNS1_3genE2ELNS1_11target_archE906ELNS1_3gpuE6ELNS1_3repE0EEENS1_30default_config_static_selectorELNS0_4arch9wavefront6targetE1EEEvT1_
    .private_segment_fixed_size: 0
    .sgpr_count:     6
    .sgpr_spill_count: 0
    .symbol:         _ZN7rocprim17ROCPRIM_400000_NS6detail17trampoline_kernelINS0_14default_configENS1_25transform_config_selectorIlLb0EEEZNS1_14transform_implILb0ES3_S5_NS0_18transform_iteratorINS0_17counting_iteratorImlEEZNS1_24adjacent_difference_implIS3_Lb1ELb0EPlSB_ZN2at6native12_GLOBAL__N_124unique_dim_cuda_templateIaEESt5tupleIJNSC_6TensorESH_SH_EERKSH_lbbbEUlllE1_EE10hipError_tPvRmT2_T3_mT4_P12ihipStream_tbEUlmE_lEESB_NS0_8identityIvEEEESM_SP_SQ_mSR_ST_bEUlT_E_NS1_11comp_targetILNS1_3genE2ELNS1_11target_archE906ELNS1_3gpuE6ELNS1_3repE0EEENS1_30default_config_static_selectorELNS0_4arch9wavefront6targetE1EEEvT1_.kd
    .uniform_work_group_size: 1
    .uses_dynamic_stack: false
    .vgpr_count:     0
    .vgpr_spill_count: 0
    .wavefront_size: 64
  - .agpr_count:     0
    .args:
      - .offset:         0
        .size:           56
        .value_kind:     by_value
    .group_segment_fixed_size: 0
    .kernarg_segment_align: 8
    .kernarg_segment_size: 56
    .language:       OpenCL C
    .language_version:
      - 2
      - 0
    .max_flat_workgroup_size: 1024
    .name:           _ZN7rocprim17ROCPRIM_400000_NS6detail17trampoline_kernelINS0_14default_configENS1_25transform_config_selectorIlLb0EEEZNS1_14transform_implILb0ES3_S5_NS0_18transform_iteratorINS0_17counting_iteratorImlEEZNS1_24adjacent_difference_implIS3_Lb1ELb0EPlSB_ZN2at6native12_GLOBAL__N_124unique_dim_cuda_templateIaEESt5tupleIJNSC_6TensorESH_SH_EERKSH_lbbbEUlllE1_EE10hipError_tPvRmT2_T3_mT4_P12ihipStream_tbEUlmE_lEESB_NS0_8identityIvEEEESM_SP_SQ_mSR_ST_bEUlT_E_NS1_11comp_targetILNS1_3genE10ELNS1_11target_archE1201ELNS1_3gpuE5ELNS1_3repE0EEENS1_30default_config_static_selectorELNS0_4arch9wavefront6targetE1EEEvT1_
    .private_segment_fixed_size: 0
    .sgpr_count:     6
    .sgpr_spill_count: 0
    .symbol:         _ZN7rocprim17ROCPRIM_400000_NS6detail17trampoline_kernelINS0_14default_configENS1_25transform_config_selectorIlLb0EEEZNS1_14transform_implILb0ES3_S5_NS0_18transform_iteratorINS0_17counting_iteratorImlEEZNS1_24adjacent_difference_implIS3_Lb1ELb0EPlSB_ZN2at6native12_GLOBAL__N_124unique_dim_cuda_templateIaEESt5tupleIJNSC_6TensorESH_SH_EERKSH_lbbbEUlllE1_EE10hipError_tPvRmT2_T3_mT4_P12ihipStream_tbEUlmE_lEESB_NS0_8identityIvEEEESM_SP_SQ_mSR_ST_bEUlT_E_NS1_11comp_targetILNS1_3genE10ELNS1_11target_archE1201ELNS1_3gpuE5ELNS1_3repE0EEENS1_30default_config_static_selectorELNS0_4arch9wavefront6targetE1EEEvT1_.kd
    .uniform_work_group_size: 1
    .uses_dynamic_stack: false
    .vgpr_count:     0
    .vgpr_spill_count: 0
    .wavefront_size: 64
  - .agpr_count:     0
    .args:
      - .offset:         0
        .size:           56
        .value_kind:     by_value
    .group_segment_fixed_size: 0
    .kernarg_segment_align: 8
    .kernarg_segment_size: 56
    .language:       OpenCL C
    .language_version:
      - 2
      - 0
    .max_flat_workgroup_size: 512
    .name:           _ZN7rocprim17ROCPRIM_400000_NS6detail17trampoline_kernelINS0_14default_configENS1_25transform_config_selectorIlLb0EEEZNS1_14transform_implILb0ES3_S5_NS0_18transform_iteratorINS0_17counting_iteratorImlEEZNS1_24adjacent_difference_implIS3_Lb1ELb0EPlSB_ZN2at6native12_GLOBAL__N_124unique_dim_cuda_templateIaEESt5tupleIJNSC_6TensorESH_SH_EERKSH_lbbbEUlllE1_EE10hipError_tPvRmT2_T3_mT4_P12ihipStream_tbEUlmE_lEESB_NS0_8identityIvEEEESM_SP_SQ_mSR_ST_bEUlT_E_NS1_11comp_targetILNS1_3genE10ELNS1_11target_archE1200ELNS1_3gpuE4ELNS1_3repE0EEENS1_30default_config_static_selectorELNS0_4arch9wavefront6targetE1EEEvT1_
    .private_segment_fixed_size: 0
    .sgpr_count:     6
    .sgpr_spill_count: 0
    .symbol:         _ZN7rocprim17ROCPRIM_400000_NS6detail17trampoline_kernelINS0_14default_configENS1_25transform_config_selectorIlLb0EEEZNS1_14transform_implILb0ES3_S5_NS0_18transform_iteratorINS0_17counting_iteratorImlEEZNS1_24adjacent_difference_implIS3_Lb1ELb0EPlSB_ZN2at6native12_GLOBAL__N_124unique_dim_cuda_templateIaEESt5tupleIJNSC_6TensorESH_SH_EERKSH_lbbbEUlllE1_EE10hipError_tPvRmT2_T3_mT4_P12ihipStream_tbEUlmE_lEESB_NS0_8identityIvEEEESM_SP_SQ_mSR_ST_bEUlT_E_NS1_11comp_targetILNS1_3genE10ELNS1_11target_archE1200ELNS1_3gpuE4ELNS1_3repE0EEENS1_30default_config_static_selectorELNS0_4arch9wavefront6targetE1EEEvT1_.kd
    .uniform_work_group_size: 1
    .uses_dynamic_stack: false
    .vgpr_count:     0
    .vgpr_spill_count: 0
    .wavefront_size: 64
  - .agpr_count:     0
    .args:
      - .offset:         0
        .size:           56
        .value_kind:     by_value
    .group_segment_fixed_size: 0
    .kernarg_segment_align: 8
    .kernarg_segment_size: 56
    .language:       OpenCL C
    .language_version:
      - 2
      - 0
    .max_flat_workgroup_size: 512
    .name:           _ZN7rocprim17ROCPRIM_400000_NS6detail17trampoline_kernelINS0_14default_configENS1_25transform_config_selectorIlLb0EEEZNS1_14transform_implILb0ES3_S5_NS0_18transform_iteratorINS0_17counting_iteratorImlEEZNS1_24adjacent_difference_implIS3_Lb1ELb0EPlSB_ZN2at6native12_GLOBAL__N_124unique_dim_cuda_templateIaEESt5tupleIJNSC_6TensorESH_SH_EERKSH_lbbbEUlllE1_EE10hipError_tPvRmT2_T3_mT4_P12ihipStream_tbEUlmE_lEESB_NS0_8identityIvEEEESM_SP_SQ_mSR_ST_bEUlT_E_NS1_11comp_targetILNS1_3genE9ELNS1_11target_archE1100ELNS1_3gpuE3ELNS1_3repE0EEENS1_30default_config_static_selectorELNS0_4arch9wavefront6targetE1EEEvT1_
    .private_segment_fixed_size: 0
    .sgpr_count:     6
    .sgpr_spill_count: 0
    .symbol:         _ZN7rocprim17ROCPRIM_400000_NS6detail17trampoline_kernelINS0_14default_configENS1_25transform_config_selectorIlLb0EEEZNS1_14transform_implILb0ES3_S5_NS0_18transform_iteratorINS0_17counting_iteratorImlEEZNS1_24adjacent_difference_implIS3_Lb1ELb0EPlSB_ZN2at6native12_GLOBAL__N_124unique_dim_cuda_templateIaEESt5tupleIJNSC_6TensorESH_SH_EERKSH_lbbbEUlllE1_EE10hipError_tPvRmT2_T3_mT4_P12ihipStream_tbEUlmE_lEESB_NS0_8identityIvEEEESM_SP_SQ_mSR_ST_bEUlT_E_NS1_11comp_targetILNS1_3genE9ELNS1_11target_archE1100ELNS1_3gpuE3ELNS1_3repE0EEENS1_30default_config_static_selectorELNS0_4arch9wavefront6targetE1EEEvT1_.kd
    .uniform_work_group_size: 1
    .uses_dynamic_stack: false
    .vgpr_count:     0
    .vgpr_spill_count: 0
    .wavefront_size: 64
  - .agpr_count:     0
    .args:
      - .offset:         0
        .size:           56
        .value_kind:     by_value
    .group_segment_fixed_size: 0
    .kernarg_segment_align: 8
    .kernarg_segment_size: 56
    .language:       OpenCL C
    .language_version:
      - 2
      - 0
    .max_flat_workgroup_size: 512
    .name:           _ZN7rocprim17ROCPRIM_400000_NS6detail17trampoline_kernelINS0_14default_configENS1_25transform_config_selectorIlLb0EEEZNS1_14transform_implILb0ES3_S5_NS0_18transform_iteratorINS0_17counting_iteratorImlEEZNS1_24adjacent_difference_implIS3_Lb1ELb0EPlSB_ZN2at6native12_GLOBAL__N_124unique_dim_cuda_templateIaEESt5tupleIJNSC_6TensorESH_SH_EERKSH_lbbbEUlllE1_EE10hipError_tPvRmT2_T3_mT4_P12ihipStream_tbEUlmE_lEESB_NS0_8identityIvEEEESM_SP_SQ_mSR_ST_bEUlT_E_NS1_11comp_targetILNS1_3genE8ELNS1_11target_archE1030ELNS1_3gpuE2ELNS1_3repE0EEENS1_30default_config_static_selectorELNS0_4arch9wavefront6targetE1EEEvT1_
    .private_segment_fixed_size: 0
    .sgpr_count:     6
    .sgpr_spill_count: 0
    .symbol:         _ZN7rocprim17ROCPRIM_400000_NS6detail17trampoline_kernelINS0_14default_configENS1_25transform_config_selectorIlLb0EEEZNS1_14transform_implILb0ES3_S5_NS0_18transform_iteratorINS0_17counting_iteratorImlEEZNS1_24adjacent_difference_implIS3_Lb1ELb0EPlSB_ZN2at6native12_GLOBAL__N_124unique_dim_cuda_templateIaEESt5tupleIJNSC_6TensorESH_SH_EERKSH_lbbbEUlllE1_EE10hipError_tPvRmT2_T3_mT4_P12ihipStream_tbEUlmE_lEESB_NS0_8identityIvEEEESM_SP_SQ_mSR_ST_bEUlT_E_NS1_11comp_targetILNS1_3genE8ELNS1_11target_archE1030ELNS1_3gpuE2ELNS1_3repE0EEENS1_30default_config_static_selectorELNS0_4arch9wavefront6targetE1EEEvT1_.kd
    .uniform_work_group_size: 1
    .uses_dynamic_stack: false
    .vgpr_count:     0
    .vgpr_spill_count: 0
    .wavefront_size: 64
  - .agpr_count:     0
    .args:
      - .offset:         0
        .size:           64
        .value_kind:     by_value
    .group_segment_fixed_size: 8448
    .kernarg_segment_align: 8
    .kernarg_segment_size: 64
    .language:       OpenCL C
    .language_version:
      - 2
      - 0
    .max_flat_workgroup_size: 512
    .name:           _ZN7rocprim17ROCPRIM_400000_NS6detail17trampoline_kernelINS0_14default_configENS1_35adjacent_difference_config_selectorILb1ElEEZNS1_24adjacent_difference_implIS3_Lb1ELb0EPlS7_ZN2at6native12_GLOBAL__N_124unique_dim_cuda_templateIaEESt5tupleIJNS8_6TensorESD_SD_EERKSD_lbbbEUlllE1_EE10hipError_tPvRmT2_T3_mT4_P12ihipStream_tbEUlT_E_NS1_11comp_targetILNS1_3genE0ELNS1_11target_archE4294967295ELNS1_3gpuE0ELNS1_3repE0EEENS1_30default_config_static_selectorELNS0_4arch9wavefront6targetE1EEEvT1_
    .private_segment_fixed_size: 0
    .sgpr_count:     42
    .sgpr_spill_count: 0
    .symbol:         _ZN7rocprim17ROCPRIM_400000_NS6detail17trampoline_kernelINS0_14default_configENS1_35adjacent_difference_config_selectorILb1ElEEZNS1_24adjacent_difference_implIS3_Lb1ELb0EPlS7_ZN2at6native12_GLOBAL__N_124unique_dim_cuda_templateIaEESt5tupleIJNS8_6TensorESD_SD_EERKSD_lbbbEUlllE1_EE10hipError_tPvRmT2_T3_mT4_P12ihipStream_tbEUlT_E_NS1_11comp_targetILNS1_3genE0ELNS1_11target_archE4294967295ELNS1_3gpuE0ELNS1_3repE0EEENS1_30default_config_static_selectorELNS0_4arch9wavefront6targetE1EEEvT1_.kd
    .uniform_work_group_size: 1
    .uses_dynamic_stack: false
    .vgpr_count:     16
    .vgpr_spill_count: 0
    .wavefront_size: 64
  - .agpr_count:     0
    .args:
      - .offset:         0
        .size:           64
        .value_kind:     by_value
    .group_segment_fixed_size: 0
    .kernarg_segment_align: 8
    .kernarg_segment_size: 64
    .language:       OpenCL C
    .language_version:
      - 2
      - 0
    .max_flat_workgroup_size: 32
    .name:           _ZN7rocprim17ROCPRIM_400000_NS6detail17trampoline_kernelINS0_14default_configENS1_35adjacent_difference_config_selectorILb1ElEEZNS1_24adjacent_difference_implIS3_Lb1ELb0EPlS7_ZN2at6native12_GLOBAL__N_124unique_dim_cuda_templateIaEESt5tupleIJNS8_6TensorESD_SD_EERKSD_lbbbEUlllE1_EE10hipError_tPvRmT2_T3_mT4_P12ihipStream_tbEUlT_E_NS1_11comp_targetILNS1_3genE10ELNS1_11target_archE1201ELNS1_3gpuE5ELNS1_3repE0EEENS1_30default_config_static_selectorELNS0_4arch9wavefront6targetE1EEEvT1_
    .private_segment_fixed_size: 0
    .sgpr_count:     6
    .sgpr_spill_count: 0
    .symbol:         _ZN7rocprim17ROCPRIM_400000_NS6detail17trampoline_kernelINS0_14default_configENS1_35adjacent_difference_config_selectorILb1ElEEZNS1_24adjacent_difference_implIS3_Lb1ELb0EPlS7_ZN2at6native12_GLOBAL__N_124unique_dim_cuda_templateIaEESt5tupleIJNS8_6TensorESD_SD_EERKSD_lbbbEUlllE1_EE10hipError_tPvRmT2_T3_mT4_P12ihipStream_tbEUlT_E_NS1_11comp_targetILNS1_3genE10ELNS1_11target_archE1201ELNS1_3gpuE5ELNS1_3repE0EEENS1_30default_config_static_selectorELNS0_4arch9wavefront6targetE1EEEvT1_.kd
    .uniform_work_group_size: 1
    .uses_dynamic_stack: false
    .vgpr_count:     0
    .vgpr_spill_count: 0
    .wavefront_size: 64
  - .agpr_count:     0
    .args:
      - .offset:         0
        .size:           64
        .value_kind:     by_value
    .group_segment_fixed_size: 0
    .kernarg_segment_align: 8
    .kernarg_segment_size: 64
    .language:       OpenCL C
    .language_version:
      - 2
      - 0
    .max_flat_workgroup_size: 256
    .name:           _ZN7rocprim17ROCPRIM_400000_NS6detail17trampoline_kernelINS0_14default_configENS1_35adjacent_difference_config_selectorILb1ElEEZNS1_24adjacent_difference_implIS3_Lb1ELb0EPlS7_ZN2at6native12_GLOBAL__N_124unique_dim_cuda_templateIaEESt5tupleIJNS8_6TensorESD_SD_EERKSD_lbbbEUlllE1_EE10hipError_tPvRmT2_T3_mT4_P12ihipStream_tbEUlT_E_NS1_11comp_targetILNS1_3genE5ELNS1_11target_archE942ELNS1_3gpuE9ELNS1_3repE0EEENS1_30default_config_static_selectorELNS0_4arch9wavefront6targetE1EEEvT1_
    .private_segment_fixed_size: 0
    .sgpr_count:     6
    .sgpr_spill_count: 0
    .symbol:         _ZN7rocprim17ROCPRIM_400000_NS6detail17trampoline_kernelINS0_14default_configENS1_35adjacent_difference_config_selectorILb1ElEEZNS1_24adjacent_difference_implIS3_Lb1ELb0EPlS7_ZN2at6native12_GLOBAL__N_124unique_dim_cuda_templateIaEESt5tupleIJNS8_6TensorESD_SD_EERKSD_lbbbEUlllE1_EE10hipError_tPvRmT2_T3_mT4_P12ihipStream_tbEUlT_E_NS1_11comp_targetILNS1_3genE5ELNS1_11target_archE942ELNS1_3gpuE9ELNS1_3repE0EEENS1_30default_config_static_selectorELNS0_4arch9wavefront6targetE1EEEvT1_.kd
    .uniform_work_group_size: 1
    .uses_dynamic_stack: false
    .vgpr_count:     0
    .vgpr_spill_count: 0
    .wavefront_size: 64
  - .agpr_count:     0
    .args:
      - .offset:         0
        .size:           64
        .value_kind:     by_value
    .group_segment_fixed_size: 0
    .kernarg_segment_align: 8
    .kernarg_segment_size: 64
    .language:       OpenCL C
    .language_version:
      - 2
      - 0
    .max_flat_workgroup_size: 512
    .name:           _ZN7rocprim17ROCPRIM_400000_NS6detail17trampoline_kernelINS0_14default_configENS1_35adjacent_difference_config_selectorILb1ElEEZNS1_24adjacent_difference_implIS3_Lb1ELb0EPlS7_ZN2at6native12_GLOBAL__N_124unique_dim_cuda_templateIaEESt5tupleIJNS8_6TensorESD_SD_EERKSD_lbbbEUlllE1_EE10hipError_tPvRmT2_T3_mT4_P12ihipStream_tbEUlT_E_NS1_11comp_targetILNS1_3genE4ELNS1_11target_archE910ELNS1_3gpuE8ELNS1_3repE0EEENS1_30default_config_static_selectorELNS0_4arch9wavefront6targetE1EEEvT1_
    .private_segment_fixed_size: 0
    .sgpr_count:     6
    .sgpr_spill_count: 0
    .symbol:         _ZN7rocprim17ROCPRIM_400000_NS6detail17trampoline_kernelINS0_14default_configENS1_35adjacent_difference_config_selectorILb1ElEEZNS1_24adjacent_difference_implIS3_Lb1ELb0EPlS7_ZN2at6native12_GLOBAL__N_124unique_dim_cuda_templateIaEESt5tupleIJNS8_6TensorESD_SD_EERKSD_lbbbEUlllE1_EE10hipError_tPvRmT2_T3_mT4_P12ihipStream_tbEUlT_E_NS1_11comp_targetILNS1_3genE4ELNS1_11target_archE910ELNS1_3gpuE8ELNS1_3repE0EEENS1_30default_config_static_selectorELNS0_4arch9wavefront6targetE1EEEvT1_.kd
    .uniform_work_group_size: 1
    .uses_dynamic_stack: false
    .vgpr_count:     0
    .vgpr_spill_count: 0
    .wavefront_size: 64
  - .agpr_count:     0
    .args:
      - .offset:         0
        .size:           64
        .value_kind:     by_value
    .group_segment_fixed_size: 0
    .kernarg_segment_align: 8
    .kernarg_segment_size: 64
    .language:       OpenCL C
    .language_version:
      - 2
      - 0
    .max_flat_workgroup_size: 512
    .name:           _ZN7rocprim17ROCPRIM_400000_NS6detail17trampoline_kernelINS0_14default_configENS1_35adjacent_difference_config_selectorILb1ElEEZNS1_24adjacent_difference_implIS3_Lb1ELb0EPlS7_ZN2at6native12_GLOBAL__N_124unique_dim_cuda_templateIaEESt5tupleIJNS8_6TensorESD_SD_EERKSD_lbbbEUlllE1_EE10hipError_tPvRmT2_T3_mT4_P12ihipStream_tbEUlT_E_NS1_11comp_targetILNS1_3genE3ELNS1_11target_archE908ELNS1_3gpuE7ELNS1_3repE0EEENS1_30default_config_static_selectorELNS0_4arch9wavefront6targetE1EEEvT1_
    .private_segment_fixed_size: 0
    .sgpr_count:     6
    .sgpr_spill_count: 0
    .symbol:         _ZN7rocprim17ROCPRIM_400000_NS6detail17trampoline_kernelINS0_14default_configENS1_35adjacent_difference_config_selectorILb1ElEEZNS1_24adjacent_difference_implIS3_Lb1ELb0EPlS7_ZN2at6native12_GLOBAL__N_124unique_dim_cuda_templateIaEESt5tupleIJNS8_6TensorESD_SD_EERKSD_lbbbEUlllE1_EE10hipError_tPvRmT2_T3_mT4_P12ihipStream_tbEUlT_E_NS1_11comp_targetILNS1_3genE3ELNS1_11target_archE908ELNS1_3gpuE7ELNS1_3repE0EEENS1_30default_config_static_selectorELNS0_4arch9wavefront6targetE1EEEvT1_.kd
    .uniform_work_group_size: 1
    .uses_dynamic_stack: false
    .vgpr_count:     0
    .vgpr_spill_count: 0
    .wavefront_size: 64
  - .agpr_count:     0
    .args:
      - .offset:         0
        .size:           64
        .value_kind:     by_value
    .group_segment_fixed_size: 0
    .kernarg_segment_align: 8
    .kernarg_segment_size: 64
    .language:       OpenCL C
    .language_version:
      - 2
      - 0
    .max_flat_workgroup_size: 128
    .name:           _ZN7rocprim17ROCPRIM_400000_NS6detail17trampoline_kernelINS0_14default_configENS1_35adjacent_difference_config_selectorILb1ElEEZNS1_24adjacent_difference_implIS3_Lb1ELb0EPlS7_ZN2at6native12_GLOBAL__N_124unique_dim_cuda_templateIaEESt5tupleIJNS8_6TensorESD_SD_EERKSD_lbbbEUlllE1_EE10hipError_tPvRmT2_T3_mT4_P12ihipStream_tbEUlT_E_NS1_11comp_targetILNS1_3genE2ELNS1_11target_archE906ELNS1_3gpuE6ELNS1_3repE0EEENS1_30default_config_static_selectorELNS0_4arch9wavefront6targetE1EEEvT1_
    .private_segment_fixed_size: 0
    .sgpr_count:     6
    .sgpr_spill_count: 0
    .symbol:         _ZN7rocprim17ROCPRIM_400000_NS6detail17trampoline_kernelINS0_14default_configENS1_35adjacent_difference_config_selectorILb1ElEEZNS1_24adjacent_difference_implIS3_Lb1ELb0EPlS7_ZN2at6native12_GLOBAL__N_124unique_dim_cuda_templateIaEESt5tupleIJNS8_6TensorESD_SD_EERKSD_lbbbEUlllE1_EE10hipError_tPvRmT2_T3_mT4_P12ihipStream_tbEUlT_E_NS1_11comp_targetILNS1_3genE2ELNS1_11target_archE906ELNS1_3gpuE6ELNS1_3repE0EEENS1_30default_config_static_selectorELNS0_4arch9wavefront6targetE1EEEvT1_.kd
    .uniform_work_group_size: 1
    .uses_dynamic_stack: false
    .vgpr_count:     0
    .vgpr_spill_count: 0
    .wavefront_size: 64
  - .agpr_count:     0
    .args:
      - .offset:         0
        .size:           64
        .value_kind:     by_value
    .group_segment_fixed_size: 0
    .kernarg_segment_align: 8
    .kernarg_segment_size: 64
    .language:       OpenCL C
    .language_version:
      - 2
      - 0
    .max_flat_workgroup_size: 128
    .name:           _ZN7rocprim17ROCPRIM_400000_NS6detail17trampoline_kernelINS0_14default_configENS1_35adjacent_difference_config_selectorILb1ElEEZNS1_24adjacent_difference_implIS3_Lb1ELb0EPlS7_ZN2at6native12_GLOBAL__N_124unique_dim_cuda_templateIaEESt5tupleIJNS8_6TensorESD_SD_EERKSD_lbbbEUlllE1_EE10hipError_tPvRmT2_T3_mT4_P12ihipStream_tbEUlT_E_NS1_11comp_targetILNS1_3genE9ELNS1_11target_archE1100ELNS1_3gpuE3ELNS1_3repE0EEENS1_30default_config_static_selectorELNS0_4arch9wavefront6targetE1EEEvT1_
    .private_segment_fixed_size: 0
    .sgpr_count:     6
    .sgpr_spill_count: 0
    .symbol:         _ZN7rocprim17ROCPRIM_400000_NS6detail17trampoline_kernelINS0_14default_configENS1_35adjacent_difference_config_selectorILb1ElEEZNS1_24adjacent_difference_implIS3_Lb1ELb0EPlS7_ZN2at6native12_GLOBAL__N_124unique_dim_cuda_templateIaEESt5tupleIJNS8_6TensorESD_SD_EERKSD_lbbbEUlllE1_EE10hipError_tPvRmT2_T3_mT4_P12ihipStream_tbEUlT_E_NS1_11comp_targetILNS1_3genE9ELNS1_11target_archE1100ELNS1_3gpuE3ELNS1_3repE0EEENS1_30default_config_static_selectorELNS0_4arch9wavefront6targetE1EEEvT1_.kd
    .uniform_work_group_size: 1
    .uses_dynamic_stack: false
    .vgpr_count:     0
    .vgpr_spill_count: 0
    .wavefront_size: 64
  - .agpr_count:     0
    .args:
      - .offset:         0
        .size:           64
        .value_kind:     by_value
    .group_segment_fixed_size: 0
    .kernarg_segment_align: 8
    .kernarg_segment_size: 64
    .language:       OpenCL C
    .language_version:
      - 2
      - 0
    .max_flat_workgroup_size: 32
    .name:           _ZN7rocprim17ROCPRIM_400000_NS6detail17trampoline_kernelINS0_14default_configENS1_35adjacent_difference_config_selectorILb1ElEEZNS1_24adjacent_difference_implIS3_Lb1ELb0EPlS7_ZN2at6native12_GLOBAL__N_124unique_dim_cuda_templateIaEESt5tupleIJNS8_6TensorESD_SD_EERKSD_lbbbEUlllE1_EE10hipError_tPvRmT2_T3_mT4_P12ihipStream_tbEUlT_E_NS1_11comp_targetILNS1_3genE8ELNS1_11target_archE1030ELNS1_3gpuE2ELNS1_3repE0EEENS1_30default_config_static_selectorELNS0_4arch9wavefront6targetE1EEEvT1_
    .private_segment_fixed_size: 0
    .sgpr_count:     6
    .sgpr_spill_count: 0
    .symbol:         _ZN7rocprim17ROCPRIM_400000_NS6detail17trampoline_kernelINS0_14default_configENS1_35adjacent_difference_config_selectorILb1ElEEZNS1_24adjacent_difference_implIS3_Lb1ELb0EPlS7_ZN2at6native12_GLOBAL__N_124unique_dim_cuda_templateIaEESt5tupleIJNS8_6TensorESD_SD_EERKSD_lbbbEUlllE1_EE10hipError_tPvRmT2_T3_mT4_P12ihipStream_tbEUlT_E_NS1_11comp_targetILNS1_3genE8ELNS1_11target_archE1030ELNS1_3gpuE2ELNS1_3repE0EEENS1_30default_config_static_selectorELNS0_4arch9wavefront6targetE1EEEvT1_.kd
    .uniform_work_group_size: 1
    .uses_dynamic_stack: false
    .vgpr_count:     0
    .vgpr_spill_count: 0
    .wavefront_size: 64
  - .agpr_count:     0
    .args:
      - .offset:         0
        .size:           120
        .value_kind:     by_value
    .group_segment_fixed_size: 28680
    .kernarg_segment_align: 8
    .kernarg_segment_size: 120
    .language:       OpenCL C
    .language_version:
      - 2
      - 0
    .max_flat_workgroup_size: 512
    .name:           _ZN7rocprim17ROCPRIM_400000_NS6detail17trampoline_kernelINS0_14default_configENS1_25partition_config_selectorILNS1_17partition_subalgoE8ElNS0_10empty_typeEbEEZZNS1_14partition_implILS5_8ELb0ES3_jPlPS6_PKS6_NS0_5tupleIJS9_S6_EEENSD_IJSA_SA_EEENS0_18inequality_wrapperIZN2at6native12_GLOBAL__N_124unique_dim_cuda_templateIaEESt5tupleIJNSH_6TensorESM_SM_EERKSM_lbbbEUlllE0_EEPmJS6_EEE10hipError_tPvRmT3_T4_T5_T6_T7_T9_mT8_P12ihipStream_tbDpT10_ENKUlT_T0_E_clISt17integral_constantIbLb0EES1C_EEDaS17_S18_EUlS17_E_NS1_11comp_targetILNS1_3genE0ELNS1_11target_archE4294967295ELNS1_3gpuE0ELNS1_3repE0EEENS1_30default_config_static_selectorELNS0_4arch9wavefront6targetE1EEEvT1_
    .private_segment_fixed_size: 0
    .sgpr_count:     56
    .sgpr_spill_count: 0
    .symbol:         _ZN7rocprim17ROCPRIM_400000_NS6detail17trampoline_kernelINS0_14default_configENS1_25partition_config_selectorILNS1_17partition_subalgoE8ElNS0_10empty_typeEbEEZZNS1_14partition_implILS5_8ELb0ES3_jPlPS6_PKS6_NS0_5tupleIJS9_S6_EEENSD_IJSA_SA_EEENS0_18inequality_wrapperIZN2at6native12_GLOBAL__N_124unique_dim_cuda_templateIaEESt5tupleIJNSH_6TensorESM_SM_EERKSM_lbbbEUlllE0_EEPmJS6_EEE10hipError_tPvRmT3_T4_T5_T6_T7_T9_mT8_P12ihipStream_tbDpT10_ENKUlT_T0_E_clISt17integral_constantIbLb0EES1C_EEDaS17_S18_EUlS17_E_NS1_11comp_targetILNS1_3genE0ELNS1_11target_archE4294967295ELNS1_3gpuE0ELNS1_3repE0EEENS1_30default_config_static_selectorELNS0_4arch9wavefront6targetE1EEEvT1_.kd
    .uniform_work_group_size: 1
    .uses_dynamic_stack: false
    .vgpr_count:     58
    .vgpr_spill_count: 0
    .wavefront_size: 64
  - .agpr_count:     0
    .args:
      - .offset:         0
        .size:           120
        .value_kind:     by_value
    .group_segment_fixed_size: 0
    .kernarg_segment_align: 8
    .kernarg_segment_size: 120
    .language:       OpenCL C
    .language_version:
      - 2
      - 0
    .max_flat_workgroup_size: 512
    .name:           _ZN7rocprim17ROCPRIM_400000_NS6detail17trampoline_kernelINS0_14default_configENS1_25partition_config_selectorILNS1_17partition_subalgoE8ElNS0_10empty_typeEbEEZZNS1_14partition_implILS5_8ELb0ES3_jPlPS6_PKS6_NS0_5tupleIJS9_S6_EEENSD_IJSA_SA_EEENS0_18inequality_wrapperIZN2at6native12_GLOBAL__N_124unique_dim_cuda_templateIaEESt5tupleIJNSH_6TensorESM_SM_EERKSM_lbbbEUlllE0_EEPmJS6_EEE10hipError_tPvRmT3_T4_T5_T6_T7_T9_mT8_P12ihipStream_tbDpT10_ENKUlT_T0_E_clISt17integral_constantIbLb0EES1C_EEDaS17_S18_EUlS17_E_NS1_11comp_targetILNS1_3genE5ELNS1_11target_archE942ELNS1_3gpuE9ELNS1_3repE0EEENS1_30default_config_static_selectorELNS0_4arch9wavefront6targetE1EEEvT1_
    .private_segment_fixed_size: 0
    .sgpr_count:     6
    .sgpr_spill_count: 0
    .symbol:         _ZN7rocprim17ROCPRIM_400000_NS6detail17trampoline_kernelINS0_14default_configENS1_25partition_config_selectorILNS1_17partition_subalgoE8ElNS0_10empty_typeEbEEZZNS1_14partition_implILS5_8ELb0ES3_jPlPS6_PKS6_NS0_5tupleIJS9_S6_EEENSD_IJSA_SA_EEENS0_18inequality_wrapperIZN2at6native12_GLOBAL__N_124unique_dim_cuda_templateIaEESt5tupleIJNSH_6TensorESM_SM_EERKSM_lbbbEUlllE0_EEPmJS6_EEE10hipError_tPvRmT3_T4_T5_T6_T7_T9_mT8_P12ihipStream_tbDpT10_ENKUlT_T0_E_clISt17integral_constantIbLb0EES1C_EEDaS17_S18_EUlS17_E_NS1_11comp_targetILNS1_3genE5ELNS1_11target_archE942ELNS1_3gpuE9ELNS1_3repE0EEENS1_30default_config_static_selectorELNS0_4arch9wavefront6targetE1EEEvT1_.kd
    .uniform_work_group_size: 1
    .uses_dynamic_stack: false
    .vgpr_count:     0
    .vgpr_spill_count: 0
    .wavefront_size: 64
  - .agpr_count:     0
    .args:
      - .offset:         0
        .size:           120
        .value_kind:     by_value
    .group_segment_fixed_size: 0
    .kernarg_segment_align: 8
    .kernarg_segment_size: 120
    .language:       OpenCL C
    .language_version:
      - 2
      - 0
    .max_flat_workgroup_size: 256
    .name:           _ZN7rocprim17ROCPRIM_400000_NS6detail17trampoline_kernelINS0_14default_configENS1_25partition_config_selectorILNS1_17partition_subalgoE8ElNS0_10empty_typeEbEEZZNS1_14partition_implILS5_8ELb0ES3_jPlPS6_PKS6_NS0_5tupleIJS9_S6_EEENSD_IJSA_SA_EEENS0_18inequality_wrapperIZN2at6native12_GLOBAL__N_124unique_dim_cuda_templateIaEESt5tupleIJNSH_6TensorESM_SM_EERKSM_lbbbEUlllE0_EEPmJS6_EEE10hipError_tPvRmT3_T4_T5_T6_T7_T9_mT8_P12ihipStream_tbDpT10_ENKUlT_T0_E_clISt17integral_constantIbLb0EES1C_EEDaS17_S18_EUlS17_E_NS1_11comp_targetILNS1_3genE4ELNS1_11target_archE910ELNS1_3gpuE8ELNS1_3repE0EEENS1_30default_config_static_selectorELNS0_4arch9wavefront6targetE1EEEvT1_
    .private_segment_fixed_size: 0
    .sgpr_count:     6
    .sgpr_spill_count: 0
    .symbol:         _ZN7rocprim17ROCPRIM_400000_NS6detail17trampoline_kernelINS0_14default_configENS1_25partition_config_selectorILNS1_17partition_subalgoE8ElNS0_10empty_typeEbEEZZNS1_14partition_implILS5_8ELb0ES3_jPlPS6_PKS6_NS0_5tupleIJS9_S6_EEENSD_IJSA_SA_EEENS0_18inequality_wrapperIZN2at6native12_GLOBAL__N_124unique_dim_cuda_templateIaEESt5tupleIJNSH_6TensorESM_SM_EERKSM_lbbbEUlllE0_EEPmJS6_EEE10hipError_tPvRmT3_T4_T5_T6_T7_T9_mT8_P12ihipStream_tbDpT10_ENKUlT_T0_E_clISt17integral_constantIbLb0EES1C_EEDaS17_S18_EUlS17_E_NS1_11comp_targetILNS1_3genE4ELNS1_11target_archE910ELNS1_3gpuE8ELNS1_3repE0EEENS1_30default_config_static_selectorELNS0_4arch9wavefront6targetE1EEEvT1_.kd
    .uniform_work_group_size: 1
    .uses_dynamic_stack: false
    .vgpr_count:     0
    .vgpr_spill_count: 0
    .wavefront_size: 64
  - .agpr_count:     0
    .args:
      - .offset:         0
        .size:           120
        .value_kind:     by_value
    .group_segment_fixed_size: 0
    .kernarg_segment_align: 8
    .kernarg_segment_size: 120
    .language:       OpenCL C
    .language_version:
      - 2
      - 0
    .max_flat_workgroup_size: 512
    .name:           _ZN7rocprim17ROCPRIM_400000_NS6detail17trampoline_kernelINS0_14default_configENS1_25partition_config_selectorILNS1_17partition_subalgoE8ElNS0_10empty_typeEbEEZZNS1_14partition_implILS5_8ELb0ES3_jPlPS6_PKS6_NS0_5tupleIJS9_S6_EEENSD_IJSA_SA_EEENS0_18inequality_wrapperIZN2at6native12_GLOBAL__N_124unique_dim_cuda_templateIaEESt5tupleIJNSH_6TensorESM_SM_EERKSM_lbbbEUlllE0_EEPmJS6_EEE10hipError_tPvRmT3_T4_T5_T6_T7_T9_mT8_P12ihipStream_tbDpT10_ENKUlT_T0_E_clISt17integral_constantIbLb0EES1C_EEDaS17_S18_EUlS17_E_NS1_11comp_targetILNS1_3genE3ELNS1_11target_archE908ELNS1_3gpuE7ELNS1_3repE0EEENS1_30default_config_static_selectorELNS0_4arch9wavefront6targetE1EEEvT1_
    .private_segment_fixed_size: 0
    .sgpr_count:     6
    .sgpr_spill_count: 0
    .symbol:         _ZN7rocprim17ROCPRIM_400000_NS6detail17trampoline_kernelINS0_14default_configENS1_25partition_config_selectorILNS1_17partition_subalgoE8ElNS0_10empty_typeEbEEZZNS1_14partition_implILS5_8ELb0ES3_jPlPS6_PKS6_NS0_5tupleIJS9_S6_EEENSD_IJSA_SA_EEENS0_18inequality_wrapperIZN2at6native12_GLOBAL__N_124unique_dim_cuda_templateIaEESt5tupleIJNSH_6TensorESM_SM_EERKSM_lbbbEUlllE0_EEPmJS6_EEE10hipError_tPvRmT3_T4_T5_T6_T7_T9_mT8_P12ihipStream_tbDpT10_ENKUlT_T0_E_clISt17integral_constantIbLb0EES1C_EEDaS17_S18_EUlS17_E_NS1_11comp_targetILNS1_3genE3ELNS1_11target_archE908ELNS1_3gpuE7ELNS1_3repE0EEENS1_30default_config_static_selectorELNS0_4arch9wavefront6targetE1EEEvT1_.kd
    .uniform_work_group_size: 1
    .uses_dynamic_stack: false
    .vgpr_count:     0
    .vgpr_spill_count: 0
    .wavefront_size: 64
  - .agpr_count:     0
    .args:
      - .offset:         0
        .size:           120
        .value_kind:     by_value
    .group_segment_fixed_size: 0
    .kernarg_segment_align: 8
    .kernarg_segment_size: 120
    .language:       OpenCL C
    .language_version:
      - 2
      - 0
    .max_flat_workgroup_size: 256
    .name:           _ZN7rocprim17ROCPRIM_400000_NS6detail17trampoline_kernelINS0_14default_configENS1_25partition_config_selectorILNS1_17partition_subalgoE8ElNS0_10empty_typeEbEEZZNS1_14partition_implILS5_8ELb0ES3_jPlPS6_PKS6_NS0_5tupleIJS9_S6_EEENSD_IJSA_SA_EEENS0_18inequality_wrapperIZN2at6native12_GLOBAL__N_124unique_dim_cuda_templateIaEESt5tupleIJNSH_6TensorESM_SM_EERKSM_lbbbEUlllE0_EEPmJS6_EEE10hipError_tPvRmT3_T4_T5_T6_T7_T9_mT8_P12ihipStream_tbDpT10_ENKUlT_T0_E_clISt17integral_constantIbLb0EES1C_EEDaS17_S18_EUlS17_E_NS1_11comp_targetILNS1_3genE2ELNS1_11target_archE906ELNS1_3gpuE6ELNS1_3repE0EEENS1_30default_config_static_selectorELNS0_4arch9wavefront6targetE1EEEvT1_
    .private_segment_fixed_size: 0
    .sgpr_count:     6
    .sgpr_spill_count: 0
    .symbol:         _ZN7rocprim17ROCPRIM_400000_NS6detail17trampoline_kernelINS0_14default_configENS1_25partition_config_selectorILNS1_17partition_subalgoE8ElNS0_10empty_typeEbEEZZNS1_14partition_implILS5_8ELb0ES3_jPlPS6_PKS6_NS0_5tupleIJS9_S6_EEENSD_IJSA_SA_EEENS0_18inequality_wrapperIZN2at6native12_GLOBAL__N_124unique_dim_cuda_templateIaEESt5tupleIJNSH_6TensorESM_SM_EERKSM_lbbbEUlllE0_EEPmJS6_EEE10hipError_tPvRmT3_T4_T5_T6_T7_T9_mT8_P12ihipStream_tbDpT10_ENKUlT_T0_E_clISt17integral_constantIbLb0EES1C_EEDaS17_S18_EUlS17_E_NS1_11comp_targetILNS1_3genE2ELNS1_11target_archE906ELNS1_3gpuE6ELNS1_3repE0EEENS1_30default_config_static_selectorELNS0_4arch9wavefront6targetE1EEEvT1_.kd
    .uniform_work_group_size: 1
    .uses_dynamic_stack: false
    .vgpr_count:     0
    .vgpr_spill_count: 0
    .wavefront_size: 64
  - .agpr_count:     0
    .args:
      - .offset:         0
        .size:           120
        .value_kind:     by_value
    .group_segment_fixed_size: 0
    .kernarg_segment_align: 8
    .kernarg_segment_size: 120
    .language:       OpenCL C
    .language_version:
      - 2
      - 0
    .max_flat_workgroup_size: 384
    .name:           _ZN7rocprim17ROCPRIM_400000_NS6detail17trampoline_kernelINS0_14default_configENS1_25partition_config_selectorILNS1_17partition_subalgoE8ElNS0_10empty_typeEbEEZZNS1_14partition_implILS5_8ELb0ES3_jPlPS6_PKS6_NS0_5tupleIJS9_S6_EEENSD_IJSA_SA_EEENS0_18inequality_wrapperIZN2at6native12_GLOBAL__N_124unique_dim_cuda_templateIaEESt5tupleIJNSH_6TensorESM_SM_EERKSM_lbbbEUlllE0_EEPmJS6_EEE10hipError_tPvRmT3_T4_T5_T6_T7_T9_mT8_P12ihipStream_tbDpT10_ENKUlT_T0_E_clISt17integral_constantIbLb0EES1C_EEDaS17_S18_EUlS17_E_NS1_11comp_targetILNS1_3genE10ELNS1_11target_archE1200ELNS1_3gpuE4ELNS1_3repE0EEENS1_30default_config_static_selectorELNS0_4arch9wavefront6targetE1EEEvT1_
    .private_segment_fixed_size: 0
    .sgpr_count:     6
    .sgpr_spill_count: 0
    .symbol:         _ZN7rocprim17ROCPRIM_400000_NS6detail17trampoline_kernelINS0_14default_configENS1_25partition_config_selectorILNS1_17partition_subalgoE8ElNS0_10empty_typeEbEEZZNS1_14partition_implILS5_8ELb0ES3_jPlPS6_PKS6_NS0_5tupleIJS9_S6_EEENSD_IJSA_SA_EEENS0_18inequality_wrapperIZN2at6native12_GLOBAL__N_124unique_dim_cuda_templateIaEESt5tupleIJNSH_6TensorESM_SM_EERKSM_lbbbEUlllE0_EEPmJS6_EEE10hipError_tPvRmT3_T4_T5_T6_T7_T9_mT8_P12ihipStream_tbDpT10_ENKUlT_T0_E_clISt17integral_constantIbLb0EES1C_EEDaS17_S18_EUlS17_E_NS1_11comp_targetILNS1_3genE10ELNS1_11target_archE1200ELNS1_3gpuE4ELNS1_3repE0EEENS1_30default_config_static_selectorELNS0_4arch9wavefront6targetE1EEEvT1_.kd
    .uniform_work_group_size: 1
    .uses_dynamic_stack: false
    .vgpr_count:     0
    .vgpr_spill_count: 0
    .wavefront_size: 64
  - .agpr_count:     0
    .args:
      - .offset:         0
        .size:           120
        .value_kind:     by_value
    .group_segment_fixed_size: 0
    .kernarg_segment_align: 8
    .kernarg_segment_size: 120
    .language:       OpenCL C
    .language_version:
      - 2
      - 0
    .max_flat_workgroup_size: 512
    .name:           _ZN7rocprim17ROCPRIM_400000_NS6detail17trampoline_kernelINS0_14default_configENS1_25partition_config_selectorILNS1_17partition_subalgoE8ElNS0_10empty_typeEbEEZZNS1_14partition_implILS5_8ELb0ES3_jPlPS6_PKS6_NS0_5tupleIJS9_S6_EEENSD_IJSA_SA_EEENS0_18inequality_wrapperIZN2at6native12_GLOBAL__N_124unique_dim_cuda_templateIaEESt5tupleIJNSH_6TensorESM_SM_EERKSM_lbbbEUlllE0_EEPmJS6_EEE10hipError_tPvRmT3_T4_T5_T6_T7_T9_mT8_P12ihipStream_tbDpT10_ENKUlT_T0_E_clISt17integral_constantIbLb0EES1C_EEDaS17_S18_EUlS17_E_NS1_11comp_targetILNS1_3genE9ELNS1_11target_archE1100ELNS1_3gpuE3ELNS1_3repE0EEENS1_30default_config_static_selectorELNS0_4arch9wavefront6targetE1EEEvT1_
    .private_segment_fixed_size: 0
    .sgpr_count:     6
    .sgpr_spill_count: 0
    .symbol:         _ZN7rocprim17ROCPRIM_400000_NS6detail17trampoline_kernelINS0_14default_configENS1_25partition_config_selectorILNS1_17partition_subalgoE8ElNS0_10empty_typeEbEEZZNS1_14partition_implILS5_8ELb0ES3_jPlPS6_PKS6_NS0_5tupleIJS9_S6_EEENSD_IJSA_SA_EEENS0_18inequality_wrapperIZN2at6native12_GLOBAL__N_124unique_dim_cuda_templateIaEESt5tupleIJNSH_6TensorESM_SM_EERKSM_lbbbEUlllE0_EEPmJS6_EEE10hipError_tPvRmT3_T4_T5_T6_T7_T9_mT8_P12ihipStream_tbDpT10_ENKUlT_T0_E_clISt17integral_constantIbLb0EES1C_EEDaS17_S18_EUlS17_E_NS1_11comp_targetILNS1_3genE9ELNS1_11target_archE1100ELNS1_3gpuE3ELNS1_3repE0EEENS1_30default_config_static_selectorELNS0_4arch9wavefront6targetE1EEEvT1_.kd
    .uniform_work_group_size: 1
    .uses_dynamic_stack: false
    .vgpr_count:     0
    .vgpr_spill_count: 0
    .wavefront_size: 64
  - .agpr_count:     0
    .args:
      - .offset:         0
        .size:           120
        .value_kind:     by_value
    .group_segment_fixed_size: 0
    .kernarg_segment_align: 8
    .kernarg_segment_size: 120
    .language:       OpenCL C
    .language_version:
      - 2
      - 0
    .max_flat_workgroup_size: 512
    .name:           _ZN7rocprim17ROCPRIM_400000_NS6detail17trampoline_kernelINS0_14default_configENS1_25partition_config_selectorILNS1_17partition_subalgoE8ElNS0_10empty_typeEbEEZZNS1_14partition_implILS5_8ELb0ES3_jPlPS6_PKS6_NS0_5tupleIJS9_S6_EEENSD_IJSA_SA_EEENS0_18inequality_wrapperIZN2at6native12_GLOBAL__N_124unique_dim_cuda_templateIaEESt5tupleIJNSH_6TensorESM_SM_EERKSM_lbbbEUlllE0_EEPmJS6_EEE10hipError_tPvRmT3_T4_T5_T6_T7_T9_mT8_P12ihipStream_tbDpT10_ENKUlT_T0_E_clISt17integral_constantIbLb0EES1C_EEDaS17_S18_EUlS17_E_NS1_11comp_targetILNS1_3genE8ELNS1_11target_archE1030ELNS1_3gpuE2ELNS1_3repE0EEENS1_30default_config_static_selectorELNS0_4arch9wavefront6targetE1EEEvT1_
    .private_segment_fixed_size: 0
    .sgpr_count:     6
    .sgpr_spill_count: 0
    .symbol:         _ZN7rocprim17ROCPRIM_400000_NS6detail17trampoline_kernelINS0_14default_configENS1_25partition_config_selectorILNS1_17partition_subalgoE8ElNS0_10empty_typeEbEEZZNS1_14partition_implILS5_8ELb0ES3_jPlPS6_PKS6_NS0_5tupleIJS9_S6_EEENSD_IJSA_SA_EEENS0_18inequality_wrapperIZN2at6native12_GLOBAL__N_124unique_dim_cuda_templateIaEESt5tupleIJNSH_6TensorESM_SM_EERKSM_lbbbEUlllE0_EEPmJS6_EEE10hipError_tPvRmT3_T4_T5_T6_T7_T9_mT8_P12ihipStream_tbDpT10_ENKUlT_T0_E_clISt17integral_constantIbLb0EES1C_EEDaS17_S18_EUlS17_E_NS1_11comp_targetILNS1_3genE8ELNS1_11target_archE1030ELNS1_3gpuE2ELNS1_3repE0EEENS1_30default_config_static_selectorELNS0_4arch9wavefront6targetE1EEEvT1_.kd
    .uniform_work_group_size: 1
    .uses_dynamic_stack: false
    .vgpr_count:     0
    .vgpr_spill_count: 0
    .wavefront_size: 64
  - .agpr_count:     0
    .args:
      - .offset:         0
        .size:           136
        .value_kind:     by_value
    .group_segment_fixed_size: 0
    .kernarg_segment_align: 8
    .kernarg_segment_size: 136
    .language:       OpenCL C
    .language_version:
      - 2
      - 0
    .max_flat_workgroup_size: 512
    .name:           _ZN7rocprim17ROCPRIM_400000_NS6detail17trampoline_kernelINS0_14default_configENS1_25partition_config_selectorILNS1_17partition_subalgoE8ElNS0_10empty_typeEbEEZZNS1_14partition_implILS5_8ELb0ES3_jPlPS6_PKS6_NS0_5tupleIJS9_S6_EEENSD_IJSA_SA_EEENS0_18inequality_wrapperIZN2at6native12_GLOBAL__N_124unique_dim_cuda_templateIaEESt5tupleIJNSH_6TensorESM_SM_EERKSM_lbbbEUlllE0_EEPmJS6_EEE10hipError_tPvRmT3_T4_T5_T6_T7_T9_mT8_P12ihipStream_tbDpT10_ENKUlT_T0_E_clISt17integral_constantIbLb1EES1C_EEDaS17_S18_EUlS17_E_NS1_11comp_targetILNS1_3genE0ELNS1_11target_archE4294967295ELNS1_3gpuE0ELNS1_3repE0EEENS1_30default_config_static_selectorELNS0_4arch9wavefront6targetE1EEEvT1_
    .private_segment_fixed_size: 0
    .sgpr_count:     6
    .sgpr_spill_count: 0
    .symbol:         _ZN7rocprim17ROCPRIM_400000_NS6detail17trampoline_kernelINS0_14default_configENS1_25partition_config_selectorILNS1_17partition_subalgoE8ElNS0_10empty_typeEbEEZZNS1_14partition_implILS5_8ELb0ES3_jPlPS6_PKS6_NS0_5tupleIJS9_S6_EEENSD_IJSA_SA_EEENS0_18inequality_wrapperIZN2at6native12_GLOBAL__N_124unique_dim_cuda_templateIaEESt5tupleIJNSH_6TensorESM_SM_EERKSM_lbbbEUlllE0_EEPmJS6_EEE10hipError_tPvRmT3_T4_T5_T6_T7_T9_mT8_P12ihipStream_tbDpT10_ENKUlT_T0_E_clISt17integral_constantIbLb1EES1C_EEDaS17_S18_EUlS17_E_NS1_11comp_targetILNS1_3genE0ELNS1_11target_archE4294967295ELNS1_3gpuE0ELNS1_3repE0EEENS1_30default_config_static_selectorELNS0_4arch9wavefront6targetE1EEEvT1_.kd
    .uniform_work_group_size: 1
    .uses_dynamic_stack: false
    .vgpr_count:     0
    .vgpr_spill_count: 0
    .wavefront_size: 64
  - .agpr_count:     0
    .args:
      - .offset:         0
        .size:           136
        .value_kind:     by_value
    .group_segment_fixed_size: 0
    .kernarg_segment_align: 8
    .kernarg_segment_size: 136
    .language:       OpenCL C
    .language_version:
      - 2
      - 0
    .max_flat_workgroup_size: 512
    .name:           _ZN7rocprim17ROCPRIM_400000_NS6detail17trampoline_kernelINS0_14default_configENS1_25partition_config_selectorILNS1_17partition_subalgoE8ElNS0_10empty_typeEbEEZZNS1_14partition_implILS5_8ELb0ES3_jPlPS6_PKS6_NS0_5tupleIJS9_S6_EEENSD_IJSA_SA_EEENS0_18inequality_wrapperIZN2at6native12_GLOBAL__N_124unique_dim_cuda_templateIaEESt5tupleIJNSH_6TensorESM_SM_EERKSM_lbbbEUlllE0_EEPmJS6_EEE10hipError_tPvRmT3_T4_T5_T6_T7_T9_mT8_P12ihipStream_tbDpT10_ENKUlT_T0_E_clISt17integral_constantIbLb1EES1C_EEDaS17_S18_EUlS17_E_NS1_11comp_targetILNS1_3genE5ELNS1_11target_archE942ELNS1_3gpuE9ELNS1_3repE0EEENS1_30default_config_static_selectorELNS0_4arch9wavefront6targetE1EEEvT1_
    .private_segment_fixed_size: 0
    .sgpr_count:     6
    .sgpr_spill_count: 0
    .symbol:         _ZN7rocprim17ROCPRIM_400000_NS6detail17trampoline_kernelINS0_14default_configENS1_25partition_config_selectorILNS1_17partition_subalgoE8ElNS0_10empty_typeEbEEZZNS1_14partition_implILS5_8ELb0ES3_jPlPS6_PKS6_NS0_5tupleIJS9_S6_EEENSD_IJSA_SA_EEENS0_18inequality_wrapperIZN2at6native12_GLOBAL__N_124unique_dim_cuda_templateIaEESt5tupleIJNSH_6TensorESM_SM_EERKSM_lbbbEUlllE0_EEPmJS6_EEE10hipError_tPvRmT3_T4_T5_T6_T7_T9_mT8_P12ihipStream_tbDpT10_ENKUlT_T0_E_clISt17integral_constantIbLb1EES1C_EEDaS17_S18_EUlS17_E_NS1_11comp_targetILNS1_3genE5ELNS1_11target_archE942ELNS1_3gpuE9ELNS1_3repE0EEENS1_30default_config_static_selectorELNS0_4arch9wavefront6targetE1EEEvT1_.kd
    .uniform_work_group_size: 1
    .uses_dynamic_stack: false
    .vgpr_count:     0
    .vgpr_spill_count: 0
    .wavefront_size: 64
  - .agpr_count:     0
    .args:
      - .offset:         0
        .size:           136
        .value_kind:     by_value
    .group_segment_fixed_size: 0
    .kernarg_segment_align: 8
    .kernarg_segment_size: 136
    .language:       OpenCL C
    .language_version:
      - 2
      - 0
    .max_flat_workgroup_size: 256
    .name:           _ZN7rocprim17ROCPRIM_400000_NS6detail17trampoline_kernelINS0_14default_configENS1_25partition_config_selectorILNS1_17partition_subalgoE8ElNS0_10empty_typeEbEEZZNS1_14partition_implILS5_8ELb0ES3_jPlPS6_PKS6_NS0_5tupleIJS9_S6_EEENSD_IJSA_SA_EEENS0_18inequality_wrapperIZN2at6native12_GLOBAL__N_124unique_dim_cuda_templateIaEESt5tupleIJNSH_6TensorESM_SM_EERKSM_lbbbEUlllE0_EEPmJS6_EEE10hipError_tPvRmT3_T4_T5_T6_T7_T9_mT8_P12ihipStream_tbDpT10_ENKUlT_T0_E_clISt17integral_constantIbLb1EES1C_EEDaS17_S18_EUlS17_E_NS1_11comp_targetILNS1_3genE4ELNS1_11target_archE910ELNS1_3gpuE8ELNS1_3repE0EEENS1_30default_config_static_selectorELNS0_4arch9wavefront6targetE1EEEvT1_
    .private_segment_fixed_size: 0
    .sgpr_count:     6
    .sgpr_spill_count: 0
    .symbol:         _ZN7rocprim17ROCPRIM_400000_NS6detail17trampoline_kernelINS0_14default_configENS1_25partition_config_selectorILNS1_17partition_subalgoE8ElNS0_10empty_typeEbEEZZNS1_14partition_implILS5_8ELb0ES3_jPlPS6_PKS6_NS0_5tupleIJS9_S6_EEENSD_IJSA_SA_EEENS0_18inequality_wrapperIZN2at6native12_GLOBAL__N_124unique_dim_cuda_templateIaEESt5tupleIJNSH_6TensorESM_SM_EERKSM_lbbbEUlllE0_EEPmJS6_EEE10hipError_tPvRmT3_T4_T5_T6_T7_T9_mT8_P12ihipStream_tbDpT10_ENKUlT_T0_E_clISt17integral_constantIbLb1EES1C_EEDaS17_S18_EUlS17_E_NS1_11comp_targetILNS1_3genE4ELNS1_11target_archE910ELNS1_3gpuE8ELNS1_3repE0EEENS1_30default_config_static_selectorELNS0_4arch9wavefront6targetE1EEEvT1_.kd
    .uniform_work_group_size: 1
    .uses_dynamic_stack: false
    .vgpr_count:     0
    .vgpr_spill_count: 0
    .wavefront_size: 64
  - .agpr_count:     0
    .args:
      - .offset:         0
        .size:           136
        .value_kind:     by_value
    .group_segment_fixed_size: 0
    .kernarg_segment_align: 8
    .kernarg_segment_size: 136
    .language:       OpenCL C
    .language_version:
      - 2
      - 0
    .max_flat_workgroup_size: 512
    .name:           _ZN7rocprim17ROCPRIM_400000_NS6detail17trampoline_kernelINS0_14default_configENS1_25partition_config_selectorILNS1_17partition_subalgoE8ElNS0_10empty_typeEbEEZZNS1_14partition_implILS5_8ELb0ES3_jPlPS6_PKS6_NS0_5tupleIJS9_S6_EEENSD_IJSA_SA_EEENS0_18inequality_wrapperIZN2at6native12_GLOBAL__N_124unique_dim_cuda_templateIaEESt5tupleIJNSH_6TensorESM_SM_EERKSM_lbbbEUlllE0_EEPmJS6_EEE10hipError_tPvRmT3_T4_T5_T6_T7_T9_mT8_P12ihipStream_tbDpT10_ENKUlT_T0_E_clISt17integral_constantIbLb1EES1C_EEDaS17_S18_EUlS17_E_NS1_11comp_targetILNS1_3genE3ELNS1_11target_archE908ELNS1_3gpuE7ELNS1_3repE0EEENS1_30default_config_static_selectorELNS0_4arch9wavefront6targetE1EEEvT1_
    .private_segment_fixed_size: 0
    .sgpr_count:     6
    .sgpr_spill_count: 0
    .symbol:         _ZN7rocprim17ROCPRIM_400000_NS6detail17trampoline_kernelINS0_14default_configENS1_25partition_config_selectorILNS1_17partition_subalgoE8ElNS0_10empty_typeEbEEZZNS1_14partition_implILS5_8ELb0ES3_jPlPS6_PKS6_NS0_5tupleIJS9_S6_EEENSD_IJSA_SA_EEENS0_18inequality_wrapperIZN2at6native12_GLOBAL__N_124unique_dim_cuda_templateIaEESt5tupleIJNSH_6TensorESM_SM_EERKSM_lbbbEUlllE0_EEPmJS6_EEE10hipError_tPvRmT3_T4_T5_T6_T7_T9_mT8_P12ihipStream_tbDpT10_ENKUlT_T0_E_clISt17integral_constantIbLb1EES1C_EEDaS17_S18_EUlS17_E_NS1_11comp_targetILNS1_3genE3ELNS1_11target_archE908ELNS1_3gpuE7ELNS1_3repE0EEENS1_30default_config_static_selectorELNS0_4arch9wavefront6targetE1EEEvT1_.kd
    .uniform_work_group_size: 1
    .uses_dynamic_stack: false
    .vgpr_count:     0
    .vgpr_spill_count: 0
    .wavefront_size: 64
  - .agpr_count:     0
    .args:
      - .offset:         0
        .size:           136
        .value_kind:     by_value
    .group_segment_fixed_size: 0
    .kernarg_segment_align: 8
    .kernarg_segment_size: 136
    .language:       OpenCL C
    .language_version:
      - 2
      - 0
    .max_flat_workgroup_size: 256
    .name:           _ZN7rocprim17ROCPRIM_400000_NS6detail17trampoline_kernelINS0_14default_configENS1_25partition_config_selectorILNS1_17partition_subalgoE8ElNS0_10empty_typeEbEEZZNS1_14partition_implILS5_8ELb0ES3_jPlPS6_PKS6_NS0_5tupleIJS9_S6_EEENSD_IJSA_SA_EEENS0_18inequality_wrapperIZN2at6native12_GLOBAL__N_124unique_dim_cuda_templateIaEESt5tupleIJNSH_6TensorESM_SM_EERKSM_lbbbEUlllE0_EEPmJS6_EEE10hipError_tPvRmT3_T4_T5_T6_T7_T9_mT8_P12ihipStream_tbDpT10_ENKUlT_T0_E_clISt17integral_constantIbLb1EES1C_EEDaS17_S18_EUlS17_E_NS1_11comp_targetILNS1_3genE2ELNS1_11target_archE906ELNS1_3gpuE6ELNS1_3repE0EEENS1_30default_config_static_selectorELNS0_4arch9wavefront6targetE1EEEvT1_
    .private_segment_fixed_size: 0
    .sgpr_count:     6
    .sgpr_spill_count: 0
    .symbol:         _ZN7rocprim17ROCPRIM_400000_NS6detail17trampoline_kernelINS0_14default_configENS1_25partition_config_selectorILNS1_17partition_subalgoE8ElNS0_10empty_typeEbEEZZNS1_14partition_implILS5_8ELb0ES3_jPlPS6_PKS6_NS0_5tupleIJS9_S6_EEENSD_IJSA_SA_EEENS0_18inequality_wrapperIZN2at6native12_GLOBAL__N_124unique_dim_cuda_templateIaEESt5tupleIJNSH_6TensorESM_SM_EERKSM_lbbbEUlllE0_EEPmJS6_EEE10hipError_tPvRmT3_T4_T5_T6_T7_T9_mT8_P12ihipStream_tbDpT10_ENKUlT_T0_E_clISt17integral_constantIbLb1EES1C_EEDaS17_S18_EUlS17_E_NS1_11comp_targetILNS1_3genE2ELNS1_11target_archE906ELNS1_3gpuE6ELNS1_3repE0EEENS1_30default_config_static_selectorELNS0_4arch9wavefront6targetE1EEEvT1_.kd
    .uniform_work_group_size: 1
    .uses_dynamic_stack: false
    .vgpr_count:     0
    .vgpr_spill_count: 0
    .wavefront_size: 64
  - .agpr_count:     0
    .args:
      - .offset:         0
        .size:           136
        .value_kind:     by_value
    .group_segment_fixed_size: 0
    .kernarg_segment_align: 8
    .kernarg_segment_size: 136
    .language:       OpenCL C
    .language_version:
      - 2
      - 0
    .max_flat_workgroup_size: 384
    .name:           _ZN7rocprim17ROCPRIM_400000_NS6detail17trampoline_kernelINS0_14default_configENS1_25partition_config_selectorILNS1_17partition_subalgoE8ElNS0_10empty_typeEbEEZZNS1_14partition_implILS5_8ELb0ES3_jPlPS6_PKS6_NS0_5tupleIJS9_S6_EEENSD_IJSA_SA_EEENS0_18inequality_wrapperIZN2at6native12_GLOBAL__N_124unique_dim_cuda_templateIaEESt5tupleIJNSH_6TensorESM_SM_EERKSM_lbbbEUlllE0_EEPmJS6_EEE10hipError_tPvRmT3_T4_T5_T6_T7_T9_mT8_P12ihipStream_tbDpT10_ENKUlT_T0_E_clISt17integral_constantIbLb1EES1C_EEDaS17_S18_EUlS17_E_NS1_11comp_targetILNS1_3genE10ELNS1_11target_archE1200ELNS1_3gpuE4ELNS1_3repE0EEENS1_30default_config_static_selectorELNS0_4arch9wavefront6targetE1EEEvT1_
    .private_segment_fixed_size: 0
    .sgpr_count:     6
    .sgpr_spill_count: 0
    .symbol:         _ZN7rocprim17ROCPRIM_400000_NS6detail17trampoline_kernelINS0_14default_configENS1_25partition_config_selectorILNS1_17partition_subalgoE8ElNS0_10empty_typeEbEEZZNS1_14partition_implILS5_8ELb0ES3_jPlPS6_PKS6_NS0_5tupleIJS9_S6_EEENSD_IJSA_SA_EEENS0_18inequality_wrapperIZN2at6native12_GLOBAL__N_124unique_dim_cuda_templateIaEESt5tupleIJNSH_6TensorESM_SM_EERKSM_lbbbEUlllE0_EEPmJS6_EEE10hipError_tPvRmT3_T4_T5_T6_T7_T9_mT8_P12ihipStream_tbDpT10_ENKUlT_T0_E_clISt17integral_constantIbLb1EES1C_EEDaS17_S18_EUlS17_E_NS1_11comp_targetILNS1_3genE10ELNS1_11target_archE1200ELNS1_3gpuE4ELNS1_3repE0EEENS1_30default_config_static_selectorELNS0_4arch9wavefront6targetE1EEEvT1_.kd
    .uniform_work_group_size: 1
    .uses_dynamic_stack: false
    .vgpr_count:     0
    .vgpr_spill_count: 0
    .wavefront_size: 64
  - .agpr_count:     0
    .args:
      - .offset:         0
        .size:           136
        .value_kind:     by_value
    .group_segment_fixed_size: 0
    .kernarg_segment_align: 8
    .kernarg_segment_size: 136
    .language:       OpenCL C
    .language_version:
      - 2
      - 0
    .max_flat_workgroup_size: 512
    .name:           _ZN7rocprim17ROCPRIM_400000_NS6detail17trampoline_kernelINS0_14default_configENS1_25partition_config_selectorILNS1_17partition_subalgoE8ElNS0_10empty_typeEbEEZZNS1_14partition_implILS5_8ELb0ES3_jPlPS6_PKS6_NS0_5tupleIJS9_S6_EEENSD_IJSA_SA_EEENS0_18inequality_wrapperIZN2at6native12_GLOBAL__N_124unique_dim_cuda_templateIaEESt5tupleIJNSH_6TensorESM_SM_EERKSM_lbbbEUlllE0_EEPmJS6_EEE10hipError_tPvRmT3_T4_T5_T6_T7_T9_mT8_P12ihipStream_tbDpT10_ENKUlT_T0_E_clISt17integral_constantIbLb1EES1C_EEDaS17_S18_EUlS17_E_NS1_11comp_targetILNS1_3genE9ELNS1_11target_archE1100ELNS1_3gpuE3ELNS1_3repE0EEENS1_30default_config_static_selectorELNS0_4arch9wavefront6targetE1EEEvT1_
    .private_segment_fixed_size: 0
    .sgpr_count:     6
    .sgpr_spill_count: 0
    .symbol:         _ZN7rocprim17ROCPRIM_400000_NS6detail17trampoline_kernelINS0_14default_configENS1_25partition_config_selectorILNS1_17partition_subalgoE8ElNS0_10empty_typeEbEEZZNS1_14partition_implILS5_8ELb0ES3_jPlPS6_PKS6_NS0_5tupleIJS9_S6_EEENSD_IJSA_SA_EEENS0_18inequality_wrapperIZN2at6native12_GLOBAL__N_124unique_dim_cuda_templateIaEESt5tupleIJNSH_6TensorESM_SM_EERKSM_lbbbEUlllE0_EEPmJS6_EEE10hipError_tPvRmT3_T4_T5_T6_T7_T9_mT8_P12ihipStream_tbDpT10_ENKUlT_T0_E_clISt17integral_constantIbLb1EES1C_EEDaS17_S18_EUlS17_E_NS1_11comp_targetILNS1_3genE9ELNS1_11target_archE1100ELNS1_3gpuE3ELNS1_3repE0EEENS1_30default_config_static_selectorELNS0_4arch9wavefront6targetE1EEEvT1_.kd
    .uniform_work_group_size: 1
    .uses_dynamic_stack: false
    .vgpr_count:     0
    .vgpr_spill_count: 0
    .wavefront_size: 64
  - .agpr_count:     0
    .args:
      - .offset:         0
        .size:           136
        .value_kind:     by_value
    .group_segment_fixed_size: 0
    .kernarg_segment_align: 8
    .kernarg_segment_size: 136
    .language:       OpenCL C
    .language_version:
      - 2
      - 0
    .max_flat_workgroup_size: 512
    .name:           _ZN7rocprim17ROCPRIM_400000_NS6detail17trampoline_kernelINS0_14default_configENS1_25partition_config_selectorILNS1_17partition_subalgoE8ElNS0_10empty_typeEbEEZZNS1_14partition_implILS5_8ELb0ES3_jPlPS6_PKS6_NS0_5tupleIJS9_S6_EEENSD_IJSA_SA_EEENS0_18inequality_wrapperIZN2at6native12_GLOBAL__N_124unique_dim_cuda_templateIaEESt5tupleIJNSH_6TensorESM_SM_EERKSM_lbbbEUlllE0_EEPmJS6_EEE10hipError_tPvRmT3_T4_T5_T6_T7_T9_mT8_P12ihipStream_tbDpT10_ENKUlT_T0_E_clISt17integral_constantIbLb1EES1C_EEDaS17_S18_EUlS17_E_NS1_11comp_targetILNS1_3genE8ELNS1_11target_archE1030ELNS1_3gpuE2ELNS1_3repE0EEENS1_30default_config_static_selectorELNS0_4arch9wavefront6targetE1EEEvT1_
    .private_segment_fixed_size: 0
    .sgpr_count:     6
    .sgpr_spill_count: 0
    .symbol:         _ZN7rocprim17ROCPRIM_400000_NS6detail17trampoline_kernelINS0_14default_configENS1_25partition_config_selectorILNS1_17partition_subalgoE8ElNS0_10empty_typeEbEEZZNS1_14partition_implILS5_8ELb0ES3_jPlPS6_PKS6_NS0_5tupleIJS9_S6_EEENSD_IJSA_SA_EEENS0_18inequality_wrapperIZN2at6native12_GLOBAL__N_124unique_dim_cuda_templateIaEESt5tupleIJNSH_6TensorESM_SM_EERKSM_lbbbEUlllE0_EEPmJS6_EEE10hipError_tPvRmT3_T4_T5_T6_T7_T9_mT8_P12ihipStream_tbDpT10_ENKUlT_T0_E_clISt17integral_constantIbLb1EES1C_EEDaS17_S18_EUlS17_E_NS1_11comp_targetILNS1_3genE8ELNS1_11target_archE1030ELNS1_3gpuE2ELNS1_3repE0EEENS1_30default_config_static_selectorELNS0_4arch9wavefront6targetE1EEEvT1_.kd
    .uniform_work_group_size: 1
    .uses_dynamic_stack: false
    .vgpr_count:     0
    .vgpr_spill_count: 0
    .wavefront_size: 64
  - .agpr_count:     0
    .args:
      - .offset:         0
        .size:           120
        .value_kind:     by_value
    .group_segment_fixed_size: 0
    .kernarg_segment_align: 8
    .kernarg_segment_size: 120
    .language:       OpenCL C
    .language_version:
      - 2
      - 0
    .max_flat_workgroup_size: 512
    .name:           _ZN7rocprim17ROCPRIM_400000_NS6detail17trampoline_kernelINS0_14default_configENS1_25partition_config_selectorILNS1_17partition_subalgoE8ElNS0_10empty_typeEbEEZZNS1_14partition_implILS5_8ELb0ES3_jPlPS6_PKS6_NS0_5tupleIJS9_S6_EEENSD_IJSA_SA_EEENS0_18inequality_wrapperIZN2at6native12_GLOBAL__N_124unique_dim_cuda_templateIaEESt5tupleIJNSH_6TensorESM_SM_EERKSM_lbbbEUlllE0_EEPmJS6_EEE10hipError_tPvRmT3_T4_T5_T6_T7_T9_mT8_P12ihipStream_tbDpT10_ENKUlT_T0_E_clISt17integral_constantIbLb1EES1B_IbLb0EEEEDaS17_S18_EUlS17_E_NS1_11comp_targetILNS1_3genE0ELNS1_11target_archE4294967295ELNS1_3gpuE0ELNS1_3repE0EEENS1_30default_config_static_selectorELNS0_4arch9wavefront6targetE1EEEvT1_
    .private_segment_fixed_size: 0
    .sgpr_count:     6
    .sgpr_spill_count: 0
    .symbol:         _ZN7rocprim17ROCPRIM_400000_NS6detail17trampoline_kernelINS0_14default_configENS1_25partition_config_selectorILNS1_17partition_subalgoE8ElNS0_10empty_typeEbEEZZNS1_14partition_implILS5_8ELb0ES3_jPlPS6_PKS6_NS0_5tupleIJS9_S6_EEENSD_IJSA_SA_EEENS0_18inequality_wrapperIZN2at6native12_GLOBAL__N_124unique_dim_cuda_templateIaEESt5tupleIJNSH_6TensorESM_SM_EERKSM_lbbbEUlllE0_EEPmJS6_EEE10hipError_tPvRmT3_T4_T5_T6_T7_T9_mT8_P12ihipStream_tbDpT10_ENKUlT_T0_E_clISt17integral_constantIbLb1EES1B_IbLb0EEEEDaS17_S18_EUlS17_E_NS1_11comp_targetILNS1_3genE0ELNS1_11target_archE4294967295ELNS1_3gpuE0ELNS1_3repE0EEENS1_30default_config_static_selectorELNS0_4arch9wavefront6targetE1EEEvT1_.kd
    .uniform_work_group_size: 1
    .uses_dynamic_stack: false
    .vgpr_count:     0
    .vgpr_spill_count: 0
    .wavefront_size: 64
  - .agpr_count:     0
    .args:
      - .offset:         0
        .size:           120
        .value_kind:     by_value
    .group_segment_fixed_size: 0
    .kernarg_segment_align: 8
    .kernarg_segment_size: 120
    .language:       OpenCL C
    .language_version:
      - 2
      - 0
    .max_flat_workgroup_size: 512
    .name:           _ZN7rocprim17ROCPRIM_400000_NS6detail17trampoline_kernelINS0_14default_configENS1_25partition_config_selectorILNS1_17partition_subalgoE8ElNS0_10empty_typeEbEEZZNS1_14partition_implILS5_8ELb0ES3_jPlPS6_PKS6_NS0_5tupleIJS9_S6_EEENSD_IJSA_SA_EEENS0_18inequality_wrapperIZN2at6native12_GLOBAL__N_124unique_dim_cuda_templateIaEESt5tupleIJNSH_6TensorESM_SM_EERKSM_lbbbEUlllE0_EEPmJS6_EEE10hipError_tPvRmT3_T4_T5_T6_T7_T9_mT8_P12ihipStream_tbDpT10_ENKUlT_T0_E_clISt17integral_constantIbLb1EES1B_IbLb0EEEEDaS17_S18_EUlS17_E_NS1_11comp_targetILNS1_3genE5ELNS1_11target_archE942ELNS1_3gpuE9ELNS1_3repE0EEENS1_30default_config_static_selectorELNS0_4arch9wavefront6targetE1EEEvT1_
    .private_segment_fixed_size: 0
    .sgpr_count:     6
    .sgpr_spill_count: 0
    .symbol:         _ZN7rocprim17ROCPRIM_400000_NS6detail17trampoline_kernelINS0_14default_configENS1_25partition_config_selectorILNS1_17partition_subalgoE8ElNS0_10empty_typeEbEEZZNS1_14partition_implILS5_8ELb0ES3_jPlPS6_PKS6_NS0_5tupleIJS9_S6_EEENSD_IJSA_SA_EEENS0_18inequality_wrapperIZN2at6native12_GLOBAL__N_124unique_dim_cuda_templateIaEESt5tupleIJNSH_6TensorESM_SM_EERKSM_lbbbEUlllE0_EEPmJS6_EEE10hipError_tPvRmT3_T4_T5_T6_T7_T9_mT8_P12ihipStream_tbDpT10_ENKUlT_T0_E_clISt17integral_constantIbLb1EES1B_IbLb0EEEEDaS17_S18_EUlS17_E_NS1_11comp_targetILNS1_3genE5ELNS1_11target_archE942ELNS1_3gpuE9ELNS1_3repE0EEENS1_30default_config_static_selectorELNS0_4arch9wavefront6targetE1EEEvT1_.kd
    .uniform_work_group_size: 1
    .uses_dynamic_stack: false
    .vgpr_count:     0
    .vgpr_spill_count: 0
    .wavefront_size: 64
  - .agpr_count:     0
    .args:
      - .offset:         0
        .size:           120
        .value_kind:     by_value
    .group_segment_fixed_size: 0
    .kernarg_segment_align: 8
    .kernarg_segment_size: 120
    .language:       OpenCL C
    .language_version:
      - 2
      - 0
    .max_flat_workgroup_size: 256
    .name:           _ZN7rocprim17ROCPRIM_400000_NS6detail17trampoline_kernelINS0_14default_configENS1_25partition_config_selectorILNS1_17partition_subalgoE8ElNS0_10empty_typeEbEEZZNS1_14partition_implILS5_8ELb0ES3_jPlPS6_PKS6_NS0_5tupleIJS9_S6_EEENSD_IJSA_SA_EEENS0_18inequality_wrapperIZN2at6native12_GLOBAL__N_124unique_dim_cuda_templateIaEESt5tupleIJNSH_6TensorESM_SM_EERKSM_lbbbEUlllE0_EEPmJS6_EEE10hipError_tPvRmT3_T4_T5_T6_T7_T9_mT8_P12ihipStream_tbDpT10_ENKUlT_T0_E_clISt17integral_constantIbLb1EES1B_IbLb0EEEEDaS17_S18_EUlS17_E_NS1_11comp_targetILNS1_3genE4ELNS1_11target_archE910ELNS1_3gpuE8ELNS1_3repE0EEENS1_30default_config_static_selectorELNS0_4arch9wavefront6targetE1EEEvT1_
    .private_segment_fixed_size: 0
    .sgpr_count:     6
    .sgpr_spill_count: 0
    .symbol:         _ZN7rocprim17ROCPRIM_400000_NS6detail17trampoline_kernelINS0_14default_configENS1_25partition_config_selectorILNS1_17partition_subalgoE8ElNS0_10empty_typeEbEEZZNS1_14partition_implILS5_8ELb0ES3_jPlPS6_PKS6_NS0_5tupleIJS9_S6_EEENSD_IJSA_SA_EEENS0_18inequality_wrapperIZN2at6native12_GLOBAL__N_124unique_dim_cuda_templateIaEESt5tupleIJNSH_6TensorESM_SM_EERKSM_lbbbEUlllE0_EEPmJS6_EEE10hipError_tPvRmT3_T4_T5_T6_T7_T9_mT8_P12ihipStream_tbDpT10_ENKUlT_T0_E_clISt17integral_constantIbLb1EES1B_IbLb0EEEEDaS17_S18_EUlS17_E_NS1_11comp_targetILNS1_3genE4ELNS1_11target_archE910ELNS1_3gpuE8ELNS1_3repE0EEENS1_30default_config_static_selectorELNS0_4arch9wavefront6targetE1EEEvT1_.kd
    .uniform_work_group_size: 1
    .uses_dynamic_stack: false
    .vgpr_count:     0
    .vgpr_spill_count: 0
    .wavefront_size: 64
  - .agpr_count:     0
    .args:
      - .offset:         0
        .size:           120
        .value_kind:     by_value
    .group_segment_fixed_size: 0
    .kernarg_segment_align: 8
    .kernarg_segment_size: 120
    .language:       OpenCL C
    .language_version:
      - 2
      - 0
    .max_flat_workgroup_size: 512
    .name:           _ZN7rocprim17ROCPRIM_400000_NS6detail17trampoline_kernelINS0_14default_configENS1_25partition_config_selectorILNS1_17partition_subalgoE8ElNS0_10empty_typeEbEEZZNS1_14partition_implILS5_8ELb0ES3_jPlPS6_PKS6_NS0_5tupleIJS9_S6_EEENSD_IJSA_SA_EEENS0_18inequality_wrapperIZN2at6native12_GLOBAL__N_124unique_dim_cuda_templateIaEESt5tupleIJNSH_6TensorESM_SM_EERKSM_lbbbEUlllE0_EEPmJS6_EEE10hipError_tPvRmT3_T4_T5_T6_T7_T9_mT8_P12ihipStream_tbDpT10_ENKUlT_T0_E_clISt17integral_constantIbLb1EES1B_IbLb0EEEEDaS17_S18_EUlS17_E_NS1_11comp_targetILNS1_3genE3ELNS1_11target_archE908ELNS1_3gpuE7ELNS1_3repE0EEENS1_30default_config_static_selectorELNS0_4arch9wavefront6targetE1EEEvT1_
    .private_segment_fixed_size: 0
    .sgpr_count:     6
    .sgpr_spill_count: 0
    .symbol:         _ZN7rocprim17ROCPRIM_400000_NS6detail17trampoline_kernelINS0_14default_configENS1_25partition_config_selectorILNS1_17partition_subalgoE8ElNS0_10empty_typeEbEEZZNS1_14partition_implILS5_8ELb0ES3_jPlPS6_PKS6_NS0_5tupleIJS9_S6_EEENSD_IJSA_SA_EEENS0_18inequality_wrapperIZN2at6native12_GLOBAL__N_124unique_dim_cuda_templateIaEESt5tupleIJNSH_6TensorESM_SM_EERKSM_lbbbEUlllE0_EEPmJS6_EEE10hipError_tPvRmT3_T4_T5_T6_T7_T9_mT8_P12ihipStream_tbDpT10_ENKUlT_T0_E_clISt17integral_constantIbLb1EES1B_IbLb0EEEEDaS17_S18_EUlS17_E_NS1_11comp_targetILNS1_3genE3ELNS1_11target_archE908ELNS1_3gpuE7ELNS1_3repE0EEENS1_30default_config_static_selectorELNS0_4arch9wavefront6targetE1EEEvT1_.kd
    .uniform_work_group_size: 1
    .uses_dynamic_stack: false
    .vgpr_count:     0
    .vgpr_spill_count: 0
    .wavefront_size: 64
  - .agpr_count:     0
    .args:
      - .offset:         0
        .size:           120
        .value_kind:     by_value
    .group_segment_fixed_size: 0
    .kernarg_segment_align: 8
    .kernarg_segment_size: 120
    .language:       OpenCL C
    .language_version:
      - 2
      - 0
    .max_flat_workgroup_size: 256
    .name:           _ZN7rocprim17ROCPRIM_400000_NS6detail17trampoline_kernelINS0_14default_configENS1_25partition_config_selectorILNS1_17partition_subalgoE8ElNS0_10empty_typeEbEEZZNS1_14partition_implILS5_8ELb0ES3_jPlPS6_PKS6_NS0_5tupleIJS9_S6_EEENSD_IJSA_SA_EEENS0_18inequality_wrapperIZN2at6native12_GLOBAL__N_124unique_dim_cuda_templateIaEESt5tupleIJNSH_6TensorESM_SM_EERKSM_lbbbEUlllE0_EEPmJS6_EEE10hipError_tPvRmT3_T4_T5_T6_T7_T9_mT8_P12ihipStream_tbDpT10_ENKUlT_T0_E_clISt17integral_constantIbLb1EES1B_IbLb0EEEEDaS17_S18_EUlS17_E_NS1_11comp_targetILNS1_3genE2ELNS1_11target_archE906ELNS1_3gpuE6ELNS1_3repE0EEENS1_30default_config_static_selectorELNS0_4arch9wavefront6targetE1EEEvT1_
    .private_segment_fixed_size: 0
    .sgpr_count:     6
    .sgpr_spill_count: 0
    .symbol:         _ZN7rocprim17ROCPRIM_400000_NS6detail17trampoline_kernelINS0_14default_configENS1_25partition_config_selectorILNS1_17partition_subalgoE8ElNS0_10empty_typeEbEEZZNS1_14partition_implILS5_8ELb0ES3_jPlPS6_PKS6_NS0_5tupleIJS9_S6_EEENSD_IJSA_SA_EEENS0_18inequality_wrapperIZN2at6native12_GLOBAL__N_124unique_dim_cuda_templateIaEESt5tupleIJNSH_6TensorESM_SM_EERKSM_lbbbEUlllE0_EEPmJS6_EEE10hipError_tPvRmT3_T4_T5_T6_T7_T9_mT8_P12ihipStream_tbDpT10_ENKUlT_T0_E_clISt17integral_constantIbLb1EES1B_IbLb0EEEEDaS17_S18_EUlS17_E_NS1_11comp_targetILNS1_3genE2ELNS1_11target_archE906ELNS1_3gpuE6ELNS1_3repE0EEENS1_30default_config_static_selectorELNS0_4arch9wavefront6targetE1EEEvT1_.kd
    .uniform_work_group_size: 1
    .uses_dynamic_stack: false
    .vgpr_count:     0
    .vgpr_spill_count: 0
    .wavefront_size: 64
  - .agpr_count:     0
    .args:
      - .offset:         0
        .size:           120
        .value_kind:     by_value
    .group_segment_fixed_size: 0
    .kernarg_segment_align: 8
    .kernarg_segment_size: 120
    .language:       OpenCL C
    .language_version:
      - 2
      - 0
    .max_flat_workgroup_size: 384
    .name:           _ZN7rocprim17ROCPRIM_400000_NS6detail17trampoline_kernelINS0_14default_configENS1_25partition_config_selectorILNS1_17partition_subalgoE8ElNS0_10empty_typeEbEEZZNS1_14partition_implILS5_8ELb0ES3_jPlPS6_PKS6_NS0_5tupleIJS9_S6_EEENSD_IJSA_SA_EEENS0_18inequality_wrapperIZN2at6native12_GLOBAL__N_124unique_dim_cuda_templateIaEESt5tupleIJNSH_6TensorESM_SM_EERKSM_lbbbEUlllE0_EEPmJS6_EEE10hipError_tPvRmT3_T4_T5_T6_T7_T9_mT8_P12ihipStream_tbDpT10_ENKUlT_T0_E_clISt17integral_constantIbLb1EES1B_IbLb0EEEEDaS17_S18_EUlS17_E_NS1_11comp_targetILNS1_3genE10ELNS1_11target_archE1200ELNS1_3gpuE4ELNS1_3repE0EEENS1_30default_config_static_selectorELNS0_4arch9wavefront6targetE1EEEvT1_
    .private_segment_fixed_size: 0
    .sgpr_count:     6
    .sgpr_spill_count: 0
    .symbol:         _ZN7rocprim17ROCPRIM_400000_NS6detail17trampoline_kernelINS0_14default_configENS1_25partition_config_selectorILNS1_17partition_subalgoE8ElNS0_10empty_typeEbEEZZNS1_14partition_implILS5_8ELb0ES3_jPlPS6_PKS6_NS0_5tupleIJS9_S6_EEENSD_IJSA_SA_EEENS0_18inequality_wrapperIZN2at6native12_GLOBAL__N_124unique_dim_cuda_templateIaEESt5tupleIJNSH_6TensorESM_SM_EERKSM_lbbbEUlllE0_EEPmJS6_EEE10hipError_tPvRmT3_T4_T5_T6_T7_T9_mT8_P12ihipStream_tbDpT10_ENKUlT_T0_E_clISt17integral_constantIbLb1EES1B_IbLb0EEEEDaS17_S18_EUlS17_E_NS1_11comp_targetILNS1_3genE10ELNS1_11target_archE1200ELNS1_3gpuE4ELNS1_3repE0EEENS1_30default_config_static_selectorELNS0_4arch9wavefront6targetE1EEEvT1_.kd
    .uniform_work_group_size: 1
    .uses_dynamic_stack: false
    .vgpr_count:     0
    .vgpr_spill_count: 0
    .wavefront_size: 64
  - .agpr_count:     0
    .args:
      - .offset:         0
        .size:           120
        .value_kind:     by_value
    .group_segment_fixed_size: 0
    .kernarg_segment_align: 8
    .kernarg_segment_size: 120
    .language:       OpenCL C
    .language_version:
      - 2
      - 0
    .max_flat_workgroup_size: 512
    .name:           _ZN7rocprim17ROCPRIM_400000_NS6detail17trampoline_kernelINS0_14default_configENS1_25partition_config_selectorILNS1_17partition_subalgoE8ElNS0_10empty_typeEbEEZZNS1_14partition_implILS5_8ELb0ES3_jPlPS6_PKS6_NS0_5tupleIJS9_S6_EEENSD_IJSA_SA_EEENS0_18inequality_wrapperIZN2at6native12_GLOBAL__N_124unique_dim_cuda_templateIaEESt5tupleIJNSH_6TensorESM_SM_EERKSM_lbbbEUlllE0_EEPmJS6_EEE10hipError_tPvRmT3_T4_T5_T6_T7_T9_mT8_P12ihipStream_tbDpT10_ENKUlT_T0_E_clISt17integral_constantIbLb1EES1B_IbLb0EEEEDaS17_S18_EUlS17_E_NS1_11comp_targetILNS1_3genE9ELNS1_11target_archE1100ELNS1_3gpuE3ELNS1_3repE0EEENS1_30default_config_static_selectorELNS0_4arch9wavefront6targetE1EEEvT1_
    .private_segment_fixed_size: 0
    .sgpr_count:     6
    .sgpr_spill_count: 0
    .symbol:         _ZN7rocprim17ROCPRIM_400000_NS6detail17trampoline_kernelINS0_14default_configENS1_25partition_config_selectorILNS1_17partition_subalgoE8ElNS0_10empty_typeEbEEZZNS1_14partition_implILS5_8ELb0ES3_jPlPS6_PKS6_NS0_5tupleIJS9_S6_EEENSD_IJSA_SA_EEENS0_18inequality_wrapperIZN2at6native12_GLOBAL__N_124unique_dim_cuda_templateIaEESt5tupleIJNSH_6TensorESM_SM_EERKSM_lbbbEUlllE0_EEPmJS6_EEE10hipError_tPvRmT3_T4_T5_T6_T7_T9_mT8_P12ihipStream_tbDpT10_ENKUlT_T0_E_clISt17integral_constantIbLb1EES1B_IbLb0EEEEDaS17_S18_EUlS17_E_NS1_11comp_targetILNS1_3genE9ELNS1_11target_archE1100ELNS1_3gpuE3ELNS1_3repE0EEENS1_30default_config_static_selectorELNS0_4arch9wavefront6targetE1EEEvT1_.kd
    .uniform_work_group_size: 1
    .uses_dynamic_stack: false
    .vgpr_count:     0
    .vgpr_spill_count: 0
    .wavefront_size: 64
  - .agpr_count:     0
    .args:
      - .offset:         0
        .size:           120
        .value_kind:     by_value
    .group_segment_fixed_size: 0
    .kernarg_segment_align: 8
    .kernarg_segment_size: 120
    .language:       OpenCL C
    .language_version:
      - 2
      - 0
    .max_flat_workgroup_size: 512
    .name:           _ZN7rocprim17ROCPRIM_400000_NS6detail17trampoline_kernelINS0_14default_configENS1_25partition_config_selectorILNS1_17partition_subalgoE8ElNS0_10empty_typeEbEEZZNS1_14partition_implILS5_8ELb0ES3_jPlPS6_PKS6_NS0_5tupleIJS9_S6_EEENSD_IJSA_SA_EEENS0_18inequality_wrapperIZN2at6native12_GLOBAL__N_124unique_dim_cuda_templateIaEESt5tupleIJNSH_6TensorESM_SM_EERKSM_lbbbEUlllE0_EEPmJS6_EEE10hipError_tPvRmT3_T4_T5_T6_T7_T9_mT8_P12ihipStream_tbDpT10_ENKUlT_T0_E_clISt17integral_constantIbLb1EES1B_IbLb0EEEEDaS17_S18_EUlS17_E_NS1_11comp_targetILNS1_3genE8ELNS1_11target_archE1030ELNS1_3gpuE2ELNS1_3repE0EEENS1_30default_config_static_selectorELNS0_4arch9wavefront6targetE1EEEvT1_
    .private_segment_fixed_size: 0
    .sgpr_count:     6
    .sgpr_spill_count: 0
    .symbol:         _ZN7rocprim17ROCPRIM_400000_NS6detail17trampoline_kernelINS0_14default_configENS1_25partition_config_selectorILNS1_17partition_subalgoE8ElNS0_10empty_typeEbEEZZNS1_14partition_implILS5_8ELb0ES3_jPlPS6_PKS6_NS0_5tupleIJS9_S6_EEENSD_IJSA_SA_EEENS0_18inequality_wrapperIZN2at6native12_GLOBAL__N_124unique_dim_cuda_templateIaEESt5tupleIJNSH_6TensorESM_SM_EERKSM_lbbbEUlllE0_EEPmJS6_EEE10hipError_tPvRmT3_T4_T5_T6_T7_T9_mT8_P12ihipStream_tbDpT10_ENKUlT_T0_E_clISt17integral_constantIbLb1EES1B_IbLb0EEEEDaS17_S18_EUlS17_E_NS1_11comp_targetILNS1_3genE8ELNS1_11target_archE1030ELNS1_3gpuE2ELNS1_3repE0EEENS1_30default_config_static_selectorELNS0_4arch9wavefront6targetE1EEEvT1_.kd
    .uniform_work_group_size: 1
    .uses_dynamic_stack: false
    .vgpr_count:     0
    .vgpr_spill_count: 0
    .wavefront_size: 64
  - .agpr_count:     0
    .args:
      - .offset:         0
        .size:           136
        .value_kind:     by_value
    .group_segment_fixed_size: 28680
    .kernarg_segment_align: 8
    .kernarg_segment_size: 136
    .language:       OpenCL C
    .language_version:
      - 2
      - 0
    .max_flat_workgroup_size: 512
    .name:           _ZN7rocprim17ROCPRIM_400000_NS6detail17trampoline_kernelINS0_14default_configENS1_25partition_config_selectorILNS1_17partition_subalgoE8ElNS0_10empty_typeEbEEZZNS1_14partition_implILS5_8ELb0ES3_jPlPS6_PKS6_NS0_5tupleIJS9_S6_EEENSD_IJSA_SA_EEENS0_18inequality_wrapperIZN2at6native12_GLOBAL__N_124unique_dim_cuda_templateIaEESt5tupleIJNSH_6TensorESM_SM_EERKSM_lbbbEUlllE0_EEPmJS6_EEE10hipError_tPvRmT3_T4_T5_T6_T7_T9_mT8_P12ihipStream_tbDpT10_ENKUlT_T0_E_clISt17integral_constantIbLb0EES1B_IbLb1EEEEDaS17_S18_EUlS17_E_NS1_11comp_targetILNS1_3genE0ELNS1_11target_archE4294967295ELNS1_3gpuE0ELNS1_3repE0EEENS1_30default_config_static_selectorELNS0_4arch9wavefront6targetE1EEEvT1_
    .private_segment_fixed_size: 0
    .sgpr_count:     60
    .sgpr_spill_count: 0
    .symbol:         _ZN7rocprim17ROCPRIM_400000_NS6detail17trampoline_kernelINS0_14default_configENS1_25partition_config_selectorILNS1_17partition_subalgoE8ElNS0_10empty_typeEbEEZZNS1_14partition_implILS5_8ELb0ES3_jPlPS6_PKS6_NS0_5tupleIJS9_S6_EEENSD_IJSA_SA_EEENS0_18inequality_wrapperIZN2at6native12_GLOBAL__N_124unique_dim_cuda_templateIaEESt5tupleIJNSH_6TensorESM_SM_EERKSM_lbbbEUlllE0_EEPmJS6_EEE10hipError_tPvRmT3_T4_T5_T6_T7_T9_mT8_P12ihipStream_tbDpT10_ENKUlT_T0_E_clISt17integral_constantIbLb0EES1B_IbLb1EEEEDaS17_S18_EUlS17_E_NS1_11comp_targetILNS1_3genE0ELNS1_11target_archE4294967295ELNS1_3gpuE0ELNS1_3repE0EEENS1_30default_config_static_selectorELNS0_4arch9wavefront6targetE1EEEvT1_.kd
    .uniform_work_group_size: 1
    .uses_dynamic_stack: false
    .vgpr_count:     58
    .vgpr_spill_count: 0
    .wavefront_size: 64
  - .agpr_count:     0
    .args:
      - .offset:         0
        .size:           136
        .value_kind:     by_value
    .group_segment_fixed_size: 0
    .kernarg_segment_align: 8
    .kernarg_segment_size: 136
    .language:       OpenCL C
    .language_version:
      - 2
      - 0
    .max_flat_workgroup_size: 512
    .name:           _ZN7rocprim17ROCPRIM_400000_NS6detail17trampoline_kernelINS0_14default_configENS1_25partition_config_selectorILNS1_17partition_subalgoE8ElNS0_10empty_typeEbEEZZNS1_14partition_implILS5_8ELb0ES3_jPlPS6_PKS6_NS0_5tupleIJS9_S6_EEENSD_IJSA_SA_EEENS0_18inequality_wrapperIZN2at6native12_GLOBAL__N_124unique_dim_cuda_templateIaEESt5tupleIJNSH_6TensorESM_SM_EERKSM_lbbbEUlllE0_EEPmJS6_EEE10hipError_tPvRmT3_T4_T5_T6_T7_T9_mT8_P12ihipStream_tbDpT10_ENKUlT_T0_E_clISt17integral_constantIbLb0EES1B_IbLb1EEEEDaS17_S18_EUlS17_E_NS1_11comp_targetILNS1_3genE5ELNS1_11target_archE942ELNS1_3gpuE9ELNS1_3repE0EEENS1_30default_config_static_selectorELNS0_4arch9wavefront6targetE1EEEvT1_
    .private_segment_fixed_size: 0
    .sgpr_count:     6
    .sgpr_spill_count: 0
    .symbol:         _ZN7rocprim17ROCPRIM_400000_NS6detail17trampoline_kernelINS0_14default_configENS1_25partition_config_selectorILNS1_17partition_subalgoE8ElNS0_10empty_typeEbEEZZNS1_14partition_implILS5_8ELb0ES3_jPlPS6_PKS6_NS0_5tupleIJS9_S6_EEENSD_IJSA_SA_EEENS0_18inequality_wrapperIZN2at6native12_GLOBAL__N_124unique_dim_cuda_templateIaEESt5tupleIJNSH_6TensorESM_SM_EERKSM_lbbbEUlllE0_EEPmJS6_EEE10hipError_tPvRmT3_T4_T5_T6_T7_T9_mT8_P12ihipStream_tbDpT10_ENKUlT_T0_E_clISt17integral_constantIbLb0EES1B_IbLb1EEEEDaS17_S18_EUlS17_E_NS1_11comp_targetILNS1_3genE5ELNS1_11target_archE942ELNS1_3gpuE9ELNS1_3repE0EEENS1_30default_config_static_selectorELNS0_4arch9wavefront6targetE1EEEvT1_.kd
    .uniform_work_group_size: 1
    .uses_dynamic_stack: false
    .vgpr_count:     0
    .vgpr_spill_count: 0
    .wavefront_size: 64
  - .agpr_count:     0
    .args:
      - .offset:         0
        .size:           136
        .value_kind:     by_value
    .group_segment_fixed_size: 0
    .kernarg_segment_align: 8
    .kernarg_segment_size: 136
    .language:       OpenCL C
    .language_version:
      - 2
      - 0
    .max_flat_workgroup_size: 256
    .name:           _ZN7rocprim17ROCPRIM_400000_NS6detail17trampoline_kernelINS0_14default_configENS1_25partition_config_selectorILNS1_17partition_subalgoE8ElNS0_10empty_typeEbEEZZNS1_14partition_implILS5_8ELb0ES3_jPlPS6_PKS6_NS0_5tupleIJS9_S6_EEENSD_IJSA_SA_EEENS0_18inequality_wrapperIZN2at6native12_GLOBAL__N_124unique_dim_cuda_templateIaEESt5tupleIJNSH_6TensorESM_SM_EERKSM_lbbbEUlllE0_EEPmJS6_EEE10hipError_tPvRmT3_T4_T5_T6_T7_T9_mT8_P12ihipStream_tbDpT10_ENKUlT_T0_E_clISt17integral_constantIbLb0EES1B_IbLb1EEEEDaS17_S18_EUlS17_E_NS1_11comp_targetILNS1_3genE4ELNS1_11target_archE910ELNS1_3gpuE8ELNS1_3repE0EEENS1_30default_config_static_selectorELNS0_4arch9wavefront6targetE1EEEvT1_
    .private_segment_fixed_size: 0
    .sgpr_count:     6
    .sgpr_spill_count: 0
    .symbol:         _ZN7rocprim17ROCPRIM_400000_NS6detail17trampoline_kernelINS0_14default_configENS1_25partition_config_selectorILNS1_17partition_subalgoE8ElNS0_10empty_typeEbEEZZNS1_14partition_implILS5_8ELb0ES3_jPlPS6_PKS6_NS0_5tupleIJS9_S6_EEENSD_IJSA_SA_EEENS0_18inequality_wrapperIZN2at6native12_GLOBAL__N_124unique_dim_cuda_templateIaEESt5tupleIJNSH_6TensorESM_SM_EERKSM_lbbbEUlllE0_EEPmJS6_EEE10hipError_tPvRmT3_T4_T5_T6_T7_T9_mT8_P12ihipStream_tbDpT10_ENKUlT_T0_E_clISt17integral_constantIbLb0EES1B_IbLb1EEEEDaS17_S18_EUlS17_E_NS1_11comp_targetILNS1_3genE4ELNS1_11target_archE910ELNS1_3gpuE8ELNS1_3repE0EEENS1_30default_config_static_selectorELNS0_4arch9wavefront6targetE1EEEvT1_.kd
    .uniform_work_group_size: 1
    .uses_dynamic_stack: false
    .vgpr_count:     0
    .vgpr_spill_count: 0
    .wavefront_size: 64
  - .agpr_count:     0
    .args:
      - .offset:         0
        .size:           136
        .value_kind:     by_value
    .group_segment_fixed_size: 0
    .kernarg_segment_align: 8
    .kernarg_segment_size: 136
    .language:       OpenCL C
    .language_version:
      - 2
      - 0
    .max_flat_workgroup_size: 512
    .name:           _ZN7rocprim17ROCPRIM_400000_NS6detail17trampoline_kernelINS0_14default_configENS1_25partition_config_selectorILNS1_17partition_subalgoE8ElNS0_10empty_typeEbEEZZNS1_14partition_implILS5_8ELb0ES3_jPlPS6_PKS6_NS0_5tupleIJS9_S6_EEENSD_IJSA_SA_EEENS0_18inequality_wrapperIZN2at6native12_GLOBAL__N_124unique_dim_cuda_templateIaEESt5tupleIJNSH_6TensorESM_SM_EERKSM_lbbbEUlllE0_EEPmJS6_EEE10hipError_tPvRmT3_T4_T5_T6_T7_T9_mT8_P12ihipStream_tbDpT10_ENKUlT_T0_E_clISt17integral_constantIbLb0EES1B_IbLb1EEEEDaS17_S18_EUlS17_E_NS1_11comp_targetILNS1_3genE3ELNS1_11target_archE908ELNS1_3gpuE7ELNS1_3repE0EEENS1_30default_config_static_selectorELNS0_4arch9wavefront6targetE1EEEvT1_
    .private_segment_fixed_size: 0
    .sgpr_count:     6
    .sgpr_spill_count: 0
    .symbol:         _ZN7rocprim17ROCPRIM_400000_NS6detail17trampoline_kernelINS0_14default_configENS1_25partition_config_selectorILNS1_17partition_subalgoE8ElNS0_10empty_typeEbEEZZNS1_14partition_implILS5_8ELb0ES3_jPlPS6_PKS6_NS0_5tupleIJS9_S6_EEENSD_IJSA_SA_EEENS0_18inequality_wrapperIZN2at6native12_GLOBAL__N_124unique_dim_cuda_templateIaEESt5tupleIJNSH_6TensorESM_SM_EERKSM_lbbbEUlllE0_EEPmJS6_EEE10hipError_tPvRmT3_T4_T5_T6_T7_T9_mT8_P12ihipStream_tbDpT10_ENKUlT_T0_E_clISt17integral_constantIbLb0EES1B_IbLb1EEEEDaS17_S18_EUlS17_E_NS1_11comp_targetILNS1_3genE3ELNS1_11target_archE908ELNS1_3gpuE7ELNS1_3repE0EEENS1_30default_config_static_selectorELNS0_4arch9wavefront6targetE1EEEvT1_.kd
    .uniform_work_group_size: 1
    .uses_dynamic_stack: false
    .vgpr_count:     0
    .vgpr_spill_count: 0
    .wavefront_size: 64
  - .agpr_count:     0
    .args:
      - .offset:         0
        .size:           136
        .value_kind:     by_value
    .group_segment_fixed_size: 0
    .kernarg_segment_align: 8
    .kernarg_segment_size: 136
    .language:       OpenCL C
    .language_version:
      - 2
      - 0
    .max_flat_workgroup_size: 256
    .name:           _ZN7rocprim17ROCPRIM_400000_NS6detail17trampoline_kernelINS0_14default_configENS1_25partition_config_selectorILNS1_17partition_subalgoE8ElNS0_10empty_typeEbEEZZNS1_14partition_implILS5_8ELb0ES3_jPlPS6_PKS6_NS0_5tupleIJS9_S6_EEENSD_IJSA_SA_EEENS0_18inequality_wrapperIZN2at6native12_GLOBAL__N_124unique_dim_cuda_templateIaEESt5tupleIJNSH_6TensorESM_SM_EERKSM_lbbbEUlllE0_EEPmJS6_EEE10hipError_tPvRmT3_T4_T5_T6_T7_T9_mT8_P12ihipStream_tbDpT10_ENKUlT_T0_E_clISt17integral_constantIbLb0EES1B_IbLb1EEEEDaS17_S18_EUlS17_E_NS1_11comp_targetILNS1_3genE2ELNS1_11target_archE906ELNS1_3gpuE6ELNS1_3repE0EEENS1_30default_config_static_selectorELNS0_4arch9wavefront6targetE1EEEvT1_
    .private_segment_fixed_size: 0
    .sgpr_count:     6
    .sgpr_spill_count: 0
    .symbol:         _ZN7rocprim17ROCPRIM_400000_NS6detail17trampoline_kernelINS0_14default_configENS1_25partition_config_selectorILNS1_17partition_subalgoE8ElNS0_10empty_typeEbEEZZNS1_14partition_implILS5_8ELb0ES3_jPlPS6_PKS6_NS0_5tupleIJS9_S6_EEENSD_IJSA_SA_EEENS0_18inequality_wrapperIZN2at6native12_GLOBAL__N_124unique_dim_cuda_templateIaEESt5tupleIJNSH_6TensorESM_SM_EERKSM_lbbbEUlllE0_EEPmJS6_EEE10hipError_tPvRmT3_T4_T5_T6_T7_T9_mT8_P12ihipStream_tbDpT10_ENKUlT_T0_E_clISt17integral_constantIbLb0EES1B_IbLb1EEEEDaS17_S18_EUlS17_E_NS1_11comp_targetILNS1_3genE2ELNS1_11target_archE906ELNS1_3gpuE6ELNS1_3repE0EEENS1_30default_config_static_selectorELNS0_4arch9wavefront6targetE1EEEvT1_.kd
    .uniform_work_group_size: 1
    .uses_dynamic_stack: false
    .vgpr_count:     0
    .vgpr_spill_count: 0
    .wavefront_size: 64
  - .agpr_count:     0
    .args:
      - .offset:         0
        .size:           136
        .value_kind:     by_value
    .group_segment_fixed_size: 0
    .kernarg_segment_align: 8
    .kernarg_segment_size: 136
    .language:       OpenCL C
    .language_version:
      - 2
      - 0
    .max_flat_workgroup_size: 384
    .name:           _ZN7rocprim17ROCPRIM_400000_NS6detail17trampoline_kernelINS0_14default_configENS1_25partition_config_selectorILNS1_17partition_subalgoE8ElNS0_10empty_typeEbEEZZNS1_14partition_implILS5_8ELb0ES3_jPlPS6_PKS6_NS0_5tupleIJS9_S6_EEENSD_IJSA_SA_EEENS0_18inequality_wrapperIZN2at6native12_GLOBAL__N_124unique_dim_cuda_templateIaEESt5tupleIJNSH_6TensorESM_SM_EERKSM_lbbbEUlllE0_EEPmJS6_EEE10hipError_tPvRmT3_T4_T5_T6_T7_T9_mT8_P12ihipStream_tbDpT10_ENKUlT_T0_E_clISt17integral_constantIbLb0EES1B_IbLb1EEEEDaS17_S18_EUlS17_E_NS1_11comp_targetILNS1_3genE10ELNS1_11target_archE1200ELNS1_3gpuE4ELNS1_3repE0EEENS1_30default_config_static_selectorELNS0_4arch9wavefront6targetE1EEEvT1_
    .private_segment_fixed_size: 0
    .sgpr_count:     6
    .sgpr_spill_count: 0
    .symbol:         _ZN7rocprim17ROCPRIM_400000_NS6detail17trampoline_kernelINS0_14default_configENS1_25partition_config_selectorILNS1_17partition_subalgoE8ElNS0_10empty_typeEbEEZZNS1_14partition_implILS5_8ELb0ES3_jPlPS6_PKS6_NS0_5tupleIJS9_S6_EEENSD_IJSA_SA_EEENS0_18inequality_wrapperIZN2at6native12_GLOBAL__N_124unique_dim_cuda_templateIaEESt5tupleIJNSH_6TensorESM_SM_EERKSM_lbbbEUlllE0_EEPmJS6_EEE10hipError_tPvRmT3_T4_T5_T6_T7_T9_mT8_P12ihipStream_tbDpT10_ENKUlT_T0_E_clISt17integral_constantIbLb0EES1B_IbLb1EEEEDaS17_S18_EUlS17_E_NS1_11comp_targetILNS1_3genE10ELNS1_11target_archE1200ELNS1_3gpuE4ELNS1_3repE0EEENS1_30default_config_static_selectorELNS0_4arch9wavefront6targetE1EEEvT1_.kd
    .uniform_work_group_size: 1
    .uses_dynamic_stack: false
    .vgpr_count:     0
    .vgpr_spill_count: 0
    .wavefront_size: 64
  - .agpr_count:     0
    .args:
      - .offset:         0
        .size:           136
        .value_kind:     by_value
    .group_segment_fixed_size: 0
    .kernarg_segment_align: 8
    .kernarg_segment_size: 136
    .language:       OpenCL C
    .language_version:
      - 2
      - 0
    .max_flat_workgroup_size: 512
    .name:           _ZN7rocprim17ROCPRIM_400000_NS6detail17trampoline_kernelINS0_14default_configENS1_25partition_config_selectorILNS1_17partition_subalgoE8ElNS0_10empty_typeEbEEZZNS1_14partition_implILS5_8ELb0ES3_jPlPS6_PKS6_NS0_5tupleIJS9_S6_EEENSD_IJSA_SA_EEENS0_18inequality_wrapperIZN2at6native12_GLOBAL__N_124unique_dim_cuda_templateIaEESt5tupleIJNSH_6TensorESM_SM_EERKSM_lbbbEUlllE0_EEPmJS6_EEE10hipError_tPvRmT3_T4_T5_T6_T7_T9_mT8_P12ihipStream_tbDpT10_ENKUlT_T0_E_clISt17integral_constantIbLb0EES1B_IbLb1EEEEDaS17_S18_EUlS17_E_NS1_11comp_targetILNS1_3genE9ELNS1_11target_archE1100ELNS1_3gpuE3ELNS1_3repE0EEENS1_30default_config_static_selectorELNS0_4arch9wavefront6targetE1EEEvT1_
    .private_segment_fixed_size: 0
    .sgpr_count:     6
    .sgpr_spill_count: 0
    .symbol:         _ZN7rocprim17ROCPRIM_400000_NS6detail17trampoline_kernelINS0_14default_configENS1_25partition_config_selectorILNS1_17partition_subalgoE8ElNS0_10empty_typeEbEEZZNS1_14partition_implILS5_8ELb0ES3_jPlPS6_PKS6_NS0_5tupleIJS9_S6_EEENSD_IJSA_SA_EEENS0_18inequality_wrapperIZN2at6native12_GLOBAL__N_124unique_dim_cuda_templateIaEESt5tupleIJNSH_6TensorESM_SM_EERKSM_lbbbEUlllE0_EEPmJS6_EEE10hipError_tPvRmT3_T4_T5_T6_T7_T9_mT8_P12ihipStream_tbDpT10_ENKUlT_T0_E_clISt17integral_constantIbLb0EES1B_IbLb1EEEEDaS17_S18_EUlS17_E_NS1_11comp_targetILNS1_3genE9ELNS1_11target_archE1100ELNS1_3gpuE3ELNS1_3repE0EEENS1_30default_config_static_selectorELNS0_4arch9wavefront6targetE1EEEvT1_.kd
    .uniform_work_group_size: 1
    .uses_dynamic_stack: false
    .vgpr_count:     0
    .vgpr_spill_count: 0
    .wavefront_size: 64
  - .agpr_count:     0
    .args:
      - .offset:         0
        .size:           136
        .value_kind:     by_value
    .group_segment_fixed_size: 0
    .kernarg_segment_align: 8
    .kernarg_segment_size: 136
    .language:       OpenCL C
    .language_version:
      - 2
      - 0
    .max_flat_workgroup_size: 512
    .name:           _ZN7rocprim17ROCPRIM_400000_NS6detail17trampoline_kernelINS0_14default_configENS1_25partition_config_selectorILNS1_17partition_subalgoE8ElNS0_10empty_typeEbEEZZNS1_14partition_implILS5_8ELb0ES3_jPlPS6_PKS6_NS0_5tupleIJS9_S6_EEENSD_IJSA_SA_EEENS0_18inequality_wrapperIZN2at6native12_GLOBAL__N_124unique_dim_cuda_templateIaEESt5tupleIJNSH_6TensorESM_SM_EERKSM_lbbbEUlllE0_EEPmJS6_EEE10hipError_tPvRmT3_T4_T5_T6_T7_T9_mT8_P12ihipStream_tbDpT10_ENKUlT_T0_E_clISt17integral_constantIbLb0EES1B_IbLb1EEEEDaS17_S18_EUlS17_E_NS1_11comp_targetILNS1_3genE8ELNS1_11target_archE1030ELNS1_3gpuE2ELNS1_3repE0EEENS1_30default_config_static_selectorELNS0_4arch9wavefront6targetE1EEEvT1_
    .private_segment_fixed_size: 0
    .sgpr_count:     6
    .sgpr_spill_count: 0
    .symbol:         _ZN7rocprim17ROCPRIM_400000_NS6detail17trampoline_kernelINS0_14default_configENS1_25partition_config_selectorILNS1_17partition_subalgoE8ElNS0_10empty_typeEbEEZZNS1_14partition_implILS5_8ELb0ES3_jPlPS6_PKS6_NS0_5tupleIJS9_S6_EEENSD_IJSA_SA_EEENS0_18inequality_wrapperIZN2at6native12_GLOBAL__N_124unique_dim_cuda_templateIaEESt5tupleIJNSH_6TensorESM_SM_EERKSM_lbbbEUlllE0_EEPmJS6_EEE10hipError_tPvRmT3_T4_T5_T6_T7_T9_mT8_P12ihipStream_tbDpT10_ENKUlT_T0_E_clISt17integral_constantIbLb0EES1B_IbLb1EEEEDaS17_S18_EUlS17_E_NS1_11comp_targetILNS1_3genE8ELNS1_11target_archE1030ELNS1_3gpuE2ELNS1_3repE0EEENS1_30default_config_static_selectorELNS0_4arch9wavefront6targetE1EEEvT1_.kd
    .uniform_work_group_size: 1
    .uses_dynamic_stack: false
    .vgpr_count:     0
    .vgpr_spill_count: 0
    .wavefront_size: 64
  - .agpr_count:     0
    .args:
      - .offset:         0
        .size:           120
        .value_kind:     by_value
    .group_segment_fixed_size: 5128
    .kernarg_segment_align: 8
    .kernarg_segment_size: 120
    .language:       OpenCL C
    .language_version:
      - 2
      - 0
    .max_flat_workgroup_size: 128
    .name:           _ZN7rocprim17ROCPRIM_400000_NS6detail17trampoline_kernelINS0_14default_configENS1_25partition_config_selectorILNS1_17partition_subalgoE9EllbEEZZNS1_14partition_implILS5_9ELb0ES3_jPlS8_PNS0_10empty_typeENS0_5tupleIJS8_S9_EEENSB_IJS8_SA_EEENS0_18inequality_wrapperIZN2at6native12_GLOBAL__N_124unique_dim_cuda_templateIaEESt5tupleIJNSF_6TensorESK_SK_EERKSK_lbbbEUlllE0_EEPmJS9_EEE10hipError_tPvRmT3_T4_T5_T6_T7_T9_mT8_P12ihipStream_tbDpT10_ENKUlT_T0_E_clISt17integral_constantIbLb0EES1A_EEDaS15_S16_EUlS15_E_NS1_11comp_targetILNS1_3genE0ELNS1_11target_archE4294967295ELNS1_3gpuE0ELNS1_3repE0EEENS1_30default_config_static_selectorELNS0_4arch9wavefront6targetE1EEEvT1_
    .private_segment_fixed_size: 0
    .sgpr_count:     52
    .sgpr_spill_count: 0
    .symbol:         _ZN7rocprim17ROCPRIM_400000_NS6detail17trampoline_kernelINS0_14default_configENS1_25partition_config_selectorILNS1_17partition_subalgoE9EllbEEZZNS1_14partition_implILS5_9ELb0ES3_jPlS8_PNS0_10empty_typeENS0_5tupleIJS8_S9_EEENSB_IJS8_SA_EEENS0_18inequality_wrapperIZN2at6native12_GLOBAL__N_124unique_dim_cuda_templateIaEESt5tupleIJNSF_6TensorESK_SK_EERKSK_lbbbEUlllE0_EEPmJS9_EEE10hipError_tPvRmT3_T4_T5_T6_T7_T9_mT8_P12ihipStream_tbDpT10_ENKUlT_T0_E_clISt17integral_constantIbLb0EES1A_EEDaS15_S16_EUlS15_E_NS1_11comp_targetILNS1_3genE0ELNS1_11target_archE4294967295ELNS1_3gpuE0ELNS1_3repE0EEENS1_30default_config_static_selectorELNS0_4arch9wavefront6targetE1EEEvT1_.kd
    .uniform_work_group_size: 1
    .uses_dynamic_stack: false
    .vgpr_count:     60
    .vgpr_spill_count: 0
    .wavefront_size: 64
  - .agpr_count:     0
    .args:
      - .offset:         0
        .size:           120
        .value_kind:     by_value
    .group_segment_fixed_size: 0
    .kernarg_segment_align: 8
    .kernarg_segment_size: 120
    .language:       OpenCL C
    .language_version:
      - 2
      - 0
    .max_flat_workgroup_size: 512
    .name:           _ZN7rocprim17ROCPRIM_400000_NS6detail17trampoline_kernelINS0_14default_configENS1_25partition_config_selectorILNS1_17partition_subalgoE9EllbEEZZNS1_14partition_implILS5_9ELb0ES3_jPlS8_PNS0_10empty_typeENS0_5tupleIJS8_S9_EEENSB_IJS8_SA_EEENS0_18inequality_wrapperIZN2at6native12_GLOBAL__N_124unique_dim_cuda_templateIaEESt5tupleIJNSF_6TensorESK_SK_EERKSK_lbbbEUlllE0_EEPmJS9_EEE10hipError_tPvRmT3_T4_T5_T6_T7_T9_mT8_P12ihipStream_tbDpT10_ENKUlT_T0_E_clISt17integral_constantIbLb0EES1A_EEDaS15_S16_EUlS15_E_NS1_11comp_targetILNS1_3genE5ELNS1_11target_archE942ELNS1_3gpuE9ELNS1_3repE0EEENS1_30default_config_static_selectorELNS0_4arch9wavefront6targetE1EEEvT1_
    .private_segment_fixed_size: 0
    .sgpr_count:     6
    .sgpr_spill_count: 0
    .symbol:         _ZN7rocprim17ROCPRIM_400000_NS6detail17trampoline_kernelINS0_14default_configENS1_25partition_config_selectorILNS1_17partition_subalgoE9EllbEEZZNS1_14partition_implILS5_9ELb0ES3_jPlS8_PNS0_10empty_typeENS0_5tupleIJS8_S9_EEENSB_IJS8_SA_EEENS0_18inequality_wrapperIZN2at6native12_GLOBAL__N_124unique_dim_cuda_templateIaEESt5tupleIJNSF_6TensorESK_SK_EERKSK_lbbbEUlllE0_EEPmJS9_EEE10hipError_tPvRmT3_T4_T5_T6_T7_T9_mT8_P12ihipStream_tbDpT10_ENKUlT_T0_E_clISt17integral_constantIbLb0EES1A_EEDaS15_S16_EUlS15_E_NS1_11comp_targetILNS1_3genE5ELNS1_11target_archE942ELNS1_3gpuE9ELNS1_3repE0EEENS1_30default_config_static_selectorELNS0_4arch9wavefront6targetE1EEEvT1_.kd
    .uniform_work_group_size: 1
    .uses_dynamic_stack: false
    .vgpr_count:     0
    .vgpr_spill_count: 0
    .wavefront_size: 64
  - .agpr_count:     0
    .args:
      - .offset:         0
        .size:           120
        .value_kind:     by_value
    .group_segment_fixed_size: 0
    .kernarg_segment_align: 8
    .kernarg_segment_size: 120
    .language:       OpenCL C
    .language_version:
      - 2
      - 0
    .max_flat_workgroup_size: 128
    .name:           _ZN7rocprim17ROCPRIM_400000_NS6detail17trampoline_kernelINS0_14default_configENS1_25partition_config_selectorILNS1_17partition_subalgoE9EllbEEZZNS1_14partition_implILS5_9ELb0ES3_jPlS8_PNS0_10empty_typeENS0_5tupleIJS8_S9_EEENSB_IJS8_SA_EEENS0_18inequality_wrapperIZN2at6native12_GLOBAL__N_124unique_dim_cuda_templateIaEESt5tupleIJNSF_6TensorESK_SK_EERKSK_lbbbEUlllE0_EEPmJS9_EEE10hipError_tPvRmT3_T4_T5_T6_T7_T9_mT8_P12ihipStream_tbDpT10_ENKUlT_T0_E_clISt17integral_constantIbLb0EES1A_EEDaS15_S16_EUlS15_E_NS1_11comp_targetILNS1_3genE4ELNS1_11target_archE910ELNS1_3gpuE8ELNS1_3repE0EEENS1_30default_config_static_selectorELNS0_4arch9wavefront6targetE1EEEvT1_
    .private_segment_fixed_size: 0
    .sgpr_count:     6
    .sgpr_spill_count: 0
    .symbol:         _ZN7rocprim17ROCPRIM_400000_NS6detail17trampoline_kernelINS0_14default_configENS1_25partition_config_selectorILNS1_17partition_subalgoE9EllbEEZZNS1_14partition_implILS5_9ELb0ES3_jPlS8_PNS0_10empty_typeENS0_5tupleIJS8_S9_EEENSB_IJS8_SA_EEENS0_18inequality_wrapperIZN2at6native12_GLOBAL__N_124unique_dim_cuda_templateIaEESt5tupleIJNSF_6TensorESK_SK_EERKSK_lbbbEUlllE0_EEPmJS9_EEE10hipError_tPvRmT3_T4_T5_T6_T7_T9_mT8_P12ihipStream_tbDpT10_ENKUlT_T0_E_clISt17integral_constantIbLb0EES1A_EEDaS15_S16_EUlS15_E_NS1_11comp_targetILNS1_3genE4ELNS1_11target_archE910ELNS1_3gpuE8ELNS1_3repE0EEENS1_30default_config_static_selectorELNS0_4arch9wavefront6targetE1EEEvT1_.kd
    .uniform_work_group_size: 1
    .uses_dynamic_stack: false
    .vgpr_count:     0
    .vgpr_spill_count: 0
    .wavefront_size: 64
  - .agpr_count:     0
    .args:
      - .offset:         0
        .size:           120
        .value_kind:     by_value
    .group_segment_fixed_size: 0
    .kernarg_segment_align: 8
    .kernarg_segment_size: 120
    .language:       OpenCL C
    .language_version:
      - 2
      - 0
    .max_flat_workgroup_size: 128
    .name:           _ZN7rocprim17ROCPRIM_400000_NS6detail17trampoline_kernelINS0_14default_configENS1_25partition_config_selectorILNS1_17partition_subalgoE9EllbEEZZNS1_14partition_implILS5_9ELb0ES3_jPlS8_PNS0_10empty_typeENS0_5tupleIJS8_S9_EEENSB_IJS8_SA_EEENS0_18inequality_wrapperIZN2at6native12_GLOBAL__N_124unique_dim_cuda_templateIaEESt5tupleIJNSF_6TensorESK_SK_EERKSK_lbbbEUlllE0_EEPmJS9_EEE10hipError_tPvRmT3_T4_T5_T6_T7_T9_mT8_P12ihipStream_tbDpT10_ENKUlT_T0_E_clISt17integral_constantIbLb0EES1A_EEDaS15_S16_EUlS15_E_NS1_11comp_targetILNS1_3genE3ELNS1_11target_archE908ELNS1_3gpuE7ELNS1_3repE0EEENS1_30default_config_static_selectorELNS0_4arch9wavefront6targetE1EEEvT1_
    .private_segment_fixed_size: 0
    .sgpr_count:     6
    .sgpr_spill_count: 0
    .symbol:         _ZN7rocprim17ROCPRIM_400000_NS6detail17trampoline_kernelINS0_14default_configENS1_25partition_config_selectorILNS1_17partition_subalgoE9EllbEEZZNS1_14partition_implILS5_9ELb0ES3_jPlS8_PNS0_10empty_typeENS0_5tupleIJS8_S9_EEENSB_IJS8_SA_EEENS0_18inequality_wrapperIZN2at6native12_GLOBAL__N_124unique_dim_cuda_templateIaEESt5tupleIJNSF_6TensorESK_SK_EERKSK_lbbbEUlllE0_EEPmJS9_EEE10hipError_tPvRmT3_T4_T5_T6_T7_T9_mT8_P12ihipStream_tbDpT10_ENKUlT_T0_E_clISt17integral_constantIbLb0EES1A_EEDaS15_S16_EUlS15_E_NS1_11comp_targetILNS1_3genE3ELNS1_11target_archE908ELNS1_3gpuE7ELNS1_3repE0EEENS1_30default_config_static_selectorELNS0_4arch9wavefront6targetE1EEEvT1_.kd
    .uniform_work_group_size: 1
    .uses_dynamic_stack: false
    .vgpr_count:     0
    .vgpr_spill_count: 0
    .wavefront_size: 64
  - .agpr_count:     0
    .args:
      - .offset:         0
        .size:           120
        .value_kind:     by_value
    .group_segment_fixed_size: 0
    .kernarg_segment_align: 8
    .kernarg_segment_size: 120
    .language:       OpenCL C
    .language_version:
      - 2
      - 0
    .max_flat_workgroup_size: 192
    .name:           _ZN7rocprim17ROCPRIM_400000_NS6detail17trampoline_kernelINS0_14default_configENS1_25partition_config_selectorILNS1_17partition_subalgoE9EllbEEZZNS1_14partition_implILS5_9ELb0ES3_jPlS8_PNS0_10empty_typeENS0_5tupleIJS8_S9_EEENSB_IJS8_SA_EEENS0_18inequality_wrapperIZN2at6native12_GLOBAL__N_124unique_dim_cuda_templateIaEESt5tupleIJNSF_6TensorESK_SK_EERKSK_lbbbEUlllE0_EEPmJS9_EEE10hipError_tPvRmT3_T4_T5_T6_T7_T9_mT8_P12ihipStream_tbDpT10_ENKUlT_T0_E_clISt17integral_constantIbLb0EES1A_EEDaS15_S16_EUlS15_E_NS1_11comp_targetILNS1_3genE2ELNS1_11target_archE906ELNS1_3gpuE6ELNS1_3repE0EEENS1_30default_config_static_selectorELNS0_4arch9wavefront6targetE1EEEvT1_
    .private_segment_fixed_size: 0
    .sgpr_count:     6
    .sgpr_spill_count: 0
    .symbol:         _ZN7rocprim17ROCPRIM_400000_NS6detail17trampoline_kernelINS0_14default_configENS1_25partition_config_selectorILNS1_17partition_subalgoE9EllbEEZZNS1_14partition_implILS5_9ELb0ES3_jPlS8_PNS0_10empty_typeENS0_5tupleIJS8_S9_EEENSB_IJS8_SA_EEENS0_18inequality_wrapperIZN2at6native12_GLOBAL__N_124unique_dim_cuda_templateIaEESt5tupleIJNSF_6TensorESK_SK_EERKSK_lbbbEUlllE0_EEPmJS9_EEE10hipError_tPvRmT3_T4_T5_T6_T7_T9_mT8_P12ihipStream_tbDpT10_ENKUlT_T0_E_clISt17integral_constantIbLb0EES1A_EEDaS15_S16_EUlS15_E_NS1_11comp_targetILNS1_3genE2ELNS1_11target_archE906ELNS1_3gpuE6ELNS1_3repE0EEENS1_30default_config_static_selectorELNS0_4arch9wavefront6targetE1EEEvT1_.kd
    .uniform_work_group_size: 1
    .uses_dynamic_stack: false
    .vgpr_count:     0
    .vgpr_spill_count: 0
    .wavefront_size: 64
  - .agpr_count:     0
    .args:
      - .offset:         0
        .size:           120
        .value_kind:     by_value
    .group_segment_fixed_size: 0
    .kernarg_segment_align: 8
    .kernarg_segment_size: 120
    .language:       OpenCL C
    .language_version:
      - 2
      - 0
    .max_flat_workgroup_size: 384
    .name:           _ZN7rocprim17ROCPRIM_400000_NS6detail17trampoline_kernelINS0_14default_configENS1_25partition_config_selectorILNS1_17partition_subalgoE9EllbEEZZNS1_14partition_implILS5_9ELb0ES3_jPlS8_PNS0_10empty_typeENS0_5tupleIJS8_S9_EEENSB_IJS8_SA_EEENS0_18inequality_wrapperIZN2at6native12_GLOBAL__N_124unique_dim_cuda_templateIaEESt5tupleIJNSF_6TensorESK_SK_EERKSK_lbbbEUlllE0_EEPmJS9_EEE10hipError_tPvRmT3_T4_T5_T6_T7_T9_mT8_P12ihipStream_tbDpT10_ENKUlT_T0_E_clISt17integral_constantIbLb0EES1A_EEDaS15_S16_EUlS15_E_NS1_11comp_targetILNS1_3genE10ELNS1_11target_archE1200ELNS1_3gpuE4ELNS1_3repE0EEENS1_30default_config_static_selectorELNS0_4arch9wavefront6targetE1EEEvT1_
    .private_segment_fixed_size: 0
    .sgpr_count:     6
    .sgpr_spill_count: 0
    .symbol:         _ZN7rocprim17ROCPRIM_400000_NS6detail17trampoline_kernelINS0_14default_configENS1_25partition_config_selectorILNS1_17partition_subalgoE9EllbEEZZNS1_14partition_implILS5_9ELb0ES3_jPlS8_PNS0_10empty_typeENS0_5tupleIJS8_S9_EEENSB_IJS8_SA_EEENS0_18inequality_wrapperIZN2at6native12_GLOBAL__N_124unique_dim_cuda_templateIaEESt5tupleIJNSF_6TensorESK_SK_EERKSK_lbbbEUlllE0_EEPmJS9_EEE10hipError_tPvRmT3_T4_T5_T6_T7_T9_mT8_P12ihipStream_tbDpT10_ENKUlT_T0_E_clISt17integral_constantIbLb0EES1A_EEDaS15_S16_EUlS15_E_NS1_11comp_targetILNS1_3genE10ELNS1_11target_archE1200ELNS1_3gpuE4ELNS1_3repE0EEENS1_30default_config_static_selectorELNS0_4arch9wavefront6targetE1EEEvT1_.kd
    .uniform_work_group_size: 1
    .uses_dynamic_stack: false
    .vgpr_count:     0
    .vgpr_spill_count: 0
    .wavefront_size: 64
  - .agpr_count:     0
    .args:
      - .offset:         0
        .size:           120
        .value_kind:     by_value
    .group_segment_fixed_size: 0
    .kernarg_segment_align: 8
    .kernarg_segment_size: 120
    .language:       OpenCL C
    .language_version:
      - 2
      - 0
    .max_flat_workgroup_size: 512
    .name:           _ZN7rocprim17ROCPRIM_400000_NS6detail17trampoline_kernelINS0_14default_configENS1_25partition_config_selectorILNS1_17partition_subalgoE9EllbEEZZNS1_14partition_implILS5_9ELb0ES3_jPlS8_PNS0_10empty_typeENS0_5tupleIJS8_S9_EEENSB_IJS8_SA_EEENS0_18inequality_wrapperIZN2at6native12_GLOBAL__N_124unique_dim_cuda_templateIaEESt5tupleIJNSF_6TensorESK_SK_EERKSK_lbbbEUlllE0_EEPmJS9_EEE10hipError_tPvRmT3_T4_T5_T6_T7_T9_mT8_P12ihipStream_tbDpT10_ENKUlT_T0_E_clISt17integral_constantIbLb0EES1A_EEDaS15_S16_EUlS15_E_NS1_11comp_targetILNS1_3genE9ELNS1_11target_archE1100ELNS1_3gpuE3ELNS1_3repE0EEENS1_30default_config_static_selectorELNS0_4arch9wavefront6targetE1EEEvT1_
    .private_segment_fixed_size: 0
    .sgpr_count:     6
    .sgpr_spill_count: 0
    .symbol:         _ZN7rocprim17ROCPRIM_400000_NS6detail17trampoline_kernelINS0_14default_configENS1_25partition_config_selectorILNS1_17partition_subalgoE9EllbEEZZNS1_14partition_implILS5_9ELb0ES3_jPlS8_PNS0_10empty_typeENS0_5tupleIJS8_S9_EEENSB_IJS8_SA_EEENS0_18inequality_wrapperIZN2at6native12_GLOBAL__N_124unique_dim_cuda_templateIaEESt5tupleIJNSF_6TensorESK_SK_EERKSK_lbbbEUlllE0_EEPmJS9_EEE10hipError_tPvRmT3_T4_T5_T6_T7_T9_mT8_P12ihipStream_tbDpT10_ENKUlT_T0_E_clISt17integral_constantIbLb0EES1A_EEDaS15_S16_EUlS15_E_NS1_11comp_targetILNS1_3genE9ELNS1_11target_archE1100ELNS1_3gpuE3ELNS1_3repE0EEENS1_30default_config_static_selectorELNS0_4arch9wavefront6targetE1EEEvT1_.kd
    .uniform_work_group_size: 1
    .uses_dynamic_stack: false
    .vgpr_count:     0
    .vgpr_spill_count: 0
    .wavefront_size: 64
  - .agpr_count:     0
    .args:
      - .offset:         0
        .size:           120
        .value_kind:     by_value
    .group_segment_fixed_size: 0
    .kernarg_segment_align: 8
    .kernarg_segment_size: 120
    .language:       OpenCL C
    .language_version:
      - 2
      - 0
    .max_flat_workgroup_size: 512
    .name:           _ZN7rocprim17ROCPRIM_400000_NS6detail17trampoline_kernelINS0_14default_configENS1_25partition_config_selectorILNS1_17partition_subalgoE9EllbEEZZNS1_14partition_implILS5_9ELb0ES3_jPlS8_PNS0_10empty_typeENS0_5tupleIJS8_S9_EEENSB_IJS8_SA_EEENS0_18inequality_wrapperIZN2at6native12_GLOBAL__N_124unique_dim_cuda_templateIaEESt5tupleIJNSF_6TensorESK_SK_EERKSK_lbbbEUlllE0_EEPmJS9_EEE10hipError_tPvRmT3_T4_T5_T6_T7_T9_mT8_P12ihipStream_tbDpT10_ENKUlT_T0_E_clISt17integral_constantIbLb0EES1A_EEDaS15_S16_EUlS15_E_NS1_11comp_targetILNS1_3genE8ELNS1_11target_archE1030ELNS1_3gpuE2ELNS1_3repE0EEENS1_30default_config_static_selectorELNS0_4arch9wavefront6targetE1EEEvT1_
    .private_segment_fixed_size: 0
    .sgpr_count:     6
    .sgpr_spill_count: 0
    .symbol:         _ZN7rocprim17ROCPRIM_400000_NS6detail17trampoline_kernelINS0_14default_configENS1_25partition_config_selectorILNS1_17partition_subalgoE9EllbEEZZNS1_14partition_implILS5_9ELb0ES3_jPlS8_PNS0_10empty_typeENS0_5tupleIJS8_S9_EEENSB_IJS8_SA_EEENS0_18inequality_wrapperIZN2at6native12_GLOBAL__N_124unique_dim_cuda_templateIaEESt5tupleIJNSF_6TensorESK_SK_EERKSK_lbbbEUlllE0_EEPmJS9_EEE10hipError_tPvRmT3_T4_T5_T6_T7_T9_mT8_P12ihipStream_tbDpT10_ENKUlT_T0_E_clISt17integral_constantIbLb0EES1A_EEDaS15_S16_EUlS15_E_NS1_11comp_targetILNS1_3genE8ELNS1_11target_archE1030ELNS1_3gpuE2ELNS1_3repE0EEENS1_30default_config_static_selectorELNS0_4arch9wavefront6targetE1EEEvT1_.kd
    .uniform_work_group_size: 1
    .uses_dynamic_stack: false
    .vgpr_count:     0
    .vgpr_spill_count: 0
    .wavefront_size: 64
  - .agpr_count:     0
    .args:
      - .offset:         0
        .size:           136
        .value_kind:     by_value
    .group_segment_fixed_size: 0
    .kernarg_segment_align: 8
    .kernarg_segment_size: 136
    .language:       OpenCL C
    .language_version:
      - 2
      - 0
    .max_flat_workgroup_size: 128
    .name:           _ZN7rocprim17ROCPRIM_400000_NS6detail17trampoline_kernelINS0_14default_configENS1_25partition_config_selectorILNS1_17partition_subalgoE9EllbEEZZNS1_14partition_implILS5_9ELb0ES3_jPlS8_PNS0_10empty_typeENS0_5tupleIJS8_S9_EEENSB_IJS8_SA_EEENS0_18inequality_wrapperIZN2at6native12_GLOBAL__N_124unique_dim_cuda_templateIaEESt5tupleIJNSF_6TensorESK_SK_EERKSK_lbbbEUlllE0_EEPmJS9_EEE10hipError_tPvRmT3_T4_T5_T6_T7_T9_mT8_P12ihipStream_tbDpT10_ENKUlT_T0_E_clISt17integral_constantIbLb1EES1A_EEDaS15_S16_EUlS15_E_NS1_11comp_targetILNS1_3genE0ELNS1_11target_archE4294967295ELNS1_3gpuE0ELNS1_3repE0EEENS1_30default_config_static_selectorELNS0_4arch9wavefront6targetE1EEEvT1_
    .private_segment_fixed_size: 0
    .sgpr_count:     6
    .sgpr_spill_count: 0
    .symbol:         _ZN7rocprim17ROCPRIM_400000_NS6detail17trampoline_kernelINS0_14default_configENS1_25partition_config_selectorILNS1_17partition_subalgoE9EllbEEZZNS1_14partition_implILS5_9ELb0ES3_jPlS8_PNS0_10empty_typeENS0_5tupleIJS8_S9_EEENSB_IJS8_SA_EEENS0_18inequality_wrapperIZN2at6native12_GLOBAL__N_124unique_dim_cuda_templateIaEESt5tupleIJNSF_6TensorESK_SK_EERKSK_lbbbEUlllE0_EEPmJS9_EEE10hipError_tPvRmT3_T4_T5_T6_T7_T9_mT8_P12ihipStream_tbDpT10_ENKUlT_T0_E_clISt17integral_constantIbLb1EES1A_EEDaS15_S16_EUlS15_E_NS1_11comp_targetILNS1_3genE0ELNS1_11target_archE4294967295ELNS1_3gpuE0ELNS1_3repE0EEENS1_30default_config_static_selectorELNS0_4arch9wavefront6targetE1EEEvT1_.kd
    .uniform_work_group_size: 1
    .uses_dynamic_stack: false
    .vgpr_count:     0
    .vgpr_spill_count: 0
    .wavefront_size: 64
  - .agpr_count:     0
    .args:
      - .offset:         0
        .size:           136
        .value_kind:     by_value
    .group_segment_fixed_size: 0
    .kernarg_segment_align: 8
    .kernarg_segment_size: 136
    .language:       OpenCL C
    .language_version:
      - 2
      - 0
    .max_flat_workgroup_size: 512
    .name:           _ZN7rocprim17ROCPRIM_400000_NS6detail17trampoline_kernelINS0_14default_configENS1_25partition_config_selectorILNS1_17partition_subalgoE9EllbEEZZNS1_14partition_implILS5_9ELb0ES3_jPlS8_PNS0_10empty_typeENS0_5tupleIJS8_S9_EEENSB_IJS8_SA_EEENS0_18inequality_wrapperIZN2at6native12_GLOBAL__N_124unique_dim_cuda_templateIaEESt5tupleIJNSF_6TensorESK_SK_EERKSK_lbbbEUlllE0_EEPmJS9_EEE10hipError_tPvRmT3_T4_T5_T6_T7_T9_mT8_P12ihipStream_tbDpT10_ENKUlT_T0_E_clISt17integral_constantIbLb1EES1A_EEDaS15_S16_EUlS15_E_NS1_11comp_targetILNS1_3genE5ELNS1_11target_archE942ELNS1_3gpuE9ELNS1_3repE0EEENS1_30default_config_static_selectorELNS0_4arch9wavefront6targetE1EEEvT1_
    .private_segment_fixed_size: 0
    .sgpr_count:     6
    .sgpr_spill_count: 0
    .symbol:         _ZN7rocprim17ROCPRIM_400000_NS6detail17trampoline_kernelINS0_14default_configENS1_25partition_config_selectorILNS1_17partition_subalgoE9EllbEEZZNS1_14partition_implILS5_9ELb0ES3_jPlS8_PNS0_10empty_typeENS0_5tupleIJS8_S9_EEENSB_IJS8_SA_EEENS0_18inequality_wrapperIZN2at6native12_GLOBAL__N_124unique_dim_cuda_templateIaEESt5tupleIJNSF_6TensorESK_SK_EERKSK_lbbbEUlllE0_EEPmJS9_EEE10hipError_tPvRmT3_T4_T5_T6_T7_T9_mT8_P12ihipStream_tbDpT10_ENKUlT_T0_E_clISt17integral_constantIbLb1EES1A_EEDaS15_S16_EUlS15_E_NS1_11comp_targetILNS1_3genE5ELNS1_11target_archE942ELNS1_3gpuE9ELNS1_3repE0EEENS1_30default_config_static_selectorELNS0_4arch9wavefront6targetE1EEEvT1_.kd
    .uniform_work_group_size: 1
    .uses_dynamic_stack: false
    .vgpr_count:     0
    .vgpr_spill_count: 0
    .wavefront_size: 64
  - .agpr_count:     0
    .args:
      - .offset:         0
        .size:           136
        .value_kind:     by_value
    .group_segment_fixed_size: 0
    .kernarg_segment_align: 8
    .kernarg_segment_size: 136
    .language:       OpenCL C
    .language_version:
      - 2
      - 0
    .max_flat_workgroup_size: 128
    .name:           _ZN7rocprim17ROCPRIM_400000_NS6detail17trampoline_kernelINS0_14default_configENS1_25partition_config_selectorILNS1_17partition_subalgoE9EllbEEZZNS1_14partition_implILS5_9ELb0ES3_jPlS8_PNS0_10empty_typeENS0_5tupleIJS8_S9_EEENSB_IJS8_SA_EEENS0_18inequality_wrapperIZN2at6native12_GLOBAL__N_124unique_dim_cuda_templateIaEESt5tupleIJNSF_6TensorESK_SK_EERKSK_lbbbEUlllE0_EEPmJS9_EEE10hipError_tPvRmT3_T4_T5_T6_T7_T9_mT8_P12ihipStream_tbDpT10_ENKUlT_T0_E_clISt17integral_constantIbLb1EES1A_EEDaS15_S16_EUlS15_E_NS1_11comp_targetILNS1_3genE4ELNS1_11target_archE910ELNS1_3gpuE8ELNS1_3repE0EEENS1_30default_config_static_selectorELNS0_4arch9wavefront6targetE1EEEvT1_
    .private_segment_fixed_size: 0
    .sgpr_count:     6
    .sgpr_spill_count: 0
    .symbol:         _ZN7rocprim17ROCPRIM_400000_NS6detail17trampoline_kernelINS0_14default_configENS1_25partition_config_selectorILNS1_17partition_subalgoE9EllbEEZZNS1_14partition_implILS5_9ELb0ES3_jPlS8_PNS0_10empty_typeENS0_5tupleIJS8_S9_EEENSB_IJS8_SA_EEENS0_18inequality_wrapperIZN2at6native12_GLOBAL__N_124unique_dim_cuda_templateIaEESt5tupleIJNSF_6TensorESK_SK_EERKSK_lbbbEUlllE0_EEPmJS9_EEE10hipError_tPvRmT3_T4_T5_T6_T7_T9_mT8_P12ihipStream_tbDpT10_ENKUlT_T0_E_clISt17integral_constantIbLb1EES1A_EEDaS15_S16_EUlS15_E_NS1_11comp_targetILNS1_3genE4ELNS1_11target_archE910ELNS1_3gpuE8ELNS1_3repE0EEENS1_30default_config_static_selectorELNS0_4arch9wavefront6targetE1EEEvT1_.kd
    .uniform_work_group_size: 1
    .uses_dynamic_stack: false
    .vgpr_count:     0
    .vgpr_spill_count: 0
    .wavefront_size: 64
  - .agpr_count:     0
    .args:
      - .offset:         0
        .size:           136
        .value_kind:     by_value
    .group_segment_fixed_size: 0
    .kernarg_segment_align: 8
    .kernarg_segment_size: 136
    .language:       OpenCL C
    .language_version:
      - 2
      - 0
    .max_flat_workgroup_size: 128
    .name:           _ZN7rocprim17ROCPRIM_400000_NS6detail17trampoline_kernelINS0_14default_configENS1_25partition_config_selectorILNS1_17partition_subalgoE9EllbEEZZNS1_14partition_implILS5_9ELb0ES3_jPlS8_PNS0_10empty_typeENS0_5tupleIJS8_S9_EEENSB_IJS8_SA_EEENS0_18inequality_wrapperIZN2at6native12_GLOBAL__N_124unique_dim_cuda_templateIaEESt5tupleIJNSF_6TensorESK_SK_EERKSK_lbbbEUlllE0_EEPmJS9_EEE10hipError_tPvRmT3_T4_T5_T6_T7_T9_mT8_P12ihipStream_tbDpT10_ENKUlT_T0_E_clISt17integral_constantIbLb1EES1A_EEDaS15_S16_EUlS15_E_NS1_11comp_targetILNS1_3genE3ELNS1_11target_archE908ELNS1_3gpuE7ELNS1_3repE0EEENS1_30default_config_static_selectorELNS0_4arch9wavefront6targetE1EEEvT1_
    .private_segment_fixed_size: 0
    .sgpr_count:     6
    .sgpr_spill_count: 0
    .symbol:         _ZN7rocprim17ROCPRIM_400000_NS6detail17trampoline_kernelINS0_14default_configENS1_25partition_config_selectorILNS1_17partition_subalgoE9EllbEEZZNS1_14partition_implILS5_9ELb0ES3_jPlS8_PNS0_10empty_typeENS0_5tupleIJS8_S9_EEENSB_IJS8_SA_EEENS0_18inequality_wrapperIZN2at6native12_GLOBAL__N_124unique_dim_cuda_templateIaEESt5tupleIJNSF_6TensorESK_SK_EERKSK_lbbbEUlllE0_EEPmJS9_EEE10hipError_tPvRmT3_T4_T5_T6_T7_T9_mT8_P12ihipStream_tbDpT10_ENKUlT_T0_E_clISt17integral_constantIbLb1EES1A_EEDaS15_S16_EUlS15_E_NS1_11comp_targetILNS1_3genE3ELNS1_11target_archE908ELNS1_3gpuE7ELNS1_3repE0EEENS1_30default_config_static_selectorELNS0_4arch9wavefront6targetE1EEEvT1_.kd
    .uniform_work_group_size: 1
    .uses_dynamic_stack: false
    .vgpr_count:     0
    .vgpr_spill_count: 0
    .wavefront_size: 64
  - .agpr_count:     0
    .args:
      - .offset:         0
        .size:           136
        .value_kind:     by_value
    .group_segment_fixed_size: 0
    .kernarg_segment_align: 8
    .kernarg_segment_size: 136
    .language:       OpenCL C
    .language_version:
      - 2
      - 0
    .max_flat_workgroup_size: 192
    .name:           _ZN7rocprim17ROCPRIM_400000_NS6detail17trampoline_kernelINS0_14default_configENS1_25partition_config_selectorILNS1_17partition_subalgoE9EllbEEZZNS1_14partition_implILS5_9ELb0ES3_jPlS8_PNS0_10empty_typeENS0_5tupleIJS8_S9_EEENSB_IJS8_SA_EEENS0_18inequality_wrapperIZN2at6native12_GLOBAL__N_124unique_dim_cuda_templateIaEESt5tupleIJNSF_6TensorESK_SK_EERKSK_lbbbEUlllE0_EEPmJS9_EEE10hipError_tPvRmT3_T4_T5_T6_T7_T9_mT8_P12ihipStream_tbDpT10_ENKUlT_T0_E_clISt17integral_constantIbLb1EES1A_EEDaS15_S16_EUlS15_E_NS1_11comp_targetILNS1_3genE2ELNS1_11target_archE906ELNS1_3gpuE6ELNS1_3repE0EEENS1_30default_config_static_selectorELNS0_4arch9wavefront6targetE1EEEvT1_
    .private_segment_fixed_size: 0
    .sgpr_count:     6
    .sgpr_spill_count: 0
    .symbol:         _ZN7rocprim17ROCPRIM_400000_NS6detail17trampoline_kernelINS0_14default_configENS1_25partition_config_selectorILNS1_17partition_subalgoE9EllbEEZZNS1_14partition_implILS5_9ELb0ES3_jPlS8_PNS0_10empty_typeENS0_5tupleIJS8_S9_EEENSB_IJS8_SA_EEENS0_18inequality_wrapperIZN2at6native12_GLOBAL__N_124unique_dim_cuda_templateIaEESt5tupleIJNSF_6TensorESK_SK_EERKSK_lbbbEUlllE0_EEPmJS9_EEE10hipError_tPvRmT3_T4_T5_T6_T7_T9_mT8_P12ihipStream_tbDpT10_ENKUlT_T0_E_clISt17integral_constantIbLb1EES1A_EEDaS15_S16_EUlS15_E_NS1_11comp_targetILNS1_3genE2ELNS1_11target_archE906ELNS1_3gpuE6ELNS1_3repE0EEENS1_30default_config_static_selectorELNS0_4arch9wavefront6targetE1EEEvT1_.kd
    .uniform_work_group_size: 1
    .uses_dynamic_stack: false
    .vgpr_count:     0
    .vgpr_spill_count: 0
    .wavefront_size: 64
  - .agpr_count:     0
    .args:
      - .offset:         0
        .size:           136
        .value_kind:     by_value
    .group_segment_fixed_size: 0
    .kernarg_segment_align: 8
    .kernarg_segment_size: 136
    .language:       OpenCL C
    .language_version:
      - 2
      - 0
    .max_flat_workgroup_size: 384
    .name:           _ZN7rocprim17ROCPRIM_400000_NS6detail17trampoline_kernelINS0_14default_configENS1_25partition_config_selectorILNS1_17partition_subalgoE9EllbEEZZNS1_14partition_implILS5_9ELb0ES3_jPlS8_PNS0_10empty_typeENS0_5tupleIJS8_S9_EEENSB_IJS8_SA_EEENS0_18inequality_wrapperIZN2at6native12_GLOBAL__N_124unique_dim_cuda_templateIaEESt5tupleIJNSF_6TensorESK_SK_EERKSK_lbbbEUlllE0_EEPmJS9_EEE10hipError_tPvRmT3_T4_T5_T6_T7_T9_mT8_P12ihipStream_tbDpT10_ENKUlT_T0_E_clISt17integral_constantIbLb1EES1A_EEDaS15_S16_EUlS15_E_NS1_11comp_targetILNS1_3genE10ELNS1_11target_archE1200ELNS1_3gpuE4ELNS1_3repE0EEENS1_30default_config_static_selectorELNS0_4arch9wavefront6targetE1EEEvT1_
    .private_segment_fixed_size: 0
    .sgpr_count:     6
    .sgpr_spill_count: 0
    .symbol:         _ZN7rocprim17ROCPRIM_400000_NS6detail17trampoline_kernelINS0_14default_configENS1_25partition_config_selectorILNS1_17partition_subalgoE9EllbEEZZNS1_14partition_implILS5_9ELb0ES3_jPlS8_PNS0_10empty_typeENS0_5tupleIJS8_S9_EEENSB_IJS8_SA_EEENS0_18inequality_wrapperIZN2at6native12_GLOBAL__N_124unique_dim_cuda_templateIaEESt5tupleIJNSF_6TensorESK_SK_EERKSK_lbbbEUlllE0_EEPmJS9_EEE10hipError_tPvRmT3_T4_T5_T6_T7_T9_mT8_P12ihipStream_tbDpT10_ENKUlT_T0_E_clISt17integral_constantIbLb1EES1A_EEDaS15_S16_EUlS15_E_NS1_11comp_targetILNS1_3genE10ELNS1_11target_archE1200ELNS1_3gpuE4ELNS1_3repE0EEENS1_30default_config_static_selectorELNS0_4arch9wavefront6targetE1EEEvT1_.kd
    .uniform_work_group_size: 1
    .uses_dynamic_stack: false
    .vgpr_count:     0
    .vgpr_spill_count: 0
    .wavefront_size: 64
  - .agpr_count:     0
    .args:
      - .offset:         0
        .size:           136
        .value_kind:     by_value
    .group_segment_fixed_size: 0
    .kernarg_segment_align: 8
    .kernarg_segment_size: 136
    .language:       OpenCL C
    .language_version:
      - 2
      - 0
    .max_flat_workgroup_size: 512
    .name:           _ZN7rocprim17ROCPRIM_400000_NS6detail17trampoline_kernelINS0_14default_configENS1_25partition_config_selectorILNS1_17partition_subalgoE9EllbEEZZNS1_14partition_implILS5_9ELb0ES3_jPlS8_PNS0_10empty_typeENS0_5tupleIJS8_S9_EEENSB_IJS8_SA_EEENS0_18inequality_wrapperIZN2at6native12_GLOBAL__N_124unique_dim_cuda_templateIaEESt5tupleIJNSF_6TensorESK_SK_EERKSK_lbbbEUlllE0_EEPmJS9_EEE10hipError_tPvRmT3_T4_T5_T6_T7_T9_mT8_P12ihipStream_tbDpT10_ENKUlT_T0_E_clISt17integral_constantIbLb1EES1A_EEDaS15_S16_EUlS15_E_NS1_11comp_targetILNS1_3genE9ELNS1_11target_archE1100ELNS1_3gpuE3ELNS1_3repE0EEENS1_30default_config_static_selectorELNS0_4arch9wavefront6targetE1EEEvT1_
    .private_segment_fixed_size: 0
    .sgpr_count:     6
    .sgpr_spill_count: 0
    .symbol:         _ZN7rocprim17ROCPRIM_400000_NS6detail17trampoline_kernelINS0_14default_configENS1_25partition_config_selectorILNS1_17partition_subalgoE9EllbEEZZNS1_14partition_implILS5_9ELb0ES3_jPlS8_PNS0_10empty_typeENS0_5tupleIJS8_S9_EEENSB_IJS8_SA_EEENS0_18inequality_wrapperIZN2at6native12_GLOBAL__N_124unique_dim_cuda_templateIaEESt5tupleIJNSF_6TensorESK_SK_EERKSK_lbbbEUlllE0_EEPmJS9_EEE10hipError_tPvRmT3_T4_T5_T6_T7_T9_mT8_P12ihipStream_tbDpT10_ENKUlT_T0_E_clISt17integral_constantIbLb1EES1A_EEDaS15_S16_EUlS15_E_NS1_11comp_targetILNS1_3genE9ELNS1_11target_archE1100ELNS1_3gpuE3ELNS1_3repE0EEENS1_30default_config_static_selectorELNS0_4arch9wavefront6targetE1EEEvT1_.kd
    .uniform_work_group_size: 1
    .uses_dynamic_stack: false
    .vgpr_count:     0
    .vgpr_spill_count: 0
    .wavefront_size: 64
  - .agpr_count:     0
    .args:
      - .offset:         0
        .size:           136
        .value_kind:     by_value
    .group_segment_fixed_size: 0
    .kernarg_segment_align: 8
    .kernarg_segment_size: 136
    .language:       OpenCL C
    .language_version:
      - 2
      - 0
    .max_flat_workgroup_size: 512
    .name:           _ZN7rocprim17ROCPRIM_400000_NS6detail17trampoline_kernelINS0_14default_configENS1_25partition_config_selectorILNS1_17partition_subalgoE9EllbEEZZNS1_14partition_implILS5_9ELb0ES3_jPlS8_PNS0_10empty_typeENS0_5tupleIJS8_S9_EEENSB_IJS8_SA_EEENS0_18inequality_wrapperIZN2at6native12_GLOBAL__N_124unique_dim_cuda_templateIaEESt5tupleIJNSF_6TensorESK_SK_EERKSK_lbbbEUlllE0_EEPmJS9_EEE10hipError_tPvRmT3_T4_T5_T6_T7_T9_mT8_P12ihipStream_tbDpT10_ENKUlT_T0_E_clISt17integral_constantIbLb1EES1A_EEDaS15_S16_EUlS15_E_NS1_11comp_targetILNS1_3genE8ELNS1_11target_archE1030ELNS1_3gpuE2ELNS1_3repE0EEENS1_30default_config_static_selectorELNS0_4arch9wavefront6targetE1EEEvT1_
    .private_segment_fixed_size: 0
    .sgpr_count:     6
    .sgpr_spill_count: 0
    .symbol:         _ZN7rocprim17ROCPRIM_400000_NS6detail17trampoline_kernelINS0_14default_configENS1_25partition_config_selectorILNS1_17partition_subalgoE9EllbEEZZNS1_14partition_implILS5_9ELb0ES3_jPlS8_PNS0_10empty_typeENS0_5tupleIJS8_S9_EEENSB_IJS8_SA_EEENS0_18inequality_wrapperIZN2at6native12_GLOBAL__N_124unique_dim_cuda_templateIaEESt5tupleIJNSF_6TensorESK_SK_EERKSK_lbbbEUlllE0_EEPmJS9_EEE10hipError_tPvRmT3_T4_T5_T6_T7_T9_mT8_P12ihipStream_tbDpT10_ENKUlT_T0_E_clISt17integral_constantIbLb1EES1A_EEDaS15_S16_EUlS15_E_NS1_11comp_targetILNS1_3genE8ELNS1_11target_archE1030ELNS1_3gpuE2ELNS1_3repE0EEENS1_30default_config_static_selectorELNS0_4arch9wavefront6targetE1EEEvT1_.kd
    .uniform_work_group_size: 1
    .uses_dynamic_stack: false
    .vgpr_count:     0
    .vgpr_spill_count: 0
    .wavefront_size: 64
  - .agpr_count:     0
    .args:
      - .offset:         0
        .size:           120
        .value_kind:     by_value
    .group_segment_fixed_size: 0
    .kernarg_segment_align: 8
    .kernarg_segment_size: 120
    .language:       OpenCL C
    .language_version:
      - 2
      - 0
    .max_flat_workgroup_size: 128
    .name:           _ZN7rocprim17ROCPRIM_400000_NS6detail17trampoline_kernelINS0_14default_configENS1_25partition_config_selectorILNS1_17partition_subalgoE9EllbEEZZNS1_14partition_implILS5_9ELb0ES3_jPlS8_PNS0_10empty_typeENS0_5tupleIJS8_S9_EEENSB_IJS8_SA_EEENS0_18inequality_wrapperIZN2at6native12_GLOBAL__N_124unique_dim_cuda_templateIaEESt5tupleIJNSF_6TensorESK_SK_EERKSK_lbbbEUlllE0_EEPmJS9_EEE10hipError_tPvRmT3_T4_T5_T6_T7_T9_mT8_P12ihipStream_tbDpT10_ENKUlT_T0_E_clISt17integral_constantIbLb1EES19_IbLb0EEEEDaS15_S16_EUlS15_E_NS1_11comp_targetILNS1_3genE0ELNS1_11target_archE4294967295ELNS1_3gpuE0ELNS1_3repE0EEENS1_30default_config_static_selectorELNS0_4arch9wavefront6targetE1EEEvT1_
    .private_segment_fixed_size: 0
    .sgpr_count:     6
    .sgpr_spill_count: 0
    .symbol:         _ZN7rocprim17ROCPRIM_400000_NS6detail17trampoline_kernelINS0_14default_configENS1_25partition_config_selectorILNS1_17partition_subalgoE9EllbEEZZNS1_14partition_implILS5_9ELb0ES3_jPlS8_PNS0_10empty_typeENS0_5tupleIJS8_S9_EEENSB_IJS8_SA_EEENS0_18inequality_wrapperIZN2at6native12_GLOBAL__N_124unique_dim_cuda_templateIaEESt5tupleIJNSF_6TensorESK_SK_EERKSK_lbbbEUlllE0_EEPmJS9_EEE10hipError_tPvRmT3_T4_T5_T6_T7_T9_mT8_P12ihipStream_tbDpT10_ENKUlT_T0_E_clISt17integral_constantIbLb1EES19_IbLb0EEEEDaS15_S16_EUlS15_E_NS1_11comp_targetILNS1_3genE0ELNS1_11target_archE4294967295ELNS1_3gpuE0ELNS1_3repE0EEENS1_30default_config_static_selectorELNS0_4arch9wavefront6targetE1EEEvT1_.kd
    .uniform_work_group_size: 1
    .uses_dynamic_stack: false
    .vgpr_count:     0
    .vgpr_spill_count: 0
    .wavefront_size: 64
  - .agpr_count:     0
    .args:
      - .offset:         0
        .size:           120
        .value_kind:     by_value
    .group_segment_fixed_size: 0
    .kernarg_segment_align: 8
    .kernarg_segment_size: 120
    .language:       OpenCL C
    .language_version:
      - 2
      - 0
    .max_flat_workgroup_size: 512
    .name:           _ZN7rocprim17ROCPRIM_400000_NS6detail17trampoline_kernelINS0_14default_configENS1_25partition_config_selectorILNS1_17partition_subalgoE9EllbEEZZNS1_14partition_implILS5_9ELb0ES3_jPlS8_PNS0_10empty_typeENS0_5tupleIJS8_S9_EEENSB_IJS8_SA_EEENS0_18inequality_wrapperIZN2at6native12_GLOBAL__N_124unique_dim_cuda_templateIaEESt5tupleIJNSF_6TensorESK_SK_EERKSK_lbbbEUlllE0_EEPmJS9_EEE10hipError_tPvRmT3_T4_T5_T6_T7_T9_mT8_P12ihipStream_tbDpT10_ENKUlT_T0_E_clISt17integral_constantIbLb1EES19_IbLb0EEEEDaS15_S16_EUlS15_E_NS1_11comp_targetILNS1_3genE5ELNS1_11target_archE942ELNS1_3gpuE9ELNS1_3repE0EEENS1_30default_config_static_selectorELNS0_4arch9wavefront6targetE1EEEvT1_
    .private_segment_fixed_size: 0
    .sgpr_count:     6
    .sgpr_spill_count: 0
    .symbol:         _ZN7rocprim17ROCPRIM_400000_NS6detail17trampoline_kernelINS0_14default_configENS1_25partition_config_selectorILNS1_17partition_subalgoE9EllbEEZZNS1_14partition_implILS5_9ELb0ES3_jPlS8_PNS0_10empty_typeENS0_5tupleIJS8_S9_EEENSB_IJS8_SA_EEENS0_18inequality_wrapperIZN2at6native12_GLOBAL__N_124unique_dim_cuda_templateIaEESt5tupleIJNSF_6TensorESK_SK_EERKSK_lbbbEUlllE0_EEPmJS9_EEE10hipError_tPvRmT3_T4_T5_T6_T7_T9_mT8_P12ihipStream_tbDpT10_ENKUlT_T0_E_clISt17integral_constantIbLb1EES19_IbLb0EEEEDaS15_S16_EUlS15_E_NS1_11comp_targetILNS1_3genE5ELNS1_11target_archE942ELNS1_3gpuE9ELNS1_3repE0EEENS1_30default_config_static_selectorELNS0_4arch9wavefront6targetE1EEEvT1_.kd
    .uniform_work_group_size: 1
    .uses_dynamic_stack: false
    .vgpr_count:     0
    .vgpr_spill_count: 0
    .wavefront_size: 64
  - .agpr_count:     0
    .args:
      - .offset:         0
        .size:           120
        .value_kind:     by_value
    .group_segment_fixed_size: 0
    .kernarg_segment_align: 8
    .kernarg_segment_size: 120
    .language:       OpenCL C
    .language_version:
      - 2
      - 0
    .max_flat_workgroup_size: 128
    .name:           _ZN7rocprim17ROCPRIM_400000_NS6detail17trampoline_kernelINS0_14default_configENS1_25partition_config_selectorILNS1_17partition_subalgoE9EllbEEZZNS1_14partition_implILS5_9ELb0ES3_jPlS8_PNS0_10empty_typeENS0_5tupleIJS8_S9_EEENSB_IJS8_SA_EEENS0_18inequality_wrapperIZN2at6native12_GLOBAL__N_124unique_dim_cuda_templateIaEESt5tupleIJNSF_6TensorESK_SK_EERKSK_lbbbEUlllE0_EEPmJS9_EEE10hipError_tPvRmT3_T4_T5_T6_T7_T9_mT8_P12ihipStream_tbDpT10_ENKUlT_T0_E_clISt17integral_constantIbLb1EES19_IbLb0EEEEDaS15_S16_EUlS15_E_NS1_11comp_targetILNS1_3genE4ELNS1_11target_archE910ELNS1_3gpuE8ELNS1_3repE0EEENS1_30default_config_static_selectorELNS0_4arch9wavefront6targetE1EEEvT1_
    .private_segment_fixed_size: 0
    .sgpr_count:     6
    .sgpr_spill_count: 0
    .symbol:         _ZN7rocprim17ROCPRIM_400000_NS6detail17trampoline_kernelINS0_14default_configENS1_25partition_config_selectorILNS1_17partition_subalgoE9EllbEEZZNS1_14partition_implILS5_9ELb0ES3_jPlS8_PNS0_10empty_typeENS0_5tupleIJS8_S9_EEENSB_IJS8_SA_EEENS0_18inequality_wrapperIZN2at6native12_GLOBAL__N_124unique_dim_cuda_templateIaEESt5tupleIJNSF_6TensorESK_SK_EERKSK_lbbbEUlllE0_EEPmJS9_EEE10hipError_tPvRmT3_T4_T5_T6_T7_T9_mT8_P12ihipStream_tbDpT10_ENKUlT_T0_E_clISt17integral_constantIbLb1EES19_IbLb0EEEEDaS15_S16_EUlS15_E_NS1_11comp_targetILNS1_3genE4ELNS1_11target_archE910ELNS1_3gpuE8ELNS1_3repE0EEENS1_30default_config_static_selectorELNS0_4arch9wavefront6targetE1EEEvT1_.kd
    .uniform_work_group_size: 1
    .uses_dynamic_stack: false
    .vgpr_count:     0
    .vgpr_spill_count: 0
    .wavefront_size: 64
  - .agpr_count:     0
    .args:
      - .offset:         0
        .size:           120
        .value_kind:     by_value
    .group_segment_fixed_size: 0
    .kernarg_segment_align: 8
    .kernarg_segment_size: 120
    .language:       OpenCL C
    .language_version:
      - 2
      - 0
    .max_flat_workgroup_size: 128
    .name:           _ZN7rocprim17ROCPRIM_400000_NS6detail17trampoline_kernelINS0_14default_configENS1_25partition_config_selectorILNS1_17partition_subalgoE9EllbEEZZNS1_14partition_implILS5_9ELb0ES3_jPlS8_PNS0_10empty_typeENS0_5tupleIJS8_S9_EEENSB_IJS8_SA_EEENS0_18inequality_wrapperIZN2at6native12_GLOBAL__N_124unique_dim_cuda_templateIaEESt5tupleIJNSF_6TensorESK_SK_EERKSK_lbbbEUlllE0_EEPmJS9_EEE10hipError_tPvRmT3_T4_T5_T6_T7_T9_mT8_P12ihipStream_tbDpT10_ENKUlT_T0_E_clISt17integral_constantIbLb1EES19_IbLb0EEEEDaS15_S16_EUlS15_E_NS1_11comp_targetILNS1_3genE3ELNS1_11target_archE908ELNS1_3gpuE7ELNS1_3repE0EEENS1_30default_config_static_selectorELNS0_4arch9wavefront6targetE1EEEvT1_
    .private_segment_fixed_size: 0
    .sgpr_count:     6
    .sgpr_spill_count: 0
    .symbol:         _ZN7rocprim17ROCPRIM_400000_NS6detail17trampoline_kernelINS0_14default_configENS1_25partition_config_selectorILNS1_17partition_subalgoE9EllbEEZZNS1_14partition_implILS5_9ELb0ES3_jPlS8_PNS0_10empty_typeENS0_5tupleIJS8_S9_EEENSB_IJS8_SA_EEENS0_18inequality_wrapperIZN2at6native12_GLOBAL__N_124unique_dim_cuda_templateIaEESt5tupleIJNSF_6TensorESK_SK_EERKSK_lbbbEUlllE0_EEPmJS9_EEE10hipError_tPvRmT3_T4_T5_T6_T7_T9_mT8_P12ihipStream_tbDpT10_ENKUlT_T0_E_clISt17integral_constantIbLb1EES19_IbLb0EEEEDaS15_S16_EUlS15_E_NS1_11comp_targetILNS1_3genE3ELNS1_11target_archE908ELNS1_3gpuE7ELNS1_3repE0EEENS1_30default_config_static_selectorELNS0_4arch9wavefront6targetE1EEEvT1_.kd
    .uniform_work_group_size: 1
    .uses_dynamic_stack: false
    .vgpr_count:     0
    .vgpr_spill_count: 0
    .wavefront_size: 64
  - .agpr_count:     0
    .args:
      - .offset:         0
        .size:           120
        .value_kind:     by_value
    .group_segment_fixed_size: 0
    .kernarg_segment_align: 8
    .kernarg_segment_size: 120
    .language:       OpenCL C
    .language_version:
      - 2
      - 0
    .max_flat_workgroup_size: 192
    .name:           _ZN7rocprim17ROCPRIM_400000_NS6detail17trampoline_kernelINS0_14default_configENS1_25partition_config_selectorILNS1_17partition_subalgoE9EllbEEZZNS1_14partition_implILS5_9ELb0ES3_jPlS8_PNS0_10empty_typeENS0_5tupleIJS8_S9_EEENSB_IJS8_SA_EEENS0_18inequality_wrapperIZN2at6native12_GLOBAL__N_124unique_dim_cuda_templateIaEESt5tupleIJNSF_6TensorESK_SK_EERKSK_lbbbEUlllE0_EEPmJS9_EEE10hipError_tPvRmT3_T4_T5_T6_T7_T9_mT8_P12ihipStream_tbDpT10_ENKUlT_T0_E_clISt17integral_constantIbLb1EES19_IbLb0EEEEDaS15_S16_EUlS15_E_NS1_11comp_targetILNS1_3genE2ELNS1_11target_archE906ELNS1_3gpuE6ELNS1_3repE0EEENS1_30default_config_static_selectorELNS0_4arch9wavefront6targetE1EEEvT1_
    .private_segment_fixed_size: 0
    .sgpr_count:     6
    .sgpr_spill_count: 0
    .symbol:         _ZN7rocprim17ROCPRIM_400000_NS6detail17trampoline_kernelINS0_14default_configENS1_25partition_config_selectorILNS1_17partition_subalgoE9EllbEEZZNS1_14partition_implILS5_9ELb0ES3_jPlS8_PNS0_10empty_typeENS0_5tupleIJS8_S9_EEENSB_IJS8_SA_EEENS0_18inequality_wrapperIZN2at6native12_GLOBAL__N_124unique_dim_cuda_templateIaEESt5tupleIJNSF_6TensorESK_SK_EERKSK_lbbbEUlllE0_EEPmJS9_EEE10hipError_tPvRmT3_T4_T5_T6_T7_T9_mT8_P12ihipStream_tbDpT10_ENKUlT_T0_E_clISt17integral_constantIbLb1EES19_IbLb0EEEEDaS15_S16_EUlS15_E_NS1_11comp_targetILNS1_3genE2ELNS1_11target_archE906ELNS1_3gpuE6ELNS1_3repE0EEENS1_30default_config_static_selectorELNS0_4arch9wavefront6targetE1EEEvT1_.kd
    .uniform_work_group_size: 1
    .uses_dynamic_stack: false
    .vgpr_count:     0
    .vgpr_spill_count: 0
    .wavefront_size: 64
  - .agpr_count:     0
    .args:
      - .offset:         0
        .size:           120
        .value_kind:     by_value
    .group_segment_fixed_size: 0
    .kernarg_segment_align: 8
    .kernarg_segment_size: 120
    .language:       OpenCL C
    .language_version:
      - 2
      - 0
    .max_flat_workgroup_size: 384
    .name:           _ZN7rocprim17ROCPRIM_400000_NS6detail17trampoline_kernelINS0_14default_configENS1_25partition_config_selectorILNS1_17partition_subalgoE9EllbEEZZNS1_14partition_implILS5_9ELb0ES3_jPlS8_PNS0_10empty_typeENS0_5tupleIJS8_S9_EEENSB_IJS8_SA_EEENS0_18inequality_wrapperIZN2at6native12_GLOBAL__N_124unique_dim_cuda_templateIaEESt5tupleIJNSF_6TensorESK_SK_EERKSK_lbbbEUlllE0_EEPmJS9_EEE10hipError_tPvRmT3_T4_T5_T6_T7_T9_mT8_P12ihipStream_tbDpT10_ENKUlT_T0_E_clISt17integral_constantIbLb1EES19_IbLb0EEEEDaS15_S16_EUlS15_E_NS1_11comp_targetILNS1_3genE10ELNS1_11target_archE1200ELNS1_3gpuE4ELNS1_3repE0EEENS1_30default_config_static_selectorELNS0_4arch9wavefront6targetE1EEEvT1_
    .private_segment_fixed_size: 0
    .sgpr_count:     6
    .sgpr_spill_count: 0
    .symbol:         _ZN7rocprim17ROCPRIM_400000_NS6detail17trampoline_kernelINS0_14default_configENS1_25partition_config_selectorILNS1_17partition_subalgoE9EllbEEZZNS1_14partition_implILS5_9ELb0ES3_jPlS8_PNS0_10empty_typeENS0_5tupleIJS8_S9_EEENSB_IJS8_SA_EEENS0_18inequality_wrapperIZN2at6native12_GLOBAL__N_124unique_dim_cuda_templateIaEESt5tupleIJNSF_6TensorESK_SK_EERKSK_lbbbEUlllE0_EEPmJS9_EEE10hipError_tPvRmT3_T4_T5_T6_T7_T9_mT8_P12ihipStream_tbDpT10_ENKUlT_T0_E_clISt17integral_constantIbLb1EES19_IbLb0EEEEDaS15_S16_EUlS15_E_NS1_11comp_targetILNS1_3genE10ELNS1_11target_archE1200ELNS1_3gpuE4ELNS1_3repE0EEENS1_30default_config_static_selectorELNS0_4arch9wavefront6targetE1EEEvT1_.kd
    .uniform_work_group_size: 1
    .uses_dynamic_stack: false
    .vgpr_count:     0
    .vgpr_spill_count: 0
    .wavefront_size: 64
  - .agpr_count:     0
    .args:
      - .offset:         0
        .size:           120
        .value_kind:     by_value
    .group_segment_fixed_size: 0
    .kernarg_segment_align: 8
    .kernarg_segment_size: 120
    .language:       OpenCL C
    .language_version:
      - 2
      - 0
    .max_flat_workgroup_size: 512
    .name:           _ZN7rocprim17ROCPRIM_400000_NS6detail17trampoline_kernelINS0_14default_configENS1_25partition_config_selectorILNS1_17partition_subalgoE9EllbEEZZNS1_14partition_implILS5_9ELb0ES3_jPlS8_PNS0_10empty_typeENS0_5tupleIJS8_S9_EEENSB_IJS8_SA_EEENS0_18inequality_wrapperIZN2at6native12_GLOBAL__N_124unique_dim_cuda_templateIaEESt5tupleIJNSF_6TensorESK_SK_EERKSK_lbbbEUlllE0_EEPmJS9_EEE10hipError_tPvRmT3_T4_T5_T6_T7_T9_mT8_P12ihipStream_tbDpT10_ENKUlT_T0_E_clISt17integral_constantIbLb1EES19_IbLb0EEEEDaS15_S16_EUlS15_E_NS1_11comp_targetILNS1_3genE9ELNS1_11target_archE1100ELNS1_3gpuE3ELNS1_3repE0EEENS1_30default_config_static_selectorELNS0_4arch9wavefront6targetE1EEEvT1_
    .private_segment_fixed_size: 0
    .sgpr_count:     6
    .sgpr_spill_count: 0
    .symbol:         _ZN7rocprim17ROCPRIM_400000_NS6detail17trampoline_kernelINS0_14default_configENS1_25partition_config_selectorILNS1_17partition_subalgoE9EllbEEZZNS1_14partition_implILS5_9ELb0ES3_jPlS8_PNS0_10empty_typeENS0_5tupleIJS8_S9_EEENSB_IJS8_SA_EEENS0_18inequality_wrapperIZN2at6native12_GLOBAL__N_124unique_dim_cuda_templateIaEESt5tupleIJNSF_6TensorESK_SK_EERKSK_lbbbEUlllE0_EEPmJS9_EEE10hipError_tPvRmT3_T4_T5_T6_T7_T9_mT8_P12ihipStream_tbDpT10_ENKUlT_T0_E_clISt17integral_constantIbLb1EES19_IbLb0EEEEDaS15_S16_EUlS15_E_NS1_11comp_targetILNS1_3genE9ELNS1_11target_archE1100ELNS1_3gpuE3ELNS1_3repE0EEENS1_30default_config_static_selectorELNS0_4arch9wavefront6targetE1EEEvT1_.kd
    .uniform_work_group_size: 1
    .uses_dynamic_stack: false
    .vgpr_count:     0
    .vgpr_spill_count: 0
    .wavefront_size: 64
  - .agpr_count:     0
    .args:
      - .offset:         0
        .size:           120
        .value_kind:     by_value
    .group_segment_fixed_size: 0
    .kernarg_segment_align: 8
    .kernarg_segment_size: 120
    .language:       OpenCL C
    .language_version:
      - 2
      - 0
    .max_flat_workgroup_size: 512
    .name:           _ZN7rocprim17ROCPRIM_400000_NS6detail17trampoline_kernelINS0_14default_configENS1_25partition_config_selectorILNS1_17partition_subalgoE9EllbEEZZNS1_14partition_implILS5_9ELb0ES3_jPlS8_PNS0_10empty_typeENS0_5tupleIJS8_S9_EEENSB_IJS8_SA_EEENS0_18inequality_wrapperIZN2at6native12_GLOBAL__N_124unique_dim_cuda_templateIaEESt5tupleIJNSF_6TensorESK_SK_EERKSK_lbbbEUlllE0_EEPmJS9_EEE10hipError_tPvRmT3_T4_T5_T6_T7_T9_mT8_P12ihipStream_tbDpT10_ENKUlT_T0_E_clISt17integral_constantIbLb1EES19_IbLb0EEEEDaS15_S16_EUlS15_E_NS1_11comp_targetILNS1_3genE8ELNS1_11target_archE1030ELNS1_3gpuE2ELNS1_3repE0EEENS1_30default_config_static_selectorELNS0_4arch9wavefront6targetE1EEEvT1_
    .private_segment_fixed_size: 0
    .sgpr_count:     6
    .sgpr_spill_count: 0
    .symbol:         _ZN7rocprim17ROCPRIM_400000_NS6detail17trampoline_kernelINS0_14default_configENS1_25partition_config_selectorILNS1_17partition_subalgoE9EllbEEZZNS1_14partition_implILS5_9ELb0ES3_jPlS8_PNS0_10empty_typeENS0_5tupleIJS8_S9_EEENSB_IJS8_SA_EEENS0_18inequality_wrapperIZN2at6native12_GLOBAL__N_124unique_dim_cuda_templateIaEESt5tupleIJNSF_6TensorESK_SK_EERKSK_lbbbEUlllE0_EEPmJS9_EEE10hipError_tPvRmT3_T4_T5_T6_T7_T9_mT8_P12ihipStream_tbDpT10_ENKUlT_T0_E_clISt17integral_constantIbLb1EES19_IbLb0EEEEDaS15_S16_EUlS15_E_NS1_11comp_targetILNS1_3genE8ELNS1_11target_archE1030ELNS1_3gpuE2ELNS1_3repE0EEENS1_30default_config_static_selectorELNS0_4arch9wavefront6targetE1EEEvT1_.kd
    .uniform_work_group_size: 1
    .uses_dynamic_stack: false
    .vgpr_count:     0
    .vgpr_spill_count: 0
    .wavefront_size: 64
  - .agpr_count:     0
    .args:
      - .offset:         0
        .size:           136
        .value_kind:     by_value
    .group_segment_fixed_size: 5128
    .kernarg_segment_align: 8
    .kernarg_segment_size: 136
    .language:       OpenCL C
    .language_version:
      - 2
      - 0
    .max_flat_workgroup_size: 128
    .name:           _ZN7rocprim17ROCPRIM_400000_NS6detail17trampoline_kernelINS0_14default_configENS1_25partition_config_selectorILNS1_17partition_subalgoE9EllbEEZZNS1_14partition_implILS5_9ELb0ES3_jPlS8_PNS0_10empty_typeENS0_5tupleIJS8_S9_EEENSB_IJS8_SA_EEENS0_18inequality_wrapperIZN2at6native12_GLOBAL__N_124unique_dim_cuda_templateIaEESt5tupleIJNSF_6TensorESK_SK_EERKSK_lbbbEUlllE0_EEPmJS9_EEE10hipError_tPvRmT3_T4_T5_T6_T7_T9_mT8_P12ihipStream_tbDpT10_ENKUlT_T0_E_clISt17integral_constantIbLb0EES19_IbLb1EEEEDaS15_S16_EUlS15_E_NS1_11comp_targetILNS1_3genE0ELNS1_11target_archE4294967295ELNS1_3gpuE0ELNS1_3repE0EEENS1_30default_config_static_selectorELNS0_4arch9wavefront6targetE1EEEvT1_
    .private_segment_fixed_size: 0
    .sgpr_count:     58
    .sgpr_spill_count: 0
    .symbol:         _ZN7rocprim17ROCPRIM_400000_NS6detail17trampoline_kernelINS0_14default_configENS1_25partition_config_selectorILNS1_17partition_subalgoE9EllbEEZZNS1_14partition_implILS5_9ELb0ES3_jPlS8_PNS0_10empty_typeENS0_5tupleIJS8_S9_EEENSB_IJS8_SA_EEENS0_18inequality_wrapperIZN2at6native12_GLOBAL__N_124unique_dim_cuda_templateIaEESt5tupleIJNSF_6TensorESK_SK_EERKSK_lbbbEUlllE0_EEPmJS9_EEE10hipError_tPvRmT3_T4_T5_T6_T7_T9_mT8_P12ihipStream_tbDpT10_ENKUlT_T0_E_clISt17integral_constantIbLb0EES19_IbLb1EEEEDaS15_S16_EUlS15_E_NS1_11comp_targetILNS1_3genE0ELNS1_11target_archE4294967295ELNS1_3gpuE0ELNS1_3repE0EEENS1_30default_config_static_selectorELNS0_4arch9wavefront6targetE1EEEvT1_.kd
    .uniform_work_group_size: 1
    .uses_dynamic_stack: false
    .vgpr_count:     60
    .vgpr_spill_count: 0
    .wavefront_size: 64
  - .agpr_count:     0
    .args:
      - .offset:         0
        .size:           136
        .value_kind:     by_value
    .group_segment_fixed_size: 0
    .kernarg_segment_align: 8
    .kernarg_segment_size: 136
    .language:       OpenCL C
    .language_version:
      - 2
      - 0
    .max_flat_workgroup_size: 512
    .name:           _ZN7rocprim17ROCPRIM_400000_NS6detail17trampoline_kernelINS0_14default_configENS1_25partition_config_selectorILNS1_17partition_subalgoE9EllbEEZZNS1_14partition_implILS5_9ELb0ES3_jPlS8_PNS0_10empty_typeENS0_5tupleIJS8_S9_EEENSB_IJS8_SA_EEENS0_18inequality_wrapperIZN2at6native12_GLOBAL__N_124unique_dim_cuda_templateIaEESt5tupleIJNSF_6TensorESK_SK_EERKSK_lbbbEUlllE0_EEPmJS9_EEE10hipError_tPvRmT3_T4_T5_T6_T7_T9_mT8_P12ihipStream_tbDpT10_ENKUlT_T0_E_clISt17integral_constantIbLb0EES19_IbLb1EEEEDaS15_S16_EUlS15_E_NS1_11comp_targetILNS1_3genE5ELNS1_11target_archE942ELNS1_3gpuE9ELNS1_3repE0EEENS1_30default_config_static_selectorELNS0_4arch9wavefront6targetE1EEEvT1_
    .private_segment_fixed_size: 0
    .sgpr_count:     6
    .sgpr_spill_count: 0
    .symbol:         _ZN7rocprim17ROCPRIM_400000_NS6detail17trampoline_kernelINS0_14default_configENS1_25partition_config_selectorILNS1_17partition_subalgoE9EllbEEZZNS1_14partition_implILS5_9ELb0ES3_jPlS8_PNS0_10empty_typeENS0_5tupleIJS8_S9_EEENSB_IJS8_SA_EEENS0_18inequality_wrapperIZN2at6native12_GLOBAL__N_124unique_dim_cuda_templateIaEESt5tupleIJNSF_6TensorESK_SK_EERKSK_lbbbEUlllE0_EEPmJS9_EEE10hipError_tPvRmT3_T4_T5_T6_T7_T9_mT8_P12ihipStream_tbDpT10_ENKUlT_T0_E_clISt17integral_constantIbLb0EES19_IbLb1EEEEDaS15_S16_EUlS15_E_NS1_11comp_targetILNS1_3genE5ELNS1_11target_archE942ELNS1_3gpuE9ELNS1_3repE0EEENS1_30default_config_static_selectorELNS0_4arch9wavefront6targetE1EEEvT1_.kd
    .uniform_work_group_size: 1
    .uses_dynamic_stack: false
    .vgpr_count:     0
    .vgpr_spill_count: 0
    .wavefront_size: 64
  - .agpr_count:     0
    .args:
      - .offset:         0
        .size:           136
        .value_kind:     by_value
    .group_segment_fixed_size: 0
    .kernarg_segment_align: 8
    .kernarg_segment_size: 136
    .language:       OpenCL C
    .language_version:
      - 2
      - 0
    .max_flat_workgroup_size: 128
    .name:           _ZN7rocprim17ROCPRIM_400000_NS6detail17trampoline_kernelINS0_14default_configENS1_25partition_config_selectorILNS1_17partition_subalgoE9EllbEEZZNS1_14partition_implILS5_9ELb0ES3_jPlS8_PNS0_10empty_typeENS0_5tupleIJS8_S9_EEENSB_IJS8_SA_EEENS0_18inequality_wrapperIZN2at6native12_GLOBAL__N_124unique_dim_cuda_templateIaEESt5tupleIJNSF_6TensorESK_SK_EERKSK_lbbbEUlllE0_EEPmJS9_EEE10hipError_tPvRmT3_T4_T5_T6_T7_T9_mT8_P12ihipStream_tbDpT10_ENKUlT_T0_E_clISt17integral_constantIbLb0EES19_IbLb1EEEEDaS15_S16_EUlS15_E_NS1_11comp_targetILNS1_3genE4ELNS1_11target_archE910ELNS1_3gpuE8ELNS1_3repE0EEENS1_30default_config_static_selectorELNS0_4arch9wavefront6targetE1EEEvT1_
    .private_segment_fixed_size: 0
    .sgpr_count:     6
    .sgpr_spill_count: 0
    .symbol:         _ZN7rocprim17ROCPRIM_400000_NS6detail17trampoline_kernelINS0_14default_configENS1_25partition_config_selectorILNS1_17partition_subalgoE9EllbEEZZNS1_14partition_implILS5_9ELb0ES3_jPlS8_PNS0_10empty_typeENS0_5tupleIJS8_S9_EEENSB_IJS8_SA_EEENS0_18inequality_wrapperIZN2at6native12_GLOBAL__N_124unique_dim_cuda_templateIaEESt5tupleIJNSF_6TensorESK_SK_EERKSK_lbbbEUlllE0_EEPmJS9_EEE10hipError_tPvRmT3_T4_T5_T6_T7_T9_mT8_P12ihipStream_tbDpT10_ENKUlT_T0_E_clISt17integral_constantIbLb0EES19_IbLb1EEEEDaS15_S16_EUlS15_E_NS1_11comp_targetILNS1_3genE4ELNS1_11target_archE910ELNS1_3gpuE8ELNS1_3repE0EEENS1_30default_config_static_selectorELNS0_4arch9wavefront6targetE1EEEvT1_.kd
    .uniform_work_group_size: 1
    .uses_dynamic_stack: false
    .vgpr_count:     0
    .vgpr_spill_count: 0
    .wavefront_size: 64
  - .agpr_count:     0
    .args:
      - .offset:         0
        .size:           136
        .value_kind:     by_value
    .group_segment_fixed_size: 0
    .kernarg_segment_align: 8
    .kernarg_segment_size: 136
    .language:       OpenCL C
    .language_version:
      - 2
      - 0
    .max_flat_workgroup_size: 128
    .name:           _ZN7rocprim17ROCPRIM_400000_NS6detail17trampoline_kernelINS0_14default_configENS1_25partition_config_selectorILNS1_17partition_subalgoE9EllbEEZZNS1_14partition_implILS5_9ELb0ES3_jPlS8_PNS0_10empty_typeENS0_5tupleIJS8_S9_EEENSB_IJS8_SA_EEENS0_18inequality_wrapperIZN2at6native12_GLOBAL__N_124unique_dim_cuda_templateIaEESt5tupleIJNSF_6TensorESK_SK_EERKSK_lbbbEUlllE0_EEPmJS9_EEE10hipError_tPvRmT3_T4_T5_T6_T7_T9_mT8_P12ihipStream_tbDpT10_ENKUlT_T0_E_clISt17integral_constantIbLb0EES19_IbLb1EEEEDaS15_S16_EUlS15_E_NS1_11comp_targetILNS1_3genE3ELNS1_11target_archE908ELNS1_3gpuE7ELNS1_3repE0EEENS1_30default_config_static_selectorELNS0_4arch9wavefront6targetE1EEEvT1_
    .private_segment_fixed_size: 0
    .sgpr_count:     6
    .sgpr_spill_count: 0
    .symbol:         _ZN7rocprim17ROCPRIM_400000_NS6detail17trampoline_kernelINS0_14default_configENS1_25partition_config_selectorILNS1_17partition_subalgoE9EllbEEZZNS1_14partition_implILS5_9ELb0ES3_jPlS8_PNS0_10empty_typeENS0_5tupleIJS8_S9_EEENSB_IJS8_SA_EEENS0_18inequality_wrapperIZN2at6native12_GLOBAL__N_124unique_dim_cuda_templateIaEESt5tupleIJNSF_6TensorESK_SK_EERKSK_lbbbEUlllE0_EEPmJS9_EEE10hipError_tPvRmT3_T4_T5_T6_T7_T9_mT8_P12ihipStream_tbDpT10_ENKUlT_T0_E_clISt17integral_constantIbLb0EES19_IbLb1EEEEDaS15_S16_EUlS15_E_NS1_11comp_targetILNS1_3genE3ELNS1_11target_archE908ELNS1_3gpuE7ELNS1_3repE0EEENS1_30default_config_static_selectorELNS0_4arch9wavefront6targetE1EEEvT1_.kd
    .uniform_work_group_size: 1
    .uses_dynamic_stack: false
    .vgpr_count:     0
    .vgpr_spill_count: 0
    .wavefront_size: 64
  - .agpr_count:     0
    .args:
      - .offset:         0
        .size:           136
        .value_kind:     by_value
    .group_segment_fixed_size: 0
    .kernarg_segment_align: 8
    .kernarg_segment_size: 136
    .language:       OpenCL C
    .language_version:
      - 2
      - 0
    .max_flat_workgroup_size: 192
    .name:           _ZN7rocprim17ROCPRIM_400000_NS6detail17trampoline_kernelINS0_14default_configENS1_25partition_config_selectorILNS1_17partition_subalgoE9EllbEEZZNS1_14partition_implILS5_9ELb0ES3_jPlS8_PNS0_10empty_typeENS0_5tupleIJS8_S9_EEENSB_IJS8_SA_EEENS0_18inequality_wrapperIZN2at6native12_GLOBAL__N_124unique_dim_cuda_templateIaEESt5tupleIJNSF_6TensorESK_SK_EERKSK_lbbbEUlllE0_EEPmJS9_EEE10hipError_tPvRmT3_T4_T5_T6_T7_T9_mT8_P12ihipStream_tbDpT10_ENKUlT_T0_E_clISt17integral_constantIbLb0EES19_IbLb1EEEEDaS15_S16_EUlS15_E_NS1_11comp_targetILNS1_3genE2ELNS1_11target_archE906ELNS1_3gpuE6ELNS1_3repE0EEENS1_30default_config_static_selectorELNS0_4arch9wavefront6targetE1EEEvT1_
    .private_segment_fixed_size: 0
    .sgpr_count:     6
    .sgpr_spill_count: 0
    .symbol:         _ZN7rocprim17ROCPRIM_400000_NS6detail17trampoline_kernelINS0_14default_configENS1_25partition_config_selectorILNS1_17partition_subalgoE9EllbEEZZNS1_14partition_implILS5_9ELb0ES3_jPlS8_PNS0_10empty_typeENS0_5tupleIJS8_S9_EEENSB_IJS8_SA_EEENS0_18inequality_wrapperIZN2at6native12_GLOBAL__N_124unique_dim_cuda_templateIaEESt5tupleIJNSF_6TensorESK_SK_EERKSK_lbbbEUlllE0_EEPmJS9_EEE10hipError_tPvRmT3_T4_T5_T6_T7_T9_mT8_P12ihipStream_tbDpT10_ENKUlT_T0_E_clISt17integral_constantIbLb0EES19_IbLb1EEEEDaS15_S16_EUlS15_E_NS1_11comp_targetILNS1_3genE2ELNS1_11target_archE906ELNS1_3gpuE6ELNS1_3repE0EEENS1_30default_config_static_selectorELNS0_4arch9wavefront6targetE1EEEvT1_.kd
    .uniform_work_group_size: 1
    .uses_dynamic_stack: false
    .vgpr_count:     0
    .vgpr_spill_count: 0
    .wavefront_size: 64
  - .agpr_count:     0
    .args:
      - .offset:         0
        .size:           136
        .value_kind:     by_value
    .group_segment_fixed_size: 0
    .kernarg_segment_align: 8
    .kernarg_segment_size: 136
    .language:       OpenCL C
    .language_version:
      - 2
      - 0
    .max_flat_workgroup_size: 384
    .name:           _ZN7rocprim17ROCPRIM_400000_NS6detail17trampoline_kernelINS0_14default_configENS1_25partition_config_selectorILNS1_17partition_subalgoE9EllbEEZZNS1_14partition_implILS5_9ELb0ES3_jPlS8_PNS0_10empty_typeENS0_5tupleIJS8_S9_EEENSB_IJS8_SA_EEENS0_18inequality_wrapperIZN2at6native12_GLOBAL__N_124unique_dim_cuda_templateIaEESt5tupleIJNSF_6TensorESK_SK_EERKSK_lbbbEUlllE0_EEPmJS9_EEE10hipError_tPvRmT3_T4_T5_T6_T7_T9_mT8_P12ihipStream_tbDpT10_ENKUlT_T0_E_clISt17integral_constantIbLb0EES19_IbLb1EEEEDaS15_S16_EUlS15_E_NS1_11comp_targetILNS1_3genE10ELNS1_11target_archE1200ELNS1_3gpuE4ELNS1_3repE0EEENS1_30default_config_static_selectorELNS0_4arch9wavefront6targetE1EEEvT1_
    .private_segment_fixed_size: 0
    .sgpr_count:     6
    .sgpr_spill_count: 0
    .symbol:         _ZN7rocprim17ROCPRIM_400000_NS6detail17trampoline_kernelINS0_14default_configENS1_25partition_config_selectorILNS1_17partition_subalgoE9EllbEEZZNS1_14partition_implILS5_9ELb0ES3_jPlS8_PNS0_10empty_typeENS0_5tupleIJS8_S9_EEENSB_IJS8_SA_EEENS0_18inequality_wrapperIZN2at6native12_GLOBAL__N_124unique_dim_cuda_templateIaEESt5tupleIJNSF_6TensorESK_SK_EERKSK_lbbbEUlllE0_EEPmJS9_EEE10hipError_tPvRmT3_T4_T5_T6_T7_T9_mT8_P12ihipStream_tbDpT10_ENKUlT_T0_E_clISt17integral_constantIbLb0EES19_IbLb1EEEEDaS15_S16_EUlS15_E_NS1_11comp_targetILNS1_3genE10ELNS1_11target_archE1200ELNS1_3gpuE4ELNS1_3repE0EEENS1_30default_config_static_selectorELNS0_4arch9wavefront6targetE1EEEvT1_.kd
    .uniform_work_group_size: 1
    .uses_dynamic_stack: false
    .vgpr_count:     0
    .vgpr_spill_count: 0
    .wavefront_size: 64
  - .agpr_count:     0
    .args:
      - .offset:         0
        .size:           136
        .value_kind:     by_value
    .group_segment_fixed_size: 0
    .kernarg_segment_align: 8
    .kernarg_segment_size: 136
    .language:       OpenCL C
    .language_version:
      - 2
      - 0
    .max_flat_workgroup_size: 512
    .name:           _ZN7rocprim17ROCPRIM_400000_NS6detail17trampoline_kernelINS0_14default_configENS1_25partition_config_selectorILNS1_17partition_subalgoE9EllbEEZZNS1_14partition_implILS5_9ELb0ES3_jPlS8_PNS0_10empty_typeENS0_5tupleIJS8_S9_EEENSB_IJS8_SA_EEENS0_18inequality_wrapperIZN2at6native12_GLOBAL__N_124unique_dim_cuda_templateIaEESt5tupleIJNSF_6TensorESK_SK_EERKSK_lbbbEUlllE0_EEPmJS9_EEE10hipError_tPvRmT3_T4_T5_T6_T7_T9_mT8_P12ihipStream_tbDpT10_ENKUlT_T0_E_clISt17integral_constantIbLb0EES19_IbLb1EEEEDaS15_S16_EUlS15_E_NS1_11comp_targetILNS1_3genE9ELNS1_11target_archE1100ELNS1_3gpuE3ELNS1_3repE0EEENS1_30default_config_static_selectorELNS0_4arch9wavefront6targetE1EEEvT1_
    .private_segment_fixed_size: 0
    .sgpr_count:     6
    .sgpr_spill_count: 0
    .symbol:         _ZN7rocprim17ROCPRIM_400000_NS6detail17trampoline_kernelINS0_14default_configENS1_25partition_config_selectorILNS1_17partition_subalgoE9EllbEEZZNS1_14partition_implILS5_9ELb0ES3_jPlS8_PNS0_10empty_typeENS0_5tupleIJS8_S9_EEENSB_IJS8_SA_EEENS0_18inequality_wrapperIZN2at6native12_GLOBAL__N_124unique_dim_cuda_templateIaEESt5tupleIJNSF_6TensorESK_SK_EERKSK_lbbbEUlllE0_EEPmJS9_EEE10hipError_tPvRmT3_T4_T5_T6_T7_T9_mT8_P12ihipStream_tbDpT10_ENKUlT_T0_E_clISt17integral_constantIbLb0EES19_IbLb1EEEEDaS15_S16_EUlS15_E_NS1_11comp_targetILNS1_3genE9ELNS1_11target_archE1100ELNS1_3gpuE3ELNS1_3repE0EEENS1_30default_config_static_selectorELNS0_4arch9wavefront6targetE1EEEvT1_.kd
    .uniform_work_group_size: 1
    .uses_dynamic_stack: false
    .vgpr_count:     0
    .vgpr_spill_count: 0
    .wavefront_size: 64
  - .agpr_count:     0
    .args:
      - .offset:         0
        .size:           136
        .value_kind:     by_value
    .group_segment_fixed_size: 0
    .kernarg_segment_align: 8
    .kernarg_segment_size: 136
    .language:       OpenCL C
    .language_version:
      - 2
      - 0
    .max_flat_workgroup_size: 512
    .name:           _ZN7rocprim17ROCPRIM_400000_NS6detail17trampoline_kernelINS0_14default_configENS1_25partition_config_selectorILNS1_17partition_subalgoE9EllbEEZZNS1_14partition_implILS5_9ELb0ES3_jPlS8_PNS0_10empty_typeENS0_5tupleIJS8_S9_EEENSB_IJS8_SA_EEENS0_18inequality_wrapperIZN2at6native12_GLOBAL__N_124unique_dim_cuda_templateIaEESt5tupleIJNSF_6TensorESK_SK_EERKSK_lbbbEUlllE0_EEPmJS9_EEE10hipError_tPvRmT3_T4_T5_T6_T7_T9_mT8_P12ihipStream_tbDpT10_ENKUlT_T0_E_clISt17integral_constantIbLb0EES19_IbLb1EEEEDaS15_S16_EUlS15_E_NS1_11comp_targetILNS1_3genE8ELNS1_11target_archE1030ELNS1_3gpuE2ELNS1_3repE0EEENS1_30default_config_static_selectorELNS0_4arch9wavefront6targetE1EEEvT1_
    .private_segment_fixed_size: 0
    .sgpr_count:     6
    .sgpr_spill_count: 0
    .symbol:         _ZN7rocprim17ROCPRIM_400000_NS6detail17trampoline_kernelINS0_14default_configENS1_25partition_config_selectorILNS1_17partition_subalgoE9EllbEEZZNS1_14partition_implILS5_9ELb0ES3_jPlS8_PNS0_10empty_typeENS0_5tupleIJS8_S9_EEENSB_IJS8_SA_EEENS0_18inequality_wrapperIZN2at6native12_GLOBAL__N_124unique_dim_cuda_templateIaEESt5tupleIJNSF_6TensorESK_SK_EERKSK_lbbbEUlllE0_EEPmJS9_EEE10hipError_tPvRmT3_T4_T5_T6_T7_T9_mT8_P12ihipStream_tbDpT10_ENKUlT_T0_E_clISt17integral_constantIbLb0EES19_IbLb1EEEEDaS15_S16_EUlS15_E_NS1_11comp_targetILNS1_3genE8ELNS1_11target_archE1030ELNS1_3gpuE2ELNS1_3repE0EEENS1_30default_config_static_selectorELNS0_4arch9wavefront6targetE1EEEvT1_.kd
    .uniform_work_group_size: 1
    .uses_dynamic_stack: false
    .vgpr_count:     0
    .vgpr_spill_count: 0
    .wavefront_size: 64
  - .agpr_count:     0
    .args:
      - .offset:         0
        .size:           72
        .value_kind:     by_value
      - .offset:         72
        .size:           4
        .value_kind:     hidden_block_count_x
      - .offset:         76
        .size:           4
        .value_kind:     hidden_block_count_y
      - .offset:         80
        .size:           4
        .value_kind:     hidden_block_count_z
      - .offset:         84
        .size:           2
        .value_kind:     hidden_group_size_x
      - .offset:         86
        .size:           2
        .value_kind:     hidden_group_size_y
      - .offset:         88
        .size:           2
        .value_kind:     hidden_group_size_z
      - .offset:         90
        .size:           2
        .value_kind:     hidden_remainder_x
      - .offset:         92
        .size:           2
        .value_kind:     hidden_remainder_y
      - .offset:         94
        .size:           2
        .value_kind:     hidden_remainder_z
      - .offset:         112
        .size:           8
        .value_kind:     hidden_global_offset_x
      - .offset:         120
        .size:           8
        .value_kind:     hidden_global_offset_y
      - .offset:         128
        .size:           8
        .value_kind:     hidden_global_offset_z
      - .offset:         136
        .size:           2
        .value_kind:     hidden_grid_dims
    .group_segment_fixed_size: 16896
    .kernarg_segment_align: 8
    .kernarg_segment_size: 328
    .language:       OpenCL C
    .language_version:
      - 2
      - 0
    .max_flat_workgroup_size: 256
    .name:           _ZN7rocprim17ROCPRIM_400000_NS6detail17trampoline_kernelINS0_14default_configENS1_37merge_sort_block_sort_config_selectorIlNS0_10empty_typeEEEZNS1_21merge_sort_block_sortIS3_PlS8_PS5_S9_ZN2at6native12_GLOBAL__N_124unique_dim_cuda_templateIiEESt5tupleIJNSA_6TensorESF_SF_EERKSF_lbbbEUlllE_EE10hipError_tT0_T1_T2_T3_mRjT4_P12ihipStream_tbNS1_7vsmem_tEEUlT_E_NS1_11comp_targetILNS1_3genE0ELNS1_11target_archE4294967295ELNS1_3gpuE0ELNS1_3repE0EEENS1_30default_config_static_selectorELNS0_4arch9wavefront6targetE1EEEvSM_
    .private_segment_fixed_size: 0
    .sgpr_count:     73
    .sgpr_spill_count: 0
    .symbol:         _ZN7rocprim17ROCPRIM_400000_NS6detail17trampoline_kernelINS0_14default_configENS1_37merge_sort_block_sort_config_selectorIlNS0_10empty_typeEEEZNS1_21merge_sort_block_sortIS3_PlS8_PS5_S9_ZN2at6native12_GLOBAL__N_124unique_dim_cuda_templateIiEESt5tupleIJNSA_6TensorESF_SF_EERKSF_lbbbEUlllE_EE10hipError_tT0_T1_T2_T3_mRjT4_P12ihipStream_tbNS1_7vsmem_tEEUlT_E_NS1_11comp_targetILNS1_3genE0ELNS1_11target_archE4294967295ELNS1_3gpuE0ELNS1_3repE0EEENS1_30default_config_static_selectorELNS0_4arch9wavefront6targetE1EEEvSM_.kd
    .uniform_work_group_size: 1
    .uses_dynamic_stack: false
    .vgpr_count:     55
    .vgpr_spill_count: 0
    .wavefront_size: 64
  - .agpr_count:     0
    .args:
      - .offset:         0
        .size:           72
        .value_kind:     by_value
    .group_segment_fixed_size: 0
    .kernarg_segment_align: 8
    .kernarg_segment_size: 72
    .language:       OpenCL C
    .language_version:
      - 2
      - 0
    .max_flat_workgroup_size: 256
    .name:           _ZN7rocprim17ROCPRIM_400000_NS6detail17trampoline_kernelINS0_14default_configENS1_37merge_sort_block_sort_config_selectorIlNS0_10empty_typeEEEZNS1_21merge_sort_block_sortIS3_PlS8_PS5_S9_ZN2at6native12_GLOBAL__N_124unique_dim_cuda_templateIiEESt5tupleIJNSA_6TensorESF_SF_EERKSF_lbbbEUlllE_EE10hipError_tT0_T1_T2_T3_mRjT4_P12ihipStream_tbNS1_7vsmem_tEEUlT_E_NS1_11comp_targetILNS1_3genE5ELNS1_11target_archE942ELNS1_3gpuE9ELNS1_3repE0EEENS1_30default_config_static_selectorELNS0_4arch9wavefront6targetE1EEEvSM_
    .private_segment_fixed_size: 0
    .sgpr_count:     6
    .sgpr_spill_count: 0
    .symbol:         _ZN7rocprim17ROCPRIM_400000_NS6detail17trampoline_kernelINS0_14default_configENS1_37merge_sort_block_sort_config_selectorIlNS0_10empty_typeEEEZNS1_21merge_sort_block_sortIS3_PlS8_PS5_S9_ZN2at6native12_GLOBAL__N_124unique_dim_cuda_templateIiEESt5tupleIJNSA_6TensorESF_SF_EERKSF_lbbbEUlllE_EE10hipError_tT0_T1_T2_T3_mRjT4_P12ihipStream_tbNS1_7vsmem_tEEUlT_E_NS1_11comp_targetILNS1_3genE5ELNS1_11target_archE942ELNS1_3gpuE9ELNS1_3repE0EEENS1_30default_config_static_selectorELNS0_4arch9wavefront6targetE1EEEvSM_.kd
    .uniform_work_group_size: 1
    .uses_dynamic_stack: false
    .vgpr_count:     0
    .vgpr_spill_count: 0
    .wavefront_size: 64
  - .agpr_count:     0
    .args:
      - .offset:         0
        .size:           72
        .value_kind:     by_value
    .group_segment_fixed_size: 0
    .kernarg_segment_align: 8
    .kernarg_segment_size: 72
    .language:       OpenCL C
    .language_version:
      - 2
      - 0
    .max_flat_workgroup_size: 256
    .name:           _ZN7rocprim17ROCPRIM_400000_NS6detail17trampoline_kernelINS0_14default_configENS1_37merge_sort_block_sort_config_selectorIlNS0_10empty_typeEEEZNS1_21merge_sort_block_sortIS3_PlS8_PS5_S9_ZN2at6native12_GLOBAL__N_124unique_dim_cuda_templateIiEESt5tupleIJNSA_6TensorESF_SF_EERKSF_lbbbEUlllE_EE10hipError_tT0_T1_T2_T3_mRjT4_P12ihipStream_tbNS1_7vsmem_tEEUlT_E_NS1_11comp_targetILNS1_3genE4ELNS1_11target_archE910ELNS1_3gpuE8ELNS1_3repE0EEENS1_30default_config_static_selectorELNS0_4arch9wavefront6targetE1EEEvSM_
    .private_segment_fixed_size: 0
    .sgpr_count:     6
    .sgpr_spill_count: 0
    .symbol:         _ZN7rocprim17ROCPRIM_400000_NS6detail17trampoline_kernelINS0_14default_configENS1_37merge_sort_block_sort_config_selectorIlNS0_10empty_typeEEEZNS1_21merge_sort_block_sortIS3_PlS8_PS5_S9_ZN2at6native12_GLOBAL__N_124unique_dim_cuda_templateIiEESt5tupleIJNSA_6TensorESF_SF_EERKSF_lbbbEUlllE_EE10hipError_tT0_T1_T2_T3_mRjT4_P12ihipStream_tbNS1_7vsmem_tEEUlT_E_NS1_11comp_targetILNS1_3genE4ELNS1_11target_archE910ELNS1_3gpuE8ELNS1_3repE0EEENS1_30default_config_static_selectorELNS0_4arch9wavefront6targetE1EEEvSM_.kd
    .uniform_work_group_size: 1
    .uses_dynamic_stack: false
    .vgpr_count:     0
    .vgpr_spill_count: 0
    .wavefront_size: 64
  - .agpr_count:     0
    .args:
      - .offset:         0
        .size:           72
        .value_kind:     by_value
    .group_segment_fixed_size: 0
    .kernarg_segment_align: 8
    .kernarg_segment_size: 72
    .language:       OpenCL C
    .language_version:
      - 2
      - 0
    .max_flat_workgroup_size: 256
    .name:           _ZN7rocprim17ROCPRIM_400000_NS6detail17trampoline_kernelINS0_14default_configENS1_37merge_sort_block_sort_config_selectorIlNS0_10empty_typeEEEZNS1_21merge_sort_block_sortIS3_PlS8_PS5_S9_ZN2at6native12_GLOBAL__N_124unique_dim_cuda_templateIiEESt5tupleIJNSA_6TensorESF_SF_EERKSF_lbbbEUlllE_EE10hipError_tT0_T1_T2_T3_mRjT4_P12ihipStream_tbNS1_7vsmem_tEEUlT_E_NS1_11comp_targetILNS1_3genE3ELNS1_11target_archE908ELNS1_3gpuE7ELNS1_3repE0EEENS1_30default_config_static_selectorELNS0_4arch9wavefront6targetE1EEEvSM_
    .private_segment_fixed_size: 0
    .sgpr_count:     6
    .sgpr_spill_count: 0
    .symbol:         _ZN7rocprim17ROCPRIM_400000_NS6detail17trampoline_kernelINS0_14default_configENS1_37merge_sort_block_sort_config_selectorIlNS0_10empty_typeEEEZNS1_21merge_sort_block_sortIS3_PlS8_PS5_S9_ZN2at6native12_GLOBAL__N_124unique_dim_cuda_templateIiEESt5tupleIJNSA_6TensorESF_SF_EERKSF_lbbbEUlllE_EE10hipError_tT0_T1_T2_T3_mRjT4_P12ihipStream_tbNS1_7vsmem_tEEUlT_E_NS1_11comp_targetILNS1_3genE3ELNS1_11target_archE908ELNS1_3gpuE7ELNS1_3repE0EEENS1_30default_config_static_selectorELNS0_4arch9wavefront6targetE1EEEvSM_.kd
    .uniform_work_group_size: 1
    .uses_dynamic_stack: false
    .vgpr_count:     0
    .vgpr_spill_count: 0
    .wavefront_size: 64
  - .agpr_count:     0
    .args:
      - .offset:         0
        .size:           72
        .value_kind:     by_value
    .group_segment_fixed_size: 0
    .kernarg_segment_align: 8
    .kernarg_segment_size: 72
    .language:       OpenCL C
    .language_version:
      - 2
      - 0
    .max_flat_workgroup_size: 256
    .name:           _ZN7rocprim17ROCPRIM_400000_NS6detail17trampoline_kernelINS0_14default_configENS1_37merge_sort_block_sort_config_selectorIlNS0_10empty_typeEEEZNS1_21merge_sort_block_sortIS3_PlS8_PS5_S9_ZN2at6native12_GLOBAL__N_124unique_dim_cuda_templateIiEESt5tupleIJNSA_6TensorESF_SF_EERKSF_lbbbEUlllE_EE10hipError_tT0_T1_T2_T3_mRjT4_P12ihipStream_tbNS1_7vsmem_tEEUlT_E_NS1_11comp_targetILNS1_3genE2ELNS1_11target_archE906ELNS1_3gpuE6ELNS1_3repE0EEENS1_30default_config_static_selectorELNS0_4arch9wavefront6targetE1EEEvSM_
    .private_segment_fixed_size: 0
    .sgpr_count:     6
    .sgpr_spill_count: 0
    .symbol:         _ZN7rocprim17ROCPRIM_400000_NS6detail17trampoline_kernelINS0_14default_configENS1_37merge_sort_block_sort_config_selectorIlNS0_10empty_typeEEEZNS1_21merge_sort_block_sortIS3_PlS8_PS5_S9_ZN2at6native12_GLOBAL__N_124unique_dim_cuda_templateIiEESt5tupleIJNSA_6TensorESF_SF_EERKSF_lbbbEUlllE_EE10hipError_tT0_T1_T2_T3_mRjT4_P12ihipStream_tbNS1_7vsmem_tEEUlT_E_NS1_11comp_targetILNS1_3genE2ELNS1_11target_archE906ELNS1_3gpuE6ELNS1_3repE0EEENS1_30default_config_static_selectorELNS0_4arch9wavefront6targetE1EEEvSM_.kd
    .uniform_work_group_size: 1
    .uses_dynamic_stack: false
    .vgpr_count:     0
    .vgpr_spill_count: 0
    .wavefront_size: 64
  - .agpr_count:     0
    .args:
      - .offset:         0
        .size:           72
        .value_kind:     by_value
    .group_segment_fixed_size: 0
    .kernarg_segment_align: 8
    .kernarg_segment_size: 72
    .language:       OpenCL C
    .language_version:
      - 2
      - 0
    .max_flat_workgroup_size: 256
    .name:           _ZN7rocprim17ROCPRIM_400000_NS6detail17trampoline_kernelINS0_14default_configENS1_37merge_sort_block_sort_config_selectorIlNS0_10empty_typeEEEZNS1_21merge_sort_block_sortIS3_PlS8_PS5_S9_ZN2at6native12_GLOBAL__N_124unique_dim_cuda_templateIiEESt5tupleIJNSA_6TensorESF_SF_EERKSF_lbbbEUlllE_EE10hipError_tT0_T1_T2_T3_mRjT4_P12ihipStream_tbNS1_7vsmem_tEEUlT_E_NS1_11comp_targetILNS1_3genE10ELNS1_11target_archE1201ELNS1_3gpuE5ELNS1_3repE0EEENS1_30default_config_static_selectorELNS0_4arch9wavefront6targetE1EEEvSM_
    .private_segment_fixed_size: 0
    .sgpr_count:     6
    .sgpr_spill_count: 0
    .symbol:         _ZN7rocprim17ROCPRIM_400000_NS6detail17trampoline_kernelINS0_14default_configENS1_37merge_sort_block_sort_config_selectorIlNS0_10empty_typeEEEZNS1_21merge_sort_block_sortIS3_PlS8_PS5_S9_ZN2at6native12_GLOBAL__N_124unique_dim_cuda_templateIiEESt5tupleIJNSA_6TensorESF_SF_EERKSF_lbbbEUlllE_EE10hipError_tT0_T1_T2_T3_mRjT4_P12ihipStream_tbNS1_7vsmem_tEEUlT_E_NS1_11comp_targetILNS1_3genE10ELNS1_11target_archE1201ELNS1_3gpuE5ELNS1_3repE0EEENS1_30default_config_static_selectorELNS0_4arch9wavefront6targetE1EEEvSM_.kd
    .uniform_work_group_size: 1
    .uses_dynamic_stack: false
    .vgpr_count:     0
    .vgpr_spill_count: 0
    .wavefront_size: 64
  - .agpr_count:     0
    .args:
      - .offset:         0
        .size:           72
        .value_kind:     by_value
    .group_segment_fixed_size: 0
    .kernarg_segment_align: 8
    .kernarg_segment_size: 72
    .language:       OpenCL C
    .language_version:
      - 2
      - 0
    .max_flat_workgroup_size: 512
    .name:           _ZN7rocprim17ROCPRIM_400000_NS6detail17trampoline_kernelINS0_14default_configENS1_37merge_sort_block_sort_config_selectorIlNS0_10empty_typeEEEZNS1_21merge_sort_block_sortIS3_PlS8_PS5_S9_ZN2at6native12_GLOBAL__N_124unique_dim_cuda_templateIiEESt5tupleIJNSA_6TensorESF_SF_EERKSF_lbbbEUlllE_EE10hipError_tT0_T1_T2_T3_mRjT4_P12ihipStream_tbNS1_7vsmem_tEEUlT_E_NS1_11comp_targetILNS1_3genE10ELNS1_11target_archE1200ELNS1_3gpuE4ELNS1_3repE0EEENS1_30default_config_static_selectorELNS0_4arch9wavefront6targetE1EEEvSM_
    .private_segment_fixed_size: 0
    .sgpr_count:     6
    .sgpr_spill_count: 0
    .symbol:         _ZN7rocprim17ROCPRIM_400000_NS6detail17trampoline_kernelINS0_14default_configENS1_37merge_sort_block_sort_config_selectorIlNS0_10empty_typeEEEZNS1_21merge_sort_block_sortIS3_PlS8_PS5_S9_ZN2at6native12_GLOBAL__N_124unique_dim_cuda_templateIiEESt5tupleIJNSA_6TensorESF_SF_EERKSF_lbbbEUlllE_EE10hipError_tT0_T1_T2_T3_mRjT4_P12ihipStream_tbNS1_7vsmem_tEEUlT_E_NS1_11comp_targetILNS1_3genE10ELNS1_11target_archE1200ELNS1_3gpuE4ELNS1_3repE0EEENS1_30default_config_static_selectorELNS0_4arch9wavefront6targetE1EEEvSM_.kd
    .uniform_work_group_size: 1
    .uses_dynamic_stack: false
    .vgpr_count:     0
    .vgpr_spill_count: 0
    .wavefront_size: 64
  - .agpr_count:     0
    .args:
      - .offset:         0
        .size:           72
        .value_kind:     by_value
    .group_segment_fixed_size: 0
    .kernarg_segment_align: 8
    .kernarg_segment_size: 72
    .language:       OpenCL C
    .language_version:
      - 2
      - 0
    .max_flat_workgroup_size: 256
    .name:           _ZN7rocprim17ROCPRIM_400000_NS6detail17trampoline_kernelINS0_14default_configENS1_37merge_sort_block_sort_config_selectorIlNS0_10empty_typeEEEZNS1_21merge_sort_block_sortIS3_PlS8_PS5_S9_ZN2at6native12_GLOBAL__N_124unique_dim_cuda_templateIiEESt5tupleIJNSA_6TensorESF_SF_EERKSF_lbbbEUlllE_EE10hipError_tT0_T1_T2_T3_mRjT4_P12ihipStream_tbNS1_7vsmem_tEEUlT_E_NS1_11comp_targetILNS1_3genE9ELNS1_11target_archE1100ELNS1_3gpuE3ELNS1_3repE0EEENS1_30default_config_static_selectorELNS0_4arch9wavefront6targetE1EEEvSM_
    .private_segment_fixed_size: 0
    .sgpr_count:     6
    .sgpr_spill_count: 0
    .symbol:         _ZN7rocprim17ROCPRIM_400000_NS6detail17trampoline_kernelINS0_14default_configENS1_37merge_sort_block_sort_config_selectorIlNS0_10empty_typeEEEZNS1_21merge_sort_block_sortIS3_PlS8_PS5_S9_ZN2at6native12_GLOBAL__N_124unique_dim_cuda_templateIiEESt5tupleIJNSA_6TensorESF_SF_EERKSF_lbbbEUlllE_EE10hipError_tT0_T1_T2_T3_mRjT4_P12ihipStream_tbNS1_7vsmem_tEEUlT_E_NS1_11comp_targetILNS1_3genE9ELNS1_11target_archE1100ELNS1_3gpuE3ELNS1_3repE0EEENS1_30default_config_static_selectorELNS0_4arch9wavefront6targetE1EEEvSM_.kd
    .uniform_work_group_size: 1
    .uses_dynamic_stack: false
    .vgpr_count:     0
    .vgpr_spill_count: 0
    .wavefront_size: 64
  - .agpr_count:     0
    .args:
      - .offset:         0
        .size:           72
        .value_kind:     by_value
    .group_segment_fixed_size: 0
    .kernarg_segment_align: 8
    .kernarg_segment_size: 72
    .language:       OpenCL C
    .language_version:
      - 2
      - 0
    .max_flat_workgroup_size: 256
    .name:           _ZN7rocprim17ROCPRIM_400000_NS6detail17trampoline_kernelINS0_14default_configENS1_37merge_sort_block_sort_config_selectorIlNS0_10empty_typeEEEZNS1_21merge_sort_block_sortIS3_PlS8_PS5_S9_ZN2at6native12_GLOBAL__N_124unique_dim_cuda_templateIiEESt5tupleIJNSA_6TensorESF_SF_EERKSF_lbbbEUlllE_EE10hipError_tT0_T1_T2_T3_mRjT4_P12ihipStream_tbNS1_7vsmem_tEEUlT_E_NS1_11comp_targetILNS1_3genE8ELNS1_11target_archE1030ELNS1_3gpuE2ELNS1_3repE0EEENS1_30default_config_static_selectorELNS0_4arch9wavefront6targetE1EEEvSM_
    .private_segment_fixed_size: 0
    .sgpr_count:     6
    .sgpr_spill_count: 0
    .symbol:         _ZN7rocprim17ROCPRIM_400000_NS6detail17trampoline_kernelINS0_14default_configENS1_37merge_sort_block_sort_config_selectorIlNS0_10empty_typeEEEZNS1_21merge_sort_block_sortIS3_PlS8_PS5_S9_ZN2at6native12_GLOBAL__N_124unique_dim_cuda_templateIiEESt5tupleIJNSA_6TensorESF_SF_EERKSF_lbbbEUlllE_EE10hipError_tT0_T1_T2_T3_mRjT4_P12ihipStream_tbNS1_7vsmem_tEEUlT_E_NS1_11comp_targetILNS1_3genE8ELNS1_11target_archE1030ELNS1_3gpuE2ELNS1_3repE0EEENS1_30default_config_static_selectorELNS0_4arch9wavefront6targetE1EEEvSM_.kd
    .uniform_work_group_size: 1
    .uses_dynamic_stack: false
    .vgpr_count:     0
    .vgpr_spill_count: 0
    .wavefront_size: 64
  - .agpr_count:     0
    .args:
      - .offset:         0
        .size:           56
        .value_kind:     by_value
    .group_segment_fixed_size: 0
    .kernarg_segment_align: 8
    .kernarg_segment_size: 56
    .language:       OpenCL C
    .language_version:
      - 2
      - 0
    .max_flat_workgroup_size: 128
    .name:           _ZN7rocprim17ROCPRIM_400000_NS6detail17trampoline_kernelINS0_14default_configENS1_38merge_sort_block_merge_config_selectorIlNS0_10empty_typeEEEZZNS1_27merge_sort_block_merge_implIS3_PlPS5_mZN2at6native12_GLOBAL__N_124unique_dim_cuda_templateIiEESt5tupleIJNSA_6TensorESF_SF_EERKSF_lbbbEUlllE_EE10hipError_tT0_T1_T2_jT3_P12ihipStream_tbPNSt15iterator_traitsISL_E10value_typeEPNSR_ISM_E10value_typeEPSN_NS1_7vsmem_tEENKUlT_SL_SM_SN_E_clIS8_S8_S9_S9_EESK_S10_SL_SM_SN_EUlS10_E_NS1_11comp_targetILNS1_3genE0ELNS1_11target_archE4294967295ELNS1_3gpuE0ELNS1_3repE0EEENS1_48merge_mergepath_partition_config_static_selectorELNS0_4arch9wavefront6targetE1EEEvSM_
    .private_segment_fixed_size: 0
    .sgpr_count:     38
    .sgpr_spill_count: 0
    .symbol:         _ZN7rocprim17ROCPRIM_400000_NS6detail17trampoline_kernelINS0_14default_configENS1_38merge_sort_block_merge_config_selectorIlNS0_10empty_typeEEEZZNS1_27merge_sort_block_merge_implIS3_PlPS5_mZN2at6native12_GLOBAL__N_124unique_dim_cuda_templateIiEESt5tupleIJNSA_6TensorESF_SF_EERKSF_lbbbEUlllE_EE10hipError_tT0_T1_T2_jT3_P12ihipStream_tbPNSt15iterator_traitsISL_E10value_typeEPNSR_ISM_E10value_typeEPSN_NS1_7vsmem_tEENKUlT_SL_SM_SN_E_clIS8_S8_S9_S9_EESK_S10_SL_SM_SN_EUlS10_E_NS1_11comp_targetILNS1_3genE0ELNS1_11target_archE4294967295ELNS1_3gpuE0ELNS1_3repE0EEENS1_48merge_mergepath_partition_config_static_selectorELNS0_4arch9wavefront6targetE1EEEvSM_.kd
    .uniform_work_group_size: 1
    .uses_dynamic_stack: false
    .vgpr_count:     23
    .vgpr_spill_count: 0
    .wavefront_size: 64
  - .agpr_count:     0
    .args:
      - .offset:         0
        .size:           56
        .value_kind:     by_value
    .group_segment_fixed_size: 0
    .kernarg_segment_align: 8
    .kernarg_segment_size: 56
    .language:       OpenCL C
    .language_version:
      - 2
      - 0
    .max_flat_workgroup_size: 128
    .name:           _ZN7rocprim17ROCPRIM_400000_NS6detail17trampoline_kernelINS0_14default_configENS1_38merge_sort_block_merge_config_selectorIlNS0_10empty_typeEEEZZNS1_27merge_sort_block_merge_implIS3_PlPS5_mZN2at6native12_GLOBAL__N_124unique_dim_cuda_templateIiEESt5tupleIJNSA_6TensorESF_SF_EERKSF_lbbbEUlllE_EE10hipError_tT0_T1_T2_jT3_P12ihipStream_tbPNSt15iterator_traitsISL_E10value_typeEPNSR_ISM_E10value_typeEPSN_NS1_7vsmem_tEENKUlT_SL_SM_SN_E_clIS8_S8_S9_S9_EESK_S10_SL_SM_SN_EUlS10_E_NS1_11comp_targetILNS1_3genE10ELNS1_11target_archE1201ELNS1_3gpuE5ELNS1_3repE0EEENS1_48merge_mergepath_partition_config_static_selectorELNS0_4arch9wavefront6targetE1EEEvSM_
    .private_segment_fixed_size: 0
    .sgpr_count:     6
    .sgpr_spill_count: 0
    .symbol:         _ZN7rocprim17ROCPRIM_400000_NS6detail17trampoline_kernelINS0_14default_configENS1_38merge_sort_block_merge_config_selectorIlNS0_10empty_typeEEEZZNS1_27merge_sort_block_merge_implIS3_PlPS5_mZN2at6native12_GLOBAL__N_124unique_dim_cuda_templateIiEESt5tupleIJNSA_6TensorESF_SF_EERKSF_lbbbEUlllE_EE10hipError_tT0_T1_T2_jT3_P12ihipStream_tbPNSt15iterator_traitsISL_E10value_typeEPNSR_ISM_E10value_typeEPSN_NS1_7vsmem_tEENKUlT_SL_SM_SN_E_clIS8_S8_S9_S9_EESK_S10_SL_SM_SN_EUlS10_E_NS1_11comp_targetILNS1_3genE10ELNS1_11target_archE1201ELNS1_3gpuE5ELNS1_3repE0EEENS1_48merge_mergepath_partition_config_static_selectorELNS0_4arch9wavefront6targetE1EEEvSM_.kd
    .uniform_work_group_size: 1
    .uses_dynamic_stack: false
    .vgpr_count:     0
    .vgpr_spill_count: 0
    .wavefront_size: 64
  - .agpr_count:     0
    .args:
      - .offset:         0
        .size:           56
        .value_kind:     by_value
    .group_segment_fixed_size: 0
    .kernarg_segment_align: 8
    .kernarg_segment_size: 56
    .language:       OpenCL C
    .language_version:
      - 2
      - 0
    .max_flat_workgroup_size: 128
    .name:           _ZN7rocprim17ROCPRIM_400000_NS6detail17trampoline_kernelINS0_14default_configENS1_38merge_sort_block_merge_config_selectorIlNS0_10empty_typeEEEZZNS1_27merge_sort_block_merge_implIS3_PlPS5_mZN2at6native12_GLOBAL__N_124unique_dim_cuda_templateIiEESt5tupleIJNSA_6TensorESF_SF_EERKSF_lbbbEUlllE_EE10hipError_tT0_T1_T2_jT3_P12ihipStream_tbPNSt15iterator_traitsISL_E10value_typeEPNSR_ISM_E10value_typeEPSN_NS1_7vsmem_tEENKUlT_SL_SM_SN_E_clIS8_S8_S9_S9_EESK_S10_SL_SM_SN_EUlS10_E_NS1_11comp_targetILNS1_3genE5ELNS1_11target_archE942ELNS1_3gpuE9ELNS1_3repE0EEENS1_48merge_mergepath_partition_config_static_selectorELNS0_4arch9wavefront6targetE1EEEvSM_
    .private_segment_fixed_size: 0
    .sgpr_count:     6
    .sgpr_spill_count: 0
    .symbol:         _ZN7rocprim17ROCPRIM_400000_NS6detail17trampoline_kernelINS0_14default_configENS1_38merge_sort_block_merge_config_selectorIlNS0_10empty_typeEEEZZNS1_27merge_sort_block_merge_implIS3_PlPS5_mZN2at6native12_GLOBAL__N_124unique_dim_cuda_templateIiEESt5tupleIJNSA_6TensorESF_SF_EERKSF_lbbbEUlllE_EE10hipError_tT0_T1_T2_jT3_P12ihipStream_tbPNSt15iterator_traitsISL_E10value_typeEPNSR_ISM_E10value_typeEPSN_NS1_7vsmem_tEENKUlT_SL_SM_SN_E_clIS8_S8_S9_S9_EESK_S10_SL_SM_SN_EUlS10_E_NS1_11comp_targetILNS1_3genE5ELNS1_11target_archE942ELNS1_3gpuE9ELNS1_3repE0EEENS1_48merge_mergepath_partition_config_static_selectorELNS0_4arch9wavefront6targetE1EEEvSM_.kd
    .uniform_work_group_size: 1
    .uses_dynamic_stack: false
    .vgpr_count:     0
    .vgpr_spill_count: 0
    .wavefront_size: 64
  - .agpr_count:     0
    .args:
      - .offset:         0
        .size:           56
        .value_kind:     by_value
    .group_segment_fixed_size: 0
    .kernarg_segment_align: 8
    .kernarg_segment_size: 56
    .language:       OpenCL C
    .language_version:
      - 2
      - 0
    .max_flat_workgroup_size: 128
    .name:           _ZN7rocprim17ROCPRIM_400000_NS6detail17trampoline_kernelINS0_14default_configENS1_38merge_sort_block_merge_config_selectorIlNS0_10empty_typeEEEZZNS1_27merge_sort_block_merge_implIS3_PlPS5_mZN2at6native12_GLOBAL__N_124unique_dim_cuda_templateIiEESt5tupleIJNSA_6TensorESF_SF_EERKSF_lbbbEUlllE_EE10hipError_tT0_T1_T2_jT3_P12ihipStream_tbPNSt15iterator_traitsISL_E10value_typeEPNSR_ISM_E10value_typeEPSN_NS1_7vsmem_tEENKUlT_SL_SM_SN_E_clIS8_S8_S9_S9_EESK_S10_SL_SM_SN_EUlS10_E_NS1_11comp_targetILNS1_3genE4ELNS1_11target_archE910ELNS1_3gpuE8ELNS1_3repE0EEENS1_48merge_mergepath_partition_config_static_selectorELNS0_4arch9wavefront6targetE1EEEvSM_
    .private_segment_fixed_size: 0
    .sgpr_count:     6
    .sgpr_spill_count: 0
    .symbol:         _ZN7rocprim17ROCPRIM_400000_NS6detail17trampoline_kernelINS0_14default_configENS1_38merge_sort_block_merge_config_selectorIlNS0_10empty_typeEEEZZNS1_27merge_sort_block_merge_implIS3_PlPS5_mZN2at6native12_GLOBAL__N_124unique_dim_cuda_templateIiEESt5tupleIJNSA_6TensorESF_SF_EERKSF_lbbbEUlllE_EE10hipError_tT0_T1_T2_jT3_P12ihipStream_tbPNSt15iterator_traitsISL_E10value_typeEPNSR_ISM_E10value_typeEPSN_NS1_7vsmem_tEENKUlT_SL_SM_SN_E_clIS8_S8_S9_S9_EESK_S10_SL_SM_SN_EUlS10_E_NS1_11comp_targetILNS1_3genE4ELNS1_11target_archE910ELNS1_3gpuE8ELNS1_3repE0EEENS1_48merge_mergepath_partition_config_static_selectorELNS0_4arch9wavefront6targetE1EEEvSM_.kd
    .uniform_work_group_size: 1
    .uses_dynamic_stack: false
    .vgpr_count:     0
    .vgpr_spill_count: 0
    .wavefront_size: 64
  - .agpr_count:     0
    .args:
      - .offset:         0
        .size:           56
        .value_kind:     by_value
    .group_segment_fixed_size: 0
    .kernarg_segment_align: 8
    .kernarg_segment_size: 56
    .language:       OpenCL C
    .language_version:
      - 2
      - 0
    .max_flat_workgroup_size: 128
    .name:           _ZN7rocprim17ROCPRIM_400000_NS6detail17trampoline_kernelINS0_14default_configENS1_38merge_sort_block_merge_config_selectorIlNS0_10empty_typeEEEZZNS1_27merge_sort_block_merge_implIS3_PlPS5_mZN2at6native12_GLOBAL__N_124unique_dim_cuda_templateIiEESt5tupleIJNSA_6TensorESF_SF_EERKSF_lbbbEUlllE_EE10hipError_tT0_T1_T2_jT3_P12ihipStream_tbPNSt15iterator_traitsISL_E10value_typeEPNSR_ISM_E10value_typeEPSN_NS1_7vsmem_tEENKUlT_SL_SM_SN_E_clIS8_S8_S9_S9_EESK_S10_SL_SM_SN_EUlS10_E_NS1_11comp_targetILNS1_3genE3ELNS1_11target_archE908ELNS1_3gpuE7ELNS1_3repE0EEENS1_48merge_mergepath_partition_config_static_selectorELNS0_4arch9wavefront6targetE1EEEvSM_
    .private_segment_fixed_size: 0
    .sgpr_count:     6
    .sgpr_spill_count: 0
    .symbol:         _ZN7rocprim17ROCPRIM_400000_NS6detail17trampoline_kernelINS0_14default_configENS1_38merge_sort_block_merge_config_selectorIlNS0_10empty_typeEEEZZNS1_27merge_sort_block_merge_implIS3_PlPS5_mZN2at6native12_GLOBAL__N_124unique_dim_cuda_templateIiEESt5tupleIJNSA_6TensorESF_SF_EERKSF_lbbbEUlllE_EE10hipError_tT0_T1_T2_jT3_P12ihipStream_tbPNSt15iterator_traitsISL_E10value_typeEPNSR_ISM_E10value_typeEPSN_NS1_7vsmem_tEENKUlT_SL_SM_SN_E_clIS8_S8_S9_S9_EESK_S10_SL_SM_SN_EUlS10_E_NS1_11comp_targetILNS1_3genE3ELNS1_11target_archE908ELNS1_3gpuE7ELNS1_3repE0EEENS1_48merge_mergepath_partition_config_static_selectorELNS0_4arch9wavefront6targetE1EEEvSM_.kd
    .uniform_work_group_size: 1
    .uses_dynamic_stack: false
    .vgpr_count:     0
    .vgpr_spill_count: 0
    .wavefront_size: 64
  - .agpr_count:     0
    .args:
      - .offset:         0
        .size:           56
        .value_kind:     by_value
    .group_segment_fixed_size: 0
    .kernarg_segment_align: 8
    .kernarg_segment_size: 56
    .language:       OpenCL C
    .language_version:
      - 2
      - 0
    .max_flat_workgroup_size: 128
    .name:           _ZN7rocprim17ROCPRIM_400000_NS6detail17trampoline_kernelINS0_14default_configENS1_38merge_sort_block_merge_config_selectorIlNS0_10empty_typeEEEZZNS1_27merge_sort_block_merge_implIS3_PlPS5_mZN2at6native12_GLOBAL__N_124unique_dim_cuda_templateIiEESt5tupleIJNSA_6TensorESF_SF_EERKSF_lbbbEUlllE_EE10hipError_tT0_T1_T2_jT3_P12ihipStream_tbPNSt15iterator_traitsISL_E10value_typeEPNSR_ISM_E10value_typeEPSN_NS1_7vsmem_tEENKUlT_SL_SM_SN_E_clIS8_S8_S9_S9_EESK_S10_SL_SM_SN_EUlS10_E_NS1_11comp_targetILNS1_3genE2ELNS1_11target_archE906ELNS1_3gpuE6ELNS1_3repE0EEENS1_48merge_mergepath_partition_config_static_selectorELNS0_4arch9wavefront6targetE1EEEvSM_
    .private_segment_fixed_size: 0
    .sgpr_count:     6
    .sgpr_spill_count: 0
    .symbol:         _ZN7rocprim17ROCPRIM_400000_NS6detail17trampoline_kernelINS0_14default_configENS1_38merge_sort_block_merge_config_selectorIlNS0_10empty_typeEEEZZNS1_27merge_sort_block_merge_implIS3_PlPS5_mZN2at6native12_GLOBAL__N_124unique_dim_cuda_templateIiEESt5tupleIJNSA_6TensorESF_SF_EERKSF_lbbbEUlllE_EE10hipError_tT0_T1_T2_jT3_P12ihipStream_tbPNSt15iterator_traitsISL_E10value_typeEPNSR_ISM_E10value_typeEPSN_NS1_7vsmem_tEENKUlT_SL_SM_SN_E_clIS8_S8_S9_S9_EESK_S10_SL_SM_SN_EUlS10_E_NS1_11comp_targetILNS1_3genE2ELNS1_11target_archE906ELNS1_3gpuE6ELNS1_3repE0EEENS1_48merge_mergepath_partition_config_static_selectorELNS0_4arch9wavefront6targetE1EEEvSM_.kd
    .uniform_work_group_size: 1
    .uses_dynamic_stack: false
    .vgpr_count:     0
    .vgpr_spill_count: 0
    .wavefront_size: 64
  - .agpr_count:     0
    .args:
      - .offset:         0
        .size:           56
        .value_kind:     by_value
    .group_segment_fixed_size: 0
    .kernarg_segment_align: 8
    .kernarg_segment_size: 56
    .language:       OpenCL C
    .language_version:
      - 2
      - 0
    .max_flat_workgroup_size: 128
    .name:           _ZN7rocprim17ROCPRIM_400000_NS6detail17trampoline_kernelINS0_14default_configENS1_38merge_sort_block_merge_config_selectorIlNS0_10empty_typeEEEZZNS1_27merge_sort_block_merge_implIS3_PlPS5_mZN2at6native12_GLOBAL__N_124unique_dim_cuda_templateIiEESt5tupleIJNSA_6TensorESF_SF_EERKSF_lbbbEUlllE_EE10hipError_tT0_T1_T2_jT3_P12ihipStream_tbPNSt15iterator_traitsISL_E10value_typeEPNSR_ISM_E10value_typeEPSN_NS1_7vsmem_tEENKUlT_SL_SM_SN_E_clIS8_S8_S9_S9_EESK_S10_SL_SM_SN_EUlS10_E_NS1_11comp_targetILNS1_3genE9ELNS1_11target_archE1100ELNS1_3gpuE3ELNS1_3repE0EEENS1_48merge_mergepath_partition_config_static_selectorELNS0_4arch9wavefront6targetE1EEEvSM_
    .private_segment_fixed_size: 0
    .sgpr_count:     6
    .sgpr_spill_count: 0
    .symbol:         _ZN7rocprim17ROCPRIM_400000_NS6detail17trampoline_kernelINS0_14default_configENS1_38merge_sort_block_merge_config_selectorIlNS0_10empty_typeEEEZZNS1_27merge_sort_block_merge_implIS3_PlPS5_mZN2at6native12_GLOBAL__N_124unique_dim_cuda_templateIiEESt5tupleIJNSA_6TensorESF_SF_EERKSF_lbbbEUlllE_EE10hipError_tT0_T1_T2_jT3_P12ihipStream_tbPNSt15iterator_traitsISL_E10value_typeEPNSR_ISM_E10value_typeEPSN_NS1_7vsmem_tEENKUlT_SL_SM_SN_E_clIS8_S8_S9_S9_EESK_S10_SL_SM_SN_EUlS10_E_NS1_11comp_targetILNS1_3genE9ELNS1_11target_archE1100ELNS1_3gpuE3ELNS1_3repE0EEENS1_48merge_mergepath_partition_config_static_selectorELNS0_4arch9wavefront6targetE1EEEvSM_.kd
    .uniform_work_group_size: 1
    .uses_dynamic_stack: false
    .vgpr_count:     0
    .vgpr_spill_count: 0
    .wavefront_size: 64
  - .agpr_count:     0
    .args:
      - .offset:         0
        .size:           56
        .value_kind:     by_value
    .group_segment_fixed_size: 0
    .kernarg_segment_align: 8
    .kernarg_segment_size: 56
    .language:       OpenCL C
    .language_version:
      - 2
      - 0
    .max_flat_workgroup_size: 128
    .name:           _ZN7rocprim17ROCPRIM_400000_NS6detail17trampoline_kernelINS0_14default_configENS1_38merge_sort_block_merge_config_selectorIlNS0_10empty_typeEEEZZNS1_27merge_sort_block_merge_implIS3_PlPS5_mZN2at6native12_GLOBAL__N_124unique_dim_cuda_templateIiEESt5tupleIJNSA_6TensorESF_SF_EERKSF_lbbbEUlllE_EE10hipError_tT0_T1_T2_jT3_P12ihipStream_tbPNSt15iterator_traitsISL_E10value_typeEPNSR_ISM_E10value_typeEPSN_NS1_7vsmem_tEENKUlT_SL_SM_SN_E_clIS8_S8_S9_S9_EESK_S10_SL_SM_SN_EUlS10_E_NS1_11comp_targetILNS1_3genE8ELNS1_11target_archE1030ELNS1_3gpuE2ELNS1_3repE0EEENS1_48merge_mergepath_partition_config_static_selectorELNS0_4arch9wavefront6targetE1EEEvSM_
    .private_segment_fixed_size: 0
    .sgpr_count:     6
    .sgpr_spill_count: 0
    .symbol:         _ZN7rocprim17ROCPRIM_400000_NS6detail17trampoline_kernelINS0_14default_configENS1_38merge_sort_block_merge_config_selectorIlNS0_10empty_typeEEEZZNS1_27merge_sort_block_merge_implIS3_PlPS5_mZN2at6native12_GLOBAL__N_124unique_dim_cuda_templateIiEESt5tupleIJNSA_6TensorESF_SF_EERKSF_lbbbEUlllE_EE10hipError_tT0_T1_T2_jT3_P12ihipStream_tbPNSt15iterator_traitsISL_E10value_typeEPNSR_ISM_E10value_typeEPSN_NS1_7vsmem_tEENKUlT_SL_SM_SN_E_clIS8_S8_S9_S9_EESK_S10_SL_SM_SN_EUlS10_E_NS1_11comp_targetILNS1_3genE8ELNS1_11target_archE1030ELNS1_3gpuE2ELNS1_3repE0EEENS1_48merge_mergepath_partition_config_static_selectorELNS0_4arch9wavefront6targetE1EEEvSM_.kd
    .uniform_work_group_size: 1
    .uses_dynamic_stack: false
    .vgpr_count:     0
    .vgpr_spill_count: 0
    .wavefront_size: 64
  - .agpr_count:     0
    .args:
      - .offset:         0
        .size:           88
        .value_kind:     by_value
      - .offset:         88
        .size:           4
        .value_kind:     hidden_block_count_x
      - .offset:         92
        .size:           4
        .value_kind:     hidden_block_count_y
      - .offset:         96
        .size:           4
        .value_kind:     hidden_block_count_z
      - .offset:         100
        .size:           2
        .value_kind:     hidden_group_size_x
      - .offset:         102
        .size:           2
        .value_kind:     hidden_group_size_y
      - .offset:         104
        .size:           2
        .value_kind:     hidden_group_size_z
      - .offset:         106
        .size:           2
        .value_kind:     hidden_remainder_x
      - .offset:         108
        .size:           2
        .value_kind:     hidden_remainder_y
      - .offset:         110
        .size:           2
        .value_kind:     hidden_remainder_z
      - .offset:         128
        .size:           8
        .value_kind:     hidden_global_offset_x
      - .offset:         136
        .size:           8
        .value_kind:     hidden_global_offset_y
      - .offset:         144
        .size:           8
        .value_kind:     hidden_global_offset_z
      - .offset:         152
        .size:           2
        .value_kind:     hidden_grid_dims
    .group_segment_fixed_size: 8448
    .kernarg_segment_align: 8
    .kernarg_segment_size: 344
    .language:       OpenCL C
    .language_version:
      - 2
      - 0
    .max_flat_workgroup_size: 128
    .name:           _ZN7rocprim17ROCPRIM_400000_NS6detail17trampoline_kernelINS0_14default_configENS1_38merge_sort_block_merge_config_selectorIlNS0_10empty_typeEEEZZNS1_27merge_sort_block_merge_implIS3_PlPS5_mZN2at6native12_GLOBAL__N_124unique_dim_cuda_templateIiEESt5tupleIJNSA_6TensorESF_SF_EERKSF_lbbbEUlllE_EE10hipError_tT0_T1_T2_jT3_P12ihipStream_tbPNSt15iterator_traitsISL_E10value_typeEPNSR_ISM_E10value_typeEPSN_NS1_7vsmem_tEENKUlT_SL_SM_SN_E_clIS8_S8_S9_S9_EESK_S10_SL_SM_SN_EUlS10_E0_NS1_11comp_targetILNS1_3genE0ELNS1_11target_archE4294967295ELNS1_3gpuE0ELNS1_3repE0EEENS1_38merge_mergepath_config_static_selectorELNS0_4arch9wavefront6targetE1EEEvSM_
    .private_segment_fixed_size: 0
    .sgpr_count:     58
    .sgpr_spill_count: 0
    .symbol:         _ZN7rocprim17ROCPRIM_400000_NS6detail17trampoline_kernelINS0_14default_configENS1_38merge_sort_block_merge_config_selectorIlNS0_10empty_typeEEEZZNS1_27merge_sort_block_merge_implIS3_PlPS5_mZN2at6native12_GLOBAL__N_124unique_dim_cuda_templateIiEESt5tupleIJNSA_6TensorESF_SF_EERKSF_lbbbEUlllE_EE10hipError_tT0_T1_T2_jT3_P12ihipStream_tbPNSt15iterator_traitsISL_E10value_typeEPNSR_ISM_E10value_typeEPSN_NS1_7vsmem_tEENKUlT_SL_SM_SN_E_clIS8_S8_S9_S9_EESK_S10_SL_SM_SN_EUlS10_E0_NS1_11comp_targetILNS1_3genE0ELNS1_11target_archE4294967295ELNS1_3gpuE0ELNS1_3repE0EEENS1_38merge_mergepath_config_static_selectorELNS0_4arch9wavefront6targetE1EEEvSM_.kd
    .uniform_work_group_size: 1
    .uses_dynamic_stack: false
    .vgpr_count:     38
    .vgpr_spill_count: 0
    .wavefront_size: 64
  - .agpr_count:     0
    .args:
      - .offset:         0
        .size:           88
        .value_kind:     by_value
    .group_segment_fixed_size: 0
    .kernarg_segment_align: 8
    .kernarg_segment_size: 88
    .language:       OpenCL C
    .language_version:
      - 2
      - 0
    .max_flat_workgroup_size: 512
    .name:           _ZN7rocprim17ROCPRIM_400000_NS6detail17trampoline_kernelINS0_14default_configENS1_38merge_sort_block_merge_config_selectorIlNS0_10empty_typeEEEZZNS1_27merge_sort_block_merge_implIS3_PlPS5_mZN2at6native12_GLOBAL__N_124unique_dim_cuda_templateIiEESt5tupleIJNSA_6TensorESF_SF_EERKSF_lbbbEUlllE_EE10hipError_tT0_T1_T2_jT3_P12ihipStream_tbPNSt15iterator_traitsISL_E10value_typeEPNSR_ISM_E10value_typeEPSN_NS1_7vsmem_tEENKUlT_SL_SM_SN_E_clIS8_S8_S9_S9_EESK_S10_SL_SM_SN_EUlS10_E0_NS1_11comp_targetILNS1_3genE10ELNS1_11target_archE1201ELNS1_3gpuE5ELNS1_3repE0EEENS1_38merge_mergepath_config_static_selectorELNS0_4arch9wavefront6targetE1EEEvSM_
    .private_segment_fixed_size: 0
    .sgpr_count:     6
    .sgpr_spill_count: 0
    .symbol:         _ZN7rocprim17ROCPRIM_400000_NS6detail17trampoline_kernelINS0_14default_configENS1_38merge_sort_block_merge_config_selectorIlNS0_10empty_typeEEEZZNS1_27merge_sort_block_merge_implIS3_PlPS5_mZN2at6native12_GLOBAL__N_124unique_dim_cuda_templateIiEESt5tupleIJNSA_6TensorESF_SF_EERKSF_lbbbEUlllE_EE10hipError_tT0_T1_T2_jT3_P12ihipStream_tbPNSt15iterator_traitsISL_E10value_typeEPNSR_ISM_E10value_typeEPSN_NS1_7vsmem_tEENKUlT_SL_SM_SN_E_clIS8_S8_S9_S9_EESK_S10_SL_SM_SN_EUlS10_E0_NS1_11comp_targetILNS1_3genE10ELNS1_11target_archE1201ELNS1_3gpuE5ELNS1_3repE0EEENS1_38merge_mergepath_config_static_selectorELNS0_4arch9wavefront6targetE1EEEvSM_.kd
    .uniform_work_group_size: 1
    .uses_dynamic_stack: false
    .vgpr_count:     0
    .vgpr_spill_count: 0
    .wavefront_size: 64
  - .agpr_count:     0
    .args:
      - .offset:         0
        .size:           88
        .value_kind:     by_value
    .group_segment_fixed_size: 0
    .kernarg_segment_align: 8
    .kernarg_segment_size: 88
    .language:       OpenCL C
    .language_version:
      - 2
      - 0
    .max_flat_workgroup_size: 128
    .name:           _ZN7rocprim17ROCPRIM_400000_NS6detail17trampoline_kernelINS0_14default_configENS1_38merge_sort_block_merge_config_selectorIlNS0_10empty_typeEEEZZNS1_27merge_sort_block_merge_implIS3_PlPS5_mZN2at6native12_GLOBAL__N_124unique_dim_cuda_templateIiEESt5tupleIJNSA_6TensorESF_SF_EERKSF_lbbbEUlllE_EE10hipError_tT0_T1_T2_jT3_P12ihipStream_tbPNSt15iterator_traitsISL_E10value_typeEPNSR_ISM_E10value_typeEPSN_NS1_7vsmem_tEENKUlT_SL_SM_SN_E_clIS8_S8_S9_S9_EESK_S10_SL_SM_SN_EUlS10_E0_NS1_11comp_targetILNS1_3genE5ELNS1_11target_archE942ELNS1_3gpuE9ELNS1_3repE0EEENS1_38merge_mergepath_config_static_selectorELNS0_4arch9wavefront6targetE1EEEvSM_
    .private_segment_fixed_size: 0
    .sgpr_count:     6
    .sgpr_spill_count: 0
    .symbol:         _ZN7rocprim17ROCPRIM_400000_NS6detail17trampoline_kernelINS0_14default_configENS1_38merge_sort_block_merge_config_selectorIlNS0_10empty_typeEEEZZNS1_27merge_sort_block_merge_implIS3_PlPS5_mZN2at6native12_GLOBAL__N_124unique_dim_cuda_templateIiEESt5tupleIJNSA_6TensorESF_SF_EERKSF_lbbbEUlllE_EE10hipError_tT0_T1_T2_jT3_P12ihipStream_tbPNSt15iterator_traitsISL_E10value_typeEPNSR_ISM_E10value_typeEPSN_NS1_7vsmem_tEENKUlT_SL_SM_SN_E_clIS8_S8_S9_S9_EESK_S10_SL_SM_SN_EUlS10_E0_NS1_11comp_targetILNS1_3genE5ELNS1_11target_archE942ELNS1_3gpuE9ELNS1_3repE0EEENS1_38merge_mergepath_config_static_selectorELNS0_4arch9wavefront6targetE1EEEvSM_.kd
    .uniform_work_group_size: 1
    .uses_dynamic_stack: false
    .vgpr_count:     0
    .vgpr_spill_count: 0
    .wavefront_size: 64
  - .agpr_count:     0
    .args:
      - .offset:         0
        .size:           88
        .value_kind:     by_value
    .group_segment_fixed_size: 0
    .kernarg_segment_align: 8
    .kernarg_segment_size: 88
    .language:       OpenCL C
    .language_version:
      - 2
      - 0
    .max_flat_workgroup_size: 256
    .name:           _ZN7rocprim17ROCPRIM_400000_NS6detail17trampoline_kernelINS0_14default_configENS1_38merge_sort_block_merge_config_selectorIlNS0_10empty_typeEEEZZNS1_27merge_sort_block_merge_implIS3_PlPS5_mZN2at6native12_GLOBAL__N_124unique_dim_cuda_templateIiEESt5tupleIJNSA_6TensorESF_SF_EERKSF_lbbbEUlllE_EE10hipError_tT0_T1_T2_jT3_P12ihipStream_tbPNSt15iterator_traitsISL_E10value_typeEPNSR_ISM_E10value_typeEPSN_NS1_7vsmem_tEENKUlT_SL_SM_SN_E_clIS8_S8_S9_S9_EESK_S10_SL_SM_SN_EUlS10_E0_NS1_11comp_targetILNS1_3genE4ELNS1_11target_archE910ELNS1_3gpuE8ELNS1_3repE0EEENS1_38merge_mergepath_config_static_selectorELNS0_4arch9wavefront6targetE1EEEvSM_
    .private_segment_fixed_size: 0
    .sgpr_count:     6
    .sgpr_spill_count: 0
    .symbol:         _ZN7rocprim17ROCPRIM_400000_NS6detail17trampoline_kernelINS0_14default_configENS1_38merge_sort_block_merge_config_selectorIlNS0_10empty_typeEEEZZNS1_27merge_sort_block_merge_implIS3_PlPS5_mZN2at6native12_GLOBAL__N_124unique_dim_cuda_templateIiEESt5tupleIJNSA_6TensorESF_SF_EERKSF_lbbbEUlllE_EE10hipError_tT0_T1_T2_jT3_P12ihipStream_tbPNSt15iterator_traitsISL_E10value_typeEPNSR_ISM_E10value_typeEPSN_NS1_7vsmem_tEENKUlT_SL_SM_SN_E_clIS8_S8_S9_S9_EESK_S10_SL_SM_SN_EUlS10_E0_NS1_11comp_targetILNS1_3genE4ELNS1_11target_archE910ELNS1_3gpuE8ELNS1_3repE0EEENS1_38merge_mergepath_config_static_selectorELNS0_4arch9wavefront6targetE1EEEvSM_.kd
    .uniform_work_group_size: 1
    .uses_dynamic_stack: false
    .vgpr_count:     0
    .vgpr_spill_count: 0
    .wavefront_size: 64
  - .agpr_count:     0
    .args:
      - .offset:         0
        .size:           88
        .value_kind:     by_value
    .group_segment_fixed_size: 0
    .kernarg_segment_align: 8
    .kernarg_segment_size: 88
    .language:       OpenCL C
    .language_version:
      - 2
      - 0
    .max_flat_workgroup_size: 128
    .name:           _ZN7rocprim17ROCPRIM_400000_NS6detail17trampoline_kernelINS0_14default_configENS1_38merge_sort_block_merge_config_selectorIlNS0_10empty_typeEEEZZNS1_27merge_sort_block_merge_implIS3_PlPS5_mZN2at6native12_GLOBAL__N_124unique_dim_cuda_templateIiEESt5tupleIJNSA_6TensorESF_SF_EERKSF_lbbbEUlllE_EE10hipError_tT0_T1_T2_jT3_P12ihipStream_tbPNSt15iterator_traitsISL_E10value_typeEPNSR_ISM_E10value_typeEPSN_NS1_7vsmem_tEENKUlT_SL_SM_SN_E_clIS8_S8_S9_S9_EESK_S10_SL_SM_SN_EUlS10_E0_NS1_11comp_targetILNS1_3genE3ELNS1_11target_archE908ELNS1_3gpuE7ELNS1_3repE0EEENS1_38merge_mergepath_config_static_selectorELNS0_4arch9wavefront6targetE1EEEvSM_
    .private_segment_fixed_size: 0
    .sgpr_count:     6
    .sgpr_spill_count: 0
    .symbol:         _ZN7rocprim17ROCPRIM_400000_NS6detail17trampoline_kernelINS0_14default_configENS1_38merge_sort_block_merge_config_selectorIlNS0_10empty_typeEEEZZNS1_27merge_sort_block_merge_implIS3_PlPS5_mZN2at6native12_GLOBAL__N_124unique_dim_cuda_templateIiEESt5tupleIJNSA_6TensorESF_SF_EERKSF_lbbbEUlllE_EE10hipError_tT0_T1_T2_jT3_P12ihipStream_tbPNSt15iterator_traitsISL_E10value_typeEPNSR_ISM_E10value_typeEPSN_NS1_7vsmem_tEENKUlT_SL_SM_SN_E_clIS8_S8_S9_S9_EESK_S10_SL_SM_SN_EUlS10_E0_NS1_11comp_targetILNS1_3genE3ELNS1_11target_archE908ELNS1_3gpuE7ELNS1_3repE0EEENS1_38merge_mergepath_config_static_selectorELNS0_4arch9wavefront6targetE1EEEvSM_.kd
    .uniform_work_group_size: 1
    .uses_dynamic_stack: false
    .vgpr_count:     0
    .vgpr_spill_count: 0
    .wavefront_size: 64
  - .agpr_count:     0
    .args:
      - .offset:         0
        .size:           88
        .value_kind:     by_value
    .group_segment_fixed_size: 0
    .kernarg_segment_align: 8
    .kernarg_segment_size: 88
    .language:       OpenCL C
    .language_version:
      - 2
      - 0
    .max_flat_workgroup_size: 256
    .name:           _ZN7rocprim17ROCPRIM_400000_NS6detail17trampoline_kernelINS0_14default_configENS1_38merge_sort_block_merge_config_selectorIlNS0_10empty_typeEEEZZNS1_27merge_sort_block_merge_implIS3_PlPS5_mZN2at6native12_GLOBAL__N_124unique_dim_cuda_templateIiEESt5tupleIJNSA_6TensorESF_SF_EERKSF_lbbbEUlllE_EE10hipError_tT0_T1_T2_jT3_P12ihipStream_tbPNSt15iterator_traitsISL_E10value_typeEPNSR_ISM_E10value_typeEPSN_NS1_7vsmem_tEENKUlT_SL_SM_SN_E_clIS8_S8_S9_S9_EESK_S10_SL_SM_SN_EUlS10_E0_NS1_11comp_targetILNS1_3genE2ELNS1_11target_archE906ELNS1_3gpuE6ELNS1_3repE0EEENS1_38merge_mergepath_config_static_selectorELNS0_4arch9wavefront6targetE1EEEvSM_
    .private_segment_fixed_size: 0
    .sgpr_count:     6
    .sgpr_spill_count: 0
    .symbol:         _ZN7rocprim17ROCPRIM_400000_NS6detail17trampoline_kernelINS0_14default_configENS1_38merge_sort_block_merge_config_selectorIlNS0_10empty_typeEEEZZNS1_27merge_sort_block_merge_implIS3_PlPS5_mZN2at6native12_GLOBAL__N_124unique_dim_cuda_templateIiEESt5tupleIJNSA_6TensorESF_SF_EERKSF_lbbbEUlllE_EE10hipError_tT0_T1_T2_jT3_P12ihipStream_tbPNSt15iterator_traitsISL_E10value_typeEPNSR_ISM_E10value_typeEPSN_NS1_7vsmem_tEENKUlT_SL_SM_SN_E_clIS8_S8_S9_S9_EESK_S10_SL_SM_SN_EUlS10_E0_NS1_11comp_targetILNS1_3genE2ELNS1_11target_archE906ELNS1_3gpuE6ELNS1_3repE0EEENS1_38merge_mergepath_config_static_selectorELNS0_4arch9wavefront6targetE1EEEvSM_.kd
    .uniform_work_group_size: 1
    .uses_dynamic_stack: false
    .vgpr_count:     0
    .vgpr_spill_count: 0
    .wavefront_size: 64
  - .agpr_count:     0
    .args:
      - .offset:         0
        .size:           88
        .value_kind:     by_value
    .group_segment_fixed_size: 0
    .kernarg_segment_align: 8
    .kernarg_segment_size: 88
    .language:       OpenCL C
    .language_version:
      - 2
      - 0
    .max_flat_workgroup_size: 512
    .name:           _ZN7rocprim17ROCPRIM_400000_NS6detail17trampoline_kernelINS0_14default_configENS1_38merge_sort_block_merge_config_selectorIlNS0_10empty_typeEEEZZNS1_27merge_sort_block_merge_implIS3_PlPS5_mZN2at6native12_GLOBAL__N_124unique_dim_cuda_templateIiEESt5tupleIJNSA_6TensorESF_SF_EERKSF_lbbbEUlllE_EE10hipError_tT0_T1_T2_jT3_P12ihipStream_tbPNSt15iterator_traitsISL_E10value_typeEPNSR_ISM_E10value_typeEPSN_NS1_7vsmem_tEENKUlT_SL_SM_SN_E_clIS8_S8_S9_S9_EESK_S10_SL_SM_SN_EUlS10_E0_NS1_11comp_targetILNS1_3genE9ELNS1_11target_archE1100ELNS1_3gpuE3ELNS1_3repE0EEENS1_38merge_mergepath_config_static_selectorELNS0_4arch9wavefront6targetE1EEEvSM_
    .private_segment_fixed_size: 0
    .sgpr_count:     6
    .sgpr_spill_count: 0
    .symbol:         _ZN7rocprim17ROCPRIM_400000_NS6detail17trampoline_kernelINS0_14default_configENS1_38merge_sort_block_merge_config_selectorIlNS0_10empty_typeEEEZZNS1_27merge_sort_block_merge_implIS3_PlPS5_mZN2at6native12_GLOBAL__N_124unique_dim_cuda_templateIiEESt5tupleIJNSA_6TensorESF_SF_EERKSF_lbbbEUlllE_EE10hipError_tT0_T1_T2_jT3_P12ihipStream_tbPNSt15iterator_traitsISL_E10value_typeEPNSR_ISM_E10value_typeEPSN_NS1_7vsmem_tEENKUlT_SL_SM_SN_E_clIS8_S8_S9_S9_EESK_S10_SL_SM_SN_EUlS10_E0_NS1_11comp_targetILNS1_3genE9ELNS1_11target_archE1100ELNS1_3gpuE3ELNS1_3repE0EEENS1_38merge_mergepath_config_static_selectorELNS0_4arch9wavefront6targetE1EEEvSM_.kd
    .uniform_work_group_size: 1
    .uses_dynamic_stack: false
    .vgpr_count:     0
    .vgpr_spill_count: 0
    .wavefront_size: 64
  - .agpr_count:     0
    .args:
      - .offset:         0
        .size:           88
        .value_kind:     by_value
    .group_segment_fixed_size: 0
    .kernarg_segment_align: 8
    .kernarg_segment_size: 88
    .language:       OpenCL C
    .language_version:
      - 2
      - 0
    .max_flat_workgroup_size: 1024
    .name:           _ZN7rocprim17ROCPRIM_400000_NS6detail17trampoline_kernelINS0_14default_configENS1_38merge_sort_block_merge_config_selectorIlNS0_10empty_typeEEEZZNS1_27merge_sort_block_merge_implIS3_PlPS5_mZN2at6native12_GLOBAL__N_124unique_dim_cuda_templateIiEESt5tupleIJNSA_6TensorESF_SF_EERKSF_lbbbEUlllE_EE10hipError_tT0_T1_T2_jT3_P12ihipStream_tbPNSt15iterator_traitsISL_E10value_typeEPNSR_ISM_E10value_typeEPSN_NS1_7vsmem_tEENKUlT_SL_SM_SN_E_clIS8_S8_S9_S9_EESK_S10_SL_SM_SN_EUlS10_E0_NS1_11comp_targetILNS1_3genE8ELNS1_11target_archE1030ELNS1_3gpuE2ELNS1_3repE0EEENS1_38merge_mergepath_config_static_selectorELNS0_4arch9wavefront6targetE1EEEvSM_
    .private_segment_fixed_size: 0
    .sgpr_count:     6
    .sgpr_spill_count: 0
    .symbol:         _ZN7rocprim17ROCPRIM_400000_NS6detail17trampoline_kernelINS0_14default_configENS1_38merge_sort_block_merge_config_selectorIlNS0_10empty_typeEEEZZNS1_27merge_sort_block_merge_implIS3_PlPS5_mZN2at6native12_GLOBAL__N_124unique_dim_cuda_templateIiEESt5tupleIJNSA_6TensorESF_SF_EERKSF_lbbbEUlllE_EE10hipError_tT0_T1_T2_jT3_P12ihipStream_tbPNSt15iterator_traitsISL_E10value_typeEPNSR_ISM_E10value_typeEPSN_NS1_7vsmem_tEENKUlT_SL_SM_SN_E_clIS8_S8_S9_S9_EESK_S10_SL_SM_SN_EUlS10_E0_NS1_11comp_targetILNS1_3genE8ELNS1_11target_archE1030ELNS1_3gpuE2ELNS1_3repE0EEENS1_38merge_mergepath_config_static_selectorELNS0_4arch9wavefront6targetE1EEEvSM_.kd
    .uniform_work_group_size: 1
    .uses_dynamic_stack: false
    .vgpr_count:     0
    .vgpr_spill_count: 0
    .wavefront_size: 64
  - .agpr_count:     0
    .args:
      - .offset:         0
        .size:           64
        .value_kind:     by_value
    .group_segment_fixed_size: 0
    .kernarg_segment_align: 8
    .kernarg_segment_size: 64
    .language:       OpenCL C
    .language_version:
      - 2
      - 0
    .max_flat_workgroup_size: 256
    .name:           _ZN7rocprim17ROCPRIM_400000_NS6detail17trampoline_kernelINS0_14default_configENS1_38merge_sort_block_merge_config_selectorIlNS0_10empty_typeEEEZZNS1_27merge_sort_block_merge_implIS3_PlPS5_mZN2at6native12_GLOBAL__N_124unique_dim_cuda_templateIiEESt5tupleIJNSA_6TensorESF_SF_EERKSF_lbbbEUlllE_EE10hipError_tT0_T1_T2_jT3_P12ihipStream_tbPNSt15iterator_traitsISL_E10value_typeEPNSR_ISM_E10value_typeEPSN_NS1_7vsmem_tEENKUlT_SL_SM_SN_E_clIS8_S8_S9_S9_EESK_S10_SL_SM_SN_EUlS10_E1_NS1_11comp_targetILNS1_3genE0ELNS1_11target_archE4294967295ELNS1_3gpuE0ELNS1_3repE0EEENS1_36merge_oddeven_config_static_selectorELNS0_4arch9wavefront6targetE1EEEvSM_
    .private_segment_fixed_size: 0
    .sgpr_count:     52
    .sgpr_spill_count: 0
    .symbol:         _ZN7rocprim17ROCPRIM_400000_NS6detail17trampoline_kernelINS0_14default_configENS1_38merge_sort_block_merge_config_selectorIlNS0_10empty_typeEEEZZNS1_27merge_sort_block_merge_implIS3_PlPS5_mZN2at6native12_GLOBAL__N_124unique_dim_cuda_templateIiEESt5tupleIJNSA_6TensorESF_SF_EERKSF_lbbbEUlllE_EE10hipError_tT0_T1_T2_jT3_P12ihipStream_tbPNSt15iterator_traitsISL_E10value_typeEPNSR_ISM_E10value_typeEPSN_NS1_7vsmem_tEENKUlT_SL_SM_SN_E_clIS8_S8_S9_S9_EESK_S10_SL_SM_SN_EUlS10_E1_NS1_11comp_targetILNS1_3genE0ELNS1_11target_archE4294967295ELNS1_3gpuE0ELNS1_3repE0EEENS1_36merge_oddeven_config_static_selectorELNS0_4arch9wavefront6targetE1EEEvSM_.kd
    .uniform_work_group_size: 1
    .uses_dynamic_stack: false
    .vgpr_count:     19
    .vgpr_spill_count: 0
    .wavefront_size: 64
  - .agpr_count:     0
    .args:
      - .offset:         0
        .size:           64
        .value_kind:     by_value
    .group_segment_fixed_size: 0
    .kernarg_segment_align: 8
    .kernarg_segment_size: 64
    .language:       OpenCL C
    .language_version:
      - 2
      - 0
    .max_flat_workgroup_size: 256
    .name:           _ZN7rocprim17ROCPRIM_400000_NS6detail17trampoline_kernelINS0_14default_configENS1_38merge_sort_block_merge_config_selectorIlNS0_10empty_typeEEEZZNS1_27merge_sort_block_merge_implIS3_PlPS5_mZN2at6native12_GLOBAL__N_124unique_dim_cuda_templateIiEESt5tupleIJNSA_6TensorESF_SF_EERKSF_lbbbEUlllE_EE10hipError_tT0_T1_T2_jT3_P12ihipStream_tbPNSt15iterator_traitsISL_E10value_typeEPNSR_ISM_E10value_typeEPSN_NS1_7vsmem_tEENKUlT_SL_SM_SN_E_clIS8_S8_S9_S9_EESK_S10_SL_SM_SN_EUlS10_E1_NS1_11comp_targetILNS1_3genE10ELNS1_11target_archE1201ELNS1_3gpuE5ELNS1_3repE0EEENS1_36merge_oddeven_config_static_selectorELNS0_4arch9wavefront6targetE1EEEvSM_
    .private_segment_fixed_size: 0
    .sgpr_count:     6
    .sgpr_spill_count: 0
    .symbol:         _ZN7rocprim17ROCPRIM_400000_NS6detail17trampoline_kernelINS0_14default_configENS1_38merge_sort_block_merge_config_selectorIlNS0_10empty_typeEEEZZNS1_27merge_sort_block_merge_implIS3_PlPS5_mZN2at6native12_GLOBAL__N_124unique_dim_cuda_templateIiEESt5tupleIJNSA_6TensorESF_SF_EERKSF_lbbbEUlllE_EE10hipError_tT0_T1_T2_jT3_P12ihipStream_tbPNSt15iterator_traitsISL_E10value_typeEPNSR_ISM_E10value_typeEPSN_NS1_7vsmem_tEENKUlT_SL_SM_SN_E_clIS8_S8_S9_S9_EESK_S10_SL_SM_SN_EUlS10_E1_NS1_11comp_targetILNS1_3genE10ELNS1_11target_archE1201ELNS1_3gpuE5ELNS1_3repE0EEENS1_36merge_oddeven_config_static_selectorELNS0_4arch9wavefront6targetE1EEEvSM_.kd
    .uniform_work_group_size: 1
    .uses_dynamic_stack: false
    .vgpr_count:     0
    .vgpr_spill_count: 0
    .wavefront_size: 64
  - .agpr_count:     0
    .args:
      - .offset:         0
        .size:           64
        .value_kind:     by_value
    .group_segment_fixed_size: 0
    .kernarg_segment_align: 8
    .kernarg_segment_size: 64
    .language:       OpenCL C
    .language_version:
      - 2
      - 0
    .max_flat_workgroup_size: 256
    .name:           _ZN7rocprim17ROCPRIM_400000_NS6detail17trampoline_kernelINS0_14default_configENS1_38merge_sort_block_merge_config_selectorIlNS0_10empty_typeEEEZZNS1_27merge_sort_block_merge_implIS3_PlPS5_mZN2at6native12_GLOBAL__N_124unique_dim_cuda_templateIiEESt5tupleIJNSA_6TensorESF_SF_EERKSF_lbbbEUlllE_EE10hipError_tT0_T1_T2_jT3_P12ihipStream_tbPNSt15iterator_traitsISL_E10value_typeEPNSR_ISM_E10value_typeEPSN_NS1_7vsmem_tEENKUlT_SL_SM_SN_E_clIS8_S8_S9_S9_EESK_S10_SL_SM_SN_EUlS10_E1_NS1_11comp_targetILNS1_3genE5ELNS1_11target_archE942ELNS1_3gpuE9ELNS1_3repE0EEENS1_36merge_oddeven_config_static_selectorELNS0_4arch9wavefront6targetE1EEEvSM_
    .private_segment_fixed_size: 0
    .sgpr_count:     6
    .sgpr_spill_count: 0
    .symbol:         _ZN7rocprim17ROCPRIM_400000_NS6detail17trampoline_kernelINS0_14default_configENS1_38merge_sort_block_merge_config_selectorIlNS0_10empty_typeEEEZZNS1_27merge_sort_block_merge_implIS3_PlPS5_mZN2at6native12_GLOBAL__N_124unique_dim_cuda_templateIiEESt5tupleIJNSA_6TensorESF_SF_EERKSF_lbbbEUlllE_EE10hipError_tT0_T1_T2_jT3_P12ihipStream_tbPNSt15iterator_traitsISL_E10value_typeEPNSR_ISM_E10value_typeEPSN_NS1_7vsmem_tEENKUlT_SL_SM_SN_E_clIS8_S8_S9_S9_EESK_S10_SL_SM_SN_EUlS10_E1_NS1_11comp_targetILNS1_3genE5ELNS1_11target_archE942ELNS1_3gpuE9ELNS1_3repE0EEENS1_36merge_oddeven_config_static_selectorELNS0_4arch9wavefront6targetE1EEEvSM_.kd
    .uniform_work_group_size: 1
    .uses_dynamic_stack: false
    .vgpr_count:     0
    .vgpr_spill_count: 0
    .wavefront_size: 64
  - .agpr_count:     0
    .args:
      - .offset:         0
        .size:           64
        .value_kind:     by_value
    .group_segment_fixed_size: 0
    .kernarg_segment_align: 8
    .kernarg_segment_size: 64
    .language:       OpenCL C
    .language_version:
      - 2
      - 0
    .max_flat_workgroup_size: 256
    .name:           _ZN7rocprim17ROCPRIM_400000_NS6detail17trampoline_kernelINS0_14default_configENS1_38merge_sort_block_merge_config_selectorIlNS0_10empty_typeEEEZZNS1_27merge_sort_block_merge_implIS3_PlPS5_mZN2at6native12_GLOBAL__N_124unique_dim_cuda_templateIiEESt5tupleIJNSA_6TensorESF_SF_EERKSF_lbbbEUlllE_EE10hipError_tT0_T1_T2_jT3_P12ihipStream_tbPNSt15iterator_traitsISL_E10value_typeEPNSR_ISM_E10value_typeEPSN_NS1_7vsmem_tEENKUlT_SL_SM_SN_E_clIS8_S8_S9_S9_EESK_S10_SL_SM_SN_EUlS10_E1_NS1_11comp_targetILNS1_3genE4ELNS1_11target_archE910ELNS1_3gpuE8ELNS1_3repE0EEENS1_36merge_oddeven_config_static_selectorELNS0_4arch9wavefront6targetE1EEEvSM_
    .private_segment_fixed_size: 0
    .sgpr_count:     6
    .sgpr_spill_count: 0
    .symbol:         _ZN7rocprim17ROCPRIM_400000_NS6detail17trampoline_kernelINS0_14default_configENS1_38merge_sort_block_merge_config_selectorIlNS0_10empty_typeEEEZZNS1_27merge_sort_block_merge_implIS3_PlPS5_mZN2at6native12_GLOBAL__N_124unique_dim_cuda_templateIiEESt5tupleIJNSA_6TensorESF_SF_EERKSF_lbbbEUlllE_EE10hipError_tT0_T1_T2_jT3_P12ihipStream_tbPNSt15iterator_traitsISL_E10value_typeEPNSR_ISM_E10value_typeEPSN_NS1_7vsmem_tEENKUlT_SL_SM_SN_E_clIS8_S8_S9_S9_EESK_S10_SL_SM_SN_EUlS10_E1_NS1_11comp_targetILNS1_3genE4ELNS1_11target_archE910ELNS1_3gpuE8ELNS1_3repE0EEENS1_36merge_oddeven_config_static_selectorELNS0_4arch9wavefront6targetE1EEEvSM_.kd
    .uniform_work_group_size: 1
    .uses_dynamic_stack: false
    .vgpr_count:     0
    .vgpr_spill_count: 0
    .wavefront_size: 64
  - .agpr_count:     0
    .args:
      - .offset:         0
        .size:           64
        .value_kind:     by_value
    .group_segment_fixed_size: 0
    .kernarg_segment_align: 8
    .kernarg_segment_size: 64
    .language:       OpenCL C
    .language_version:
      - 2
      - 0
    .max_flat_workgroup_size: 256
    .name:           _ZN7rocprim17ROCPRIM_400000_NS6detail17trampoline_kernelINS0_14default_configENS1_38merge_sort_block_merge_config_selectorIlNS0_10empty_typeEEEZZNS1_27merge_sort_block_merge_implIS3_PlPS5_mZN2at6native12_GLOBAL__N_124unique_dim_cuda_templateIiEESt5tupleIJNSA_6TensorESF_SF_EERKSF_lbbbEUlllE_EE10hipError_tT0_T1_T2_jT3_P12ihipStream_tbPNSt15iterator_traitsISL_E10value_typeEPNSR_ISM_E10value_typeEPSN_NS1_7vsmem_tEENKUlT_SL_SM_SN_E_clIS8_S8_S9_S9_EESK_S10_SL_SM_SN_EUlS10_E1_NS1_11comp_targetILNS1_3genE3ELNS1_11target_archE908ELNS1_3gpuE7ELNS1_3repE0EEENS1_36merge_oddeven_config_static_selectorELNS0_4arch9wavefront6targetE1EEEvSM_
    .private_segment_fixed_size: 0
    .sgpr_count:     6
    .sgpr_spill_count: 0
    .symbol:         _ZN7rocprim17ROCPRIM_400000_NS6detail17trampoline_kernelINS0_14default_configENS1_38merge_sort_block_merge_config_selectorIlNS0_10empty_typeEEEZZNS1_27merge_sort_block_merge_implIS3_PlPS5_mZN2at6native12_GLOBAL__N_124unique_dim_cuda_templateIiEESt5tupleIJNSA_6TensorESF_SF_EERKSF_lbbbEUlllE_EE10hipError_tT0_T1_T2_jT3_P12ihipStream_tbPNSt15iterator_traitsISL_E10value_typeEPNSR_ISM_E10value_typeEPSN_NS1_7vsmem_tEENKUlT_SL_SM_SN_E_clIS8_S8_S9_S9_EESK_S10_SL_SM_SN_EUlS10_E1_NS1_11comp_targetILNS1_3genE3ELNS1_11target_archE908ELNS1_3gpuE7ELNS1_3repE0EEENS1_36merge_oddeven_config_static_selectorELNS0_4arch9wavefront6targetE1EEEvSM_.kd
    .uniform_work_group_size: 1
    .uses_dynamic_stack: false
    .vgpr_count:     0
    .vgpr_spill_count: 0
    .wavefront_size: 64
  - .agpr_count:     0
    .args:
      - .offset:         0
        .size:           64
        .value_kind:     by_value
    .group_segment_fixed_size: 0
    .kernarg_segment_align: 8
    .kernarg_segment_size: 64
    .language:       OpenCL C
    .language_version:
      - 2
      - 0
    .max_flat_workgroup_size: 256
    .name:           _ZN7rocprim17ROCPRIM_400000_NS6detail17trampoline_kernelINS0_14default_configENS1_38merge_sort_block_merge_config_selectorIlNS0_10empty_typeEEEZZNS1_27merge_sort_block_merge_implIS3_PlPS5_mZN2at6native12_GLOBAL__N_124unique_dim_cuda_templateIiEESt5tupleIJNSA_6TensorESF_SF_EERKSF_lbbbEUlllE_EE10hipError_tT0_T1_T2_jT3_P12ihipStream_tbPNSt15iterator_traitsISL_E10value_typeEPNSR_ISM_E10value_typeEPSN_NS1_7vsmem_tEENKUlT_SL_SM_SN_E_clIS8_S8_S9_S9_EESK_S10_SL_SM_SN_EUlS10_E1_NS1_11comp_targetILNS1_3genE2ELNS1_11target_archE906ELNS1_3gpuE6ELNS1_3repE0EEENS1_36merge_oddeven_config_static_selectorELNS0_4arch9wavefront6targetE1EEEvSM_
    .private_segment_fixed_size: 0
    .sgpr_count:     6
    .sgpr_spill_count: 0
    .symbol:         _ZN7rocprim17ROCPRIM_400000_NS6detail17trampoline_kernelINS0_14default_configENS1_38merge_sort_block_merge_config_selectorIlNS0_10empty_typeEEEZZNS1_27merge_sort_block_merge_implIS3_PlPS5_mZN2at6native12_GLOBAL__N_124unique_dim_cuda_templateIiEESt5tupleIJNSA_6TensorESF_SF_EERKSF_lbbbEUlllE_EE10hipError_tT0_T1_T2_jT3_P12ihipStream_tbPNSt15iterator_traitsISL_E10value_typeEPNSR_ISM_E10value_typeEPSN_NS1_7vsmem_tEENKUlT_SL_SM_SN_E_clIS8_S8_S9_S9_EESK_S10_SL_SM_SN_EUlS10_E1_NS1_11comp_targetILNS1_3genE2ELNS1_11target_archE906ELNS1_3gpuE6ELNS1_3repE0EEENS1_36merge_oddeven_config_static_selectorELNS0_4arch9wavefront6targetE1EEEvSM_.kd
    .uniform_work_group_size: 1
    .uses_dynamic_stack: false
    .vgpr_count:     0
    .vgpr_spill_count: 0
    .wavefront_size: 64
  - .agpr_count:     0
    .args:
      - .offset:         0
        .size:           64
        .value_kind:     by_value
    .group_segment_fixed_size: 0
    .kernarg_segment_align: 8
    .kernarg_segment_size: 64
    .language:       OpenCL C
    .language_version:
      - 2
      - 0
    .max_flat_workgroup_size: 256
    .name:           _ZN7rocprim17ROCPRIM_400000_NS6detail17trampoline_kernelINS0_14default_configENS1_38merge_sort_block_merge_config_selectorIlNS0_10empty_typeEEEZZNS1_27merge_sort_block_merge_implIS3_PlPS5_mZN2at6native12_GLOBAL__N_124unique_dim_cuda_templateIiEESt5tupleIJNSA_6TensorESF_SF_EERKSF_lbbbEUlllE_EE10hipError_tT0_T1_T2_jT3_P12ihipStream_tbPNSt15iterator_traitsISL_E10value_typeEPNSR_ISM_E10value_typeEPSN_NS1_7vsmem_tEENKUlT_SL_SM_SN_E_clIS8_S8_S9_S9_EESK_S10_SL_SM_SN_EUlS10_E1_NS1_11comp_targetILNS1_3genE9ELNS1_11target_archE1100ELNS1_3gpuE3ELNS1_3repE0EEENS1_36merge_oddeven_config_static_selectorELNS0_4arch9wavefront6targetE1EEEvSM_
    .private_segment_fixed_size: 0
    .sgpr_count:     6
    .sgpr_spill_count: 0
    .symbol:         _ZN7rocprim17ROCPRIM_400000_NS6detail17trampoline_kernelINS0_14default_configENS1_38merge_sort_block_merge_config_selectorIlNS0_10empty_typeEEEZZNS1_27merge_sort_block_merge_implIS3_PlPS5_mZN2at6native12_GLOBAL__N_124unique_dim_cuda_templateIiEESt5tupleIJNSA_6TensorESF_SF_EERKSF_lbbbEUlllE_EE10hipError_tT0_T1_T2_jT3_P12ihipStream_tbPNSt15iterator_traitsISL_E10value_typeEPNSR_ISM_E10value_typeEPSN_NS1_7vsmem_tEENKUlT_SL_SM_SN_E_clIS8_S8_S9_S9_EESK_S10_SL_SM_SN_EUlS10_E1_NS1_11comp_targetILNS1_3genE9ELNS1_11target_archE1100ELNS1_3gpuE3ELNS1_3repE0EEENS1_36merge_oddeven_config_static_selectorELNS0_4arch9wavefront6targetE1EEEvSM_.kd
    .uniform_work_group_size: 1
    .uses_dynamic_stack: false
    .vgpr_count:     0
    .vgpr_spill_count: 0
    .wavefront_size: 64
  - .agpr_count:     0
    .args:
      - .offset:         0
        .size:           64
        .value_kind:     by_value
    .group_segment_fixed_size: 0
    .kernarg_segment_align: 8
    .kernarg_segment_size: 64
    .language:       OpenCL C
    .language_version:
      - 2
      - 0
    .max_flat_workgroup_size: 256
    .name:           _ZN7rocprim17ROCPRIM_400000_NS6detail17trampoline_kernelINS0_14default_configENS1_38merge_sort_block_merge_config_selectorIlNS0_10empty_typeEEEZZNS1_27merge_sort_block_merge_implIS3_PlPS5_mZN2at6native12_GLOBAL__N_124unique_dim_cuda_templateIiEESt5tupleIJNSA_6TensorESF_SF_EERKSF_lbbbEUlllE_EE10hipError_tT0_T1_T2_jT3_P12ihipStream_tbPNSt15iterator_traitsISL_E10value_typeEPNSR_ISM_E10value_typeEPSN_NS1_7vsmem_tEENKUlT_SL_SM_SN_E_clIS8_S8_S9_S9_EESK_S10_SL_SM_SN_EUlS10_E1_NS1_11comp_targetILNS1_3genE8ELNS1_11target_archE1030ELNS1_3gpuE2ELNS1_3repE0EEENS1_36merge_oddeven_config_static_selectorELNS0_4arch9wavefront6targetE1EEEvSM_
    .private_segment_fixed_size: 0
    .sgpr_count:     6
    .sgpr_spill_count: 0
    .symbol:         _ZN7rocprim17ROCPRIM_400000_NS6detail17trampoline_kernelINS0_14default_configENS1_38merge_sort_block_merge_config_selectorIlNS0_10empty_typeEEEZZNS1_27merge_sort_block_merge_implIS3_PlPS5_mZN2at6native12_GLOBAL__N_124unique_dim_cuda_templateIiEESt5tupleIJNSA_6TensorESF_SF_EERKSF_lbbbEUlllE_EE10hipError_tT0_T1_T2_jT3_P12ihipStream_tbPNSt15iterator_traitsISL_E10value_typeEPNSR_ISM_E10value_typeEPSN_NS1_7vsmem_tEENKUlT_SL_SM_SN_E_clIS8_S8_S9_S9_EESK_S10_SL_SM_SN_EUlS10_E1_NS1_11comp_targetILNS1_3genE8ELNS1_11target_archE1030ELNS1_3gpuE2ELNS1_3repE0EEENS1_36merge_oddeven_config_static_selectorELNS0_4arch9wavefront6targetE1EEEvSM_.kd
    .uniform_work_group_size: 1
    .uses_dynamic_stack: false
    .vgpr_count:     0
    .vgpr_spill_count: 0
    .wavefront_size: 64
  - .agpr_count:     0
    .args:
      - .offset:         0
        .size:           64
        .value_kind:     by_value
    .group_segment_fixed_size: 2048
    .kernarg_segment_align: 8
    .kernarg_segment_size: 64
    .language:       OpenCL C
    .language_version:
      - 2
      - 0
    .max_flat_workgroup_size: 128
    .name:           _ZN7rocprim17ROCPRIM_400000_NS6detail17trampoline_kernelINS0_14default_configENS1_35adjacent_difference_config_selectorILb0ElEEZNS1_24adjacent_difference_implIS3_Lb0ELb0EPlS7_ZN2at6native12_GLOBAL__N_124unique_dim_cuda_templateIiEESt5tupleIJNS8_6TensorESD_SD_EERKSD_lbbbEUlllE1_EE10hipError_tPvRmT2_T3_mT4_P12ihipStream_tbEUlT_E_NS1_11comp_targetILNS1_3genE0ELNS1_11target_archE4294967295ELNS1_3gpuE0ELNS1_3repE0EEENS1_30default_config_static_selectorELNS0_4arch9wavefront6targetE1EEEvT1_
    .private_segment_fixed_size: 0
    .sgpr_count:     38
    .sgpr_spill_count: 0
    .symbol:         _ZN7rocprim17ROCPRIM_400000_NS6detail17trampoline_kernelINS0_14default_configENS1_35adjacent_difference_config_selectorILb0ElEEZNS1_24adjacent_difference_implIS3_Lb0ELb0EPlS7_ZN2at6native12_GLOBAL__N_124unique_dim_cuda_templateIiEESt5tupleIJNS8_6TensorESD_SD_EERKSD_lbbbEUlllE1_EE10hipError_tPvRmT2_T3_mT4_P12ihipStream_tbEUlT_E_NS1_11comp_targetILNS1_3genE0ELNS1_11target_archE4294967295ELNS1_3gpuE0ELNS1_3repE0EEENS1_30default_config_static_selectorELNS0_4arch9wavefront6targetE1EEEvT1_.kd
    .uniform_work_group_size: 1
    .uses_dynamic_stack: false
    .vgpr_count:     11
    .vgpr_spill_count: 0
    .wavefront_size: 64
  - .agpr_count:     0
    .args:
      - .offset:         0
        .size:           64
        .value_kind:     by_value
    .group_segment_fixed_size: 0
    .kernarg_segment_align: 8
    .kernarg_segment_size: 64
    .language:       OpenCL C
    .language_version:
      - 2
      - 0
    .max_flat_workgroup_size: 128
    .name:           _ZN7rocprim17ROCPRIM_400000_NS6detail17trampoline_kernelINS0_14default_configENS1_35adjacent_difference_config_selectorILb0ElEEZNS1_24adjacent_difference_implIS3_Lb0ELb0EPlS7_ZN2at6native12_GLOBAL__N_124unique_dim_cuda_templateIiEESt5tupleIJNS8_6TensorESD_SD_EERKSD_lbbbEUlllE1_EE10hipError_tPvRmT2_T3_mT4_P12ihipStream_tbEUlT_E_NS1_11comp_targetILNS1_3genE10ELNS1_11target_archE1201ELNS1_3gpuE5ELNS1_3repE0EEENS1_30default_config_static_selectorELNS0_4arch9wavefront6targetE1EEEvT1_
    .private_segment_fixed_size: 0
    .sgpr_count:     6
    .sgpr_spill_count: 0
    .symbol:         _ZN7rocprim17ROCPRIM_400000_NS6detail17trampoline_kernelINS0_14default_configENS1_35adjacent_difference_config_selectorILb0ElEEZNS1_24adjacent_difference_implIS3_Lb0ELb0EPlS7_ZN2at6native12_GLOBAL__N_124unique_dim_cuda_templateIiEESt5tupleIJNS8_6TensorESD_SD_EERKSD_lbbbEUlllE1_EE10hipError_tPvRmT2_T3_mT4_P12ihipStream_tbEUlT_E_NS1_11comp_targetILNS1_3genE10ELNS1_11target_archE1201ELNS1_3gpuE5ELNS1_3repE0EEENS1_30default_config_static_selectorELNS0_4arch9wavefront6targetE1EEEvT1_.kd
    .uniform_work_group_size: 1
    .uses_dynamic_stack: false
    .vgpr_count:     0
    .vgpr_spill_count: 0
    .wavefront_size: 64
  - .agpr_count:     0
    .args:
      - .offset:         0
        .size:           64
        .value_kind:     by_value
    .group_segment_fixed_size: 0
    .kernarg_segment_align: 8
    .kernarg_segment_size: 64
    .language:       OpenCL C
    .language_version:
      - 2
      - 0
    .max_flat_workgroup_size: 64
    .name:           _ZN7rocprim17ROCPRIM_400000_NS6detail17trampoline_kernelINS0_14default_configENS1_35adjacent_difference_config_selectorILb0ElEEZNS1_24adjacent_difference_implIS3_Lb0ELb0EPlS7_ZN2at6native12_GLOBAL__N_124unique_dim_cuda_templateIiEESt5tupleIJNS8_6TensorESD_SD_EERKSD_lbbbEUlllE1_EE10hipError_tPvRmT2_T3_mT4_P12ihipStream_tbEUlT_E_NS1_11comp_targetILNS1_3genE5ELNS1_11target_archE942ELNS1_3gpuE9ELNS1_3repE0EEENS1_30default_config_static_selectorELNS0_4arch9wavefront6targetE1EEEvT1_
    .private_segment_fixed_size: 0
    .sgpr_count:     6
    .sgpr_spill_count: 0
    .symbol:         _ZN7rocprim17ROCPRIM_400000_NS6detail17trampoline_kernelINS0_14default_configENS1_35adjacent_difference_config_selectorILb0ElEEZNS1_24adjacent_difference_implIS3_Lb0ELb0EPlS7_ZN2at6native12_GLOBAL__N_124unique_dim_cuda_templateIiEESt5tupleIJNS8_6TensorESD_SD_EERKSD_lbbbEUlllE1_EE10hipError_tPvRmT2_T3_mT4_P12ihipStream_tbEUlT_E_NS1_11comp_targetILNS1_3genE5ELNS1_11target_archE942ELNS1_3gpuE9ELNS1_3repE0EEENS1_30default_config_static_selectorELNS0_4arch9wavefront6targetE1EEEvT1_.kd
    .uniform_work_group_size: 1
    .uses_dynamic_stack: false
    .vgpr_count:     0
    .vgpr_spill_count: 0
    .wavefront_size: 64
  - .agpr_count:     0
    .args:
      - .offset:         0
        .size:           64
        .value_kind:     by_value
    .group_segment_fixed_size: 0
    .kernarg_segment_align: 8
    .kernarg_segment_size: 64
    .language:       OpenCL C
    .language_version:
      - 2
      - 0
    .max_flat_workgroup_size: 256
    .name:           _ZN7rocprim17ROCPRIM_400000_NS6detail17trampoline_kernelINS0_14default_configENS1_35adjacent_difference_config_selectorILb0ElEEZNS1_24adjacent_difference_implIS3_Lb0ELb0EPlS7_ZN2at6native12_GLOBAL__N_124unique_dim_cuda_templateIiEESt5tupleIJNS8_6TensorESD_SD_EERKSD_lbbbEUlllE1_EE10hipError_tPvRmT2_T3_mT4_P12ihipStream_tbEUlT_E_NS1_11comp_targetILNS1_3genE4ELNS1_11target_archE910ELNS1_3gpuE8ELNS1_3repE0EEENS1_30default_config_static_selectorELNS0_4arch9wavefront6targetE1EEEvT1_
    .private_segment_fixed_size: 0
    .sgpr_count:     6
    .sgpr_spill_count: 0
    .symbol:         _ZN7rocprim17ROCPRIM_400000_NS6detail17trampoline_kernelINS0_14default_configENS1_35adjacent_difference_config_selectorILb0ElEEZNS1_24adjacent_difference_implIS3_Lb0ELb0EPlS7_ZN2at6native12_GLOBAL__N_124unique_dim_cuda_templateIiEESt5tupleIJNS8_6TensorESD_SD_EERKSD_lbbbEUlllE1_EE10hipError_tPvRmT2_T3_mT4_P12ihipStream_tbEUlT_E_NS1_11comp_targetILNS1_3genE4ELNS1_11target_archE910ELNS1_3gpuE8ELNS1_3repE0EEENS1_30default_config_static_selectorELNS0_4arch9wavefront6targetE1EEEvT1_.kd
    .uniform_work_group_size: 1
    .uses_dynamic_stack: false
    .vgpr_count:     0
    .vgpr_spill_count: 0
    .wavefront_size: 64
  - .agpr_count:     0
    .args:
      - .offset:         0
        .size:           64
        .value_kind:     by_value
    .group_segment_fixed_size: 0
    .kernarg_segment_align: 8
    .kernarg_segment_size: 64
    .language:       OpenCL C
    .language_version:
      - 2
      - 0
    .max_flat_workgroup_size: 128
    .name:           _ZN7rocprim17ROCPRIM_400000_NS6detail17trampoline_kernelINS0_14default_configENS1_35adjacent_difference_config_selectorILb0ElEEZNS1_24adjacent_difference_implIS3_Lb0ELb0EPlS7_ZN2at6native12_GLOBAL__N_124unique_dim_cuda_templateIiEESt5tupleIJNS8_6TensorESD_SD_EERKSD_lbbbEUlllE1_EE10hipError_tPvRmT2_T3_mT4_P12ihipStream_tbEUlT_E_NS1_11comp_targetILNS1_3genE3ELNS1_11target_archE908ELNS1_3gpuE7ELNS1_3repE0EEENS1_30default_config_static_selectorELNS0_4arch9wavefront6targetE1EEEvT1_
    .private_segment_fixed_size: 0
    .sgpr_count:     6
    .sgpr_spill_count: 0
    .symbol:         _ZN7rocprim17ROCPRIM_400000_NS6detail17trampoline_kernelINS0_14default_configENS1_35adjacent_difference_config_selectorILb0ElEEZNS1_24adjacent_difference_implIS3_Lb0ELb0EPlS7_ZN2at6native12_GLOBAL__N_124unique_dim_cuda_templateIiEESt5tupleIJNS8_6TensorESD_SD_EERKSD_lbbbEUlllE1_EE10hipError_tPvRmT2_T3_mT4_P12ihipStream_tbEUlT_E_NS1_11comp_targetILNS1_3genE3ELNS1_11target_archE908ELNS1_3gpuE7ELNS1_3repE0EEENS1_30default_config_static_selectorELNS0_4arch9wavefront6targetE1EEEvT1_.kd
    .uniform_work_group_size: 1
    .uses_dynamic_stack: false
    .vgpr_count:     0
    .vgpr_spill_count: 0
    .wavefront_size: 64
  - .agpr_count:     0
    .args:
      - .offset:         0
        .size:           64
        .value_kind:     by_value
    .group_segment_fixed_size: 0
    .kernarg_segment_align: 8
    .kernarg_segment_size: 64
    .language:       OpenCL C
    .language_version:
      - 2
      - 0
    .max_flat_workgroup_size: 128
    .name:           _ZN7rocprim17ROCPRIM_400000_NS6detail17trampoline_kernelINS0_14default_configENS1_35adjacent_difference_config_selectorILb0ElEEZNS1_24adjacent_difference_implIS3_Lb0ELb0EPlS7_ZN2at6native12_GLOBAL__N_124unique_dim_cuda_templateIiEESt5tupleIJNS8_6TensorESD_SD_EERKSD_lbbbEUlllE1_EE10hipError_tPvRmT2_T3_mT4_P12ihipStream_tbEUlT_E_NS1_11comp_targetILNS1_3genE2ELNS1_11target_archE906ELNS1_3gpuE6ELNS1_3repE0EEENS1_30default_config_static_selectorELNS0_4arch9wavefront6targetE1EEEvT1_
    .private_segment_fixed_size: 0
    .sgpr_count:     6
    .sgpr_spill_count: 0
    .symbol:         _ZN7rocprim17ROCPRIM_400000_NS6detail17trampoline_kernelINS0_14default_configENS1_35adjacent_difference_config_selectorILb0ElEEZNS1_24adjacent_difference_implIS3_Lb0ELb0EPlS7_ZN2at6native12_GLOBAL__N_124unique_dim_cuda_templateIiEESt5tupleIJNS8_6TensorESD_SD_EERKSD_lbbbEUlllE1_EE10hipError_tPvRmT2_T3_mT4_P12ihipStream_tbEUlT_E_NS1_11comp_targetILNS1_3genE2ELNS1_11target_archE906ELNS1_3gpuE6ELNS1_3repE0EEENS1_30default_config_static_selectorELNS0_4arch9wavefront6targetE1EEEvT1_.kd
    .uniform_work_group_size: 1
    .uses_dynamic_stack: false
    .vgpr_count:     0
    .vgpr_spill_count: 0
    .wavefront_size: 64
  - .agpr_count:     0
    .args:
      - .offset:         0
        .size:           64
        .value_kind:     by_value
    .group_segment_fixed_size: 0
    .kernarg_segment_align: 8
    .kernarg_segment_size: 64
    .language:       OpenCL C
    .language_version:
      - 2
      - 0
    .max_flat_workgroup_size: 512
    .name:           _ZN7rocprim17ROCPRIM_400000_NS6detail17trampoline_kernelINS0_14default_configENS1_35adjacent_difference_config_selectorILb0ElEEZNS1_24adjacent_difference_implIS3_Lb0ELb0EPlS7_ZN2at6native12_GLOBAL__N_124unique_dim_cuda_templateIiEESt5tupleIJNS8_6TensorESD_SD_EERKSD_lbbbEUlllE1_EE10hipError_tPvRmT2_T3_mT4_P12ihipStream_tbEUlT_E_NS1_11comp_targetILNS1_3genE9ELNS1_11target_archE1100ELNS1_3gpuE3ELNS1_3repE0EEENS1_30default_config_static_selectorELNS0_4arch9wavefront6targetE1EEEvT1_
    .private_segment_fixed_size: 0
    .sgpr_count:     6
    .sgpr_spill_count: 0
    .symbol:         _ZN7rocprim17ROCPRIM_400000_NS6detail17trampoline_kernelINS0_14default_configENS1_35adjacent_difference_config_selectorILb0ElEEZNS1_24adjacent_difference_implIS3_Lb0ELb0EPlS7_ZN2at6native12_GLOBAL__N_124unique_dim_cuda_templateIiEESt5tupleIJNS8_6TensorESD_SD_EERKSD_lbbbEUlllE1_EE10hipError_tPvRmT2_T3_mT4_P12ihipStream_tbEUlT_E_NS1_11comp_targetILNS1_3genE9ELNS1_11target_archE1100ELNS1_3gpuE3ELNS1_3repE0EEENS1_30default_config_static_selectorELNS0_4arch9wavefront6targetE1EEEvT1_.kd
    .uniform_work_group_size: 1
    .uses_dynamic_stack: false
    .vgpr_count:     0
    .vgpr_spill_count: 0
    .wavefront_size: 64
  - .agpr_count:     0
    .args:
      - .offset:         0
        .size:           64
        .value_kind:     by_value
    .group_segment_fixed_size: 0
    .kernarg_segment_align: 8
    .kernarg_segment_size: 64
    .language:       OpenCL C
    .language_version:
      - 2
      - 0
    .max_flat_workgroup_size: 1024
    .name:           _ZN7rocprim17ROCPRIM_400000_NS6detail17trampoline_kernelINS0_14default_configENS1_35adjacent_difference_config_selectorILb0ElEEZNS1_24adjacent_difference_implIS3_Lb0ELb0EPlS7_ZN2at6native12_GLOBAL__N_124unique_dim_cuda_templateIiEESt5tupleIJNS8_6TensorESD_SD_EERKSD_lbbbEUlllE1_EE10hipError_tPvRmT2_T3_mT4_P12ihipStream_tbEUlT_E_NS1_11comp_targetILNS1_3genE8ELNS1_11target_archE1030ELNS1_3gpuE2ELNS1_3repE0EEENS1_30default_config_static_selectorELNS0_4arch9wavefront6targetE1EEEvT1_
    .private_segment_fixed_size: 0
    .sgpr_count:     6
    .sgpr_spill_count: 0
    .symbol:         _ZN7rocprim17ROCPRIM_400000_NS6detail17trampoline_kernelINS0_14default_configENS1_35adjacent_difference_config_selectorILb0ElEEZNS1_24adjacent_difference_implIS3_Lb0ELb0EPlS7_ZN2at6native12_GLOBAL__N_124unique_dim_cuda_templateIiEESt5tupleIJNS8_6TensorESD_SD_EERKSD_lbbbEUlllE1_EE10hipError_tPvRmT2_T3_mT4_P12ihipStream_tbEUlT_E_NS1_11comp_targetILNS1_3genE8ELNS1_11target_archE1030ELNS1_3gpuE2ELNS1_3repE0EEENS1_30default_config_static_selectorELNS0_4arch9wavefront6targetE1EEEvT1_.kd
    .uniform_work_group_size: 1
    .uses_dynamic_stack: false
    .vgpr_count:     0
    .vgpr_spill_count: 0
    .wavefront_size: 64
  - .agpr_count:     0
    .args:
      - .offset:         0
        .size:           56
        .value_kind:     by_value
      - .offset:         56
        .size:           4
        .value_kind:     hidden_block_count_x
      - .offset:         60
        .size:           4
        .value_kind:     hidden_block_count_y
      - .offset:         64
        .size:           4
        .value_kind:     hidden_block_count_z
      - .offset:         68
        .size:           2
        .value_kind:     hidden_group_size_x
      - .offset:         70
        .size:           2
        .value_kind:     hidden_group_size_y
      - .offset:         72
        .size:           2
        .value_kind:     hidden_group_size_z
      - .offset:         74
        .size:           2
        .value_kind:     hidden_remainder_x
      - .offset:         76
        .size:           2
        .value_kind:     hidden_remainder_y
      - .offset:         78
        .size:           2
        .value_kind:     hidden_remainder_z
      - .offset:         96
        .size:           8
        .value_kind:     hidden_global_offset_x
      - .offset:         104
        .size:           8
        .value_kind:     hidden_global_offset_y
      - .offset:         112
        .size:           8
        .value_kind:     hidden_global_offset_z
      - .offset:         120
        .size:           2
        .value_kind:     hidden_grid_dims
    .group_segment_fixed_size: 0
    .kernarg_segment_align: 8
    .kernarg_segment_size: 312
    .language:       OpenCL C
    .language_version:
      - 2
      - 0
    .max_flat_workgroup_size: 128
    .name:           _ZN7rocprim17ROCPRIM_400000_NS6detail17trampoline_kernelINS0_14default_configENS1_25transform_config_selectorIlLb0EEEZNS1_14transform_implILb0ES3_S5_NS0_18transform_iteratorINS0_17counting_iteratorImlEEZNS1_24adjacent_difference_implIS3_Lb1ELb0EPlSB_ZN2at6native12_GLOBAL__N_124unique_dim_cuda_templateIiEESt5tupleIJNSC_6TensorESH_SH_EERKSH_lbbbEUlllE1_EE10hipError_tPvRmT2_T3_mT4_P12ihipStream_tbEUlmE_lEESB_NS0_8identityIvEEEESM_SP_SQ_mSR_ST_bEUlT_E_NS1_11comp_targetILNS1_3genE0ELNS1_11target_archE4294967295ELNS1_3gpuE0ELNS1_3repE0EEENS1_30default_config_static_selectorELNS0_4arch9wavefront6targetE1EEEvT1_
    .private_segment_fixed_size: 0
    .sgpr_count:     18
    .sgpr_spill_count: 0
    .symbol:         _ZN7rocprim17ROCPRIM_400000_NS6detail17trampoline_kernelINS0_14default_configENS1_25transform_config_selectorIlLb0EEEZNS1_14transform_implILb0ES3_S5_NS0_18transform_iteratorINS0_17counting_iteratorImlEEZNS1_24adjacent_difference_implIS3_Lb1ELb0EPlSB_ZN2at6native12_GLOBAL__N_124unique_dim_cuda_templateIiEESt5tupleIJNSC_6TensorESH_SH_EERKSH_lbbbEUlllE1_EE10hipError_tPvRmT2_T3_mT4_P12ihipStream_tbEUlmE_lEESB_NS0_8identityIvEEEESM_SP_SQ_mSR_ST_bEUlT_E_NS1_11comp_targetILNS1_3genE0ELNS1_11target_archE4294967295ELNS1_3gpuE0ELNS1_3repE0EEENS1_30default_config_static_selectorELNS0_4arch9wavefront6targetE1EEEvT1_.kd
    .uniform_work_group_size: 1
    .uses_dynamic_stack: false
    .vgpr_count:     8
    .vgpr_spill_count: 0
    .wavefront_size: 64
  - .agpr_count:     0
    .args:
      - .offset:         0
        .size:           56
        .value_kind:     by_value
    .group_segment_fixed_size: 0
    .kernarg_segment_align: 8
    .kernarg_segment_size: 56
    .language:       OpenCL C
    .language_version:
      - 2
      - 0
    .max_flat_workgroup_size: 512
    .name:           _ZN7rocprim17ROCPRIM_400000_NS6detail17trampoline_kernelINS0_14default_configENS1_25transform_config_selectorIlLb0EEEZNS1_14transform_implILb0ES3_S5_NS0_18transform_iteratorINS0_17counting_iteratorImlEEZNS1_24adjacent_difference_implIS3_Lb1ELb0EPlSB_ZN2at6native12_GLOBAL__N_124unique_dim_cuda_templateIiEESt5tupleIJNSC_6TensorESH_SH_EERKSH_lbbbEUlllE1_EE10hipError_tPvRmT2_T3_mT4_P12ihipStream_tbEUlmE_lEESB_NS0_8identityIvEEEESM_SP_SQ_mSR_ST_bEUlT_E_NS1_11comp_targetILNS1_3genE5ELNS1_11target_archE942ELNS1_3gpuE9ELNS1_3repE0EEENS1_30default_config_static_selectorELNS0_4arch9wavefront6targetE1EEEvT1_
    .private_segment_fixed_size: 0
    .sgpr_count:     6
    .sgpr_spill_count: 0
    .symbol:         _ZN7rocprim17ROCPRIM_400000_NS6detail17trampoline_kernelINS0_14default_configENS1_25transform_config_selectorIlLb0EEEZNS1_14transform_implILb0ES3_S5_NS0_18transform_iteratorINS0_17counting_iteratorImlEEZNS1_24adjacent_difference_implIS3_Lb1ELb0EPlSB_ZN2at6native12_GLOBAL__N_124unique_dim_cuda_templateIiEESt5tupleIJNSC_6TensorESH_SH_EERKSH_lbbbEUlllE1_EE10hipError_tPvRmT2_T3_mT4_P12ihipStream_tbEUlmE_lEESB_NS0_8identityIvEEEESM_SP_SQ_mSR_ST_bEUlT_E_NS1_11comp_targetILNS1_3genE5ELNS1_11target_archE942ELNS1_3gpuE9ELNS1_3repE0EEENS1_30default_config_static_selectorELNS0_4arch9wavefront6targetE1EEEvT1_.kd
    .uniform_work_group_size: 1
    .uses_dynamic_stack: false
    .vgpr_count:     0
    .vgpr_spill_count: 0
    .wavefront_size: 64
  - .agpr_count:     0
    .args:
      - .offset:         0
        .size:           56
        .value_kind:     by_value
    .group_segment_fixed_size: 0
    .kernarg_segment_align: 8
    .kernarg_segment_size: 56
    .language:       OpenCL C
    .language_version:
      - 2
      - 0
    .max_flat_workgroup_size: 256
    .name:           _ZN7rocprim17ROCPRIM_400000_NS6detail17trampoline_kernelINS0_14default_configENS1_25transform_config_selectorIlLb0EEEZNS1_14transform_implILb0ES3_S5_NS0_18transform_iteratorINS0_17counting_iteratorImlEEZNS1_24adjacent_difference_implIS3_Lb1ELb0EPlSB_ZN2at6native12_GLOBAL__N_124unique_dim_cuda_templateIiEESt5tupleIJNSC_6TensorESH_SH_EERKSH_lbbbEUlllE1_EE10hipError_tPvRmT2_T3_mT4_P12ihipStream_tbEUlmE_lEESB_NS0_8identityIvEEEESM_SP_SQ_mSR_ST_bEUlT_E_NS1_11comp_targetILNS1_3genE4ELNS1_11target_archE910ELNS1_3gpuE8ELNS1_3repE0EEENS1_30default_config_static_selectorELNS0_4arch9wavefront6targetE1EEEvT1_
    .private_segment_fixed_size: 0
    .sgpr_count:     6
    .sgpr_spill_count: 0
    .symbol:         _ZN7rocprim17ROCPRIM_400000_NS6detail17trampoline_kernelINS0_14default_configENS1_25transform_config_selectorIlLb0EEEZNS1_14transform_implILb0ES3_S5_NS0_18transform_iteratorINS0_17counting_iteratorImlEEZNS1_24adjacent_difference_implIS3_Lb1ELb0EPlSB_ZN2at6native12_GLOBAL__N_124unique_dim_cuda_templateIiEESt5tupleIJNSC_6TensorESH_SH_EERKSH_lbbbEUlllE1_EE10hipError_tPvRmT2_T3_mT4_P12ihipStream_tbEUlmE_lEESB_NS0_8identityIvEEEESM_SP_SQ_mSR_ST_bEUlT_E_NS1_11comp_targetILNS1_3genE4ELNS1_11target_archE910ELNS1_3gpuE8ELNS1_3repE0EEENS1_30default_config_static_selectorELNS0_4arch9wavefront6targetE1EEEvT1_.kd
    .uniform_work_group_size: 1
    .uses_dynamic_stack: false
    .vgpr_count:     0
    .vgpr_spill_count: 0
    .wavefront_size: 64
  - .agpr_count:     0
    .args:
      - .offset:         0
        .size:           56
        .value_kind:     by_value
    .group_segment_fixed_size: 0
    .kernarg_segment_align: 8
    .kernarg_segment_size: 56
    .language:       OpenCL C
    .language_version:
      - 2
      - 0
    .max_flat_workgroup_size: 128
    .name:           _ZN7rocprim17ROCPRIM_400000_NS6detail17trampoline_kernelINS0_14default_configENS1_25transform_config_selectorIlLb0EEEZNS1_14transform_implILb0ES3_S5_NS0_18transform_iteratorINS0_17counting_iteratorImlEEZNS1_24adjacent_difference_implIS3_Lb1ELb0EPlSB_ZN2at6native12_GLOBAL__N_124unique_dim_cuda_templateIiEESt5tupleIJNSC_6TensorESH_SH_EERKSH_lbbbEUlllE1_EE10hipError_tPvRmT2_T3_mT4_P12ihipStream_tbEUlmE_lEESB_NS0_8identityIvEEEESM_SP_SQ_mSR_ST_bEUlT_E_NS1_11comp_targetILNS1_3genE3ELNS1_11target_archE908ELNS1_3gpuE7ELNS1_3repE0EEENS1_30default_config_static_selectorELNS0_4arch9wavefront6targetE1EEEvT1_
    .private_segment_fixed_size: 0
    .sgpr_count:     6
    .sgpr_spill_count: 0
    .symbol:         _ZN7rocprim17ROCPRIM_400000_NS6detail17trampoline_kernelINS0_14default_configENS1_25transform_config_selectorIlLb0EEEZNS1_14transform_implILb0ES3_S5_NS0_18transform_iteratorINS0_17counting_iteratorImlEEZNS1_24adjacent_difference_implIS3_Lb1ELb0EPlSB_ZN2at6native12_GLOBAL__N_124unique_dim_cuda_templateIiEESt5tupleIJNSC_6TensorESH_SH_EERKSH_lbbbEUlllE1_EE10hipError_tPvRmT2_T3_mT4_P12ihipStream_tbEUlmE_lEESB_NS0_8identityIvEEEESM_SP_SQ_mSR_ST_bEUlT_E_NS1_11comp_targetILNS1_3genE3ELNS1_11target_archE908ELNS1_3gpuE7ELNS1_3repE0EEENS1_30default_config_static_selectorELNS0_4arch9wavefront6targetE1EEEvT1_.kd
    .uniform_work_group_size: 1
    .uses_dynamic_stack: false
    .vgpr_count:     0
    .vgpr_spill_count: 0
    .wavefront_size: 64
  - .agpr_count:     0
    .args:
      - .offset:         0
        .size:           56
        .value_kind:     by_value
    .group_segment_fixed_size: 0
    .kernarg_segment_align: 8
    .kernarg_segment_size: 56
    .language:       OpenCL C
    .language_version:
      - 2
      - 0
    .max_flat_workgroup_size: 512
    .name:           _ZN7rocprim17ROCPRIM_400000_NS6detail17trampoline_kernelINS0_14default_configENS1_25transform_config_selectorIlLb0EEEZNS1_14transform_implILb0ES3_S5_NS0_18transform_iteratorINS0_17counting_iteratorImlEEZNS1_24adjacent_difference_implIS3_Lb1ELb0EPlSB_ZN2at6native12_GLOBAL__N_124unique_dim_cuda_templateIiEESt5tupleIJNSC_6TensorESH_SH_EERKSH_lbbbEUlllE1_EE10hipError_tPvRmT2_T3_mT4_P12ihipStream_tbEUlmE_lEESB_NS0_8identityIvEEEESM_SP_SQ_mSR_ST_bEUlT_E_NS1_11comp_targetILNS1_3genE2ELNS1_11target_archE906ELNS1_3gpuE6ELNS1_3repE0EEENS1_30default_config_static_selectorELNS0_4arch9wavefront6targetE1EEEvT1_
    .private_segment_fixed_size: 0
    .sgpr_count:     6
    .sgpr_spill_count: 0
    .symbol:         _ZN7rocprim17ROCPRIM_400000_NS6detail17trampoline_kernelINS0_14default_configENS1_25transform_config_selectorIlLb0EEEZNS1_14transform_implILb0ES3_S5_NS0_18transform_iteratorINS0_17counting_iteratorImlEEZNS1_24adjacent_difference_implIS3_Lb1ELb0EPlSB_ZN2at6native12_GLOBAL__N_124unique_dim_cuda_templateIiEESt5tupleIJNSC_6TensorESH_SH_EERKSH_lbbbEUlllE1_EE10hipError_tPvRmT2_T3_mT4_P12ihipStream_tbEUlmE_lEESB_NS0_8identityIvEEEESM_SP_SQ_mSR_ST_bEUlT_E_NS1_11comp_targetILNS1_3genE2ELNS1_11target_archE906ELNS1_3gpuE6ELNS1_3repE0EEENS1_30default_config_static_selectorELNS0_4arch9wavefront6targetE1EEEvT1_.kd
    .uniform_work_group_size: 1
    .uses_dynamic_stack: false
    .vgpr_count:     0
    .vgpr_spill_count: 0
    .wavefront_size: 64
  - .agpr_count:     0
    .args:
      - .offset:         0
        .size:           56
        .value_kind:     by_value
    .group_segment_fixed_size: 0
    .kernarg_segment_align: 8
    .kernarg_segment_size: 56
    .language:       OpenCL C
    .language_version:
      - 2
      - 0
    .max_flat_workgroup_size: 1024
    .name:           _ZN7rocprim17ROCPRIM_400000_NS6detail17trampoline_kernelINS0_14default_configENS1_25transform_config_selectorIlLb0EEEZNS1_14transform_implILb0ES3_S5_NS0_18transform_iteratorINS0_17counting_iteratorImlEEZNS1_24adjacent_difference_implIS3_Lb1ELb0EPlSB_ZN2at6native12_GLOBAL__N_124unique_dim_cuda_templateIiEESt5tupleIJNSC_6TensorESH_SH_EERKSH_lbbbEUlllE1_EE10hipError_tPvRmT2_T3_mT4_P12ihipStream_tbEUlmE_lEESB_NS0_8identityIvEEEESM_SP_SQ_mSR_ST_bEUlT_E_NS1_11comp_targetILNS1_3genE10ELNS1_11target_archE1201ELNS1_3gpuE5ELNS1_3repE0EEENS1_30default_config_static_selectorELNS0_4arch9wavefront6targetE1EEEvT1_
    .private_segment_fixed_size: 0
    .sgpr_count:     6
    .sgpr_spill_count: 0
    .symbol:         _ZN7rocprim17ROCPRIM_400000_NS6detail17trampoline_kernelINS0_14default_configENS1_25transform_config_selectorIlLb0EEEZNS1_14transform_implILb0ES3_S5_NS0_18transform_iteratorINS0_17counting_iteratorImlEEZNS1_24adjacent_difference_implIS3_Lb1ELb0EPlSB_ZN2at6native12_GLOBAL__N_124unique_dim_cuda_templateIiEESt5tupleIJNSC_6TensorESH_SH_EERKSH_lbbbEUlllE1_EE10hipError_tPvRmT2_T3_mT4_P12ihipStream_tbEUlmE_lEESB_NS0_8identityIvEEEESM_SP_SQ_mSR_ST_bEUlT_E_NS1_11comp_targetILNS1_3genE10ELNS1_11target_archE1201ELNS1_3gpuE5ELNS1_3repE0EEENS1_30default_config_static_selectorELNS0_4arch9wavefront6targetE1EEEvT1_.kd
    .uniform_work_group_size: 1
    .uses_dynamic_stack: false
    .vgpr_count:     0
    .vgpr_spill_count: 0
    .wavefront_size: 64
  - .agpr_count:     0
    .args:
      - .offset:         0
        .size:           56
        .value_kind:     by_value
    .group_segment_fixed_size: 0
    .kernarg_segment_align: 8
    .kernarg_segment_size: 56
    .language:       OpenCL C
    .language_version:
      - 2
      - 0
    .max_flat_workgroup_size: 512
    .name:           _ZN7rocprim17ROCPRIM_400000_NS6detail17trampoline_kernelINS0_14default_configENS1_25transform_config_selectorIlLb0EEEZNS1_14transform_implILb0ES3_S5_NS0_18transform_iteratorINS0_17counting_iteratorImlEEZNS1_24adjacent_difference_implIS3_Lb1ELb0EPlSB_ZN2at6native12_GLOBAL__N_124unique_dim_cuda_templateIiEESt5tupleIJNSC_6TensorESH_SH_EERKSH_lbbbEUlllE1_EE10hipError_tPvRmT2_T3_mT4_P12ihipStream_tbEUlmE_lEESB_NS0_8identityIvEEEESM_SP_SQ_mSR_ST_bEUlT_E_NS1_11comp_targetILNS1_3genE10ELNS1_11target_archE1200ELNS1_3gpuE4ELNS1_3repE0EEENS1_30default_config_static_selectorELNS0_4arch9wavefront6targetE1EEEvT1_
    .private_segment_fixed_size: 0
    .sgpr_count:     6
    .sgpr_spill_count: 0
    .symbol:         _ZN7rocprim17ROCPRIM_400000_NS6detail17trampoline_kernelINS0_14default_configENS1_25transform_config_selectorIlLb0EEEZNS1_14transform_implILb0ES3_S5_NS0_18transform_iteratorINS0_17counting_iteratorImlEEZNS1_24adjacent_difference_implIS3_Lb1ELb0EPlSB_ZN2at6native12_GLOBAL__N_124unique_dim_cuda_templateIiEESt5tupleIJNSC_6TensorESH_SH_EERKSH_lbbbEUlllE1_EE10hipError_tPvRmT2_T3_mT4_P12ihipStream_tbEUlmE_lEESB_NS0_8identityIvEEEESM_SP_SQ_mSR_ST_bEUlT_E_NS1_11comp_targetILNS1_3genE10ELNS1_11target_archE1200ELNS1_3gpuE4ELNS1_3repE0EEENS1_30default_config_static_selectorELNS0_4arch9wavefront6targetE1EEEvT1_.kd
    .uniform_work_group_size: 1
    .uses_dynamic_stack: false
    .vgpr_count:     0
    .vgpr_spill_count: 0
    .wavefront_size: 64
  - .agpr_count:     0
    .args:
      - .offset:         0
        .size:           56
        .value_kind:     by_value
    .group_segment_fixed_size: 0
    .kernarg_segment_align: 8
    .kernarg_segment_size: 56
    .language:       OpenCL C
    .language_version:
      - 2
      - 0
    .max_flat_workgroup_size: 512
    .name:           _ZN7rocprim17ROCPRIM_400000_NS6detail17trampoline_kernelINS0_14default_configENS1_25transform_config_selectorIlLb0EEEZNS1_14transform_implILb0ES3_S5_NS0_18transform_iteratorINS0_17counting_iteratorImlEEZNS1_24adjacent_difference_implIS3_Lb1ELb0EPlSB_ZN2at6native12_GLOBAL__N_124unique_dim_cuda_templateIiEESt5tupleIJNSC_6TensorESH_SH_EERKSH_lbbbEUlllE1_EE10hipError_tPvRmT2_T3_mT4_P12ihipStream_tbEUlmE_lEESB_NS0_8identityIvEEEESM_SP_SQ_mSR_ST_bEUlT_E_NS1_11comp_targetILNS1_3genE9ELNS1_11target_archE1100ELNS1_3gpuE3ELNS1_3repE0EEENS1_30default_config_static_selectorELNS0_4arch9wavefront6targetE1EEEvT1_
    .private_segment_fixed_size: 0
    .sgpr_count:     6
    .sgpr_spill_count: 0
    .symbol:         _ZN7rocprim17ROCPRIM_400000_NS6detail17trampoline_kernelINS0_14default_configENS1_25transform_config_selectorIlLb0EEEZNS1_14transform_implILb0ES3_S5_NS0_18transform_iteratorINS0_17counting_iteratorImlEEZNS1_24adjacent_difference_implIS3_Lb1ELb0EPlSB_ZN2at6native12_GLOBAL__N_124unique_dim_cuda_templateIiEESt5tupleIJNSC_6TensorESH_SH_EERKSH_lbbbEUlllE1_EE10hipError_tPvRmT2_T3_mT4_P12ihipStream_tbEUlmE_lEESB_NS0_8identityIvEEEESM_SP_SQ_mSR_ST_bEUlT_E_NS1_11comp_targetILNS1_3genE9ELNS1_11target_archE1100ELNS1_3gpuE3ELNS1_3repE0EEENS1_30default_config_static_selectorELNS0_4arch9wavefront6targetE1EEEvT1_.kd
    .uniform_work_group_size: 1
    .uses_dynamic_stack: false
    .vgpr_count:     0
    .vgpr_spill_count: 0
    .wavefront_size: 64
  - .agpr_count:     0
    .args:
      - .offset:         0
        .size:           56
        .value_kind:     by_value
    .group_segment_fixed_size: 0
    .kernarg_segment_align: 8
    .kernarg_segment_size: 56
    .language:       OpenCL C
    .language_version:
      - 2
      - 0
    .max_flat_workgroup_size: 512
    .name:           _ZN7rocprim17ROCPRIM_400000_NS6detail17trampoline_kernelINS0_14default_configENS1_25transform_config_selectorIlLb0EEEZNS1_14transform_implILb0ES3_S5_NS0_18transform_iteratorINS0_17counting_iteratorImlEEZNS1_24adjacent_difference_implIS3_Lb1ELb0EPlSB_ZN2at6native12_GLOBAL__N_124unique_dim_cuda_templateIiEESt5tupleIJNSC_6TensorESH_SH_EERKSH_lbbbEUlllE1_EE10hipError_tPvRmT2_T3_mT4_P12ihipStream_tbEUlmE_lEESB_NS0_8identityIvEEEESM_SP_SQ_mSR_ST_bEUlT_E_NS1_11comp_targetILNS1_3genE8ELNS1_11target_archE1030ELNS1_3gpuE2ELNS1_3repE0EEENS1_30default_config_static_selectorELNS0_4arch9wavefront6targetE1EEEvT1_
    .private_segment_fixed_size: 0
    .sgpr_count:     6
    .sgpr_spill_count: 0
    .symbol:         _ZN7rocprim17ROCPRIM_400000_NS6detail17trampoline_kernelINS0_14default_configENS1_25transform_config_selectorIlLb0EEEZNS1_14transform_implILb0ES3_S5_NS0_18transform_iteratorINS0_17counting_iteratorImlEEZNS1_24adjacent_difference_implIS3_Lb1ELb0EPlSB_ZN2at6native12_GLOBAL__N_124unique_dim_cuda_templateIiEESt5tupleIJNSC_6TensorESH_SH_EERKSH_lbbbEUlllE1_EE10hipError_tPvRmT2_T3_mT4_P12ihipStream_tbEUlmE_lEESB_NS0_8identityIvEEEESM_SP_SQ_mSR_ST_bEUlT_E_NS1_11comp_targetILNS1_3genE8ELNS1_11target_archE1030ELNS1_3gpuE2ELNS1_3repE0EEENS1_30default_config_static_selectorELNS0_4arch9wavefront6targetE1EEEvT1_.kd
    .uniform_work_group_size: 1
    .uses_dynamic_stack: false
    .vgpr_count:     0
    .vgpr_spill_count: 0
    .wavefront_size: 64
  - .agpr_count:     0
    .args:
      - .offset:         0
        .size:           64
        .value_kind:     by_value
    .group_segment_fixed_size: 8448
    .kernarg_segment_align: 8
    .kernarg_segment_size: 64
    .language:       OpenCL C
    .language_version:
      - 2
      - 0
    .max_flat_workgroup_size: 512
    .name:           _ZN7rocprim17ROCPRIM_400000_NS6detail17trampoline_kernelINS0_14default_configENS1_35adjacent_difference_config_selectorILb1ElEEZNS1_24adjacent_difference_implIS3_Lb1ELb0EPlS7_ZN2at6native12_GLOBAL__N_124unique_dim_cuda_templateIiEESt5tupleIJNS8_6TensorESD_SD_EERKSD_lbbbEUlllE1_EE10hipError_tPvRmT2_T3_mT4_P12ihipStream_tbEUlT_E_NS1_11comp_targetILNS1_3genE0ELNS1_11target_archE4294967295ELNS1_3gpuE0ELNS1_3repE0EEENS1_30default_config_static_selectorELNS0_4arch9wavefront6targetE1EEEvT1_
    .private_segment_fixed_size: 0
    .sgpr_count:     42
    .sgpr_spill_count: 0
    .symbol:         _ZN7rocprim17ROCPRIM_400000_NS6detail17trampoline_kernelINS0_14default_configENS1_35adjacent_difference_config_selectorILb1ElEEZNS1_24adjacent_difference_implIS3_Lb1ELb0EPlS7_ZN2at6native12_GLOBAL__N_124unique_dim_cuda_templateIiEESt5tupleIJNS8_6TensorESD_SD_EERKSD_lbbbEUlllE1_EE10hipError_tPvRmT2_T3_mT4_P12ihipStream_tbEUlT_E_NS1_11comp_targetILNS1_3genE0ELNS1_11target_archE4294967295ELNS1_3gpuE0ELNS1_3repE0EEENS1_30default_config_static_selectorELNS0_4arch9wavefront6targetE1EEEvT1_.kd
    .uniform_work_group_size: 1
    .uses_dynamic_stack: false
    .vgpr_count:     16
    .vgpr_spill_count: 0
    .wavefront_size: 64
  - .agpr_count:     0
    .args:
      - .offset:         0
        .size:           64
        .value_kind:     by_value
    .group_segment_fixed_size: 0
    .kernarg_segment_align: 8
    .kernarg_segment_size: 64
    .language:       OpenCL C
    .language_version:
      - 2
      - 0
    .max_flat_workgroup_size: 32
    .name:           _ZN7rocprim17ROCPRIM_400000_NS6detail17trampoline_kernelINS0_14default_configENS1_35adjacent_difference_config_selectorILb1ElEEZNS1_24adjacent_difference_implIS3_Lb1ELb0EPlS7_ZN2at6native12_GLOBAL__N_124unique_dim_cuda_templateIiEESt5tupleIJNS8_6TensorESD_SD_EERKSD_lbbbEUlllE1_EE10hipError_tPvRmT2_T3_mT4_P12ihipStream_tbEUlT_E_NS1_11comp_targetILNS1_3genE10ELNS1_11target_archE1201ELNS1_3gpuE5ELNS1_3repE0EEENS1_30default_config_static_selectorELNS0_4arch9wavefront6targetE1EEEvT1_
    .private_segment_fixed_size: 0
    .sgpr_count:     6
    .sgpr_spill_count: 0
    .symbol:         _ZN7rocprim17ROCPRIM_400000_NS6detail17trampoline_kernelINS0_14default_configENS1_35adjacent_difference_config_selectorILb1ElEEZNS1_24adjacent_difference_implIS3_Lb1ELb0EPlS7_ZN2at6native12_GLOBAL__N_124unique_dim_cuda_templateIiEESt5tupleIJNS8_6TensorESD_SD_EERKSD_lbbbEUlllE1_EE10hipError_tPvRmT2_T3_mT4_P12ihipStream_tbEUlT_E_NS1_11comp_targetILNS1_3genE10ELNS1_11target_archE1201ELNS1_3gpuE5ELNS1_3repE0EEENS1_30default_config_static_selectorELNS0_4arch9wavefront6targetE1EEEvT1_.kd
    .uniform_work_group_size: 1
    .uses_dynamic_stack: false
    .vgpr_count:     0
    .vgpr_spill_count: 0
    .wavefront_size: 64
  - .agpr_count:     0
    .args:
      - .offset:         0
        .size:           64
        .value_kind:     by_value
    .group_segment_fixed_size: 0
    .kernarg_segment_align: 8
    .kernarg_segment_size: 64
    .language:       OpenCL C
    .language_version:
      - 2
      - 0
    .max_flat_workgroup_size: 256
    .name:           _ZN7rocprim17ROCPRIM_400000_NS6detail17trampoline_kernelINS0_14default_configENS1_35adjacent_difference_config_selectorILb1ElEEZNS1_24adjacent_difference_implIS3_Lb1ELb0EPlS7_ZN2at6native12_GLOBAL__N_124unique_dim_cuda_templateIiEESt5tupleIJNS8_6TensorESD_SD_EERKSD_lbbbEUlllE1_EE10hipError_tPvRmT2_T3_mT4_P12ihipStream_tbEUlT_E_NS1_11comp_targetILNS1_3genE5ELNS1_11target_archE942ELNS1_3gpuE9ELNS1_3repE0EEENS1_30default_config_static_selectorELNS0_4arch9wavefront6targetE1EEEvT1_
    .private_segment_fixed_size: 0
    .sgpr_count:     6
    .sgpr_spill_count: 0
    .symbol:         _ZN7rocprim17ROCPRIM_400000_NS6detail17trampoline_kernelINS0_14default_configENS1_35adjacent_difference_config_selectorILb1ElEEZNS1_24adjacent_difference_implIS3_Lb1ELb0EPlS7_ZN2at6native12_GLOBAL__N_124unique_dim_cuda_templateIiEESt5tupleIJNS8_6TensorESD_SD_EERKSD_lbbbEUlllE1_EE10hipError_tPvRmT2_T3_mT4_P12ihipStream_tbEUlT_E_NS1_11comp_targetILNS1_3genE5ELNS1_11target_archE942ELNS1_3gpuE9ELNS1_3repE0EEENS1_30default_config_static_selectorELNS0_4arch9wavefront6targetE1EEEvT1_.kd
    .uniform_work_group_size: 1
    .uses_dynamic_stack: false
    .vgpr_count:     0
    .vgpr_spill_count: 0
    .wavefront_size: 64
  - .agpr_count:     0
    .args:
      - .offset:         0
        .size:           64
        .value_kind:     by_value
    .group_segment_fixed_size: 0
    .kernarg_segment_align: 8
    .kernarg_segment_size: 64
    .language:       OpenCL C
    .language_version:
      - 2
      - 0
    .max_flat_workgroup_size: 512
    .name:           _ZN7rocprim17ROCPRIM_400000_NS6detail17trampoline_kernelINS0_14default_configENS1_35adjacent_difference_config_selectorILb1ElEEZNS1_24adjacent_difference_implIS3_Lb1ELb0EPlS7_ZN2at6native12_GLOBAL__N_124unique_dim_cuda_templateIiEESt5tupleIJNS8_6TensorESD_SD_EERKSD_lbbbEUlllE1_EE10hipError_tPvRmT2_T3_mT4_P12ihipStream_tbEUlT_E_NS1_11comp_targetILNS1_3genE4ELNS1_11target_archE910ELNS1_3gpuE8ELNS1_3repE0EEENS1_30default_config_static_selectorELNS0_4arch9wavefront6targetE1EEEvT1_
    .private_segment_fixed_size: 0
    .sgpr_count:     6
    .sgpr_spill_count: 0
    .symbol:         _ZN7rocprim17ROCPRIM_400000_NS6detail17trampoline_kernelINS0_14default_configENS1_35adjacent_difference_config_selectorILb1ElEEZNS1_24adjacent_difference_implIS3_Lb1ELb0EPlS7_ZN2at6native12_GLOBAL__N_124unique_dim_cuda_templateIiEESt5tupleIJNS8_6TensorESD_SD_EERKSD_lbbbEUlllE1_EE10hipError_tPvRmT2_T3_mT4_P12ihipStream_tbEUlT_E_NS1_11comp_targetILNS1_3genE4ELNS1_11target_archE910ELNS1_3gpuE8ELNS1_3repE0EEENS1_30default_config_static_selectorELNS0_4arch9wavefront6targetE1EEEvT1_.kd
    .uniform_work_group_size: 1
    .uses_dynamic_stack: false
    .vgpr_count:     0
    .vgpr_spill_count: 0
    .wavefront_size: 64
  - .agpr_count:     0
    .args:
      - .offset:         0
        .size:           64
        .value_kind:     by_value
    .group_segment_fixed_size: 0
    .kernarg_segment_align: 8
    .kernarg_segment_size: 64
    .language:       OpenCL C
    .language_version:
      - 2
      - 0
    .max_flat_workgroup_size: 512
    .name:           _ZN7rocprim17ROCPRIM_400000_NS6detail17trampoline_kernelINS0_14default_configENS1_35adjacent_difference_config_selectorILb1ElEEZNS1_24adjacent_difference_implIS3_Lb1ELb0EPlS7_ZN2at6native12_GLOBAL__N_124unique_dim_cuda_templateIiEESt5tupleIJNS8_6TensorESD_SD_EERKSD_lbbbEUlllE1_EE10hipError_tPvRmT2_T3_mT4_P12ihipStream_tbEUlT_E_NS1_11comp_targetILNS1_3genE3ELNS1_11target_archE908ELNS1_3gpuE7ELNS1_3repE0EEENS1_30default_config_static_selectorELNS0_4arch9wavefront6targetE1EEEvT1_
    .private_segment_fixed_size: 0
    .sgpr_count:     6
    .sgpr_spill_count: 0
    .symbol:         _ZN7rocprim17ROCPRIM_400000_NS6detail17trampoline_kernelINS0_14default_configENS1_35adjacent_difference_config_selectorILb1ElEEZNS1_24adjacent_difference_implIS3_Lb1ELb0EPlS7_ZN2at6native12_GLOBAL__N_124unique_dim_cuda_templateIiEESt5tupleIJNS8_6TensorESD_SD_EERKSD_lbbbEUlllE1_EE10hipError_tPvRmT2_T3_mT4_P12ihipStream_tbEUlT_E_NS1_11comp_targetILNS1_3genE3ELNS1_11target_archE908ELNS1_3gpuE7ELNS1_3repE0EEENS1_30default_config_static_selectorELNS0_4arch9wavefront6targetE1EEEvT1_.kd
    .uniform_work_group_size: 1
    .uses_dynamic_stack: false
    .vgpr_count:     0
    .vgpr_spill_count: 0
    .wavefront_size: 64
  - .agpr_count:     0
    .args:
      - .offset:         0
        .size:           64
        .value_kind:     by_value
    .group_segment_fixed_size: 0
    .kernarg_segment_align: 8
    .kernarg_segment_size: 64
    .language:       OpenCL C
    .language_version:
      - 2
      - 0
    .max_flat_workgroup_size: 128
    .name:           _ZN7rocprim17ROCPRIM_400000_NS6detail17trampoline_kernelINS0_14default_configENS1_35adjacent_difference_config_selectorILb1ElEEZNS1_24adjacent_difference_implIS3_Lb1ELb0EPlS7_ZN2at6native12_GLOBAL__N_124unique_dim_cuda_templateIiEESt5tupleIJNS8_6TensorESD_SD_EERKSD_lbbbEUlllE1_EE10hipError_tPvRmT2_T3_mT4_P12ihipStream_tbEUlT_E_NS1_11comp_targetILNS1_3genE2ELNS1_11target_archE906ELNS1_3gpuE6ELNS1_3repE0EEENS1_30default_config_static_selectorELNS0_4arch9wavefront6targetE1EEEvT1_
    .private_segment_fixed_size: 0
    .sgpr_count:     6
    .sgpr_spill_count: 0
    .symbol:         _ZN7rocprim17ROCPRIM_400000_NS6detail17trampoline_kernelINS0_14default_configENS1_35adjacent_difference_config_selectorILb1ElEEZNS1_24adjacent_difference_implIS3_Lb1ELb0EPlS7_ZN2at6native12_GLOBAL__N_124unique_dim_cuda_templateIiEESt5tupleIJNS8_6TensorESD_SD_EERKSD_lbbbEUlllE1_EE10hipError_tPvRmT2_T3_mT4_P12ihipStream_tbEUlT_E_NS1_11comp_targetILNS1_3genE2ELNS1_11target_archE906ELNS1_3gpuE6ELNS1_3repE0EEENS1_30default_config_static_selectorELNS0_4arch9wavefront6targetE1EEEvT1_.kd
    .uniform_work_group_size: 1
    .uses_dynamic_stack: false
    .vgpr_count:     0
    .vgpr_spill_count: 0
    .wavefront_size: 64
  - .agpr_count:     0
    .args:
      - .offset:         0
        .size:           64
        .value_kind:     by_value
    .group_segment_fixed_size: 0
    .kernarg_segment_align: 8
    .kernarg_segment_size: 64
    .language:       OpenCL C
    .language_version:
      - 2
      - 0
    .max_flat_workgroup_size: 128
    .name:           _ZN7rocprim17ROCPRIM_400000_NS6detail17trampoline_kernelINS0_14default_configENS1_35adjacent_difference_config_selectorILb1ElEEZNS1_24adjacent_difference_implIS3_Lb1ELb0EPlS7_ZN2at6native12_GLOBAL__N_124unique_dim_cuda_templateIiEESt5tupleIJNS8_6TensorESD_SD_EERKSD_lbbbEUlllE1_EE10hipError_tPvRmT2_T3_mT4_P12ihipStream_tbEUlT_E_NS1_11comp_targetILNS1_3genE9ELNS1_11target_archE1100ELNS1_3gpuE3ELNS1_3repE0EEENS1_30default_config_static_selectorELNS0_4arch9wavefront6targetE1EEEvT1_
    .private_segment_fixed_size: 0
    .sgpr_count:     6
    .sgpr_spill_count: 0
    .symbol:         _ZN7rocprim17ROCPRIM_400000_NS6detail17trampoline_kernelINS0_14default_configENS1_35adjacent_difference_config_selectorILb1ElEEZNS1_24adjacent_difference_implIS3_Lb1ELb0EPlS7_ZN2at6native12_GLOBAL__N_124unique_dim_cuda_templateIiEESt5tupleIJNS8_6TensorESD_SD_EERKSD_lbbbEUlllE1_EE10hipError_tPvRmT2_T3_mT4_P12ihipStream_tbEUlT_E_NS1_11comp_targetILNS1_3genE9ELNS1_11target_archE1100ELNS1_3gpuE3ELNS1_3repE0EEENS1_30default_config_static_selectorELNS0_4arch9wavefront6targetE1EEEvT1_.kd
    .uniform_work_group_size: 1
    .uses_dynamic_stack: false
    .vgpr_count:     0
    .vgpr_spill_count: 0
    .wavefront_size: 64
  - .agpr_count:     0
    .args:
      - .offset:         0
        .size:           64
        .value_kind:     by_value
    .group_segment_fixed_size: 0
    .kernarg_segment_align: 8
    .kernarg_segment_size: 64
    .language:       OpenCL C
    .language_version:
      - 2
      - 0
    .max_flat_workgroup_size: 32
    .name:           _ZN7rocprim17ROCPRIM_400000_NS6detail17trampoline_kernelINS0_14default_configENS1_35adjacent_difference_config_selectorILb1ElEEZNS1_24adjacent_difference_implIS3_Lb1ELb0EPlS7_ZN2at6native12_GLOBAL__N_124unique_dim_cuda_templateIiEESt5tupleIJNS8_6TensorESD_SD_EERKSD_lbbbEUlllE1_EE10hipError_tPvRmT2_T3_mT4_P12ihipStream_tbEUlT_E_NS1_11comp_targetILNS1_3genE8ELNS1_11target_archE1030ELNS1_3gpuE2ELNS1_3repE0EEENS1_30default_config_static_selectorELNS0_4arch9wavefront6targetE1EEEvT1_
    .private_segment_fixed_size: 0
    .sgpr_count:     6
    .sgpr_spill_count: 0
    .symbol:         _ZN7rocprim17ROCPRIM_400000_NS6detail17trampoline_kernelINS0_14default_configENS1_35adjacent_difference_config_selectorILb1ElEEZNS1_24adjacent_difference_implIS3_Lb1ELb0EPlS7_ZN2at6native12_GLOBAL__N_124unique_dim_cuda_templateIiEESt5tupleIJNS8_6TensorESD_SD_EERKSD_lbbbEUlllE1_EE10hipError_tPvRmT2_T3_mT4_P12ihipStream_tbEUlT_E_NS1_11comp_targetILNS1_3genE8ELNS1_11target_archE1030ELNS1_3gpuE2ELNS1_3repE0EEENS1_30default_config_static_selectorELNS0_4arch9wavefront6targetE1EEEvT1_.kd
    .uniform_work_group_size: 1
    .uses_dynamic_stack: false
    .vgpr_count:     0
    .vgpr_spill_count: 0
    .wavefront_size: 64
  - .agpr_count:     0
    .args:
      - .offset:         0
        .size:           120
        .value_kind:     by_value
    .group_segment_fixed_size: 28680
    .kernarg_segment_align: 8
    .kernarg_segment_size: 120
    .language:       OpenCL C
    .language_version:
      - 2
      - 0
    .max_flat_workgroup_size: 512
    .name:           _ZN7rocprim17ROCPRIM_400000_NS6detail17trampoline_kernelINS0_14default_configENS1_25partition_config_selectorILNS1_17partition_subalgoE8ElNS0_10empty_typeEbEEZZNS1_14partition_implILS5_8ELb0ES3_jPlPS6_PKS6_NS0_5tupleIJS9_S6_EEENSD_IJSA_SA_EEENS0_18inequality_wrapperIZN2at6native12_GLOBAL__N_124unique_dim_cuda_templateIiEESt5tupleIJNSH_6TensorESM_SM_EERKSM_lbbbEUlllE0_EEPmJS6_EEE10hipError_tPvRmT3_T4_T5_T6_T7_T9_mT8_P12ihipStream_tbDpT10_ENKUlT_T0_E_clISt17integral_constantIbLb0EES1C_EEDaS17_S18_EUlS17_E_NS1_11comp_targetILNS1_3genE0ELNS1_11target_archE4294967295ELNS1_3gpuE0ELNS1_3repE0EEENS1_30default_config_static_selectorELNS0_4arch9wavefront6targetE1EEEvT1_
    .private_segment_fixed_size: 0
    .sgpr_count:     56
    .sgpr_spill_count: 0
    .symbol:         _ZN7rocprim17ROCPRIM_400000_NS6detail17trampoline_kernelINS0_14default_configENS1_25partition_config_selectorILNS1_17partition_subalgoE8ElNS0_10empty_typeEbEEZZNS1_14partition_implILS5_8ELb0ES3_jPlPS6_PKS6_NS0_5tupleIJS9_S6_EEENSD_IJSA_SA_EEENS0_18inequality_wrapperIZN2at6native12_GLOBAL__N_124unique_dim_cuda_templateIiEESt5tupleIJNSH_6TensorESM_SM_EERKSM_lbbbEUlllE0_EEPmJS6_EEE10hipError_tPvRmT3_T4_T5_T6_T7_T9_mT8_P12ihipStream_tbDpT10_ENKUlT_T0_E_clISt17integral_constantIbLb0EES1C_EEDaS17_S18_EUlS17_E_NS1_11comp_targetILNS1_3genE0ELNS1_11target_archE4294967295ELNS1_3gpuE0ELNS1_3repE0EEENS1_30default_config_static_selectorELNS0_4arch9wavefront6targetE1EEEvT1_.kd
    .uniform_work_group_size: 1
    .uses_dynamic_stack: false
    .vgpr_count:     58
    .vgpr_spill_count: 0
    .wavefront_size: 64
  - .agpr_count:     0
    .args:
      - .offset:         0
        .size:           120
        .value_kind:     by_value
    .group_segment_fixed_size: 0
    .kernarg_segment_align: 8
    .kernarg_segment_size: 120
    .language:       OpenCL C
    .language_version:
      - 2
      - 0
    .max_flat_workgroup_size: 512
    .name:           _ZN7rocprim17ROCPRIM_400000_NS6detail17trampoline_kernelINS0_14default_configENS1_25partition_config_selectorILNS1_17partition_subalgoE8ElNS0_10empty_typeEbEEZZNS1_14partition_implILS5_8ELb0ES3_jPlPS6_PKS6_NS0_5tupleIJS9_S6_EEENSD_IJSA_SA_EEENS0_18inequality_wrapperIZN2at6native12_GLOBAL__N_124unique_dim_cuda_templateIiEESt5tupleIJNSH_6TensorESM_SM_EERKSM_lbbbEUlllE0_EEPmJS6_EEE10hipError_tPvRmT3_T4_T5_T6_T7_T9_mT8_P12ihipStream_tbDpT10_ENKUlT_T0_E_clISt17integral_constantIbLb0EES1C_EEDaS17_S18_EUlS17_E_NS1_11comp_targetILNS1_3genE5ELNS1_11target_archE942ELNS1_3gpuE9ELNS1_3repE0EEENS1_30default_config_static_selectorELNS0_4arch9wavefront6targetE1EEEvT1_
    .private_segment_fixed_size: 0
    .sgpr_count:     6
    .sgpr_spill_count: 0
    .symbol:         _ZN7rocprim17ROCPRIM_400000_NS6detail17trampoline_kernelINS0_14default_configENS1_25partition_config_selectorILNS1_17partition_subalgoE8ElNS0_10empty_typeEbEEZZNS1_14partition_implILS5_8ELb0ES3_jPlPS6_PKS6_NS0_5tupleIJS9_S6_EEENSD_IJSA_SA_EEENS0_18inequality_wrapperIZN2at6native12_GLOBAL__N_124unique_dim_cuda_templateIiEESt5tupleIJNSH_6TensorESM_SM_EERKSM_lbbbEUlllE0_EEPmJS6_EEE10hipError_tPvRmT3_T4_T5_T6_T7_T9_mT8_P12ihipStream_tbDpT10_ENKUlT_T0_E_clISt17integral_constantIbLb0EES1C_EEDaS17_S18_EUlS17_E_NS1_11comp_targetILNS1_3genE5ELNS1_11target_archE942ELNS1_3gpuE9ELNS1_3repE0EEENS1_30default_config_static_selectorELNS0_4arch9wavefront6targetE1EEEvT1_.kd
    .uniform_work_group_size: 1
    .uses_dynamic_stack: false
    .vgpr_count:     0
    .vgpr_spill_count: 0
    .wavefront_size: 64
  - .agpr_count:     0
    .args:
      - .offset:         0
        .size:           120
        .value_kind:     by_value
    .group_segment_fixed_size: 0
    .kernarg_segment_align: 8
    .kernarg_segment_size: 120
    .language:       OpenCL C
    .language_version:
      - 2
      - 0
    .max_flat_workgroup_size: 256
    .name:           _ZN7rocprim17ROCPRIM_400000_NS6detail17trampoline_kernelINS0_14default_configENS1_25partition_config_selectorILNS1_17partition_subalgoE8ElNS0_10empty_typeEbEEZZNS1_14partition_implILS5_8ELb0ES3_jPlPS6_PKS6_NS0_5tupleIJS9_S6_EEENSD_IJSA_SA_EEENS0_18inequality_wrapperIZN2at6native12_GLOBAL__N_124unique_dim_cuda_templateIiEESt5tupleIJNSH_6TensorESM_SM_EERKSM_lbbbEUlllE0_EEPmJS6_EEE10hipError_tPvRmT3_T4_T5_T6_T7_T9_mT8_P12ihipStream_tbDpT10_ENKUlT_T0_E_clISt17integral_constantIbLb0EES1C_EEDaS17_S18_EUlS17_E_NS1_11comp_targetILNS1_3genE4ELNS1_11target_archE910ELNS1_3gpuE8ELNS1_3repE0EEENS1_30default_config_static_selectorELNS0_4arch9wavefront6targetE1EEEvT1_
    .private_segment_fixed_size: 0
    .sgpr_count:     6
    .sgpr_spill_count: 0
    .symbol:         _ZN7rocprim17ROCPRIM_400000_NS6detail17trampoline_kernelINS0_14default_configENS1_25partition_config_selectorILNS1_17partition_subalgoE8ElNS0_10empty_typeEbEEZZNS1_14partition_implILS5_8ELb0ES3_jPlPS6_PKS6_NS0_5tupleIJS9_S6_EEENSD_IJSA_SA_EEENS0_18inequality_wrapperIZN2at6native12_GLOBAL__N_124unique_dim_cuda_templateIiEESt5tupleIJNSH_6TensorESM_SM_EERKSM_lbbbEUlllE0_EEPmJS6_EEE10hipError_tPvRmT3_T4_T5_T6_T7_T9_mT8_P12ihipStream_tbDpT10_ENKUlT_T0_E_clISt17integral_constantIbLb0EES1C_EEDaS17_S18_EUlS17_E_NS1_11comp_targetILNS1_3genE4ELNS1_11target_archE910ELNS1_3gpuE8ELNS1_3repE0EEENS1_30default_config_static_selectorELNS0_4arch9wavefront6targetE1EEEvT1_.kd
    .uniform_work_group_size: 1
    .uses_dynamic_stack: false
    .vgpr_count:     0
    .vgpr_spill_count: 0
    .wavefront_size: 64
  - .agpr_count:     0
    .args:
      - .offset:         0
        .size:           120
        .value_kind:     by_value
    .group_segment_fixed_size: 0
    .kernarg_segment_align: 8
    .kernarg_segment_size: 120
    .language:       OpenCL C
    .language_version:
      - 2
      - 0
    .max_flat_workgroup_size: 512
    .name:           _ZN7rocprim17ROCPRIM_400000_NS6detail17trampoline_kernelINS0_14default_configENS1_25partition_config_selectorILNS1_17partition_subalgoE8ElNS0_10empty_typeEbEEZZNS1_14partition_implILS5_8ELb0ES3_jPlPS6_PKS6_NS0_5tupleIJS9_S6_EEENSD_IJSA_SA_EEENS0_18inequality_wrapperIZN2at6native12_GLOBAL__N_124unique_dim_cuda_templateIiEESt5tupleIJNSH_6TensorESM_SM_EERKSM_lbbbEUlllE0_EEPmJS6_EEE10hipError_tPvRmT3_T4_T5_T6_T7_T9_mT8_P12ihipStream_tbDpT10_ENKUlT_T0_E_clISt17integral_constantIbLb0EES1C_EEDaS17_S18_EUlS17_E_NS1_11comp_targetILNS1_3genE3ELNS1_11target_archE908ELNS1_3gpuE7ELNS1_3repE0EEENS1_30default_config_static_selectorELNS0_4arch9wavefront6targetE1EEEvT1_
    .private_segment_fixed_size: 0
    .sgpr_count:     6
    .sgpr_spill_count: 0
    .symbol:         _ZN7rocprim17ROCPRIM_400000_NS6detail17trampoline_kernelINS0_14default_configENS1_25partition_config_selectorILNS1_17partition_subalgoE8ElNS0_10empty_typeEbEEZZNS1_14partition_implILS5_8ELb0ES3_jPlPS6_PKS6_NS0_5tupleIJS9_S6_EEENSD_IJSA_SA_EEENS0_18inequality_wrapperIZN2at6native12_GLOBAL__N_124unique_dim_cuda_templateIiEESt5tupleIJNSH_6TensorESM_SM_EERKSM_lbbbEUlllE0_EEPmJS6_EEE10hipError_tPvRmT3_T4_T5_T6_T7_T9_mT8_P12ihipStream_tbDpT10_ENKUlT_T0_E_clISt17integral_constantIbLb0EES1C_EEDaS17_S18_EUlS17_E_NS1_11comp_targetILNS1_3genE3ELNS1_11target_archE908ELNS1_3gpuE7ELNS1_3repE0EEENS1_30default_config_static_selectorELNS0_4arch9wavefront6targetE1EEEvT1_.kd
    .uniform_work_group_size: 1
    .uses_dynamic_stack: false
    .vgpr_count:     0
    .vgpr_spill_count: 0
    .wavefront_size: 64
  - .agpr_count:     0
    .args:
      - .offset:         0
        .size:           120
        .value_kind:     by_value
    .group_segment_fixed_size: 0
    .kernarg_segment_align: 8
    .kernarg_segment_size: 120
    .language:       OpenCL C
    .language_version:
      - 2
      - 0
    .max_flat_workgroup_size: 256
    .name:           _ZN7rocprim17ROCPRIM_400000_NS6detail17trampoline_kernelINS0_14default_configENS1_25partition_config_selectorILNS1_17partition_subalgoE8ElNS0_10empty_typeEbEEZZNS1_14partition_implILS5_8ELb0ES3_jPlPS6_PKS6_NS0_5tupleIJS9_S6_EEENSD_IJSA_SA_EEENS0_18inequality_wrapperIZN2at6native12_GLOBAL__N_124unique_dim_cuda_templateIiEESt5tupleIJNSH_6TensorESM_SM_EERKSM_lbbbEUlllE0_EEPmJS6_EEE10hipError_tPvRmT3_T4_T5_T6_T7_T9_mT8_P12ihipStream_tbDpT10_ENKUlT_T0_E_clISt17integral_constantIbLb0EES1C_EEDaS17_S18_EUlS17_E_NS1_11comp_targetILNS1_3genE2ELNS1_11target_archE906ELNS1_3gpuE6ELNS1_3repE0EEENS1_30default_config_static_selectorELNS0_4arch9wavefront6targetE1EEEvT1_
    .private_segment_fixed_size: 0
    .sgpr_count:     6
    .sgpr_spill_count: 0
    .symbol:         _ZN7rocprim17ROCPRIM_400000_NS6detail17trampoline_kernelINS0_14default_configENS1_25partition_config_selectorILNS1_17partition_subalgoE8ElNS0_10empty_typeEbEEZZNS1_14partition_implILS5_8ELb0ES3_jPlPS6_PKS6_NS0_5tupleIJS9_S6_EEENSD_IJSA_SA_EEENS0_18inequality_wrapperIZN2at6native12_GLOBAL__N_124unique_dim_cuda_templateIiEESt5tupleIJNSH_6TensorESM_SM_EERKSM_lbbbEUlllE0_EEPmJS6_EEE10hipError_tPvRmT3_T4_T5_T6_T7_T9_mT8_P12ihipStream_tbDpT10_ENKUlT_T0_E_clISt17integral_constantIbLb0EES1C_EEDaS17_S18_EUlS17_E_NS1_11comp_targetILNS1_3genE2ELNS1_11target_archE906ELNS1_3gpuE6ELNS1_3repE0EEENS1_30default_config_static_selectorELNS0_4arch9wavefront6targetE1EEEvT1_.kd
    .uniform_work_group_size: 1
    .uses_dynamic_stack: false
    .vgpr_count:     0
    .vgpr_spill_count: 0
    .wavefront_size: 64
  - .agpr_count:     0
    .args:
      - .offset:         0
        .size:           120
        .value_kind:     by_value
    .group_segment_fixed_size: 0
    .kernarg_segment_align: 8
    .kernarg_segment_size: 120
    .language:       OpenCL C
    .language_version:
      - 2
      - 0
    .max_flat_workgroup_size: 384
    .name:           _ZN7rocprim17ROCPRIM_400000_NS6detail17trampoline_kernelINS0_14default_configENS1_25partition_config_selectorILNS1_17partition_subalgoE8ElNS0_10empty_typeEbEEZZNS1_14partition_implILS5_8ELb0ES3_jPlPS6_PKS6_NS0_5tupleIJS9_S6_EEENSD_IJSA_SA_EEENS0_18inequality_wrapperIZN2at6native12_GLOBAL__N_124unique_dim_cuda_templateIiEESt5tupleIJNSH_6TensorESM_SM_EERKSM_lbbbEUlllE0_EEPmJS6_EEE10hipError_tPvRmT3_T4_T5_T6_T7_T9_mT8_P12ihipStream_tbDpT10_ENKUlT_T0_E_clISt17integral_constantIbLb0EES1C_EEDaS17_S18_EUlS17_E_NS1_11comp_targetILNS1_3genE10ELNS1_11target_archE1200ELNS1_3gpuE4ELNS1_3repE0EEENS1_30default_config_static_selectorELNS0_4arch9wavefront6targetE1EEEvT1_
    .private_segment_fixed_size: 0
    .sgpr_count:     6
    .sgpr_spill_count: 0
    .symbol:         _ZN7rocprim17ROCPRIM_400000_NS6detail17trampoline_kernelINS0_14default_configENS1_25partition_config_selectorILNS1_17partition_subalgoE8ElNS0_10empty_typeEbEEZZNS1_14partition_implILS5_8ELb0ES3_jPlPS6_PKS6_NS0_5tupleIJS9_S6_EEENSD_IJSA_SA_EEENS0_18inequality_wrapperIZN2at6native12_GLOBAL__N_124unique_dim_cuda_templateIiEESt5tupleIJNSH_6TensorESM_SM_EERKSM_lbbbEUlllE0_EEPmJS6_EEE10hipError_tPvRmT3_T4_T5_T6_T7_T9_mT8_P12ihipStream_tbDpT10_ENKUlT_T0_E_clISt17integral_constantIbLb0EES1C_EEDaS17_S18_EUlS17_E_NS1_11comp_targetILNS1_3genE10ELNS1_11target_archE1200ELNS1_3gpuE4ELNS1_3repE0EEENS1_30default_config_static_selectorELNS0_4arch9wavefront6targetE1EEEvT1_.kd
    .uniform_work_group_size: 1
    .uses_dynamic_stack: false
    .vgpr_count:     0
    .vgpr_spill_count: 0
    .wavefront_size: 64
  - .agpr_count:     0
    .args:
      - .offset:         0
        .size:           120
        .value_kind:     by_value
    .group_segment_fixed_size: 0
    .kernarg_segment_align: 8
    .kernarg_segment_size: 120
    .language:       OpenCL C
    .language_version:
      - 2
      - 0
    .max_flat_workgroup_size: 512
    .name:           _ZN7rocprim17ROCPRIM_400000_NS6detail17trampoline_kernelINS0_14default_configENS1_25partition_config_selectorILNS1_17partition_subalgoE8ElNS0_10empty_typeEbEEZZNS1_14partition_implILS5_8ELb0ES3_jPlPS6_PKS6_NS0_5tupleIJS9_S6_EEENSD_IJSA_SA_EEENS0_18inequality_wrapperIZN2at6native12_GLOBAL__N_124unique_dim_cuda_templateIiEESt5tupleIJNSH_6TensorESM_SM_EERKSM_lbbbEUlllE0_EEPmJS6_EEE10hipError_tPvRmT3_T4_T5_T6_T7_T9_mT8_P12ihipStream_tbDpT10_ENKUlT_T0_E_clISt17integral_constantIbLb0EES1C_EEDaS17_S18_EUlS17_E_NS1_11comp_targetILNS1_3genE9ELNS1_11target_archE1100ELNS1_3gpuE3ELNS1_3repE0EEENS1_30default_config_static_selectorELNS0_4arch9wavefront6targetE1EEEvT1_
    .private_segment_fixed_size: 0
    .sgpr_count:     6
    .sgpr_spill_count: 0
    .symbol:         _ZN7rocprim17ROCPRIM_400000_NS6detail17trampoline_kernelINS0_14default_configENS1_25partition_config_selectorILNS1_17partition_subalgoE8ElNS0_10empty_typeEbEEZZNS1_14partition_implILS5_8ELb0ES3_jPlPS6_PKS6_NS0_5tupleIJS9_S6_EEENSD_IJSA_SA_EEENS0_18inequality_wrapperIZN2at6native12_GLOBAL__N_124unique_dim_cuda_templateIiEESt5tupleIJNSH_6TensorESM_SM_EERKSM_lbbbEUlllE0_EEPmJS6_EEE10hipError_tPvRmT3_T4_T5_T6_T7_T9_mT8_P12ihipStream_tbDpT10_ENKUlT_T0_E_clISt17integral_constantIbLb0EES1C_EEDaS17_S18_EUlS17_E_NS1_11comp_targetILNS1_3genE9ELNS1_11target_archE1100ELNS1_3gpuE3ELNS1_3repE0EEENS1_30default_config_static_selectorELNS0_4arch9wavefront6targetE1EEEvT1_.kd
    .uniform_work_group_size: 1
    .uses_dynamic_stack: false
    .vgpr_count:     0
    .vgpr_spill_count: 0
    .wavefront_size: 64
  - .agpr_count:     0
    .args:
      - .offset:         0
        .size:           120
        .value_kind:     by_value
    .group_segment_fixed_size: 0
    .kernarg_segment_align: 8
    .kernarg_segment_size: 120
    .language:       OpenCL C
    .language_version:
      - 2
      - 0
    .max_flat_workgroup_size: 512
    .name:           _ZN7rocprim17ROCPRIM_400000_NS6detail17trampoline_kernelINS0_14default_configENS1_25partition_config_selectorILNS1_17partition_subalgoE8ElNS0_10empty_typeEbEEZZNS1_14partition_implILS5_8ELb0ES3_jPlPS6_PKS6_NS0_5tupleIJS9_S6_EEENSD_IJSA_SA_EEENS0_18inequality_wrapperIZN2at6native12_GLOBAL__N_124unique_dim_cuda_templateIiEESt5tupleIJNSH_6TensorESM_SM_EERKSM_lbbbEUlllE0_EEPmJS6_EEE10hipError_tPvRmT3_T4_T5_T6_T7_T9_mT8_P12ihipStream_tbDpT10_ENKUlT_T0_E_clISt17integral_constantIbLb0EES1C_EEDaS17_S18_EUlS17_E_NS1_11comp_targetILNS1_3genE8ELNS1_11target_archE1030ELNS1_3gpuE2ELNS1_3repE0EEENS1_30default_config_static_selectorELNS0_4arch9wavefront6targetE1EEEvT1_
    .private_segment_fixed_size: 0
    .sgpr_count:     6
    .sgpr_spill_count: 0
    .symbol:         _ZN7rocprim17ROCPRIM_400000_NS6detail17trampoline_kernelINS0_14default_configENS1_25partition_config_selectorILNS1_17partition_subalgoE8ElNS0_10empty_typeEbEEZZNS1_14partition_implILS5_8ELb0ES3_jPlPS6_PKS6_NS0_5tupleIJS9_S6_EEENSD_IJSA_SA_EEENS0_18inequality_wrapperIZN2at6native12_GLOBAL__N_124unique_dim_cuda_templateIiEESt5tupleIJNSH_6TensorESM_SM_EERKSM_lbbbEUlllE0_EEPmJS6_EEE10hipError_tPvRmT3_T4_T5_T6_T7_T9_mT8_P12ihipStream_tbDpT10_ENKUlT_T0_E_clISt17integral_constantIbLb0EES1C_EEDaS17_S18_EUlS17_E_NS1_11comp_targetILNS1_3genE8ELNS1_11target_archE1030ELNS1_3gpuE2ELNS1_3repE0EEENS1_30default_config_static_selectorELNS0_4arch9wavefront6targetE1EEEvT1_.kd
    .uniform_work_group_size: 1
    .uses_dynamic_stack: false
    .vgpr_count:     0
    .vgpr_spill_count: 0
    .wavefront_size: 64
  - .agpr_count:     0
    .args:
      - .offset:         0
        .size:           136
        .value_kind:     by_value
    .group_segment_fixed_size: 0
    .kernarg_segment_align: 8
    .kernarg_segment_size: 136
    .language:       OpenCL C
    .language_version:
      - 2
      - 0
    .max_flat_workgroup_size: 512
    .name:           _ZN7rocprim17ROCPRIM_400000_NS6detail17trampoline_kernelINS0_14default_configENS1_25partition_config_selectorILNS1_17partition_subalgoE8ElNS0_10empty_typeEbEEZZNS1_14partition_implILS5_8ELb0ES3_jPlPS6_PKS6_NS0_5tupleIJS9_S6_EEENSD_IJSA_SA_EEENS0_18inequality_wrapperIZN2at6native12_GLOBAL__N_124unique_dim_cuda_templateIiEESt5tupleIJNSH_6TensorESM_SM_EERKSM_lbbbEUlllE0_EEPmJS6_EEE10hipError_tPvRmT3_T4_T5_T6_T7_T9_mT8_P12ihipStream_tbDpT10_ENKUlT_T0_E_clISt17integral_constantIbLb1EES1C_EEDaS17_S18_EUlS17_E_NS1_11comp_targetILNS1_3genE0ELNS1_11target_archE4294967295ELNS1_3gpuE0ELNS1_3repE0EEENS1_30default_config_static_selectorELNS0_4arch9wavefront6targetE1EEEvT1_
    .private_segment_fixed_size: 0
    .sgpr_count:     6
    .sgpr_spill_count: 0
    .symbol:         _ZN7rocprim17ROCPRIM_400000_NS6detail17trampoline_kernelINS0_14default_configENS1_25partition_config_selectorILNS1_17partition_subalgoE8ElNS0_10empty_typeEbEEZZNS1_14partition_implILS5_8ELb0ES3_jPlPS6_PKS6_NS0_5tupleIJS9_S6_EEENSD_IJSA_SA_EEENS0_18inequality_wrapperIZN2at6native12_GLOBAL__N_124unique_dim_cuda_templateIiEESt5tupleIJNSH_6TensorESM_SM_EERKSM_lbbbEUlllE0_EEPmJS6_EEE10hipError_tPvRmT3_T4_T5_T6_T7_T9_mT8_P12ihipStream_tbDpT10_ENKUlT_T0_E_clISt17integral_constantIbLb1EES1C_EEDaS17_S18_EUlS17_E_NS1_11comp_targetILNS1_3genE0ELNS1_11target_archE4294967295ELNS1_3gpuE0ELNS1_3repE0EEENS1_30default_config_static_selectorELNS0_4arch9wavefront6targetE1EEEvT1_.kd
    .uniform_work_group_size: 1
    .uses_dynamic_stack: false
    .vgpr_count:     0
    .vgpr_spill_count: 0
    .wavefront_size: 64
  - .agpr_count:     0
    .args:
      - .offset:         0
        .size:           136
        .value_kind:     by_value
    .group_segment_fixed_size: 0
    .kernarg_segment_align: 8
    .kernarg_segment_size: 136
    .language:       OpenCL C
    .language_version:
      - 2
      - 0
    .max_flat_workgroup_size: 512
    .name:           _ZN7rocprim17ROCPRIM_400000_NS6detail17trampoline_kernelINS0_14default_configENS1_25partition_config_selectorILNS1_17partition_subalgoE8ElNS0_10empty_typeEbEEZZNS1_14partition_implILS5_8ELb0ES3_jPlPS6_PKS6_NS0_5tupleIJS9_S6_EEENSD_IJSA_SA_EEENS0_18inequality_wrapperIZN2at6native12_GLOBAL__N_124unique_dim_cuda_templateIiEESt5tupleIJNSH_6TensorESM_SM_EERKSM_lbbbEUlllE0_EEPmJS6_EEE10hipError_tPvRmT3_T4_T5_T6_T7_T9_mT8_P12ihipStream_tbDpT10_ENKUlT_T0_E_clISt17integral_constantIbLb1EES1C_EEDaS17_S18_EUlS17_E_NS1_11comp_targetILNS1_3genE5ELNS1_11target_archE942ELNS1_3gpuE9ELNS1_3repE0EEENS1_30default_config_static_selectorELNS0_4arch9wavefront6targetE1EEEvT1_
    .private_segment_fixed_size: 0
    .sgpr_count:     6
    .sgpr_spill_count: 0
    .symbol:         _ZN7rocprim17ROCPRIM_400000_NS6detail17trampoline_kernelINS0_14default_configENS1_25partition_config_selectorILNS1_17partition_subalgoE8ElNS0_10empty_typeEbEEZZNS1_14partition_implILS5_8ELb0ES3_jPlPS6_PKS6_NS0_5tupleIJS9_S6_EEENSD_IJSA_SA_EEENS0_18inequality_wrapperIZN2at6native12_GLOBAL__N_124unique_dim_cuda_templateIiEESt5tupleIJNSH_6TensorESM_SM_EERKSM_lbbbEUlllE0_EEPmJS6_EEE10hipError_tPvRmT3_T4_T5_T6_T7_T9_mT8_P12ihipStream_tbDpT10_ENKUlT_T0_E_clISt17integral_constantIbLb1EES1C_EEDaS17_S18_EUlS17_E_NS1_11comp_targetILNS1_3genE5ELNS1_11target_archE942ELNS1_3gpuE9ELNS1_3repE0EEENS1_30default_config_static_selectorELNS0_4arch9wavefront6targetE1EEEvT1_.kd
    .uniform_work_group_size: 1
    .uses_dynamic_stack: false
    .vgpr_count:     0
    .vgpr_spill_count: 0
    .wavefront_size: 64
  - .agpr_count:     0
    .args:
      - .offset:         0
        .size:           136
        .value_kind:     by_value
    .group_segment_fixed_size: 0
    .kernarg_segment_align: 8
    .kernarg_segment_size: 136
    .language:       OpenCL C
    .language_version:
      - 2
      - 0
    .max_flat_workgroup_size: 256
    .name:           _ZN7rocprim17ROCPRIM_400000_NS6detail17trampoline_kernelINS0_14default_configENS1_25partition_config_selectorILNS1_17partition_subalgoE8ElNS0_10empty_typeEbEEZZNS1_14partition_implILS5_8ELb0ES3_jPlPS6_PKS6_NS0_5tupleIJS9_S6_EEENSD_IJSA_SA_EEENS0_18inequality_wrapperIZN2at6native12_GLOBAL__N_124unique_dim_cuda_templateIiEESt5tupleIJNSH_6TensorESM_SM_EERKSM_lbbbEUlllE0_EEPmJS6_EEE10hipError_tPvRmT3_T4_T5_T6_T7_T9_mT8_P12ihipStream_tbDpT10_ENKUlT_T0_E_clISt17integral_constantIbLb1EES1C_EEDaS17_S18_EUlS17_E_NS1_11comp_targetILNS1_3genE4ELNS1_11target_archE910ELNS1_3gpuE8ELNS1_3repE0EEENS1_30default_config_static_selectorELNS0_4arch9wavefront6targetE1EEEvT1_
    .private_segment_fixed_size: 0
    .sgpr_count:     6
    .sgpr_spill_count: 0
    .symbol:         _ZN7rocprim17ROCPRIM_400000_NS6detail17trampoline_kernelINS0_14default_configENS1_25partition_config_selectorILNS1_17partition_subalgoE8ElNS0_10empty_typeEbEEZZNS1_14partition_implILS5_8ELb0ES3_jPlPS6_PKS6_NS0_5tupleIJS9_S6_EEENSD_IJSA_SA_EEENS0_18inequality_wrapperIZN2at6native12_GLOBAL__N_124unique_dim_cuda_templateIiEESt5tupleIJNSH_6TensorESM_SM_EERKSM_lbbbEUlllE0_EEPmJS6_EEE10hipError_tPvRmT3_T4_T5_T6_T7_T9_mT8_P12ihipStream_tbDpT10_ENKUlT_T0_E_clISt17integral_constantIbLb1EES1C_EEDaS17_S18_EUlS17_E_NS1_11comp_targetILNS1_3genE4ELNS1_11target_archE910ELNS1_3gpuE8ELNS1_3repE0EEENS1_30default_config_static_selectorELNS0_4arch9wavefront6targetE1EEEvT1_.kd
    .uniform_work_group_size: 1
    .uses_dynamic_stack: false
    .vgpr_count:     0
    .vgpr_spill_count: 0
    .wavefront_size: 64
  - .agpr_count:     0
    .args:
      - .offset:         0
        .size:           136
        .value_kind:     by_value
    .group_segment_fixed_size: 0
    .kernarg_segment_align: 8
    .kernarg_segment_size: 136
    .language:       OpenCL C
    .language_version:
      - 2
      - 0
    .max_flat_workgroup_size: 512
    .name:           _ZN7rocprim17ROCPRIM_400000_NS6detail17trampoline_kernelINS0_14default_configENS1_25partition_config_selectorILNS1_17partition_subalgoE8ElNS0_10empty_typeEbEEZZNS1_14partition_implILS5_8ELb0ES3_jPlPS6_PKS6_NS0_5tupleIJS9_S6_EEENSD_IJSA_SA_EEENS0_18inequality_wrapperIZN2at6native12_GLOBAL__N_124unique_dim_cuda_templateIiEESt5tupleIJNSH_6TensorESM_SM_EERKSM_lbbbEUlllE0_EEPmJS6_EEE10hipError_tPvRmT3_T4_T5_T6_T7_T9_mT8_P12ihipStream_tbDpT10_ENKUlT_T0_E_clISt17integral_constantIbLb1EES1C_EEDaS17_S18_EUlS17_E_NS1_11comp_targetILNS1_3genE3ELNS1_11target_archE908ELNS1_3gpuE7ELNS1_3repE0EEENS1_30default_config_static_selectorELNS0_4arch9wavefront6targetE1EEEvT1_
    .private_segment_fixed_size: 0
    .sgpr_count:     6
    .sgpr_spill_count: 0
    .symbol:         _ZN7rocprim17ROCPRIM_400000_NS6detail17trampoline_kernelINS0_14default_configENS1_25partition_config_selectorILNS1_17partition_subalgoE8ElNS0_10empty_typeEbEEZZNS1_14partition_implILS5_8ELb0ES3_jPlPS6_PKS6_NS0_5tupleIJS9_S6_EEENSD_IJSA_SA_EEENS0_18inequality_wrapperIZN2at6native12_GLOBAL__N_124unique_dim_cuda_templateIiEESt5tupleIJNSH_6TensorESM_SM_EERKSM_lbbbEUlllE0_EEPmJS6_EEE10hipError_tPvRmT3_T4_T5_T6_T7_T9_mT8_P12ihipStream_tbDpT10_ENKUlT_T0_E_clISt17integral_constantIbLb1EES1C_EEDaS17_S18_EUlS17_E_NS1_11comp_targetILNS1_3genE3ELNS1_11target_archE908ELNS1_3gpuE7ELNS1_3repE0EEENS1_30default_config_static_selectorELNS0_4arch9wavefront6targetE1EEEvT1_.kd
    .uniform_work_group_size: 1
    .uses_dynamic_stack: false
    .vgpr_count:     0
    .vgpr_spill_count: 0
    .wavefront_size: 64
  - .agpr_count:     0
    .args:
      - .offset:         0
        .size:           136
        .value_kind:     by_value
    .group_segment_fixed_size: 0
    .kernarg_segment_align: 8
    .kernarg_segment_size: 136
    .language:       OpenCL C
    .language_version:
      - 2
      - 0
    .max_flat_workgroup_size: 256
    .name:           _ZN7rocprim17ROCPRIM_400000_NS6detail17trampoline_kernelINS0_14default_configENS1_25partition_config_selectorILNS1_17partition_subalgoE8ElNS0_10empty_typeEbEEZZNS1_14partition_implILS5_8ELb0ES3_jPlPS6_PKS6_NS0_5tupleIJS9_S6_EEENSD_IJSA_SA_EEENS0_18inequality_wrapperIZN2at6native12_GLOBAL__N_124unique_dim_cuda_templateIiEESt5tupleIJNSH_6TensorESM_SM_EERKSM_lbbbEUlllE0_EEPmJS6_EEE10hipError_tPvRmT3_T4_T5_T6_T7_T9_mT8_P12ihipStream_tbDpT10_ENKUlT_T0_E_clISt17integral_constantIbLb1EES1C_EEDaS17_S18_EUlS17_E_NS1_11comp_targetILNS1_3genE2ELNS1_11target_archE906ELNS1_3gpuE6ELNS1_3repE0EEENS1_30default_config_static_selectorELNS0_4arch9wavefront6targetE1EEEvT1_
    .private_segment_fixed_size: 0
    .sgpr_count:     6
    .sgpr_spill_count: 0
    .symbol:         _ZN7rocprim17ROCPRIM_400000_NS6detail17trampoline_kernelINS0_14default_configENS1_25partition_config_selectorILNS1_17partition_subalgoE8ElNS0_10empty_typeEbEEZZNS1_14partition_implILS5_8ELb0ES3_jPlPS6_PKS6_NS0_5tupleIJS9_S6_EEENSD_IJSA_SA_EEENS0_18inequality_wrapperIZN2at6native12_GLOBAL__N_124unique_dim_cuda_templateIiEESt5tupleIJNSH_6TensorESM_SM_EERKSM_lbbbEUlllE0_EEPmJS6_EEE10hipError_tPvRmT3_T4_T5_T6_T7_T9_mT8_P12ihipStream_tbDpT10_ENKUlT_T0_E_clISt17integral_constantIbLb1EES1C_EEDaS17_S18_EUlS17_E_NS1_11comp_targetILNS1_3genE2ELNS1_11target_archE906ELNS1_3gpuE6ELNS1_3repE0EEENS1_30default_config_static_selectorELNS0_4arch9wavefront6targetE1EEEvT1_.kd
    .uniform_work_group_size: 1
    .uses_dynamic_stack: false
    .vgpr_count:     0
    .vgpr_spill_count: 0
    .wavefront_size: 64
  - .agpr_count:     0
    .args:
      - .offset:         0
        .size:           136
        .value_kind:     by_value
    .group_segment_fixed_size: 0
    .kernarg_segment_align: 8
    .kernarg_segment_size: 136
    .language:       OpenCL C
    .language_version:
      - 2
      - 0
    .max_flat_workgroup_size: 384
    .name:           _ZN7rocprim17ROCPRIM_400000_NS6detail17trampoline_kernelINS0_14default_configENS1_25partition_config_selectorILNS1_17partition_subalgoE8ElNS0_10empty_typeEbEEZZNS1_14partition_implILS5_8ELb0ES3_jPlPS6_PKS6_NS0_5tupleIJS9_S6_EEENSD_IJSA_SA_EEENS0_18inequality_wrapperIZN2at6native12_GLOBAL__N_124unique_dim_cuda_templateIiEESt5tupleIJNSH_6TensorESM_SM_EERKSM_lbbbEUlllE0_EEPmJS6_EEE10hipError_tPvRmT3_T4_T5_T6_T7_T9_mT8_P12ihipStream_tbDpT10_ENKUlT_T0_E_clISt17integral_constantIbLb1EES1C_EEDaS17_S18_EUlS17_E_NS1_11comp_targetILNS1_3genE10ELNS1_11target_archE1200ELNS1_3gpuE4ELNS1_3repE0EEENS1_30default_config_static_selectorELNS0_4arch9wavefront6targetE1EEEvT1_
    .private_segment_fixed_size: 0
    .sgpr_count:     6
    .sgpr_spill_count: 0
    .symbol:         _ZN7rocprim17ROCPRIM_400000_NS6detail17trampoline_kernelINS0_14default_configENS1_25partition_config_selectorILNS1_17partition_subalgoE8ElNS0_10empty_typeEbEEZZNS1_14partition_implILS5_8ELb0ES3_jPlPS6_PKS6_NS0_5tupleIJS9_S6_EEENSD_IJSA_SA_EEENS0_18inequality_wrapperIZN2at6native12_GLOBAL__N_124unique_dim_cuda_templateIiEESt5tupleIJNSH_6TensorESM_SM_EERKSM_lbbbEUlllE0_EEPmJS6_EEE10hipError_tPvRmT3_T4_T5_T6_T7_T9_mT8_P12ihipStream_tbDpT10_ENKUlT_T0_E_clISt17integral_constantIbLb1EES1C_EEDaS17_S18_EUlS17_E_NS1_11comp_targetILNS1_3genE10ELNS1_11target_archE1200ELNS1_3gpuE4ELNS1_3repE0EEENS1_30default_config_static_selectorELNS0_4arch9wavefront6targetE1EEEvT1_.kd
    .uniform_work_group_size: 1
    .uses_dynamic_stack: false
    .vgpr_count:     0
    .vgpr_spill_count: 0
    .wavefront_size: 64
  - .agpr_count:     0
    .args:
      - .offset:         0
        .size:           136
        .value_kind:     by_value
    .group_segment_fixed_size: 0
    .kernarg_segment_align: 8
    .kernarg_segment_size: 136
    .language:       OpenCL C
    .language_version:
      - 2
      - 0
    .max_flat_workgroup_size: 512
    .name:           _ZN7rocprim17ROCPRIM_400000_NS6detail17trampoline_kernelINS0_14default_configENS1_25partition_config_selectorILNS1_17partition_subalgoE8ElNS0_10empty_typeEbEEZZNS1_14partition_implILS5_8ELb0ES3_jPlPS6_PKS6_NS0_5tupleIJS9_S6_EEENSD_IJSA_SA_EEENS0_18inequality_wrapperIZN2at6native12_GLOBAL__N_124unique_dim_cuda_templateIiEESt5tupleIJNSH_6TensorESM_SM_EERKSM_lbbbEUlllE0_EEPmJS6_EEE10hipError_tPvRmT3_T4_T5_T6_T7_T9_mT8_P12ihipStream_tbDpT10_ENKUlT_T0_E_clISt17integral_constantIbLb1EES1C_EEDaS17_S18_EUlS17_E_NS1_11comp_targetILNS1_3genE9ELNS1_11target_archE1100ELNS1_3gpuE3ELNS1_3repE0EEENS1_30default_config_static_selectorELNS0_4arch9wavefront6targetE1EEEvT1_
    .private_segment_fixed_size: 0
    .sgpr_count:     6
    .sgpr_spill_count: 0
    .symbol:         _ZN7rocprim17ROCPRIM_400000_NS6detail17trampoline_kernelINS0_14default_configENS1_25partition_config_selectorILNS1_17partition_subalgoE8ElNS0_10empty_typeEbEEZZNS1_14partition_implILS5_8ELb0ES3_jPlPS6_PKS6_NS0_5tupleIJS9_S6_EEENSD_IJSA_SA_EEENS0_18inequality_wrapperIZN2at6native12_GLOBAL__N_124unique_dim_cuda_templateIiEESt5tupleIJNSH_6TensorESM_SM_EERKSM_lbbbEUlllE0_EEPmJS6_EEE10hipError_tPvRmT3_T4_T5_T6_T7_T9_mT8_P12ihipStream_tbDpT10_ENKUlT_T0_E_clISt17integral_constantIbLb1EES1C_EEDaS17_S18_EUlS17_E_NS1_11comp_targetILNS1_3genE9ELNS1_11target_archE1100ELNS1_3gpuE3ELNS1_3repE0EEENS1_30default_config_static_selectorELNS0_4arch9wavefront6targetE1EEEvT1_.kd
    .uniform_work_group_size: 1
    .uses_dynamic_stack: false
    .vgpr_count:     0
    .vgpr_spill_count: 0
    .wavefront_size: 64
  - .agpr_count:     0
    .args:
      - .offset:         0
        .size:           136
        .value_kind:     by_value
    .group_segment_fixed_size: 0
    .kernarg_segment_align: 8
    .kernarg_segment_size: 136
    .language:       OpenCL C
    .language_version:
      - 2
      - 0
    .max_flat_workgroup_size: 512
    .name:           _ZN7rocprim17ROCPRIM_400000_NS6detail17trampoline_kernelINS0_14default_configENS1_25partition_config_selectorILNS1_17partition_subalgoE8ElNS0_10empty_typeEbEEZZNS1_14partition_implILS5_8ELb0ES3_jPlPS6_PKS6_NS0_5tupleIJS9_S6_EEENSD_IJSA_SA_EEENS0_18inequality_wrapperIZN2at6native12_GLOBAL__N_124unique_dim_cuda_templateIiEESt5tupleIJNSH_6TensorESM_SM_EERKSM_lbbbEUlllE0_EEPmJS6_EEE10hipError_tPvRmT3_T4_T5_T6_T7_T9_mT8_P12ihipStream_tbDpT10_ENKUlT_T0_E_clISt17integral_constantIbLb1EES1C_EEDaS17_S18_EUlS17_E_NS1_11comp_targetILNS1_3genE8ELNS1_11target_archE1030ELNS1_3gpuE2ELNS1_3repE0EEENS1_30default_config_static_selectorELNS0_4arch9wavefront6targetE1EEEvT1_
    .private_segment_fixed_size: 0
    .sgpr_count:     6
    .sgpr_spill_count: 0
    .symbol:         _ZN7rocprim17ROCPRIM_400000_NS6detail17trampoline_kernelINS0_14default_configENS1_25partition_config_selectorILNS1_17partition_subalgoE8ElNS0_10empty_typeEbEEZZNS1_14partition_implILS5_8ELb0ES3_jPlPS6_PKS6_NS0_5tupleIJS9_S6_EEENSD_IJSA_SA_EEENS0_18inequality_wrapperIZN2at6native12_GLOBAL__N_124unique_dim_cuda_templateIiEESt5tupleIJNSH_6TensorESM_SM_EERKSM_lbbbEUlllE0_EEPmJS6_EEE10hipError_tPvRmT3_T4_T5_T6_T7_T9_mT8_P12ihipStream_tbDpT10_ENKUlT_T0_E_clISt17integral_constantIbLb1EES1C_EEDaS17_S18_EUlS17_E_NS1_11comp_targetILNS1_3genE8ELNS1_11target_archE1030ELNS1_3gpuE2ELNS1_3repE0EEENS1_30default_config_static_selectorELNS0_4arch9wavefront6targetE1EEEvT1_.kd
    .uniform_work_group_size: 1
    .uses_dynamic_stack: false
    .vgpr_count:     0
    .vgpr_spill_count: 0
    .wavefront_size: 64
  - .agpr_count:     0
    .args:
      - .offset:         0
        .size:           120
        .value_kind:     by_value
    .group_segment_fixed_size: 0
    .kernarg_segment_align: 8
    .kernarg_segment_size: 120
    .language:       OpenCL C
    .language_version:
      - 2
      - 0
    .max_flat_workgroup_size: 512
    .name:           _ZN7rocprim17ROCPRIM_400000_NS6detail17trampoline_kernelINS0_14default_configENS1_25partition_config_selectorILNS1_17partition_subalgoE8ElNS0_10empty_typeEbEEZZNS1_14partition_implILS5_8ELb0ES3_jPlPS6_PKS6_NS0_5tupleIJS9_S6_EEENSD_IJSA_SA_EEENS0_18inequality_wrapperIZN2at6native12_GLOBAL__N_124unique_dim_cuda_templateIiEESt5tupleIJNSH_6TensorESM_SM_EERKSM_lbbbEUlllE0_EEPmJS6_EEE10hipError_tPvRmT3_T4_T5_T6_T7_T9_mT8_P12ihipStream_tbDpT10_ENKUlT_T0_E_clISt17integral_constantIbLb1EES1B_IbLb0EEEEDaS17_S18_EUlS17_E_NS1_11comp_targetILNS1_3genE0ELNS1_11target_archE4294967295ELNS1_3gpuE0ELNS1_3repE0EEENS1_30default_config_static_selectorELNS0_4arch9wavefront6targetE1EEEvT1_
    .private_segment_fixed_size: 0
    .sgpr_count:     6
    .sgpr_spill_count: 0
    .symbol:         _ZN7rocprim17ROCPRIM_400000_NS6detail17trampoline_kernelINS0_14default_configENS1_25partition_config_selectorILNS1_17partition_subalgoE8ElNS0_10empty_typeEbEEZZNS1_14partition_implILS5_8ELb0ES3_jPlPS6_PKS6_NS0_5tupleIJS9_S6_EEENSD_IJSA_SA_EEENS0_18inequality_wrapperIZN2at6native12_GLOBAL__N_124unique_dim_cuda_templateIiEESt5tupleIJNSH_6TensorESM_SM_EERKSM_lbbbEUlllE0_EEPmJS6_EEE10hipError_tPvRmT3_T4_T5_T6_T7_T9_mT8_P12ihipStream_tbDpT10_ENKUlT_T0_E_clISt17integral_constantIbLb1EES1B_IbLb0EEEEDaS17_S18_EUlS17_E_NS1_11comp_targetILNS1_3genE0ELNS1_11target_archE4294967295ELNS1_3gpuE0ELNS1_3repE0EEENS1_30default_config_static_selectorELNS0_4arch9wavefront6targetE1EEEvT1_.kd
    .uniform_work_group_size: 1
    .uses_dynamic_stack: false
    .vgpr_count:     0
    .vgpr_spill_count: 0
    .wavefront_size: 64
  - .agpr_count:     0
    .args:
      - .offset:         0
        .size:           120
        .value_kind:     by_value
    .group_segment_fixed_size: 0
    .kernarg_segment_align: 8
    .kernarg_segment_size: 120
    .language:       OpenCL C
    .language_version:
      - 2
      - 0
    .max_flat_workgroup_size: 512
    .name:           _ZN7rocprim17ROCPRIM_400000_NS6detail17trampoline_kernelINS0_14default_configENS1_25partition_config_selectorILNS1_17partition_subalgoE8ElNS0_10empty_typeEbEEZZNS1_14partition_implILS5_8ELb0ES3_jPlPS6_PKS6_NS0_5tupleIJS9_S6_EEENSD_IJSA_SA_EEENS0_18inequality_wrapperIZN2at6native12_GLOBAL__N_124unique_dim_cuda_templateIiEESt5tupleIJNSH_6TensorESM_SM_EERKSM_lbbbEUlllE0_EEPmJS6_EEE10hipError_tPvRmT3_T4_T5_T6_T7_T9_mT8_P12ihipStream_tbDpT10_ENKUlT_T0_E_clISt17integral_constantIbLb1EES1B_IbLb0EEEEDaS17_S18_EUlS17_E_NS1_11comp_targetILNS1_3genE5ELNS1_11target_archE942ELNS1_3gpuE9ELNS1_3repE0EEENS1_30default_config_static_selectorELNS0_4arch9wavefront6targetE1EEEvT1_
    .private_segment_fixed_size: 0
    .sgpr_count:     6
    .sgpr_spill_count: 0
    .symbol:         _ZN7rocprim17ROCPRIM_400000_NS6detail17trampoline_kernelINS0_14default_configENS1_25partition_config_selectorILNS1_17partition_subalgoE8ElNS0_10empty_typeEbEEZZNS1_14partition_implILS5_8ELb0ES3_jPlPS6_PKS6_NS0_5tupleIJS9_S6_EEENSD_IJSA_SA_EEENS0_18inequality_wrapperIZN2at6native12_GLOBAL__N_124unique_dim_cuda_templateIiEESt5tupleIJNSH_6TensorESM_SM_EERKSM_lbbbEUlllE0_EEPmJS6_EEE10hipError_tPvRmT3_T4_T5_T6_T7_T9_mT8_P12ihipStream_tbDpT10_ENKUlT_T0_E_clISt17integral_constantIbLb1EES1B_IbLb0EEEEDaS17_S18_EUlS17_E_NS1_11comp_targetILNS1_3genE5ELNS1_11target_archE942ELNS1_3gpuE9ELNS1_3repE0EEENS1_30default_config_static_selectorELNS0_4arch9wavefront6targetE1EEEvT1_.kd
    .uniform_work_group_size: 1
    .uses_dynamic_stack: false
    .vgpr_count:     0
    .vgpr_spill_count: 0
    .wavefront_size: 64
  - .agpr_count:     0
    .args:
      - .offset:         0
        .size:           120
        .value_kind:     by_value
    .group_segment_fixed_size: 0
    .kernarg_segment_align: 8
    .kernarg_segment_size: 120
    .language:       OpenCL C
    .language_version:
      - 2
      - 0
    .max_flat_workgroup_size: 256
    .name:           _ZN7rocprim17ROCPRIM_400000_NS6detail17trampoline_kernelINS0_14default_configENS1_25partition_config_selectorILNS1_17partition_subalgoE8ElNS0_10empty_typeEbEEZZNS1_14partition_implILS5_8ELb0ES3_jPlPS6_PKS6_NS0_5tupleIJS9_S6_EEENSD_IJSA_SA_EEENS0_18inequality_wrapperIZN2at6native12_GLOBAL__N_124unique_dim_cuda_templateIiEESt5tupleIJNSH_6TensorESM_SM_EERKSM_lbbbEUlllE0_EEPmJS6_EEE10hipError_tPvRmT3_T4_T5_T6_T7_T9_mT8_P12ihipStream_tbDpT10_ENKUlT_T0_E_clISt17integral_constantIbLb1EES1B_IbLb0EEEEDaS17_S18_EUlS17_E_NS1_11comp_targetILNS1_3genE4ELNS1_11target_archE910ELNS1_3gpuE8ELNS1_3repE0EEENS1_30default_config_static_selectorELNS0_4arch9wavefront6targetE1EEEvT1_
    .private_segment_fixed_size: 0
    .sgpr_count:     6
    .sgpr_spill_count: 0
    .symbol:         _ZN7rocprim17ROCPRIM_400000_NS6detail17trampoline_kernelINS0_14default_configENS1_25partition_config_selectorILNS1_17partition_subalgoE8ElNS0_10empty_typeEbEEZZNS1_14partition_implILS5_8ELb0ES3_jPlPS6_PKS6_NS0_5tupleIJS9_S6_EEENSD_IJSA_SA_EEENS0_18inequality_wrapperIZN2at6native12_GLOBAL__N_124unique_dim_cuda_templateIiEESt5tupleIJNSH_6TensorESM_SM_EERKSM_lbbbEUlllE0_EEPmJS6_EEE10hipError_tPvRmT3_T4_T5_T6_T7_T9_mT8_P12ihipStream_tbDpT10_ENKUlT_T0_E_clISt17integral_constantIbLb1EES1B_IbLb0EEEEDaS17_S18_EUlS17_E_NS1_11comp_targetILNS1_3genE4ELNS1_11target_archE910ELNS1_3gpuE8ELNS1_3repE0EEENS1_30default_config_static_selectorELNS0_4arch9wavefront6targetE1EEEvT1_.kd
    .uniform_work_group_size: 1
    .uses_dynamic_stack: false
    .vgpr_count:     0
    .vgpr_spill_count: 0
    .wavefront_size: 64
  - .agpr_count:     0
    .args:
      - .offset:         0
        .size:           120
        .value_kind:     by_value
    .group_segment_fixed_size: 0
    .kernarg_segment_align: 8
    .kernarg_segment_size: 120
    .language:       OpenCL C
    .language_version:
      - 2
      - 0
    .max_flat_workgroup_size: 512
    .name:           _ZN7rocprim17ROCPRIM_400000_NS6detail17trampoline_kernelINS0_14default_configENS1_25partition_config_selectorILNS1_17partition_subalgoE8ElNS0_10empty_typeEbEEZZNS1_14partition_implILS5_8ELb0ES3_jPlPS6_PKS6_NS0_5tupleIJS9_S6_EEENSD_IJSA_SA_EEENS0_18inequality_wrapperIZN2at6native12_GLOBAL__N_124unique_dim_cuda_templateIiEESt5tupleIJNSH_6TensorESM_SM_EERKSM_lbbbEUlllE0_EEPmJS6_EEE10hipError_tPvRmT3_T4_T5_T6_T7_T9_mT8_P12ihipStream_tbDpT10_ENKUlT_T0_E_clISt17integral_constantIbLb1EES1B_IbLb0EEEEDaS17_S18_EUlS17_E_NS1_11comp_targetILNS1_3genE3ELNS1_11target_archE908ELNS1_3gpuE7ELNS1_3repE0EEENS1_30default_config_static_selectorELNS0_4arch9wavefront6targetE1EEEvT1_
    .private_segment_fixed_size: 0
    .sgpr_count:     6
    .sgpr_spill_count: 0
    .symbol:         _ZN7rocprim17ROCPRIM_400000_NS6detail17trampoline_kernelINS0_14default_configENS1_25partition_config_selectorILNS1_17partition_subalgoE8ElNS0_10empty_typeEbEEZZNS1_14partition_implILS5_8ELb0ES3_jPlPS6_PKS6_NS0_5tupleIJS9_S6_EEENSD_IJSA_SA_EEENS0_18inequality_wrapperIZN2at6native12_GLOBAL__N_124unique_dim_cuda_templateIiEESt5tupleIJNSH_6TensorESM_SM_EERKSM_lbbbEUlllE0_EEPmJS6_EEE10hipError_tPvRmT3_T4_T5_T6_T7_T9_mT8_P12ihipStream_tbDpT10_ENKUlT_T0_E_clISt17integral_constantIbLb1EES1B_IbLb0EEEEDaS17_S18_EUlS17_E_NS1_11comp_targetILNS1_3genE3ELNS1_11target_archE908ELNS1_3gpuE7ELNS1_3repE0EEENS1_30default_config_static_selectorELNS0_4arch9wavefront6targetE1EEEvT1_.kd
    .uniform_work_group_size: 1
    .uses_dynamic_stack: false
    .vgpr_count:     0
    .vgpr_spill_count: 0
    .wavefront_size: 64
  - .agpr_count:     0
    .args:
      - .offset:         0
        .size:           120
        .value_kind:     by_value
    .group_segment_fixed_size: 0
    .kernarg_segment_align: 8
    .kernarg_segment_size: 120
    .language:       OpenCL C
    .language_version:
      - 2
      - 0
    .max_flat_workgroup_size: 256
    .name:           _ZN7rocprim17ROCPRIM_400000_NS6detail17trampoline_kernelINS0_14default_configENS1_25partition_config_selectorILNS1_17partition_subalgoE8ElNS0_10empty_typeEbEEZZNS1_14partition_implILS5_8ELb0ES3_jPlPS6_PKS6_NS0_5tupleIJS9_S6_EEENSD_IJSA_SA_EEENS0_18inequality_wrapperIZN2at6native12_GLOBAL__N_124unique_dim_cuda_templateIiEESt5tupleIJNSH_6TensorESM_SM_EERKSM_lbbbEUlllE0_EEPmJS6_EEE10hipError_tPvRmT3_T4_T5_T6_T7_T9_mT8_P12ihipStream_tbDpT10_ENKUlT_T0_E_clISt17integral_constantIbLb1EES1B_IbLb0EEEEDaS17_S18_EUlS17_E_NS1_11comp_targetILNS1_3genE2ELNS1_11target_archE906ELNS1_3gpuE6ELNS1_3repE0EEENS1_30default_config_static_selectorELNS0_4arch9wavefront6targetE1EEEvT1_
    .private_segment_fixed_size: 0
    .sgpr_count:     6
    .sgpr_spill_count: 0
    .symbol:         _ZN7rocprim17ROCPRIM_400000_NS6detail17trampoline_kernelINS0_14default_configENS1_25partition_config_selectorILNS1_17partition_subalgoE8ElNS0_10empty_typeEbEEZZNS1_14partition_implILS5_8ELb0ES3_jPlPS6_PKS6_NS0_5tupleIJS9_S6_EEENSD_IJSA_SA_EEENS0_18inequality_wrapperIZN2at6native12_GLOBAL__N_124unique_dim_cuda_templateIiEESt5tupleIJNSH_6TensorESM_SM_EERKSM_lbbbEUlllE0_EEPmJS6_EEE10hipError_tPvRmT3_T4_T5_T6_T7_T9_mT8_P12ihipStream_tbDpT10_ENKUlT_T0_E_clISt17integral_constantIbLb1EES1B_IbLb0EEEEDaS17_S18_EUlS17_E_NS1_11comp_targetILNS1_3genE2ELNS1_11target_archE906ELNS1_3gpuE6ELNS1_3repE0EEENS1_30default_config_static_selectorELNS0_4arch9wavefront6targetE1EEEvT1_.kd
    .uniform_work_group_size: 1
    .uses_dynamic_stack: false
    .vgpr_count:     0
    .vgpr_spill_count: 0
    .wavefront_size: 64
  - .agpr_count:     0
    .args:
      - .offset:         0
        .size:           120
        .value_kind:     by_value
    .group_segment_fixed_size: 0
    .kernarg_segment_align: 8
    .kernarg_segment_size: 120
    .language:       OpenCL C
    .language_version:
      - 2
      - 0
    .max_flat_workgroup_size: 384
    .name:           _ZN7rocprim17ROCPRIM_400000_NS6detail17trampoline_kernelINS0_14default_configENS1_25partition_config_selectorILNS1_17partition_subalgoE8ElNS0_10empty_typeEbEEZZNS1_14partition_implILS5_8ELb0ES3_jPlPS6_PKS6_NS0_5tupleIJS9_S6_EEENSD_IJSA_SA_EEENS0_18inequality_wrapperIZN2at6native12_GLOBAL__N_124unique_dim_cuda_templateIiEESt5tupleIJNSH_6TensorESM_SM_EERKSM_lbbbEUlllE0_EEPmJS6_EEE10hipError_tPvRmT3_T4_T5_T6_T7_T9_mT8_P12ihipStream_tbDpT10_ENKUlT_T0_E_clISt17integral_constantIbLb1EES1B_IbLb0EEEEDaS17_S18_EUlS17_E_NS1_11comp_targetILNS1_3genE10ELNS1_11target_archE1200ELNS1_3gpuE4ELNS1_3repE0EEENS1_30default_config_static_selectorELNS0_4arch9wavefront6targetE1EEEvT1_
    .private_segment_fixed_size: 0
    .sgpr_count:     6
    .sgpr_spill_count: 0
    .symbol:         _ZN7rocprim17ROCPRIM_400000_NS6detail17trampoline_kernelINS0_14default_configENS1_25partition_config_selectorILNS1_17partition_subalgoE8ElNS0_10empty_typeEbEEZZNS1_14partition_implILS5_8ELb0ES3_jPlPS6_PKS6_NS0_5tupleIJS9_S6_EEENSD_IJSA_SA_EEENS0_18inequality_wrapperIZN2at6native12_GLOBAL__N_124unique_dim_cuda_templateIiEESt5tupleIJNSH_6TensorESM_SM_EERKSM_lbbbEUlllE0_EEPmJS6_EEE10hipError_tPvRmT3_T4_T5_T6_T7_T9_mT8_P12ihipStream_tbDpT10_ENKUlT_T0_E_clISt17integral_constantIbLb1EES1B_IbLb0EEEEDaS17_S18_EUlS17_E_NS1_11comp_targetILNS1_3genE10ELNS1_11target_archE1200ELNS1_3gpuE4ELNS1_3repE0EEENS1_30default_config_static_selectorELNS0_4arch9wavefront6targetE1EEEvT1_.kd
    .uniform_work_group_size: 1
    .uses_dynamic_stack: false
    .vgpr_count:     0
    .vgpr_spill_count: 0
    .wavefront_size: 64
  - .agpr_count:     0
    .args:
      - .offset:         0
        .size:           120
        .value_kind:     by_value
    .group_segment_fixed_size: 0
    .kernarg_segment_align: 8
    .kernarg_segment_size: 120
    .language:       OpenCL C
    .language_version:
      - 2
      - 0
    .max_flat_workgroup_size: 512
    .name:           _ZN7rocprim17ROCPRIM_400000_NS6detail17trampoline_kernelINS0_14default_configENS1_25partition_config_selectorILNS1_17partition_subalgoE8ElNS0_10empty_typeEbEEZZNS1_14partition_implILS5_8ELb0ES3_jPlPS6_PKS6_NS0_5tupleIJS9_S6_EEENSD_IJSA_SA_EEENS0_18inequality_wrapperIZN2at6native12_GLOBAL__N_124unique_dim_cuda_templateIiEESt5tupleIJNSH_6TensorESM_SM_EERKSM_lbbbEUlllE0_EEPmJS6_EEE10hipError_tPvRmT3_T4_T5_T6_T7_T9_mT8_P12ihipStream_tbDpT10_ENKUlT_T0_E_clISt17integral_constantIbLb1EES1B_IbLb0EEEEDaS17_S18_EUlS17_E_NS1_11comp_targetILNS1_3genE9ELNS1_11target_archE1100ELNS1_3gpuE3ELNS1_3repE0EEENS1_30default_config_static_selectorELNS0_4arch9wavefront6targetE1EEEvT1_
    .private_segment_fixed_size: 0
    .sgpr_count:     6
    .sgpr_spill_count: 0
    .symbol:         _ZN7rocprim17ROCPRIM_400000_NS6detail17trampoline_kernelINS0_14default_configENS1_25partition_config_selectorILNS1_17partition_subalgoE8ElNS0_10empty_typeEbEEZZNS1_14partition_implILS5_8ELb0ES3_jPlPS6_PKS6_NS0_5tupleIJS9_S6_EEENSD_IJSA_SA_EEENS0_18inequality_wrapperIZN2at6native12_GLOBAL__N_124unique_dim_cuda_templateIiEESt5tupleIJNSH_6TensorESM_SM_EERKSM_lbbbEUlllE0_EEPmJS6_EEE10hipError_tPvRmT3_T4_T5_T6_T7_T9_mT8_P12ihipStream_tbDpT10_ENKUlT_T0_E_clISt17integral_constantIbLb1EES1B_IbLb0EEEEDaS17_S18_EUlS17_E_NS1_11comp_targetILNS1_3genE9ELNS1_11target_archE1100ELNS1_3gpuE3ELNS1_3repE0EEENS1_30default_config_static_selectorELNS0_4arch9wavefront6targetE1EEEvT1_.kd
    .uniform_work_group_size: 1
    .uses_dynamic_stack: false
    .vgpr_count:     0
    .vgpr_spill_count: 0
    .wavefront_size: 64
  - .agpr_count:     0
    .args:
      - .offset:         0
        .size:           120
        .value_kind:     by_value
    .group_segment_fixed_size: 0
    .kernarg_segment_align: 8
    .kernarg_segment_size: 120
    .language:       OpenCL C
    .language_version:
      - 2
      - 0
    .max_flat_workgroup_size: 512
    .name:           _ZN7rocprim17ROCPRIM_400000_NS6detail17trampoline_kernelINS0_14default_configENS1_25partition_config_selectorILNS1_17partition_subalgoE8ElNS0_10empty_typeEbEEZZNS1_14partition_implILS5_8ELb0ES3_jPlPS6_PKS6_NS0_5tupleIJS9_S6_EEENSD_IJSA_SA_EEENS0_18inequality_wrapperIZN2at6native12_GLOBAL__N_124unique_dim_cuda_templateIiEESt5tupleIJNSH_6TensorESM_SM_EERKSM_lbbbEUlllE0_EEPmJS6_EEE10hipError_tPvRmT3_T4_T5_T6_T7_T9_mT8_P12ihipStream_tbDpT10_ENKUlT_T0_E_clISt17integral_constantIbLb1EES1B_IbLb0EEEEDaS17_S18_EUlS17_E_NS1_11comp_targetILNS1_3genE8ELNS1_11target_archE1030ELNS1_3gpuE2ELNS1_3repE0EEENS1_30default_config_static_selectorELNS0_4arch9wavefront6targetE1EEEvT1_
    .private_segment_fixed_size: 0
    .sgpr_count:     6
    .sgpr_spill_count: 0
    .symbol:         _ZN7rocprim17ROCPRIM_400000_NS6detail17trampoline_kernelINS0_14default_configENS1_25partition_config_selectorILNS1_17partition_subalgoE8ElNS0_10empty_typeEbEEZZNS1_14partition_implILS5_8ELb0ES3_jPlPS6_PKS6_NS0_5tupleIJS9_S6_EEENSD_IJSA_SA_EEENS0_18inequality_wrapperIZN2at6native12_GLOBAL__N_124unique_dim_cuda_templateIiEESt5tupleIJNSH_6TensorESM_SM_EERKSM_lbbbEUlllE0_EEPmJS6_EEE10hipError_tPvRmT3_T4_T5_T6_T7_T9_mT8_P12ihipStream_tbDpT10_ENKUlT_T0_E_clISt17integral_constantIbLb1EES1B_IbLb0EEEEDaS17_S18_EUlS17_E_NS1_11comp_targetILNS1_3genE8ELNS1_11target_archE1030ELNS1_3gpuE2ELNS1_3repE0EEENS1_30default_config_static_selectorELNS0_4arch9wavefront6targetE1EEEvT1_.kd
    .uniform_work_group_size: 1
    .uses_dynamic_stack: false
    .vgpr_count:     0
    .vgpr_spill_count: 0
    .wavefront_size: 64
  - .agpr_count:     0
    .args:
      - .offset:         0
        .size:           136
        .value_kind:     by_value
    .group_segment_fixed_size: 28680
    .kernarg_segment_align: 8
    .kernarg_segment_size: 136
    .language:       OpenCL C
    .language_version:
      - 2
      - 0
    .max_flat_workgroup_size: 512
    .name:           _ZN7rocprim17ROCPRIM_400000_NS6detail17trampoline_kernelINS0_14default_configENS1_25partition_config_selectorILNS1_17partition_subalgoE8ElNS0_10empty_typeEbEEZZNS1_14partition_implILS5_8ELb0ES3_jPlPS6_PKS6_NS0_5tupleIJS9_S6_EEENSD_IJSA_SA_EEENS0_18inequality_wrapperIZN2at6native12_GLOBAL__N_124unique_dim_cuda_templateIiEESt5tupleIJNSH_6TensorESM_SM_EERKSM_lbbbEUlllE0_EEPmJS6_EEE10hipError_tPvRmT3_T4_T5_T6_T7_T9_mT8_P12ihipStream_tbDpT10_ENKUlT_T0_E_clISt17integral_constantIbLb0EES1B_IbLb1EEEEDaS17_S18_EUlS17_E_NS1_11comp_targetILNS1_3genE0ELNS1_11target_archE4294967295ELNS1_3gpuE0ELNS1_3repE0EEENS1_30default_config_static_selectorELNS0_4arch9wavefront6targetE1EEEvT1_
    .private_segment_fixed_size: 0
    .sgpr_count:     60
    .sgpr_spill_count: 0
    .symbol:         _ZN7rocprim17ROCPRIM_400000_NS6detail17trampoline_kernelINS0_14default_configENS1_25partition_config_selectorILNS1_17partition_subalgoE8ElNS0_10empty_typeEbEEZZNS1_14partition_implILS5_8ELb0ES3_jPlPS6_PKS6_NS0_5tupleIJS9_S6_EEENSD_IJSA_SA_EEENS0_18inequality_wrapperIZN2at6native12_GLOBAL__N_124unique_dim_cuda_templateIiEESt5tupleIJNSH_6TensorESM_SM_EERKSM_lbbbEUlllE0_EEPmJS6_EEE10hipError_tPvRmT3_T4_T5_T6_T7_T9_mT8_P12ihipStream_tbDpT10_ENKUlT_T0_E_clISt17integral_constantIbLb0EES1B_IbLb1EEEEDaS17_S18_EUlS17_E_NS1_11comp_targetILNS1_3genE0ELNS1_11target_archE4294967295ELNS1_3gpuE0ELNS1_3repE0EEENS1_30default_config_static_selectorELNS0_4arch9wavefront6targetE1EEEvT1_.kd
    .uniform_work_group_size: 1
    .uses_dynamic_stack: false
    .vgpr_count:     58
    .vgpr_spill_count: 0
    .wavefront_size: 64
  - .agpr_count:     0
    .args:
      - .offset:         0
        .size:           136
        .value_kind:     by_value
    .group_segment_fixed_size: 0
    .kernarg_segment_align: 8
    .kernarg_segment_size: 136
    .language:       OpenCL C
    .language_version:
      - 2
      - 0
    .max_flat_workgroup_size: 512
    .name:           _ZN7rocprim17ROCPRIM_400000_NS6detail17trampoline_kernelINS0_14default_configENS1_25partition_config_selectorILNS1_17partition_subalgoE8ElNS0_10empty_typeEbEEZZNS1_14partition_implILS5_8ELb0ES3_jPlPS6_PKS6_NS0_5tupleIJS9_S6_EEENSD_IJSA_SA_EEENS0_18inequality_wrapperIZN2at6native12_GLOBAL__N_124unique_dim_cuda_templateIiEESt5tupleIJNSH_6TensorESM_SM_EERKSM_lbbbEUlllE0_EEPmJS6_EEE10hipError_tPvRmT3_T4_T5_T6_T7_T9_mT8_P12ihipStream_tbDpT10_ENKUlT_T0_E_clISt17integral_constantIbLb0EES1B_IbLb1EEEEDaS17_S18_EUlS17_E_NS1_11comp_targetILNS1_3genE5ELNS1_11target_archE942ELNS1_3gpuE9ELNS1_3repE0EEENS1_30default_config_static_selectorELNS0_4arch9wavefront6targetE1EEEvT1_
    .private_segment_fixed_size: 0
    .sgpr_count:     6
    .sgpr_spill_count: 0
    .symbol:         _ZN7rocprim17ROCPRIM_400000_NS6detail17trampoline_kernelINS0_14default_configENS1_25partition_config_selectorILNS1_17partition_subalgoE8ElNS0_10empty_typeEbEEZZNS1_14partition_implILS5_8ELb0ES3_jPlPS6_PKS6_NS0_5tupleIJS9_S6_EEENSD_IJSA_SA_EEENS0_18inequality_wrapperIZN2at6native12_GLOBAL__N_124unique_dim_cuda_templateIiEESt5tupleIJNSH_6TensorESM_SM_EERKSM_lbbbEUlllE0_EEPmJS6_EEE10hipError_tPvRmT3_T4_T5_T6_T7_T9_mT8_P12ihipStream_tbDpT10_ENKUlT_T0_E_clISt17integral_constantIbLb0EES1B_IbLb1EEEEDaS17_S18_EUlS17_E_NS1_11comp_targetILNS1_3genE5ELNS1_11target_archE942ELNS1_3gpuE9ELNS1_3repE0EEENS1_30default_config_static_selectorELNS0_4arch9wavefront6targetE1EEEvT1_.kd
    .uniform_work_group_size: 1
    .uses_dynamic_stack: false
    .vgpr_count:     0
    .vgpr_spill_count: 0
    .wavefront_size: 64
  - .agpr_count:     0
    .args:
      - .offset:         0
        .size:           136
        .value_kind:     by_value
    .group_segment_fixed_size: 0
    .kernarg_segment_align: 8
    .kernarg_segment_size: 136
    .language:       OpenCL C
    .language_version:
      - 2
      - 0
    .max_flat_workgroup_size: 256
    .name:           _ZN7rocprim17ROCPRIM_400000_NS6detail17trampoline_kernelINS0_14default_configENS1_25partition_config_selectorILNS1_17partition_subalgoE8ElNS0_10empty_typeEbEEZZNS1_14partition_implILS5_8ELb0ES3_jPlPS6_PKS6_NS0_5tupleIJS9_S6_EEENSD_IJSA_SA_EEENS0_18inequality_wrapperIZN2at6native12_GLOBAL__N_124unique_dim_cuda_templateIiEESt5tupleIJNSH_6TensorESM_SM_EERKSM_lbbbEUlllE0_EEPmJS6_EEE10hipError_tPvRmT3_T4_T5_T6_T7_T9_mT8_P12ihipStream_tbDpT10_ENKUlT_T0_E_clISt17integral_constantIbLb0EES1B_IbLb1EEEEDaS17_S18_EUlS17_E_NS1_11comp_targetILNS1_3genE4ELNS1_11target_archE910ELNS1_3gpuE8ELNS1_3repE0EEENS1_30default_config_static_selectorELNS0_4arch9wavefront6targetE1EEEvT1_
    .private_segment_fixed_size: 0
    .sgpr_count:     6
    .sgpr_spill_count: 0
    .symbol:         _ZN7rocprim17ROCPRIM_400000_NS6detail17trampoline_kernelINS0_14default_configENS1_25partition_config_selectorILNS1_17partition_subalgoE8ElNS0_10empty_typeEbEEZZNS1_14partition_implILS5_8ELb0ES3_jPlPS6_PKS6_NS0_5tupleIJS9_S6_EEENSD_IJSA_SA_EEENS0_18inequality_wrapperIZN2at6native12_GLOBAL__N_124unique_dim_cuda_templateIiEESt5tupleIJNSH_6TensorESM_SM_EERKSM_lbbbEUlllE0_EEPmJS6_EEE10hipError_tPvRmT3_T4_T5_T6_T7_T9_mT8_P12ihipStream_tbDpT10_ENKUlT_T0_E_clISt17integral_constantIbLb0EES1B_IbLb1EEEEDaS17_S18_EUlS17_E_NS1_11comp_targetILNS1_3genE4ELNS1_11target_archE910ELNS1_3gpuE8ELNS1_3repE0EEENS1_30default_config_static_selectorELNS0_4arch9wavefront6targetE1EEEvT1_.kd
    .uniform_work_group_size: 1
    .uses_dynamic_stack: false
    .vgpr_count:     0
    .vgpr_spill_count: 0
    .wavefront_size: 64
  - .agpr_count:     0
    .args:
      - .offset:         0
        .size:           136
        .value_kind:     by_value
    .group_segment_fixed_size: 0
    .kernarg_segment_align: 8
    .kernarg_segment_size: 136
    .language:       OpenCL C
    .language_version:
      - 2
      - 0
    .max_flat_workgroup_size: 512
    .name:           _ZN7rocprim17ROCPRIM_400000_NS6detail17trampoline_kernelINS0_14default_configENS1_25partition_config_selectorILNS1_17partition_subalgoE8ElNS0_10empty_typeEbEEZZNS1_14partition_implILS5_8ELb0ES3_jPlPS6_PKS6_NS0_5tupleIJS9_S6_EEENSD_IJSA_SA_EEENS0_18inequality_wrapperIZN2at6native12_GLOBAL__N_124unique_dim_cuda_templateIiEESt5tupleIJNSH_6TensorESM_SM_EERKSM_lbbbEUlllE0_EEPmJS6_EEE10hipError_tPvRmT3_T4_T5_T6_T7_T9_mT8_P12ihipStream_tbDpT10_ENKUlT_T0_E_clISt17integral_constantIbLb0EES1B_IbLb1EEEEDaS17_S18_EUlS17_E_NS1_11comp_targetILNS1_3genE3ELNS1_11target_archE908ELNS1_3gpuE7ELNS1_3repE0EEENS1_30default_config_static_selectorELNS0_4arch9wavefront6targetE1EEEvT1_
    .private_segment_fixed_size: 0
    .sgpr_count:     6
    .sgpr_spill_count: 0
    .symbol:         _ZN7rocprim17ROCPRIM_400000_NS6detail17trampoline_kernelINS0_14default_configENS1_25partition_config_selectorILNS1_17partition_subalgoE8ElNS0_10empty_typeEbEEZZNS1_14partition_implILS5_8ELb0ES3_jPlPS6_PKS6_NS0_5tupleIJS9_S6_EEENSD_IJSA_SA_EEENS0_18inequality_wrapperIZN2at6native12_GLOBAL__N_124unique_dim_cuda_templateIiEESt5tupleIJNSH_6TensorESM_SM_EERKSM_lbbbEUlllE0_EEPmJS6_EEE10hipError_tPvRmT3_T4_T5_T6_T7_T9_mT8_P12ihipStream_tbDpT10_ENKUlT_T0_E_clISt17integral_constantIbLb0EES1B_IbLb1EEEEDaS17_S18_EUlS17_E_NS1_11comp_targetILNS1_3genE3ELNS1_11target_archE908ELNS1_3gpuE7ELNS1_3repE0EEENS1_30default_config_static_selectorELNS0_4arch9wavefront6targetE1EEEvT1_.kd
    .uniform_work_group_size: 1
    .uses_dynamic_stack: false
    .vgpr_count:     0
    .vgpr_spill_count: 0
    .wavefront_size: 64
  - .agpr_count:     0
    .args:
      - .offset:         0
        .size:           136
        .value_kind:     by_value
    .group_segment_fixed_size: 0
    .kernarg_segment_align: 8
    .kernarg_segment_size: 136
    .language:       OpenCL C
    .language_version:
      - 2
      - 0
    .max_flat_workgroup_size: 256
    .name:           _ZN7rocprim17ROCPRIM_400000_NS6detail17trampoline_kernelINS0_14default_configENS1_25partition_config_selectorILNS1_17partition_subalgoE8ElNS0_10empty_typeEbEEZZNS1_14partition_implILS5_8ELb0ES3_jPlPS6_PKS6_NS0_5tupleIJS9_S6_EEENSD_IJSA_SA_EEENS0_18inequality_wrapperIZN2at6native12_GLOBAL__N_124unique_dim_cuda_templateIiEESt5tupleIJNSH_6TensorESM_SM_EERKSM_lbbbEUlllE0_EEPmJS6_EEE10hipError_tPvRmT3_T4_T5_T6_T7_T9_mT8_P12ihipStream_tbDpT10_ENKUlT_T0_E_clISt17integral_constantIbLb0EES1B_IbLb1EEEEDaS17_S18_EUlS17_E_NS1_11comp_targetILNS1_3genE2ELNS1_11target_archE906ELNS1_3gpuE6ELNS1_3repE0EEENS1_30default_config_static_selectorELNS0_4arch9wavefront6targetE1EEEvT1_
    .private_segment_fixed_size: 0
    .sgpr_count:     6
    .sgpr_spill_count: 0
    .symbol:         _ZN7rocprim17ROCPRIM_400000_NS6detail17trampoline_kernelINS0_14default_configENS1_25partition_config_selectorILNS1_17partition_subalgoE8ElNS0_10empty_typeEbEEZZNS1_14partition_implILS5_8ELb0ES3_jPlPS6_PKS6_NS0_5tupleIJS9_S6_EEENSD_IJSA_SA_EEENS0_18inequality_wrapperIZN2at6native12_GLOBAL__N_124unique_dim_cuda_templateIiEESt5tupleIJNSH_6TensorESM_SM_EERKSM_lbbbEUlllE0_EEPmJS6_EEE10hipError_tPvRmT3_T4_T5_T6_T7_T9_mT8_P12ihipStream_tbDpT10_ENKUlT_T0_E_clISt17integral_constantIbLb0EES1B_IbLb1EEEEDaS17_S18_EUlS17_E_NS1_11comp_targetILNS1_3genE2ELNS1_11target_archE906ELNS1_3gpuE6ELNS1_3repE0EEENS1_30default_config_static_selectorELNS0_4arch9wavefront6targetE1EEEvT1_.kd
    .uniform_work_group_size: 1
    .uses_dynamic_stack: false
    .vgpr_count:     0
    .vgpr_spill_count: 0
    .wavefront_size: 64
  - .agpr_count:     0
    .args:
      - .offset:         0
        .size:           136
        .value_kind:     by_value
    .group_segment_fixed_size: 0
    .kernarg_segment_align: 8
    .kernarg_segment_size: 136
    .language:       OpenCL C
    .language_version:
      - 2
      - 0
    .max_flat_workgroup_size: 384
    .name:           _ZN7rocprim17ROCPRIM_400000_NS6detail17trampoline_kernelINS0_14default_configENS1_25partition_config_selectorILNS1_17partition_subalgoE8ElNS0_10empty_typeEbEEZZNS1_14partition_implILS5_8ELb0ES3_jPlPS6_PKS6_NS0_5tupleIJS9_S6_EEENSD_IJSA_SA_EEENS0_18inequality_wrapperIZN2at6native12_GLOBAL__N_124unique_dim_cuda_templateIiEESt5tupleIJNSH_6TensorESM_SM_EERKSM_lbbbEUlllE0_EEPmJS6_EEE10hipError_tPvRmT3_T4_T5_T6_T7_T9_mT8_P12ihipStream_tbDpT10_ENKUlT_T0_E_clISt17integral_constantIbLb0EES1B_IbLb1EEEEDaS17_S18_EUlS17_E_NS1_11comp_targetILNS1_3genE10ELNS1_11target_archE1200ELNS1_3gpuE4ELNS1_3repE0EEENS1_30default_config_static_selectorELNS0_4arch9wavefront6targetE1EEEvT1_
    .private_segment_fixed_size: 0
    .sgpr_count:     6
    .sgpr_spill_count: 0
    .symbol:         _ZN7rocprim17ROCPRIM_400000_NS6detail17trampoline_kernelINS0_14default_configENS1_25partition_config_selectorILNS1_17partition_subalgoE8ElNS0_10empty_typeEbEEZZNS1_14partition_implILS5_8ELb0ES3_jPlPS6_PKS6_NS0_5tupleIJS9_S6_EEENSD_IJSA_SA_EEENS0_18inequality_wrapperIZN2at6native12_GLOBAL__N_124unique_dim_cuda_templateIiEESt5tupleIJNSH_6TensorESM_SM_EERKSM_lbbbEUlllE0_EEPmJS6_EEE10hipError_tPvRmT3_T4_T5_T6_T7_T9_mT8_P12ihipStream_tbDpT10_ENKUlT_T0_E_clISt17integral_constantIbLb0EES1B_IbLb1EEEEDaS17_S18_EUlS17_E_NS1_11comp_targetILNS1_3genE10ELNS1_11target_archE1200ELNS1_3gpuE4ELNS1_3repE0EEENS1_30default_config_static_selectorELNS0_4arch9wavefront6targetE1EEEvT1_.kd
    .uniform_work_group_size: 1
    .uses_dynamic_stack: false
    .vgpr_count:     0
    .vgpr_spill_count: 0
    .wavefront_size: 64
  - .agpr_count:     0
    .args:
      - .offset:         0
        .size:           136
        .value_kind:     by_value
    .group_segment_fixed_size: 0
    .kernarg_segment_align: 8
    .kernarg_segment_size: 136
    .language:       OpenCL C
    .language_version:
      - 2
      - 0
    .max_flat_workgroup_size: 512
    .name:           _ZN7rocprim17ROCPRIM_400000_NS6detail17trampoline_kernelINS0_14default_configENS1_25partition_config_selectorILNS1_17partition_subalgoE8ElNS0_10empty_typeEbEEZZNS1_14partition_implILS5_8ELb0ES3_jPlPS6_PKS6_NS0_5tupleIJS9_S6_EEENSD_IJSA_SA_EEENS0_18inequality_wrapperIZN2at6native12_GLOBAL__N_124unique_dim_cuda_templateIiEESt5tupleIJNSH_6TensorESM_SM_EERKSM_lbbbEUlllE0_EEPmJS6_EEE10hipError_tPvRmT3_T4_T5_T6_T7_T9_mT8_P12ihipStream_tbDpT10_ENKUlT_T0_E_clISt17integral_constantIbLb0EES1B_IbLb1EEEEDaS17_S18_EUlS17_E_NS1_11comp_targetILNS1_3genE9ELNS1_11target_archE1100ELNS1_3gpuE3ELNS1_3repE0EEENS1_30default_config_static_selectorELNS0_4arch9wavefront6targetE1EEEvT1_
    .private_segment_fixed_size: 0
    .sgpr_count:     6
    .sgpr_spill_count: 0
    .symbol:         _ZN7rocprim17ROCPRIM_400000_NS6detail17trampoline_kernelINS0_14default_configENS1_25partition_config_selectorILNS1_17partition_subalgoE8ElNS0_10empty_typeEbEEZZNS1_14partition_implILS5_8ELb0ES3_jPlPS6_PKS6_NS0_5tupleIJS9_S6_EEENSD_IJSA_SA_EEENS0_18inequality_wrapperIZN2at6native12_GLOBAL__N_124unique_dim_cuda_templateIiEESt5tupleIJNSH_6TensorESM_SM_EERKSM_lbbbEUlllE0_EEPmJS6_EEE10hipError_tPvRmT3_T4_T5_T6_T7_T9_mT8_P12ihipStream_tbDpT10_ENKUlT_T0_E_clISt17integral_constantIbLb0EES1B_IbLb1EEEEDaS17_S18_EUlS17_E_NS1_11comp_targetILNS1_3genE9ELNS1_11target_archE1100ELNS1_3gpuE3ELNS1_3repE0EEENS1_30default_config_static_selectorELNS0_4arch9wavefront6targetE1EEEvT1_.kd
    .uniform_work_group_size: 1
    .uses_dynamic_stack: false
    .vgpr_count:     0
    .vgpr_spill_count: 0
    .wavefront_size: 64
  - .agpr_count:     0
    .args:
      - .offset:         0
        .size:           136
        .value_kind:     by_value
    .group_segment_fixed_size: 0
    .kernarg_segment_align: 8
    .kernarg_segment_size: 136
    .language:       OpenCL C
    .language_version:
      - 2
      - 0
    .max_flat_workgroup_size: 512
    .name:           _ZN7rocprim17ROCPRIM_400000_NS6detail17trampoline_kernelINS0_14default_configENS1_25partition_config_selectorILNS1_17partition_subalgoE8ElNS0_10empty_typeEbEEZZNS1_14partition_implILS5_8ELb0ES3_jPlPS6_PKS6_NS0_5tupleIJS9_S6_EEENSD_IJSA_SA_EEENS0_18inequality_wrapperIZN2at6native12_GLOBAL__N_124unique_dim_cuda_templateIiEESt5tupleIJNSH_6TensorESM_SM_EERKSM_lbbbEUlllE0_EEPmJS6_EEE10hipError_tPvRmT3_T4_T5_T6_T7_T9_mT8_P12ihipStream_tbDpT10_ENKUlT_T0_E_clISt17integral_constantIbLb0EES1B_IbLb1EEEEDaS17_S18_EUlS17_E_NS1_11comp_targetILNS1_3genE8ELNS1_11target_archE1030ELNS1_3gpuE2ELNS1_3repE0EEENS1_30default_config_static_selectorELNS0_4arch9wavefront6targetE1EEEvT1_
    .private_segment_fixed_size: 0
    .sgpr_count:     6
    .sgpr_spill_count: 0
    .symbol:         _ZN7rocprim17ROCPRIM_400000_NS6detail17trampoline_kernelINS0_14default_configENS1_25partition_config_selectorILNS1_17partition_subalgoE8ElNS0_10empty_typeEbEEZZNS1_14partition_implILS5_8ELb0ES3_jPlPS6_PKS6_NS0_5tupleIJS9_S6_EEENSD_IJSA_SA_EEENS0_18inequality_wrapperIZN2at6native12_GLOBAL__N_124unique_dim_cuda_templateIiEESt5tupleIJNSH_6TensorESM_SM_EERKSM_lbbbEUlllE0_EEPmJS6_EEE10hipError_tPvRmT3_T4_T5_T6_T7_T9_mT8_P12ihipStream_tbDpT10_ENKUlT_T0_E_clISt17integral_constantIbLb0EES1B_IbLb1EEEEDaS17_S18_EUlS17_E_NS1_11comp_targetILNS1_3genE8ELNS1_11target_archE1030ELNS1_3gpuE2ELNS1_3repE0EEENS1_30default_config_static_selectorELNS0_4arch9wavefront6targetE1EEEvT1_.kd
    .uniform_work_group_size: 1
    .uses_dynamic_stack: false
    .vgpr_count:     0
    .vgpr_spill_count: 0
    .wavefront_size: 64
  - .agpr_count:     0
    .args:
      - .offset:         0
        .size:           120
        .value_kind:     by_value
    .group_segment_fixed_size: 5128
    .kernarg_segment_align: 8
    .kernarg_segment_size: 120
    .language:       OpenCL C
    .language_version:
      - 2
      - 0
    .max_flat_workgroup_size: 128
    .name:           _ZN7rocprim17ROCPRIM_400000_NS6detail17trampoline_kernelINS0_14default_configENS1_25partition_config_selectorILNS1_17partition_subalgoE9EllbEEZZNS1_14partition_implILS5_9ELb0ES3_jPlS8_PNS0_10empty_typeENS0_5tupleIJS8_S9_EEENSB_IJS8_SA_EEENS0_18inequality_wrapperIZN2at6native12_GLOBAL__N_124unique_dim_cuda_templateIiEESt5tupleIJNSF_6TensorESK_SK_EERKSK_lbbbEUlllE0_EEPmJS9_EEE10hipError_tPvRmT3_T4_T5_T6_T7_T9_mT8_P12ihipStream_tbDpT10_ENKUlT_T0_E_clISt17integral_constantIbLb0EES1A_EEDaS15_S16_EUlS15_E_NS1_11comp_targetILNS1_3genE0ELNS1_11target_archE4294967295ELNS1_3gpuE0ELNS1_3repE0EEENS1_30default_config_static_selectorELNS0_4arch9wavefront6targetE1EEEvT1_
    .private_segment_fixed_size: 0
    .sgpr_count:     52
    .sgpr_spill_count: 0
    .symbol:         _ZN7rocprim17ROCPRIM_400000_NS6detail17trampoline_kernelINS0_14default_configENS1_25partition_config_selectorILNS1_17partition_subalgoE9EllbEEZZNS1_14partition_implILS5_9ELb0ES3_jPlS8_PNS0_10empty_typeENS0_5tupleIJS8_S9_EEENSB_IJS8_SA_EEENS0_18inequality_wrapperIZN2at6native12_GLOBAL__N_124unique_dim_cuda_templateIiEESt5tupleIJNSF_6TensorESK_SK_EERKSK_lbbbEUlllE0_EEPmJS9_EEE10hipError_tPvRmT3_T4_T5_T6_T7_T9_mT8_P12ihipStream_tbDpT10_ENKUlT_T0_E_clISt17integral_constantIbLb0EES1A_EEDaS15_S16_EUlS15_E_NS1_11comp_targetILNS1_3genE0ELNS1_11target_archE4294967295ELNS1_3gpuE0ELNS1_3repE0EEENS1_30default_config_static_selectorELNS0_4arch9wavefront6targetE1EEEvT1_.kd
    .uniform_work_group_size: 1
    .uses_dynamic_stack: false
    .vgpr_count:     60
    .vgpr_spill_count: 0
    .wavefront_size: 64
  - .agpr_count:     0
    .args:
      - .offset:         0
        .size:           120
        .value_kind:     by_value
    .group_segment_fixed_size: 0
    .kernarg_segment_align: 8
    .kernarg_segment_size: 120
    .language:       OpenCL C
    .language_version:
      - 2
      - 0
    .max_flat_workgroup_size: 512
    .name:           _ZN7rocprim17ROCPRIM_400000_NS6detail17trampoline_kernelINS0_14default_configENS1_25partition_config_selectorILNS1_17partition_subalgoE9EllbEEZZNS1_14partition_implILS5_9ELb0ES3_jPlS8_PNS0_10empty_typeENS0_5tupleIJS8_S9_EEENSB_IJS8_SA_EEENS0_18inequality_wrapperIZN2at6native12_GLOBAL__N_124unique_dim_cuda_templateIiEESt5tupleIJNSF_6TensorESK_SK_EERKSK_lbbbEUlllE0_EEPmJS9_EEE10hipError_tPvRmT3_T4_T5_T6_T7_T9_mT8_P12ihipStream_tbDpT10_ENKUlT_T0_E_clISt17integral_constantIbLb0EES1A_EEDaS15_S16_EUlS15_E_NS1_11comp_targetILNS1_3genE5ELNS1_11target_archE942ELNS1_3gpuE9ELNS1_3repE0EEENS1_30default_config_static_selectorELNS0_4arch9wavefront6targetE1EEEvT1_
    .private_segment_fixed_size: 0
    .sgpr_count:     6
    .sgpr_spill_count: 0
    .symbol:         _ZN7rocprim17ROCPRIM_400000_NS6detail17trampoline_kernelINS0_14default_configENS1_25partition_config_selectorILNS1_17partition_subalgoE9EllbEEZZNS1_14partition_implILS5_9ELb0ES3_jPlS8_PNS0_10empty_typeENS0_5tupleIJS8_S9_EEENSB_IJS8_SA_EEENS0_18inequality_wrapperIZN2at6native12_GLOBAL__N_124unique_dim_cuda_templateIiEESt5tupleIJNSF_6TensorESK_SK_EERKSK_lbbbEUlllE0_EEPmJS9_EEE10hipError_tPvRmT3_T4_T5_T6_T7_T9_mT8_P12ihipStream_tbDpT10_ENKUlT_T0_E_clISt17integral_constantIbLb0EES1A_EEDaS15_S16_EUlS15_E_NS1_11comp_targetILNS1_3genE5ELNS1_11target_archE942ELNS1_3gpuE9ELNS1_3repE0EEENS1_30default_config_static_selectorELNS0_4arch9wavefront6targetE1EEEvT1_.kd
    .uniform_work_group_size: 1
    .uses_dynamic_stack: false
    .vgpr_count:     0
    .vgpr_spill_count: 0
    .wavefront_size: 64
  - .agpr_count:     0
    .args:
      - .offset:         0
        .size:           120
        .value_kind:     by_value
    .group_segment_fixed_size: 0
    .kernarg_segment_align: 8
    .kernarg_segment_size: 120
    .language:       OpenCL C
    .language_version:
      - 2
      - 0
    .max_flat_workgroup_size: 128
    .name:           _ZN7rocprim17ROCPRIM_400000_NS6detail17trampoline_kernelINS0_14default_configENS1_25partition_config_selectorILNS1_17partition_subalgoE9EllbEEZZNS1_14partition_implILS5_9ELb0ES3_jPlS8_PNS0_10empty_typeENS0_5tupleIJS8_S9_EEENSB_IJS8_SA_EEENS0_18inequality_wrapperIZN2at6native12_GLOBAL__N_124unique_dim_cuda_templateIiEESt5tupleIJNSF_6TensorESK_SK_EERKSK_lbbbEUlllE0_EEPmJS9_EEE10hipError_tPvRmT3_T4_T5_T6_T7_T9_mT8_P12ihipStream_tbDpT10_ENKUlT_T0_E_clISt17integral_constantIbLb0EES1A_EEDaS15_S16_EUlS15_E_NS1_11comp_targetILNS1_3genE4ELNS1_11target_archE910ELNS1_3gpuE8ELNS1_3repE0EEENS1_30default_config_static_selectorELNS0_4arch9wavefront6targetE1EEEvT1_
    .private_segment_fixed_size: 0
    .sgpr_count:     6
    .sgpr_spill_count: 0
    .symbol:         _ZN7rocprim17ROCPRIM_400000_NS6detail17trampoline_kernelINS0_14default_configENS1_25partition_config_selectorILNS1_17partition_subalgoE9EllbEEZZNS1_14partition_implILS5_9ELb0ES3_jPlS8_PNS0_10empty_typeENS0_5tupleIJS8_S9_EEENSB_IJS8_SA_EEENS0_18inequality_wrapperIZN2at6native12_GLOBAL__N_124unique_dim_cuda_templateIiEESt5tupleIJNSF_6TensorESK_SK_EERKSK_lbbbEUlllE0_EEPmJS9_EEE10hipError_tPvRmT3_T4_T5_T6_T7_T9_mT8_P12ihipStream_tbDpT10_ENKUlT_T0_E_clISt17integral_constantIbLb0EES1A_EEDaS15_S16_EUlS15_E_NS1_11comp_targetILNS1_3genE4ELNS1_11target_archE910ELNS1_3gpuE8ELNS1_3repE0EEENS1_30default_config_static_selectorELNS0_4arch9wavefront6targetE1EEEvT1_.kd
    .uniform_work_group_size: 1
    .uses_dynamic_stack: false
    .vgpr_count:     0
    .vgpr_spill_count: 0
    .wavefront_size: 64
  - .agpr_count:     0
    .args:
      - .offset:         0
        .size:           120
        .value_kind:     by_value
    .group_segment_fixed_size: 0
    .kernarg_segment_align: 8
    .kernarg_segment_size: 120
    .language:       OpenCL C
    .language_version:
      - 2
      - 0
    .max_flat_workgroup_size: 128
    .name:           _ZN7rocprim17ROCPRIM_400000_NS6detail17trampoline_kernelINS0_14default_configENS1_25partition_config_selectorILNS1_17partition_subalgoE9EllbEEZZNS1_14partition_implILS5_9ELb0ES3_jPlS8_PNS0_10empty_typeENS0_5tupleIJS8_S9_EEENSB_IJS8_SA_EEENS0_18inequality_wrapperIZN2at6native12_GLOBAL__N_124unique_dim_cuda_templateIiEESt5tupleIJNSF_6TensorESK_SK_EERKSK_lbbbEUlllE0_EEPmJS9_EEE10hipError_tPvRmT3_T4_T5_T6_T7_T9_mT8_P12ihipStream_tbDpT10_ENKUlT_T0_E_clISt17integral_constantIbLb0EES1A_EEDaS15_S16_EUlS15_E_NS1_11comp_targetILNS1_3genE3ELNS1_11target_archE908ELNS1_3gpuE7ELNS1_3repE0EEENS1_30default_config_static_selectorELNS0_4arch9wavefront6targetE1EEEvT1_
    .private_segment_fixed_size: 0
    .sgpr_count:     6
    .sgpr_spill_count: 0
    .symbol:         _ZN7rocprim17ROCPRIM_400000_NS6detail17trampoline_kernelINS0_14default_configENS1_25partition_config_selectorILNS1_17partition_subalgoE9EllbEEZZNS1_14partition_implILS5_9ELb0ES3_jPlS8_PNS0_10empty_typeENS0_5tupleIJS8_S9_EEENSB_IJS8_SA_EEENS0_18inequality_wrapperIZN2at6native12_GLOBAL__N_124unique_dim_cuda_templateIiEESt5tupleIJNSF_6TensorESK_SK_EERKSK_lbbbEUlllE0_EEPmJS9_EEE10hipError_tPvRmT3_T4_T5_T6_T7_T9_mT8_P12ihipStream_tbDpT10_ENKUlT_T0_E_clISt17integral_constantIbLb0EES1A_EEDaS15_S16_EUlS15_E_NS1_11comp_targetILNS1_3genE3ELNS1_11target_archE908ELNS1_3gpuE7ELNS1_3repE0EEENS1_30default_config_static_selectorELNS0_4arch9wavefront6targetE1EEEvT1_.kd
    .uniform_work_group_size: 1
    .uses_dynamic_stack: false
    .vgpr_count:     0
    .vgpr_spill_count: 0
    .wavefront_size: 64
  - .agpr_count:     0
    .args:
      - .offset:         0
        .size:           120
        .value_kind:     by_value
    .group_segment_fixed_size: 0
    .kernarg_segment_align: 8
    .kernarg_segment_size: 120
    .language:       OpenCL C
    .language_version:
      - 2
      - 0
    .max_flat_workgroup_size: 192
    .name:           _ZN7rocprim17ROCPRIM_400000_NS6detail17trampoline_kernelINS0_14default_configENS1_25partition_config_selectorILNS1_17partition_subalgoE9EllbEEZZNS1_14partition_implILS5_9ELb0ES3_jPlS8_PNS0_10empty_typeENS0_5tupleIJS8_S9_EEENSB_IJS8_SA_EEENS0_18inequality_wrapperIZN2at6native12_GLOBAL__N_124unique_dim_cuda_templateIiEESt5tupleIJNSF_6TensorESK_SK_EERKSK_lbbbEUlllE0_EEPmJS9_EEE10hipError_tPvRmT3_T4_T5_T6_T7_T9_mT8_P12ihipStream_tbDpT10_ENKUlT_T0_E_clISt17integral_constantIbLb0EES1A_EEDaS15_S16_EUlS15_E_NS1_11comp_targetILNS1_3genE2ELNS1_11target_archE906ELNS1_3gpuE6ELNS1_3repE0EEENS1_30default_config_static_selectorELNS0_4arch9wavefront6targetE1EEEvT1_
    .private_segment_fixed_size: 0
    .sgpr_count:     6
    .sgpr_spill_count: 0
    .symbol:         _ZN7rocprim17ROCPRIM_400000_NS6detail17trampoline_kernelINS0_14default_configENS1_25partition_config_selectorILNS1_17partition_subalgoE9EllbEEZZNS1_14partition_implILS5_9ELb0ES3_jPlS8_PNS0_10empty_typeENS0_5tupleIJS8_S9_EEENSB_IJS8_SA_EEENS0_18inequality_wrapperIZN2at6native12_GLOBAL__N_124unique_dim_cuda_templateIiEESt5tupleIJNSF_6TensorESK_SK_EERKSK_lbbbEUlllE0_EEPmJS9_EEE10hipError_tPvRmT3_T4_T5_T6_T7_T9_mT8_P12ihipStream_tbDpT10_ENKUlT_T0_E_clISt17integral_constantIbLb0EES1A_EEDaS15_S16_EUlS15_E_NS1_11comp_targetILNS1_3genE2ELNS1_11target_archE906ELNS1_3gpuE6ELNS1_3repE0EEENS1_30default_config_static_selectorELNS0_4arch9wavefront6targetE1EEEvT1_.kd
    .uniform_work_group_size: 1
    .uses_dynamic_stack: false
    .vgpr_count:     0
    .vgpr_spill_count: 0
    .wavefront_size: 64
  - .agpr_count:     0
    .args:
      - .offset:         0
        .size:           120
        .value_kind:     by_value
    .group_segment_fixed_size: 0
    .kernarg_segment_align: 8
    .kernarg_segment_size: 120
    .language:       OpenCL C
    .language_version:
      - 2
      - 0
    .max_flat_workgroup_size: 384
    .name:           _ZN7rocprim17ROCPRIM_400000_NS6detail17trampoline_kernelINS0_14default_configENS1_25partition_config_selectorILNS1_17partition_subalgoE9EllbEEZZNS1_14partition_implILS5_9ELb0ES3_jPlS8_PNS0_10empty_typeENS0_5tupleIJS8_S9_EEENSB_IJS8_SA_EEENS0_18inequality_wrapperIZN2at6native12_GLOBAL__N_124unique_dim_cuda_templateIiEESt5tupleIJNSF_6TensorESK_SK_EERKSK_lbbbEUlllE0_EEPmJS9_EEE10hipError_tPvRmT3_T4_T5_T6_T7_T9_mT8_P12ihipStream_tbDpT10_ENKUlT_T0_E_clISt17integral_constantIbLb0EES1A_EEDaS15_S16_EUlS15_E_NS1_11comp_targetILNS1_3genE10ELNS1_11target_archE1200ELNS1_3gpuE4ELNS1_3repE0EEENS1_30default_config_static_selectorELNS0_4arch9wavefront6targetE1EEEvT1_
    .private_segment_fixed_size: 0
    .sgpr_count:     6
    .sgpr_spill_count: 0
    .symbol:         _ZN7rocprim17ROCPRIM_400000_NS6detail17trampoline_kernelINS0_14default_configENS1_25partition_config_selectorILNS1_17partition_subalgoE9EllbEEZZNS1_14partition_implILS5_9ELb0ES3_jPlS8_PNS0_10empty_typeENS0_5tupleIJS8_S9_EEENSB_IJS8_SA_EEENS0_18inequality_wrapperIZN2at6native12_GLOBAL__N_124unique_dim_cuda_templateIiEESt5tupleIJNSF_6TensorESK_SK_EERKSK_lbbbEUlllE0_EEPmJS9_EEE10hipError_tPvRmT3_T4_T5_T6_T7_T9_mT8_P12ihipStream_tbDpT10_ENKUlT_T0_E_clISt17integral_constantIbLb0EES1A_EEDaS15_S16_EUlS15_E_NS1_11comp_targetILNS1_3genE10ELNS1_11target_archE1200ELNS1_3gpuE4ELNS1_3repE0EEENS1_30default_config_static_selectorELNS0_4arch9wavefront6targetE1EEEvT1_.kd
    .uniform_work_group_size: 1
    .uses_dynamic_stack: false
    .vgpr_count:     0
    .vgpr_spill_count: 0
    .wavefront_size: 64
  - .agpr_count:     0
    .args:
      - .offset:         0
        .size:           120
        .value_kind:     by_value
    .group_segment_fixed_size: 0
    .kernarg_segment_align: 8
    .kernarg_segment_size: 120
    .language:       OpenCL C
    .language_version:
      - 2
      - 0
    .max_flat_workgroup_size: 512
    .name:           _ZN7rocprim17ROCPRIM_400000_NS6detail17trampoline_kernelINS0_14default_configENS1_25partition_config_selectorILNS1_17partition_subalgoE9EllbEEZZNS1_14partition_implILS5_9ELb0ES3_jPlS8_PNS0_10empty_typeENS0_5tupleIJS8_S9_EEENSB_IJS8_SA_EEENS0_18inequality_wrapperIZN2at6native12_GLOBAL__N_124unique_dim_cuda_templateIiEESt5tupleIJNSF_6TensorESK_SK_EERKSK_lbbbEUlllE0_EEPmJS9_EEE10hipError_tPvRmT3_T4_T5_T6_T7_T9_mT8_P12ihipStream_tbDpT10_ENKUlT_T0_E_clISt17integral_constantIbLb0EES1A_EEDaS15_S16_EUlS15_E_NS1_11comp_targetILNS1_3genE9ELNS1_11target_archE1100ELNS1_3gpuE3ELNS1_3repE0EEENS1_30default_config_static_selectorELNS0_4arch9wavefront6targetE1EEEvT1_
    .private_segment_fixed_size: 0
    .sgpr_count:     6
    .sgpr_spill_count: 0
    .symbol:         _ZN7rocprim17ROCPRIM_400000_NS6detail17trampoline_kernelINS0_14default_configENS1_25partition_config_selectorILNS1_17partition_subalgoE9EllbEEZZNS1_14partition_implILS5_9ELb0ES3_jPlS8_PNS0_10empty_typeENS0_5tupleIJS8_S9_EEENSB_IJS8_SA_EEENS0_18inequality_wrapperIZN2at6native12_GLOBAL__N_124unique_dim_cuda_templateIiEESt5tupleIJNSF_6TensorESK_SK_EERKSK_lbbbEUlllE0_EEPmJS9_EEE10hipError_tPvRmT3_T4_T5_T6_T7_T9_mT8_P12ihipStream_tbDpT10_ENKUlT_T0_E_clISt17integral_constantIbLb0EES1A_EEDaS15_S16_EUlS15_E_NS1_11comp_targetILNS1_3genE9ELNS1_11target_archE1100ELNS1_3gpuE3ELNS1_3repE0EEENS1_30default_config_static_selectorELNS0_4arch9wavefront6targetE1EEEvT1_.kd
    .uniform_work_group_size: 1
    .uses_dynamic_stack: false
    .vgpr_count:     0
    .vgpr_spill_count: 0
    .wavefront_size: 64
  - .agpr_count:     0
    .args:
      - .offset:         0
        .size:           120
        .value_kind:     by_value
    .group_segment_fixed_size: 0
    .kernarg_segment_align: 8
    .kernarg_segment_size: 120
    .language:       OpenCL C
    .language_version:
      - 2
      - 0
    .max_flat_workgroup_size: 512
    .name:           _ZN7rocprim17ROCPRIM_400000_NS6detail17trampoline_kernelINS0_14default_configENS1_25partition_config_selectorILNS1_17partition_subalgoE9EllbEEZZNS1_14partition_implILS5_9ELb0ES3_jPlS8_PNS0_10empty_typeENS0_5tupleIJS8_S9_EEENSB_IJS8_SA_EEENS0_18inequality_wrapperIZN2at6native12_GLOBAL__N_124unique_dim_cuda_templateIiEESt5tupleIJNSF_6TensorESK_SK_EERKSK_lbbbEUlllE0_EEPmJS9_EEE10hipError_tPvRmT3_T4_T5_T6_T7_T9_mT8_P12ihipStream_tbDpT10_ENKUlT_T0_E_clISt17integral_constantIbLb0EES1A_EEDaS15_S16_EUlS15_E_NS1_11comp_targetILNS1_3genE8ELNS1_11target_archE1030ELNS1_3gpuE2ELNS1_3repE0EEENS1_30default_config_static_selectorELNS0_4arch9wavefront6targetE1EEEvT1_
    .private_segment_fixed_size: 0
    .sgpr_count:     6
    .sgpr_spill_count: 0
    .symbol:         _ZN7rocprim17ROCPRIM_400000_NS6detail17trampoline_kernelINS0_14default_configENS1_25partition_config_selectorILNS1_17partition_subalgoE9EllbEEZZNS1_14partition_implILS5_9ELb0ES3_jPlS8_PNS0_10empty_typeENS0_5tupleIJS8_S9_EEENSB_IJS8_SA_EEENS0_18inequality_wrapperIZN2at6native12_GLOBAL__N_124unique_dim_cuda_templateIiEESt5tupleIJNSF_6TensorESK_SK_EERKSK_lbbbEUlllE0_EEPmJS9_EEE10hipError_tPvRmT3_T4_T5_T6_T7_T9_mT8_P12ihipStream_tbDpT10_ENKUlT_T0_E_clISt17integral_constantIbLb0EES1A_EEDaS15_S16_EUlS15_E_NS1_11comp_targetILNS1_3genE8ELNS1_11target_archE1030ELNS1_3gpuE2ELNS1_3repE0EEENS1_30default_config_static_selectorELNS0_4arch9wavefront6targetE1EEEvT1_.kd
    .uniform_work_group_size: 1
    .uses_dynamic_stack: false
    .vgpr_count:     0
    .vgpr_spill_count: 0
    .wavefront_size: 64
  - .agpr_count:     0
    .args:
      - .offset:         0
        .size:           136
        .value_kind:     by_value
    .group_segment_fixed_size: 0
    .kernarg_segment_align: 8
    .kernarg_segment_size: 136
    .language:       OpenCL C
    .language_version:
      - 2
      - 0
    .max_flat_workgroup_size: 128
    .name:           _ZN7rocprim17ROCPRIM_400000_NS6detail17trampoline_kernelINS0_14default_configENS1_25partition_config_selectorILNS1_17partition_subalgoE9EllbEEZZNS1_14partition_implILS5_9ELb0ES3_jPlS8_PNS0_10empty_typeENS0_5tupleIJS8_S9_EEENSB_IJS8_SA_EEENS0_18inequality_wrapperIZN2at6native12_GLOBAL__N_124unique_dim_cuda_templateIiEESt5tupleIJNSF_6TensorESK_SK_EERKSK_lbbbEUlllE0_EEPmJS9_EEE10hipError_tPvRmT3_T4_T5_T6_T7_T9_mT8_P12ihipStream_tbDpT10_ENKUlT_T0_E_clISt17integral_constantIbLb1EES1A_EEDaS15_S16_EUlS15_E_NS1_11comp_targetILNS1_3genE0ELNS1_11target_archE4294967295ELNS1_3gpuE0ELNS1_3repE0EEENS1_30default_config_static_selectorELNS0_4arch9wavefront6targetE1EEEvT1_
    .private_segment_fixed_size: 0
    .sgpr_count:     6
    .sgpr_spill_count: 0
    .symbol:         _ZN7rocprim17ROCPRIM_400000_NS6detail17trampoline_kernelINS0_14default_configENS1_25partition_config_selectorILNS1_17partition_subalgoE9EllbEEZZNS1_14partition_implILS5_9ELb0ES3_jPlS8_PNS0_10empty_typeENS0_5tupleIJS8_S9_EEENSB_IJS8_SA_EEENS0_18inequality_wrapperIZN2at6native12_GLOBAL__N_124unique_dim_cuda_templateIiEESt5tupleIJNSF_6TensorESK_SK_EERKSK_lbbbEUlllE0_EEPmJS9_EEE10hipError_tPvRmT3_T4_T5_T6_T7_T9_mT8_P12ihipStream_tbDpT10_ENKUlT_T0_E_clISt17integral_constantIbLb1EES1A_EEDaS15_S16_EUlS15_E_NS1_11comp_targetILNS1_3genE0ELNS1_11target_archE4294967295ELNS1_3gpuE0ELNS1_3repE0EEENS1_30default_config_static_selectorELNS0_4arch9wavefront6targetE1EEEvT1_.kd
    .uniform_work_group_size: 1
    .uses_dynamic_stack: false
    .vgpr_count:     0
    .vgpr_spill_count: 0
    .wavefront_size: 64
  - .agpr_count:     0
    .args:
      - .offset:         0
        .size:           136
        .value_kind:     by_value
    .group_segment_fixed_size: 0
    .kernarg_segment_align: 8
    .kernarg_segment_size: 136
    .language:       OpenCL C
    .language_version:
      - 2
      - 0
    .max_flat_workgroup_size: 512
    .name:           _ZN7rocprim17ROCPRIM_400000_NS6detail17trampoline_kernelINS0_14default_configENS1_25partition_config_selectorILNS1_17partition_subalgoE9EllbEEZZNS1_14partition_implILS5_9ELb0ES3_jPlS8_PNS0_10empty_typeENS0_5tupleIJS8_S9_EEENSB_IJS8_SA_EEENS0_18inequality_wrapperIZN2at6native12_GLOBAL__N_124unique_dim_cuda_templateIiEESt5tupleIJNSF_6TensorESK_SK_EERKSK_lbbbEUlllE0_EEPmJS9_EEE10hipError_tPvRmT3_T4_T5_T6_T7_T9_mT8_P12ihipStream_tbDpT10_ENKUlT_T0_E_clISt17integral_constantIbLb1EES1A_EEDaS15_S16_EUlS15_E_NS1_11comp_targetILNS1_3genE5ELNS1_11target_archE942ELNS1_3gpuE9ELNS1_3repE0EEENS1_30default_config_static_selectorELNS0_4arch9wavefront6targetE1EEEvT1_
    .private_segment_fixed_size: 0
    .sgpr_count:     6
    .sgpr_spill_count: 0
    .symbol:         _ZN7rocprim17ROCPRIM_400000_NS6detail17trampoline_kernelINS0_14default_configENS1_25partition_config_selectorILNS1_17partition_subalgoE9EllbEEZZNS1_14partition_implILS5_9ELb0ES3_jPlS8_PNS0_10empty_typeENS0_5tupleIJS8_S9_EEENSB_IJS8_SA_EEENS0_18inequality_wrapperIZN2at6native12_GLOBAL__N_124unique_dim_cuda_templateIiEESt5tupleIJNSF_6TensorESK_SK_EERKSK_lbbbEUlllE0_EEPmJS9_EEE10hipError_tPvRmT3_T4_T5_T6_T7_T9_mT8_P12ihipStream_tbDpT10_ENKUlT_T0_E_clISt17integral_constantIbLb1EES1A_EEDaS15_S16_EUlS15_E_NS1_11comp_targetILNS1_3genE5ELNS1_11target_archE942ELNS1_3gpuE9ELNS1_3repE0EEENS1_30default_config_static_selectorELNS0_4arch9wavefront6targetE1EEEvT1_.kd
    .uniform_work_group_size: 1
    .uses_dynamic_stack: false
    .vgpr_count:     0
    .vgpr_spill_count: 0
    .wavefront_size: 64
  - .agpr_count:     0
    .args:
      - .offset:         0
        .size:           136
        .value_kind:     by_value
    .group_segment_fixed_size: 0
    .kernarg_segment_align: 8
    .kernarg_segment_size: 136
    .language:       OpenCL C
    .language_version:
      - 2
      - 0
    .max_flat_workgroup_size: 128
    .name:           _ZN7rocprim17ROCPRIM_400000_NS6detail17trampoline_kernelINS0_14default_configENS1_25partition_config_selectorILNS1_17partition_subalgoE9EllbEEZZNS1_14partition_implILS5_9ELb0ES3_jPlS8_PNS0_10empty_typeENS0_5tupleIJS8_S9_EEENSB_IJS8_SA_EEENS0_18inequality_wrapperIZN2at6native12_GLOBAL__N_124unique_dim_cuda_templateIiEESt5tupleIJNSF_6TensorESK_SK_EERKSK_lbbbEUlllE0_EEPmJS9_EEE10hipError_tPvRmT3_T4_T5_T6_T7_T9_mT8_P12ihipStream_tbDpT10_ENKUlT_T0_E_clISt17integral_constantIbLb1EES1A_EEDaS15_S16_EUlS15_E_NS1_11comp_targetILNS1_3genE4ELNS1_11target_archE910ELNS1_3gpuE8ELNS1_3repE0EEENS1_30default_config_static_selectorELNS0_4arch9wavefront6targetE1EEEvT1_
    .private_segment_fixed_size: 0
    .sgpr_count:     6
    .sgpr_spill_count: 0
    .symbol:         _ZN7rocprim17ROCPRIM_400000_NS6detail17trampoline_kernelINS0_14default_configENS1_25partition_config_selectorILNS1_17partition_subalgoE9EllbEEZZNS1_14partition_implILS5_9ELb0ES3_jPlS8_PNS0_10empty_typeENS0_5tupleIJS8_S9_EEENSB_IJS8_SA_EEENS0_18inequality_wrapperIZN2at6native12_GLOBAL__N_124unique_dim_cuda_templateIiEESt5tupleIJNSF_6TensorESK_SK_EERKSK_lbbbEUlllE0_EEPmJS9_EEE10hipError_tPvRmT3_T4_T5_T6_T7_T9_mT8_P12ihipStream_tbDpT10_ENKUlT_T0_E_clISt17integral_constantIbLb1EES1A_EEDaS15_S16_EUlS15_E_NS1_11comp_targetILNS1_3genE4ELNS1_11target_archE910ELNS1_3gpuE8ELNS1_3repE0EEENS1_30default_config_static_selectorELNS0_4arch9wavefront6targetE1EEEvT1_.kd
    .uniform_work_group_size: 1
    .uses_dynamic_stack: false
    .vgpr_count:     0
    .vgpr_spill_count: 0
    .wavefront_size: 64
  - .agpr_count:     0
    .args:
      - .offset:         0
        .size:           136
        .value_kind:     by_value
    .group_segment_fixed_size: 0
    .kernarg_segment_align: 8
    .kernarg_segment_size: 136
    .language:       OpenCL C
    .language_version:
      - 2
      - 0
    .max_flat_workgroup_size: 128
    .name:           _ZN7rocprim17ROCPRIM_400000_NS6detail17trampoline_kernelINS0_14default_configENS1_25partition_config_selectorILNS1_17partition_subalgoE9EllbEEZZNS1_14partition_implILS5_9ELb0ES3_jPlS8_PNS0_10empty_typeENS0_5tupleIJS8_S9_EEENSB_IJS8_SA_EEENS0_18inequality_wrapperIZN2at6native12_GLOBAL__N_124unique_dim_cuda_templateIiEESt5tupleIJNSF_6TensorESK_SK_EERKSK_lbbbEUlllE0_EEPmJS9_EEE10hipError_tPvRmT3_T4_T5_T6_T7_T9_mT8_P12ihipStream_tbDpT10_ENKUlT_T0_E_clISt17integral_constantIbLb1EES1A_EEDaS15_S16_EUlS15_E_NS1_11comp_targetILNS1_3genE3ELNS1_11target_archE908ELNS1_3gpuE7ELNS1_3repE0EEENS1_30default_config_static_selectorELNS0_4arch9wavefront6targetE1EEEvT1_
    .private_segment_fixed_size: 0
    .sgpr_count:     6
    .sgpr_spill_count: 0
    .symbol:         _ZN7rocprim17ROCPRIM_400000_NS6detail17trampoline_kernelINS0_14default_configENS1_25partition_config_selectorILNS1_17partition_subalgoE9EllbEEZZNS1_14partition_implILS5_9ELb0ES3_jPlS8_PNS0_10empty_typeENS0_5tupleIJS8_S9_EEENSB_IJS8_SA_EEENS0_18inequality_wrapperIZN2at6native12_GLOBAL__N_124unique_dim_cuda_templateIiEESt5tupleIJNSF_6TensorESK_SK_EERKSK_lbbbEUlllE0_EEPmJS9_EEE10hipError_tPvRmT3_T4_T5_T6_T7_T9_mT8_P12ihipStream_tbDpT10_ENKUlT_T0_E_clISt17integral_constantIbLb1EES1A_EEDaS15_S16_EUlS15_E_NS1_11comp_targetILNS1_3genE3ELNS1_11target_archE908ELNS1_3gpuE7ELNS1_3repE0EEENS1_30default_config_static_selectorELNS0_4arch9wavefront6targetE1EEEvT1_.kd
    .uniform_work_group_size: 1
    .uses_dynamic_stack: false
    .vgpr_count:     0
    .vgpr_spill_count: 0
    .wavefront_size: 64
  - .agpr_count:     0
    .args:
      - .offset:         0
        .size:           136
        .value_kind:     by_value
    .group_segment_fixed_size: 0
    .kernarg_segment_align: 8
    .kernarg_segment_size: 136
    .language:       OpenCL C
    .language_version:
      - 2
      - 0
    .max_flat_workgroup_size: 192
    .name:           _ZN7rocprim17ROCPRIM_400000_NS6detail17trampoline_kernelINS0_14default_configENS1_25partition_config_selectorILNS1_17partition_subalgoE9EllbEEZZNS1_14partition_implILS5_9ELb0ES3_jPlS8_PNS0_10empty_typeENS0_5tupleIJS8_S9_EEENSB_IJS8_SA_EEENS0_18inequality_wrapperIZN2at6native12_GLOBAL__N_124unique_dim_cuda_templateIiEESt5tupleIJNSF_6TensorESK_SK_EERKSK_lbbbEUlllE0_EEPmJS9_EEE10hipError_tPvRmT3_T4_T5_T6_T7_T9_mT8_P12ihipStream_tbDpT10_ENKUlT_T0_E_clISt17integral_constantIbLb1EES1A_EEDaS15_S16_EUlS15_E_NS1_11comp_targetILNS1_3genE2ELNS1_11target_archE906ELNS1_3gpuE6ELNS1_3repE0EEENS1_30default_config_static_selectorELNS0_4arch9wavefront6targetE1EEEvT1_
    .private_segment_fixed_size: 0
    .sgpr_count:     6
    .sgpr_spill_count: 0
    .symbol:         _ZN7rocprim17ROCPRIM_400000_NS6detail17trampoline_kernelINS0_14default_configENS1_25partition_config_selectorILNS1_17partition_subalgoE9EllbEEZZNS1_14partition_implILS5_9ELb0ES3_jPlS8_PNS0_10empty_typeENS0_5tupleIJS8_S9_EEENSB_IJS8_SA_EEENS0_18inequality_wrapperIZN2at6native12_GLOBAL__N_124unique_dim_cuda_templateIiEESt5tupleIJNSF_6TensorESK_SK_EERKSK_lbbbEUlllE0_EEPmJS9_EEE10hipError_tPvRmT3_T4_T5_T6_T7_T9_mT8_P12ihipStream_tbDpT10_ENKUlT_T0_E_clISt17integral_constantIbLb1EES1A_EEDaS15_S16_EUlS15_E_NS1_11comp_targetILNS1_3genE2ELNS1_11target_archE906ELNS1_3gpuE6ELNS1_3repE0EEENS1_30default_config_static_selectorELNS0_4arch9wavefront6targetE1EEEvT1_.kd
    .uniform_work_group_size: 1
    .uses_dynamic_stack: false
    .vgpr_count:     0
    .vgpr_spill_count: 0
    .wavefront_size: 64
  - .agpr_count:     0
    .args:
      - .offset:         0
        .size:           136
        .value_kind:     by_value
    .group_segment_fixed_size: 0
    .kernarg_segment_align: 8
    .kernarg_segment_size: 136
    .language:       OpenCL C
    .language_version:
      - 2
      - 0
    .max_flat_workgroup_size: 384
    .name:           _ZN7rocprim17ROCPRIM_400000_NS6detail17trampoline_kernelINS0_14default_configENS1_25partition_config_selectorILNS1_17partition_subalgoE9EllbEEZZNS1_14partition_implILS5_9ELb0ES3_jPlS8_PNS0_10empty_typeENS0_5tupleIJS8_S9_EEENSB_IJS8_SA_EEENS0_18inequality_wrapperIZN2at6native12_GLOBAL__N_124unique_dim_cuda_templateIiEESt5tupleIJNSF_6TensorESK_SK_EERKSK_lbbbEUlllE0_EEPmJS9_EEE10hipError_tPvRmT3_T4_T5_T6_T7_T9_mT8_P12ihipStream_tbDpT10_ENKUlT_T0_E_clISt17integral_constantIbLb1EES1A_EEDaS15_S16_EUlS15_E_NS1_11comp_targetILNS1_3genE10ELNS1_11target_archE1200ELNS1_3gpuE4ELNS1_3repE0EEENS1_30default_config_static_selectorELNS0_4arch9wavefront6targetE1EEEvT1_
    .private_segment_fixed_size: 0
    .sgpr_count:     6
    .sgpr_spill_count: 0
    .symbol:         _ZN7rocprim17ROCPRIM_400000_NS6detail17trampoline_kernelINS0_14default_configENS1_25partition_config_selectorILNS1_17partition_subalgoE9EllbEEZZNS1_14partition_implILS5_9ELb0ES3_jPlS8_PNS0_10empty_typeENS0_5tupleIJS8_S9_EEENSB_IJS8_SA_EEENS0_18inequality_wrapperIZN2at6native12_GLOBAL__N_124unique_dim_cuda_templateIiEESt5tupleIJNSF_6TensorESK_SK_EERKSK_lbbbEUlllE0_EEPmJS9_EEE10hipError_tPvRmT3_T4_T5_T6_T7_T9_mT8_P12ihipStream_tbDpT10_ENKUlT_T0_E_clISt17integral_constantIbLb1EES1A_EEDaS15_S16_EUlS15_E_NS1_11comp_targetILNS1_3genE10ELNS1_11target_archE1200ELNS1_3gpuE4ELNS1_3repE0EEENS1_30default_config_static_selectorELNS0_4arch9wavefront6targetE1EEEvT1_.kd
    .uniform_work_group_size: 1
    .uses_dynamic_stack: false
    .vgpr_count:     0
    .vgpr_spill_count: 0
    .wavefront_size: 64
  - .agpr_count:     0
    .args:
      - .offset:         0
        .size:           136
        .value_kind:     by_value
    .group_segment_fixed_size: 0
    .kernarg_segment_align: 8
    .kernarg_segment_size: 136
    .language:       OpenCL C
    .language_version:
      - 2
      - 0
    .max_flat_workgroup_size: 512
    .name:           _ZN7rocprim17ROCPRIM_400000_NS6detail17trampoline_kernelINS0_14default_configENS1_25partition_config_selectorILNS1_17partition_subalgoE9EllbEEZZNS1_14partition_implILS5_9ELb0ES3_jPlS8_PNS0_10empty_typeENS0_5tupleIJS8_S9_EEENSB_IJS8_SA_EEENS0_18inequality_wrapperIZN2at6native12_GLOBAL__N_124unique_dim_cuda_templateIiEESt5tupleIJNSF_6TensorESK_SK_EERKSK_lbbbEUlllE0_EEPmJS9_EEE10hipError_tPvRmT3_T4_T5_T6_T7_T9_mT8_P12ihipStream_tbDpT10_ENKUlT_T0_E_clISt17integral_constantIbLb1EES1A_EEDaS15_S16_EUlS15_E_NS1_11comp_targetILNS1_3genE9ELNS1_11target_archE1100ELNS1_3gpuE3ELNS1_3repE0EEENS1_30default_config_static_selectorELNS0_4arch9wavefront6targetE1EEEvT1_
    .private_segment_fixed_size: 0
    .sgpr_count:     6
    .sgpr_spill_count: 0
    .symbol:         _ZN7rocprim17ROCPRIM_400000_NS6detail17trampoline_kernelINS0_14default_configENS1_25partition_config_selectorILNS1_17partition_subalgoE9EllbEEZZNS1_14partition_implILS5_9ELb0ES3_jPlS8_PNS0_10empty_typeENS0_5tupleIJS8_S9_EEENSB_IJS8_SA_EEENS0_18inequality_wrapperIZN2at6native12_GLOBAL__N_124unique_dim_cuda_templateIiEESt5tupleIJNSF_6TensorESK_SK_EERKSK_lbbbEUlllE0_EEPmJS9_EEE10hipError_tPvRmT3_T4_T5_T6_T7_T9_mT8_P12ihipStream_tbDpT10_ENKUlT_T0_E_clISt17integral_constantIbLb1EES1A_EEDaS15_S16_EUlS15_E_NS1_11comp_targetILNS1_3genE9ELNS1_11target_archE1100ELNS1_3gpuE3ELNS1_3repE0EEENS1_30default_config_static_selectorELNS0_4arch9wavefront6targetE1EEEvT1_.kd
    .uniform_work_group_size: 1
    .uses_dynamic_stack: false
    .vgpr_count:     0
    .vgpr_spill_count: 0
    .wavefront_size: 64
  - .agpr_count:     0
    .args:
      - .offset:         0
        .size:           136
        .value_kind:     by_value
    .group_segment_fixed_size: 0
    .kernarg_segment_align: 8
    .kernarg_segment_size: 136
    .language:       OpenCL C
    .language_version:
      - 2
      - 0
    .max_flat_workgroup_size: 512
    .name:           _ZN7rocprim17ROCPRIM_400000_NS6detail17trampoline_kernelINS0_14default_configENS1_25partition_config_selectorILNS1_17partition_subalgoE9EllbEEZZNS1_14partition_implILS5_9ELb0ES3_jPlS8_PNS0_10empty_typeENS0_5tupleIJS8_S9_EEENSB_IJS8_SA_EEENS0_18inequality_wrapperIZN2at6native12_GLOBAL__N_124unique_dim_cuda_templateIiEESt5tupleIJNSF_6TensorESK_SK_EERKSK_lbbbEUlllE0_EEPmJS9_EEE10hipError_tPvRmT3_T4_T5_T6_T7_T9_mT8_P12ihipStream_tbDpT10_ENKUlT_T0_E_clISt17integral_constantIbLb1EES1A_EEDaS15_S16_EUlS15_E_NS1_11comp_targetILNS1_3genE8ELNS1_11target_archE1030ELNS1_3gpuE2ELNS1_3repE0EEENS1_30default_config_static_selectorELNS0_4arch9wavefront6targetE1EEEvT1_
    .private_segment_fixed_size: 0
    .sgpr_count:     6
    .sgpr_spill_count: 0
    .symbol:         _ZN7rocprim17ROCPRIM_400000_NS6detail17trampoline_kernelINS0_14default_configENS1_25partition_config_selectorILNS1_17partition_subalgoE9EllbEEZZNS1_14partition_implILS5_9ELb0ES3_jPlS8_PNS0_10empty_typeENS0_5tupleIJS8_S9_EEENSB_IJS8_SA_EEENS0_18inequality_wrapperIZN2at6native12_GLOBAL__N_124unique_dim_cuda_templateIiEESt5tupleIJNSF_6TensorESK_SK_EERKSK_lbbbEUlllE0_EEPmJS9_EEE10hipError_tPvRmT3_T4_T5_T6_T7_T9_mT8_P12ihipStream_tbDpT10_ENKUlT_T0_E_clISt17integral_constantIbLb1EES1A_EEDaS15_S16_EUlS15_E_NS1_11comp_targetILNS1_3genE8ELNS1_11target_archE1030ELNS1_3gpuE2ELNS1_3repE0EEENS1_30default_config_static_selectorELNS0_4arch9wavefront6targetE1EEEvT1_.kd
    .uniform_work_group_size: 1
    .uses_dynamic_stack: false
    .vgpr_count:     0
    .vgpr_spill_count: 0
    .wavefront_size: 64
  - .agpr_count:     0
    .args:
      - .offset:         0
        .size:           120
        .value_kind:     by_value
    .group_segment_fixed_size: 0
    .kernarg_segment_align: 8
    .kernarg_segment_size: 120
    .language:       OpenCL C
    .language_version:
      - 2
      - 0
    .max_flat_workgroup_size: 128
    .name:           _ZN7rocprim17ROCPRIM_400000_NS6detail17trampoline_kernelINS0_14default_configENS1_25partition_config_selectorILNS1_17partition_subalgoE9EllbEEZZNS1_14partition_implILS5_9ELb0ES3_jPlS8_PNS0_10empty_typeENS0_5tupleIJS8_S9_EEENSB_IJS8_SA_EEENS0_18inequality_wrapperIZN2at6native12_GLOBAL__N_124unique_dim_cuda_templateIiEESt5tupleIJNSF_6TensorESK_SK_EERKSK_lbbbEUlllE0_EEPmJS9_EEE10hipError_tPvRmT3_T4_T5_T6_T7_T9_mT8_P12ihipStream_tbDpT10_ENKUlT_T0_E_clISt17integral_constantIbLb1EES19_IbLb0EEEEDaS15_S16_EUlS15_E_NS1_11comp_targetILNS1_3genE0ELNS1_11target_archE4294967295ELNS1_3gpuE0ELNS1_3repE0EEENS1_30default_config_static_selectorELNS0_4arch9wavefront6targetE1EEEvT1_
    .private_segment_fixed_size: 0
    .sgpr_count:     6
    .sgpr_spill_count: 0
    .symbol:         _ZN7rocprim17ROCPRIM_400000_NS6detail17trampoline_kernelINS0_14default_configENS1_25partition_config_selectorILNS1_17partition_subalgoE9EllbEEZZNS1_14partition_implILS5_9ELb0ES3_jPlS8_PNS0_10empty_typeENS0_5tupleIJS8_S9_EEENSB_IJS8_SA_EEENS0_18inequality_wrapperIZN2at6native12_GLOBAL__N_124unique_dim_cuda_templateIiEESt5tupleIJNSF_6TensorESK_SK_EERKSK_lbbbEUlllE0_EEPmJS9_EEE10hipError_tPvRmT3_T4_T5_T6_T7_T9_mT8_P12ihipStream_tbDpT10_ENKUlT_T0_E_clISt17integral_constantIbLb1EES19_IbLb0EEEEDaS15_S16_EUlS15_E_NS1_11comp_targetILNS1_3genE0ELNS1_11target_archE4294967295ELNS1_3gpuE0ELNS1_3repE0EEENS1_30default_config_static_selectorELNS0_4arch9wavefront6targetE1EEEvT1_.kd
    .uniform_work_group_size: 1
    .uses_dynamic_stack: false
    .vgpr_count:     0
    .vgpr_spill_count: 0
    .wavefront_size: 64
  - .agpr_count:     0
    .args:
      - .offset:         0
        .size:           120
        .value_kind:     by_value
    .group_segment_fixed_size: 0
    .kernarg_segment_align: 8
    .kernarg_segment_size: 120
    .language:       OpenCL C
    .language_version:
      - 2
      - 0
    .max_flat_workgroup_size: 512
    .name:           _ZN7rocprim17ROCPRIM_400000_NS6detail17trampoline_kernelINS0_14default_configENS1_25partition_config_selectorILNS1_17partition_subalgoE9EllbEEZZNS1_14partition_implILS5_9ELb0ES3_jPlS8_PNS0_10empty_typeENS0_5tupleIJS8_S9_EEENSB_IJS8_SA_EEENS0_18inequality_wrapperIZN2at6native12_GLOBAL__N_124unique_dim_cuda_templateIiEESt5tupleIJNSF_6TensorESK_SK_EERKSK_lbbbEUlllE0_EEPmJS9_EEE10hipError_tPvRmT3_T4_T5_T6_T7_T9_mT8_P12ihipStream_tbDpT10_ENKUlT_T0_E_clISt17integral_constantIbLb1EES19_IbLb0EEEEDaS15_S16_EUlS15_E_NS1_11comp_targetILNS1_3genE5ELNS1_11target_archE942ELNS1_3gpuE9ELNS1_3repE0EEENS1_30default_config_static_selectorELNS0_4arch9wavefront6targetE1EEEvT1_
    .private_segment_fixed_size: 0
    .sgpr_count:     6
    .sgpr_spill_count: 0
    .symbol:         _ZN7rocprim17ROCPRIM_400000_NS6detail17trampoline_kernelINS0_14default_configENS1_25partition_config_selectorILNS1_17partition_subalgoE9EllbEEZZNS1_14partition_implILS5_9ELb0ES3_jPlS8_PNS0_10empty_typeENS0_5tupleIJS8_S9_EEENSB_IJS8_SA_EEENS0_18inequality_wrapperIZN2at6native12_GLOBAL__N_124unique_dim_cuda_templateIiEESt5tupleIJNSF_6TensorESK_SK_EERKSK_lbbbEUlllE0_EEPmJS9_EEE10hipError_tPvRmT3_T4_T5_T6_T7_T9_mT8_P12ihipStream_tbDpT10_ENKUlT_T0_E_clISt17integral_constantIbLb1EES19_IbLb0EEEEDaS15_S16_EUlS15_E_NS1_11comp_targetILNS1_3genE5ELNS1_11target_archE942ELNS1_3gpuE9ELNS1_3repE0EEENS1_30default_config_static_selectorELNS0_4arch9wavefront6targetE1EEEvT1_.kd
    .uniform_work_group_size: 1
    .uses_dynamic_stack: false
    .vgpr_count:     0
    .vgpr_spill_count: 0
    .wavefront_size: 64
  - .agpr_count:     0
    .args:
      - .offset:         0
        .size:           120
        .value_kind:     by_value
    .group_segment_fixed_size: 0
    .kernarg_segment_align: 8
    .kernarg_segment_size: 120
    .language:       OpenCL C
    .language_version:
      - 2
      - 0
    .max_flat_workgroup_size: 128
    .name:           _ZN7rocprim17ROCPRIM_400000_NS6detail17trampoline_kernelINS0_14default_configENS1_25partition_config_selectorILNS1_17partition_subalgoE9EllbEEZZNS1_14partition_implILS5_9ELb0ES3_jPlS8_PNS0_10empty_typeENS0_5tupleIJS8_S9_EEENSB_IJS8_SA_EEENS0_18inequality_wrapperIZN2at6native12_GLOBAL__N_124unique_dim_cuda_templateIiEESt5tupleIJNSF_6TensorESK_SK_EERKSK_lbbbEUlllE0_EEPmJS9_EEE10hipError_tPvRmT3_T4_T5_T6_T7_T9_mT8_P12ihipStream_tbDpT10_ENKUlT_T0_E_clISt17integral_constantIbLb1EES19_IbLb0EEEEDaS15_S16_EUlS15_E_NS1_11comp_targetILNS1_3genE4ELNS1_11target_archE910ELNS1_3gpuE8ELNS1_3repE0EEENS1_30default_config_static_selectorELNS0_4arch9wavefront6targetE1EEEvT1_
    .private_segment_fixed_size: 0
    .sgpr_count:     6
    .sgpr_spill_count: 0
    .symbol:         _ZN7rocprim17ROCPRIM_400000_NS6detail17trampoline_kernelINS0_14default_configENS1_25partition_config_selectorILNS1_17partition_subalgoE9EllbEEZZNS1_14partition_implILS5_9ELb0ES3_jPlS8_PNS0_10empty_typeENS0_5tupleIJS8_S9_EEENSB_IJS8_SA_EEENS0_18inequality_wrapperIZN2at6native12_GLOBAL__N_124unique_dim_cuda_templateIiEESt5tupleIJNSF_6TensorESK_SK_EERKSK_lbbbEUlllE0_EEPmJS9_EEE10hipError_tPvRmT3_T4_T5_T6_T7_T9_mT8_P12ihipStream_tbDpT10_ENKUlT_T0_E_clISt17integral_constantIbLb1EES19_IbLb0EEEEDaS15_S16_EUlS15_E_NS1_11comp_targetILNS1_3genE4ELNS1_11target_archE910ELNS1_3gpuE8ELNS1_3repE0EEENS1_30default_config_static_selectorELNS0_4arch9wavefront6targetE1EEEvT1_.kd
    .uniform_work_group_size: 1
    .uses_dynamic_stack: false
    .vgpr_count:     0
    .vgpr_spill_count: 0
    .wavefront_size: 64
  - .agpr_count:     0
    .args:
      - .offset:         0
        .size:           120
        .value_kind:     by_value
    .group_segment_fixed_size: 0
    .kernarg_segment_align: 8
    .kernarg_segment_size: 120
    .language:       OpenCL C
    .language_version:
      - 2
      - 0
    .max_flat_workgroup_size: 128
    .name:           _ZN7rocprim17ROCPRIM_400000_NS6detail17trampoline_kernelINS0_14default_configENS1_25partition_config_selectorILNS1_17partition_subalgoE9EllbEEZZNS1_14partition_implILS5_9ELb0ES3_jPlS8_PNS0_10empty_typeENS0_5tupleIJS8_S9_EEENSB_IJS8_SA_EEENS0_18inequality_wrapperIZN2at6native12_GLOBAL__N_124unique_dim_cuda_templateIiEESt5tupleIJNSF_6TensorESK_SK_EERKSK_lbbbEUlllE0_EEPmJS9_EEE10hipError_tPvRmT3_T4_T5_T6_T7_T9_mT8_P12ihipStream_tbDpT10_ENKUlT_T0_E_clISt17integral_constantIbLb1EES19_IbLb0EEEEDaS15_S16_EUlS15_E_NS1_11comp_targetILNS1_3genE3ELNS1_11target_archE908ELNS1_3gpuE7ELNS1_3repE0EEENS1_30default_config_static_selectorELNS0_4arch9wavefront6targetE1EEEvT1_
    .private_segment_fixed_size: 0
    .sgpr_count:     6
    .sgpr_spill_count: 0
    .symbol:         _ZN7rocprim17ROCPRIM_400000_NS6detail17trampoline_kernelINS0_14default_configENS1_25partition_config_selectorILNS1_17partition_subalgoE9EllbEEZZNS1_14partition_implILS5_9ELb0ES3_jPlS8_PNS0_10empty_typeENS0_5tupleIJS8_S9_EEENSB_IJS8_SA_EEENS0_18inequality_wrapperIZN2at6native12_GLOBAL__N_124unique_dim_cuda_templateIiEESt5tupleIJNSF_6TensorESK_SK_EERKSK_lbbbEUlllE0_EEPmJS9_EEE10hipError_tPvRmT3_T4_T5_T6_T7_T9_mT8_P12ihipStream_tbDpT10_ENKUlT_T0_E_clISt17integral_constantIbLb1EES19_IbLb0EEEEDaS15_S16_EUlS15_E_NS1_11comp_targetILNS1_3genE3ELNS1_11target_archE908ELNS1_3gpuE7ELNS1_3repE0EEENS1_30default_config_static_selectorELNS0_4arch9wavefront6targetE1EEEvT1_.kd
    .uniform_work_group_size: 1
    .uses_dynamic_stack: false
    .vgpr_count:     0
    .vgpr_spill_count: 0
    .wavefront_size: 64
  - .agpr_count:     0
    .args:
      - .offset:         0
        .size:           120
        .value_kind:     by_value
    .group_segment_fixed_size: 0
    .kernarg_segment_align: 8
    .kernarg_segment_size: 120
    .language:       OpenCL C
    .language_version:
      - 2
      - 0
    .max_flat_workgroup_size: 192
    .name:           _ZN7rocprim17ROCPRIM_400000_NS6detail17trampoline_kernelINS0_14default_configENS1_25partition_config_selectorILNS1_17partition_subalgoE9EllbEEZZNS1_14partition_implILS5_9ELb0ES3_jPlS8_PNS0_10empty_typeENS0_5tupleIJS8_S9_EEENSB_IJS8_SA_EEENS0_18inequality_wrapperIZN2at6native12_GLOBAL__N_124unique_dim_cuda_templateIiEESt5tupleIJNSF_6TensorESK_SK_EERKSK_lbbbEUlllE0_EEPmJS9_EEE10hipError_tPvRmT3_T4_T5_T6_T7_T9_mT8_P12ihipStream_tbDpT10_ENKUlT_T0_E_clISt17integral_constantIbLb1EES19_IbLb0EEEEDaS15_S16_EUlS15_E_NS1_11comp_targetILNS1_3genE2ELNS1_11target_archE906ELNS1_3gpuE6ELNS1_3repE0EEENS1_30default_config_static_selectorELNS0_4arch9wavefront6targetE1EEEvT1_
    .private_segment_fixed_size: 0
    .sgpr_count:     6
    .sgpr_spill_count: 0
    .symbol:         _ZN7rocprim17ROCPRIM_400000_NS6detail17trampoline_kernelINS0_14default_configENS1_25partition_config_selectorILNS1_17partition_subalgoE9EllbEEZZNS1_14partition_implILS5_9ELb0ES3_jPlS8_PNS0_10empty_typeENS0_5tupleIJS8_S9_EEENSB_IJS8_SA_EEENS0_18inequality_wrapperIZN2at6native12_GLOBAL__N_124unique_dim_cuda_templateIiEESt5tupleIJNSF_6TensorESK_SK_EERKSK_lbbbEUlllE0_EEPmJS9_EEE10hipError_tPvRmT3_T4_T5_T6_T7_T9_mT8_P12ihipStream_tbDpT10_ENKUlT_T0_E_clISt17integral_constantIbLb1EES19_IbLb0EEEEDaS15_S16_EUlS15_E_NS1_11comp_targetILNS1_3genE2ELNS1_11target_archE906ELNS1_3gpuE6ELNS1_3repE0EEENS1_30default_config_static_selectorELNS0_4arch9wavefront6targetE1EEEvT1_.kd
    .uniform_work_group_size: 1
    .uses_dynamic_stack: false
    .vgpr_count:     0
    .vgpr_spill_count: 0
    .wavefront_size: 64
  - .agpr_count:     0
    .args:
      - .offset:         0
        .size:           120
        .value_kind:     by_value
    .group_segment_fixed_size: 0
    .kernarg_segment_align: 8
    .kernarg_segment_size: 120
    .language:       OpenCL C
    .language_version:
      - 2
      - 0
    .max_flat_workgroup_size: 384
    .name:           _ZN7rocprim17ROCPRIM_400000_NS6detail17trampoline_kernelINS0_14default_configENS1_25partition_config_selectorILNS1_17partition_subalgoE9EllbEEZZNS1_14partition_implILS5_9ELb0ES3_jPlS8_PNS0_10empty_typeENS0_5tupleIJS8_S9_EEENSB_IJS8_SA_EEENS0_18inequality_wrapperIZN2at6native12_GLOBAL__N_124unique_dim_cuda_templateIiEESt5tupleIJNSF_6TensorESK_SK_EERKSK_lbbbEUlllE0_EEPmJS9_EEE10hipError_tPvRmT3_T4_T5_T6_T7_T9_mT8_P12ihipStream_tbDpT10_ENKUlT_T0_E_clISt17integral_constantIbLb1EES19_IbLb0EEEEDaS15_S16_EUlS15_E_NS1_11comp_targetILNS1_3genE10ELNS1_11target_archE1200ELNS1_3gpuE4ELNS1_3repE0EEENS1_30default_config_static_selectorELNS0_4arch9wavefront6targetE1EEEvT1_
    .private_segment_fixed_size: 0
    .sgpr_count:     6
    .sgpr_spill_count: 0
    .symbol:         _ZN7rocprim17ROCPRIM_400000_NS6detail17trampoline_kernelINS0_14default_configENS1_25partition_config_selectorILNS1_17partition_subalgoE9EllbEEZZNS1_14partition_implILS5_9ELb0ES3_jPlS8_PNS0_10empty_typeENS0_5tupleIJS8_S9_EEENSB_IJS8_SA_EEENS0_18inequality_wrapperIZN2at6native12_GLOBAL__N_124unique_dim_cuda_templateIiEESt5tupleIJNSF_6TensorESK_SK_EERKSK_lbbbEUlllE0_EEPmJS9_EEE10hipError_tPvRmT3_T4_T5_T6_T7_T9_mT8_P12ihipStream_tbDpT10_ENKUlT_T0_E_clISt17integral_constantIbLb1EES19_IbLb0EEEEDaS15_S16_EUlS15_E_NS1_11comp_targetILNS1_3genE10ELNS1_11target_archE1200ELNS1_3gpuE4ELNS1_3repE0EEENS1_30default_config_static_selectorELNS0_4arch9wavefront6targetE1EEEvT1_.kd
    .uniform_work_group_size: 1
    .uses_dynamic_stack: false
    .vgpr_count:     0
    .vgpr_spill_count: 0
    .wavefront_size: 64
  - .agpr_count:     0
    .args:
      - .offset:         0
        .size:           120
        .value_kind:     by_value
    .group_segment_fixed_size: 0
    .kernarg_segment_align: 8
    .kernarg_segment_size: 120
    .language:       OpenCL C
    .language_version:
      - 2
      - 0
    .max_flat_workgroup_size: 512
    .name:           _ZN7rocprim17ROCPRIM_400000_NS6detail17trampoline_kernelINS0_14default_configENS1_25partition_config_selectorILNS1_17partition_subalgoE9EllbEEZZNS1_14partition_implILS5_9ELb0ES3_jPlS8_PNS0_10empty_typeENS0_5tupleIJS8_S9_EEENSB_IJS8_SA_EEENS0_18inequality_wrapperIZN2at6native12_GLOBAL__N_124unique_dim_cuda_templateIiEESt5tupleIJNSF_6TensorESK_SK_EERKSK_lbbbEUlllE0_EEPmJS9_EEE10hipError_tPvRmT3_T4_T5_T6_T7_T9_mT8_P12ihipStream_tbDpT10_ENKUlT_T0_E_clISt17integral_constantIbLb1EES19_IbLb0EEEEDaS15_S16_EUlS15_E_NS1_11comp_targetILNS1_3genE9ELNS1_11target_archE1100ELNS1_3gpuE3ELNS1_3repE0EEENS1_30default_config_static_selectorELNS0_4arch9wavefront6targetE1EEEvT1_
    .private_segment_fixed_size: 0
    .sgpr_count:     6
    .sgpr_spill_count: 0
    .symbol:         _ZN7rocprim17ROCPRIM_400000_NS6detail17trampoline_kernelINS0_14default_configENS1_25partition_config_selectorILNS1_17partition_subalgoE9EllbEEZZNS1_14partition_implILS5_9ELb0ES3_jPlS8_PNS0_10empty_typeENS0_5tupleIJS8_S9_EEENSB_IJS8_SA_EEENS0_18inequality_wrapperIZN2at6native12_GLOBAL__N_124unique_dim_cuda_templateIiEESt5tupleIJNSF_6TensorESK_SK_EERKSK_lbbbEUlllE0_EEPmJS9_EEE10hipError_tPvRmT3_T4_T5_T6_T7_T9_mT8_P12ihipStream_tbDpT10_ENKUlT_T0_E_clISt17integral_constantIbLb1EES19_IbLb0EEEEDaS15_S16_EUlS15_E_NS1_11comp_targetILNS1_3genE9ELNS1_11target_archE1100ELNS1_3gpuE3ELNS1_3repE0EEENS1_30default_config_static_selectorELNS0_4arch9wavefront6targetE1EEEvT1_.kd
    .uniform_work_group_size: 1
    .uses_dynamic_stack: false
    .vgpr_count:     0
    .vgpr_spill_count: 0
    .wavefront_size: 64
  - .agpr_count:     0
    .args:
      - .offset:         0
        .size:           120
        .value_kind:     by_value
    .group_segment_fixed_size: 0
    .kernarg_segment_align: 8
    .kernarg_segment_size: 120
    .language:       OpenCL C
    .language_version:
      - 2
      - 0
    .max_flat_workgroup_size: 512
    .name:           _ZN7rocprim17ROCPRIM_400000_NS6detail17trampoline_kernelINS0_14default_configENS1_25partition_config_selectorILNS1_17partition_subalgoE9EllbEEZZNS1_14partition_implILS5_9ELb0ES3_jPlS8_PNS0_10empty_typeENS0_5tupleIJS8_S9_EEENSB_IJS8_SA_EEENS0_18inequality_wrapperIZN2at6native12_GLOBAL__N_124unique_dim_cuda_templateIiEESt5tupleIJNSF_6TensorESK_SK_EERKSK_lbbbEUlllE0_EEPmJS9_EEE10hipError_tPvRmT3_T4_T5_T6_T7_T9_mT8_P12ihipStream_tbDpT10_ENKUlT_T0_E_clISt17integral_constantIbLb1EES19_IbLb0EEEEDaS15_S16_EUlS15_E_NS1_11comp_targetILNS1_3genE8ELNS1_11target_archE1030ELNS1_3gpuE2ELNS1_3repE0EEENS1_30default_config_static_selectorELNS0_4arch9wavefront6targetE1EEEvT1_
    .private_segment_fixed_size: 0
    .sgpr_count:     6
    .sgpr_spill_count: 0
    .symbol:         _ZN7rocprim17ROCPRIM_400000_NS6detail17trampoline_kernelINS0_14default_configENS1_25partition_config_selectorILNS1_17partition_subalgoE9EllbEEZZNS1_14partition_implILS5_9ELb0ES3_jPlS8_PNS0_10empty_typeENS0_5tupleIJS8_S9_EEENSB_IJS8_SA_EEENS0_18inequality_wrapperIZN2at6native12_GLOBAL__N_124unique_dim_cuda_templateIiEESt5tupleIJNSF_6TensorESK_SK_EERKSK_lbbbEUlllE0_EEPmJS9_EEE10hipError_tPvRmT3_T4_T5_T6_T7_T9_mT8_P12ihipStream_tbDpT10_ENKUlT_T0_E_clISt17integral_constantIbLb1EES19_IbLb0EEEEDaS15_S16_EUlS15_E_NS1_11comp_targetILNS1_3genE8ELNS1_11target_archE1030ELNS1_3gpuE2ELNS1_3repE0EEENS1_30default_config_static_selectorELNS0_4arch9wavefront6targetE1EEEvT1_.kd
    .uniform_work_group_size: 1
    .uses_dynamic_stack: false
    .vgpr_count:     0
    .vgpr_spill_count: 0
    .wavefront_size: 64
  - .agpr_count:     0
    .args:
      - .offset:         0
        .size:           136
        .value_kind:     by_value
    .group_segment_fixed_size: 5128
    .kernarg_segment_align: 8
    .kernarg_segment_size: 136
    .language:       OpenCL C
    .language_version:
      - 2
      - 0
    .max_flat_workgroup_size: 128
    .name:           _ZN7rocprim17ROCPRIM_400000_NS6detail17trampoline_kernelINS0_14default_configENS1_25partition_config_selectorILNS1_17partition_subalgoE9EllbEEZZNS1_14partition_implILS5_9ELb0ES3_jPlS8_PNS0_10empty_typeENS0_5tupleIJS8_S9_EEENSB_IJS8_SA_EEENS0_18inequality_wrapperIZN2at6native12_GLOBAL__N_124unique_dim_cuda_templateIiEESt5tupleIJNSF_6TensorESK_SK_EERKSK_lbbbEUlllE0_EEPmJS9_EEE10hipError_tPvRmT3_T4_T5_T6_T7_T9_mT8_P12ihipStream_tbDpT10_ENKUlT_T0_E_clISt17integral_constantIbLb0EES19_IbLb1EEEEDaS15_S16_EUlS15_E_NS1_11comp_targetILNS1_3genE0ELNS1_11target_archE4294967295ELNS1_3gpuE0ELNS1_3repE0EEENS1_30default_config_static_selectorELNS0_4arch9wavefront6targetE1EEEvT1_
    .private_segment_fixed_size: 0
    .sgpr_count:     58
    .sgpr_spill_count: 0
    .symbol:         _ZN7rocprim17ROCPRIM_400000_NS6detail17trampoline_kernelINS0_14default_configENS1_25partition_config_selectorILNS1_17partition_subalgoE9EllbEEZZNS1_14partition_implILS5_9ELb0ES3_jPlS8_PNS0_10empty_typeENS0_5tupleIJS8_S9_EEENSB_IJS8_SA_EEENS0_18inequality_wrapperIZN2at6native12_GLOBAL__N_124unique_dim_cuda_templateIiEESt5tupleIJNSF_6TensorESK_SK_EERKSK_lbbbEUlllE0_EEPmJS9_EEE10hipError_tPvRmT3_T4_T5_T6_T7_T9_mT8_P12ihipStream_tbDpT10_ENKUlT_T0_E_clISt17integral_constantIbLb0EES19_IbLb1EEEEDaS15_S16_EUlS15_E_NS1_11comp_targetILNS1_3genE0ELNS1_11target_archE4294967295ELNS1_3gpuE0ELNS1_3repE0EEENS1_30default_config_static_selectorELNS0_4arch9wavefront6targetE1EEEvT1_.kd
    .uniform_work_group_size: 1
    .uses_dynamic_stack: false
    .vgpr_count:     60
    .vgpr_spill_count: 0
    .wavefront_size: 64
  - .agpr_count:     0
    .args:
      - .offset:         0
        .size:           136
        .value_kind:     by_value
    .group_segment_fixed_size: 0
    .kernarg_segment_align: 8
    .kernarg_segment_size: 136
    .language:       OpenCL C
    .language_version:
      - 2
      - 0
    .max_flat_workgroup_size: 512
    .name:           _ZN7rocprim17ROCPRIM_400000_NS6detail17trampoline_kernelINS0_14default_configENS1_25partition_config_selectorILNS1_17partition_subalgoE9EllbEEZZNS1_14partition_implILS5_9ELb0ES3_jPlS8_PNS0_10empty_typeENS0_5tupleIJS8_S9_EEENSB_IJS8_SA_EEENS0_18inequality_wrapperIZN2at6native12_GLOBAL__N_124unique_dim_cuda_templateIiEESt5tupleIJNSF_6TensorESK_SK_EERKSK_lbbbEUlllE0_EEPmJS9_EEE10hipError_tPvRmT3_T4_T5_T6_T7_T9_mT8_P12ihipStream_tbDpT10_ENKUlT_T0_E_clISt17integral_constantIbLb0EES19_IbLb1EEEEDaS15_S16_EUlS15_E_NS1_11comp_targetILNS1_3genE5ELNS1_11target_archE942ELNS1_3gpuE9ELNS1_3repE0EEENS1_30default_config_static_selectorELNS0_4arch9wavefront6targetE1EEEvT1_
    .private_segment_fixed_size: 0
    .sgpr_count:     6
    .sgpr_spill_count: 0
    .symbol:         _ZN7rocprim17ROCPRIM_400000_NS6detail17trampoline_kernelINS0_14default_configENS1_25partition_config_selectorILNS1_17partition_subalgoE9EllbEEZZNS1_14partition_implILS5_9ELb0ES3_jPlS8_PNS0_10empty_typeENS0_5tupleIJS8_S9_EEENSB_IJS8_SA_EEENS0_18inequality_wrapperIZN2at6native12_GLOBAL__N_124unique_dim_cuda_templateIiEESt5tupleIJNSF_6TensorESK_SK_EERKSK_lbbbEUlllE0_EEPmJS9_EEE10hipError_tPvRmT3_T4_T5_T6_T7_T9_mT8_P12ihipStream_tbDpT10_ENKUlT_T0_E_clISt17integral_constantIbLb0EES19_IbLb1EEEEDaS15_S16_EUlS15_E_NS1_11comp_targetILNS1_3genE5ELNS1_11target_archE942ELNS1_3gpuE9ELNS1_3repE0EEENS1_30default_config_static_selectorELNS0_4arch9wavefront6targetE1EEEvT1_.kd
    .uniform_work_group_size: 1
    .uses_dynamic_stack: false
    .vgpr_count:     0
    .vgpr_spill_count: 0
    .wavefront_size: 64
  - .agpr_count:     0
    .args:
      - .offset:         0
        .size:           136
        .value_kind:     by_value
    .group_segment_fixed_size: 0
    .kernarg_segment_align: 8
    .kernarg_segment_size: 136
    .language:       OpenCL C
    .language_version:
      - 2
      - 0
    .max_flat_workgroup_size: 128
    .name:           _ZN7rocprim17ROCPRIM_400000_NS6detail17trampoline_kernelINS0_14default_configENS1_25partition_config_selectorILNS1_17partition_subalgoE9EllbEEZZNS1_14partition_implILS5_9ELb0ES3_jPlS8_PNS0_10empty_typeENS0_5tupleIJS8_S9_EEENSB_IJS8_SA_EEENS0_18inequality_wrapperIZN2at6native12_GLOBAL__N_124unique_dim_cuda_templateIiEESt5tupleIJNSF_6TensorESK_SK_EERKSK_lbbbEUlllE0_EEPmJS9_EEE10hipError_tPvRmT3_T4_T5_T6_T7_T9_mT8_P12ihipStream_tbDpT10_ENKUlT_T0_E_clISt17integral_constantIbLb0EES19_IbLb1EEEEDaS15_S16_EUlS15_E_NS1_11comp_targetILNS1_3genE4ELNS1_11target_archE910ELNS1_3gpuE8ELNS1_3repE0EEENS1_30default_config_static_selectorELNS0_4arch9wavefront6targetE1EEEvT1_
    .private_segment_fixed_size: 0
    .sgpr_count:     6
    .sgpr_spill_count: 0
    .symbol:         _ZN7rocprim17ROCPRIM_400000_NS6detail17trampoline_kernelINS0_14default_configENS1_25partition_config_selectorILNS1_17partition_subalgoE9EllbEEZZNS1_14partition_implILS5_9ELb0ES3_jPlS8_PNS0_10empty_typeENS0_5tupleIJS8_S9_EEENSB_IJS8_SA_EEENS0_18inequality_wrapperIZN2at6native12_GLOBAL__N_124unique_dim_cuda_templateIiEESt5tupleIJNSF_6TensorESK_SK_EERKSK_lbbbEUlllE0_EEPmJS9_EEE10hipError_tPvRmT3_T4_T5_T6_T7_T9_mT8_P12ihipStream_tbDpT10_ENKUlT_T0_E_clISt17integral_constantIbLb0EES19_IbLb1EEEEDaS15_S16_EUlS15_E_NS1_11comp_targetILNS1_3genE4ELNS1_11target_archE910ELNS1_3gpuE8ELNS1_3repE0EEENS1_30default_config_static_selectorELNS0_4arch9wavefront6targetE1EEEvT1_.kd
    .uniform_work_group_size: 1
    .uses_dynamic_stack: false
    .vgpr_count:     0
    .vgpr_spill_count: 0
    .wavefront_size: 64
  - .agpr_count:     0
    .args:
      - .offset:         0
        .size:           136
        .value_kind:     by_value
    .group_segment_fixed_size: 0
    .kernarg_segment_align: 8
    .kernarg_segment_size: 136
    .language:       OpenCL C
    .language_version:
      - 2
      - 0
    .max_flat_workgroup_size: 128
    .name:           _ZN7rocprim17ROCPRIM_400000_NS6detail17trampoline_kernelINS0_14default_configENS1_25partition_config_selectorILNS1_17partition_subalgoE9EllbEEZZNS1_14partition_implILS5_9ELb0ES3_jPlS8_PNS0_10empty_typeENS0_5tupleIJS8_S9_EEENSB_IJS8_SA_EEENS0_18inequality_wrapperIZN2at6native12_GLOBAL__N_124unique_dim_cuda_templateIiEESt5tupleIJNSF_6TensorESK_SK_EERKSK_lbbbEUlllE0_EEPmJS9_EEE10hipError_tPvRmT3_T4_T5_T6_T7_T9_mT8_P12ihipStream_tbDpT10_ENKUlT_T0_E_clISt17integral_constantIbLb0EES19_IbLb1EEEEDaS15_S16_EUlS15_E_NS1_11comp_targetILNS1_3genE3ELNS1_11target_archE908ELNS1_3gpuE7ELNS1_3repE0EEENS1_30default_config_static_selectorELNS0_4arch9wavefront6targetE1EEEvT1_
    .private_segment_fixed_size: 0
    .sgpr_count:     6
    .sgpr_spill_count: 0
    .symbol:         _ZN7rocprim17ROCPRIM_400000_NS6detail17trampoline_kernelINS0_14default_configENS1_25partition_config_selectorILNS1_17partition_subalgoE9EllbEEZZNS1_14partition_implILS5_9ELb0ES3_jPlS8_PNS0_10empty_typeENS0_5tupleIJS8_S9_EEENSB_IJS8_SA_EEENS0_18inequality_wrapperIZN2at6native12_GLOBAL__N_124unique_dim_cuda_templateIiEESt5tupleIJNSF_6TensorESK_SK_EERKSK_lbbbEUlllE0_EEPmJS9_EEE10hipError_tPvRmT3_T4_T5_T6_T7_T9_mT8_P12ihipStream_tbDpT10_ENKUlT_T0_E_clISt17integral_constantIbLb0EES19_IbLb1EEEEDaS15_S16_EUlS15_E_NS1_11comp_targetILNS1_3genE3ELNS1_11target_archE908ELNS1_3gpuE7ELNS1_3repE0EEENS1_30default_config_static_selectorELNS0_4arch9wavefront6targetE1EEEvT1_.kd
    .uniform_work_group_size: 1
    .uses_dynamic_stack: false
    .vgpr_count:     0
    .vgpr_spill_count: 0
    .wavefront_size: 64
  - .agpr_count:     0
    .args:
      - .offset:         0
        .size:           136
        .value_kind:     by_value
    .group_segment_fixed_size: 0
    .kernarg_segment_align: 8
    .kernarg_segment_size: 136
    .language:       OpenCL C
    .language_version:
      - 2
      - 0
    .max_flat_workgroup_size: 192
    .name:           _ZN7rocprim17ROCPRIM_400000_NS6detail17trampoline_kernelINS0_14default_configENS1_25partition_config_selectorILNS1_17partition_subalgoE9EllbEEZZNS1_14partition_implILS5_9ELb0ES3_jPlS8_PNS0_10empty_typeENS0_5tupleIJS8_S9_EEENSB_IJS8_SA_EEENS0_18inequality_wrapperIZN2at6native12_GLOBAL__N_124unique_dim_cuda_templateIiEESt5tupleIJNSF_6TensorESK_SK_EERKSK_lbbbEUlllE0_EEPmJS9_EEE10hipError_tPvRmT3_T4_T5_T6_T7_T9_mT8_P12ihipStream_tbDpT10_ENKUlT_T0_E_clISt17integral_constantIbLb0EES19_IbLb1EEEEDaS15_S16_EUlS15_E_NS1_11comp_targetILNS1_3genE2ELNS1_11target_archE906ELNS1_3gpuE6ELNS1_3repE0EEENS1_30default_config_static_selectorELNS0_4arch9wavefront6targetE1EEEvT1_
    .private_segment_fixed_size: 0
    .sgpr_count:     6
    .sgpr_spill_count: 0
    .symbol:         _ZN7rocprim17ROCPRIM_400000_NS6detail17trampoline_kernelINS0_14default_configENS1_25partition_config_selectorILNS1_17partition_subalgoE9EllbEEZZNS1_14partition_implILS5_9ELb0ES3_jPlS8_PNS0_10empty_typeENS0_5tupleIJS8_S9_EEENSB_IJS8_SA_EEENS0_18inequality_wrapperIZN2at6native12_GLOBAL__N_124unique_dim_cuda_templateIiEESt5tupleIJNSF_6TensorESK_SK_EERKSK_lbbbEUlllE0_EEPmJS9_EEE10hipError_tPvRmT3_T4_T5_T6_T7_T9_mT8_P12ihipStream_tbDpT10_ENKUlT_T0_E_clISt17integral_constantIbLb0EES19_IbLb1EEEEDaS15_S16_EUlS15_E_NS1_11comp_targetILNS1_3genE2ELNS1_11target_archE906ELNS1_3gpuE6ELNS1_3repE0EEENS1_30default_config_static_selectorELNS0_4arch9wavefront6targetE1EEEvT1_.kd
    .uniform_work_group_size: 1
    .uses_dynamic_stack: false
    .vgpr_count:     0
    .vgpr_spill_count: 0
    .wavefront_size: 64
  - .agpr_count:     0
    .args:
      - .offset:         0
        .size:           136
        .value_kind:     by_value
    .group_segment_fixed_size: 0
    .kernarg_segment_align: 8
    .kernarg_segment_size: 136
    .language:       OpenCL C
    .language_version:
      - 2
      - 0
    .max_flat_workgroup_size: 384
    .name:           _ZN7rocprim17ROCPRIM_400000_NS6detail17trampoline_kernelINS0_14default_configENS1_25partition_config_selectorILNS1_17partition_subalgoE9EllbEEZZNS1_14partition_implILS5_9ELb0ES3_jPlS8_PNS0_10empty_typeENS0_5tupleIJS8_S9_EEENSB_IJS8_SA_EEENS0_18inequality_wrapperIZN2at6native12_GLOBAL__N_124unique_dim_cuda_templateIiEESt5tupleIJNSF_6TensorESK_SK_EERKSK_lbbbEUlllE0_EEPmJS9_EEE10hipError_tPvRmT3_T4_T5_T6_T7_T9_mT8_P12ihipStream_tbDpT10_ENKUlT_T0_E_clISt17integral_constantIbLb0EES19_IbLb1EEEEDaS15_S16_EUlS15_E_NS1_11comp_targetILNS1_3genE10ELNS1_11target_archE1200ELNS1_3gpuE4ELNS1_3repE0EEENS1_30default_config_static_selectorELNS0_4arch9wavefront6targetE1EEEvT1_
    .private_segment_fixed_size: 0
    .sgpr_count:     6
    .sgpr_spill_count: 0
    .symbol:         _ZN7rocprim17ROCPRIM_400000_NS6detail17trampoline_kernelINS0_14default_configENS1_25partition_config_selectorILNS1_17partition_subalgoE9EllbEEZZNS1_14partition_implILS5_9ELb0ES3_jPlS8_PNS0_10empty_typeENS0_5tupleIJS8_S9_EEENSB_IJS8_SA_EEENS0_18inequality_wrapperIZN2at6native12_GLOBAL__N_124unique_dim_cuda_templateIiEESt5tupleIJNSF_6TensorESK_SK_EERKSK_lbbbEUlllE0_EEPmJS9_EEE10hipError_tPvRmT3_T4_T5_T6_T7_T9_mT8_P12ihipStream_tbDpT10_ENKUlT_T0_E_clISt17integral_constantIbLb0EES19_IbLb1EEEEDaS15_S16_EUlS15_E_NS1_11comp_targetILNS1_3genE10ELNS1_11target_archE1200ELNS1_3gpuE4ELNS1_3repE0EEENS1_30default_config_static_selectorELNS0_4arch9wavefront6targetE1EEEvT1_.kd
    .uniform_work_group_size: 1
    .uses_dynamic_stack: false
    .vgpr_count:     0
    .vgpr_spill_count: 0
    .wavefront_size: 64
  - .agpr_count:     0
    .args:
      - .offset:         0
        .size:           136
        .value_kind:     by_value
    .group_segment_fixed_size: 0
    .kernarg_segment_align: 8
    .kernarg_segment_size: 136
    .language:       OpenCL C
    .language_version:
      - 2
      - 0
    .max_flat_workgroup_size: 512
    .name:           _ZN7rocprim17ROCPRIM_400000_NS6detail17trampoline_kernelINS0_14default_configENS1_25partition_config_selectorILNS1_17partition_subalgoE9EllbEEZZNS1_14partition_implILS5_9ELb0ES3_jPlS8_PNS0_10empty_typeENS0_5tupleIJS8_S9_EEENSB_IJS8_SA_EEENS0_18inequality_wrapperIZN2at6native12_GLOBAL__N_124unique_dim_cuda_templateIiEESt5tupleIJNSF_6TensorESK_SK_EERKSK_lbbbEUlllE0_EEPmJS9_EEE10hipError_tPvRmT3_T4_T5_T6_T7_T9_mT8_P12ihipStream_tbDpT10_ENKUlT_T0_E_clISt17integral_constantIbLb0EES19_IbLb1EEEEDaS15_S16_EUlS15_E_NS1_11comp_targetILNS1_3genE9ELNS1_11target_archE1100ELNS1_3gpuE3ELNS1_3repE0EEENS1_30default_config_static_selectorELNS0_4arch9wavefront6targetE1EEEvT1_
    .private_segment_fixed_size: 0
    .sgpr_count:     6
    .sgpr_spill_count: 0
    .symbol:         _ZN7rocprim17ROCPRIM_400000_NS6detail17trampoline_kernelINS0_14default_configENS1_25partition_config_selectorILNS1_17partition_subalgoE9EllbEEZZNS1_14partition_implILS5_9ELb0ES3_jPlS8_PNS0_10empty_typeENS0_5tupleIJS8_S9_EEENSB_IJS8_SA_EEENS0_18inequality_wrapperIZN2at6native12_GLOBAL__N_124unique_dim_cuda_templateIiEESt5tupleIJNSF_6TensorESK_SK_EERKSK_lbbbEUlllE0_EEPmJS9_EEE10hipError_tPvRmT3_T4_T5_T6_T7_T9_mT8_P12ihipStream_tbDpT10_ENKUlT_T0_E_clISt17integral_constantIbLb0EES19_IbLb1EEEEDaS15_S16_EUlS15_E_NS1_11comp_targetILNS1_3genE9ELNS1_11target_archE1100ELNS1_3gpuE3ELNS1_3repE0EEENS1_30default_config_static_selectorELNS0_4arch9wavefront6targetE1EEEvT1_.kd
    .uniform_work_group_size: 1
    .uses_dynamic_stack: false
    .vgpr_count:     0
    .vgpr_spill_count: 0
    .wavefront_size: 64
  - .agpr_count:     0
    .args:
      - .offset:         0
        .size:           136
        .value_kind:     by_value
    .group_segment_fixed_size: 0
    .kernarg_segment_align: 8
    .kernarg_segment_size: 136
    .language:       OpenCL C
    .language_version:
      - 2
      - 0
    .max_flat_workgroup_size: 512
    .name:           _ZN7rocprim17ROCPRIM_400000_NS6detail17trampoline_kernelINS0_14default_configENS1_25partition_config_selectorILNS1_17partition_subalgoE9EllbEEZZNS1_14partition_implILS5_9ELb0ES3_jPlS8_PNS0_10empty_typeENS0_5tupleIJS8_S9_EEENSB_IJS8_SA_EEENS0_18inequality_wrapperIZN2at6native12_GLOBAL__N_124unique_dim_cuda_templateIiEESt5tupleIJNSF_6TensorESK_SK_EERKSK_lbbbEUlllE0_EEPmJS9_EEE10hipError_tPvRmT3_T4_T5_T6_T7_T9_mT8_P12ihipStream_tbDpT10_ENKUlT_T0_E_clISt17integral_constantIbLb0EES19_IbLb1EEEEDaS15_S16_EUlS15_E_NS1_11comp_targetILNS1_3genE8ELNS1_11target_archE1030ELNS1_3gpuE2ELNS1_3repE0EEENS1_30default_config_static_selectorELNS0_4arch9wavefront6targetE1EEEvT1_
    .private_segment_fixed_size: 0
    .sgpr_count:     6
    .sgpr_spill_count: 0
    .symbol:         _ZN7rocprim17ROCPRIM_400000_NS6detail17trampoline_kernelINS0_14default_configENS1_25partition_config_selectorILNS1_17partition_subalgoE9EllbEEZZNS1_14partition_implILS5_9ELb0ES3_jPlS8_PNS0_10empty_typeENS0_5tupleIJS8_S9_EEENSB_IJS8_SA_EEENS0_18inequality_wrapperIZN2at6native12_GLOBAL__N_124unique_dim_cuda_templateIiEESt5tupleIJNSF_6TensorESK_SK_EERKSK_lbbbEUlllE0_EEPmJS9_EEE10hipError_tPvRmT3_T4_T5_T6_T7_T9_mT8_P12ihipStream_tbDpT10_ENKUlT_T0_E_clISt17integral_constantIbLb0EES19_IbLb1EEEEDaS15_S16_EUlS15_E_NS1_11comp_targetILNS1_3genE8ELNS1_11target_archE1030ELNS1_3gpuE2ELNS1_3repE0EEENS1_30default_config_static_selectorELNS0_4arch9wavefront6targetE1EEEvT1_.kd
    .uniform_work_group_size: 1
    .uses_dynamic_stack: false
    .vgpr_count:     0
    .vgpr_spill_count: 0
    .wavefront_size: 64
  - .agpr_count:     0
    .args:
      - .offset:         0
        .size:           72
        .value_kind:     by_value
      - .offset:         72
        .size:           4
        .value_kind:     hidden_block_count_x
      - .offset:         76
        .size:           4
        .value_kind:     hidden_block_count_y
      - .offset:         80
        .size:           4
        .value_kind:     hidden_block_count_z
      - .offset:         84
        .size:           2
        .value_kind:     hidden_group_size_x
      - .offset:         86
        .size:           2
        .value_kind:     hidden_group_size_y
      - .offset:         88
        .size:           2
        .value_kind:     hidden_group_size_z
      - .offset:         90
        .size:           2
        .value_kind:     hidden_remainder_x
      - .offset:         92
        .size:           2
        .value_kind:     hidden_remainder_y
      - .offset:         94
        .size:           2
        .value_kind:     hidden_remainder_z
      - .offset:         112
        .size:           8
        .value_kind:     hidden_global_offset_x
      - .offset:         120
        .size:           8
        .value_kind:     hidden_global_offset_y
      - .offset:         128
        .size:           8
        .value_kind:     hidden_global_offset_z
      - .offset:         136
        .size:           2
        .value_kind:     hidden_grid_dims
    .group_segment_fixed_size: 16896
    .kernarg_segment_align: 8
    .kernarg_segment_size: 328
    .language:       OpenCL C
    .language_version:
      - 2
      - 0
    .max_flat_workgroup_size: 256
    .name:           _ZN7rocprim17ROCPRIM_400000_NS6detail17trampoline_kernelINS0_14default_configENS1_37merge_sort_block_sort_config_selectorIlNS0_10empty_typeEEEZNS1_21merge_sort_block_sortIS3_PlS8_PS5_S9_ZN2at6native12_GLOBAL__N_124unique_dim_cuda_templateIlEESt5tupleIJNSA_6TensorESF_SF_EERKSF_lbbbEUlllE_EE10hipError_tT0_T1_T2_T3_mRjT4_P12ihipStream_tbNS1_7vsmem_tEEUlT_E_NS1_11comp_targetILNS1_3genE0ELNS1_11target_archE4294967295ELNS1_3gpuE0ELNS1_3repE0EEENS1_30default_config_static_selectorELNS0_4arch9wavefront6targetE1EEEvSM_
    .private_segment_fixed_size: 0
    .sgpr_count:     73
    .sgpr_spill_count: 0
    .symbol:         _ZN7rocprim17ROCPRIM_400000_NS6detail17trampoline_kernelINS0_14default_configENS1_37merge_sort_block_sort_config_selectorIlNS0_10empty_typeEEEZNS1_21merge_sort_block_sortIS3_PlS8_PS5_S9_ZN2at6native12_GLOBAL__N_124unique_dim_cuda_templateIlEESt5tupleIJNSA_6TensorESF_SF_EERKSF_lbbbEUlllE_EE10hipError_tT0_T1_T2_T3_mRjT4_P12ihipStream_tbNS1_7vsmem_tEEUlT_E_NS1_11comp_targetILNS1_3genE0ELNS1_11target_archE4294967295ELNS1_3gpuE0ELNS1_3repE0EEENS1_30default_config_static_selectorELNS0_4arch9wavefront6targetE1EEEvSM_.kd
    .uniform_work_group_size: 1
    .uses_dynamic_stack: false
    .vgpr_count:     58
    .vgpr_spill_count: 0
    .wavefront_size: 64
  - .agpr_count:     0
    .args:
      - .offset:         0
        .size:           72
        .value_kind:     by_value
    .group_segment_fixed_size: 0
    .kernarg_segment_align: 8
    .kernarg_segment_size: 72
    .language:       OpenCL C
    .language_version:
      - 2
      - 0
    .max_flat_workgroup_size: 256
    .name:           _ZN7rocprim17ROCPRIM_400000_NS6detail17trampoline_kernelINS0_14default_configENS1_37merge_sort_block_sort_config_selectorIlNS0_10empty_typeEEEZNS1_21merge_sort_block_sortIS3_PlS8_PS5_S9_ZN2at6native12_GLOBAL__N_124unique_dim_cuda_templateIlEESt5tupleIJNSA_6TensorESF_SF_EERKSF_lbbbEUlllE_EE10hipError_tT0_T1_T2_T3_mRjT4_P12ihipStream_tbNS1_7vsmem_tEEUlT_E_NS1_11comp_targetILNS1_3genE5ELNS1_11target_archE942ELNS1_3gpuE9ELNS1_3repE0EEENS1_30default_config_static_selectorELNS0_4arch9wavefront6targetE1EEEvSM_
    .private_segment_fixed_size: 0
    .sgpr_count:     6
    .sgpr_spill_count: 0
    .symbol:         _ZN7rocprim17ROCPRIM_400000_NS6detail17trampoline_kernelINS0_14default_configENS1_37merge_sort_block_sort_config_selectorIlNS0_10empty_typeEEEZNS1_21merge_sort_block_sortIS3_PlS8_PS5_S9_ZN2at6native12_GLOBAL__N_124unique_dim_cuda_templateIlEESt5tupleIJNSA_6TensorESF_SF_EERKSF_lbbbEUlllE_EE10hipError_tT0_T1_T2_T3_mRjT4_P12ihipStream_tbNS1_7vsmem_tEEUlT_E_NS1_11comp_targetILNS1_3genE5ELNS1_11target_archE942ELNS1_3gpuE9ELNS1_3repE0EEENS1_30default_config_static_selectorELNS0_4arch9wavefront6targetE1EEEvSM_.kd
    .uniform_work_group_size: 1
    .uses_dynamic_stack: false
    .vgpr_count:     0
    .vgpr_spill_count: 0
    .wavefront_size: 64
  - .agpr_count:     0
    .args:
      - .offset:         0
        .size:           72
        .value_kind:     by_value
    .group_segment_fixed_size: 0
    .kernarg_segment_align: 8
    .kernarg_segment_size: 72
    .language:       OpenCL C
    .language_version:
      - 2
      - 0
    .max_flat_workgroup_size: 256
    .name:           _ZN7rocprim17ROCPRIM_400000_NS6detail17trampoline_kernelINS0_14default_configENS1_37merge_sort_block_sort_config_selectorIlNS0_10empty_typeEEEZNS1_21merge_sort_block_sortIS3_PlS8_PS5_S9_ZN2at6native12_GLOBAL__N_124unique_dim_cuda_templateIlEESt5tupleIJNSA_6TensorESF_SF_EERKSF_lbbbEUlllE_EE10hipError_tT0_T1_T2_T3_mRjT4_P12ihipStream_tbNS1_7vsmem_tEEUlT_E_NS1_11comp_targetILNS1_3genE4ELNS1_11target_archE910ELNS1_3gpuE8ELNS1_3repE0EEENS1_30default_config_static_selectorELNS0_4arch9wavefront6targetE1EEEvSM_
    .private_segment_fixed_size: 0
    .sgpr_count:     6
    .sgpr_spill_count: 0
    .symbol:         _ZN7rocprim17ROCPRIM_400000_NS6detail17trampoline_kernelINS0_14default_configENS1_37merge_sort_block_sort_config_selectorIlNS0_10empty_typeEEEZNS1_21merge_sort_block_sortIS3_PlS8_PS5_S9_ZN2at6native12_GLOBAL__N_124unique_dim_cuda_templateIlEESt5tupleIJNSA_6TensorESF_SF_EERKSF_lbbbEUlllE_EE10hipError_tT0_T1_T2_T3_mRjT4_P12ihipStream_tbNS1_7vsmem_tEEUlT_E_NS1_11comp_targetILNS1_3genE4ELNS1_11target_archE910ELNS1_3gpuE8ELNS1_3repE0EEENS1_30default_config_static_selectorELNS0_4arch9wavefront6targetE1EEEvSM_.kd
    .uniform_work_group_size: 1
    .uses_dynamic_stack: false
    .vgpr_count:     0
    .vgpr_spill_count: 0
    .wavefront_size: 64
  - .agpr_count:     0
    .args:
      - .offset:         0
        .size:           72
        .value_kind:     by_value
    .group_segment_fixed_size: 0
    .kernarg_segment_align: 8
    .kernarg_segment_size: 72
    .language:       OpenCL C
    .language_version:
      - 2
      - 0
    .max_flat_workgroup_size: 256
    .name:           _ZN7rocprim17ROCPRIM_400000_NS6detail17trampoline_kernelINS0_14default_configENS1_37merge_sort_block_sort_config_selectorIlNS0_10empty_typeEEEZNS1_21merge_sort_block_sortIS3_PlS8_PS5_S9_ZN2at6native12_GLOBAL__N_124unique_dim_cuda_templateIlEESt5tupleIJNSA_6TensorESF_SF_EERKSF_lbbbEUlllE_EE10hipError_tT0_T1_T2_T3_mRjT4_P12ihipStream_tbNS1_7vsmem_tEEUlT_E_NS1_11comp_targetILNS1_3genE3ELNS1_11target_archE908ELNS1_3gpuE7ELNS1_3repE0EEENS1_30default_config_static_selectorELNS0_4arch9wavefront6targetE1EEEvSM_
    .private_segment_fixed_size: 0
    .sgpr_count:     6
    .sgpr_spill_count: 0
    .symbol:         _ZN7rocprim17ROCPRIM_400000_NS6detail17trampoline_kernelINS0_14default_configENS1_37merge_sort_block_sort_config_selectorIlNS0_10empty_typeEEEZNS1_21merge_sort_block_sortIS3_PlS8_PS5_S9_ZN2at6native12_GLOBAL__N_124unique_dim_cuda_templateIlEESt5tupleIJNSA_6TensorESF_SF_EERKSF_lbbbEUlllE_EE10hipError_tT0_T1_T2_T3_mRjT4_P12ihipStream_tbNS1_7vsmem_tEEUlT_E_NS1_11comp_targetILNS1_3genE3ELNS1_11target_archE908ELNS1_3gpuE7ELNS1_3repE0EEENS1_30default_config_static_selectorELNS0_4arch9wavefront6targetE1EEEvSM_.kd
    .uniform_work_group_size: 1
    .uses_dynamic_stack: false
    .vgpr_count:     0
    .vgpr_spill_count: 0
    .wavefront_size: 64
  - .agpr_count:     0
    .args:
      - .offset:         0
        .size:           72
        .value_kind:     by_value
    .group_segment_fixed_size: 0
    .kernarg_segment_align: 8
    .kernarg_segment_size: 72
    .language:       OpenCL C
    .language_version:
      - 2
      - 0
    .max_flat_workgroup_size: 256
    .name:           _ZN7rocprim17ROCPRIM_400000_NS6detail17trampoline_kernelINS0_14default_configENS1_37merge_sort_block_sort_config_selectorIlNS0_10empty_typeEEEZNS1_21merge_sort_block_sortIS3_PlS8_PS5_S9_ZN2at6native12_GLOBAL__N_124unique_dim_cuda_templateIlEESt5tupleIJNSA_6TensorESF_SF_EERKSF_lbbbEUlllE_EE10hipError_tT0_T1_T2_T3_mRjT4_P12ihipStream_tbNS1_7vsmem_tEEUlT_E_NS1_11comp_targetILNS1_3genE2ELNS1_11target_archE906ELNS1_3gpuE6ELNS1_3repE0EEENS1_30default_config_static_selectorELNS0_4arch9wavefront6targetE1EEEvSM_
    .private_segment_fixed_size: 0
    .sgpr_count:     6
    .sgpr_spill_count: 0
    .symbol:         _ZN7rocprim17ROCPRIM_400000_NS6detail17trampoline_kernelINS0_14default_configENS1_37merge_sort_block_sort_config_selectorIlNS0_10empty_typeEEEZNS1_21merge_sort_block_sortIS3_PlS8_PS5_S9_ZN2at6native12_GLOBAL__N_124unique_dim_cuda_templateIlEESt5tupleIJNSA_6TensorESF_SF_EERKSF_lbbbEUlllE_EE10hipError_tT0_T1_T2_T3_mRjT4_P12ihipStream_tbNS1_7vsmem_tEEUlT_E_NS1_11comp_targetILNS1_3genE2ELNS1_11target_archE906ELNS1_3gpuE6ELNS1_3repE0EEENS1_30default_config_static_selectorELNS0_4arch9wavefront6targetE1EEEvSM_.kd
    .uniform_work_group_size: 1
    .uses_dynamic_stack: false
    .vgpr_count:     0
    .vgpr_spill_count: 0
    .wavefront_size: 64
  - .agpr_count:     0
    .args:
      - .offset:         0
        .size:           72
        .value_kind:     by_value
    .group_segment_fixed_size: 0
    .kernarg_segment_align: 8
    .kernarg_segment_size: 72
    .language:       OpenCL C
    .language_version:
      - 2
      - 0
    .max_flat_workgroup_size: 256
    .name:           _ZN7rocprim17ROCPRIM_400000_NS6detail17trampoline_kernelINS0_14default_configENS1_37merge_sort_block_sort_config_selectorIlNS0_10empty_typeEEEZNS1_21merge_sort_block_sortIS3_PlS8_PS5_S9_ZN2at6native12_GLOBAL__N_124unique_dim_cuda_templateIlEESt5tupleIJNSA_6TensorESF_SF_EERKSF_lbbbEUlllE_EE10hipError_tT0_T1_T2_T3_mRjT4_P12ihipStream_tbNS1_7vsmem_tEEUlT_E_NS1_11comp_targetILNS1_3genE10ELNS1_11target_archE1201ELNS1_3gpuE5ELNS1_3repE0EEENS1_30default_config_static_selectorELNS0_4arch9wavefront6targetE1EEEvSM_
    .private_segment_fixed_size: 0
    .sgpr_count:     6
    .sgpr_spill_count: 0
    .symbol:         _ZN7rocprim17ROCPRIM_400000_NS6detail17trampoline_kernelINS0_14default_configENS1_37merge_sort_block_sort_config_selectorIlNS0_10empty_typeEEEZNS1_21merge_sort_block_sortIS3_PlS8_PS5_S9_ZN2at6native12_GLOBAL__N_124unique_dim_cuda_templateIlEESt5tupleIJNSA_6TensorESF_SF_EERKSF_lbbbEUlllE_EE10hipError_tT0_T1_T2_T3_mRjT4_P12ihipStream_tbNS1_7vsmem_tEEUlT_E_NS1_11comp_targetILNS1_3genE10ELNS1_11target_archE1201ELNS1_3gpuE5ELNS1_3repE0EEENS1_30default_config_static_selectorELNS0_4arch9wavefront6targetE1EEEvSM_.kd
    .uniform_work_group_size: 1
    .uses_dynamic_stack: false
    .vgpr_count:     0
    .vgpr_spill_count: 0
    .wavefront_size: 64
  - .agpr_count:     0
    .args:
      - .offset:         0
        .size:           72
        .value_kind:     by_value
    .group_segment_fixed_size: 0
    .kernarg_segment_align: 8
    .kernarg_segment_size: 72
    .language:       OpenCL C
    .language_version:
      - 2
      - 0
    .max_flat_workgroup_size: 512
    .name:           _ZN7rocprim17ROCPRIM_400000_NS6detail17trampoline_kernelINS0_14default_configENS1_37merge_sort_block_sort_config_selectorIlNS0_10empty_typeEEEZNS1_21merge_sort_block_sortIS3_PlS8_PS5_S9_ZN2at6native12_GLOBAL__N_124unique_dim_cuda_templateIlEESt5tupleIJNSA_6TensorESF_SF_EERKSF_lbbbEUlllE_EE10hipError_tT0_T1_T2_T3_mRjT4_P12ihipStream_tbNS1_7vsmem_tEEUlT_E_NS1_11comp_targetILNS1_3genE10ELNS1_11target_archE1200ELNS1_3gpuE4ELNS1_3repE0EEENS1_30default_config_static_selectorELNS0_4arch9wavefront6targetE1EEEvSM_
    .private_segment_fixed_size: 0
    .sgpr_count:     6
    .sgpr_spill_count: 0
    .symbol:         _ZN7rocprim17ROCPRIM_400000_NS6detail17trampoline_kernelINS0_14default_configENS1_37merge_sort_block_sort_config_selectorIlNS0_10empty_typeEEEZNS1_21merge_sort_block_sortIS3_PlS8_PS5_S9_ZN2at6native12_GLOBAL__N_124unique_dim_cuda_templateIlEESt5tupleIJNSA_6TensorESF_SF_EERKSF_lbbbEUlllE_EE10hipError_tT0_T1_T2_T3_mRjT4_P12ihipStream_tbNS1_7vsmem_tEEUlT_E_NS1_11comp_targetILNS1_3genE10ELNS1_11target_archE1200ELNS1_3gpuE4ELNS1_3repE0EEENS1_30default_config_static_selectorELNS0_4arch9wavefront6targetE1EEEvSM_.kd
    .uniform_work_group_size: 1
    .uses_dynamic_stack: false
    .vgpr_count:     0
    .vgpr_spill_count: 0
    .wavefront_size: 64
  - .agpr_count:     0
    .args:
      - .offset:         0
        .size:           72
        .value_kind:     by_value
    .group_segment_fixed_size: 0
    .kernarg_segment_align: 8
    .kernarg_segment_size: 72
    .language:       OpenCL C
    .language_version:
      - 2
      - 0
    .max_flat_workgroup_size: 256
    .name:           _ZN7rocprim17ROCPRIM_400000_NS6detail17trampoline_kernelINS0_14default_configENS1_37merge_sort_block_sort_config_selectorIlNS0_10empty_typeEEEZNS1_21merge_sort_block_sortIS3_PlS8_PS5_S9_ZN2at6native12_GLOBAL__N_124unique_dim_cuda_templateIlEESt5tupleIJNSA_6TensorESF_SF_EERKSF_lbbbEUlllE_EE10hipError_tT0_T1_T2_T3_mRjT4_P12ihipStream_tbNS1_7vsmem_tEEUlT_E_NS1_11comp_targetILNS1_3genE9ELNS1_11target_archE1100ELNS1_3gpuE3ELNS1_3repE0EEENS1_30default_config_static_selectorELNS0_4arch9wavefront6targetE1EEEvSM_
    .private_segment_fixed_size: 0
    .sgpr_count:     6
    .sgpr_spill_count: 0
    .symbol:         _ZN7rocprim17ROCPRIM_400000_NS6detail17trampoline_kernelINS0_14default_configENS1_37merge_sort_block_sort_config_selectorIlNS0_10empty_typeEEEZNS1_21merge_sort_block_sortIS3_PlS8_PS5_S9_ZN2at6native12_GLOBAL__N_124unique_dim_cuda_templateIlEESt5tupleIJNSA_6TensorESF_SF_EERKSF_lbbbEUlllE_EE10hipError_tT0_T1_T2_T3_mRjT4_P12ihipStream_tbNS1_7vsmem_tEEUlT_E_NS1_11comp_targetILNS1_3genE9ELNS1_11target_archE1100ELNS1_3gpuE3ELNS1_3repE0EEENS1_30default_config_static_selectorELNS0_4arch9wavefront6targetE1EEEvSM_.kd
    .uniform_work_group_size: 1
    .uses_dynamic_stack: false
    .vgpr_count:     0
    .vgpr_spill_count: 0
    .wavefront_size: 64
  - .agpr_count:     0
    .args:
      - .offset:         0
        .size:           72
        .value_kind:     by_value
    .group_segment_fixed_size: 0
    .kernarg_segment_align: 8
    .kernarg_segment_size: 72
    .language:       OpenCL C
    .language_version:
      - 2
      - 0
    .max_flat_workgroup_size: 256
    .name:           _ZN7rocprim17ROCPRIM_400000_NS6detail17trampoline_kernelINS0_14default_configENS1_37merge_sort_block_sort_config_selectorIlNS0_10empty_typeEEEZNS1_21merge_sort_block_sortIS3_PlS8_PS5_S9_ZN2at6native12_GLOBAL__N_124unique_dim_cuda_templateIlEESt5tupleIJNSA_6TensorESF_SF_EERKSF_lbbbEUlllE_EE10hipError_tT0_T1_T2_T3_mRjT4_P12ihipStream_tbNS1_7vsmem_tEEUlT_E_NS1_11comp_targetILNS1_3genE8ELNS1_11target_archE1030ELNS1_3gpuE2ELNS1_3repE0EEENS1_30default_config_static_selectorELNS0_4arch9wavefront6targetE1EEEvSM_
    .private_segment_fixed_size: 0
    .sgpr_count:     6
    .sgpr_spill_count: 0
    .symbol:         _ZN7rocprim17ROCPRIM_400000_NS6detail17trampoline_kernelINS0_14default_configENS1_37merge_sort_block_sort_config_selectorIlNS0_10empty_typeEEEZNS1_21merge_sort_block_sortIS3_PlS8_PS5_S9_ZN2at6native12_GLOBAL__N_124unique_dim_cuda_templateIlEESt5tupleIJNSA_6TensorESF_SF_EERKSF_lbbbEUlllE_EE10hipError_tT0_T1_T2_T3_mRjT4_P12ihipStream_tbNS1_7vsmem_tEEUlT_E_NS1_11comp_targetILNS1_3genE8ELNS1_11target_archE1030ELNS1_3gpuE2ELNS1_3repE0EEENS1_30default_config_static_selectorELNS0_4arch9wavefront6targetE1EEEvSM_.kd
    .uniform_work_group_size: 1
    .uses_dynamic_stack: false
    .vgpr_count:     0
    .vgpr_spill_count: 0
    .wavefront_size: 64
  - .agpr_count:     0
    .args:
      - .offset:         0
        .size:           56
        .value_kind:     by_value
    .group_segment_fixed_size: 0
    .kernarg_segment_align: 8
    .kernarg_segment_size: 56
    .language:       OpenCL C
    .language_version:
      - 2
      - 0
    .max_flat_workgroup_size: 128
    .name:           _ZN7rocprim17ROCPRIM_400000_NS6detail17trampoline_kernelINS0_14default_configENS1_38merge_sort_block_merge_config_selectorIlNS0_10empty_typeEEEZZNS1_27merge_sort_block_merge_implIS3_PlPS5_mZN2at6native12_GLOBAL__N_124unique_dim_cuda_templateIlEESt5tupleIJNSA_6TensorESF_SF_EERKSF_lbbbEUlllE_EE10hipError_tT0_T1_T2_jT3_P12ihipStream_tbPNSt15iterator_traitsISL_E10value_typeEPNSR_ISM_E10value_typeEPSN_NS1_7vsmem_tEENKUlT_SL_SM_SN_E_clIS8_S8_S9_S9_EESK_S10_SL_SM_SN_EUlS10_E_NS1_11comp_targetILNS1_3genE0ELNS1_11target_archE4294967295ELNS1_3gpuE0ELNS1_3repE0EEENS1_48merge_mergepath_partition_config_static_selectorELNS0_4arch9wavefront6targetE1EEEvSM_
    .private_segment_fixed_size: 0
    .sgpr_count:     38
    .sgpr_spill_count: 0
    .symbol:         _ZN7rocprim17ROCPRIM_400000_NS6detail17trampoline_kernelINS0_14default_configENS1_38merge_sort_block_merge_config_selectorIlNS0_10empty_typeEEEZZNS1_27merge_sort_block_merge_implIS3_PlPS5_mZN2at6native12_GLOBAL__N_124unique_dim_cuda_templateIlEESt5tupleIJNSA_6TensorESF_SF_EERKSF_lbbbEUlllE_EE10hipError_tT0_T1_T2_jT3_P12ihipStream_tbPNSt15iterator_traitsISL_E10value_typeEPNSR_ISM_E10value_typeEPSN_NS1_7vsmem_tEENKUlT_SL_SM_SN_E_clIS8_S8_S9_S9_EESK_S10_SL_SM_SN_EUlS10_E_NS1_11comp_targetILNS1_3genE0ELNS1_11target_archE4294967295ELNS1_3gpuE0ELNS1_3repE0EEENS1_48merge_mergepath_partition_config_static_selectorELNS0_4arch9wavefront6targetE1EEEvSM_.kd
    .uniform_work_group_size: 1
    .uses_dynamic_stack: false
    .vgpr_count:     23
    .vgpr_spill_count: 0
    .wavefront_size: 64
  - .agpr_count:     0
    .args:
      - .offset:         0
        .size:           56
        .value_kind:     by_value
    .group_segment_fixed_size: 0
    .kernarg_segment_align: 8
    .kernarg_segment_size: 56
    .language:       OpenCL C
    .language_version:
      - 2
      - 0
    .max_flat_workgroup_size: 128
    .name:           _ZN7rocprim17ROCPRIM_400000_NS6detail17trampoline_kernelINS0_14default_configENS1_38merge_sort_block_merge_config_selectorIlNS0_10empty_typeEEEZZNS1_27merge_sort_block_merge_implIS3_PlPS5_mZN2at6native12_GLOBAL__N_124unique_dim_cuda_templateIlEESt5tupleIJNSA_6TensorESF_SF_EERKSF_lbbbEUlllE_EE10hipError_tT0_T1_T2_jT3_P12ihipStream_tbPNSt15iterator_traitsISL_E10value_typeEPNSR_ISM_E10value_typeEPSN_NS1_7vsmem_tEENKUlT_SL_SM_SN_E_clIS8_S8_S9_S9_EESK_S10_SL_SM_SN_EUlS10_E_NS1_11comp_targetILNS1_3genE10ELNS1_11target_archE1201ELNS1_3gpuE5ELNS1_3repE0EEENS1_48merge_mergepath_partition_config_static_selectorELNS0_4arch9wavefront6targetE1EEEvSM_
    .private_segment_fixed_size: 0
    .sgpr_count:     6
    .sgpr_spill_count: 0
    .symbol:         _ZN7rocprim17ROCPRIM_400000_NS6detail17trampoline_kernelINS0_14default_configENS1_38merge_sort_block_merge_config_selectorIlNS0_10empty_typeEEEZZNS1_27merge_sort_block_merge_implIS3_PlPS5_mZN2at6native12_GLOBAL__N_124unique_dim_cuda_templateIlEESt5tupleIJNSA_6TensorESF_SF_EERKSF_lbbbEUlllE_EE10hipError_tT0_T1_T2_jT3_P12ihipStream_tbPNSt15iterator_traitsISL_E10value_typeEPNSR_ISM_E10value_typeEPSN_NS1_7vsmem_tEENKUlT_SL_SM_SN_E_clIS8_S8_S9_S9_EESK_S10_SL_SM_SN_EUlS10_E_NS1_11comp_targetILNS1_3genE10ELNS1_11target_archE1201ELNS1_3gpuE5ELNS1_3repE0EEENS1_48merge_mergepath_partition_config_static_selectorELNS0_4arch9wavefront6targetE1EEEvSM_.kd
    .uniform_work_group_size: 1
    .uses_dynamic_stack: false
    .vgpr_count:     0
    .vgpr_spill_count: 0
    .wavefront_size: 64
  - .agpr_count:     0
    .args:
      - .offset:         0
        .size:           56
        .value_kind:     by_value
    .group_segment_fixed_size: 0
    .kernarg_segment_align: 8
    .kernarg_segment_size: 56
    .language:       OpenCL C
    .language_version:
      - 2
      - 0
    .max_flat_workgroup_size: 128
    .name:           _ZN7rocprim17ROCPRIM_400000_NS6detail17trampoline_kernelINS0_14default_configENS1_38merge_sort_block_merge_config_selectorIlNS0_10empty_typeEEEZZNS1_27merge_sort_block_merge_implIS3_PlPS5_mZN2at6native12_GLOBAL__N_124unique_dim_cuda_templateIlEESt5tupleIJNSA_6TensorESF_SF_EERKSF_lbbbEUlllE_EE10hipError_tT0_T1_T2_jT3_P12ihipStream_tbPNSt15iterator_traitsISL_E10value_typeEPNSR_ISM_E10value_typeEPSN_NS1_7vsmem_tEENKUlT_SL_SM_SN_E_clIS8_S8_S9_S9_EESK_S10_SL_SM_SN_EUlS10_E_NS1_11comp_targetILNS1_3genE5ELNS1_11target_archE942ELNS1_3gpuE9ELNS1_3repE0EEENS1_48merge_mergepath_partition_config_static_selectorELNS0_4arch9wavefront6targetE1EEEvSM_
    .private_segment_fixed_size: 0
    .sgpr_count:     6
    .sgpr_spill_count: 0
    .symbol:         _ZN7rocprim17ROCPRIM_400000_NS6detail17trampoline_kernelINS0_14default_configENS1_38merge_sort_block_merge_config_selectorIlNS0_10empty_typeEEEZZNS1_27merge_sort_block_merge_implIS3_PlPS5_mZN2at6native12_GLOBAL__N_124unique_dim_cuda_templateIlEESt5tupleIJNSA_6TensorESF_SF_EERKSF_lbbbEUlllE_EE10hipError_tT0_T1_T2_jT3_P12ihipStream_tbPNSt15iterator_traitsISL_E10value_typeEPNSR_ISM_E10value_typeEPSN_NS1_7vsmem_tEENKUlT_SL_SM_SN_E_clIS8_S8_S9_S9_EESK_S10_SL_SM_SN_EUlS10_E_NS1_11comp_targetILNS1_3genE5ELNS1_11target_archE942ELNS1_3gpuE9ELNS1_3repE0EEENS1_48merge_mergepath_partition_config_static_selectorELNS0_4arch9wavefront6targetE1EEEvSM_.kd
    .uniform_work_group_size: 1
    .uses_dynamic_stack: false
    .vgpr_count:     0
    .vgpr_spill_count: 0
    .wavefront_size: 64
  - .agpr_count:     0
    .args:
      - .offset:         0
        .size:           56
        .value_kind:     by_value
    .group_segment_fixed_size: 0
    .kernarg_segment_align: 8
    .kernarg_segment_size: 56
    .language:       OpenCL C
    .language_version:
      - 2
      - 0
    .max_flat_workgroup_size: 128
    .name:           _ZN7rocprim17ROCPRIM_400000_NS6detail17trampoline_kernelINS0_14default_configENS1_38merge_sort_block_merge_config_selectorIlNS0_10empty_typeEEEZZNS1_27merge_sort_block_merge_implIS3_PlPS5_mZN2at6native12_GLOBAL__N_124unique_dim_cuda_templateIlEESt5tupleIJNSA_6TensorESF_SF_EERKSF_lbbbEUlllE_EE10hipError_tT0_T1_T2_jT3_P12ihipStream_tbPNSt15iterator_traitsISL_E10value_typeEPNSR_ISM_E10value_typeEPSN_NS1_7vsmem_tEENKUlT_SL_SM_SN_E_clIS8_S8_S9_S9_EESK_S10_SL_SM_SN_EUlS10_E_NS1_11comp_targetILNS1_3genE4ELNS1_11target_archE910ELNS1_3gpuE8ELNS1_3repE0EEENS1_48merge_mergepath_partition_config_static_selectorELNS0_4arch9wavefront6targetE1EEEvSM_
    .private_segment_fixed_size: 0
    .sgpr_count:     6
    .sgpr_spill_count: 0
    .symbol:         _ZN7rocprim17ROCPRIM_400000_NS6detail17trampoline_kernelINS0_14default_configENS1_38merge_sort_block_merge_config_selectorIlNS0_10empty_typeEEEZZNS1_27merge_sort_block_merge_implIS3_PlPS5_mZN2at6native12_GLOBAL__N_124unique_dim_cuda_templateIlEESt5tupleIJNSA_6TensorESF_SF_EERKSF_lbbbEUlllE_EE10hipError_tT0_T1_T2_jT3_P12ihipStream_tbPNSt15iterator_traitsISL_E10value_typeEPNSR_ISM_E10value_typeEPSN_NS1_7vsmem_tEENKUlT_SL_SM_SN_E_clIS8_S8_S9_S9_EESK_S10_SL_SM_SN_EUlS10_E_NS1_11comp_targetILNS1_3genE4ELNS1_11target_archE910ELNS1_3gpuE8ELNS1_3repE0EEENS1_48merge_mergepath_partition_config_static_selectorELNS0_4arch9wavefront6targetE1EEEvSM_.kd
    .uniform_work_group_size: 1
    .uses_dynamic_stack: false
    .vgpr_count:     0
    .vgpr_spill_count: 0
    .wavefront_size: 64
  - .agpr_count:     0
    .args:
      - .offset:         0
        .size:           56
        .value_kind:     by_value
    .group_segment_fixed_size: 0
    .kernarg_segment_align: 8
    .kernarg_segment_size: 56
    .language:       OpenCL C
    .language_version:
      - 2
      - 0
    .max_flat_workgroup_size: 128
    .name:           _ZN7rocprim17ROCPRIM_400000_NS6detail17trampoline_kernelINS0_14default_configENS1_38merge_sort_block_merge_config_selectorIlNS0_10empty_typeEEEZZNS1_27merge_sort_block_merge_implIS3_PlPS5_mZN2at6native12_GLOBAL__N_124unique_dim_cuda_templateIlEESt5tupleIJNSA_6TensorESF_SF_EERKSF_lbbbEUlllE_EE10hipError_tT0_T1_T2_jT3_P12ihipStream_tbPNSt15iterator_traitsISL_E10value_typeEPNSR_ISM_E10value_typeEPSN_NS1_7vsmem_tEENKUlT_SL_SM_SN_E_clIS8_S8_S9_S9_EESK_S10_SL_SM_SN_EUlS10_E_NS1_11comp_targetILNS1_3genE3ELNS1_11target_archE908ELNS1_3gpuE7ELNS1_3repE0EEENS1_48merge_mergepath_partition_config_static_selectorELNS0_4arch9wavefront6targetE1EEEvSM_
    .private_segment_fixed_size: 0
    .sgpr_count:     6
    .sgpr_spill_count: 0
    .symbol:         _ZN7rocprim17ROCPRIM_400000_NS6detail17trampoline_kernelINS0_14default_configENS1_38merge_sort_block_merge_config_selectorIlNS0_10empty_typeEEEZZNS1_27merge_sort_block_merge_implIS3_PlPS5_mZN2at6native12_GLOBAL__N_124unique_dim_cuda_templateIlEESt5tupleIJNSA_6TensorESF_SF_EERKSF_lbbbEUlllE_EE10hipError_tT0_T1_T2_jT3_P12ihipStream_tbPNSt15iterator_traitsISL_E10value_typeEPNSR_ISM_E10value_typeEPSN_NS1_7vsmem_tEENKUlT_SL_SM_SN_E_clIS8_S8_S9_S9_EESK_S10_SL_SM_SN_EUlS10_E_NS1_11comp_targetILNS1_3genE3ELNS1_11target_archE908ELNS1_3gpuE7ELNS1_3repE0EEENS1_48merge_mergepath_partition_config_static_selectorELNS0_4arch9wavefront6targetE1EEEvSM_.kd
    .uniform_work_group_size: 1
    .uses_dynamic_stack: false
    .vgpr_count:     0
    .vgpr_spill_count: 0
    .wavefront_size: 64
  - .agpr_count:     0
    .args:
      - .offset:         0
        .size:           56
        .value_kind:     by_value
    .group_segment_fixed_size: 0
    .kernarg_segment_align: 8
    .kernarg_segment_size: 56
    .language:       OpenCL C
    .language_version:
      - 2
      - 0
    .max_flat_workgroup_size: 128
    .name:           _ZN7rocprim17ROCPRIM_400000_NS6detail17trampoline_kernelINS0_14default_configENS1_38merge_sort_block_merge_config_selectorIlNS0_10empty_typeEEEZZNS1_27merge_sort_block_merge_implIS3_PlPS5_mZN2at6native12_GLOBAL__N_124unique_dim_cuda_templateIlEESt5tupleIJNSA_6TensorESF_SF_EERKSF_lbbbEUlllE_EE10hipError_tT0_T1_T2_jT3_P12ihipStream_tbPNSt15iterator_traitsISL_E10value_typeEPNSR_ISM_E10value_typeEPSN_NS1_7vsmem_tEENKUlT_SL_SM_SN_E_clIS8_S8_S9_S9_EESK_S10_SL_SM_SN_EUlS10_E_NS1_11comp_targetILNS1_3genE2ELNS1_11target_archE906ELNS1_3gpuE6ELNS1_3repE0EEENS1_48merge_mergepath_partition_config_static_selectorELNS0_4arch9wavefront6targetE1EEEvSM_
    .private_segment_fixed_size: 0
    .sgpr_count:     6
    .sgpr_spill_count: 0
    .symbol:         _ZN7rocprim17ROCPRIM_400000_NS6detail17trampoline_kernelINS0_14default_configENS1_38merge_sort_block_merge_config_selectorIlNS0_10empty_typeEEEZZNS1_27merge_sort_block_merge_implIS3_PlPS5_mZN2at6native12_GLOBAL__N_124unique_dim_cuda_templateIlEESt5tupleIJNSA_6TensorESF_SF_EERKSF_lbbbEUlllE_EE10hipError_tT0_T1_T2_jT3_P12ihipStream_tbPNSt15iterator_traitsISL_E10value_typeEPNSR_ISM_E10value_typeEPSN_NS1_7vsmem_tEENKUlT_SL_SM_SN_E_clIS8_S8_S9_S9_EESK_S10_SL_SM_SN_EUlS10_E_NS1_11comp_targetILNS1_3genE2ELNS1_11target_archE906ELNS1_3gpuE6ELNS1_3repE0EEENS1_48merge_mergepath_partition_config_static_selectorELNS0_4arch9wavefront6targetE1EEEvSM_.kd
    .uniform_work_group_size: 1
    .uses_dynamic_stack: false
    .vgpr_count:     0
    .vgpr_spill_count: 0
    .wavefront_size: 64
  - .agpr_count:     0
    .args:
      - .offset:         0
        .size:           56
        .value_kind:     by_value
    .group_segment_fixed_size: 0
    .kernarg_segment_align: 8
    .kernarg_segment_size: 56
    .language:       OpenCL C
    .language_version:
      - 2
      - 0
    .max_flat_workgroup_size: 128
    .name:           _ZN7rocprim17ROCPRIM_400000_NS6detail17trampoline_kernelINS0_14default_configENS1_38merge_sort_block_merge_config_selectorIlNS0_10empty_typeEEEZZNS1_27merge_sort_block_merge_implIS3_PlPS5_mZN2at6native12_GLOBAL__N_124unique_dim_cuda_templateIlEESt5tupleIJNSA_6TensorESF_SF_EERKSF_lbbbEUlllE_EE10hipError_tT0_T1_T2_jT3_P12ihipStream_tbPNSt15iterator_traitsISL_E10value_typeEPNSR_ISM_E10value_typeEPSN_NS1_7vsmem_tEENKUlT_SL_SM_SN_E_clIS8_S8_S9_S9_EESK_S10_SL_SM_SN_EUlS10_E_NS1_11comp_targetILNS1_3genE9ELNS1_11target_archE1100ELNS1_3gpuE3ELNS1_3repE0EEENS1_48merge_mergepath_partition_config_static_selectorELNS0_4arch9wavefront6targetE1EEEvSM_
    .private_segment_fixed_size: 0
    .sgpr_count:     6
    .sgpr_spill_count: 0
    .symbol:         _ZN7rocprim17ROCPRIM_400000_NS6detail17trampoline_kernelINS0_14default_configENS1_38merge_sort_block_merge_config_selectorIlNS0_10empty_typeEEEZZNS1_27merge_sort_block_merge_implIS3_PlPS5_mZN2at6native12_GLOBAL__N_124unique_dim_cuda_templateIlEESt5tupleIJNSA_6TensorESF_SF_EERKSF_lbbbEUlllE_EE10hipError_tT0_T1_T2_jT3_P12ihipStream_tbPNSt15iterator_traitsISL_E10value_typeEPNSR_ISM_E10value_typeEPSN_NS1_7vsmem_tEENKUlT_SL_SM_SN_E_clIS8_S8_S9_S9_EESK_S10_SL_SM_SN_EUlS10_E_NS1_11comp_targetILNS1_3genE9ELNS1_11target_archE1100ELNS1_3gpuE3ELNS1_3repE0EEENS1_48merge_mergepath_partition_config_static_selectorELNS0_4arch9wavefront6targetE1EEEvSM_.kd
    .uniform_work_group_size: 1
    .uses_dynamic_stack: false
    .vgpr_count:     0
    .vgpr_spill_count: 0
    .wavefront_size: 64
  - .agpr_count:     0
    .args:
      - .offset:         0
        .size:           56
        .value_kind:     by_value
    .group_segment_fixed_size: 0
    .kernarg_segment_align: 8
    .kernarg_segment_size: 56
    .language:       OpenCL C
    .language_version:
      - 2
      - 0
    .max_flat_workgroup_size: 128
    .name:           _ZN7rocprim17ROCPRIM_400000_NS6detail17trampoline_kernelINS0_14default_configENS1_38merge_sort_block_merge_config_selectorIlNS0_10empty_typeEEEZZNS1_27merge_sort_block_merge_implIS3_PlPS5_mZN2at6native12_GLOBAL__N_124unique_dim_cuda_templateIlEESt5tupleIJNSA_6TensorESF_SF_EERKSF_lbbbEUlllE_EE10hipError_tT0_T1_T2_jT3_P12ihipStream_tbPNSt15iterator_traitsISL_E10value_typeEPNSR_ISM_E10value_typeEPSN_NS1_7vsmem_tEENKUlT_SL_SM_SN_E_clIS8_S8_S9_S9_EESK_S10_SL_SM_SN_EUlS10_E_NS1_11comp_targetILNS1_3genE8ELNS1_11target_archE1030ELNS1_3gpuE2ELNS1_3repE0EEENS1_48merge_mergepath_partition_config_static_selectorELNS0_4arch9wavefront6targetE1EEEvSM_
    .private_segment_fixed_size: 0
    .sgpr_count:     6
    .sgpr_spill_count: 0
    .symbol:         _ZN7rocprim17ROCPRIM_400000_NS6detail17trampoline_kernelINS0_14default_configENS1_38merge_sort_block_merge_config_selectorIlNS0_10empty_typeEEEZZNS1_27merge_sort_block_merge_implIS3_PlPS5_mZN2at6native12_GLOBAL__N_124unique_dim_cuda_templateIlEESt5tupleIJNSA_6TensorESF_SF_EERKSF_lbbbEUlllE_EE10hipError_tT0_T1_T2_jT3_P12ihipStream_tbPNSt15iterator_traitsISL_E10value_typeEPNSR_ISM_E10value_typeEPSN_NS1_7vsmem_tEENKUlT_SL_SM_SN_E_clIS8_S8_S9_S9_EESK_S10_SL_SM_SN_EUlS10_E_NS1_11comp_targetILNS1_3genE8ELNS1_11target_archE1030ELNS1_3gpuE2ELNS1_3repE0EEENS1_48merge_mergepath_partition_config_static_selectorELNS0_4arch9wavefront6targetE1EEEvSM_.kd
    .uniform_work_group_size: 1
    .uses_dynamic_stack: false
    .vgpr_count:     0
    .vgpr_spill_count: 0
    .wavefront_size: 64
  - .agpr_count:     0
    .args:
      - .offset:         0
        .size:           88
        .value_kind:     by_value
      - .offset:         88
        .size:           4
        .value_kind:     hidden_block_count_x
      - .offset:         92
        .size:           4
        .value_kind:     hidden_block_count_y
      - .offset:         96
        .size:           4
        .value_kind:     hidden_block_count_z
      - .offset:         100
        .size:           2
        .value_kind:     hidden_group_size_x
      - .offset:         102
        .size:           2
        .value_kind:     hidden_group_size_y
      - .offset:         104
        .size:           2
        .value_kind:     hidden_group_size_z
      - .offset:         106
        .size:           2
        .value_kind:     hidden_remainder_x
      - .offset:         108
        .size:           2
        .value_kind:     hidden_remainder_y
      - .offset:         110
        .size:           2
        .value_kind:     hidden_remainder_z
      - .offset:         128
        .size:           8
        .value_kind:     hidden_global_offset_x
      - .offset:         136
        .size:           8
        .value_kind:     hidden_global_offset_y
      - .offset:         144
        .size:           8
        .value_kind:     hidden_global_offset_z
      - .offset:         152
        .size:           2
        .value_kind:     hidden_grid_dims
    .group_segment_fixed_size: 8448
    .kernarg_segment_align: 8
    .kernarg_segment_size: 344
    .language:       OpenCL C
    .language_version:
      - 2
      - 0
    .max_flat_workgroup_size: 128
    .name:           _ZN7rocprim17ROCPRIM_400000_NS6detail17trampoline_kernelINS0_14default_configENS1_38merge_sort_block_merge_config_selectorIlNS0_10empty_typeEEEZZNS1_27merge_sort_block_merge_implIS3_PlPS5_mZN2at6native12_GLOBAL__N_124unique_dim_cuda_templateIlEESt5tupleIJNSA_6TensorESF_SF_EERKSF_lbbbEUlllE_EE10hipError_tT0_T1_T2_jT3_P12ihipStream_tbPNSt15iterator_traitsISL_E10value_typeEPNSR_ISM_E10value_typeEPSN_NS1_7vsmem_tEENKUlT_SL_SM_SN_E_clIS8_S8_S9_S9_EESK_S10_SL_SM_SN_EUlS10_E0_NS1_11comp_targetILNS1_3genE0ELNS1_11target_archE4294967295ELNS1_3gpuE0ELNS1_3repE0EEENS1_38merge_mergepath_config_static_selectorELNS0_4arch9wavefront6targetE1EEEvSM_
    .private_segment_fixed_size: 0
    .sgpr_count:     58
    .sgpr_spill_count: 0
    .symbol:         _ZN7rocprim17ROCPRIM_400000_NS6detail17trampoline_kernelINS0_14default_configENS1_38merge_sort_block_merge_config_selectorIlNS0_10empty_typeEEEZZNS1_27merge_sort_block_merge_implIS3_PlPS5_mZN2at6native12_GLOBAL__N_124unique_dim_cuda_templateIlEESt5tupleIJNSA_6TensorESF_SF_EERKSF_lbbbEUlllE_EE10hipError_tT0_T1_T2_jT3_P12ihipStream_tbPNSt15iterator_traitsISL_E10value_typeEPNSR_ISM_E10value_typeEPSN_NS1_7vsmem_tEENKUlT_SL_SM_SN_E_clIS8_S8_S9_S9_EESK_S10_SL_SM_SN_EUlS10_E0_NS1_11comp_targetILNS1_3genE0ELNS1_11target_archE4294967295ELNS1_3gpuE0ELNS1_3repE0EEENS1_38merge_mergepath_config_static_selectorELNS0_4arch9wavefront6targetE1EEEvSM_.kd
    .uniform_work_group_size: 1
    .uses_dynamic_stack: false
    .vgpr_count:     40
    .vgpr_spill_count: 0
    .wavefront_size: 64
  - .agpr_count:     0
    .args:
      - .offset:         0
        .size:           88
        .value_kind:     by_value
    .group_segment_fixed_size: 0
    .kernarg_segment_align: 8
    .kernarg_segment_size: 88
    .language:       OpenCL C
    .language_version:
      - 2
      - 0
    .max_flat_workgroup_size: 512
    .name:           _ZN7rocprim17ROCPRIM_400000_NS6detail17trampoline_kernelINS0_14default_configENS1_38merge_sort_block_merge_config_selectorIlNS0_10empty_typeEEEZZNS1_27merge_sort_block_merge_implIS3_PlPS5_mZN2at6native12_GLOBAL__N_124unique_dim_cuda_templateIlEESt5tupleIJNSA_6TensorESF_SF_EERKSF_lbbbEUlllE_EE10hipError_tT0_T1_T2_jT3_P12ihipStream_tbPNSt15iterator_traitsISL_E10value_typeEPNSR_ISM_E10value_typeEPSN_NS1_7vsmem_tEENKUlT_SL_SM_SN_E_clIS8_S8_S9_S9_EESK_S10_SL_SM_SN_EUlS10_E0_NS1_11comp_targetILNS1_3genE10ELNS1_11target_archE1201ELNS1_3gpuE5ELNS1_3repE0EEENS1_38merge_mergepath_config_static_selectorELNS0_4arch9wavefront6targetE1EEEvSM_
    .private_segment_fixed_size: 0
    .sgpr_count:     6
    .sgpr_spill_count: 0
    .symbol:         _ZN7rocprim17ROCPRIM_400000_NS6detail17trampoline_kernelINS0_14default_configENS1_38merge_sort_block_merge_config_selectorIlNS0_10empty_typeEEEZZNS1_27merge_sort_block_merge_implIS3_PlPS5_mZN2at6native12_GLOBAL__N_124unique_dim_cuda_templateIlEESt5tupleIJNSA_6TensorESF_SF_EERKSF_lbbbEUlllE_EE10hipError_tT0_T1_T2_jT3_P12ihipStream_tbPNSt15iterator_traitsISL_E10value_typeEPNSR_ISM_E10value_typeEPSN_NS1_7vsmem_tEENKUlT_SL_SM_SN_E_clIS8_S8_S9_S9_EESK_S10_SL_SM_SN_EUlS10_E0_NS1_11comp_targetILNS1_3genE10ELNS1_11target_archE1201ELNS1_3gpuE5ELNS1_3repE0EEENS1_38merge_mergepath_config_static_selectorELNS0_4arch9wavefront6targetE1EEEvSM_.kd
    .uniform_work_group_size: 1
    .uses_dynamic_stack: false
    .vgpr_count:     0
    .vgpr_spill_count: 0
    .wavefront_size: 64
  - .agpr_count:     0
    .args:
      - .offset:         0
        .size:           88
        .value_kind:     by_value
    .group_segment_fixed_size: 0
    .kernarg_segment_align: 8
    .kernarg_segment_size: 88
    .language:       OpenCL C
    .language_version:
      - 2
      - 0
    .max_flat_workgroup_size: 128
    .name:           _ZN7rocprim17ROCPRIM_400000_NS6detail17trampoline_kernelINS0_14default_configENS1_38merge_sort_block_merge_config_selectorIlNS0_10empty_typeEEEZZNS1_27merge_sort_block_merge_implIS3_PlPS5_mZN2at6native12_GLOBAL__N_124unique_dim_cuda_templateIlEESt5tupleIJNSA_6TensorESF_SF_EERKSF_lbbbEUlllE_EE10hipError_tT0_T1_T2_jT3_P12ihipStream_tbPNSt15iterator_traitsISL_E10value_typeEPNSR_ISM_E10value_typeEPSN_NS1_7vsmem_tEENKUlT_SL_SM_SN_E_clIS8_S8_S9_S9_EESK_S10_SL_SM_SN_EUlS10_E0_NS1_11comp_targetILNS1_3genE5ELNS1_11target_archE942ELNS1_3gpuE9ELNS1_3repE0EEENS1_38merge_mergepath_config_static_selectorELNS0_4arch9wavefront6targetE1EEEvSM_
    .private_segment_fixed_size: 0
    .sgpr_count:     6
    .sgpr_spill_count: 0
    .symbol:         _ZN7rocprim17ROCPRIM_400000_NS6detail17trampoline_kernelINS0_14default_configENS1_38merge_sort_block_merge_config_selectorIlNS0_10empty_typeEEEZZNS1_27merge_sort_block_merge_implIS3_PlPS5_mZN2at6native12_GLOBAL__N_124unique_dim_cuda_templateIlEESt5tupleIJNSA_6TensorESF_SF_EERKSF_lbbbEUlllE_EE10hipError_tT0_T1_T2_jT3_P12ihipStream_tbPNSt15iterator_traitsISL_E10value_typeEPNSR_ISM_E10value_typeEPSN_NS1_7vsmem_tEENKUlT_SL_SM_SN_E_clIS8_S8_S9_S9_EESK_S10_SL_SM_SN_EUlS10_E0_NS1_11comp_targetILNS1_3genE5ELNS1_11target_archE942ELNS1_3gpuE9ELNS1_3repE0EEENS1_38merge_mergepath_config_static_selectorELNS0_4arch9wavefront6targetE1EEEvSM_.kd
    .uniform_work_group_size: 1
    .uses_dynamic_stack: false
    .vgpr_count:     0
    .vgpr_spill_count: 0
    .wavefront_size: 64
  - .agpr_count:     0
    .args:
      - .offset:         0
        .size:           88
        .value_kind:     by_value
    .group_segment_fixed_size: 0
    .kernarg_segment_align: 8
    .kernarg_segment_size: 88
    .language:       OpenCL C
    .language_version:
      - 2
      - 0
    .max_flat_workgroup_size: 256
    .name:           _ZN7rocprim17ROCPRIM_400000_NS6detail17trampoline_kernelINS0_14default_configENS1_38merge_sort_block_merge_config_selectorIlNS0_10empty_typeEEEZZNS1_27merge_sort_block_merge_implIS3_PlPS5_mZN2at6native12_GLOBAL__N_124unique_dim_cuda_templateIlEESt5tupleIJNSA_6TensorESF_SF_EERKSF_lbbbEUlllE_EE10hipError_tT0_T1_T2_jT3_P12ihipStream_tbPNSt15iterator_traitsISL_E10value_typeEPNSR_ISM_E10value_typeEPSN_NS1_7vsmem_tEENKUlT_SL_SM_SN_E_clIS8_S8_S9_S9_EESK_S10_SL_SM_SN_EUlS10_E0_NS1_11comp_targetILNS1_3genE4ELNS1_11target_archE910ELNS1_3gpuE8ELNS1_3repE0EEENS1_38merge_mergepath_config_static_selectorELNS0_4arch9wavefront6targetE1EEEvSM_
    .private_segment_fixed_size: 0
    .sgpr_count:     6
    .sgpr_spill_count: 0
    .symbol:         _ZN7rocprim17ROCPRIM_400000_NS6detail17trampoline_kernelINS0_14default_configENS1_38merge_sort_block_merge_config_selectorIlNS0_10empty_typeEEEZZNS1_27merge_sort_block_merge_implIS3_PlPS5_mZN2at6native12_GLOBAL__N_124unique_dim_cuda_templateIlEESt5tupleIJNSA_6TensorESF_SF_EERKSF_lbbbEUlllE_EE10hipError_tT0_T1_T2_jT3_P12ihipStream_tbPNSt15iterator_traitsISL_E10value_typeEPNSR_ISM_E10value_typeEPSN_NS1_7vsmem_tEENKUlT_SL_SM_SN_E_clIS8_S8_S9_S9_EESK_S10_SL_SM_SN_EUlS10_E0_NS1_11comp_targetILNS1_3genE4ELNS1_11target_archE910ELNS1_3gpuE8ELNS1_3repE0EEENS1_38merge_mergepath_config_static_selectorELNS0_4arch9wavefront6targetE1EEEvSM_.kd
    .uniform_work_group_size: 1
    .uses_dynamic_stack: false
    .vgpr_count:     0
    .vgpr_spill_count: 0
    .wavefront_size: 64
  - .agpr_count:     0
    .args:
      - .offset:         0
        .size:           88
        .value_kind:     by_value
    .group_segment_fixed_size: 0
    .kernarg_segment_align: 8
    .kernarg_segment_size: 88
    .language:       OpenCL C
    .language_version:
      - 2
      - 0
    .max_flat_workgroup_size: 128
    .name:           _ZN7rocprim17ROCPRIM_400000_NS6detail17trampoline_kernelINS0_14default_configENS1_38merge_sort_block_merge_config_selectorIlNS0_10empty_typeEEEZZNS1_27merge_sort_block_merge_implIS3_PlPS5_mZN2at6native12_GLOBAL__N_124unique_dim_cuda_templateIlEESt5tupleIJNSA_6TensorESF_SF_EERKSF_lbbbEUlllE_EE10hipError_tT0_T1_T2_jT3_P12ihipStream_tbPNSt15iterator_traitsISL_E10value_typeEPNSR_ISM_E10value_typeEPSN_NS1_7vsmem_tEENKUlT_SL_SM_SN_E_clIS8_S8_S9_S9_EESK_S10_SL_SM_SN_EUlS10_E0_NS1_11comp_targetILNS1_3genE3ELNS1_11target_archE908ELNS1_3gpuE7ELNS1_3repE0EEENS1_38merge_mergepath_config_static_selectorELNS0_4arch9wavefront6targetE1EEEvSM_
    .private_segment_fixed_size: 0
    .sgpr_count:     6
    .sgpr_spill_count: 0
    .symbol:         _ZN7rocprim17ROCPRIM_400000_NS6detail17trampoline_kernelINS0_14default_configENS1_38merge_sort_block_merge_config_selectorIlNS0_10empty_typeEEEZZNS1_27merge_sort_block_merge_implIS3_PlPS5_mZN2at6native12_GLOBAL__N_124unique_dim_cuda_templateIlEESt5tupleIJNSA_6TensorESF_SF_EERKSF_lbbbEUlllE_EE10hipError_tT0_T1_T2_jT3_P12ihipStream_tbPNSt15iterator_traitsISL_E10value_typeEPNSR_ISM_E10value_typeEPSN_NS1_7vsmem_tEENKUlT_SL_SM_SN_E_clIS8_S8_S9_S9_EESK_S10_SL_SM_SN_EUlS10_E0_NS1_11comp_targetILNS1_3genE3ELNS1_11target_archE908ELNS1_3gpuE7ELNS1_3repE0EEENS1_38merge_mergepath_config_static_selectorELNS0_4arch9wavefront6targetE1EEEvSM_.kd
    .uniform_work_group_size: 1
    .uses_dynamic_stack: false
    .vgpr_count:     0
    .vgpr_spill_count: 0
    .wavefront_size: 64
  - .agpr_count:     0
    .args:
      - .offset:         0
        .size:           88
        .value_kind:     by_value
    .group_segment_fixed_size: 0
    .kernarg_segment_align: 8
    .kernarg_segment_size: 88
    .language:       OpenCL C
    .language_version:
      - 2
      - 0
    .max_flat_workgroup_size: 256
    .name:           _ZN7rocprim17ROCPRIM_400000_NS6detail17trampoline_kernelINS0_14default_configENS1_38merge_sort_block_merge_config_selectorIlNS0_10empty_typeEEEZZNS1_27merge_sort_block_merge_implIS3_PlPS5_mZN2at6native12_GLOBAL__N_124unique_dim_cuda_templateIlEESt5tupleIJNSA_6TensorESF_SF_EERKSF_lbbbEUlllE_EE10hipError_tT0_T1_T2_jT3_P12ihipStream_tbPNSt15iterator_traitsISL_E10value_typeEPNSR_ISM_E10value_typeEPSN_NS1_7vsmem_tEENKUlT_SL_SM_SN_E_clIS8_S8_S9_S9_EESK_S10_SL_SM_SN_EUlS10_E0_NS1_11comp_targetILNS1_3genE2ELNS1_11target_archE906ELNS1_3gpuE6ELNS1_3repE0EEENS1_38merge_mergepath_config_static_selectorELNS0_4arch9wavefront6targetE1EEEvSM_
    .private_segment_fixed_size: 0
    .sgpr_count:     6
    .sgpr_spill_count: 0
    .symbol:         _ZN7rocprim17ROCPRIM_400000_NS6detail17trampoline_kernelINS0_14default_configENS1_38merge_sort_block_merge_config_selectorIlNS0_10empty_typeEEEZZNS1_27merge_sort_block_merge_implIS3_PlPS5_mZN2at6native12_GLOBAL__N_124unique_dim_cuda_templateIlEESt5tupleIJNSA_6TensorESF_SF_EERKSF_lbbbEUlllE_EE10hipError_tT0_T1_T2_jT3_P12ihipStream_tbPNSt15iterator_traitsISL_E10value_typeEPNSR_ISM_E10value_typeEPSN_NS1_7vsmem_tEENKUlT_SL_SM_SN_E_clIS8_S8_S9_S9_EESK_S10_SL_SM_SN_EUlS10_E0_NS1_11comp_targetILNS1_3genE2ELNS1_11target_archE906ELNS1_3gpuE6ELNS1_3repE0EEENS1_38merge_mergepath_config_static_selectorELNS0_4arch9wavefront6targetE1EEEvSM_.kd
    .uniform_work_group_size: 1
    .uses_dynamic_stack: false
    .vgpr_count:     0
    .vgpr_spill_count: 0
    .wavefront_size: 64
  - .agpr_count:     0
    .args:
      - .offset:         0
        .size:           88
        .value_kind:     by_value
    .group_segment_fixed_size: 0
    .kernarg_segment_align: 8
    .kernarg_segment_size: 88
    .language:       OpenCL C
    .language_version:
      - 2
      - 0
    .max_flat_workgroup_size: 512
    .name:           _ZN7rocprim17ROCPRIM_400000_NS6detail17trampoline_kernelINS0_14default_configENS1_38merge_sort_block_merge_config_selectorIlNS0_10empty_typeEEEZZNS1_27merge_sort_block_merge_implIS3_PlPS5_mZN2at6native12_GLOBAL__N_124unique_dim_cuda_templateIlEESt5tupleIJNSA_6TensorESF_SF_EERKSF_lbbbEUlllE_EE10hipError_tT0_T1_T2_jT3_P12ihipStream_tbPNSt15iterator_traitsISL_E10value_typeEPNSR_ISM_E10value_typeEPSN_NS1_7vsmem_tEENKUlT_SL_SM_SN_E_clIS8_S8_S9_S9_EESK_S10_SL_SM_SN_EUlS10_E0_NS1_11comp_targetILNS1_3genE9ELNS1_11target_archE1100ELNS1_3gpuE3ELNS1_3repE0EEENS1_38merge_mergepath_config_static_selectorELNS0_4arch9wavefront6targetE1EEEvSM_
    .private_segment_fixed_size: 0
    .sgpr_count:     6
    .sgpr_spill_count: 0
    .symbol:         _ZN7rocprim17ROCPRIM_400000_NS6detail17trampoline_kernelINS0_14default_configENS1_38merge_sort_block_merge_config_selectorIlNS0_10empty_typeEEEZZNS1_27merge_sort_block_merge_implIS3_PlPS5_mZN2at6native12_GLOBAL__N_124unique_dim_cuda_templateIlEESt5tupleIJNSA_6TensorESF_SF_EERKSF_lbbbEUlllE_EE10hipError_tT0_T1_T2_jT3_P12ihipStream_tbPNSt15iterator_traitsISL_E10value_typeEPNSR_ISM_E10value_typeEPSN_NS1_7vsmem_tEENKUlT_SL_SM_SN_E_clIS8_S8_S9_S9_EESK_S10_SL_SM_SN_EUlS10_E0_NS1_11comp_targetILNS1_3genE9ELNS1_11target_archE1100ELNS1_3gpuE3ELNS1_3repE0EEENS1_38merge_mergepath_config_static_selectorELNS0_4arch9wavefront6targetE1EEEvSM_.kd
    .uniform_work_group_size: 1
    .uses_dynamic_stack: false
    .vgpr_count:     0
    .vgpr_spill_count: 0
    .wavefront_size: 64
  - .agpr_count:     0
    .args:
      - .offset:         0
        .size:           88
        .value_kind:     by_value
    .group_segment_fixed_size: 0
    .kernarg_segment_align: 8
    .kernarg_segment_size: 88
    .language:       OpenCL C
    .language_version:
      - 2
      - 0
    .max_flat_workgroup_size: 1024
    .name:           _ZN7rocprim17ROCPRIM_400000_NS6detail17trampoline_kernelINS0_14default_configENS1_38merge_sort_block_merge_config_selectorIlNS0_10empty_typeEEEZZNS1_27merge_sort_block_merge_implIS3_PlPS5_mZN2at6native12_GLOBAL__N_124unique_dim_cuda_templateIlEESt5tupleIJNSA_6TensorESF_SF_EERKSF_lbbbEUlllE_EE10hipError_tT0_T1_T2_jT3_P12ihipStream_tbPNSt15iterator_traitsISL_E10value_typeEPNSR_ISM_E10value_typeEPSN_NS1_7vsmem_tEENKUlT_SL_SM_SN_E_clIS8_S8_S9_S9_EESK_S10_SL_SM_SN_EUlS10_E0_NS1_11comp_targetILNS1_3genE8ELNS1_11target_archE1030ELNS1_3gpuE2ELNS1_3repE0EEENS1_38merge_mergepath_config_static_selectorELNS0_4arch9wavefront6targetE1EEEvSM_
    .private_segment_fixed_size: 0
    .sgpr_count:     6
    .sgpr_spill_count: 0
    .symbol:         _ZN7rocprim17ROCPRIM_400000_NS6detail17trampoline_kernelINS0_14default_configENS1_38merge_sort_block_merge_config_selectorIlNS0_10empty_typeEEEZZNS1_27merge_sort_block_merge_implIS3_PlPS5_mZN2at6native12_GLOBAL__N_124unique_dim_cuda_templateIlEESt5tupleIJNSA_6TensorESF_SF_EERKSF_lbbbEUlllE_EE10hipError_tT0_T1_T2_jT3_P12ihipStream_tbPNSt15iterator_traitsISL_E10value_typeEPNSR_ISM_E10value_typeEPSN_NS1_7vsmem_tEENKUlT_SL_SM_SN_E_clIS8_S8_S9_S9_EESK_S10_SL_SM_SN_EUlS10_E0_NS1_11comp_targetILNS1_3genE8ELNS1_11target_archE1030ELNS1_3gpuE2ELNS1_3repE0EEENS1_38merge_mergepath_config_static_selectorELNS0_4arch9wavefront6targetE1EEEvSM_.kd
    .uniform_work_group_size: 1
    .uses_dynamic_stack: false
    .vgpr_count:     0
    .vgpr_spill_count: 0
    .wavefront_size: 64
  - .agpr_count:     0
    .args:
      - .offset:         0
        .size:           64
        .value_kind:     by_value
    .group_segment_fixed_size: 0
    .kernarg_segment_align: 8
    .kernarg_segment_size: 64
    .language:       OpenCL C
    .language_version:
      - 2
      - 0
    .max_flat_workgroup_size: 256
    .name:           _ZN7rocprim17ROCPRIM_400000_NS6detail17trampoline_kernelINS0_14default_configENS1_38merge_sort_block_merge_config_selectorIlNS0_10empty_typeEEEZZNS1_27merge_sort_block_merge_implIS3_PlPS5_mZN2at6native12_GLOBAL__N_124unique_dim_cuda_templateIlEESt5tupleIJNSA_6TensorESF_SF_EERKSF_lbbbEUlllE_EE10hipError_tT0_T1_T2_jT3_P12ihipStream_tbPNSt15iterator_traitsISL_E10value_typeEPNSR_ISM_E10value_typeEPSN_NS1_7vsmem_tEENKUlT_SL_SM_SN_E_clIS8_S8_S9_S9_EESK_S10_SL_SM_SN_EUlS10_E1_NS1_11comp_targetILNS1_3genE0ELNS1_11target_archE4294967295ELNS1_3gpuE0ELNS1_3repE0EEENS1_36merge_oddeven_config_static_selectorELNS0_4arch9wavefront6targetE1EEEvSM_
    .private_segment_fixed_size: 0
    .sgpr_count:     52
    .sgpr_spill_count: 0
    .symbol:         _ZN7rocprim17ROCPRIM_400000_NS6detail17trampoline_kernelINS0_14default_configENS1_38merge_sort_block_merge_config_selectorIlNS0_10empty_typeEEEZZNS1_27merge_sort_block_merge_implIS3_PlPS5_mZN2at6native12_GLOBAL__N_124unique_dim_cuda_templateIlEESt5tupleIJNSA_6TensorESF_SF_EERKSF_lbbbEUlllE_EE10hipError_tT0_T1_T2_jT3_P12ihipStream_tbPNSt15iterator_traitsISL_E10value_typeEPNSR_ISM_E10value_typeEPSN_NS1_7vsmem_tEENKUlT_SL_SM_SN_E_clIS8_S8_S9_S9_EESK_S10_SL_SM_SN_EUlS10_E1_NS1_11comp_targetILNS1_3genE0ELNS1_11target_archE4294967295ELNS1_3gpuE0ELNS1_3repE0EEENS1_36merge_oddeven_config_static_selectorELNS0_4arch9wavefront6targetE1EEEvSM_.kd
    .uniform_work_group_size: 1
    .uses_dynamic_stack: false
    .vgpr_count:     22
    .vgpr_spill_count: 0
    .wavefront_size: 64
  - .agpr_count:     0
    .args:
      - .offset:         0
        .size:           64
        .value_kind:     by_value
    .group_segment_fixed_size: 0
    .kernarg_segment_align: 8
    .kernarg_segment_size: 64
    .language:       OpenCL C
    .language_version:
      - 2
      - 0
    .max_flat_workgroup_size: 256
    .name:           _ZN7rocprim17ROCPRIM_400000_NS6detail17trampoline_kernelINS0_14default_configENS1_38merge_sort_block_merge_config_selectorIlNS0_10empty_typeEEEZZNS1_27merge_sort_block_merge_implIS3_PlPS5_mZN2at6native12_GLOBAL__N_124unique_dim_cuda_templateIlEESt5tupleIJNSA_6TensorESF_SF_EERKSF_lbbbEUlllE_EE10hipError_tT0_T1_T2_jT3_P12ihipStream_tbPNSt15iterator_traitsISL_E10value_typeEPNSR_ISM_E10value_typeEPSN_NS1_7vsmem_tEENKUlT_SL_SM_SN_E_clIS8_S8_S9_S9_EESK_S10_SL_SM_SN_EUlS10_E1_NS1_11comp_targetILNS1_3genE10ELNS1_11target_archE1201ELNS1_3gpuE5ELNS1_3repE0EEENS1_36merge_oddeven_config_static_selectorELNS0_4arch9wavefront6targetE1EEEvSM_
    .private_segment_fixed_size: 0
    .sgpr_count:     6
    .sgpr_spill_count: 0
    .symbol:         _ZN7rocprim17ROCPRIM_400000_NS6detail17trampoline_kernelINS0_14default_configENS1_38merge_sort_block_merge_config_selectorIlNS0_10empty_typeEEEZZNS1_27merge_sort_block_merge_implIS3_PlPS5_mZN2at6native12_GLOBAL__N_124unique_dim_cuda_templateIlEESt5tupleIJNSA_6TensorESF_SF_EERKSF_lbbbEUlllE_EE10hipError_tT0_T1_T2_jT3_P12ihipStream_tbPNSt15iterator_traitsISL_E10value_typeEPNSR_ISM_E10value_typeEPSN_NS1_7vsmem_tEENKUlT_SL_SM_SN_E_clIS8_S8_S9_S9_EESK_S10_SL_SM_SN_EUlS10_E1_NS1_11comp_targetILNS1_3genE10ELNS1_11target_archE1201ELNS1_3gpuE5ELNS1_3repE0EEENS1_36merge_oddeven_config_static_selectorELNS0_4arch9wavefront6targetE1EEEvSM_.kd
    .uniform_work_group_size: 1
    .uses_dynamic_stack: false
    .vgpr_count:     0
    .vgpr_spill_count: 0
    .wavefront_size: 64
  - .agpr_count:     0
    .args:
      - .offset:         0
        .size:           64
        .value_kind:     by_value
    .group_segment_fixed_size: 0
    .kernarg_segment_align: 8
    .kernarg_segment_size: 64
    .language:       OpenCL C
    .language_version:
      - 2
      - 0
    .max_flat_workgroup_size: 256
    .name:           _ZN7rocprim17ROCPRIM_400000_NS6detail17trampoline_kernelINS0_14default_configENS1_38merge_sort_block_merge_config_selectorIlNS0_10empty_typeEEEZZNS1_27merge_sort_block_merge_implIS3_PlPS5_mZN2at6native12_GLOBAL__N_124unique_dim_cuda_templateIlEESt5tupleIJNSA_6TensorESF_SF_EERKSF_lbbbEUlllE_EE10hipError_tT0_T1_T2_jT3_P12ihipStream_tbPNSt15iterator_traitsISL_E10value_typeEPNSR_ISM_E10value_typeEPSN_NS1_7vsmem_tEENKUlT_SL_SM_SN_E_clIS8_S8_S9_S9_EESK_S10_SL_SM_SN_EUlS10_E1_NS1_11comp_targetILNS1_3genE5ELNS1_11target_archE942ELNS1_3gpuE9ELNS1_3repE0EEENS1_36merge_oddeven_config_static_selectorELNS0_4arch9wavefront6targetE1EEEvSM_
    .private_segment_fixed_size: 0
    .sgpr_count:     6
    .sgpr_spill_count: 0
    .symbol:         _ZN7rocprim17ROCPRIM_400000_NS6detail17trampoline_kernelINS0_14default_configENS1_38merge_sort_block_merge_config_selectorIlNS0_10empty_typeEEEZZNS1_27merge_sort_block_merge_implIS3_PlPS5_mZN2at6native12_GLOBAL__N_124unique_dim_cuda_templateIlEESt5tupleIJNSA_6TensorESF_SF_EERKSF_lbbbEUlllE_EE10hipError_tT0_T1_T2_jT3_P12ihipStream_tbPNSt15iterator_traitsISL_E10value_typeEPNSR_ISM_E10value_typeEPSN_NS1_7vsmem_tEENKUlT_SL_SM_SN_E_clIS8_S8_S9_S9_EESK_S10_SL_SM_SN_EUlS10_E1_NS1_11comp_targetILNS1_3genE5ELNS1_11target_archE942ELNS1_3gpuE9ELNS1_3repE0EEENS1_36merge_oddeven_config_static_selectorELNS0_4arch9wavefront6targetE1EEEvSM_.kd
    .uniform_work_group_size: 1
    .uses_dynamic_stack: false
    .vgpr_count:     0
    .vgpr_spill_count: 0
    .wavefront_size: 64
  - .agpr_count:     0
    .args:
      - .offset:         0
        .size:           64
        .value_kind:     by_value
    .group_segment_fixed_size: 0
    .kernarg_segment_align: 8
    .kernarg_segment_size: 64
    .language:       OpenCL C
    .language_version:
      - 2
      - 0
    .max_flat_workgroup_size: 256
    .name:           _ZN7rocprim17ROCPRIM_400000_NS6detail17trampoline_kernelINS0_14default_configENS1_38merge_sort_block_merge_config_selectorIlNS0_10empty_typeEEEZZNS1_27merge_sort_block_merge_implIS3_PlPS5_mZN2at6native12_GLOBAL__N_124unique_dim_cuda_templateIlEESt5tupleIJNSA_6TensorESF_SF_EERKSF_lbbbEUlllE_EE10hipError_tT0_T1_T2_jT3_P12ihipStream_tbPNSt15iterator_traitsISL_E10value_typeEPNSR_ISM_E10value_typeEPSN_NS1_7vsmem_tEENKUlT_SL_SM_SN_E_clIS8_S8_S9_S9_EESK_S10_SL_SM_SN_EUlS10_E1_NS1_11comp_targetILNS1_3genE4ELNS1_11target_archE910ELNS1_3gpuE8ELNS1_3repE0EEENS1_36merge_oddeven_config_static_selectorELNS0_4arch9wavefront6targetE1EEEvSM_
    .private_segment_fixed_size: 0
    .sgpr_count:     6
    .sgpr_spill_count: 0
    .symbol:         _ZN7rocprim17ROCPRIM_400000_NS6detail17trampoline_kernelINS0_14default_configENS1_38merge_sort_block_merge_config_selectorIlNS0_10empty_typeEEEZZNS1_27merge_sort_block_merge_implIS3_PlPS5_mZN2at6native12_GLOBAL__N_124unique_dim_cuda_templateIlEESt5tupleIJNSA_6TensorESF_SF_EERKSF_lbbbEUlllE_EE10hipError_tT0_T1_T2_jT3_P12ihipStream_tbPNSt15iterator_traitsISL_E10value_typeEPNSR_ISM_E10value_typeEPSN_NS1_7vsmem_tEENKUlT_SL_SM_SN_E_clIS8_S8_S9_S9_EESK_S10_SL_SM_SN_EUlS10_E1_NS1_11comp_targetILNS1_3genE4ELNS1_11target_archE910ELNS1_3gpuE8ELNS1_3repE0EEENS1_36merge_oddeven_config_static_selectorELNS0_4arch9wavefront6targetE1EEEvSM_.kd
    .uniform_work_group_size: 1
    .uses_dynamic_stack: false
    .vgpr_count:     0
    .vgpr_spill_count: 0
    .wavefront_size: 64
  - .agpr_count:     0
    .args:
      - .offset:         0
        .size:           64
        .value_kind:     by_value
    .group_segment_fixed_size: 0
    .kernarg_segment_align: 8
    .kernarg_segment_size: 64
    .language:       OpenCL C
    .language_version:
      - 2
      - 0
    .max_flat_workgroup_size: 256
    .name:           _ZN7rocprim17ROCPRIM_400000_NS6detail17trampoline_kernelINS0_14default_configENS1_38merge_sort_block_merge_config_selectorIlNS0_10empty_typeEEEZZNS1_27merge_sort_block_merge_implIS3_PlPS5_mZN2at6native12_GLOBAL__N_124unique_dim_cuda_templateIlEESt5tupleIJNSA_6TensorESF_SF_EERKSF_lbbbEUlllE_EE10hipError_tT0_T1_T2_jT3_P12ihipStream_tbPNSt15iterator_traitsISL_E10value_typeEPNSR_ISM_E10value_typeEPSN_NS1_7vsmem_tEENKUlT_SL_SM_SN_E_clIS8_S8_S9_S9_EESK_S10_SL_SM_SN_EUlS10_E1_NS1_11comp_targetILNS1_3genE3ELNS1_11target_archE908ELNS1_3gpuE7ELNS1_3repE0EEENS1_36merge_oddeven_config_static_selectorELNS0_4arch9wavefront6targetE1EEEvSM_
    .private_segment_fixed_size: 0
    .sgpr_count:     6
    .sgpr_spill_count: 0
    .symbol:         _ZN7rocprim17ROCPRIM_400000_NS6detail17trampoline_kernelINS0_14default_configENS1_38merge_sort_block_merge_config_selectorIlNS0_10empty_typeEEEZZNS1_27merge_sort_block_merge_implIS3_PlPS5_mZN2at6native12_GLOBAL__N_124unique_dim_cuda_templateIlEESt5tupleIJNSA_6TensorESF_SF_EERKSF_lbbbEUlllE_EE10hipError_tT0_T1_T2_jT3_P12ihipStream_tbPNSt15iterator_traitsISL_E10value_typeEPNSR_ISM_E10value_typeEPSN_NS1_7vsmem_tEENKUlT_SL_SM_SN_E_clIS8_S8_S9_S9_EESK_S10_SL_SM_SN_EUlS10_E1_NS1_11comp_targetILNS1_3genE3ELNS1_11target_archE908ELNS1_3gpuE7ELNS1_3repE0EEENS1_36merge_oddeven_config_static_selectorELNS0_4arch9wavefront6targetE1EEEvSM_.kd
    .uniform_work_group_size: 1
    .uses_dynamic_stack: false
    .vgpr_count:     0
    .vgpr_spill_count: 0
    .wavefront_size: 64
  - .agpr_count:     0
    .args:
      - .offset:         0
        .size:           64
        .value_kind:     by_value
    .group_segment_fixed_size: 0
    .kernarg_segment_align: 8
    .kernarg_segment_size: 64
    .language:       OpenCL C
    .language_version:
      - 2
      - 0
    .max_flat_workgroup_size: 256
    .name:           _ZN7rocprim17ROCPRIM_400000_NS6detail17trampoline_kernelINS0_14default_configENS1_38merge_sort_block_merge_config_selectorIlNS0_10empty_typeEEEZZNS1_27merge_sort_block_merge_implIS3_PlPS5_mZN2at6native12_GLOBAL__N_124unique_dim_cuda_templateIlEESt5tupleIJNSA_6TensorESF_SF_EERKSF_lbbbEUlllE_EE10hipError_tT0_T1_T2_jT3_P12ihipStream_tbPNSt15iterator_traitsISL_E10value_typeEPNSR_ISM_E10value_typeEPSN_NS1_7vsmem_tEENKUlT_SL_SM_SN_E_clIS8_S8_S9_S9_EESK_S10_SL_SM_SN_EUlS10_E1_NS1_11comp_targetILNS1_3genE2ELNS1_11target_archE906ELNS1_3gpuE6ELNS1_3repE0EEENS1_36merge_oddeven_config_static_selectorELNS0_4arch9wavefront6targetE1EEEvSM_
    .private_segment_fixed_size: 0
    .sgpr_count:     6
    .sgpr_spill_count: 0
    .symbol:         _ZN7rocprim17ROCPRIM_400000_NS6detail17trampoline_kernelINS0_14default_configENS1_38merge_sort_block_merge_config_selectorIlNS0_10empty_typeEEEZZNS1_27merge_sort_block_merge_implIS3_PlPS5_mZN2at6native12_GLOBAL__N_124unique_dim_cuda_templateIlEESt5tupleIJNSA_6TensorESF_SF_EERKSF_lbbbEUlllE_EE10hipError_tT0_T1_T2_jT3_P12ihipStream_tbPNSt15iterator_traitsISL_E10value_typeEPNSR_ISM_E10value_typeEPSN_NS1_7vsmem_tEENKUlT_SL_SM_SN_E_clIS8_S8_S9_S9_EESK_S10_SL_SM_SN_EUlS10_E1_NS1_11comp_targetILNS1_3genE2ELNS1_11target_archE906ELNS1_3gpuE6ELNS1_3repE0EEENS1_36merge_oddeven_config_static_selectorELNS0_4arch9wavefront6targetE1EEEvSM_.kd
    .uniform_work_group_size: 1
    .uses_dynamic_stack: false
    .vgpr_count:     0
    .vgpr_spill_count: 0
    .wavefront_size: 64
  - .agpr_count:     0
    .args:
      - .offset:         0
        .size:           64
        .value_kind:     by_value
    .group_segment_fixed_size: 0
    .kernarg_segment_align: 8
    .kernarg_segment_size: 64
    .language:       OpenCL C
    .language_version:
      - 2
      - 0
    .max_flat_workgroup_size: 256
    .name:           _ZN7rocprim17ROCPRIM_400000_NS6detail17trampoline_kernelINS0_14default_configENS1_38merge_sort_block_merge_config_selectorIlNS0_10empty_typeEEEZZNS1_27merge_sort_block_merge_implIS3_PlPS5_mZN2at6native12_GLOBAL__N_124unique_dim_cuda_templateIlEESt5tupleIJNSA_6TensorESF_SF_EERKSF_lbbbEUlllE_EE10hipError_tT0_T1_T2_jT3_P12ihipStream_tbPNSt15iterator_traitsISL_E10value_typeEPNSR_ISM_E10value_typeEPSN_NS1_7vsmem_tEENKUlT_SL_SM_SN_E_clIS8_S8_S9_S9_EESK_S10_SL_SM_SN_EUlS10_E1_NS1_11comp_targetILNS1_3genE9ELNS1_11target_archE1100ELNS1_3gpuE3ELNS1_3repE0EEENS1_36merge_oddeven_config_static_selectorELNS0_4arch9wavefront6targetE1EEEvSM_
    .private_segment_fixed_size: 0
    .sgpr_count:     6
    .sgpr_spill_count: 0
    .symbol:         _ZN7rocprim17ROCPRIM_400000_NS6detail17trampoline_kernelINS0_14default_configENS1_38merge_sort_block_merge_config_selectorIlNS0_10empty_typeEEEZZNS1_27merge_sort_block_merge_implIS3_PlPS5_mZN2at6native12_GLOBAL__N_124unique_dim_cuda_templateIlEESt5tupleIJNSA_6TensorESF_SF_EERKSF_lbbbEUlllE_EE10hipError_tT0_T1_T2_jT3_P12ihipStream_tbPNSt15iterator_traitsISL_E10value_typeEPNSR_ISM_E10value_typeEPSN_NS1_7vsmem_tEENKUlT_SL_SM_SN_E_clIS8_S8_S9_S9_EESK_S10_SL_SM_SN_EUlS10_E1_NS1_11comp_targetILNS1_3genE9ELNS1_11target_archE1100ELNS1_3gpuE3ELNS1_3repE0EEENS1_36merge_oddeven_config_static_selectorELNS0_4arch9wavefront6targetE1EEEvSM_.kd
    .uniform_work_group_size: 1
    .uses_dynamic_stack: false
    .vgpr_count:     0
    .vgpr_spill_count: 0
    .wavefront_size: 64
  - .agpr_count:     0
    .args:
      - .offset:         0
        .size:           64
        .value_kind:     by_value
    .group_segment_fixed_size: 0
    .kernarg_segment_align: 8
    .kernarg_segment_size: 64
    .language:       OpenCL C
    .language_version:
      - 2
      - 0
    .max_flat_workgroup_size: 256
    .name:           _ZN7rocprim17ROCPRIM_400000_NS6detail17trampoline_kernelINS0_14default_configENS1_38merge_sort_block_merge_config_selectorIlNS0_10empty_typeEEEZZNS1_27merge_sort_block_merge_implIS3_PlPS5_mZN2at6native12_GLOBAL__N_124unique_dim_cuda_templateIlEESt5tupleIJNSA_6TensorESF_SF_EERKSF_lbbbEUlllE_EE10hipError_tT0_T1_T2_jT3_P12ihipStream_tbPNSt15iterator_traitsISL_E10value_typeEPNSR_ISM_E10value_typeEPSN_NS1_7vsmem_tEENKUlT_SL_SM_SN_E_clIS8_S8_S9_S9_EESK_S10_SL_SM_SN_EUlS10_E1_NS1_11comp_targetILNS1_3genE8ELNS1_11target_archE1030ELNS1_3gpuE2ELNS1_3repE0EEENS1_36merge_oddeven_config_static_selectorELNS0_4arch9wavefront6targetE1EEEvSM_
    .private_segment_fixed_size: 0
    .sgpr_count:     6
    .sgpr_spill_count: 0
    .symbol:         _ZN7rocprim17ROCPRIM_400000_NS6detail17trampoline_kernelINS0_14default_configENS1_38merge_sort_block_merge_config_selectorIlNS0_10empty_typeEEEZZNS1_27merge_sort_block_merge_implIS3_PlPS5_mZN2at6native12_GLOBAL__N_124unique_dim_cuda_templateIlEESt5tupleIJNSA_6TensorESF_SF_EERKSF_lbbbEUlllE_EE10hipError_tT0_T1_T2_jT3_P12ihipStream_tbPNSt15iterator_traitsISL_E10value_typeEPNSR_ISM_E10value_typeEPSN_NS1_7vsmem_tEENKUlT_SL_SM_SN_E_clIS8_S8_S9_S9_EESK_S10_SL_SM_SN_EUlS10_E1_NS1_11comp_targetILNS1_3genE8ELNS1_11target_archE1030ELNS1_3gpuE2ELNS1_3repE0EEENS1_36merge_oddeven_config_static_selectorELNS0_4arch9wavefront6targetE1EEEvSM_.kd
    .uniform_work_group_size: 1
    .uses_dynamic_stack: false
    .vgpr_count:     0
    .vgpr_spill_count: 0
    .wavefront_size: 64
  - .agpr_count:     0
    .args:
      - .offset:         0
        .size:           64
        .value_kind:     by_value
    .group_segment_fixed_size: 2048
    .kernarg_segment_align: 8
    .kernarg_segment_size: 64
    .language:       OpenCL C
    .language_version:
      - 2
      - 0
    .max_flat_workgroup_size: 128
    .name:           _ZN7rocprim17ROCPRIM_400000_NS6detail17trampoline_kernelINS0_14default_configENS1_35adjacent_difference_config_selectorILb0ElEEZNS1_24adjacent_difference_implIS3_Lb0ELb0EPlS7_ZN2at6native12_GLOBAL__N_124unique_dim_cuda_templateIlEESt5tupleIJNS8_6TensorESD_SD_EERKSD_lbbbEUlllE1_EE10hipError_tPvRmT2_T3_mT4_P12ihipStream_tbEUlT_E_NS1_11comp_targetILNS1_3genE0ELNS1_11target_archE4294967295ELNS1_3gpuE0ELNS1_3repE0EEENS1_30default_config_static_selectorELNS0_4arch9wavefront6targetE1EEEvT1_
    .private_segment_fixed_size: 0
    .sgpr_count:     38
    .sgpr_spill_count: 0
    .symbol:         _ZN7rocprim17ROCPRIM_400000_NS6detail17trampoline_kernelINS0_14default_configENS1_35adjacent_difference_config_selectorILb0ElEEZNS1_24adjacent_difference_implIS3_Lb0ELb0EPlS7_ZN2at6native12_GLOBAL__N_124unique_dim_cuda_templateIlEESt5tupleIJNS8_6TensorESD_SD_EERKSD_lbbbEUlllE1_EE10hipError_tPvRmT2_T3_mT4_P12ihipStream_tbEUlT_E_NS1_11comp_targetILNS1_3genE0ELNS1_11target_archE4294967295ELNS1_3gpuE0ELNS1_3repE0EEENS1_30default_config_static_selectorELNS0_4arch9wavefront6targetE1EEEvT1_.kd
    .uniform_work_group_size: 1
    .uses_dynamic_stack: false
    .vgpr_count:     14
    .vgpr_spill_count: 0
    .wavefront_size: 64
  - .agpr_count:     0
    .args:
      - .offset:         0
        .size:           64
        .value_kind:     by_value
    .group_segment_fixed_size: 0
    .kernarg_segment_align: 8
    .kernarg_segment_size: 64
    .language:       OpenCL C
    .language_version:
      - 2
      - 0
    .max_flat_workgroup_size: 128
    .name:           _ZN7rocprim17ROCPRIM_400000_NS6detail17trampoline_kernelINS0_14default_configENS1_35adjacent_difference_config_selectorILb0ElEEZNS1_24adjacent_difference_implIS3_Lb0ELb0EPlS7_ZN2at6native12_GLOBAL__N_124unique_dim_cuda_templateIlEESt5tupleIJNS8_6TensorESD_SD_EERKSD_lbbbEUlllE1_EE10hipError_tPvRmT2_T3_mT4_P12ihipStream_tbEUlT_E_NS1_11comp_targetILNS1_3genE10ELNS1_11target_archE1201ELNS1_3gpuE5ELNS1_3repE0EEENS1_30default_config_static_selectorELNS0_4arch9wavefront6targetE1EEEvT1_
    .private_segment_fixed_size: 0
    .sgpr_count:     6
    .sgpr_spill_count: 0
    .symbol:         _ZN7rocprim17ROCPRIM_400000_NS6detail17trampoline_kernelINS0_14default_configENS1_35adjacent_difference_config_selectorILb0ElEEZNS1_24adjacent_difference_implIS3_Lb0ELb0EPlS7_ZN2at6native12_GLOBAL__N_124unique_dim_cuda_templateIlEESt5tupleIJNS8_6TensorESD_SD_EERKSD_lbbbEUlllE1_EE10hipError_tPvRmT2_T3_mT4_P12ihipStream_tbEUlT_E_NS1_11comp_targetILNS1_3genE10ELNS1_11target_archE1201ELNS1_3gpuE5ELNS1_3repE0EEENS1_30default_config_static_selectorELNS0_4arch9wavefront6targetE1EEEvT1_.kd
    .uniform_work_group_size: 1
    .uses_dynamic_stack: false
    .vgpr_count:     0
    .vgpr_spill_count: 0
    .wavefront_size: 64
  - .agpr_count:     0
    .args:
      - .offset:         0
        .size:           64
        .value_kind:     by_value
    .group_segment_fixed_size: 0
    .kernarg_segment_align: 8
    .kernarg_segment_size: 64
    .language:       OpenCL C
    .language_version:
      - 2
      - 0
    .max_flat_workgroup_size: 64
    .name:           _ZN7rocprim17ROCPRIM_400000_NS6detail17trampoline_kernelINS0_14default_configENS1_35adjacent_difference_config_selectorILb0ElEEZNS1_24adjacent_difference_implIS3_Lb0ELb0EPlS7_ZN2at6native12_GLOBAL__N_124unique_dim_cuda_templateIlEESt5tupleIJNS8_6TensorESD_SD_EERKSD_lbbbEUlllE1_EE10hipError_tPvRmT2_T3_mT4_P12ihipStream_tbEUlT_E_NS1_11comp_targetILNS1_3genE5ELNS1_11target_archE942ELNS1_3gpuE9ELNS1_3repE0EEENS1_30default_config_static_selectorELNS0_4arch9wavefront6targetE1EEEvT1_
    .private_segment_fixed_size: 0
    .sgpr_count:     6
    .sgpr_spill_count: 0
    .symbol:         _ZN7rocprim17ROCPRIM_400000_NS6detail17trampoline_kernelINS0_14default_configENS1_35adjacent_difference_config_selectorILb0ElEEZNS1_24adjacent_difference_implIS3_Lb0ELb0EPlS7_ZN2at6native12_GLOBAL__N_124unique_dim_cuda_templateIlEESt5tupleIJNS8_6TensorESD_SD_EERKSD_lbbbEUlllE1_EE10hipError_tPvRmT2_T3_mT4_P12ihipStream_tbEUlT_E_NS1_11comp_targetILNS1_3genE5ELNS1_11target_archE942ELNS1_3gpuE9ELNS1_3repE0EEENS1_30default_config_static_selectorELNS0_4arch9wavefront6targetE1EEEvT1_.kd
    .uniform_work_group_size: 1
    .uses_dynamic_stack: false
    .vgpr_count:     0
    .vgpr_spill_count: 0
    .wavefront_size: 64
  - .agpr_count:     0
    .args:
      - .offset:         0
        .size:           64
        .value_kind:     by_value
    .group_segment_fixed_size: 0
    .kernarg_segment_align: 8
    .kernarg_segment_size: 64
    .language:       OpenCL C
    .language_version:
      - 2
      - 0
    .max_flat_workgroup_size: 256
    .name:           _ZN7rocprim17ROCPRIM_400000_NS6detail17trampoline_kernelINS0_14default_configENS1_35adjacent_difference_config_selectorILb0ElEEZNS1_24adjacent_difference_implIS3_Lb0ELb0EPlS7_ZN2at6native12_GLOBAL__N_124unique_dim_cuda_templateIlEESt5tupleIJNS8_6TensorESD_SD_EERKSD_lbbbEUlllE1_EE10hipError_tPvRmT2_T3_mT4_P12ihipStream_tbEUlT_E_NS1_11comp_targetILNS1_3genE4ELNS1_11target_archE910ELNS1_3gpuE8ELNS1_3repE0EEENS1_30default_config_static_selectorELNS0_4arch9wavefront6targetE1EEEvT1_
    .private_segment_fixed_size: 0
    .sgpr_count:     6
    .sgpr_spill_count: 0
    .symbol:         _ZN7rocprim17ROCPRIM_400000_NS6detail17trampoline_kernelINS0_14default_configENS1_35adjacent_difference_config_selectorILb0ElEEZNS1_24adjacent_difference_implIS3_Lb0ELb0EPlS7_ZN2at6native12_GLOBAL__N_124unique_dim_cuda_templateIlEESt5tupleIJNS8_6TensorESD_SD_EERKSD_lbbbEUlllE1_EE10hipError_tPvRmT2_T3_mT4_P12ihipStream_tbEUlT_E_NS1_11comp_targetILNS1_3genE4ELNS1_11target_archE910ELNS1_3gpuE8ELNS1_3repE0EEENS1_30default_config_static_selectorELNS0_4arch9wavefront6targetE1EEEvT1_.kd
    .uniform_work_group_size: 1
    .uses_dynamic_stack: false
    .vgpr_count:     0
    .vgpr_spill_count: 0
    .wavefront_size: 64
  - .agpr_count:     0
    .args:
      - .offset:         0
        .size:           64
        .value_kind:     by_value
    .group_segment_fixed_size: 0
    .kernarg_segment_align: 8
    .kernarg_segment_size: 64
    .language:       OpenCL C
    .language_version:
      - 2
      - 0
    .max_flat_workgroup_size: 128
    .name:           _ZN7rocprim17ROCPRIM_400000_NS6detail17trampoline_kernelINS0_14default_configENS1_35adjacent_difference_config_selectorILb0ElEEZNS1_24adjacent_difference_implIS3_Lb0ELb0EPlS7_ZN2at6native12_GLOBAL__N_124unique_dim_cuda_templateIlEESt5tupleIJNS8_6TensorESD_SD_EERKSD_lbbbEUlllE1_EE10hipError_tPvRmT2_T3_mT4_P12ihipStream_tbEUlT_E_NS1_11comp_targetILNS1_3genE3ELNS1_11target_archE908ELNS1_3gpuE7ELNS1_3repE0EEENS1_30default_config_static_selectorELNS0_4arch9wavefront6targetE1EEEvT1_
    .private_segment_fixed_size: 0
    .sgpr_count:     6
    .sgpr_spill_count: 0
    .symbol:         _ZN7rocprim17ROCPRIM_400000_NS6detail17trampoline_kernelINS0_14default_configENS1_35adjacent_difference_config_selectorILb0ElEEZNS1_24adjacent_difference_implIS3_Lb0ELb0EPlS7_ZN2at6native12_GLOBAL__N_124unique_dim_cuda_templateIlEESt5tupleIJNS8_6TensorESD_SD_EERKSD_lbbbEUlllE1_EE10hipError_tPvRmT2_T3_mT4_P12ihipStream_tbEUlT_E_NS1_11comp_targetILNS1_3genE3ELNS1_11target_archE908ELNS1_3gpuE7ELNS1_3repE0EEENS1_30default_config_static_selectorELNS0_4arch9wavefront6targetE1EEEvT1_.kd
    .uniform_work_group_size: 1
    .uses_dynamic_stack: false
    .vgpr_count:     0
    .vgpr_spill_count: 0
    .wavefront_size: 64
  - .agpr_count:     0
    .args:
      - .offset:         0
        .size:           64
        .value_kind:     by_value
    .group_segment_fixed_size: 0
    .kernarg_segment_align: 8
    .kernarg_segment_size: 64
    .language:       OpenCL C
    .language_version:
      - 2
      - 0
    .max_flat_workgroup_size: 128
    .name:           _ZN7rocprim17ROCPRIM_400000_NS6detail17trampoline_kernelINS0_14default_configENS1_35adjacent_difference_config_selectorILb0ElEEZNS1_24adjacent_difference_implIS3_Lb0ELb0EPlS7_ZN2at6native12_GLOBAL__N_124unique_dim_cuda_templateIlEESt5tupleIJNS8_6TensorESD_SD_EERKSD_lbbbEUlllE1_EE10hipError_tPvRmT2_T3_mT4_P12ihipStream_tbEUlT_E_NS1_11comp_targetILNS1_3genE2ELNS1_11target_archE906ELNS1_3gpuE6ELNS1_3repE0EEENS1_30default_config_static_selectorELNS0_4arch9wavefront6targetE1EEEvT1_
    .private_segment_fixed_size: 0
    .sgpr_count:     6
    .sgpr_spill_count: 0
    .symbol:         _ZN7rocprim17ROCPRIM_400000_NS6detail17trampoline_kernelINS0_14default_configENS1_35adjacent_difference_config_selectorILb0ElEEZNS1_24adjacent_difference_implIS3_Lb0ELb0EPlS7_ZN2at6native12_GLOBAL__N_124unique_dim_cuda_templateIlEESt5tupleIJNS8_6TensorESD_SD_EERKSD_lbbbEUlllE1_EE10hipError_tPvRmT2_T3_mT4_P12ihipStream_tbEUlT_E_NS1_11comp_targetILNS1_3genE2ELNS1_11target_archE906ELNS1_3gpuE6ELNS1_3repE0EEENS1_30default_config_static_selectorELNS0_4arch9wavefront6targetE1EEEvT1_.kd
    .uniform_work_group_size: 1
    .uses_dynamic_stack: false
    .vgpr_count:     0
    .vgpr_spill_count: 0
    .wavefront_size: 64
  - .agpr_count:     0
    .args:
      - .offset:         0
        .size:           64
        .value_kind:     by_value
    .group_segment_fixed_size: 0
    .kernarg_segment_align: 8
    .kernarg_segment_size: 64
    .language:       OpenCL C
    .language_version:
      - 2
      - 0
    .max_flat_workgroup_size: 512
    .name:           _ZN7rocprim17ROCPRIM_400000_NS6detail17trampoline_kernelINS0_14default_configENS1_35adjacent_difference_config_selectorILb0ElEEZNS1_24adjacent_difference_implIS3_Lb0ELb0EPlS7_ZN2at6native12_GLOBAL__N_124unique_dim_cuda_templateIlEESt5tupleIJNS8_6TensorESD_SD_EERKSD_lbbbEUlllE1_EE10hipError_tPvRmT2_T3_mT4_P12ihipStream_tbEUlT_E_NS1_11comp_targetILNS1_3genE9ELNS1_11target_archE1100ELNS1_3gpuE3ELNS1_3repE0EEENS1_30default_config_static_selectorELNS0_4arch9wavefront6targetE1EEEvT1_
    .private_segment_fixed_size: 0
    .sgpr_count:     6
    .sgpr_spill_count: 0
    .symbol:         _ZN7rocprim17ROCPRIM_400000_NS6detail17trampoline_kernelINS0_14default_configENS1_35adjacent_difference_config_selectorILb0ElEEZNS1_24adjacent_difference_implIS3_Lb0ELb0EPlS7_ZN2at6native12_GLOBAL__N_124unique_dim_cuda_templateIlEESt5tupleIJNS8_6TensorESD_SD_EERKSD_lbbbEUlllE1_EE10hipError_tPvRmT2_T3_mT4_P12ihipStream_tbEUlT_E_NS1_11comp_targetILNS1_3genE9ELNS1_11target_archE1100ELNS1_3gpuE3ELNS1_3repE0EEENS1_30default_config_static_selectorELNS0_4arch9wavefront6targetE1EEEvT1_.kd
    .uniform_work_group_size: 1
    .uses_dynamic_stack: false
    .vgpr_count:     0
    .vgpr_spill_count: 0
    .wavefront_size: 64
  - .agpr_count:     0
    .args:
      - .offset:         0
        .size:           64
        .value_kind:     by_value
    .group_segment_fixed_size: 0
    .kernarg_segment_align: 8
    .kernarg_segment_size: 64
    .language:       OpenCL C
    .language_version:
      - 2
      - 0
    .max_flat_workgroup_size: 1024
    .name:           _ZN7rocprim17ROCPRIM_400000_NS6detail17trampoline_kernelINS0_14default_configENS1_35adjacent_difference_config_selectorILb0ElEEZNS1_24adjacent_difference_implIS3_Lb0ELb0EPlS7_ZN2at6native12_GLOBAL__N_124unique_dim_cuda_templateIlEESt5tupleIJNS8_6TensorESD_SD_EERKSD_lbbbEUlllE1_EE10hipError_tPvRmT2_T3_mT4_P12ihipStream_tbEUlT_E_NS1_11comp_targetILNS1_3genE8ELNS1_11target_archE1030ELNS1_3gpuE2ELNS1_3repE0EEENS1_30default_config_static_selectorELNS0_4arch9wavefront6targetE1EEEvT1_
    .private_segment_fixed_size: 0
    .sgpr_count:     6
    .sgpr_spill_count: 0
    .symbol:         _ZN7rocprim17ROCPRIM_400000_NS6detail17trampoline_kernelINS0_14default_configENS1_35adjacent_difference_config_selectorILb0ElEEZNS1_24adjacent_difference_implIS3_Lb0ELb0EPlS7_ZN2at6native12_GLOBAL__N_124unique_dim_cuda_templateIlEESt5tupleIJNS8_6TensorESD_SD_EERKSD_lbbbEUlllE1_EE10hipError_tPvRmT2_T3_mT4_P12ihipStream_tbEUlT_E_NS1_11comp_targetILNS1_3genE8ELNS1_11target_archE1030ELNS1_3gpuE2ELNS1_3repE0EEENS1_30default_config_static_selectorELNS0_4arch9wavefront6targetE1EEEvT1_.kd
    .uniform_work_group_size: 1
    .uses_dynamic_stack: false
    .vgpr_count:     0
    .vgpr_spill_count: 0
    .wavefront_size: 64
  - .agpr_count:     0
    .args:
      - .offset:         0
        .size:           56
        .value_kind:     by_value
      - .offset:         56
        .size:           4
        .value_kind:     hidden_block_count_x
      - .offset:         60
        .size:           4
        .value_kind:     hidden_block_count_y
      - .offset:         64
        .size:           4
        .value_kind:     hidden_block_count_z
      - .offset:         68
        .size:           2
        .value_kind:     hidden_group_size_x
      - .offset:         70
        .size:           2
        .value_kind:     hidden_group_size_y
      - .offset:         72
        .size:           2
        .value_kind:     hidden_group_size_z
      - .offset:         74
        .size:           2
        .value_kind:     hidden_remainder_x
      - .offset:         76
        .size:           2
        .value_kind:     hidden_remainder_y
      - .offset:         78
        .size:           2
        .value_kind:     hidden_remainder_z
      - .offset:         96
        .size:           8
        .value_kind:     hidden_global_offset_x
      - .offset:         104
        .size:           8
        .value_kind:     hidden_global_offset_y
      - .offset:         112
        .size:           8
        .value_kind:     hidden_global_offset_z
      - .offset:         120
        .size:           2
        .value_kind:     hidden_grid_dims
    .group_segment_fixed_size: 0
    .kernarg_segment_align: 8
    .kernarg_segment_size: 312
    .language:       OpenCL C
    .language_version:
      - 2
      - 0
    .max_flat_workgroup_size: 128
    .name:           _ZN7rocprim17ROCPRIM_400000_NS6detail17trampoline_kernelINS0_14default_configENS1_25transform_config_selectorIlLb0EEEZNS1_14transform_implILb0ES3_S5_NS0_18transform_iteratorINS0_17counting_iteratorImlEEZNS1_24adjacent_difference_implIS3_Lb1ELb0EPlSB_ZN2at6native12_GLOBAL__N_124unique_dim_cuda_templateIlEESt5tupleIJNSC_6TensorESH_SH_EERKSH_lbbbEUlllE1_EE10hipError_tPvRmT2_T3_mT4_P12ihipStream_tbEUlmE_lEESB_NS0_8identityIvEEEESM_SP_SQ_mSR_ST_bEUlT_E_NS1_11comp_targetILNS1_3genE0ELNS1_11target_archE4294967295ELNS1_3gpuE0ELNS1_3repE0EEENS1_30default_config_static_selectorELNS0_4arch9wavefront6targetE1EEEvT1_
    .private_segment_fixed_size: 0
    .sgpr_count:     18
    .sgpr_spill_count: 0
    .symbol:         _ZN7rocprim17ROCPRIM_400000_NS6detail17trampoline_kernelINS0_14default_configENS1_25transform_config_selectorIlLb0EEEZNS1_14transform_implILb0ES3_S5_NS0_18transform_iteratorINS0_17counting_iteratorImlEEZNS1_24adjacent_difference_implIS3_Lb1ELb0EPlSB_ZN2at6native12_GLOBAL__N_124unique_dim_cuda_templateIlEESt5tupleIJNSC_6TensorESH_SH_EERKSH_lbbbEUlllE1_EE10hipError_tPvRmT2_T3_mT4_P12ihipStream_tbEUlmE_lEESB_NS0_8identityIvEEEESM_SP_SQ_mSR_ST_bEUlT_E_NS1_11comp_targetILNS1_3genE0ELNS1_11target_archE4294967295ELNS1_3gpuE0ELNS1_3repE0EEENS1_30default_config_static_selectorELNS0_4arch9wavefront6targetE1EEEvT1_.kd
    .uniform_work_group_size: 1
    .uses_dynamic_stack: false
    .vgpr_count:     8
    .vgpr_spill_count: 0
    .wavefront_size: 64
  - .agpr_count:     0
    .args:
      - .offset:         0
        .size:           56
        .value_kind:     by_value
    .group_segment_fixed_size: 0
    .kernarg_segment_align: 8
    .kernarg_segment_size: 56
    .language:       OpenCL C
    .language_version:
      - 2
      - 0
    .max_flat_workgroup_size: 512
    .name:           _ZN7rocprim17ROCPRIM_400000_NS6detail17trampoline_kernelINS0_14default_configENS1_25transform_config_selectorIlLb0EEEZNS1_14transform_implILb0ES3_S5_NS0_18transform_iteratorINS0_17counting_iteratorImlEEZNS1_24adjacent_difference_implIS3_Lb1ELb0EPlSB_ZN2at6native12_GLOBAL__N_124unique_dim_cuda_templateIlEESt5tupleIJNSC_6TensorESH_SH_EERKSH_lbbbEUlllE1_EE10hipError_tPvRmT2_T3_mT4_P12ihipStream_tbEUlmE_lEESB_NS0_8identityIvEEEESM_SP_SQ_mSR_ST_bEUlT_E_NS1_11comp_targetILNS1_3genE5ELNS1_11target_archE942ELNS1_3gpuE9ELNS1_3repE0EEENS1_30default_config_static_selectorELNS0_4arch9wavefront6targetE1EEEvT1_
    .private_segment_fixed_size: 0
    .sgpr_count:     6
    .sgpr_spill_count: 0
    .symbol:         _ZN7rocprim17ROCPRIM_400000_NS6detail17trampoline_kernelINS0_14default_configENS1_25transform_config_selectorIlLb0EEEZNS1_14transform_implILb0ES3_S5_NS0_18transform_iteratorINS0_17counting_iteratorImlEEZNS1_24adjacent_difference_implIS3_Lb1ELb0EPlSB_ZN2at6native12_GLOBAL__N_124unique_dim_cuda_templateIlEESt5tupleIJNSC_6TensorESH_SH_EERKSH_lbbbEUlllE1_EE10hipError_tPvRmT2_T3_mT4_P12ihipStream_tbEUlmE_lEESB_NS0_8identityIvEEEESM_SP_SQ_mSR_ST_bEUlT_E_NS1_11comp_targetILNS1_3genE5ELNS1_11target_archE942ELNS1_3gpuE9ELNS1_3repE0EEENS1_30default_config_static_selectorELNS0_4arch9wavefront6targetE1EEEvT1_.kd
    .uniform_work_group_size: 1
    .uses_dynamic_stack: false
    .vgpr_count:     0
    .vgpr_spill_count: 0
    .wavefront_size: 64
  - .agpr_count:     0
    .args:
      - .offset:         0
        .size:           56
        .value_kind:     by_value
    .group_segment_fixed_size: 0
    .kernarg_segment_align: 8
    .kernarg_segment_size: 56
    .language:       OpenCL C
    .language_version:
      - 2
      - 0
    .max_flat_workgroup_size: 256
    .name:           _ZN7rocprim17ROCPRIM_400000_NS6detail17trampoline_kernelINS0_14default_configENS1_25transform_config_selectorIlLb0EEEZNS1_14transform_implILb0ES3_S5_NS0_18transform_iteratorINS0_17counting_iteratorImlEEZNS1_24adjacent_difference_implIS3_Lb1ELb0EPlSB_ZN2at6native12_GLOBAL__N_124unique_dim_cuda_templateIlEESt5tupleIJNSC_6TensorESH_SH_EERKSH_lbbbEUlllE1_EE10hipError_tPvRmT2_T3_mT4_P12ihipStream_tbEUlmE_lEESB_NS0_8identityIvEEEESM_SP_SQ_mSR_ST_bEUlT_E_NS1_11comp_targetILNS1_3genE4ELNS1_11target_archE910ELNS1_3gpuE8ELNS1_3repE0EEENS1_30default_config_static_selectorELNS0_4arch9wavefront6targetE1EEEvT1_
    .private_segment_fixed_size: 0
    .sgpr_count:     6
    .sgpr_spill_count: 0
    .symbol:         _ZN7rocprim17ROCPRIM_400000_NS6detail17trampoline_kernelINS0_14default_configENS1_25transform_config_selectorIlLb0EEEZNS1_14transform_implILb0ES3_S5_NS0_18transform_iteratorINS0_17counting_iteratorImlEEZNS1_24adjacent_difference_implIS3_Lb1ELb0EPlSB_ZN2at6native12_GLOBAL__N_124unique_dim_cuda_templateIlEESt5tupleIJNSC_6TensorESH_SH_EERKSH_lbbbEUlllE1_EE10hipError_tPvRmT2_T3_mT4_P12ihipStream_tbEUlmE_lEESB_NS0_8identityIvEEEESM_SP_SQ_mSR_ST_bEUlT_E_NS1_11comp_targetILNS1_3genE4ELNS1_11target_archE910ELNS1_3gpuE8ELNS1_3repE0EEENS1_30default_config_static_selectorELNS0_4arch9wavefront6targetE1EEEvT1_.kd
    .uniform_work_group_size: 1
    .uses_dynamic_stack: false
    .vgpr_count:     0
    .vgpr_spill_count: 0
    .wavefront_size: 64
  - .agpr_count:     0
    .args:
      - .offset:         0
        .size:           56
        .value_kind:     by_value
    .group_segment_fixed_size: 0
    .kernarg_segment_align: 8
    .kernarg_segment_size: 56
    .language:       OpenCL C
    .language_version:
      - 2
      - 0
    .max_flat_workgroup_size: 128
    .name:           _ZN7rocprim17ROCPRIM_400000_NS6detail17trampoline_kernelINS0_14default_configENS1_25transform_config_selectorIlLb0EEEZNS1_14transform_implILb0ES3_S5_NS0_18transform_iteratorINS0_17counting_iteratorImlEEZNS1_24adjacent_difference_implIS3_Lb1ELb0EPlSB_ZN2at6native12_GLOBAL__N_124unique_dim_cuda_templateIlEESt5tupleIJNSC_6TensorESH_SH_EERKSH_lbbbEUlllE1_EE10hipError_tPvRmT2_T3_mT4_P12ihipStream_tbEUlmE_lEESB_NS0_8identityIvEEEESM_SP_SQ_mSR_ST_bEUlT_E_NS1_11comp_targetILNS1_3genE3ELNS1_11target_archE908ELNS1_3gpuE7ELNS1_3repE0EEENS1_30default_config_static_selectorELNS0_4arch9wavefront6targetE1EEEvT1_
    .private_segment_fixed_size: 0
    .sgpr_count:     6
    .sgpr_spill_count: 0
    .symbol:         _ZN7rocprim17ROCPRIM_400000_NS6detail17trampoline_kernelINS0_14default_configENS1_25transform_config_selectorIlLb0EEEZNS1_14transform_implILb0ES3_S5_NS0_18transform_iteratorINS0_17counting_iteratorImlEEZNS1_24adjacent_difference_implIS3_Lb1ELb0EPlSB_ZN2at6native12_GLOBAL__N_124unique_dim_cuda_templateIlEESt5tupleIJNSC_6TensorESH_SH_EERKSH_lbbbEUlllE1_EE10hipError_tPvRmT2_T3_mT4_P12ihipStream_tbEUlmE_lEESB_NS0_8identityIvEEEESM_SP_SQ_mSR_ST_bEUlT_E_NS1_11comp_targetILNS1_3genE3ELNS1_11target_archE908ELNS1_3gpuE7ELNS1_3repE0EEENS1_30default_config_static_selectorELNS0_4arch9wavefront6targetE1EEEvT1_.kd
    .uniform_work_group_size: 1
    .uses_dynamic_stack: false
    .vgpr_count:     0
    .vgpr_spill_count: 0
    .wavefront_size: 64
  - .agpr_count:     0
    .args:
      - .offset:         0
        .size:           56
        .value_kind:     by_value
    .group_segment_fixed_size: 0
    .kernarg_segment_align: 8
    .kernarg_segment_size: 56
    .language:       OpenCL C
    .language_version:
      - 2
      - 0
    .max_flat_workgroup_size: 512
    .name:           _ZN7rocprim17ROCPRIM_400000_NS6detail17trampoline_kernelINS0_14default_configENS1_25transform_config_selectorIlLb0EEEZNS1_14transform_implILb0ES3_S5_NS0_18transform_iteratorINS0_17counting_iteratorImlEEZNS1_24adjacent_difference_implIS3_Lb1ELb0EPlSB_ZN2at6native12_GLOBAL__N_124unique_dim_cuda_templateIlEESt5tupleIJNSC_6TensorESH_SH_EERKSH_lbbbEUlllE1_EE10hipError_tPvRmT2_T3_mT4_P12ihipStream_tbEUlmE_lEESB_NS0_8identityIvEEEESM_SP_SQ_mSR_ST_bEUlT_E_NS1_11comp_targetILNS1_3genE2ELNS1_11target_archE906ELNS1_3gpuE6ELNS1_3repE0EEENS1_30default_config_static_selectorELNS0_4arch9wavefront6targetE1EEEvT1_
    .private_segment_fixed_size: 0
    .sgpr_count:     6
    .sgpr_spill_count: 0
    .symbol:         _ZN7rocprim17ROCPRIM_400000_NS6detail17trampoline_kernelINS0_14default_configENS1_25transform_config_selectorIlLb0EEEZNS1_14transform_implILb0ES3_S5_NS0_18transform_iteratorINS0_17counting_iteratorImlEEZNS1_24adjacent_difference_implIS3_Lb1ELb0EPlSB_ZN2at6native12_GLOBAL__N_124unique_dim_cuda_templateIlEESt5tupleIJNSC_6TensorESH_SH_EERKSH_lbbbEUlllE1_EE10hipError_tPvRmT2_T3_mT4_P12ihipStream_tbEUlmE_lEESB_NS0_8identityIvEEEESM_SP_SQ_mSR_ST_bEUlT_E_NS1_11comp_targetILNS1_3genE2ELNS1_11target_archE906ELNS1_3gpuE6ELNS1_3repE0EEENS1_30default_config_static_selectorELNS0_4arch9wavefront6targetE1EEEvT1_.kd
    .uniform_work_group_size: 1
    .uses_dynamic_stack: false
    .vgpr_count:     0
    .vgpr_spill_count: 0
    .wavefront_size: 64
  - .agpr_count:     0
    .args:
      - .offset:         0
        .size:           56
        .value_kind:     by_value
    .group_segment_fixed_size: 0
    .kernarg_segment_align: 8
    .kernarg_segment_size: 56
    .language:       OpenCL C
    .language_version:
      - 2
      - 0
    .max_flat_workgroup_size: 1024
    .name:           _ZN7rocprim17ROCPRIM_400000_NS6detail17trampoline_kernelINS0_14default_configENS1_25transform_config_selectorIlLb0EEEZNS1_14transform_implILb0ES3_S5_NS0_18transform_iteratorINS0_17counting_iteratorImlEEZNS1_24adjacent_difference_implIS3_Lb1ELb0EPlSB_ZN2at6native12_GLOBAL__N_124unique_dim_cuda_templateIlEESt5tupleIJNSC_6TensorESH_SH_EERKSH_lbbbEUlllE1_EE10hipError_tPvRmT2_T3_mT4_P12ihipStream_tbEUlmE_lEESB_NS0_8identityIvEEEESM_SP_SQ_mSR_ST_bEUlT_E_NS1_11comp_targetILNS1_3genE10ELNS1_11target_archE1201ELNS1_3gpuE5ELNS1_3repE0EEENS1_30default_config_static_selectorELNS0_4arch9wavefront6targetE1EEEvT1_
    .private_segment_fixed_size: 0
    .sgpr_count:     6
    .sgpr_spill_count: 0
    .symbol:         _ZN7rocprim17ROCPRIM_400000_NS6detail17trampoline_kernelINS0_14default_configENS1_25transform_config_selectorIlLb0EEEZNS1_14transform_implILb0ES3_S5_NS0_18transform_iteratorINS0_17counting_iteratorImlEEZNS1_24adjacent_difference_implIS3_Lb1ELb0EPlSB_ZN2at6native12_GLOBAL__N_124unique_dim_cuda_templateIlEESt5tupleIJNSC_6TensorESH_SH_EERKSH_lbbbEUlllE1_EE10hipError_tPvRmT2_T3_mT4_P12ihipStream_tbEUlmE_lEESB_NS0_8identityIvEEEESM_SP_SQ_mSR_ST_bEUlT_E_NS1_11comp_targetILNS1_3genE10ELNS1_11target_archE1201ELNS1_3gpuE5ELNS1_3repE0EEENS1_30default_config_static_selectorELNS0_4arch9wavefront6targetE1EEEvT1_.kd
    .uniform_work_group_size: 1
    .uses_dynamic_stack: false
    .vgpr_count:     0
    .vgpr_spill_count: 0
    .wavefront_size: 64
  - .agpr_count:     0
    .args:
      - .offset:         0
        .size:           56
        .value_kind:     by_value
    .group_segment_fixed_size: 0
    .kernarg_segment_align: 8
    .kernarg_segment_size: 56
    .language:       OpenCL C
    .language_version:
      - 2
      - 0
    .max_flat_workgroup_size: 512
    .name:           _ZN7rocprim17ROCPRIM_400000_NS6detail17trampoline_kernelINS0_14default_configENS1_25transform_config_selectorIlLb0EEEZNS1_14transform_implILb0ES3_S5_NS0_18transform_iteratorINS0_17counting_iteratorImlEEZNS1_24adjacent_difference_implIS3_Lb1ELb0EPlSB_ZN2at6native12_GLOBAL__N_124unique_dim_cuda_templateIlEESt5tupleIJNSC_6TensorESH_SH_EERKSH_lbbbEUlllE1_EE10hipError_tPvRmT2_T3_mT4_P12ihipStream_tbEUlmE_lEESB_NS0_8identityIvEEEESM_SP_SQ_mSR_ST_bEUlT_E_NS1_11comp_targetILNS1_3genE10ELNS1_11target_archE1200ELNS1_3gpuE4ELNS1_3repE0EEENS1_30default_config_static_selectorELNS0_4arch9wavefront6targetE1EEEvT1_
    .private_segment_fixed_size: 0
    .sgpr_count:     6
    .sgpr_spill_count: 0
    .symbol:         _ZN7rocprim17ROCPRIM_400000_NS6detail17trampoline_kernelINS0_14default_configENS1_25transform_config_selectorIlLb0EEEZNS1_14transform_implILb0ES3_S5_NS0_18transform_iteratorINS0_17counting_iteratorImlEEZNS1_24adjacent_difference_implIS3_Lb1ELb0EPlSB_ZN2at6native12_GLOBAL__N_124unique_dim_cuda_templateIlEESt5tupleIJNSC_6TensorESH_SH_EERKSH_lbbbEUlllE1_EE10hipError_tPvRmT2_T3_mT4_P12ihipStream_tbEUlmE_lEESB_NS0_8identityIvEEEESM_SP_SQ_mSR_ST_bEUlT_E_NS1_11comp_targetILNS1_3genE10ELNS1_11target_archE1200ELNS1_3gpuE4ELNS1_3repE0EEENS1_30default_config_static_selectorELNS0_4arch9wavefront6targetE1EEEvT1_.kd
    .uniform_work_group_size: 1
    .uses_dynamic_stack: false
    .vgpr_count:     0
    .vgpr_spill_count: 0
    .wavefront_size: 64
  - .agpr_count:     0
    .args:
      - .offset:         0
        .size:           56
        .value_kind:     by_value
    .group_segment_fixed_size: 0
    .kernarg_segment_align: 8
    .kernarg_segment_size: 56
    .language:       OpenCL C
    .language_version:
      - 2
      - 0
    .max_flat_workgroup_size: 512
    .name:           _ZN7rocprim17ROCPRIM_400000_NS6detail17trampoline_kernelINS0_14default_configENS1_25transform_config_selectorIlLb0EEEZNS1_14transform_implILb0ES3_S5_NS0_18transform_iteratorINS0_17counting_iteratorImlEEZNS1_24adjacent_difference_implIS3_Lb1ELb0EPlSB_ZN2at6native12_GLOBAL__N_124unique_dim_cuda_templateIlEESt5tupleIJNSC_6TensorESH_SH_EERKSH_lbbbEUlllE1_EE10hipError_tPvRmT2_T3_mT4_P12ihipStream_tbEUlmE_lEESB_NS0_8identityIvEEEESM_SP_SQ_mSR_ST_bEUlT_E_NS1_11comp_targetILNS1_3genE9ELNS1_11target_archE1100ELNS1_3gpuE3ELNS1_3repE0EEENS1_30default_config_static_selectorELNS0_4arch9wavefront6targetE1EEEvT1_
    .private_segment_fixed_size: 0
    .sgpr_count:     6
    .sgpr_spill_count: 0
    .symbol:         _ZN7rocprim17ROCPRIM_400000_NS6detail17trampoline_kernelINS0_14default_configENS1_25transform_config_selectorIlLb0EEEZNS1_14transform_implILb0ES3_S5_NS0_18transform_iteratorINS0_17counting_iteratorImlEEZNS1_24adjacent_difference_implIS3_Lb1ELb0EPlSB_ZN2at6native12_GLOBAL__N_124unique_dim_cuda_templateIlEESt5tupleIJNSC_6TensorESH_SH_EERKSH_lbbbEUlllE1_EE10hipError_tPvRmT2_T3_mT4_P12ihipStream_tbEUlmE_lEESB_NS0_8identityIvEEEESM_SP_SQ_mSR_ST_bEUlT_E_NS1_11comp_targetILNS1_3genE9ELNS1_11target_archE1100ELNS1_3gpuE3ELNS1_3repE0EEENS1_30default_config_static_selectorELNS0_4arch9wavefront6targetE1EEEvT1_.kd
    .uniform_work_group_size: 1
    .uses_dynamic_stack: false
    .vgpr_count:     0
    .vgpr_spill_count: 0
    .wavefront_size: 64
  - .agpr_count:     0
    .args:
      - .offset:         0
        .size:           56
        .value_kind:     by_value
    .group_segment_fixed_size: 0
    .kernarg_segment_align: 8
    .kernarg_segment_size: 56
    .language:       OpenCL C
    .language_version:
      - 2
      - 0
    .max_flat_workgroup_size: 512
    .name:           _ZN7rocprim17ROCPRIM_400000_NS6detail17trampoline_kernelINS0_14default_configENS1_25transform_config_selectorIlLb0EEEZNS1_14transform_implILb0ES3_S5_NS0_18transform_iteratorINS0_17counting_iteratorImlEEZNS1_24adjacent_difference_implIS3_Lb1ELb0EPlSB_ZN2at6native12_GLOBAL__N_124unique_dim_cuda_templateIlEESt5tupleIJNSC_6TensorESH_SH_EERKSH_lbbbEUlllE1_EE10hipError_tPvRmT2_T3_mT4_P12ihipStream_tbEUlmE_lEESB_NS0_8identityIvEEEESM_SP_SQ_mSR_ST_bEUlT_E_NS1_11comp_targetILNS1_3genE8ELNS1_11target_archE1030ELNS1_3gpuE2ELNS1_3repE0EEENS1_30default_config_static_selectorELNS0_4arch9wavefront6targetE1EEEvT1_
    .private_segment_fixed_size: 0
    .sgpr_count:     6
    .sgpr_spill_count: 0
    .symbol:         _ZN7rocprim17ROCPRIM_400000_NS6detail17trampoline_kernelINS0_14default_configENS1_25transform_config_selectorIlLb0EEEZNS1_14transform_implILb0ES3_S5_NS0_18transform_iteratorINS0_17counting_iteratorImlEEZNS1_24adjacent_difference_implIS3_Lb1ELb0EPlSB_ZN2at6native12_GLOBAL__N_124unique_dim_cuda_templateIlEESt5tupleIJNSC_6TensorESH_SH_EERKSH_lbbbEUlllE1_EE10hipError_tPvRmT2_T3_mT4_P12ihipStream_tbEUlmE_lEESB_NS0_8identityIvEEEESM_SP_SQ_mSR_ST_bEUlT_E_NS1_11comp_targetILNS1_3genE8ELNS1_11target_archE1030ELNS1_3gpuE2ELNS1_3repE0EEENS1_30default_config_static_selectorELNS0_4arch9wavefront6targetE1EEEvT1_.kd
    .uniform_work_group_size: 1
    .uses_dynamic_stack: false
    .vgpr_count:     0
    .vgpr_spill_count: 0
    .wavefront_size: 64
  - .agpr_count:     0
    .args:
      - .offset:         0
        .size:           64
        .value_kind:     by_value
    .group_segment_fixed_size: 8448
    .kernarg_segment_align: 8
    .kernarg_segment_size: 64
    .language:       OpenCL C
    .language_version:
      - 2
      - 0
    .max_flat_workgroup_size: 512
    .name:           _ZN7rocprim17ROCPRIM_400000_NS6detail17trampoline_kernelINS0_14default_configENS1_35adjacent_difference_config_selectorILb1ElEEZNS1_24adjacent_difference_implIS3_Lb1ELb0EPlS7_ZN2at6native12_GLOBAL__N_124unique_dim_cuda_templateIlEESt5tupleIJNS8_6TensorESD_SD_EERKSD_lbbbEUlllE1_EE10hipError_tPvRmT2_T3_mT4_P12ihipStream_tbEUlT_E_NS1_11comp_targetILNS1_3genE0ELNS1_11target_archE4294967295ELNS1_3gpuE0ELNS1_3repE0EEENS1_30default_config_static_selectorELNS0_4arch9wavefront6targetE1EEEvT1_
    .private_segment_fixed_size: 0
    .sgpr_count:     42
    .sgpr_spill_count: 0
    .symbol:         _ZN7rocprim17ROCPRIM_400000_NS6detail17trampoline_kernelINS0_14default_configENS1_35adjacent_difference_config_selectorILb1ElEEZNS1_24adjacent_difference_implIS3_Lb1ELb0EPlS7_ZN2at6native12_GLOBAL__N_124unique_dim_cuda_templateIlEESt5tupleIJNS8_6TensorESD_SD_EERKSD_lbbbEUlllE1_EE10hipError_tPvRmT2_T3_mT4_P12ihipStream_tbEUlT_E_NS1_11comp_targetILNS1_3genE0ELNS1_11target_archE4294967295ELNS1_3gpuE0ELNS1_3repE0EEENS1_30default_config_static_selectorELNS0_4arch9wavefront6targetE1EEEvT1_.kd
    .uniform_work_group_size: 1
    .uses_dynamic_stack: false
    .vgpr_count:     18
    .vgpr_spill_count: 0
    .wavefront_size: 64
  - .agpr_count:     0
    .args:
      - .offset:         0
        .size:           64
        .value_kind:     by_value
    .group_segment_fixed_size: 0
    .kernarg_segment_align: 8
    .kernarg_segment_size: 64
    .language:       OpenCL C
    .language_version:
      - 2
      - 0
    .max_flat_workgroup_size: 32
    .name:           _ZN7rocprim17ROCPRIM_400000_NS6detail17trampoline_kernelINS0_14default_configENS1_35adjacent_difference_config_selectorILb1ElEEZNS1_24adjacent_difference_implIS3_Lb1ELb0EPlS7_ZN2at6native12_GLOBAL__N_124unique_dim_cuda_templateIlEESt5tupleIJNS8_6TensorESD_SD_EERKSD_lbbbEUlllE1_EE10hipError_tPvRmT2_T3_mT4_P12ihipStream_tbEUlT_E_NS1_11comp_targetILNS1_3genE10ELNS1_11target_archE1201ELNS1_3gpuE5ELNS1_3repE0EEENS1_30default_config_static_selectorELNS0_4arch9wavefront6targetE1EEEvT1_
    .private_segment_fixed_size: 0
    .sgpr_count:     6
    .sgpr_spill_count: 0
    .symbol:         _ZN7rocprim17ROCPRIM_400000_NS6detail17trampoline_kernelINS0_14default_configENS1_35adjacent_difference_config_selectorILb1ElEEZNS1_24adjacent_difference_implIS3_Lb1ELb0EPlS7_ZN2at6native12_GLOBAL__N_124unique_dim_cuda_templateIlEESt5tupleIJNS8_6TensorESD_SD_EERKSD_lbbbEUlllE1_EE10hipError_tPvRmT2_T3_mT4_P12ihipStream_tbEUlT_E_NS1_11comp_targetILNS1_3genE10ELNS1_11target_archE1201ELNS1_3gpuE5ELNS1_3repE0EEENS1_30default_config_static_selectorELNS0_4arch9wavefront6targetE1EEEvT1_.kd
    .uniform_work_group_size: 1
    .uses_dynamic_stack: false
    .vgpr_count:     0
    .vgpr_spill_count: 0
    .wavefront_size: 64
  - .agpr_count:     0
    .args:
      - .offset:         0
        .size:           64
        .value_kind:     by_value
    .group_segment_fixed_size: 0
    .kernarg_segment_align: 8
    .kernarg_segment_size: 64
    .language:       OpenCL C
    .language_version:
      - 2
      - 0
    .max_flat_workgroup_size: 256
    .name:           _ZN7rocprim17ROCPRIM_400000_NS6detail17trampoline_kernelINS0_14default_configENS1_35adjacent_difference_config_selectorILb1ElEEZNS1_24adjacent_difference_implIS3_Lb1ELb0EPlS7_ZN2at6native12_GLOBAL__N_124unique_dim_cuda_templateIlEESt5tupleIJNS8_6TensorESD_SD_EERKSD_lbbbEUlllE1_EE10hipError_tPvRmT2_T3_mT4_P12ihipStream_tbEUlT_E_NS1_11comp_targetILNS1_3genE5ELNS1_11target_archE942ELNS1_3gpuE9ELNS1_3repE0EEENS1_30default_config_static_selectorELNS0_4arch9wavefront6targetE1EEEvT1_
    .private_segment_fixed_size: 0
    .sgpr_count:     6
    .sgpr_spill_count: 0
    .symbol:         _ZN7rocprim17ROCPRIM_400000_NS6detail17trampoline_kernelINS0_14default_configENS1_35adjacent_difference_config_selectorILb1ElEEZNS1_24adjacent_difference_implIS3_Lb1ELb0EPlS7_ZN2at6native12_GLOBAL__N_124unique_dim_cuda_templateIlEESt5tupleIJNS8_6TensorESD_SD_EERKSD_lbbbEUlllE1_EE10hipError_tPvRmT2_T3_mT4_P12ihipStream_tbEUlT_E_NS1_11comp_targetILNS1_3genE5ELNS1_11target_archE942ELNS1_3gpuE9ELNS1_3repE0EEENS1_30default_config_static_selectorELNS0_4arch9wavefront6targetE1EEEvT1_.kd
    .uniform_work_group_size: 1
    .uses_dynamic_stack: false
    .vgpr_count:     0
    .vgpr_spill_count: 0
    .wavefront_size: 64
  - .agpr_count:     0
    .args:
      - .offset:         0
        .size:           64
        .value_kind:     by_value
    .group_segment_fixed_size: 0
    .kernarg_segment_align: 8
    .kernarg_segment_size: 64
    .language:       OpenCL C
    .language_version:
      - 2
      - 0
    .max_flat_workgroup_size: 512
    .name:           _ZN7rocprim17ROCPRIM_400000_NS6detail17trampoline_kernelINS0_14default_configENS1_35adjacent_difference_config_selectorILb1ElEEZNS1_24adjacent_difference_implIS3_Lb1ELb0EPlS7_ZN2at6native12_GLOBAL__N_124unique_dim_cuda_templateIlEESt5tupleIJNS8_6TensorESD_SD_EERKSD_lbbbEUlllE1_EE10hipError_tPvRmT2_T3_mT4_P12ihipStream_tbEUlT_E_NS1_11comp_targetILNS1_3genE4ELNS1_11target_archE910ELNS1_3gpuE8ELNS1_3repE0EEENS1_30default_config_static_selectorELNS0_4arch9wavefront6targetE1EEEvT1_
    .private_segment_fixed_size: 0
    .sgpr_count:     6
    .sgpr_spill_count: 0
    .symbol:         _ZN7rocprim17ROCPRIM_400000_NS6detail17trampoline_kernelINS0_14default_configENS1_35adjacent_difference_config_selectorILb1ElEEZNS1_24adjacent_difference_implIS3_Lb1ELb0EPlS7_ZN2at6native12_GLOBAL__N_124unique_dim_cuda_templateIlEESt5tupleIJNS8_6TensorESD_SD_EERKSD_lbbbEUlllE1_EE10hipError_tPvRmT2_T3_mT4_P12ihipStream_tbEUlT_E_NS1_11comp_targetILNS1_3genE4ELNS1_11target_archE910ELNS1_3gpuE8ELNS1_3repE0EEENS1_30default_config_static_selectorELNS0_4arch9wavefront6targetE1EEEvT1_.kd
    .uniform_work_group_size: 1
    .uses_dynamic_stack: false
    .vgpr_count:     0
    .vgpr_spill_count: 0
    .wavefront_size: 64
  - .agpr_count:     0
    .args:
      - .offset:         0
        .size:           64
        .value_kind:     by_value
    .group_segment_fixed_size: 0
    .kernarg_segment_align: 8
    .kernarg_segment_size: 64
    .language:       OpenCL C
    .language_version:
      - 2
      - 0
    .max_flat_workgroup_size: 512
    .name:           _ZN7rocprim17ROCPRIM_400000_NS6detail17trampoline_kernelINS0_14default_configENS1_35adjacent_difference_config_selectorILb1ElEEZNS1_24adjacent_difference_implIS3_Lb1ELb0EPlS7_ZN2at6native12_GLOBAL__N_124unique_dim_cuda_templateIlEESt5tupleIJNS8_6TensorESD_SD_EERKSD_lbbbEUlllE1_EE10hipError_tPvRmT2_T3_mT4_P12ihipStream_tbEUlT_E_NS1_11comp_targetILNS1_3genE3ELNS1_11target_archE908ELNS1_3gpuE7ELNS1_3repE0EEENS1_30default_config_static_selectorELNS0_4arch9wavefront6targetE1EEEvT1_
    .private_segment_fixed_size: 0
    .sgpr_count:     6
    .sgpr_spill_count: 0
    .symbol:         _ZN7rocprim17ROCPRIM_400000_NS6detail17trampoline_kernelINS0_14default_configENS1_35adjacent_difference_config_selectorILb1ElEEZNS1_24adjacent_difference_implIS3_Lb1ELb0EPlS7_ZN2at6native12_GLOBAL__N_124unique_dim_cuda_templateIlEESt5tupleIJNS8_6TensorESD_SD_EERKSD_lbbbEUlllE1_EE10hipError_tPvRmT2_T3_mT4_P12ihipStream_tbEUlT_E_NS1_11comp_targetILNS1_3genE3ELNS1_11target_archE908ELNS1_3gpuE7ELNS1_3repE0EEENS1_30default_config_static_selectorELNS0_4arch9wavefront6targetE1EEEvT1_.kd
    .uniform_work_group_size: 1
    .uses_dynamic_stack: false
    .vgpr_count:     0
    .vgpr_spill_count: 0
    .wavefront_size: 64
  - .agpr_count:     0
    .args:
      - .offset:         0
        .size:           64
        .value_kind:     by_value
    .group_segment_fixed_size: 0
    .kernarg_segment_align: 8
    .kernarg_segment_size: 64
    .language:       OpenCL C
    .language_version:
      - 2
      - 0
    .max_flat_workgroup_size: 128
    .name:           _ZN7rocprim17ROCPRIM_400000_NS6detail17trampoline_kernelINS0_14default_configENS1_35adjacent_difference_config_selectorILb1ElEEZNS1_24adjacent_difference_implIS3_Lb1ELb0EPlS7_ZN2at6native12_GLOBAL__N_124unique_dim_cuda_templateIlEESt5tupleIJNS8_6TensorESD_SD_EERKSD_lbbbEUlllE1_EE10hipError_tPvRmT2_T3_mT4_P12ihipStream_tbEUlT_E_NS1_11comp_targetILNS1_3genE2ELNS1_11target_archE906ELNS1_3gpuE6ELNS1_3repE0EEENS1_30default_config_static_selectorELNS0_4arch9wavefront6targetE1EEEvT1_
    .private_segment_fixed_size: 0
    .sgpr_count:     6
    .sgpr_spill_count: 0
    .symbol:         _ZN7rocprim17ROCPRIM_400000_NS6detail17trampoline_kernelINS0_14default_configENS1_35adjacent_difference_config_selectorILb1ElEEZNS1_24adjacent_difference_implIS3_Lb1ELb0EPlS7_ZN2at6native12_GLOBAL__N_124unique_dim_cuda_templateIlEESt5tupleIJNS8_6TensorESD_SD_EERKSD_lbbbEUlllE1_EE10hipError_tPvRmT2_T3_mT4_P12ihipStream_tbEUlT_E_NS1_11comp_targetILNS1_3genE2ELNS1_11target_archE906ELNS1_3gpuE6ELNS1_3repE0EEENS1_30default_config_static_selectorELNS0_4arch9wavefront6targetE1EEEvT1_.kd
    .uniform_work_group_size: 1
    .uses_dynamic_stack: false
    .vgpr_count:     0
    .vgpr_spill_count: 0
    .wavefront_size: 64
  - .agpr_count:     0
    .args:
      - .offset:         0
        .size:           64
        .value_kind:     by_value
    .group_segment_fixed_size: 0
    .kernarg_segment_align: 8
    .kernarg_segment_size: 64
    .language:       OpenCL C
    .language_version:
      - 2
      - 0
    .max_flat_workgroup_size: 128
    .name:           _ZN7rocprim17ROCPRIM_400000_NS6detail17trampoline_kernelINS0_14default_configENS1_35adjacent_difference_config_selectorILb1ElEEZNS1_24adjacent_difference_implIS3_Lb1ELb0EPlS7_ZN2at6native12_GLOBAL__N_124unique_dim_cuda_templateIlEESt5tupleIJNS8_6TensorESD_SD_EERKSD_lbbbEUlllE1_EE10hipError_tPvRmT2_T3_mT4_P12ihipStream_tbEUlT_E_NS1_11comp_targetILNS1_3genE9ELNS1_11target_archE1100ELNS1_3gpuE3ELNS1_3repE0EEENS1_30default_config_static_selectorELNS0_4arch9wavefront6targetE1EEEvT1_
    .private_segment_fixed_size: 0
    .sgpr_count:     6
    .sgpr_spill_count: 0
    .symbol:         _ZN7rocprim17ROCPRIM_400000_NS6detail17trampoline_kernelINS0_14default_configENS1_35adjacent_difference_config_selectorILb1ElEEZNS1_24adjacent_difference_implIS3_Lb1ELb0EPlS7_ZN2at6native12_GLOBAL__N_124unique_dim_cuda_templateIlEESt5tupleIJNS8_6TensorESD_SD_EERKSD_lbbbEUlllE1_EE10hipError_tPvRmT2_T3_mT4_P12ihipStream_tbEUlT_E_NS1_11comp_targetILNS1_3genE9ELNS1_11target_archE1100ELNS1_3gpuE3ELNS1_3repE0EEENS1_30default_config_static_selectorELNS0_4arch9wavefront6targetE1EEEvT1_.kd
    .uniform_work_group_size: 1
    .uses_dynamic_stack: false
    .vgpr_count:     0
    .vgpr_spill_count: 0
    .wavefront_size: 64
  - .agpr_count:     0
    .args:
      - .offset:         0
        .size:           64
        .value_kind:     by_value
    .group_segment_fixed_size: 0
    .kernarg_segment_align: 8
    .kernarg_segment_size: 64
    .language:       OpenCL C
    .language_version:
      - 2
      - 0
    .max_flat_workgroup_size: 32
    .name:           _ZN7rocprim17ROCPRIM_400000_NS6detail17trampoline_kernelINS0_14default_configENS1_35adjacent_difference_config_selectorILb1ElEEZNS1_24adjacent_difference_implIS3_Lb1ELb0EPlS7_ZN2at6native12_GLOBAL__N_124unique_dim_cuda_templateIlEESt5tupleIJNS8_6TensorESD_SD_EERKSD_lbbbEUlllE1_EE10hipError_tPvRmT2_T3_mT4_P12ihipStream_tbEUlT_E_NS1_11comp_targetILNS1_3genE8ELNS1_11target_archE1030ELNS1_3gpuE2ELNS1_3repE0EEENS1_30default_config_static_selectorELNS0_4arch9wavefront6targetE1EEEvT1_
    .private_segment_fixed_size: 0
    .sgpr_count:     6
    .sgpr_spill_count: 0
    .symbol:         _ZN7rocprim17ROCPRIM_400000_NS6detail17trampoline_kernelINS0_14default_configENS1_35adjacent_difference_config_selectorILb1ElEEZNS1_24adjacent_difference_implIS3_Lb1ELb0EPlS7_ZN2at6native12_GLOBAL__N_124unique_dim_cuda_templateIlEESt5tupleIJNS8_6TensorESD_SD_EERKSD_lbbbEUlllE1_EE10hipError_tPvRmT2_T3_mT4_P12ihipStream_tbEUlT_E_NS1_11comp_targetILNS1_3genE8ELNS1_11target_archE1030ELNS1_3gpuE2ELNS1_3repE0EEENS1_30default_config_static_selectorELNS0_4arch9wavefront6targetE1EEEvT1_.kd
    .uniform_work_group_size: 1
    .uses_dynamic_stack: false
    .vgpr_count:     0
    .vgpr_spill_count: 0
    .wavefront_size: 64
  - .agpr_count:     0
    .args:
      - .offset:         0
        .size:           120
        .value_kind:     by_value
    .group_segment_fixed_size: 28680
    .kernarg_segment_align: 8
    .kernarg_segment_size: 120
    .language:       OpenCL C
    .language_version:
      - 2
      - 0
    .max_flat_workgroup_size: 512
    .name:           _ZN7rocprim17ROCPRIM_400000_NS6detail17trampoline_kernelINS0_14default_configENS1_25partition_config_selectorILNS1_17partition_subalgoE8ElNS0_10empty_typeEbEEZZNS1_14partition_implILS5_8ELb0ES3_jPlPS6_PKS6_NS0_5tupleIJS9_S6_EEENSD_IJSA_SA_EEENS0_18inequality_wrapperIZN2at6native12_GLOBAL__N_124unique_dim_cuda_templateIlEESt5tupleIJNSH_6TensorESM_SM_EERKSM_lbbbEUlllE0_EEPmJS6_EEE10hipError_tPvRmT3_T4_T5_T6_T7_T9_mT8_P12ihipStream_tbDpT10_ENKUlT_T0_E_clISt17integral_constantIbLb0EES1C_EEDaS17_S18_EUlS17_E_NS1_11comp_targetILNS1_3genE0ELNS1_11target_archE4294967295ELNS1_3gpuE0ELNS1_3repE0EEENS1_30default_config_static_selectorELNS0_4arch9wavefront6targetE1EEEvT1_
    .private_segment_fixed_size: 0
    .sgpr_count:     56
    .sgpr_spill_count: 0
    .symbol:         _ZN7rocprim17ROCPRIM_400000_NS6detail17trampoline_kernelINS0_14default_configENS1_25partition_config_selectorILNS1_17partition_subalgoE8ElNS0_10empty_typeEbEEZZNS1_14partition_implILS5_8ELb0ES3_jPlPS6_PKS6_NS0_5tupleIJS9_S6_EEENSD_IJSA_SA_EEENS0_18inequality_wrapperIZN2at6native12_GLOBAL__N_124unique_dim_cuda_templateIlEESt5tupleIJNSH_6TensorESM_SM_EERKSM_lbbbEUlllE0_EEPmJS6_EEE10hipError_tPvRmT3_T4_T5_T6_T7_T9_mT8_P12ihipStream_tbDpT10_ENKUlT_T0_E_clISt17integral_constantIbLb0EES1C_EEDaS17_S18_EUlS17_E_NS1_11comp_targetILNS1_3genE0ELNS1_11target_archE4294967295ELNS1_3gpuE0ELNS1_3repE0EEENS1_30default_config_static_selectorELNS0_4arch9wavefront6targetE1EEEvT1_.kd
    .uniform_work_group_size: 1
    .uses_dynamic_stack: false
    .vgpr_count:     58
    .vgpr_spill_count: 0
    .wavefront_size: 64
  - .agpr_count:     0
    .args:
      - .offset:         0
        .size:           120
        .value_kind:     by_value
    .group_segment_fixed_size: 0
    .kernarg_segment_align: 8
    .kernarg_segment_size: 120
    .language:       OpenCL C
    .language_version:
      - 2
      - 0
    .max_flat_workgroup_size: 512
    .name:           _ZN7rocprim17ROCPRIM_400000_NS6detail17trampoline_kernelINS0_14default_configENS1_25partition_config_selectorILNS1_17partition_subalgoE8ElNS0_10empty_typeEbEEZZNS1_14partition_implILS5_8ELb0ES3_jPlPS6_PKS6_NS0_5tupleIJS9_S6_EEENSD_IJSA_SA_EEENS0_18inequality_wrapperIZN2at6native12_GLOBAL__N_124unique_dim_cuda_templateIlEESt5tupleIJNSH_6TensorESM_SM_EERKSM_lbbbEUlllE0_EEPmJS6_EEE10hipError_tPvRmT3_T4_T5_T6_T7_T9_mT8_P12ihipStream_tbDpT10_ENKUlT_T0_E_clISt17integral_constantIbLb0EES1C_EEDaS17_S18_EUlS17_E_NS1_11comp_targetILNS1_3genE5ELNS1_11target_archE942ELNS1_3gpuE9ELNS1_3repE0EEENS1_30default_config_static_selectorELNS0_4arch9wavefront6targetE1EEEvT1_
    .private_segment_fixed_size: 0
    .sgpr_count:     6
    .sgpr_spill_count: 0
    .symbol:         _ZN7rocprim17ROCPRIM_400000_NS6detail17trampoline_kernelINS0_14default_configENS1_25partition_config_selectorILNS1_17partition_subalgoE8ElNS0_10empty_typeEbEEZZNS1_14partition_implILS5_8ELb0ES3_jPlPS6_PKS6_NS0_5tupleIJS9_S6_EEENSD_IJSA_SA_EEENS0_18inequality_wrapperIZN2at6native12_GLOBAL__N_124unique_dim_cuda_templateIlEESt5tupleIJNSH_6TensorESM_SM_EERKSM_lbbbEUlllE0_EEPmJS6_EEE10hipError_tPvRmT3_T4_T5_T6_T7_T9_mT8_P12ihipStream_tbDpT10_ENKUlT_T0_E_clISt17integral_constantIbLb0EES1C_EEDaS17_S18_EUlS17_E_NS1_11comp_targetILNS1_3genE5ELNS1_11target_archE942ELNS1_3gpuE9ELNS1_3repE0EEENS1_30default_config_static_selectorELNS0_4arch9wavefront6targetE1EEEvT1_.kd
    .uniform_work_group_size: 1
    .uses_dynamic_stack: false
    .vgpr_count:     0
    .vgpr_spill_count: 0
    .wavefront_size: 64
  - .agpr_count:     0
    .args:
      - .offset:         0
        .size:           120
        .value_kind:     by_value
    .group_segment_fixed_size: 0
    .kernarg_segment_align: 8
    .kernarg_segment_size: 120
    .language:       OpenCL C
    .language_version:
      - 2
      - 0
    .max_flat_workgroup_size: 256
    .name:           _ZN7rocprim17ROCPRIM_400000_NS6detail17trampoline_kernelINS0_14default_configENS1_25partition_config_selectorILNS1_17partition_subalgoE8ElNS0_10empty_typeEbEEZZNS1_14partition_implILS5_8ELb0ES3_jPlPS6_PKS6_NS0_5tupleIJS9_S6_EEENSD_IJSA_SA_EEENS0_18inequality_wrapperIZN2at6native12_GLOBAL__N_124unique_dim_cuda_templateIlEESt5tupleIJNSH_6TensorESM_SM_EERKSM_lbbbEUlllE0_EEPmJS6_EEE10hipError_tPvRmT3_T4_T5_T6_T7_T9_mT8_P12ihipStream_tbDpT10_ENKUlT_T0_E_clISt17integral_constantIbLb0EES1C_EEDaS17_S18_EUlS17_E_NS1_11comp_targetILNS1_3genE4ELNS1_11target_archE910ELNS1_3gpuE8ELNS1_3repE0EEENS1_30default_config_static_selectorELNS0_4arch9wavefront6targetE1EEEvT1_
    .private_segment_fixed_size: 0
    .sgpr_count:     6
    .sgpr_spill_count: 0
    .symbol:         _ZN7rocprim17ROCPRIM_400000_NS6detail17trampoline_kernelINS0_14default_configENS1_25partition_config_selectorILNS1_17partition_subalgoE8ElNS0_10empty_typeEbEEZZNS1_14partition_implILS5_8ELb0ES3_jPlPS6_PKS6_NS0_5tupleIJS9_S6_EEENSD_IJSA_SA_EEENS0_18inequality_wrapperIZN2at6native12_GLOBAL__N_124unique_dim_cuda_templateIlEESt5tupleIJNSH_6TensorESM_SM_EERKSM_lbbbEUlllE0_EEPmJS6_EEE10hipError_tPvRmT3_T4_T5_T6_T7_T9_mT8_P12ihipStream_tbDpT10_ENKUlT_T0_E_clISt17integral_constantIbLb0EES1C_EEDaS17_S18_EUlS17_E_NS1_11comp_targetILNS1_3genE4ELNS1_11target_archE910ELNS1_3gpuE8ELNS1_3repE0EEENS1_30default_config_static_selectorELNS0_4arch9wavefront6targetE1EEEvT1_.kd
    .uniform_work_group_size: 1
    .uses_dynamic_stack: false
    .vgpr_count:     0
    .vgpr_spill_count: 0
    .wavefront_size: 64
  - .agpr_count:     0
    .args:
      - .offset:         0
        .size:           120
        .value_kind:     by_value
    .group_segment_fixed_size: 0
    .kernarg_segment_align: 8
    .kernarg_segment_size: 120
    .language:       OpenCL C
    .language_version:
      - 2
      - 0
    .max_flat_workgroup_size: 512
    .name:           _ZN7rocprim17ROCPRIM_400000_NS6detail17trampoline_kernelINS0_14default_configENS1_25partition_config_selectorILNS1_17partition_subalgoE8ElNS0_10empty_typeEbEEZZNS1_14partition_implILS5_8ELb0ES3_jPlPS6_PKS6_NS0_5tupleIJS9_S6_EEENSD_IJSA_SA_EEENS0_18inequality_wrapperIZN2at6native12_GLOBAL__N_124unique_dim_cuda_templateIlEESt5tupleIJNSH_6TensorESM_SM_EERKSM_lbbbEUlllE0_EEPmJS6_EEE10hipError_tPvRmT3_T4_T5_T6_T7_T9_mT8_P12ihipStream_tbDpT10_ENKUlT_T0_E_clISt17integral_constantIbLb0EES1C_EEDaS17_S18_EUlS17_E_NS1_11comp_targetILNS1_3genE3ELNS1_11target_archE908ELNS1_3gpuE7ELNS1_3repE0EEENS1_30default_config_static_selectorELNS0_4arch9wavefront6targetE1EEEvT1_
    .private_segment_fixed_size: 0
    .sgpr_count:     6
    .sgpr_spill_count: 0
    .symbol:         _ZN7rocprim17ROCPRIM_400000_NS6detail17trampoline_kernelINS0_14default_configENS1_25partition_config_selectorILNS1_17partition_subalgoE8ElNS0_10empty_typeEbEEZZNS1_14partition_implILS5_8ELb0ES3_jPlPS6_PKS6_NS0_5tupleIJS9_S6_EEENSD_IJSA_SA_EEENS0_18inequality_wrapperIZN2at6native12_GLOBAL__N_124unique_dim_cuda_templateIlEESt5tupleIJNSH_6TensorESM_SM_EERKSM_lbbbEUlllE0_EEPmJS6_EEE10hipError_tPvRmT3_T4_T5_T6_T7_T9_mT8_P12ihipStream_tbDpT10_ENKUlT_T0_E_clISt17integral_constantIbLb0EES1C_EEDaS17_S18_EUlS17_E_NS1_11comp_targetILNS1_3genE3ELNS1_11target_archE908ELNS1_3gpuE7ELNS1_3repE0EEENS1_30default_config_static_selectorELNS0_4arch9wavefront6targetE1EEEvT1_.kd
    .uniform_work_group_size: 1
    .uses_dynamic_stack: false
    .vgpr_count:     0
    .vgpr_spill_count: 0
    .wavefront_size: 64
  - .agpr_count:     0
    .args:
      - .offset:         0
        .size:           120
        .value_kind:     by_value
    .group_segment_fixed_size: 0
    .kernarg_segment_align: 8
    .kernarg_segment_size: 120
    .language:       OpenCL C
    .language_version:
      - 2
      - 0
    .max_flat_workgroup_size: 256
    .name:           _ZN7rocprim17ROCPRIM_400000_NS6detail17trampoline_kernelINS0_14default_configENS1_25partition_config_selectorILNS1_17partition_subalgoE8ElNS0_10empty_typeEbEEZZNS1_14partition_implILS5_8ELb0ES3_jPlPS6_PKS6_NS0_5tupleIJS9_S6_EEENSD_IJSA_SA_EEENS0_18inequality_wrapperIZN2at6native12_GLOBAL__N_124unique_dim_cuda_templateIlEESt5tupleIJNSH_6TensorESM_SM_EERKSM_lbbbEUlllE0_EEPmJS6_EEE10hipError_tPvRmT3_T4_T5_T6_T7_T9_mT8_P12ihipStream_tbDpT10_ENKUlT_T0_E_clISt17integral_constantIbLb0EES1C_EEDaS17_S18_EUlS17_E_NS1_11comp_targetILNS1_3genE2ELNS1_11target_archE906ELNS1_3gpuE6ELNS1_3repE0EEENS1_30default_config_static_selectorELNS0_4arch9wavefront6targetE1EEEvT1_
    .private_segment_fixed_size: 0
    .sgpr_count:     6
    .sgpr_spill_count: 0
    .symbol:         _ZN7rocprim17ROCPRIM_400000_NS6detail17trampoline_kernelINS0_14default_configENS1_25partition_config_selectorILNS1_17partition_subalgoE8ElNS0_10empty_typeEbEEZZNS1_14partition_implILS5_8ELb0ES3_jPlPS6_PKS6_NS0_5tupleIJS9_S6_EEENSD_IJSA_SA_EEENS0_18inequality_wrapperIZN2at6native12_GLOBAL__N_124unique_dim_cuda_templateIlEESt5tupleIJNSH_6TensorESM_SM_EERKSM_lbbbEUlllE0_EEPmJS6_EEE10hipError_tPvRmT3_T4_T5_T6_T7_T9_mT8_P12ihipStream_tbDpT10_ENKUlT_T0_E_clISt17integral_constantIbLb0EES1C_EEDaS17_S18_EUlS17_E_NS1_11comp_targetILNS1_3genE2ELNS1_11target_archE906ELNS1_3gpuE6ELNS1_3repE0EEENS1_30default_config_static_selectorELNS0_4arch9wavefront6targetE1EEEvT1_.kd
    .uniform_work_group_size: 1
    .uses_dynamic_stack: false
    .vgpr_count:     0
    .vgpr_spill_count: 0
    .wavefront_size: 64
  - .agpr_count:     0
    .args:
      - .offset:         0
        .size:           120
        .value_kind:     by_value
    .group_segment_fixed_size: 0
    .kernarg_segment_align: 8
    .kernarg_segment_size: 120
    .language:       OpenCL C
    .language_version:
      - 2
      - 0
    .max_flat_workgroup_size: 384
    .name:           _ZN7rocprim17ROCPRIM_400000_NS6detail17trampoline_kernelINS0_14default_configENS1_25partition_config_selectorILNS1_17partition_subalgoE8ElNS0_10empty_typeEbEEZZNS1_14partition_implILS5_8ELb0ES3_jPlPS6_PKS6_NS0_5tupleIJS9_S6_EEENSD_IJSA_SA_EEENS0_18inequality_wrapperIZN2at6native12_GLOBAL__N_124unique_dim_cuda_templateIlEESt5tupleIJNSH_6TensorESM_SM_EERKSM_lbbbEUlllE0_EEPmJS6_EEE10hipError_tPvRmT3_T4_T5_T6_T7_T9_mT8_P12ihipStream_tbDpT10_ENKUlT_T0_E_clISt17integral_constantIbLb0EES1C_EEDaS17_S18_EUlS17_E_NS1_11comp_targetILNS1_3genE10ELNS1_11target_archE1200ELNS1_3gpuE4ELNS1_3repE0EEENS1_30default_config_static_selectorELNS0_4arch9wavefront6targetE1EEEvT1_
    .private_segment_fixed_size: 0
    .sgpr_count:     6
    .sgpr_spill_count: 0
    .symbol:         _ZN7rocprim17ROCPRIM_400000_NS6detail17trampoline_kernelINS0_14default_configENS1_25partition_config_selectorILNS1_17partition_subalgoE8ElNS0_10empty_typeEbEEZZNS1_14partition_implILS5_8ELb0ES3_jPlPS6_PKS6_NS0_5tupleIJS9_S6_EEENSD_IJSA_SA_EEENS0_18inequality_wrapperIZN2at6native12_GLOBAL__N_124unique_dim_cuda_templateIlEESt5tupleIJNSH_6TensorESM_SM_EERKSM_lbbbEUlllE0_EEPmJS6_EEE10hipError_tPvRmT3_T4_T5_T6_T7_T9_mT8_P12ihipStream_tbDpT10_ENKUlT_T0_E_clISt17integral_constantIbLb0EES1C_EEDaS17_S18_EUlS17_E_NS1_11comp_targetILNS1_3genE10ELNS1_11target_archE1200ELNS1_3gpuE4ELNS1_3repE0EEENS1_30default_config_static_selectorELNS0_4arch9wavefront6targetE1EEEvT1_.kd
    .uniform_work_group_size: 1
    .uses_dynamic_stack: false
    .vgpr_count:     0
    .vgpr_spill_count: 0
    .wavefront_size: 64
  - .agpr_count:     0
    .args:
      - .offset:         0
        .size:           120
        .value_kind:     by_value
    .group_segment_fixed_size: 0
    .kernarg_segment_align: 8
    .kernarg_segment_size: 120
    .language:       OpenCL C
    .language_version:
      - 2
      - 0
    .max_flat_workgroup_size: 512
    .name:           _ZN7rocprim17ROCPRIM_400000_NS6detail17trampoline_kernelINS0_14default_configENS1_25partition_config_selectorILNS1_17partition_subalgoE8ElNS0_10empty_typeEbEEZZNS1_14partition_implILS5_8ELb0ES3_jPlPS6_PKS6_NS0_5tupleIJS9_S6_EEENSD_IJSA_SA_EEENS0_18inequality_wrapperIZN2at6native12_GLOBAL__N_124unique_dim_cuda_templateIlEESt5tupleIJNSH_6TensorESM_SM_EERKSM_lbbbEUlllE0_EEPmJS6_EEE10hipError_tPvRmT3_T4_T5_T6_T7_T9_mT8_P12ihipStream_tbDpT10_ENKUlT_T0_E_clISt17integral_constantIbLb0EES1C_EEDaS17_S18_EUlS17_E_NS1_11comp_targetILNS1_3genE9ELNS1_11target_archE1100ELNS1_3gpuE3ELNS1_3repE0EEENS1_30default_config_static_selectorELNS0_4arch9wavefront6targetE1EEEvT1_
    .private_segment_fixed_size: 0
    .sgpr_count:     6
    .sgpr_spill_count: 0
    .symbol:         _ZN7rocprim17ROCPRIM_400000_NS6detail17trampoline_kernelINS0_14default_configENS1_25partition_config_selectorILNS1_17partition_subalgoE8ElNS0_10empty_typeEbEEZZNS1_14partition_implILS5_8ELb0ES3_jPlPS6_PKS6_NS0_5tupleIJS9_S6_EEENSD_IJSA_SA_EEENS0_18inequality_wrapperIZN2at6native12_GLOBAL__N_124unique_dim_cuda_templateIlEESt5tupleIJNSH_6TensorESM_SM_EERKSM_lbbbEUlllE0_EEPmJS6_EEE10hipError_tPvRmT3_T4_T5_T6_T7_T9_mT8_P12ihipStream_tbDpT10_ENKUlT_T0_E_clISt17integral_constantIbLb0EES1C_EEDaS17_S18_EUlS17_E_NS1_11comp_targetILNS1_3genE9ELNS1_11target_archE1100ELNS1_3gpuE3ELNS1_3repE0EEENS1_30default_config_static_selectorELNS0_4arch9wavefront6targetE1EEEvT1_.kd
    .uniform_work_group_size: 1
    .uses_dynamic_stack: false
    .vgpr_count:     0
    .vgpr_spill_count: 0
    .wavefront_size: 64
  - .agpr_count:     0
    .args:
      - .offset:         0
        .size:           120
        .value_kind:     by_value
    .group_segment_fixed_size: 0
    .kernarg_segment_align: 8
    .kernarg_segment_size: 120
    .language:       OpenCL C
    .language_version:
      - 2
      - 0
    .max_flat_workgroup_size: 512
    .name:           _ZN7rocprim17ROCPRIM_400000_NS6detail17trampoline_kernelINS0_14default_configENS1_25partition_config_selectorILNS1_17partition_subalgoE8ElNS0_10empty_typeEbEEZZNS1_14partition_implILS5_8ELb0ES3_jPlPS6_PKS6_NS0_5tupleIJS9_S6_EEENSD_IJSA_SA_EEENS0_18inequality_wrapperIZN2at6native12_GLOBAL__N_124unique_dim_cuda_templateIlEESt5tupleIJNSH_6TensorESM_SM_EERKSM_lbbbEUlllE0_EEPmJS6_EEE10hipError_tPvRmT3_T4_T5_T6_T7_T9_mT8_P12ihipStream_tbDpT10_ENKUlT_T0_E_clISt17integral_constantIbLb0EES1C_EEDaS17_S18_EUlS17_E_NS1_11comp_targetILNS1_3genE8ELNS1_11target_archE1030ELNS1_3gpuE2ELNS1_3repE0EEENS1_30default_config_static_selectorELNS0_4arch9wavefront6targetE1EEEvT1_
    .private_segment_fixed_size: 0
    .sgpr_count:     6
    .sgpr_spill_count: 0
    .symbol:         _ZN7rocprim17ROCPRIM_400000_NS6detail17trampoline_kernelINS0_14default_configENS1_25partition_config_selectorILNS1_17partition_subalgoE8ElNS0_10empty_typeEbEEZZNS1_14partition_implILS5_8ELb0ES3_jPlPS6_PKS6_NS0_5tupleIJS9_S6_EEENSD_IJSA_SA_EEENS0_18inequality_wrapperIZN2at6native12_GLOBAL__N_124unique_dim_cuda_templateIlEESt5tupleIJNSH_6TensorESM_SM_EERKSM_lbbbEUlllE0_EEPmJS6_EEE10hipError_tPvRmT3_T4_T5_T6_T7_T9_mT8_P12ihipStream_tbDpT10_ENKUlT_T0_E_clISt17integral_constantIbLb0EES1C_EEDaS17_S18_EUlS17_E_NS1_11comp_targetILNS1_3genE8ELNS1_11target_archE1030ELNS1_3gpuE2ELNS1_3repE0EEENS1_30default_config_static_selectorELNS0_4arch9wavefront6targetE1EEEvT1_.kd
    .uniform_work_group_size: 1
    .uses_dynamic_stack: false
    .vgpr_count:     0
    .vgpr_spill_count: 0
    .wavefront_size: 64
  - .agpr_count:     0
    .args:
      - .offset:         0
        .size:           136
        .value_kind:     by_value
    .group_segment_fixed_size: 0
    .kernarg_segment_align: 8
    .kernarg_segment_size: 136
    .language:       OpenCL C
    .language_version:
      - 2
      - 0
    .max_flat_workgroup_size: 512
    .name:           _ZN7rocprim17ROCPRIM_400000_NS6detail17trampoline_kernelINS0_14default_configENS1_25partition_config_selectorILNS1_17partition_subalgoE8ElNS0_10empty_typeEbEEZZNS1_14partition_implILS5_8ELb0ES3_jPlPS6_PKS6_NS0_5tupleIJS9_S6_EEENSD_IJSA_SA_EEENS0_18inequality_wrapperIZN2at6native12_GLOBAL__N_124unique_dim_cuda_templateIlEESt5tupleIJNSH_6TensorESM_SM_EERKSM_lbbbEUlllE0_EEPmJS6_EEE10hipError_tPvRmT3_T4_T5_T6_T7_T9_mT8_P12ihipStream_tbDpT10_ENKUlT_T0_E_clISt17integral_constantIbLb1EES1C_EEDaS17_S18_EUlS17_E_NS1_11comp_targetILNS1_3genE0ELNS1_11target_archE4294967295ELNS1_3gpuE0ELNS1_3repE0EEENS1_30default_config_static_selectorELNS0_4arch9wavefront6targetE1EEEvT1_
    .private_segment_fixed_size: 0
    .sgpr_count:     6
    .sgpr_spill_count: 0
    .symbol:         _ZN7rocprim17ROCPRIM_400000_NS6detail17trampoline_kernelINS0_14default_configENS1_25partition_config_selectorILNS1_17partition_subalgoE8ElNS0_10empty_typeEbEEZZNS1_14partition_implILS5_8ELb0ES3_jPlPS6_PKS6_NS0_5tupleIJS9_S6_EEENSD_IJSA_SA_EEENS0_18inequality_wrapperIZN2at6native12_GLOBAL__N_124unique_dim_cuda_templateIlEESt5tupleIJNSH_6TensorESM_SM_EERKSM_lbbbEUlllE0_EEPmJS6_EEE10hipError_tPvRmT3_T4_T5_T6_T7_T9_mT8_P12ihipStream_tbDpT10_ENKUlT_T0_E_clISt17integral_constantIbLb1EES1C_EEDaS17_S18_EUlS17_E_NS1_11comp_targetILNS1_3genE0ELNS1_11target_archE4294967295ELNS1_3gpuE0ELNS1_3repE0EEENS1_30default_config_static_selectorELNS0_4arch9wavefront6targetE1EEEvT1_.kd
    .uniform_work_group_size: 1
    .uses_dynamic_stack: false
    .vgpr_count:     0
    .vgpr_spill_count: 0
    .wavefront_size: 64
  - .agpr_count:     0
    .args:
      - .offset:         0
        .size:           136
        .value_kind:     by_value
    .group_segment_fixed_size: 0
    .kernarg_segment_align: 8
    .kernarg_segment_size: 136
    .language:       OpenCL C
    .language_version:
      - 2
      - 0
    .max_flat_workgroup_size: 512
    .name:           _ZN7rocprim17ROCPRIM_400000_NS6detail17trampoline_kernelINS0_14default_configENS1_25partition_config_selectorILNS1_17partition_subalgoE8ElNS0_10empty_typeEbEEZZNS1_14partition_implILS5_8ELb0ES3_jPlPS6_PKS6_NS0_5tupleIJS9_S6_EEENSD_IJSA_SA_EEENS0_18inequality_wrapperIZN2at6native12_GLOBAL__N_124unique_dim_cuda_templateIlEESt5tupleIJNSH_6TensorESM_SM_EERKSM_lbbbEUlllE0_EEPmJS6_EEE10hipError_tPvRmT3_T4_T5_T6_T7_T9_mT8_P12ihipStream_tbDpT10_ENKUlT_T0_E_clISt17integral_constantIbLb1EES1C_EEDaS17_S18_EUlS17_E_NS1_11comp_targetILNS1_3genE5ELNS1_11target_archE942ELNS1_3gpuE9ELNS1_3repE0EEENS1_30default_config_static_selectorELNS0_4arch9wavefront6targetE1EEEvT1_
    .private_segment_fixed_size: 0
    .sgpr_count:     6
    .sgpr_spill_count: 0
    .symbol:         _ZN7rocprim17ROCPRIM_400000_NS6detail17trampoline_kernelINS0_14default_configENS1_25partition_config_selectorILNS1_17partition_subalgoE8ElNS0_10empty_typeEbEEZZNS1_14partition_implILS5_8ELb0ES3_jPlPS6_PKS6_NS0_5tupleIJS9_S6_EEENSD_IJSA_SA_EEENS0_18inequality_wrapperIZN2at6native12_GLOBAL__N_124unique_dim_cuda_templateIlEESt5tupleIJNSH_6TensorESM_SM_EERKSM_lbbbEUlllE0_EEPmJS6_EEE10hipError_tPvRmT3_T4_T5_T6_T7_T9_mT8_P12ihipStream_tbDpT10_ENKUlT_T0_E_clISt17integral_constantIbLb1EES1C_EEDaS17_S18_EUlS17_E_NS1_11comp_targetILNS1_3genE5ELNS1_11target_archE942ELNS1_3gpuE9ELNS1_3repE0EEENS1_30default_config_static_selectorELNS0_4arch9wavefront6targetE1EEEvT1_.kd
    .uniform_work_group_size: 1
    .uses_dynamic_stack: false
    .vgpr_count:     0
    .vgpr_spill_count: 0
    .wavefront_size: 64
  - .agpr_count:     0
    .args:
      - .offset:         0
        .size:           136
        .value_kind:     by_value
    .group_segment_fixed_size: 0
    .kernarg_segment_align: 8
    .kernarg_segment_size: 136
    .language:       OpenCL C
    .language_version:
      - 2
      - 0
    .max_flat_workgroup_size: 256
    .name:           _ZN7rocprim17ROCPRIM_400000_NS6detail17trampoline_kernelINS0_14default_configENS1_25partition_config_selectorILNS1_17partition_subalgoE8ElNS0_10empty_typeEbEEZZNS1_14partition_implILS5_8ELb0ES3_jPlPS6_PKS6_NS0_5tupleIJS9_S6_EEENSD_IJSA_SA_EEENS0_18inequality_wrapperIZN2at6native12_GLOBAL__N_124unique_dim_cuda_templateIlEESt5tupleIJNSH_6TensorESM_SM_EERKSM_lbbbEUlllE0_EEPmJS6_EEE10hipError_tPvRmT3_T4_T5_T6_T7_T9_mT8_P12ihipStream_tbDpT10_ENKUlT_T0_E_clISt17integral_constantIbLb1EES1C_EEDaS17_S18_EUlS17_E_NS1_11comp_targetILNS1_3genE4ELNS1_11target_archE910ELNS1_3gpuE8ELNS1_3repE0EEENS1_30default_config_static_selectorELNS0_4arch9wavefront6targetE1EEEvT1_
    .private_segment_fixed_size: 0
    .sgpr_count:     6
    .sgpr_spill_count: 0
    .symbol:         _ZN7rocprim17ROCPRIM_400000_NS6detail17trampoline_kernelINS0_14default_configENS1_25partition_config_selectorILNS1_17partition_subalgoE8ElNS0_10empty_typeEbEEZZNS1_14partition_implILS5_8ELb0ES3_jPlPS6_PKS6_NS0_5tupleIJS9_S6_EEENSD_IJSA_SA_EEENS0_18inequality_wrapperIZN2at6native12_GLOBAL__N_124unique_dim_cuda_templateIlEESt5tupleIJNSH_6TensorESM_SM_EERKSM_lbbbEUlllE0_EEPmJS6_EEE10hipError_tPvRmT3_T4_T5_T6_T7_T9_mT8_P12ihipStream_tbDpT10_ENKUlT_T0_E_clISt17integral_constantIbLb1EES1C_EEDaS17_S18_EUlS17_E_NS1_11comp_targetILNS1_3genE4ELNS1_11target_archE910ELNS1_3gpuE8ELNS1_3repE0EEENS1_30default_config_static_selectorELNS0_4arch9wavefront6targetE1EEEvT1_.kd
    .uniform_work_group_size: 1
    .uses_dynamic_stack: false
    .vgpr_count:     0
    .vgpr_spill_count: 0
    .wavefront_size: 64
  - .agpr_count:     0
    .args:
      - .offset:         0
        .size:           136
        .value_kind:     by_value
    .group_segment_fixed_size: 0
    .kernarg_segment_align: 8
    .kernarg_segment_size: 136
    .language:       OpenCL C
    .language_version:
      - 2
      - 0
    .max_flat_workgroup_size: 512
    .name:           _ZN7rocprim17ROCPRIM_400000_NS6detail17trampoline_kernelINS0_14default_configENS1_25partition_config_selectorILNS1_17partition_subalgoE8ElNS0_10empty_typeEbEEZZNS1_14partition_implILS5_8ELb0ES3_jPlPS6_PKS6_NS0_5tupleIJS9_S6_EEENSD_IJSA_SA_EEENS0_18inequality_wrapperIZN2at6native12_GLOBAL__N_124unique_dim_cuda_templateIlEESt5tupleIJNSH_6TensorESM_SM_EERKSM_lbbbEUlllE0_EEPmJS6_EEE10hipError_tPvRmT3_T4_T5_T6_T7_T9_mT8_P12ihipStream_tbDpT10_ENKUlT_T0_E_clISt17integral_constantIbLb1EES1C_EEDaS17_S18_EUlS17_E_NS1_11comp_targetILNS1_3genE3ELNS1_11target_archE908ELNS1_3gpuE7ELNS1_3repE0EEENS1_30default_config_static_selectorELNS0_4arch9wavefront6targetE1EEEvT1_
    .private_segment_fixed_size: 0
    .sgpr_count:     6
    .sgpr_spill_count: 0
    .symbol:         _ZN7rocprim17ROCPRIM_400000_NS6detail17trampoline_kernelINS0_14default_configENS1_25partition_config_selectorILNS1_17partition_subalgoE8ElNS0_10empty_typeEbEEZZNS1_14partition_implILS5_8ELb0ES3_jPlPS6_PKS6_NS0_5tupleIJS9_S6_EEENSD_IJSA_SA_EEENS0_18inequality_wrapperIZN2at6native12_GLOBAL__N_124unique_dim_cuda_templateIlEESt5tupleIJNSH_6TensorESM_SM_EERKSM_lbbbEUlllE0_EEPmJS6_EEE10hipError_tPvRmT3_T4_T5_T6_T7_T9_mT8_P12ihipStream_tbDpT10_ENKUlT_T0_E_clISt17integral_constantIbLb1EES1C_EEDaS17_S18_EUlS17_E_NS1_11comp_targetILNS1_3genE3ELNS1_11target_archE908ELNS1_3gpuE7ELNS1_3repE0EEENS1_30default_config_static_selectorELNS0_4arch9wavefront6targetE1EEEvT1_.kd
    .uniform_work_group_size: 1
    .uses_dynamic_stack: false
    .vgpr_count:     0
    .vgpr_spill_count: 0
    .wavefront_size: 64
  - .agpr_count:     0
    .args:
      - .offset:         0
        .size:           136
        .value_kind:     by_value
    .group_segment_fixed_size: 0
    .kernarg_segment_align: 8
    .kernarg_segment_size: 136
    .language:       OpenCL C
    .language_version:
      - 2
      - 0
    .max_flat_workgroup_size: 256
    .name:           _ZN7rocprim17ROCPRIM_400000_NS6detail17trampoline_kernelINS0_14default_configENS1_25partition_config_selectorILNS1_17partition_subalgoE8ElNS0_10empty_typeEbEEZZNS1_14partition_implILS5_8ELb0ES3_jPlPS6_PKS6_NS0_5tupleIJS9_S6_EEENSD_IJSA_SA_EEENS0_18inequality_wrapperIZN2at6native12_GLOBAL__N_124unique_dim_cuda_templateIlEESt5tupleIJNSH_6TensorESM_SM_EERKSM_lbbbEUlllE0_EEPmJS6_EEE10hipError_tPvRmT3_T4_T5_T6_T7_T9_mT8_P12ihipStream_tbDpT10_ENKUlT_T0_E_clISt17integral_constantIbLb1EES1C_EEDaS17_S18_EUlS17_E_NS1_11comp_targetILNS1_3genE2ELNS1_11target_archE906ELNS1_3gpuE6ELNS1_3repE0EEENS1_30default_config_static_selectorELNS0_4arch9wavefront6targetE1EEEvT1_
    .private_segment_fixed_size: 0
    .sgpr_count:     6
    .sgpr_spill_count: 0
    .symbol:         _ZN7rocprim17ROCPRIM_400000_NS6detail17trampoline_kernelINS0_14default_configENS1_25partition_config_selectorILNS1_17partition_subalgoE8ElNS0_10empty_typeEbEEZZNS1_14partition_implILS5_8ELb0ES3_jPlPS6_PKS6_NS0_5tupleIJS9_S6_EEENSD_IJSA_SA_EEENS0_18inequality_wrapperIZN2at6native12_GLOBAL__N_124unique_dim_cuda_templateIlEESt5tupleIJNSH_6TensorESM_SM_EERKSM_lbbbEUlllE0_EEPmJS6_EEE10hipError_tPvRmT3_T4_T5_T6_T7_T9_mT8_P12ihipStream_tbDpT10_ENKUlT_T0_E_clISt17integral_constantIbLb1EES1C_EEDaS17_S18_EUlS17_E_NS1_11comp_targetILNS1_3genE2ELNS1_11target_archE906ELNS1_3gpuE6ELNS1_3repE0EEENS1_30default_config_static_selectorELNS0_4arch9wavefront6targetE1EEEvT1_.kd
    .uniform_work_group_size: 1
    .uses_dynamic_stack: false
    .vgpr_count:     0
    .vgpr_spill_count: 0
    .wavefront_size: 64
  - .agpr_count:     0
    .args:
      - .offset:         0
        .size:           136
        .value_kind:     by_value
    .group_segment_fixed_size: 0
    .kernarg_segment_align: 8
    .kernarg_segment_size: 136
    .language:       OpenCL C
    .language_version:
      - 2
      - 0
    .max_flat_workgroup_size: 384
    .name:           _ZN7rocprim17ROCPRIM_400000_NS6detail17trampoline_kernelINS0_14default_configENS1_25partition_config_selectorILNS1_17partition_subalgoE8ElNS0_10empty_typeEbEEZZNS1_14partition_implILS5_8ELb0ES3_jPlPS6_PKS6_NS0_5tupleIJS9_S6_EEENSD_IJSA_SA_EEENS0_18inequality_wrapperIZN2at6native12_GLOBAL__N_124unique_dim_cuda_templateIlEESt5tupleIJNSH_6TensorESM_SM_EERKSM_lbbbEUlllE0_EEPmJS6_EEE10hipError_tPvRmT3_T4_T5_T6_T7_T9_mT8_P12ihipStream_tbDpT10_ENKUlT_T0_E_clISt17integral_constantIbLb1EES1C_EEDaS17_S18_EUlS17_E_NS1_11comp_targetILNS1_3genE10ELNS1_11target_archE1200ELNS1_3gpuE4ELNS1_3repE0EEENS1_30default_config_static_selectorELNS0_4arch9wavefront6targetE1EEEvT1_
    .private_segment_fixed_size: 0
    .sgpr_count:     6
    .sgpr_spill_count: 0
    .symbol:         _ZN7rocprim17ROCPRIM_400000_NS6detail17trampoline_kernelINS0_14default_configENS1_25partition_config_selectorILNS1_17partition_subalgoE8ElNS0_10empty_typeEbEEZZNS1_14partition_implILS5_8ELb0ES3_jPlPS6_PKS6_NS0_5tupleIJS9_S6_EEENSD_IJSA_SA_EEENS0_18inequality_wrapperIZN2at6native12_GLOBAL__N_124unique_dim_cuda_templateIlEESt5tupleIJNSH_6TensorESM_SM_EERKSM_lbbbEUlllE0_EEPmJS6_EEE10hipError_tPvRmT3_T4_T5_T6_T7_T9_mT8_P12ihipStream_tbDpT10_ENKUlT_T0_E_clISt17integral_constantIbLb1EES1C_EEDaS17_S18_EUlS17_E_NS1_11comp_targetILNS1_3genE10ELNS1_11target_archE1200ELNS1_3gpuE4ELNS1_3repE0EEENS1_30default_config_static_selectorELNS0_4arch9wavefront6targetE1EEEvT1_.kd
    .uniform_work_group_size: 1
    .uses_dynamic_stack: false
    .vgpr_count:     0
    .vgpr_spill_count: 0
    .wavefront_size: 64
  - .agpr_count:     0
    .args:
      - .offset:         0
        .size:           136
        .value_kind:     by_value
    .group_segment_fixed_size: 0
    .kernarg_segment_align: 8
    .kernarg_segment_size: 136
    .language:       OpenCL C
    .language_version:
      - 2
      - 0
    .max_flat_workgroup_size: 512
    .name:           _ZN7rocprim17ROCPRIM_400000_NS6detail17trampoline_kernelINS0_14default_configENS1_25partition_config_selectorILNS1_17partition_subalgoE8ElNS0_10empty_typeEbEEZZNS1_14partition_implILS5_8ELb0ES3_jPlPS6_PKS6_NS0_5tupleIJS9_S6_EEENSD_IJSA_SA_EEENS0_18inequality_wrapperIZN2at6native12_GLOBAL__N_124unique_dim_cuda_templateIlEESt5tupleIJNSH_6TensorESM_SM_EERKSM_lbbbEUlllE0_EEPmJS6_EEE10hipError_tPvRmT3_T4_T5_T6_T7_T9_mT8_P12ihipStream_tbDpT10_ENKUlT_T0_E_clISt17integral_constantIbLb1EES1C_EEDaS17_S18_EUlS17_E_NS1_11comp_targetILNS1_3genE9ELNS1_11target_archE1100ELNS1_3gpuE3ELNS1_3repE0EEENS1_30default_config_static_selectorELNS0_4arch9wavefront6targetE1EEEvT1_
    .private_segment_fixed_size: 0
    .sgpr_count:     6
    .sgpr_spill_count: 0
    .symbol:         _ZN7rocprim17ROCPRIM_400000_NS6detail17trampoline_kernelINS0_14default_configENS1_25partition_config_selectorILNS1_17partition_subalgoE8ElNS0_10empty_typeEbEEZZNS1_14partition_implILS5_8ELb0ES3_jPlPS6_PKS6_NS0_5tupleIJS9_S6_EEENSD_IJSA_SA_EEENS0_18inequality_wrapperIZN2at6native12_GLOBAL__N_124unique_dim_cuda_templateIlEESt5tupleIJNSH_6TensorESM_SM_EERKSM_lbbbEUlllE0_EEPmJS6_EEE10hipError_tPvRmT3_T4_T5_T6_T7_T9_mT8_P12ihipStream_tbDpT10_ENKUlT_T0_E_clISt17integral_constantIbLb1EES1C_EEDaS17_S18_EUlS17_E_NS1_11comp_targetILNS1_3genE9ELNS1_11target_archE1100ELNS1_3gpuE3ELNS1_3repE0EEENS1_30default_config_static_selectorELNS0_4arch9wavefront6targetE1EEEvT1_.kd
    .uniform_work_group_size: 1
    .uses_dynamic_stack: false
    .vgpr_count:     0
    .vgpr_spill_count: 0
    .wavefront_size: 64
  - .agpr_count:     0
    .args:
      - .offset:         0
        .size:           136
        .value_kind:     by_value
    .group_segment_fixed_size: 0
    .kernarg_segment_align: 8
    .kernarg_segment_size: 136
    .language:       OpenCL C
    .language_version:
      - 2
      - 0
    .max_flat_workgroup_size: 512
    .name:           _ZN7rocprim17ROCPRIM_400000_NS6detail17trampoline_kernelINS0_14default_configENS1_25partition_config_selectorILNS1_17partition_subalgoE8ElNS0_10empty_typeEbEEZZNS1_14partition_implILS5_8ELb0ES3_jPlPS6_PKS6_NS0_5tupleIJS9_S6_EEENSD_IJSA_SA_EEENS0_18inequality_wrapperIZN2at6native12_GLOBAL__N_124unique_dim_cuda_templateIlEESt5tupleIJNSH_6TensorESM_SM_EERKSM_lbbbEUlllE0_EEPmJS6_EEE10hipError_tPvRmT3_T4_T5_T6_T7_T9_mT8_P12ihipStream_tbDpT10_ENKUlT_T0_E_clISt17integral_constantIbLb1EES1C_EEDaS17_S18_EUlS17_E_NS1_11comp_targetILNS1_3genE8ELNS1_11target_archE1030ELNS1_3gpuE2ELNS1_3repE0EEENS1_30default_config_static_selectorELNS0_4arch9wavefront6targetE1EEEvT1_
    .private_segment_fixed_size: 0
    .sgpr_count:     6
    .sgpr_spill_count: 0
    .symbol:         _ZN7rocprim17ROCPRIM_400000_NS6detail17trampoline_kernelINS0_14default_configENS1_25partition_config_selectorILNS1_17partition_subalgoE8ElNS0_10empty_typeEbEEZZNS1_14partition_implILS5_8ELb0ES3_jPlPS6_PKS6_NS0_5tupleIJS9_S6_EEENSD_IJSA_SA_EEENS0_18inequality_wrapperIZN2at6native12_GLOBAL__N_124unique_dim_cuda_templateIlEESt5tupleIJNSH_6TensorESM_SM_EERKSM_lbbbEUlllE0_EEPmJS6_EEE10hipError_tPvRmT3_T4_T5_T6_T7_T9_mT8_P12ihipStream_tbDpT10_ENKUlT_T0_E_clISt17integral_constantIbLb1EES1C_EEDaS17_S18_EUlS17_E_NS1_11comp_targetILNS1_3genE8ELNS1_11target_archE1030ELNS1_3gpuE2ELNS1_3repE0EEENS1_30default_config_static_selectorELNS0_4arch9wavefront6targetE1EEEvT1_.kd
    .uniform_work_group_size: 1
    .uses_dynamic_stack: false
    .vgpr_count:     0
    .vgpr_spill_count: 0
    .wavefront_size: 64
  - .agpr_count:     0
    .args:
      - .offset:         0
        .size:           120
        .value_kind:     by_value
    .group_segment_fixed_size: 0
    .kernarg_segment_align: 8
    .kernarg_segment_size: 120
    .language:       OpenCL C
    .language_version:
      - 2
      - 0
    .max_flat_workgroup_size: 512
    .name:           _ZN7rocprim17ROCPRIM_400000_NS6detail17trampoline_kernelINS0_14default_configENS1_25partition_config_selectorILNS1_17partition_subalgoE8ElNS0_10empty_typeEbEEZZNS1_14partition_implILS5_8ELb0ES3_jPlPS6_PKS6_NS0_5tupleIJS9_S6_EEENSD_IJSA_SA_EEENS0_18inequality_wrapperIZN2at6native12_GLOBAL__N_124unique_dim_cuda_templateIlEESt5tupleIJNSH_6TensorESM_SM_EERKSM_lbbbEUlllE0_EEPmJS6_EEE10hipError_tPvRmT3_T4_T5_T6_T7_T9_mT8_P12ihipStream_tbDpT10_ENKUlT_T0_E_clISt17integral_constantIbLb1EES1B_IbLb0EEEEDaS17_S18_EUlS17_E_NS1_11comp_targetILNS1_3genE0ELNS1_11target_archE4294967295ELNS1_3gpuE0ELNS1_3repE0EEENS1_30default_config_static_selectorELNS0_4arch9wavefront6targetE1EEEvT1_
    .private_segment_fixed_size: 0
    .sgpr_count:     6
    .sgpr_spill_count: 0
    .symbol:         _ZN7rocprim17ROCPRIM_400000_NS6detail17trampoline_kernelINS0_14default_configENS1_25partition_config_selectorILNS1_17partition_subalgoE8ElNS0_10empty_typeEbEEZZNS1_14partition_implILS5_8ELb0ES3_jPlPS6_PKS6_NS0_5tupleIJS9_S6_EEENSD_IJSA_SA_EEENS0_18inequality_wrapperIZN2at6native12_GLOBAL__N_124unique_dim_cuda_templateIlEESt5tupleIJNSH_6TensorESM_SM_EERKSM_lbbbEUlllE0_EEPmJS6_EEE10hipError_tPvRmT3_T4_T5_T6_T7_T9_mT8_P12ihipStream_tbDpT10_ENKUlT_T0_E_clISt17integral_constantIbLb1EES1B_IbLb0EEEEDaS17_S18_EUlS17_E_NS1_11comp_targetILNS1_3genE0ELNS1_11target_archE4294967295ELNS1_3gpuE0ELNS1_3repE0EEENS1_30default_config_static_selectorELNS0_4arch9wavefront6targetE1EEEvT1_.kd
    .uniform_work_group_size: 1
    .uses_dynamic_stack: false
    .vgpr_count:     0
    .vgpr_spill_count: 0
    .wavefront_size: 64
  - .agpr_count:     0
    .args:
      - .offset:         0
        .size:           120
        .value_kind:     by_value
    .group_segment_fixed_size: 0
    .kernarg_segment_align: 8
    .kernarg_segment_size: 120
    .language:       OpenCL C
    .language_version:
      - 2
      - 0
    .max_flat_workgroup_size: 512
    .name:           _ZN7rocprim17ROCPRIM_400000_NS6detail17trampoline_kernelINS0_14default_configENS1_25partition_config_selectorILNS1_17partition_subalgoE8ElNS0_10empty_typeEbEEZZNS1_14partition_implILS5_8ELb0ES3_jPlPS6_PKS6_NS0_5tupleIJS9_S6_EEENSD_IJSA_SA_EEENS0_18inequality_wrapperIZN2at6native12_GLOBAL__N_124unique_dim_cuda_templateIlEESt5tupleIJNSH_6TensorESM_SM_EERKSM_lbbbEUlllE0_EEPmJS6_EEE10hipError_tPvRmT3_T4_T5_T6_T7_T9_mT8_P12ihipStream_tbDpT10_ENKUlT_T0_E_clISt17integral_constantIbLb1EES1B_IbLb0EEEEDaS17_S18_EUlS17_E_NS1_11comp_targetILNS1_3genE5ELNS1_11target_archE942ELNS1_3gpuE9ELNS1_3repE0EEENS1_30default_config_static_selectorELNS0_4arch9wavefront6targetE1EEEvT1_
    .private_segment_fixed_size: 0
    .sgpr_count:     6
    .sgpr_spill_count: 0
    .symbol:         _ZN7rocprim17ROCPRIM_400000_NS6detail17trampoline_kernelINS0_14default_configENS1_25partition_config_selectorILNS1_17partition_subalgoE8ElNS0_10empty_typeEbEEZZNS1_14partition_implILS5_8ELb0ES3_jPlPS6_PKS6_NS0_5tupleIJS9_S6_EEENSD_IJSA_SA_EEENS0_18inequality_wrapperIZN2at6native12_GLOBAL__N_124unique_dim_cuda_templateIlEESt5tupleIJNSH_6TensorESM_SM_EERKSM_lbbbEUlllE0_EEPmJS6_EEE10hipError_tPvRmT3_T4_T5_T6_T7_T9_mT8_P12ihipStream_tbDpT10_ENKUlT_T0_E_clISt17integral_constantIbLb1EES1B_IbLb0EEEEDaS17_S18_EUlS17_E_NS1_11comp_targetILNS1_3genE5ELNS1_11target_archE942ELNS1_3gpuE9ELNS1_3repE0EEENS1_30default_config_static_selectorELNS0_4arch9wavefront6targetE1EEEvT1_.kd
    .uniform_work_group_size: 1
    .uses_dynamic_stack: false
    .vgpr_count:     0
    .vgpr_spill_count: 0
    .wavefront_size: 64
  - .agpr_count:     0
    .args:
      - .offset:         0
        .size:           120
        .value_kind:     by_value
    .group_segment_fixed_size: 0
    .kernarg_segment_align: 8
    .kernarg_segment_size: 120
    .language:       OpenCL C
    .language_version:
      - 2
      - 0
    .max_flat_workgroup_size: 256
    .name:           _ZN7rocprim17ROCPRIM_400000_NS6detail17trampoline_kernelINS0_14default_configENS1_25partition_config_selectorILNS1_17partition_subalgoE8ElNS0_10empty_typeEbEEZZNS1_14partition_implILS5_8ELb0ES3_jPlPS6_PKS6_NS0_5tupleIJS9_S6_EEENSD_IJSA_SA_EEENS0_18inequality_wrapperIZN2at6native12_GLOBAL__N_124unique_dim_cuda_templateIlEESt5tupleIJNSH_6TensorESM_SM_EERKSM_lbbbEUlllE0_EEPmJS6_EEE10hipError_tPvRmT3_T4_T5_T6_T7_T9_mT8_P12ihipStream_tbDpT10_ENKUlT_T0_E_clISt17integral_constantIbLb1EES1B_IbLb0EEEEDaS17_S18_EUlS17_E_NS1_11comp_targetILNS1_3genE4ELNS1_11target_archE910ELNS1_3gpuE8ELNS1_3repE0EEENS1_30default_config_static_selectorELNS0_4arch9wavefront6targetE1EEEvT1_
    .private_segment_fixed_size: 0
    .sgpr_count:     6
    .sgpr_spill_count: 0
    .symbol:         _ZN7rocprim17ROCPRIM_400000_NS6detail17trampoline_kernelINS0_14default_configENS1_25partition_config_selectorILNS1_17partition_subalgoE8ElNS0_10empty_typeEbEEZZNS1_14partition_implILS5_8ELb0ES3_jPlPS6_PKS6_NS0_5tupleIJS9_S6_EEENSD_IJSA_SA_EEENS0_18inequality_wrapperIZN2at6native12_GLOBAL__N_124unique_dim_cuda_templateIlEESt5tupleIJNSH_6TensorESM_SM_EERKSM_lbbbEUlllE0_EEPmJS6_EEE10hipError_tPvRmT3_T4_T5_T6_T7_T9_mT8_P12ihipStream_tbDpT10_ENKUlT_T0_E_clISt17integral_constantIbLb1EES1B_IbLb0EEEEDaS17_S18_EUlS17_E_NS1_11comp_targetILNS1_3genE4ELNS1_11target_archE910ELNS1_3gpuE8ELNS1_3repE0EEENS1_30default_config_static_selectorELNS0_4arch9wavefront6targetE1EEEvT1_.kd
    .uniform_work_group_size: 1
    .uses_dynamic_stack: false
    .vgpr_count:     0
    .vgpr_spill_count: 0
    .wavefront_size: 64
  - .agpr_count:     0
    .args:
      - .offset:         0
        .size:           120
        .value_kind:     by_value
    .group_segment_fixed_size: 0
    .kernarg_segment_align: 8
    .kernarg_segment_size: 120
    .language:       OpenCL C
    .language_version:
      - 2
      - 0
    .max_flat_workgroup_size: 512
    .name:           _ZN7rocprim17ROCPRIM_400000_NS6detail17trampoline_kernelINS0_14default_configENS1_25partition_config_selectorILNS1_17partition_subalgoE8ElNS0_10empty_typeEbEEZZNS1_14partition_implILS5_8ELb0ES3_jPlPS6_PKS6_NS0_5tupleIJS9_S6_EEENSD_IJSA_SA_EEENS0_18inequality_wrapperIZN2at6native12_GLOBAL__N_124unique_dim_cuda_templateIlEESt5tupleIJNSH_6TensorESM_SM_EERKSM_lbbbEUlllE0_EEPmJS6_EEE10hipError_tPvRmT3_T4_T5_T6_T7_T9_mT8_P12ihipStream_tbDpT10_ENKUlT_T0_E_clISt17integral_constantIbLb1EES1B_IbLb0EEEEDaS17_S18_EUlS17_E_NS1_11comp_targetILNS1_3genE3ELNS1_11target_archE908ELNS1_3gpuE7ELNS1_3repE0EEENS1_30default_config_static_selectorELNS0_4arch9wavefront6targetE1EEEvT1_
    .private_segment_fixed_size: 0
    .sgpr_count:     6
    .sgpr_spill_count: 0
    .symbol:         _ZN7rocprim17ROCPRIM_400000_NS6detail17trampoline_kernelINS0_14default_configENS1_25partition_config_selectorILNS1_17partition_subalgoE8ElNS0_10empty_typeEbEEZZNS1_14partition_implILS5_8ELb0ES3_jPlPS6_PKS6_NS0_5tupleIJS9_S6_EEENSD_IJSA_SA_EEENS0_18inequality_wrapperIZN2at6native12_GLOBAL__N_124unique_dim_cuda_templateIlEESt5tupleIJNSH_6TensorESM_SM_EERKSM_lbbbEUlllE0_EEPmJS6_EEE10hipError_tPvRmT3_T4_T5_T6_T7_T9_mT8_P12ihipStream_tbDpT10_ENKUlT_T0_E_clISt17integral_constantIbLb1EES1B_IbLb0EEEEDaS17_S18_EUlS17_E_NS1_11comp_targetILNS1_3genE3ELNS1_11target_archE908ELNS1_3gpuE7ELNS1_3repE0EEENS1_30default_config_static_selectorELNS0_4arch9wavefront6targetE1EEEvT1_.kd
    .uniform_work_group_size: 1
    .uses_dynamic_stack: false
    .vgpr_count:     0
    .vgpr_spill_count: 0
    .wavefront_size: 64
  - .agpr_count:     0
    .args:
      - .offset:         0
        .size:           120
        .value_kind:     by_value
    .group_segment_fixed_size: 0
    .kernarg_segment_align: 8
    .kernarg_segment_size: 120
    .language:       OpenCL C
    .language_version:
      - 2
      - 0
    .max_flat_workgroup_size: 256
    .name:           _ZN7rocprim17ROCPRIM_400000_NS6detail17trampoline_kernelINS0_14default_configENS1_25partition_config_selectorILNS1_17partition_subalgoE8ElNS0_10empty_typeEbEEZZNS1_14partition_implILS5_8ELb0ES3_jPlPS6_PKS6_NS0_5tupleIJS9_S6_EEENSD_IJSA_SA_EEENS0_18inequality_wrapperIZN2at6native12_GLOBAL__N_124unique_dim_cuda_templateIlEESt5tupleIJNSH_6TensorESM_SM_EERKSM_lbbbEUlllE0_EEPmJS6_EEE10hipError_tPvRmT3_T4_T5_T6_T7_T9_mT8_P12ihipStream_tbDpT10_ENKUlT_T0_E_clISt17integral_constantIbLb1EES1B_IbLb0EEEEDaS17_S18_EUlS17_E_NS1_11comp_targetILNS1_3genE2ELNS1_11target_archE906ELNS1_3gpuE6ELNS1_3repE0EEENS1_30default_config_static_selectorELNS0_4arch9wavefront6targetE1EEEvT1_
    .private_segment_fixed_size: 0
    .sgpr_count:     6
    .sgpr_spill_count: 0
    .symbol:         _ZN7rocprim17ROCPRIM_400000_NS6detail17trampoline_kernelINS0_14default_configENS1_25partition_config_selectorILNS1_17partition_subalgoE8ElNS0_10empty_typeEbEEZZNS1_14partition_implILS5_8ELb0ES3_jPlPS6_PKS6_NS0_5tupleIJS9_S6_EEENSD_IJSA_SA_EEENS0_18inequality_wrapperIZN2at6native12_GLOBAL__N_124unique_dim_cuda_templateIlEESt5tupleIJNSH_6TensorESM_SM_EERKSM_lbbbEUlllE0_EEPmJS6_EEE10hipError_tPvRmT3_T4_T5_T6_T7_T9_mT8_P12ihipStream_tbDpT10_ENKUlT_T0_E_clISt17integral_constantIbLb1EES1B_IbLb0EEEEDaS17_S18_EUlS17_E_NS1_11comp_targetILNS1_3genE2ELNS1_11target_archE906ELNS1_3gpuE6ELNS1_3repE0EEENS1_30default_config_static_selectorELNS0_4arch9wavefront6targetE1EEEvT1_.kd
    .uniform_work_group_size: 1
    .uses_dynamic_stack: false
    .vgpr_count:     0
    .vgpr_spill_count: 0
    .wavefront_size: 64
  - .agpr_count:     0
    .args:
      - .offset:         0
        .size:           120
        .value_kind:     by_value
    .group_segment_fixed_size: 0
    .kernarg_segment_align: 8
    .kernarg_segment_size: 120
    .language:       OpenCL C
    .language_version:
      - 2
      - 0
    .max_flat_workgroup_size: 384
    .name:           _ZN7rocprim17ROCPRIM_400000_NS6detail17trampoline_kernelINS0_14default_configENS1_25partition_config_selectorILNS1_17partition_subalgoE8ElNS0_10empty_typeEbEEZZNS1_14partition_implILS5_8ELb0ES3_jPlPS6_PKS6_NS0_5tupleIJS9_S6_EEENSD_IJSA_SA_EEENS0_18inequality_wrapperIZN2at6native12_GLOBAL__N_124unique_dim_cuda_templateIlEESt5tupleIJNSH_6TensorESM_SM_EERKSM_lbbbEUlllE0_EEPmJS6_EEE10hipError_tPvRmT3_T4_T5_T6_T7_T9_mT8_P12ihipStream_tbDpT10_ENKUlT_T0_E_clISt17integral_constantIbLb1EES1B_IbLb0EEEEDaS17_S18_EUlS17_E_NS1_11comp_targetILNS1_3genE10ELNS1_11target_archE1200ELNS1_3gpuE4ELNS1_3repE0EEENS1_30default_config_static_selectorELNS0_4arch9wavefront6targetE1EEEvT1_
    .private_segment_fixed_size: 0
    .sgpr_count:     6
    .sgpr_spill_count: 0
    .symbol:         _ZN7rocprim17ROCPRIM_400000_NS6detail17trampoline_kernelINS0_14default_configENS1_25partition_config_selectorILNS1_17partition_subalgoE8ElNS0_10empty_typeEbEEZZNS1_14partition_implILS5_8ELb0ES3_jPlPS6_PKS6_NS0_5tupleIJS9_S6_EEENSD_IJSA_SA_EEENS0_18inequality_wrapperIZN2at6native12_GLOBAL__N_124unique_dim_cuda_templateIlEESt5tupleIJNSH_6TensorESM_SM_EERKSM_lbbbEUlllE0_EEPmJS6_EEE10hipError_tPvRmT3_T4_T5_T6_T7_T9_mT8_P12ihipStream_tbDpT10_ENKUlT_T0_E_clISt17integral_constantIbLb1EES1B_IbLb0EEEEDaS17_S18_EUlS17_E_NS1_11comp_targetILNS1_3genE10ELNS1_11target_archE1200ELNS1_3gpuE4ELNS1_3repE0EEENS1_30default_config_static_selectorELNS0_4arch9wavefront6targetE1EEEvT1_.kd
    .uniform_work_group_size: 1
    .uses_dynamic_stack: false
    .vgpr_count:     0
    .vgpr_spill_count: 0
    .wavefront_size: 64
  - .agpr_count:     0
    .args:
      - .offset:         0
        .size:           120
        .value_kind:     by_value
    .group_segment_fixed_size: 0
    .kernarg_segment_align: 8
    .kernarg_segment_size: 120
    .language:       OpenCL C
    .language_version:
      - 2
      - 0
    .max_flat_workgroup_size: 512
    .name:           _ZN7rocprim17ROCPRIM_400000_NS6detail17trampoline_kernelINS0_14default_configENS1_25partition_config_selectorILNS1_17partition_subalgoE8ElNS0_10empty_typeEbEEZZNS1_14partition_implILS5_8ELb0ES3_jPlPS6_PKS6_NS0_5tupleIJS9_S6_EEENSD_IJSA_SA_EEENS0_18inequality_wrapperIZN2at6native12_GLOBAL__N_124unique_dim_cuda_templateIlEESt5tupleIJNSH_6TensorESM_SM_EERKSM_lbbbEUlllE0_EEPmJS6_EEE10hipError_tPvRmT3_T4_T5_T6_T7_T9_mT8_P12ihipStream_tbDpT10_ENKUlT_T0_E_clISt17integral_constantIbLb1EES1B_IbLb0EEEEDaS17_S18_EUlS17_E_NS1_11comp_targetILNS1_3genE9ELNS1_11target_archE1100ELNS1_3gpuE3ELNS1_3repE0EEENS1_30default_config_static_selectorELNS0_4arch9wavefront6targetE1EEEvT1_
    .private_segment_fixed_size: 0
    .sgpr_count:     6
    .sgpr_spill_count: 0
    .symbol:         _ZN7rocprim17ROCPRIM_400000_NS6detail17trampoline_kernelINS0_14default_configENS1_25partition_config_selectorILNS1_17partition_subalgoE8ElNS0_10empty_typeEbEEZZNS1_14partition_implILS5_8ELb0ES3_jPlPS6_PKS6_NS0_5tupleIJS9_S6_EEENSD_IJSA_SA_EEENS0_18inequality_wrapperIZN2at6native12_GLOBAL__N_124unique_dim_cuda_templateIlEESt5tupleIJNSH_6TensorESM_SM_EERKSM_lbbbEUlllE0_EEPmJS6_EEE10hipError_tPvRmT3_T4_T5_T6_T7_T9_mT8_P12ihipStream_tbDpT10_ENKUlT_T0_E_clISt17integral_constantIbLb1EES1B_IbLb0EEEEDaS17_S18_EUlS17_E_NS1_11comp_targetILNS1_3genE9ELNS1_11target_archE1100ELNS1_3gpuE3ELNS1_3repE0EEENS1_30default_config_static_selectorELNS0_4arch9wavefront6targetE1EEEvT1_.kd
    .uniform_work_group_size: 1
    .uses_dynamic_stack: false
    .vgpr_count:     0
    .vgpr_spill_count: 0
    .wavefront_size: 64
  - .agpr_count:     0
    .args:
      - .offset:         0
        .size:           120
        .value_kind:     by_value
    .group_segment_fixed_size: 0
    .kernarg_segment_align: 8
    .kernarg_segment_size: 120
    .language:       OpenCL C
    .language_version:
      - 2
      - 0
    .max_flat_workgroup_size: 512
    .name:           _ZN7rocprim17ROCPRIM_400000_NS6detail17trampoline_kernelINS0_14default_configENS1_25partition_config_selectorILNS1_17partition_subalgoE8ElNS0_10empty_typeEbEEZZNS1_14partition_implILS5_8ELb0ES3_jPlPS6_PKS6_NS0_5tupleIJS9_S6_EEENSD_IJSA_SA_EEENS0_18inequality_wrapperIZN2at6native12_GLOBAL__N_124unique_dim_cuda_templateIlEESt5tupleIJNSH_6TensorESM_SM_EERKSM_lbbbEUlllE0_EEPmJS6_EEE10hipError_tPvRmT3_T4_T5_T6_T7_T9_mT8_P12ihipStream_tbDpT10_ENKUlT_T0_E_clISt17integral_constantIbLb1EES1B_IbLb0EEEEDaS17_S18_EUlS17_E_NS1_11comp_targetILNS1_3genE8ELNS1_11target_archE1030ELNS1_3gpuE2ELNS1_3repE0EEENS1_30default_config_static_selectorELNS0_4arch9wavefront6targetE1EEEvT1_
    .private_segment_fixed_size: 0
    .sgpr_count:     6
    .sgpr_spill_count: 0
    .symbol:         _ZN7rocprim17ROCPRIM_400000_NS6detail17trampoline_kernelINS0_14default_configENS1_25partition_config_selectorILNS1_17partition_subalgoE8ElNS0_10empty_typeEbEEZZNS1_14partition_implILS5_8ELb0ES3_jPlPS6_PKS6_NS0_5tupleIJS9_S6_EEENSD_IJSA_SA_EEENS0_18inequality_wrapperIZN2at6native12_GLOBAL__N_124unique_dim_cuda_templateIlEESt5tupleIJNSH_6TensorESM_SM_EERKSM_lbbbEUlllE0_EEPmJS6_EEE10hipError_tPvRmT3_T4_T5_T6_T7_T9_mT8_P12ihipStream_tbDpT10_ENKUlT_T0_E_clISt17integral_constantIbLb1EES1B_IbLb0EEEEDaS17_S18_EUlS17_E_NS1_11comp_targetILNS1_3genE8ELNS1_11target_archE1030ELNS1_3gpuE2ELNS1_3repE0EEENS1_30default_config_static_selectorELNS0_4arch9wavefront6targetE1EEEvT1_.kd
    .uniform_work_group_size: 1
    .uses_dynamic_stack: false
    .vgpr_count:     0
    .vgpr_spill_count: 0
    .wavefront_size: 64
  - .agpr_count:     0
    .args:
      - .offset:         0
        .size:           136
        .value_kind:     by_value
    .group_segment_fixed_size: 28680
    .kernarg_segment_align: 8
    .kernarg_segment_size: 136
    .language:       OpenCL C
    .language_version:
      - 2
      - 0
    .max_flat_workgroup_size: 512
    .name:           _ZN7rocprim17ROCPRIM_400000_NS6detail17trampoline_kernelINS0_14default_configENS1_25partition_config_selectorILNS1_17partition_subalgoE8ElNS0_10empty_typeEbEEZZNS1_14partition_implILS5_8ELb0ES3_jPlPS6_PKS6_NS0_5tupleIJS9_S6_EEENSD_IJSA_SA_EEENS0_18inequality_wrapperIZN2at6native12_GLOBAL__N_124unique_dim_cuda_templateIlEESt5tupleIJNSH_6TensorESM_SM_EERKSM_lbbbEUlllE0_EEPmJS6_EEE10hipError_tPvRmT3_T4_T5_T6_T7_T9_mT8_P12ihipStream_tbDpT10_ENKUlT_T0_E_clISt17integral_constantIbLb0EES1B_IbLb1EEEEDaS17_S18_EUlS17_E_NS1_11comp_targetILNS1_3genE0ELNS1_11target_archE4294967295ELNS1_3gpuE0ELNS1_3repE0EEENS1_30default_config_static_selectorELNS0_4arch9wavefront6targetE1EEEvT1_
    .private_segment_fixed_size: 0
    .sgpr_count:     60
    .sgpr_spill_count: 0
    .symbol:         _ZN7rocprim17ROCPRIM_400000_NS6detail17trampoline_kernelINS0_14default_configENS1_25partition_config_selectorILNS1_17partition_subalgoE8ElNS0_10empty_typeEbEEZZNS1_14partition_implILS5_8ELb0ES3_jPlPS6_PKS6_NS0_5tupleIJS9_S6_EEENSD_IJSA_SA_EEENS0_18inequality_wrapperIZN2at6native12_GLOBAL__N_124unique_dim_cuda_templateIlEESt5tupleIJNSH_6TensorESM_SM_EERKSM_lbbbEUlllE0_EEPmJS6_EEE10hipError_tPvRmT3_T4_T5_T6_T7_T9_mT8_P12ihipStream_tbDpT10_ENKUlT_T0_E_clISt17integral_constantIbLb0EES1B_IbLb1EEEEDaS17_S18_EUlS17_E_NS1_11comp_targetILNS1_3genE0ELNS1_11target_archE4294967295ELNS1_3gpuE0ELNS1_3repE0EEENS1_30default_config_static_selectorELNS0_4arch9wavefront6targetE1EEEvT1_.kd
    .uniform_work_group_size: 1
    .uses_dynamic_stack: false
    .vgpr_count:     58
    .vgpr_spill_count: 0
    .wavefront_size: 64
  - .agpr_count:     0
    .args:
      - .offset:         0
        .size:           136
        .value_kind:     by_value
    .group_segment_fixed_size: 0
    .kernarg_segment_align: 8
    .kernarg_segment_size: 136
    .language:       OpenCL C
    .language_version:
      - 2
      - 0
    .max_flat_workgroup_size: 512
    .name:           _ZN7rocprim17ROCPRIM_400000_NS6detail17trampoline_kernelINS0_14default_configENS1_25partition_config_selectorILNS1_17partition_subalgoE8ElNS0_10empty_typeEbEEZZNS1_14partition_implILS5_8ELb0ES3_jPlPS6_PKS6_NS0_5tupleIJS9_S6_EEENSD_IJSA_SA_EEENS0_18inequality_wrapperIZN2at6native12_GLOBAL__N_124unique_dim_cuda_templateIlEESt5tupleIJNSH_6TensorESM_SM_EERKSM_lbbbEUlllE0_EEPmJS6_EEE10hipError_tPvRmT3_T4_T5_T6_T7_T9_mT8_P12ihipStream_tbDpT10_ENKUlT_T0_E_clISt17integral_constantIbLb0EES1B_IbLb1EEEEDaS17_S18_EUlS17_E_NS1_11comp_targetILNS1_3genE5ELNS1_11target_archE942ELNS1_3gpuE9ELNS1_3repE0EEENS1_30default_config_static_selectorELNS0_4arch9wavefront6targetE1EEEvT1_
    .private_segment_fixed_size: 0
    .sgpr_count:     6
    .sgpr_spill_count: 0
    .symbol:         _ZN7rocprim17ROCPRIM_400000_NS6detail17trampoline_kernelINS0_14default_configENS1_25partition_config_selectorILNS1_17partition_subalgoE8ElNS0_10empty_typeEbEEZZNS1_14partition_implILS5_8ELb0ES3_jPlPS6_PKS6_NS0_5tupleIJS9_S6_EEENSD_IJSA_SA_EEENS0_18inequality_wrapperIZN2at6native12_GLOBAL__N_124unique_dim_cuda_templateIlEESt5tupleIJNSH_6TensorESM_SM_EERKSM_lbbbEUlllE0_EEPmJS6_EEE10hipError_tPvRmT3_T4_T5_T6_T7_T9_mT8_P12ihipStream_tbDpT10_ENKUlT_T0_E_clISt17integral_constantIbLb0EES1B_IbLb1EEEEDaS17_S18_EUlS17_E_NS1_11comp_targetILNS1_3genE5ELNS1_11target_archE942ELNS1_3gpuE9ELNS1_3repE0EEENS1_30default_config_static_selectorELNS0_4arch9wavefront6targetE1EEEvT1_.kd
    .uniform_work_group_size: 1
    .uses_dynamic_stack: false
    .vgpr_count:     0
    .vgpr_spill_count: 0
    .wavefront_size: 64
  - .agpr_count:     0
    .args:
      - .offset:         0
        .size:           136
        .value_kind:     by_value
    .group_segment_fixed_size: 0
    .kernarg_segment_align: 8
    .kernarg_segment_size: 136
    .language:       OpenCL C
    .language_version:
      - 2
      - 0
    .max_flat_workgroup_size: 256
    .name:           _ZN7rocprim17ROCPRIM_400000_NS6detail17trampoline_kernelINS0_14default_configENS1_25partition_config_selectorILNS1_17partition_subalgoE8ElNS0_10empty_typeEbEEZZNS1_14partition_implILS5_8ELb0ES3_jPlPS6_PKS6_NS0_5tupleIJS9_S6_EEENSD_IJSA_SA_EEENS0_18inequality_wrapperIZN2at6native12_GLOBAL__N_124unique_dim_cuda_templateIlEESt5tupleIJNSH_6TensorESM_SM_EERKSM_lbbbEUlllE0_EEPmJS6_EEE10hipError_tPvRmT3_T4_T5_T6_T7_T9_mT8_P12ihipStream_tbDpT10_ENKUlT_T0_E_clISt17integral_constantIbLb0EES1B_IbLb1EEEEDaS17_S18_EUlS17_E_NS1_11comp_targetILNS1_3genE4ELNS1_11target_archE910ELNS1_3gpuE8ELNS1_3repE0EEENS1_30default_config_static_selectorELNS0_4arch9wavefront6targetE1EEEvT1_
    .private_segment_fixed_size: 0
    .sgpr_count:     6
    .sgpr_spill_count: 0
    .symbol:         _ZN7rocprim17ROCPRIM_400000_NS6detail17trampoline_kernelINS0_14default_configENS1_25partition_config_selectorILNS1_17partition_subalgoE8ElNS0_10empty_typeEbEEZZNS1_14partition_implILS5_8ELb0ES3_jPlPS6_PKS6_NS0_5tupleIJS9_S6_EEENSD_IJSA_SA_EEENS0_18inequality_wrapperIZN2at6native12_GLOBAL__N_124unique_dim_cuda_templateIlEESt5tupleIJNSH_6TensorESM_SM_EERKSM_lbbbEUlllE0_EEPmJS6_EEE10hipError_tPvRmT3_T4_T5_T6_T7_T9_mT8_P12ihipStream_tbDpT10_ENKUlT_T0_E_clISt17integral_constantIbLb0EES1B_IbLb1EEEEDaS17_S18_EUlS17_E_NS1_11comp_targetILNS1_3genE4ELNS1_11target_archE910ELNS1_3gpuE8ELNS1_3repE0EEENS1_30default_config_static_selectorELNS0_4arch9wavefront6targetE1EEEvT1_.kd
    .uniform_work_group_size: 1
    .uses_dynamic_stack: false
    .vgpr_count:     0
    .vgpr_spill_count: 0
    .wavefront_size: 64
  - .agpr_count:     0
    .args:
      - .offset:         0
        .size:           136
        .value_kind:     by_value
    .group_segment_fixed_size: 0
    .kernarg_segment_align: 8
    .kernarg_segment_size: 136
    .language:       OpenCL C
    .language_version:
      - 2
      - 0
    .max_flat_workgroup_size: 512
    .name:           _ZN7rocprim17ROCPRIM_400000_NS6detail17trampoline_kernelINS0_14default_configENS1_25partition_config_selectorILNS1_17partition_subalgoE8ElNS0_10empty_typeEbEEZZNS1_14partition_implILS5_8ELb0ES3_jPlPS6_PKS6_NS0_5tupleIJS9_S6_EEENSD_IJSA_SA_EEENS0_18inequality_wrapperIZN2at6native12_GLOBAL__N_124unique_dim_cuda_templateIlEESt5tupleIJNSH_6TensorESM_SM_EERKSM_lbbbEUlllE0_EEPmJS6_EEE10hipError_tPvRmT3_T4_T5_T6_T7_T9_mT8_P12ihipStream_tbDpT10_ENKUlT_T0_E_clISt17integral_constantIbLb0EES1B_IbLb1EEEEDaS17_S18_EUlS17_E_NS1_11comp_targetILNS1_3genE3ELNS1_11target_archE908ELNS1_3gpuE7ELNS1_3repE0EEENS1_30default_config_static_selectorELNS0_4arch9wavefront6targetE1EEEvT1_
    .private_segment_fixed_size: 0
    .sgpr_count:     6
    .sgpr_spill_count: 0
    .symbol:         _ZN7rocprim17ROCPRIM_400000_NS6detail17trampoline_kernelINS0_14default_configENS1_25partition_config_selectorILNS1_17partition_subalgoE8ElNS0_10empty_typeEbEEZZNS1_14partition_implILS5_8ELb0ES3_jPlPS6_PKS6_NS0_5tupleIJS9_S6_EEENSD_IJSA_SA_EEENS0_18inequality_wrapperIZN2at6native12_GLOBAL__N_124unique_dim_cuda_templateIlEESt5tupleIJNSH_6TensorESM_SM_EERKSM_lbbbEUlllE0_EEPmJS6_EEE10hipError_tPvRmT3_T4_T5_T6_T7_T9_mT8_P12ihipStream_tbDpT10_ENKUlT_T0_E_clISt17integral_constantIbLb0EES1B_IbLb1EEEEDaS17_S18_EUlS17_E_NS1_11comp_targetILNS1_3genE3ELNS1_11target_archE908ELNS1_3gpuE7ELNS1_3repE0EEENS1_30default_config_static_selectorELNS0_4arch9wavefront6targetE1EEEvT1_.kd
    .uniform_work_group_size: 1
    .uses_dynamic_stack: false
    .vgpr_count:     0
    .vgpr_spill_count: 0
    .wavefront_size: 64
  - .agpr_count:     0
    .args:
      - .offset:         0
        .size:           136
        .value_kind:     by_value
    .group_segment_fixed_size: 0
    .kernarg_segment_align: 8
    .kernarg_segment_size: 136
    .language:       OpenCL C
    .language_version:
      - 2
      - 0
    .max_flat_workgroup_size: 256
    .name:           _ZN7rocprim17ROCPRIM_400000_NS6detail17trampoline_kernelINS0_14default_configENS1_25partition_config_selectorILNS1_17partition_subalgoE8ElNS0_10empty_typeEbEEZZNS1_14partition_implILS5_8ELb0ES3_jPlPS6_PKS6_NS0_5tupleIJS9_S6_EEENSD_IJSA_SA_EEENS0_18inequality_wrapperIZN2at6native12_GLOBAL__N_124unique_dim_cuda_templateIlEESt5tupleIJNSH_6TensorESM_SM_EERKSM_lbbbEUlllE0_EEPmJS6_EEE10hipError_tPvRmT3_T4_T5_T6_T7_T9_mT8_P12ihipStream_tbDpT10_ENKUlT_T0_E_clISt17integral_constantIbLb0EES1B_IbLb1EEEEDaS17_S18_EUlS17_E_NS1_11comp_targetILNS1_3genE2ELNS1_11target_archE906ELNS1_3gpuE6ELNS1_3repE0EEENS1_30default_config_static_selectorELNS0_4arch9wavefront6targetE1EEEvT1_
    .private_segment_fixed_size: 0
    .sgpr_count:     6
    .sgpr_spill_count: 0
    .symbol:         _ZN7rocprim17ROCPRIM_400000_NS6detail17trampoline_kernelINS0_14default_configENS1_25partition_config_selectorILNS1_17partition_subalgoE8ElNS0_10empty_typeEbEEZZNS1_14partition_implILS5_8ELb0ES3_jPlPS6_PKS6_NS0_5tupleIJS9_S6_EEENSD_IJSA_SA_EEENS0_18inequality_wrapperIZN2at6native12_GLOBAL__N_124unique_dim_cuda_templateIlEESt5tupleIJNSH_6TensorESM_SM_EERKSM_lbbbEUlllE0_EEPmJS6_EEE10hipError_tPvRmT3_T4_T5_T6_T7_T9_mT8_P12ihipStream_tbDpT10_ENKUlT_T0_E_clISt17integral_constantIbLb0EES1B_IbLb1EEEEDaS17_S18_EUlS17_E_NS1_11comp_targetILNS1_3genE2ELNS1_11target_archE906ELNS1_3gpuE6ELNS1_3repE0EEENS1_30default_config_static_selectorELNS0_4arch9wavefront6targetE1EEEvT1_.kd
    .uniform_work_group_size: 1
    .uses_dynamic_stack: false
    .vgpr_count:     0
    .vgpr_spill_count: 0
    .wavefront_size: 64
  - .agpr_count:     0
    .args:
      - .offset:         0
        .size:           136
        .value_kind:     by_value
    .group_segment_fixed_size: 0
    .kernarg_segment_align: 8
    .kernarg_segment_size: 136
    .language:       OpenCL C
    .language_version:
      - 2
      - 0
    .max_flat_workgroup_size: 384
    .name:           _ZN7rocprim17ROCPRIM_400000_NS6detail17trampoline_kernelINS0_14default_configENS1_25partition_config_selectorILNS1_17partition_subalgoE8ElNS0_10empty_typeEbEEZZNS1_14partition_implILS5_8ELb0ES3_jPlPS6_PKS6_NS0_5tupleIJS9_S6_EEENSD_IJSA_SA_EEENS0_18inequality_wrapperIZN2at6native12_GLOBAL__N_124unique_dim_cuda_templateIlEESt5tupleIJNSH_6TensorESM_SM_EERKSM_lbbbEUlllE0_EEPmJS6_EEE10hipError_tPvRmT3_T4_T5_T6_T7_T9_mT8_P12ihipStream_tbDpT10_ENKUlT_T0_E_clISt17integral_constantIbLb0EES1B_IbLb1EEEEDaS17_S18_EUlS17_E_NS1_11comp_targetILNS1_3genE10ELNS1_11target_archE1200ELNS1_3gpuE4ELNS1_3repE0EEENS1_30default_config_static_selectorELNS0_4arch9wavefront6targetE1EEEvT1_
    .private_segment_fixed_size: 0
    .sgpr_count:     6
    .sgpr_spill_count: 0
    .symbol:         _ZN7rocprim17ROCPRIM_400000_NS6detail17trampoline_kernelINS0_14default_configENS1_25partition_config_selectorILNS1_17partition_subalgoE8ElNS0_10empty_typeEbEEZZNS1_14partition_implILS5_8ELb0ES3_jPlPS6_PKS6_NS0_5tupleIJS9_S6_EEENSD_IJSA_SA_EEENS0_18inequality_wrapperIZN2at6native12_GLOBAL__N_124unique_dim_cuda_templateIlEESt5tupleIJNSH_6TensorESM_SM_EERKSM_lbbbEUlllE0_EEPmJS6_EEE10hipError_tPvRmT3_T4_T5_T6_T7_T9_mT8_P12ihipStream_tbDpT10_ENKUlT_T0_E_clISt17integral_constantIbLb0EES1B_IbLb1EEEEDaS17_S18_EUlS17_E_NS1_11comp_targetILNS1_3genE10ELNS1_11target_archE1200ELNS1_3gpuE4ELNS1_3repE0EEENS1_30default_config_static_selectorELNS0_4arch9wavefront6targetE1EEEvT1_.kd
    .uniform_work_group_size: 1
    .uses_dynamic_stack: false
    .vgpr_count:     0
    .vgpr_spill_count: 0
    .wavefront_size: 64
  - .agpr_count:     0
    .args:
      - .offset:         0
        .size:           136
        .value_kind:     by_value
    .group_segment_fixed_size: 0
    .kernarg_segment_align: 8
    .kernarg_segment_size: 136
    .language:       OpenCL C
    .language_version:
      - 2
      - 0
    .max_flat_workgroup_size: 512
    .name:           _ZN7rocprim17ROCPRIM_400000_NS6detail17trampoline_kernelINS0_14default_configENS1_25partition_config_selectorILNS1_17partition_subalgoE8ElNS0_10empty_typeEbEEZZNS1_14partition_implILS5_8ELb0ES3_jPlPS6_PKS6_NS0_5tupleIJS9_S6_EEENSD_IJSA_SA_EEENS0_18inequality_wrapperIZN2at6native12_GLOBAL__N_124unique_dim_cuda_templateIlEESt5tupleIJNSH_6TensorESM_SM_EERKSM_lbbbEUlllE0_EEPmJS6_EEE10hipError_tPvRmT3_T4_T5_T6_T7_T9_mT8_P12ihipStream_tbDpT10_ENKUlT_T0_E_clISt17integral_constantIbLb0EES1B_IbLb1EEEEDaS17_S18_EUlS17_E_NS1_11comp_targetILNS1_3genE9ELNS1_11target_archE1100ELNS1_3gpuE3ELNS1_3repE0EEENS1_30default_config_static_selectorELNS0_4arch9wavefront6targetE1EEEvT1_
    .private_segment_fixed_size: 0
    .sgpr_count:     6
    .sgpr_spill_count: 0
    .symbol:         _ZN7rocprim17ROCPRIM_400000_NS6detail17trampoline_kernelINS0_14default_configENS1_25partition_config_selectorILNS1_17partition_subalgoE8ElNS0_10empty_typeEbEEZZNS1_14partition_implILS5_8ELb0ES3_jPlPS6_PKS6_NS0_5tupleIJS9_S6_EEENSD_IJSA_SA_EEENS0_18inequality_wrapperIZN2at6native12_GLOBAL__N_124unique_dim_cuda_templateIlEESt5tupleIJNSH_6TensorESM_SM_EERKSM_lbbbEUlllE0_EEPmJS6_EEE10hipError_tPvRmT3_T4_T5_T6_T7_T9_mT8_P12ihipStream_tbDpT10_ENKUlT_T0_E_clISt17integral_constantIbLb0EES1B_IbLb1EEEEDaS17_S18_EUlS17_E_NS1_11comp_targetILNS1_3genE9ELNS1_11target_archE1100ELNS1_3gpuE3ELNS1_3repE0EEENS1_30default_config_static_selectorELNS0_4arch9wavefront6targetE1EEEvT1_.kd
    .uniform_work_group_size: 1
    .uses_dynamic_stack: false
    .vgpr_count:     0
    .vgpr_spill_count: 0
    .wavefront_size: 64
  - .agpr_count:     0
    .args:
      - .offset:         0
        .size:           136
        .value_kind:     by_value
    .group_segment_fixed_size: 0
    .kernarg_segment_align: 8
    .kernarg_segment_size: 136
    .language:       OpenCL C
    .language_version:
      - 2
      - 0
    .max_flat_workgroup_size: 512
    .name:           _ZN7rocprim17ROCPRIM_400000_NS6detail17trampoline_kernelINS0_14default_configENS1_25partition_config_selectorILNS1_17partition_subalgoE8ElNS0_10empty_typeEbEEZZNS1_14partition_implILS5_8ELb0ES3_jPlPS6_PKS6_NS0_5tupleIJS9_S6_EEENSD_IJSA_SA_EEENS0_18inequality_wrapperIZN2at6native12_GLOBAL__N_124unique_dim_cuda_templateIlEESt5tupleIJNSH_6TensorESM_SM_EERKSM_lbbbEUlllE0_EEPmJS6_EEE10hipError_tPvRmT3_T4_T5_T6_T7_T9_mT8_P12ihipStream_tbDpT10_ENKUlT_T0_E_clISt17integral_constantIbLb0EES1B_IbLb1EEEEDaS17_S18_EUlS17_E_NS1_11comp_targetILNS1_3genE8ELNS1_11target_archE1030ELNS1_3gpuE2ELNS1_3repE0EEENS1_30default_config_static_selectorELNS0_4arch9wavefront6targetE1EEEvT1_
    .private_segment_fixed_size: 0
    .sgpr_count:     6
    .sgpr_spill_count: 0
    .symbol:         _ZN7rocprim17ROCPRIM_400000_NS6detail17trampoline_kernelINS0_14default_configENS1_25partition_config_selectorILNS1_17partition_subalgoE8ElNS0_10empty_typeEbEEZZNS1_14partition_implILS5_8ELb0ES3_jPlPS6_PKS6_NS0_5tupleIJS9_S6_EEENSD_IJSA_SA_EEENS0_18inequality_wrapperIZN2at6native12_GLOBAL__N_124unique_dim_cuda_templateIlEESt5tupleIJNSH_6TensorESM_SM_EERKSM_lbbbEUlllE0_EEPmJS6_EEE10hipError_tPvRmT3_T4_T5_T6_T7_T9_mT8_P12ihipStream_tbDpT10_ENKUlT_T0_E_clISt17integral_constantIbLb0EES1B_IbLb1EEEEDaS17_S18_EUlS17_E_NS1_11comp_targetILNS1_3genE8ELNS1_11target_archE1030ELNS1_3gpuE2ELNS1_3repE0EEENS1_30default_config_static_selectorELNS0_4arch9wavefront6targetE1EEEvT1_.kd
    .uniform_work_group_size: 1
    .uses_dynamic_stack: false
    .vgpr_count:     0
    .vgpr_spill_count: 0
    .wavefront_size: 64
  - .agpr_count:     0
    .args:
      - .offset:         0
        .size:           120
        .value_kind:     by_value
    .group_segment_fixed_size: 5128
    .kernarg_segment_align: 8
    .kernarg_segment_size: 120
    .language:       OpenCL C
    .language_version:
      - 2
      - 0
    .max_flat_workgroup_size: 128
    .name:           _ZN7rocprim17ROCPRIM_400000_NS6detail17trampoline_kernelINS0_14default_configENS1_25partition_config_selectorILNS1_17partition_subalgoE9EllbEEZZNS1_14partition_implILS5_9ELb0ES3_jPlS8_PNS0_10empty_typeENS0_5tupleIJS8_S9_EEENSB_IJS8_SA_EEENS0_18inequality_wrapperIZN2at6native12_GLOBAL__N_124unique_dim_cuda_templateIlEESt5tupleIJNSF_6TensorESK_SK_EERKSK_lbbbEUlllE0_EEPmJS9_EEE10hipError_tPvRmT3_T4_T5_T6_T7_T9_mT8_P12ihipStream_tbDpT10_ENKUlT_T0_E_clISt17integral_constantIbLb0EES1A_EEDaS15_S16_EUlS15_E_NS1_11comp_targetILNS1_3genE0ELNS1_11target_archE4294967295ELNS1_3gpuE0ELNS1_3repE0EEENS1_30default_config_static_selectorELNS0_4arch9wavefront6targetE1EEEvT1_
    .private_segment_fixed_size: 0
    .sgpr_count:     52
    .sgpr_spill_count: 0
    .symbol:         _ZN7rocprim17ROCPRIM_400000_NS6detail17trampoline_kernelINS0_14default_configENS1_25partition_config_selectorILNS1_17partition_subalgoE9EllbEEZZNS1_14partition_implILS5_9ELb0ES3_jPlS8_PNS0_10empty_typeENS0_5tupleIJS8_S9_EEENSB_IJS8_SA_EEENS0_18inequality_wrapperIZN2at6native12_GLOBAL__N_124unique_dim_cuda_templateIlEESt5tupleIJNSF_6TensorESK_SK_EERKSK_lbbbEUlllE0_EEPmJS9_EEE10hipError_tPvRmT3_T4_T5_T6_T7_T9_mT8_P12ihipStream_tbDpT10_ENKUlT_T0_E_clISt17integral_constantIbLb0EES1A_EEDaS15_S16_EUlS15_E_NS1_11comp_targetILNS1_3genE0ELNS1_11target_archE4294967295ELNS1_3gpuE0ELNS1_3repE0EEENS1_30default_config_static_selectorELNS0_4arch9wavefront6targetE1EEEvT1_.kd
    .uniform_work_group_size: 1
    .uses_dynamic_stack: false
    .vgpr_count:     60
    .vgpr_spill_count: 0
    .wavefront_size: 64
  - .agpr_count:     0
    .args:
      - .offset:         0
        .size:           120
        .value_kind:     by_value
    .group_segment_fixed_size: 0
    .kernarg_segment_align: 8
    .kernarg_segment_size: 120
    .language:       OpenCL C
    .language_version:
      - 2
      - 0
    .max_flat_workgroup_size: 512
    .name:           _ZN7rocprim17ROCPRIM_400000_NS6detail17trampoline_kernelINS0_14default_configENS1_25partition_config_selectorILNS1_17partition_subalgoE9EllbEEZZNS1_14partition_implILS5_9ELb0ES3_jPlS8_PNS0_10empty_typeENS0_5tupleIJS8_S9_EEENSB_IJS8_SA_EEENS0_18inequality_wrapperIZN2at6native12_GLOBAL__N_124unique_dim_cuda_templateIlEESt5tupleIJNSF_6TensorESK_SK_EERKSK_lbbbEUlllE0_EEPmJS9_EEE10hipError_tPvRmT3_T4_T5_T6_T7_T9_mT8_P12ihipStream_tbDpT10_ENKUlT_T0_E_clISt17integral_constantIbLb0EES1A_EEDaS15_S16_EUlS15_E_NS1_11comp_targetILNS1_3genE5ELNS1_11target_archE942ELNS1_3gpuE9ELNS1_3repE0EEENS1_30default_config_static_selectorELNS0_4arch9wavefront6targetE1EEEvT1_
    .private_segment_fixed_size: 0
    .sgpr_count:     6
    .sgpr_spill_count: 0
    .symbol:         _ZN7rocprim17ROCPRIM_400000_NS6detail17trampoline_kernelINS0_14default_configENS1_25partition_config_selectorILNS1_17partition_subalgoE9EllbEEZZNS1_14partition_implILS5_9ELb0ES3_jPlS8_PNS0_10empty_typeENS0_5tupleIJS8_S9_EEENSB_IJS8_SA_EEENS0_18inequality_wrapperIZN2at6native12_GLOBAL__N_124unique_dim_cuda_templateIlEESt5tupleIJNSF_6TensorESK_SK_EERKSK_lbbbEUlllE0_EEPmJS9_EEE10hipError_tPvRmT3_T4_T5_T6_T7_T9_mT8_P12ihipStream_tbDpT10_ENKUlT_T0_E_clISt17integral_constantIbLb0EES1A_EEDaS15_S16_EUlS15_E_NS1_11comp_targetILNS1_3genE5ELNS1_11target_archE942ELNS1_3gpuE9ELNS1_3repE0EEENS1_30default_config_static_selectorELNS0_4arch9wavefront6targetE1EEEvT1_.kd
    .uniform_work_group_size: 1
    .uses_dynamic_stack: false
    .vgpr_count:     0
    .vgpr_spill_count: 0
    .wavefront_size: 64
  - .agpr_count:     0
    .args:
      - .offset:         0
        .size:           120
        .value_kind:     by_value
    .group_segment_fixed_size: 0
    .kernarg_segment_align: 8
    .kernarg_segment_size: 120
    .language:       OpenCL C
    .language_version:
      - 2
      - 0
    .max_flat_workgroup_size: 128
    .name:           _ZN7rocprim17ROCPRIM_400000_NS6detail17trampoline_kernelINS0_14default_configENS1_25partition_config_selectorILNS1_17partition_subalgoE9EllbEEZZNS1_14partition_implILS5_9ELb0ES3_jPlS8_PNS0_10empty_typeENS0_5tupleIJS8_S9_EEENSB_IJS8_SA_EEENS0_18inequality_wrapperIZN2at6native12_GLOBAL__N_124unique_dim_cuda_templateIlEESt5tupleIJNSF_6TensorESK_SK_EERKSK_lbbbEUlllE0_EEPmJS9_EEE10hipError_tPvRmT3_T4_T5_T6_T7_T9_mT8_P12ihipStream_tbDpT10_ENKUlT_T0_E_clISt17integral_constantIbLb0EES1A_EEDaS15_S16_EUlS15_E_NS1_11comp_targetILNS1_3genE4ELNS1_11target_archE910ELNS1_3gpuE8ELNS1_3repE0EEENS1_30default_config_static_selectorELNS0_4arch9wavefront6targetE1EEEvT1_
    .private_segment_fixed_size: 0
    .sgpr_count:     6
    .sgpr_spill_count: 0
    .symbol:         _ZN7rocprim17ROCPRIM_400000_NS6detail17trampoline_kernelINS0_14default_configENS1_25partition_config_selectorILNS1_17partition_subalgoE9EllbEEZZNS1_14partition_implILS5_9ELb0ES3_jPlS8_PNS0_10empty_typeENS0_5tupleIJS8_S9_EEENSB_IJS8_SA_EEENS0_18inequality_wrapperIZN2at6native12_GLOBAL__N_124unique_dim_cuda_templateIlEESt5tupleIJNSF_6TensorESK_SK_EERKSK_lbbbEUlllE0_EEPmJS9_EEE10hipError_tPvRmT3_T4_T5_T6_T7_T9_mT8_P12ihipStream_tbDpT10_ENKUlT_T0_E_clISt17integral_constantIbLb0EES1A_EEDaS15_S16_EUlS15_E_NS1_11comp_targetILNS1_3genE4ELNS1_11target_archE910ELNS1_3gpuE8ELNS1_3repE0EEENS1_30default_config_static_selectorELNS0_4arch9wavefront6targetE1EEEvT1_.kd
    .uniform_work_group_size: 1
    .uses_dynamic_stack: false
    .vgpr_count:     0
    .vgpr_spill_count: 0
    .wavefront_size: 64
  - .agpr_count:     0
    .args:
      - .offset:         0
        .size:           120
        .value_kind:     by_value
    .group_segment_fixed_size: 0
    .kernarg_segment_align: 8
    .kernarg_segment_size: 120
    .language:       OpenCL C
    .language_version:
      - 2
      - 0
    .max_flat_workgroup_size: 128
    .name:           _ZN7rocprim17ROCPRIM_400000_NS6detail17trampoline_kernelINS0_14default_configENS1_25partition_config_selectorILNS1_17partition_subalgoE9EllbEEZZNS1_14partition_implILS5_9ELb0ES3_jPlS8_PNS0_10empty_typeENS0_5tupleIJS8_S9_EEENSB_IJS8_SA_EEENS0_18inequality_wrapperIZN2at6native12_GLOBAL__N_124unique_dim_cuda_templateIlEESt5tupleIJNSF_6TensorESK_SK_EERKSK_lbbbEUlllE0_EEPmJS9_EEE10hipError_tPvRmT3_T4_T5_T6_T7_T9_mT8_P12ihipStream_tbDpT10_ENKUlT_T0_E_clISt17integral_constantIbLb0EES1A_EEDaS15_S16_EUlS15_E_NS1_11comp_targetILNS1_3genE3ELNS1_11target_archE908ELNS1_3gpuE7ELNS1_3repE0EEENS1_30default_config_static_selectorELNS0_4arch9wavefront6targetE1EEEvT1_
    .private_segment_fixed_size: 0
    .sgpr_count:     6
    .sgpr_spill_count: 0
    .symbol:         _ZN7rocprim17ROCPRIM_400000_NS6detail17trampoline_kernelINS0_14default_configENS1_25partition_config_selectorILNS1_17partition_subalgoE9EllbEEZZNS1_14partition_implILS5_9ELb0ES3_jPlS8_PNS0_10empty_typeENS0_5tupleIJS8_S9_EEENSB_IJS8_SA_EEENS0_18inequality_wrapperIZN2at6native12_GLOBAL__N_124unique_dim_cuda_templateIlEESt5tupleIJNSF_6TensorESK_SK_EERKSK_lbbbEUlllE0_EEPmJS9_EEE10hipError_tPvRmT3_T4_T5_T6_T7_T9_mT8_P12ihipStream_tbDpT10_ENKUlT_T0_E_clISt17integral_constantIbLb0EES1A_EEDaS15_S16_EUlS15_E_NS1_11comp_targetILNS1_3genE3ELNS1_11target_archE908ELNS1_3gpuE7ELNS1_3repE0EEENS1_30default_config_static_selectorELNS0_4arch9wavefront6targetE1EEEvT1_.kd
    .uniform_work_group_size: 1
    .uses_dynamic_stack: false
    .vgpr_count:     0
    .vgpr_spill_count: 0
    .wavefront_size: 64
  - .agpr_count:     0
    .args:
      - .offset:         0
        .size:           120
        .value_kind:     by_value
    .group_segment_fixed_size: 0
    .kernarg_segment_align: 8
    .kernarg_segment_size: 120
    .language:       OpenCL C
    .language_version:
      - 2
      - 0
    .max_flat_workgroup_size: 192
    .name:           _ZN7rocprim17ROCPRIM_400000_NS6detail17trampoline_kernelINS0_14default_configENS1_25partition_config_selectorILNS1_17partition_subalgoE9EllbEEZZNS1_14partition_implILS5_9ELb0ES3_jPlS8_PNS0_10empty_typeENS0_5tupleIJS8_S9_EEENSB_IJS8_SA_EEENS0_18inequality_wrapperIZN2at6native12_GLOBAL__N_124unique_dim_cuda_templateIlEESt5tupleIJNSF_6TensorESK_SK_EERKSK_lbbbEUlllE0_EEPmJS9_EEE10hipError_tPvRmT3_T4_T5_T6_T7_T9_mT8_P12ihipStream_tbDpT10_ENKUlT_T0_E_clISt17integral_constantIbLb0EES1A_EEDaS15_S16_EUlS15_E_NS1_11comp_targetILNS1_3genE2ELNS1_11target_archE906ELNS1_3gpuE6ELNS1_3repE0EEENS1_30default_config_static_selectorELNS0_4arch9wavefront6targetE1EEEvT1_
    .private_segment_fixed_size: 0
    .sgpr_count:     6
    .sgpr_spill_count: 0
    .symbol:         _ZN7rocprim17ROCPRIM_400000_NS6detail17trampoline_kernelINS0_14default_configENS1_25partition_config_selectorILNS1_17partition_subalgoE9EllbEEZZNS1_14partition_implILS5_9ELb0ES3_jPlS8_PNS0_10empty_typeENS0_5tupleIJS8_S9_EEENSB_IJS8_SA_EEENS0_18inequality_wrapperIZN2at6native12_GLOBAL__N_124unique_dim_cuda_templateIlEESt5tupleIJNSF_6TensorESK_SK_EERKSK_lbbbEUlllE0_EEPmJS9_EEE10hipError_tPvRmT3_T4_T5_T6_T7_T9_mT8_P12ihipStream_tbDpT10_ENKUlT_T0_E_clISt17integral_constantIbLb0EES1A_EEDaS15_S16_EUlS15_E_NS1_11comp_targetILNS1_3genE2ELNS1_11target_archE906ELNS1_3gpuE6ELNS1_3repE0EEENS1_30default_config_static_selectorELNS0_4arch9wavefront6targetE1EEEvT1_.kd
    .uniform_work_group_size: 1
    .uses_dynamic_stack: false
    .vgpr_count:     0
    .vgpr_spill_count: 0
    .wavefront_size: 64
  - .agpr_count:     0
    .args:
      - .offset:         0
        .size:           120
        .value_kind:     by_value
    .group_segment_fixed_size: 0
    .kernarg_segment_align: 8
    .kernarg_segment_size: 120
    .language:       OpenCL C
    .language_version:
      - 2
      - 0
    .max_flat_workgroup_size: 384
    .name:           _ZN7rocprim17ROCPRIM_400000_NS6detail17trampoline_kernelINS0_14default_configENS1_25partition_config_selectorILNS1_17partition_subalgoE9EllbEEZZNS1_14partition_implILS5_9ELb0ES3_jPlS8_PNS0_10empty_typeENS0_5tupleIJS8_S9_EEENSB_IJS8_SA_EEENS0_18inequality_wrapperIZN2at6native12_GLOBAL__N_124unique_dim_cuda_templateIlEESt5tupleIJNSF_6TensorESK_SK_EERKSK_lbbbEUlllE0_EEPmJS9_EEE10hipError_tPvRmT3_T4_T5_T6_T7_T9_mT8_P12ihipStream_tbDpT10_ENKUlT_T0_E_clISt17integral_constantIbLb0EES1A_EEDaS15_S16_EUlS15_E_NS1_11comp_targetILNS1_3genE10ELNS1_11target_archE1200ELNS1_3gpuE4ELNS1_3repE0EEENS1_30default_config_static_selectorELNS0_4arch9wavefront6targetE1EEEvT1_
    .private_segment_fixed_size: 0
    .sgpr_count:     6
    .sgpr_spill_count: 0
    .symbol:         _ZN7rocprim17ROCPRIM_400000_NS6detail17trampoline_kernelINS0_14default_configENS1_25partition_config_selectorILNS1_17partition_subalgoE9EllbEEZZNS1_14partition_implILS5_9ELb0ES3_jPlS8_PNS0_10empty_typeENS0_5tupleIJS8_S9_EEENSB_IJS8_SA_EEENS0_18inequality_wrapperIZN2at6native12_GLOBAL__N_124unique_dim_cuda_templateIlEESt5tupleIJNSF_6TensorESK_SK_EERKSK_lbbbEUlllE0_EEPmJS9_EEE10hipError_tPvRmT3_T4_T5_T6_T7_T9_mT8_P12ihipStream_tbDpT10_ENKUlT_T0_E_clISt17integral_constantIbLb0EES1A_EEDaS15_S16_EUlS15_E_NS1_11comp_targetILNS1_3genE10ELNS1_11target_archE1200ELNS1_3gpuE4ELNS1_3repE0EEENS1_30default_config_static_selectorELNS0_4arch9wavefront6targetE1EEEvT1_.kd
    .uniform_work_group_size: 1
    .uses_dynamic_stack: false
    .vgpr_count:     0
    .vgpr_spill_count: 0
    .wavefront_size: 64
  - .agpr_count:     0
    .args:
      - .offset:         0
        .size:           120
        .value_kind:     by_value
    .group_segment_fixed_size: 0
    .kernarg_segment_align: 8
    .kernarg_segment_size: 120
    .language:       OpenCL C
    .language_version:
      - 2
      - 0
    .max_flat_workgroup_size: 512
    .name:           _ZN7rocprim17ROCPRIM_400000_NS6detail17trampoline_kernelINS0_14default_configENS1_25partition_config_selectorILNS1_17partition_subalgoE9EllbEEZZNS1_14partition_implILS5_9ELb0ES3_jPlS8_PNS0_10empty_typeENS0_5tupleIJS8_S9_EEENSB_IJS8_SA_EEENS0_18inequality_wrapperIZN2at6native12_GLOBAL__N_124unique_dim_cuda_templateIlEESt5tupleIJNSF_6TensorESK_SK_EERKSK_lbbbEUlllE0_EEPmJS9_EEE10hipError_tPvRmT3_T4_T5_T6_T7_T9_mT8_P12ihipStream_tbDpT10_ENKUlT_T0_E_clISt17integral_constantIbLb0EES1A_EEDaS15_S16_EUlS15_E_NS1_11comp_targetILNS1_3genE9ELNS1_11target_archE1100ELNS1_3gpuE3ELNS1_3repE0EEENS1_30default_config_static_selectorELNS0_4arch9wavefront6targetE1EEEvT1_
    .private_segment_fixed_size: 0
    .sgpr_count:     6
    .sgpr_spill_count: 0
    .symbol:         _ZN7rocprim17ROCPRIM_400000_NS6detail17trampoline_kernelINS0_14default_configENS1_25partition_config_selectorILNS1_17partition_subalgoE9EllbEEZZNS1_14partition_implILS5_9ELb0ES3_jPlS8_PNS0_10empty_typeENS0_5tupleIJS8_S9_EEENSB_IJS8_SA_EEENS0_18inequality_wrapperIZN2at6native12_GLOBAL__N_124unique_dim_cuda_templateIlEESt5tupleIJNSF_6TensorESK_SK_EERKSK_lbbbEUlllE0_EEPmJS9_EEE10hipError_tPvRmT3_T4_T5_T6_T7_T9_mT8_P12ihipStream_tbDpT10_ENKUlT_T0_E_clISt17integral_constantIbLb0EES1A_EEDaS15_S16_EUlS15_E_NS1_11comp_targetILNS1_3genE9ELNS1_11target_archE1100ELNS1_3gpuE3ELNS1_3repE0EEENS1_30default_config_static_selectorELNS0_4arch9wavefront6targetE1EEEvT1_.kd
    .uniform_work_group_size: 1
    .uses_dynamic_stack: false
    .vgpr_count:     0
    .vgpr_spill_count: 0
    .wavefront_size: 64
  - .agpr_count:     0
    .args:
      - .offset:         0
        .size:           120
        .value_kind:     by_value
    .group_segment_fixed_size: 0
    .kernarg_segment_align: 8
    .kernarg_segment_size: 120
    .language:       OpenCL C
    .language_version:
      - 2
      - 0
    .max_flat_workgroup_size: 512
    .name:           _ZN7rocprim17ROCPRIM_400000_NS6detail17trampoline_kernelINS0_14default_configENS1_25partition_config_selectorILNS1_17partition_subalgoE9EllbEEZZNS1_14partition_implILS5_9ELb0ES3_jPlS8_PNS0_10empty_typeENS0_5tupleIJS8_S9_EEENSB_IJS8_SA_EEENS0_18inequality_wrapperIZN2at6native12_GLOBAL__N_124unique_dim_cuda_templateIlEESt5tupleIJNSF_6TensorESK_SK_EERKSK_lbbbEUlllE0_EEPmJS9_EEE10hipError_tPvRmT3_T4_T5_T6_T7_T9_mT8_P12ihipStream_tbDpT10_ENKUlT_T0_E_clISt17integral_constantIbLb0EES1A_EEDaS15_S16_EUlS15_E_NS1_11comp_targetILNS1_3genE8ELNS1_11target_archE1030ELNS1_3gpuE2ELNS1_3repE0EEENS1_30default_config_static_selectorELNS0_4arch9wavefront6targetE1EEEvT1_
    .private_segment_fixed_size: 0
    .sgpr_count:     6
    .sgpr_spill_count: 0
    .symbol:         _ZN7rocprim17ROCPRIM_400000_NS6detail17trampoline_kernelINS0_14default_configENS1_25partition_config_selectorILNS1_17partition_subalgoE9EllbEEZZNS1_14partition_implILS5_9ELb0ES3_jPlS8_PNS0_10empty_typeENS0_5tupleIJS8_S9_EEENSB_IJS8_SA_EEENS0_18inequality_wrapperIZN2at6native12_GLOBAL__N_124unique_dim_cuda_templateIlEESt5tupleIJNSF_6TensorESK_SK_EERKSK_lbbbEUlllE0_EEPmJS9_EEE10hipError_tPvRmT3_T4_T5_T6_T7_T9_mT8_P12ihipStream_tbDpT10_ENKUlT_T0_E_clISt17integral_constantIbLb0EES1A_EEDaS15_S16_EUlS15_E_NS1_11comp_targetILNS1_3genE8ELNS1_11target_archE1030ELNS1_3gpuE2ELNS1_3repE0EEENS1_30default_config_static_selectorELNS0_4arch9wavefront6targetE1EEEvT1_.kd
    .uniform_work_group_size: 1
    .uses_dynamic_stack: false
    .vgpr_count:     0
    .vgpr_spill_count: 0
    .wavefront_size: 64
  - .agpr_count:     0
    .args:
      - .offset:         0
        .size:           136
        .value_kind:     by_value
    .group_segment_fixed_size: 0
    .kernarg_segment_align: 8
    .kernarg_segment_size: 136
    .language:       OpenCL C
    .language_version:
      - 2
      - 0
    .max_flat_workgroup_size: 128
    .name:           _ZN7rocprim17ROCPRIM_400000_NS6detail17trampoline_kernelINS0_14default_configENS1_25partition_config_selectorILNS1_17partition_subalgoE9EllbEEZZNS1_14partition_implILS5_9ELb0ES3_jPlS8_PNS0_10empty_typeENS0_5tupleIJS8_S9_EEENSB_IJS8_SA_EEENS0_18inequality_wrapperIZN2at6native12_GLOBAL__N_124unique_dim_cuda_templateIlEESt5tupleIJNSF_6TensorESK_SK_EERKSK_lbbbEUlllE0_EEPmJS9_EEE10hipError_tPvRmT3_T4_T5_T6_T7_T9_mT8_P12ihipStream_tbDpT10_ENKUlT_T0_E_clISt17integral_constantIbLb1EES1A_EEDaS15_S16_EUlS15_E_NS1_11comp_targetILNS1_3genE0ELNS1_11target_archE4294967295ELNS1_3gpuE0ELNS1_3repE0EEENS1_30default_config_static_selectorELNS0_4arch9wavefront6targetE1EEEvT1_
    .private_segment_fixed_size: 0
    .sgpr_count:     6
    .sgpr_spill_count: 0
    .symbol:         _ZN7rocprim17ROCPRIM_400000_NS6detail17trampoline_kernelINS0_14default_configENS1_25partition_config_selectorILNS1_17partition_subalgoE9EllbEEZZNS1_14partition_implILS5_9ELb0ES3_jPlS8_PNS0_10empty_typeENS0_5tupleIJS8_S9_EEENSB_IJS8_SA_EEENS0_18inequality_wrapperIZN2at6native12_GLOBAL__N_124unique_dim_cuda_templateIlEESt5tupleIJNSF_6TensorESK_SK_EERKSK_lbbbEUlllE0_EEPmJS9_EEE10hipError_tPvRmT3_T4_T5_T6_T7_T9_mT8_P12ihipStream_tbDpT10_ENKUlT_T0_E_clISt17integral_constantIbLb1EES1A_EEDaS15_S16_EUlS15_E_NS1_11comp_targetILNS1_3genE0ELNS1_11target_archE4294967295ELNS1_3gpuE0ELNS1_3repE0EEENS1_30default_config_static_selectorELNS0_4arch9wavefront6targetE1EEEvT1_.kd
    .uniform_work_group_size: 1
    .uses_dynamic_stack: false
    .vgpr_count:     0
    .vgpr_spill_count: 0
    .wavefront_size: 64
  - .agpr_count:     0
    .args:
      - .offset:         0
        .size:           136
        .value_kind:     by_value
    .group_segment_fixed_size: 0
    .kernarg_segment_align: 8
    .kernarg_segment_size: 136
    .language:       OpenCL C
    .language_version:
      - 2
      - 0
    .max_flat_workgroup_size: 512
    .name:           _ZN7rocprim17ROCPRIM_400000_NS6detail17trampoline_kernelINS0_14default_configENS1_25partition_config_selectorILNS1_17partition_subalgoE9EllbEEZZNS1_14partition_implILS5_9ELb0ES3_jPlS8_PNS0_10empty_typeENS0_5tupleIJS8_S9_EEENSB_IJS8_SA_EEENS0_18inequality_wrapperIZN2at6native12_GLOBAL__N_124unique_dim_cuda_templateIlEESt5tupleIJNSF_6TensorESK_SK_EERKSK_lbbbEUlllE0_EEPmJS9_EEE10hipError_tPvRmT3_T4_T5_T6_T7_T9_mT8_P12ihipStream_tbDpT10_ENKUlT_T0_E_clISt17integral_constantIbLb1EES1A_EEDaS15_S16_EUlS15_E_NS1_11comp_targetILNS1_3genE5ELNS1_11target_archE942ELNS1_3gpuE9ELNS1_3repE0EEENS1_30default_config_static_selectorELNS0_4arch9wavefront6targetE1EEEvT1_
    .private_segment_fixed_size: 0
    .sgpr_count:     6
    .sgpr_spill_count: 0
    .symbol:         _ZN7rocprim17ROCPRIM_400000_NS6detail17trampoline_kernelINS0_14default_configENS1_25partition_config_selectorILNS1_17partition_subalgoE9EllbEEZZNS1_14partition_implILS5_9ELb0ES3_jPlS8_PNS0_10empty_typeENS0_5tupleIJS8_S9_EEENSB_IJS8_SA_EEENS0_18inequality_wrapperIZN2at6native12_GLOBAL__N_124unique_dim_cuda_templateIlEESt5tupleIJNSF_6TensorESK_SK_EERKSK_lbbbEUlllE0_EEPmJS9_EEE10hipError_tPvRmT3_T4_T5_T6_T7_T9_mT8_P12ihipStream_tbDpT10_ENKUlT_T0_E_clISt17integral_constantIbLb1EES1A_EEDaS15_S16_EUlS15_E_NS1_11comp_targetILNS1_3genE5ELNS1_11target_archE942ELNS1_3gpuE9ELNS1_3repE0EEENS1_30default_config_static_selectorELNS0_4arch9wavefront6targetE1EEEvT1_.kd
    .uniform_work_group_size: 1
    .uses_dynamic_stack: false
    .vgpr_count:     0
    .vgpr_spill_count: 0
    .wavefront_size: 64
  - .agpr_count:     0
    .args:
      - .offset:         0
        .size:           136
        .value_kind:     by_value
    .group_segment_fixed_size: 0
    .kernarg_segment_align: 8
    .kernarg_segment_size: 136
    .language:       OpenCL C
    .language_version:
      - 2
      - 0
    .max_flat_workgroup_size: 128
    .name:           _ZN7rocprim17ROCPRIM_400000_NS6detail17trampoline_kernelINS0_14default_configENS1_25partition_config_selectorILNS1_17partition_subalgoE9EllbEEZZNS1_14partition_implILS5_9ELb0ES3_jPlS8_PNS0_10empty_typeENS0_5tupleIJS8_S9_EEENSB_IJS8_SA_EEENS0_18inequality_wrapperIZN2at6native12_GLOBAL__N_124unique_dim_cuda_templateIlEESt5tupleIJNSF_6TensorESK_SK_EERKSK_lbbbEUlllE0_EEPmJS9_EEE10hipError_tPvRmT3_T4_T5_T6_T7_T9_mT8_P12ihipStream_tbDpT10_ENKUlT_T0_E_clISt17integral_constantIbLb1EES1A_EEDaS15_S16_EUlS15_E_NS1_11comp_targetILNS1_3genE4ELNS1_11target_archE910ELNS1_3gpuE8ELNS1_3repE0EEENS1_30default_config_static_selectorELNS0_4arch9wavefront6targetE1EEEvT1_
    .private_segment_fixed_size: 0
    .sgpr_count:     6
    .sgpr_spill_count: 0
    .symbol:         _ZN7rocprim17ROCPRIM_400000_NS6detail17trampoline_kernelINS0_14default_configENS1_25partition_config_selectorILNS1_17partition_subalgoE9EllbEEZZNS1_14partition_implILS5_9ELb0ES3_jPlS8_PNS0_10empty_typeENS0_5tupleIJS8_S9_EEENSB_IJS8_SA_EEENS0_18inequality_wrapperIZN2at6native12_GLOBAL__N_124unique_dim_cuda_templateIlEESt5tupleIJNSF_6TensorESK_SK_EERKSK_lbbbEUlllE0_EEPmJS9_EEE10hipError_tPvRmT3_T4_T5_T6_T7_T9_mT8_P12ihipStream_tbDpT10_ENKUlT_T0_E_clISt17integral_constantIbLb1EES1A_EEDaS15_S16_EUlS15_E_NS1_11comp_targetILNS1_3genE4ELNS1_11target_archE910ELNS1_3gpuE8ELNS1_3repE0EEENS1_30default_config_static_selectorELNS0_4arch9wavefront6targetE1EEEvT1_.kd
    .uniform_work_group_size: 1
    .uses_dynamic_stack: false
    .vgpr_count:     0
    .vgpr_spill_count: 0
    .wavefront_size: 64
  - .agpr_count:     0
    .args:
      - .offset:         0
        .size:           136
        .value_kind:     by_value
    .group_segment_fixed_size: 0
    .kernarg_segment_align: 8
    .kernarg_segment_size: 136
    .language:       OpenCL C
    .language_version:
      - 2
      - 0
    .max_flat_workgroup_size: 128
    .name:           _ZN7rocprim17ROCPRIM_400000_NS6detail17trampoline_kernelINS0_14default_configENS1_25partition_config_selectorILNS1_17partition_subalgoE9EllbEEZZNS1_14partition_implILS5_9ELb0ES3_jPlS8_PNS0_10empty_typeENS0_5tupleIJS8_S9_EEENSB_IJS8_SA_EEENS0_18inequality_wrapperIZN2at6native12_GLOBAL__N_124unique_dim_cuda_templateIlEESt5tupleIJNSF_6TensorESK_SK_EERKSK_lbbbEUlllE0_EEPmJS9_EEE10hipError_tPvRmT3_T4_T5_T6_T7_T9_mT8_P12ihipStream_tbDpT10_ENKUlT_T0_E_clISt17integral_constantIbLb1EES1A_EEDaS15_S16_EUlS15_E_NS1_11comp_targetILNS1_3genE3ELNS1_11target_archE908ELNS1_3gpuE7ELNS1_3repE0EEENS1_30default_config_static_selectorELNS0_4arch9wavefront6targetE1EEEvT1_
    .private_segment_fixed_size: 0
    .sgpr_count:     6
    .sgpr_spill_count: 0
    .symbol:         _ZN7rocprim17ROCPRIM_400000_NS6detail17trampoline_kernelINS0_14default_configENS1_25partition_config_selectorILNS1_17partition_subalgoE9EllbEEZZNS1_14partition_implILS5_9ELb0ES3_jPlS8_PNS0_10empty_typeENS0_5tupleIJS8_S9_EEENSB_IJS8_SA_EEENS0_18inequality_wrapperIZN2at6native12_GLOBAL__N_124unique_dim_cuda_templateIlEESt5tupleIJNSF_6TensorESK_SK_EERKSK_lbbbEUlllE0_EEPmJS9_EEE10hipError_tPvRmT3_T4_T5_T6_T7_T9_mT8_P12ihipStream_tbDpT10_ENKUlT_T0_E_clISt17integral_constantIbLb1EES1A_EEDaS15_S16_EUlS15_E_NS1_11comp_targetILNS1_3genE3ELNS1_11target_archE908ELNS1_3gpuE7ELNS1_3repE0EEENS1_30default_config_static_selectorELNS0_4arch9wavefront6targetE1EEEvT1_.kd
    .uniform_work_group_size: 1
    .uses_dynamic_stack: false
    .vgpr_count:     0
    .vgpr_spill_count: 0
    .wavefront_size: 64
  - .agpr_count:     0
    .args:
      - .offset:         0
        .size:           136
        .value_kind:     by_value
    .group_segment_fixed_size: 0
    .kernarg_segment_align: 8
    .kernarg_segment_size: 136
    .language:       OpenCL C
    .language_version:
      - 2
      - 0
    .max_flat_workgroup_size: 192
    .name:           _ZN7rocprim17ROCPRIM_400000_NS6detail17trampoline_kernelINS0_14default_configENS1_25partition_config_selectorILNS1_17partition_subalgoE9EllbEEZZNS1_14partition_implILS5_9ELb0ES3_jPlS8_PNS0_10empty_typeENS0_5tupleIJS8_S9_EEENSB_IJS8_SA_EEENS0_18inequality_wrapperIZN2at6native12_GLOBAL__N_124unique_dim_cuda_templateIlEESt5tupleIJNSF_6TensorESK_SK_EERKSK_lbbbEUlllE0_EEPmJS9_EEE10hipError_tPvRmT3_T4_T5_T6_T7_T9_mT8_P12ihipStream_tbDpT10_ENKUlT_T0_E_clISt17integral_constantIbLb1EES1A_EEDaS15_S16_EUlS15_E_NS1_11comp_targetILNS1_3genE2ELNS1_11target_archE906ELNS1_3gpuE6ELNS1_3repE0EEENS1_30default_config_static_selectorELNS0_4arch9wavefront6targetE1EEEvT1_
    .private_segment_fixed_size: 0
    .sgpr_count:     6
    .sgpr_spill_count: 0
    .symbol:         _ZN7rocprim17ROCPRIM_400000_NS6detail17trampoline_kernelINS0_14default_configENS1_25partition_config_selectorILNS1_17partition_subalgoE9EllbEEZZNS1_14partition_implILS5_9ELb0ES3_jPlS8_PNS0_10empty_typeENS0_5tupleIJS8_S9_EEENSB_IJS8_SA_EEENS0_18inequality_wrapperIZN2at6native12_GLOBAL__N_124unique_dim_cuda_templateIlEESt5tupleIJNSF_6TensorESK_SK_EERKSK_lbbbEUlllE0_EEPmJS9_EEE10hipError_tPvRmT3_T4_T5_T6_T7_T9_mT8_P12ihipStream_tbDpT10_ENKUlT_T0_E_clISt17integral_constantIbLb1EES1A_EEDaS15_S16_EUlS15_E_NS1_11comp_targetILNS1_3genE2ELNS1_11target_archE906ELNS1_3gpuE6ELNS1_3repE0EEENS1_30default_config_static_selectorELNS0_4arch9wavefront6targetE1EEEvT1_.kd
    .uniform_work_group_size: 1
    .uses_dynamic_stack: false
    .vgpr_count:     0
    .vgpr_spill_count: 0
    .wavefront_size: 64
  - .agpr_count:     0
    .args:
      - .offset:         0
        .size:           136
        .value_kind:     by_value
    .group_segment_fixed_size: 0
    .kernarg_segment_align: 8
    .kernarg_segment_size: 136
    .language:       OpenCL C
    .language_version:
      - 2
      - 0
    .max_flat_workgroup_size: 384
    .name:           _ZN7rocprim17ROCPRIM_400000_NS6detail17trampoline_kernelINS0_14default_configENS1_25partition_config_selectorILNS1_17partition_subalgoE9EllbEEZZNS1_14partition_implILS5_9ELb0ES3_jPlS8_PNS0_10empty_typeENS0_5tupleIJS8_S9_EEENSB_IJS8_SA_EEENS0_18inequality_wrapperIZN2at6native12_GLOBAL__N_124unique_dim_cuda_templateIlEESt5tupleIJNSF_6TensorESK_SK_EERKSK_lbbbEUlllE0_EEPmJS9_EEE10hipError_tPvRmT3_T4_T5_T6_T7_T9_mT8_P12ihipStream_tbDpT10_ENKUlT_T0_E_clISt17integral_constantIbLb1EES1A_EEDaS15_S16_EUlS15_E_NS1_11comp_targetILNS1_3genE10ELNS1_11target_archE1200ELNS1_3gpuE4ELNS1_3repE0EEENS1_30default_config_static_selectorELNS0_4arch9wavefront6targetE1EEEvT1_
    .private_segment_fixed_size: 0
    .sgpr_count:     6
    .sgpr_spill_count: 0
    .symbol:         _ZN7rocprim17ROCPRIM_400000_NS6detail17trampoline_kernelINS0_14default_configENS1_25partition_config_selectorILNS1_17partition_subalgoE9EllbEEZZNS1_14partition_implILS5_9ELb0ES3_jPlS8_PNS0_10empty_typeENS0_5tupleIJS8_S9_EEENSB_IJS8_SA_EEENS0_18inequality_wrapperIZN2at6native12_GLOBAL__N_124unique_dim_cuda_templateIlEESt5tupleIJNSF_6TensorESK_SK_EERKSK_lbbbEUlllE0_EEPmJS9_EEE10hipError_tPvRmT3_T4_T5_T6_T7_T9_mT8_P12ihipStream_tbDpT10_ENKUlT_T0_E_clISt17integral_constantIbLb1EES1A_EEDaS15_S16_EUlS15_E_NS1_11comp_targetILNS1_3genE10ELNS1_11target_archE1200ELNS1_3gpuE4ELNS1_3repE0EEENS1_30default_config_static_selectorELNS0_4arch9wavefront6targetE1EEEvT1_.kd
    .uniform_work_group_size: 1
    .uses_dynamic_stack: false
    .vgpr_count:     0
    .vgpr_spill_count: 0
    .wavefront_size: 64
  - .agpr_count:     0
    .args:
      - .offset:         0
        .size:           136
        .value_kind:     by_value
    .group_segment_fixed_size: 0
    .kernarg_segment_align: 8
    .kernarg_segment_size: 136
    .language:       OpenCL C
    .language_version:
      - 2
      - 0
    .max_flat_workgroup_size: 512
    .name:           _ZN7rocprim17ROCPRIM_400000_NS6detail17trampoline_kernelINS0_14default_configENS1_25partition_config_selectorILNS1_17partition_subalgoE9EllbEEZZNS1_14partition_implILS5_9ELb0ES3_jPlS8_PNS0_10empty_typeENS0_5tupleIJS8_S9_EEENSB_IJS8_SA_EEENS0_18inequality_wrapperIZN2at6native12_GLOBAL__N_124unique_dim_cuda_templateIlEESt5tupleIJNSF_6TensorESK_SK_EERKSK_lbbbEUlllE0_EEPmJS9_EEE10hipError_tPvRmT3_T4_T5_T6_T7_T9_mT8_P12ihipStream_tbDpT10_ENKUlT_T0_E_clISt17integral_constantIbLb1EES1A_EEDaS15_S16_EUlS15_E_NS1_11comp_targetILNS1_3genE9ELNS1_11target_archE1100ELNS1_3gpuE3ELNS1_3repE0EEENS1_30default_config_static_selectorELNS0_4arch9wavefront6targetE1EEEvT1_
    .private_segment_fixed_size: 0
    .sgpr_count:     6
    .sgpr_spill_count: 0
    .symbol:         _ZN7rocprim17ROCPRIM_400000_NS6detail17trampoline_kernelINS0_14default_configENS1_25partition_config_selectorILNS1_17partition_subalgoE9EllbEEZZNS1_14partition_implILS5_9ELb0ES3_jPlS8_PNS0_10empty_typeENS0_5tupleIJS8_S9_EEENSB_IJS8_SA_EEENS0_18inequality_wrapperIZN2at6native12_GLOBAL__N_124unique_dim_cuda_templateIlEESt5tupleIJNSF_6TensorESK_SK_EERKSK_lbbbEUlllE0_EEPmJS9_EEE10hipError_tPvRmT3_T4_T5_T6_T7_T9_mT8_P12ihipStream_tbDpT10_ENKUlT_T0_E_clISt17integral_constantIbLb1EES1A_EEDaS15_S16_EUlS15_E_NS1_11comp_targetILNS1_3genE9ELNS1_11target_archE1100ELNS1_3gpuE3ELNS1_3repE0EEENS1_30default_config_static_selectorELNS0_4arch9wavefront6targetE1EEEvT1_.kd
    .uniform_work_group_size: 1
    .uses_dynamic_stack: false
    .vgpr_count:     0
    .vgpr_spill_count: 0
    .wavefront_size: 64
  - .agpr_count:     0
    .args:
      - .offset:         0
        .size:           136
        .value_kind:     by_value
    .group_segment_fixed_size: 0
    .kernarg_segment_align: 8
    .kernarg_segment_size: 136
    .language:       OpenCL C
    .language_version:
      - 2
      - 0
    .max_flat_workgroup_size: 512
    .name:           _ZN7rocprim17ROCPRIM_400000_NS6detail17trampoline_kernelINS0_14default_configENS1_25partition_config_selectorILNS1_17partition_subalgoE9EllbEEZZNS1_14partition_implILS5_9ELb0ES3_jPlS8_PNS0_10empty_typeENS0_5tupleIJS8_S9_EEENSB_IJS8_SA_EEENS0_18inequality_wrapperIZN2at6native12_GLOBAL__N_124unique_dim_cuda_templateIlEESt5tupleIJNSF_6TensorESK_SK_EERKSK_lbbbEUlllE0_EEPmJS9_EEE10hipError_tPvRmT3_T4_T5_T6_T7_T9_mT8_P12ihipStream_tbDpT10_ENKUlT_T0_E_clISt17integral_constantIbLb1EES1A_EEDaS15_S16_EUlS15_E_NS1_11comp_targetILNS1_3genE8ELNS1_11target_archE1030ELNS1_3gpuE2ELNS1_3repE0EEENS1_30default_config_static_selectorELNS0_4arch9wavefront6targetE1EEEvT1_
    .private_segment_fixed_size: 0
    .sgpr_count:     6
    .sgpr_spill_count: 0
    .symbol:         _ZN7rocprim17ROCPRIM_400000_NS6detail17trampoline_kernelINS0_14default_configENS1_25partition_config_selectorILNS1_17partition_subalgoE9EllbEEZZNS1_14partition_implILS5_9ELb0ES3_jPlS8_PNS0_10empty_typeENS0_5tupleIJS8_S9_EEENSB_IJS8_SA_EEENS0_18inequality_wrapperIZN2at6native12_GLOBAL__N_124unique_dim_cuda_templateIlEESt5tupleIJNSF_6TensorESK_SK_EERKSK_lbbbEUlllE0_EEPmJS9_EEE10hipError_tPvRmT3_T4_T5_T6_T7_T9_mT8_P12ihipStream_tbDpT10_ENKUlT_T0_E_clISt17integral_constantIbLb1EES1A_EEDaS15_S16_EUlS15_E_NS1_11comp_targetILNS1_3genE8ELNS1_11target_archE1030ELNS1_3gpuE2ELNS1_3repE0EEENS1_30default_config_static_selectorELNS0_4arch9wavefront6targetE1EEEvT1_.kd
    .uniform_work_group_size: 1
    .uses_dynamic_stack: false
    .vgpr_count:     0
    .vgpr_spill_count: 0
    .wavefront_size: 64
  - .agpr_count:     0
    .args:
      - .offset:         0
        .size:           120
        .value_kind:     by_value
    .group_segment_fixed_size: 0
    .kernarg_segment_align: 8
    .kernarg_segment_size: 120
    .language:       OpenCL C
    .language_version:
      - 2
      - 0
    .max_flat_workgroup_size: 128
    .name:           _ZN7rocprim17ROCPRIM_400000_NS6detail17trampoline_kernelINS0_14default_configENS1_25partition_config_selectorILNS1_17partition_subalgoE9EllbEEZZNS1_14partition_implILS5_9ELb0ES3_jPlS8_PNS0_10empty_typeENS0_5tupleIJS8_S9_EEENSB_IJS8_SA_EEENS0_18inequality_wrapperIZN2at6native12_GLOBAL__N_124unique_dim_cuda_templateIlEESt5tupleIJNSF_6TensorESK_SK_EERKSK_lbbbEUlllE0_EEPmJS9_EEE10hipError_tPvRmT3_T4_T5_T6_T7_T9_mT8_P12ihipStream_tbDpT10_ENKUlT_T0_E_clISt17integral_constantIbLb1EES19_IbLb0EEEEDaS15_S16_EUlS15_E_NS1_11comp_targetILNS1_3genE0ELNS1_11target_archE4294967295ELNS1_3gpuE0ELNS1_3repE0EEENS1_30default_config_static_selectorELNS0_4arch9wavefront6targetE1EEEvT1_
    .private_segment_fixed_size: 0
    .sgpr_count:     6
    .sgpr_spill_count: 0
    .symbol:         _ZN7rocprim17ROCPRIM_400000_NS6detail17trampoline_kernelINS0_14default_configENS1_25partition_config_selectorILNS1_17partition_subalgoE9EllbEEZZNS1_14partition_implILS5_9ELb0ES3_jPlS8_PNS0_10empty_typeENS0_5tupleIJS8_S9_EEENSB_IJS8_SA_EEENS0_18inequality_wrapperIZN2at6native12_GLOBAL__N_124unique_dim_cuda_templateIlEESt5tupleIJNSF_6TensorESK_SK_EERKSK_lbbbEUlllE0_EEPmJS9_EEE10hipError_tPvRmT3_T4_T5_T6_T7_T9_mT8_P12ihipStream_tbDpT10_ENKUlT_T0_E_clISt17integral_constantIbLb1EES19_IbLb0EEEEDaS15_S16_EUlS15_E_NS1_11comp_targetILNS1_3genE0ELNS1_11target_archE4294967295ELNS1_3gpuE0ELNS1_3repE0EEENS1_30default_config_static_selectorELNS0_4arch9wavefront6targetE1EEEvT1_.kd
    .uniform_work_group_size: 1
    .uses_dynamic_stack: false
    .vgpr_count:     0
    .vgpr_spill_count: 0
    .wavefront_size: 64
  - .agpr_count:     0
    .args:
      - .offset:         0
        .size:           120
        .value_kind:     by_value
    .group_segment_fixed_size: 0
    .kernarg_segment_align: 8
    .kernarg_segment_size: 120
    .language:       OpenCL C
    .language_version:
      - 2
      - 0
    .max_flat_workgroup_size: 512
    .name:           _ZN7rocprim17ROCPRIM_400000_NS6detail17trampoline_kernelINS0_14default_configENS1_25partition_config_selectorILNS1_17partition_subalgoE9EllbEEZZNS1_14partition_implILS5_9ELb0ES3_jPlS8_PNS0_10empty_typeENS0_5tupleIJS8_S9_EEENSB_IJS8_SA_EEENS0_18inequality_wrapperIZN2at6native12_GLOBAL__N_124unique_dim_cuda_templateIlEESt5tupleIJNSF_6TensorESK_SK_EERKSK_lbbbEUlllE0_EEPmJS9_EEE10hipError_tPvRmT3_T4_T5_T6_T7_T9_mT8_P12ihipStream_tbDpT10_ENKUlT_T0_E_clISt17integral_constantIbLb1EES19_IbLb0EEEEDaS15_S16_EUlS15_E_NS1_11comp_targetILNS1_3genE5ELNS1_11target_archE942ELNS1_3gpuE9ELNS1_3repE0EEENS1_30default_config_static_selectorELNS0_4arch9wavefront6targetE1EEEvT1_
    .private_segment_fixed_size: 0
    .sgpr_count:     6
    .sgpr_spill_count: 0
    .symbol:         _ZN7rocprim17ROCPRIM_400000_NS6detail17trampoline_kernelINS0_14default_configENS1_25partition_config_selectorILNS1_17partition_subalgoE9EllbEEZZNS1_14partition_implILS5_9ELb0ES3_jPlS8_PNS0_10empty_typeENS0_5tupleIJS8_S9_EEENSB_IJS8_SA_EEENS0_18inequality_wrapperIZN2at6native12_GLOBAL__N_124unique_dim_cuda_templateIlEESt5tupleIJNSF_6TensorESK_SK_EERKSK_lbbbEUlllE0_EEPmJS9_EEE10hipError_tPvRmT3_T4_T5_T6_T7_T9_mT8_P12ihipStream_tbDpT10_ENKUlT_T0_E_clISt17integral_constantIbLb1EES19_IbLb0EEEEDaS15_S16_EUlS15_E_NS1_11comp_targetILNS1_3genE5ELNS1_11target_archE942ELNS1_3gpuE9ELNS1_3repE0EEENS1_30default_config_static_selectorELNS0_4arch9wavefront6targetE1EEEvT1_.kd
    .uniform_work_group_size: 1
    .uses_dynamic_stack: false
    .vgpr_count:     0
    .vgpr_spill_count: 0
    .wavefront_size: 64
  - .agpr_count:     0
    .args:
      - .offset:         0
        .size:           120
        .value_kind:     by_value
    .group_segment_fixed_size: 0
    .kernarg_segment_align: 8
    .kernarg_segment_size: 120
    .language:       OpenCL C
    .language_version:
      - 2
      - 0
    .max_flat_workgroup_size: 128
    .name:           _ZN7rocprim17ROCPRIM_400000_NS6detail17trampoline_kernelINS0_14default_configENS1_25partition_config_selectorILNS1_17partition_subalgoE9EllbEEZZNS1_14partition_implILS5_9ELb0ES3_jPlS8_PNS0_10empty_typeENS0_5tupleIJS8_S9_EEENSB_IJS8_SA_EEENS0_18inequality_wrapperIZN2at6native12_GLOBAL__N_124unique_dim_cuda_templateIlEESt5tupleIJNSF_6TensorESK_SK_EERKSK_lbbbEUlllE0_EEPmJS9_EEE10hipError_tPvRmT3_T4_T5_T6_T7_T9_mT8_P12ihipStream_tbDpT10_ENKUlT_T0_E_clISt17integral_constantIbLb1EES19_IbLb0EEEEDaS15_S16_EUlS15_E_NS1_11comp_targetILNS1_3genE4ELNS1_11target_archE910ELNS1_3gpuE8ELNS1_3repE0EEENS1_30default_config_static_selectorELNS0_4arch9wavefront6targetE1EEEvT1_
    .private_segment_fixed_size: 0
    .sgpr_count:     6
    .sgpr_spill_count: 0
    .symbol:         _ZN7rocprim17ROCPRIM_400000_NS6detail17trampoline_kernelINS0_14default_configENS1_25partition_config_selectorILNS1_17partition_subalgoE9EllbEEZZNS1_14partition_implILS5_9ELb0ES3_jPlS8_PNS0_10empty_typeENS0_5tupleIJS8_S9_EEENSB_IJS8_SA_EEENS0_18inequality_wrapperIZN2at6native12_GLOBAL__N_124unique_dim_cuda_templateIlEESt5tupleIJNSF_6TensorESK_SK_EERKSK_lbbbEUlllE0_EEPmJS9_EEE10hipError_tPvRmT3_T4_T5_T6_T7_T9_mT8_P12ihipStream_tbDpT10_ENKUlT_T0_E_clISt17integral_constantIbLb1EES19_IbLb0EEEEDaS15_S16_EUlS15_E_NS1_11comp_targetILNS1_3genE4ELNS1_11target_archE910ELNS1_3gpuE8ELNS1_3repE0EEENS1_30default_config_static_selectorELNS0_4arch9wavefront6targetE1EEEvT1_.kd
    .uniform_work_group_size: 1
    .uses_dynamic_stack: false
    .vgpr_count:     0
    .vgpr_spill_count: 0
    .wavefront_size: 64
  - .agpr_count:     0
    .args:
      - .offset:         0
        .size:           120
        .value_kind:     by_value
    .group_segment_fixed_size: 0
    .kernarg_segment_align: 8
    .kernarg_segment_size: 120
    .language:       OpenCL C
    .language_version:
      - 2
      - 0
    .max_flat_workgroup_size: 128
    .name:           _ZN7rocprim17ROCPRIM_400000_NS6detail17trampoline_kernelINS0_14default_configENS1_25partition_config_selectorILNS1_17partition_subalgoE9EllbEEZZNS1_14partition_implILS5_9ELb0ES3_jPlS8_PNS0_10empty_typeENS0_5tupleIJS8_S9_EEENSB_IJS8_SA_EEENS0_18inequality_wrapperIZN2at6native12_GLOBAL__N_124unique_dim_cuda_templateIlEESt5tupleIJNSF_6TensorESK_SK_EERKSK_lbbbEUlllE0_EEPmJS9_EEE10hipError_tPvRmT3_T4_T5_T6_T7_T9_mT8_P12ihipStream_tbDpT10_ENKUlT_T0_E_clISt17integral_constantIbLb1EES19_IbLb0EEEEDaS15_S16_EUlS15_E_NS1_11comp_targetILNS1_3genE3ELNS1_11target_archE908ELNS1_3gpuE7ELNS1_3repE0EEENS1_30default_config_static_selectorELNS0_4arch9wavefront6targetE1EEEvT1_
    .private_segment_fixed_size: 0
    .sgpr_count:     6
    .sgpr_spill_count: 0
    .symbol:         _ZN7rocprim17ROCPRIM_400000_NS6detail17trampoline_kernelINS0_14default_configENS1_25partition_config_selectorILNS1_17partition_subalgoE9EllbEEZZNS1_14partition_implILS5_9ELb0ES3_jPlS8_PNS0_10empty_typeENS0_5tupleIJS8_S9_EEENSB_IJS8_SA_EEENS0_18inequality_wrapperIZN2at6native12_GLOBAL__N_124unique_dim_cuda_templateIlEESt5tupleIJNSF_6TensorESK_SK_EERKSK_lbbbEUlllE0_EEPmJS9_EEE10hipError_tPvRmT3_T4_T5_T6_T7_T9_mT8_P12ihipStream_tbDpT10_ENKUlT_T0_E_clISt17integral_constantIbLb1EES19_IbLb0EEEEDaS15_S16_EUlS15_E_NS1_11comp_targetILNS1_3genE3ELNS1_11target_archE908ELNS1_3gpuE7ELNS1_3repE0EEENS1_30default_config_static_selectorELNS0_4arch9wavefront6targetE1EEEvT1_.kd
    .uniform_work_group_size: 1
    .uses_dynamic_stack: false
    .vgpr_count:     0
    .vgpr_spill_count: 0
    .wavefront_size: 64
  - .agpr_count:     0
    .args:
      - .offset:         0
        .size:           120
        .value_kind:     by_value
    .group_segment_fixed_size: 0
    .kernarg_segment_align: 8
    .kernarg_segment_size: 120
    .language:       OpenCL C
    .language_version:
      - 2
      - 0
    .max_flat_workgroup_size: 192
    .name:           _ZN7rocprim17ROCPRIM_400000_NS6detail17trampoline_kernelINS0_14default_configENS1_25partition_config_selectorILNS1_17partition_subalgoE9EllbEEZZNS1_14partition_implILS5_9ELb0ES3_jPlS8_PNS0_10empty_typeENS0_5tupleIJS8_S9_EEENSB_IJS8_SA_EEENS0_18inequality_wrapperIZN2at6native12_GLOBAL__N_124unique_dim_cuda_templateIlEESt5tupleIJNSF_6TensorESK_SK_EERKSK_lbbbEUlllE0_EEPmJS9_EEE10hipError_tPvRmT3_T4_T5_T6_T7_T9_mT8_P12ihipStream_tbDpT10_ENKUlT_T0_E_clISt17integral_constantIbLb1EES19_IbLb0EEEEDaS15_S16_EUlS15_E_NS1_11comp_targetILNS1_3genE2ELNS1_11target_archE906ELNS1_3gpuE6ELNS1_3repE0EEENS1_30default_config_static_selectorELNS0_4arch9wavefront6targetE1EEEvT1_
    .private_segment_fixed_size: 0
    .sgpr_count:     6
    .sgpr_spill_count: 0
    .symbol:         _ZN7rocprim17ROCPRIM_400000_NS6detail17trampoline_kernelINS0_14default_configENS1_25partition_config_selectorILNS1_17partition_subalgoE9EllbEEZZNS1_14partition_implILS5_9ELb0ES3_jPlS8_PNS0_10empty_typeENS0_5tupleIJS8_S9_EEENSB_IJS8_SA_EEENS0_18inequality_wrapperIZN2at6native12_GLOBAL__N_124unique_dim_cuda_templateIlEESt5tupleIJNSF_6TensorESK_SK_EERKSK_lbbbEUlllE0_EEPmJS9_EEE10hipError_tPvRmT3_T4_T5_T6_T7_T9_mT8_P12ihipStream_tbDpT10_ENKUlT_T0_E_clISt17integral_constantIbLb1EES19_IbLb0EEEEDaS15_S16_EUlS15_E_NS1_11comp_targetILNS1_3genE2ELNS1_11target_archE906ELNS1_3gpuE6ELNS1_3repE0EEENS1_30default_config_static_selectorELNS0_4arch9wavefront6targetE1EEEvT1_.kd
    .uniform_work_group_size: 1
    .uses_dynamic_stack: false
    .vgpr_count:     0
    .vgpr_spill_count: 0
    .wavefront_size: 64
  - .agpr_count:     0
    .args:
      - .offset:         0
        .size:           120
        .value_kind:     by_value
    .group_segment_fixed_size: 0
    .kernarg_segment_align: 8
    .kernarg_segment_size: 120
    .language:       OpenCL C
    .language_version:
      - 2
      - 0
    .max_flat_workgroup_size: 384
    .name:           _ZN7rocprim17ROCPRIM_400000_NS6detail17trampoline_kernelINS0_14default_configENS1_25partition_config_selectorILNS1_17partition_subalgoE9EllbEEZZNS1_14partition_implILS5_9ELb0ES3_jPlS8_PNS0_10empty_typeENS0_5tupleIJS8_S9_EEENSB_IJS8_SA_EEENS0_18inequality_wrapperIZN2at6native12_GLOBAL__N_124unique_dim_cuda_templateIlEESt5tupleIJNSF_6TensorESK_SK_EERKSK_lbbbEUlllE0_EEPmJS9_EEE10hipError_tPvRmT3_T4_T5_T6_T7_T9_mT8_P12ihipStream_tbDpT10_ENKUlT_T0_E_clISt17integral_constantIbLb1EES19_IbLb0EEEEDaS15_S16_EUlS15_E_NS1_11comp_targetILNS1_3genE10ELNS1_11target_archE1200ELNS1_3gpuE4ELNS1_3repE0EEENS1_30default_config_static_selectorELNS0_4arch9wavefront6targetE1EEEvT1_
    .private_segment_fixed_size: 0
    .sgpr_count:     6
    .sgpr_spill_count: 0
    .symbol:         _ZN7rocprim17ROCPRIM_400000_NS6detail17trampoline_kernelINS0_14default_configENS1_25partition_config_selectorILNS1_17partition_subalgoE9EllbEEZZNS1_14partition_implILS5_9ELb0ES3_jPlS8_PNS0_10empty_typeENS0_5tupleIJS8_S9_EEENSB_IJS8_SA_EEENS0_18inequality_wrapperIZN2at6native12_GLOBAL__N_124unique_dim_cuda_templateIlEESt5tupleIJNSF_6TensorESK_SK_EERKSK_lbbbEUlllE0_EEPmJS9_EEE10hipError_tPvRmT3_T4_T5_T6_T7_T9_mT8_P12ihipStream_tbDpT10_ENKUlT_T0_E_clISt17integral_constantIbLb1EES19_IbLb0EEEEDaS15_S16_EUlS15_E_NS1_11comp_targetILNS1_3genE10ELNS1_11target_archE1200ELNS1_3gpuE4ELNS1_3repE0EEENS1_30default_config_static_selectorELNS0_4arch9wavefront6targetE1EEEvT1_.kd
    .uniform_work_group_size: 1
    .uses_dynamic_stack: false
    .vgpr_count:     0
    .vgpr_spill_count: 0
    .wavefront_size: 64
  - .agpr_count:     0
    .args:
      - .offset:         0
        .size:           120
        .value_kind:     by_value
    .group_segment_fixed_size: 0
    .kernarg_segment_align: 8
    .kernarg_segment_size: 120
    .language:       OpenCL C
    .language_version:
      - 2
      - 0
    .max_flat_workgroup_size: 512
    .name:           _ZN7rocprim17ROCPRIM_400000_NS6detail17trampoline_kernelINS0_14default_configENS1_25partition_config_selectorILNS1_17partition_subalgoE9EllbEEZZNS1_14partition_implILS5_9ELb0ES3_jPlS8_PNS0_10empty_typeENS0_5tupleIJS8_S9_EEENSB_IJS8_SA_EEENS0_18inequality_wrapperIZN2at6native12_GLOBAL__N_124unique_dim_cuda_templateIlEESt5tupleIJNSF_6TensorESK_SK_EERKSK_lbbbEUlllE0_EEPmJS9_EEE10hipError_tPvRmT3_T4_T5_T6_T7_T9_mT8_P12ihipStream_tbDpT10_ENKUlT_T0_E_clISt17integral_constantIbLb1EES19_IbLb0EEEEDaS15_S16_EUlS15_E_NS1_11comp_targetILNS1_3genE9ELNS1_11target_archE1100ELNS1_3gpuE3ELNS1_3repE0EEENS1_30default_config_static_selectorELNS0_4arch9wavefront6targetE1EEEvT1_
    .private_segment_fixed_size: 0
    .sgpr_count:     6
    .sgpr_spill_count: 0
    .symbol:         _ZN7rocprim17ROCPRIM_400000_NS6detail17trampoline_kernelINS0_14default_configENS1_25partition_config_selectorILNS1_17partition_subalgoE9EllbEEZZNS1_14partition_implILS5_9ELb0ES3_jPlS8_PNS0_10empty_typeENS0_5tupleIJS8_S9_EEENSB_IJS8_SA_EEENS0_18inequality_wrapperIZN2at6native12_GLOBAL__N_124unique_dim_cuda_templateIlEESt5tupleIJNSF_6TensorESK_SK_EERKSK_lbbbEUlllE0_EEPmJS9_EEE10hipError_tPvRmT3_T4_T5_T6_T7_T9_mT8_P12ihipStream_tbDpT10_ENKUlT_T0_E_clISt17integral_constantIbLb1EES19_IbLb0EEEEDaS15_S16_EUlS15_E_NS1_11comp_targetILNS1_3genE9ELNS1_11target_archE1100ELNS1_3gpuE3ELNS1_3repE0EEENS1_30default_config_static_selectorELNS0_4arch9wavefront6targetE1EEEvT1_.kd
    .uniform_work_group_size: 1
    .uses_dynamic_stack: false
    .vgpr_count:     0
    .vgpr_spill_count: 0
    .wavefront_size: 64
  - .agpr_count:     0
    .args:
      - .offset:         0
        .size:           120
        .value_kind:     by_value
    .group_segment_fixed_size: 0
    .kernarg_segment_align: 8
    .kernarg_segment_size: 120
    .language:       OpenCL C
    .language_version:
      - 2
      - 0
    .max_flat_workgroup_size: 512
    .name:           _ZN7rocprim17ROCPRIM_400000_NS6detail17trampoline_kernelINS0_14default_configENS1_25partition_config_selectorILNS1_17partition_subalgoE9EllbEEZZNS1_14partition_implILS5_9ELb0ES3_jPlS8_PNS0_10empty_typeENS0_5tupleIJS8_S9_EEENSB_IJS8_SA_EEENS0_18inequality_wrapperIZN2at6native12_GLOBAL__N_124unique_dim_cuda_templateIlEESt5tupleIJNSF_6TensorESK_SK_EERKSK_lbbbEUlllE0_EEPmJS9_EEE10hipError_tPvRmT3_T4_T5_T6_T7_T9_mT8_P12ihipStream_tbDpT10_ENKUlT_T0_E_clISt17integral_constantIbLb1EES19_IbLb0EEEEDaS15_S16_EUlS15_E_NS1_11comp_targetILNS1_3genE8ELNS1_11target_archE1030ELNS1_3gpuE2ELNS1_3repE0EEENS1_30default_config_static_selectorELNS0_4arch9wavefront6targetE1EEEvT1_
    .private_segment_fixed_size: 0
    .sgpr_count:     6
    .sgpr_spill_count: 0
    .symbol:         _ZN7rocprim17ROCPRIM_400000_NS6detail17trampoline_kernelINS0_14default_configENS1_25partition_config_selectorILNS1_17partition_subalgoE9EllbEEZZNS1_14partition_implILS5_9ELb0ES3_jPlS8_PNS0_10empty_typeENS0_5tupleIJS8_S9_EEENSB_IJS8_SA_EEENS0_18inequality_wrapperIZN2at6native12_GLOBAL__N_124unique_dim_cuda_templateIlEESt5tupleIJNSF_6TensorESK_SK_EERKSK_lbbbEUlllE0_EEPmJS9_EEE10hipError_tPvRmT3_T4_T5_T6_T7_T9_mT8_P12ihipStream_tbDpT10_ENKUlT_T0_E_clISt17integral_constantIbLb1EES19_IbLb0EEEEDaS15_S16_EUlS15_E_NS1_11comp_targetILNS1_3genE8ELNS1_11target_archE1030ELNS1_3gpuE2ELNS1_3repE0EEENS1_30default_config_static_selectorELNS0_4arch9wavefront6targetE1EEEvT1_.kd
    .uniform_work_group_size: 1
    .uses_dynamic_stack: false
    .vgpr_count:     0
    .vgpr_spill_count: 0
    .wavefront_size: 64
  - .agpr_count:     0
    .args:
      - .offset:         0
        .size:           136
        .value_kind:     by_value
    .group_segment_fixed_size: 5128
    .kernarg_segment_align: 8
    .kernarg_segment_size: 136
    .language:       OpenCL C
    .language_version:
      - 2
      - 0
    .max_flat_workgroup_size: 128
    .name:           _ZN7rocprim17ROCPRIM_400000_NS6detail17trampoline_kernelINS0_14default_configENS1_25partition_config_selectorILNS1_17partition_subalgoE9EllbEEZZNS1_14partition_implILS5_9ELb0ES3_jPlS8_PNS0_10empty_typeENS0_5tupleIJS8_S9_EEENSB_IJS8_SA_EEENS0_18inequality_wrapperIZN2at6native12_GLOBAL__N_124unique_dim_cuda_templateIlEESt5tupleIJNSF_6TensorESK_SK_EERKSK_lbbbEUlllE0_EEPmJS9_EEE10hipError_tPvRmT3_T4_T5_T6_T7_T9_mT8_P12ihipStream_tbDpT10_ENKUlT_T0_E_clISt17integral_constantIbLb0EES19_IbLb1EEEEDaS15_S16_EUlS15_E_NS1_11comp_targetILNS1_3genE0ELNS1_11target_archE4294967295ELNS1_3gpuE0ELNS1_3repE0EEENS1_30default_config_static_selectorELNS0_4arch9wavefront6targetE1EEEvT1_
    .private_segment_fixed_size: 0
    .sgpr_count:     58
    .sgpr_spill_count: 0
    .symbol:         _ZN7rocprim17ROCPRIM_400000_NS6detail17trampoline_kernelINS0_14default_configENS1_25partition_config_selectorILNS1_17partition_subalgoE9EllbEEZZNS1_14partition_implILS5_9ELb0ES3_jPlS8_PNS0_10empty_typeENS0_5tupleIJS8_S9_EEENSB_IJS8_SA_EEENS0_18inequality_wrapperIZN2at6native12_GLOBAL__N_124unique_dim_cuda_templateIlEESt5tupleIJNSF_6TensorESK_SK_EERKSK_lbbbEUlllE0_EEPmJS9_EEE10hipError_tPvRmT3_T4_T5_T6_T7_T9_mT8_P12ihipStream_tbDpT10_ENKUlT_T0_E_clISt17integral_constantIbLb0EES19_IbLb1EEEEDaS15_S16_EUlS15_E_NS1_11comp_targetILNS1_3genE0ELNS1_11target_archE4294967295ELNS1_3gpuE0ELNS1_3repE0EEENS1_30default_config_static_selectorELNS0_4arch9wavefront6targetE1EEEvT1_.kd
    .uniform_work_group_size: 1
    .uses_dynamic_stack: false
    .vgpr_count:     60
    .vgpr_spill_count: 0
    .wavefront_size: 64
  - .agpr_count:     0
    .args:
      - .offset:         0
        .size:           136
        .value_kind:     by_value
    .group_segment_fixed_size: 0
    .kernarg_segment_align: 8
    .kernarg_segment_size: 136
    .language:       OpenCL C
    .language_version:
      - 2
      - 0
    .max_flat_workgroup_size: 512
    .name:           _ZN7rocprim17ROCPRIM_400000_NS6detail17trampoline_kernelINS0_14default_configENS1_25partition_config_selectorILNS1_17partition_subalgoE9EllbEEZZNS1_14partition_implILS5_9ELb0ES3_jPlS8_PNS0_10empty_typeENS0_5tupleIJS8_S9_EEENSB_IJS8_SA_EEENS0_18inequality_wrapperIZN2at6native12_GLOBAL__N_124unique_dim_cuda_templateIlEESt5tupleIJNSF_6TensorESK_SK_EERKSK_lbbbEUlllE0_EEPmJS9_EEE10hipError_tPvRmT3_T4_T5_T6_T7_T9_mT8_P12ihipStream_tbDpT10_ENKUlT_T0_E_clISt17integral_constantIbLb0EES19_IbLb1EEEEDaS15_S16_EUlS15_E_NS1_11comp_targetILNS1_3genE5ELNS1_11target_archE942ELNS1_3gpuE9ELNS1_3repE0EEENS1_30default_config_static_selectorELNS0_4arch9wavefront6targetE1EEEvT1_
    .private_segment_fixed_size: 0
    .sgpr_count:     6
    .sgpr_spill_count: 0
    .symbol:         _ZN7rocprim17ROCPRIM_400000_NS6detail17trampoline_kernelINS0_14default_configENS1_25partition_config_selectorILNS1_17partition_subalgoE9EllbEEZZNS1_14partition_implILS5_9ELb0ES3_jPlS8_PNS0_10empty_typeENS0_5tupleIJS8_S9_EEENSB_IJS8_SA_EEENS0_18inequality_wrapperIZN2at6native12_GLOBAL__N_124unique_dim_cuda_templateIlEESt5tupleIJNSF_6TensorESK_SK_EERKSK_lbbbEUlllE0_EEPmJS9_EEE10hipError_tPvRmT3_T4_T5_T6_T7_T9_mT8_P12ihipStream_tbDpT10_ENKUlT_T0_E_clISt17integral_constantIbLb0EES19_IbLb1EEEEDaS15_S16_EUlS15_E_NS1_11comp_targetILNS1_3genE5ELNS1_11target_archE942ELNS1_3gpuE9ELNS1_3repE0EEENS1_30default_config_static_selectorELNS0_4arch9wavefront6targetE1EEEvT1_.kd
    .uniform_work_group_size: 1
    .uses_dynamic_stack: false
    .vgpr_count:     0
    .vgpr_spill_count: 0
    .wavefront_size: 64
  - .agpr_count:     0
    .args:
      - .offset:         0
        .size:           136
        .value_kind:     by_value
    .group_segment_fixed_size: 0
    .kernarg_segment_align: 8
    .kernarg_segment_size: 136
    .language:       OpenCL C
    .language_version:
      - 2
      - 0
    .max_flat_workgroup_size: 128
    .name:           _ZN7rocprim17ROCPRIM_400000_NS6detail17trampoline_kernelINS0_14default_configENS1_25partition_config_selectorILNS1_17partition_subalgoE9EllbEEZZNS1_14partition_implILS5_9ELb0ES3_jPlS8_PNS0_10empty_typeENS0_5tupleIJS8_S9_EEENSB_IJS8_SA_EEENS0_18inequality_wrapperIZN2at6native12_GLOBAL__N_124unique_dim_cuda_templateIlEESt5tupleIJNSF_6TensorESK_SK_EERKSK_lbbbEUlllE0_EEPmJS9_EEE10hipError_tPvRmT3_T4_T5_T6_T7_T9_mT8_P12ihipStream_tbDpT10_ENKUlT_T0_E_clISt17integral_constantIbLb0EES19_IbLb1EEEEDaS15_S16_EUlS15_E_NS1_11comp_targetILNS1_3genE4ELNS1_11target_archE910ELNS1_3gpuE8ELNS1_3repE0EEENS1_30default_config_static_selectorELNS0_4arch9wavefront6targetE1EEEvT1_
    .private_segment_fixed_size: 0
    .sgpr_count:     6
    .sgpr_spill_count: 0
    .symbol:         _ZN7rocprim17ROCPRIM_400000_NS6detail17trampoline_kernelINS0_14default_configENS1_25partition_config_selectorILNS1_17partition_subalgoE9EllbEEZZNS1_14partition_implILS5_9ELb0ES3_jPlS8_PNS0_10empty_typeENS0_5tupleIJS8_S9_EEENSB_IJS8_SA_EEENS0_18inequality_wrapperIZN2at6native12_GLOBAL__N_124unique_dim_cuda_templateIlEESt5tupleIJNSF_6TensorESK_SK_EERKSK_lbbbEUlllE0_EEPmJS9_EEE10hipError_tPvRmT3_T4_T5_T6_T7_T9_mT8_P12ihipStream_tbDpT10_ENKUlT_T0_E_clISt17integral_constantIbLb0EES19_IbLb1EEEEDaS15_S16_EUlS15_E_NS1_11comp_targetILNS1_3genE4ELNS1_11target_archE910ELNS1_3gpuE8ELNS1_3repE0EEENS1_30default_config_static_selectorELNS0_4arch9wavefront6targetE1EEEvT1_.kd
    .uniform_work_group_size: 1
    .uses_dynamic_stack: false
    .vgpr_count:     0
    .vgpr_spill_count: 0
    .wavefront_size: 64
  - .agpr_count:     0
    .args:
      - .offset:         0
        .size:           136
        .value_kind:     by_value
    .group_segment_fixed_size: 0
    .kernarg_segment_align: 8
    .kernarg_segment_size: 136
    .language:       OpenCL C
    .language_version:
      - 2
      - 0
    .max_flat_workgroup_size: 128
    .name:           _ZN7rocprim17ROCPRIM_400000_NS6detail17trampoline_kernelINS0_14default_configENS1_25partition_config_selectorILNS1_17partition_subalgoE9EllbEEZZNS1_14partition_implILS5_9ELb0ES3_jPlS8_PNS0_10empty_typeENS0_5tupleIJS8_S9_EEENSB_IJS8_SA_EEENS0_18inequality_wrapperIZN2at6native12_GLOBAL__N_124unique_dim_cuda_templateIlEESt5tupleIJNSF_6TensorESK_SK_EERKSK_lbbbEUlllE0_EEPmJS9_EEE10hipError_tPvRmT3_T4_T5_T6_T7_T9_mT8_P12ihipStream_tbDpT10_ENKUlT_T0_E_clISt17integral_constantIbLb0EES19_IbLb1EEEEDaS15_S16_EUlS15_E_NS1_11comp_targetILNS1_3genE3ELNS1_11target_archE908ELNS1_3gpuE7ELNS1_3repE0EEENS1_30default_config_static_selectorELNS0_4arch9wavefront6targetE1EEEvT1_
    .private_segment_fixed_size: 0
    .sgpr_count:     6
    .sgpr_spill_count: 0
    .symbol:         _ZN7rocprim17ROCPRIM_400000_NS6detail17trampoline_kernelINS0_14default_configENS1_25partition_config_selectorILNS1_17partition_subalgoE9EllbEEZZNS1_14partition_implILS5_9ELb0ES3_jPlS8_PNS0_10empty_typeENS0_5tupleIJS8_S9_EEENSB_IJS8_SA_EEENS0_18inequality_wrapperIZN2at6native12_GLOBAL__N_124unique_dim_cuda_templateIlEESt5tupleIJNSF_6TensorESK_SK_EERKSK_lbbbEUlllE0_EEPmJS9_EEE10hipError_tPvRmT3_T4_T5_T6_T7_T9_mT8_P12ihipStream_tbDpT10_ENKUlT_T0_E_clISt17integral_constantIbLb0EES19_IbLb1EEEEDaS15_S16_EUlS15_E_NS1_11comp_targetILNS1_3genE3ELNS1_11target_archE908ELNS1_3gpuE7ELNS1_3repE0EEENS1_30default_config_static_selectorELNS0_4arch9wavefront6targetE1EEEvT1_.kd
    .uniform_work_group_size: 1
    .uses_dynamic_stack: false
    .vgpr_count:     0
    .vgpr_spill_count: 0
    .wavefront_size: 64
  - .agpr_count:     0
    .args:
      - .offset:         0
        .size:           136
        .value_kind:     by_value
    .group_segment_fixed_size: 0
    .kernarg_segment_align: 8
    .kernarg_segment_size: 136
    .language:       OpenCL C
    .language_version:
      - 2
      - 0
    .max_flat_workgroup_size: 192
    .name:           _ZN7rocprim17ROCPRIM_400000_NS6detail17trampoline_kernelINS0_14default_configENS1_25partition_config_selectorILNS1_17partition_subalgoE9EllbEEZZNS1_14partition_implILS5_9ELb0ES3_jPlS8_PNS0_10empty_typeENS0_5tupleIJS8_S9_EEENSB_IJS8_SA_EEENS0_18inequality_wrapperIZN2at6native12_GLOBAL__N_124unique_dim_cuda_templateIlEESt5tupleIJNSF_6TensorESK_SK_EERKSK_lbbbEUlllE0_EEPmJS9_EEE10hipError_tPvRmT3_T4_T5_T6_T7_T9_mT8_P12ihipStream_tbDpT10_ENKUlT_T0_E_clISt17integral_constantIbLb0EES19_IbLb1EEEEDaS15_S16_EUlS15_E_NS1_11comp_targetILNS1_3genE2ELNS1_11target_archE906ELNS1_3gpuE6ELNS1_3repE0EEENS1_30default_config_static_selectorELNS0_4arch9wavefront6targetE1EEEvT1_
    .private_segment_fixed_size: 0
    .sgpr_count:     6
    .sgpr_spill_count: 0
    .symbol:         _ZN7rocprim17ROCPRIM_400000_NS6detail17trampoline_kernelINS0_14default_configENS1_25partition_config_selectorILNS1_17partition_subalgoE9EllbEEZZNS1_14partition_implILS5_9ELb0ES3_jPlS8_PNS0_10empty_typeENS0_5tupleIJS8_S9_EEENSB_IJS8_SA_EEENS0_18inequality_wrapperIZN2at6native12_GLOBAL__N_124unique_dim_cuda_templateIlEESt5tupleIJNSF_6TensorESK_SK_EERKSK_lbbbEUlllE0_EEPmJS9_EEE10hipError_tPvRmT3_T4_T5_T6_T7_T9_mT8_P12ihipStream_tbDpT10_ENKUlT_T0_E_clISt17integral_constantIbLb0EES19_IbLb1EEEEDaS15_S16_EUlS15_E_NS1_11comp_targetILNS1_3genE2ELNS1_11target_archE906ELNS1_3gpuE6ELNS1_3repE0EEENS1_30default_config_static_selectorELNS0_4arch9wavefront6targetE1EEEvT1_.kd
    .uniform_work_group_size: 1
    .uses_dynamic_stack: false
    .vgpr_count:     0
    .vgpr_spill_count: 0
    .wavefront_size: 64
  - .agpr_count:     0
    .args:
      - .offset:         0
        .size:           136
        .value_kind:     by_value
    .group_segment_fixed_size: 0
    .kernarg_segment_align: 8
    .kernarg_segment_size: 136
    .language:       OpenCL C
    .language_version:
      - 2
      - 0
    .max_flat_workgroup_size: 384
    .name:           _ZN7rocprim17ROCPRIM_400000_NS6detail17trampoline_kernelINS0_14default_configENS1_25partition_config_selectorILNS1_17partition_subalgoE9EllbEEZZNS1_14partition_implILS5_9ELb0ES3_jPlS8_PNS0_10empty_typeENS0_5tupleIJS8_S9_EEENSB_IJS8_SA_EEENS0_18inequality_wrapperIZN2at6native12_GLOBAL__N_124unique_dim_cuda_templateIlEESt5tupleIJNSF_6TensorESK_SK_EERKSK_lbbbEUlllE0_EEPmJS9_EEE10hipError_tPvRmT3_T4_T5_T6_T7_T9_mT8_P12ihipStream_tbDpT10_ENKUlT_T0_E_clISt17integral_constantIbLb0EES19_IbLb1EEEEDaS15_S16_EUlS15_E_NS1_11comp_targetILNS1_3genE10ELNS1_11target_archE1200ELNS1_3gpuE4ELNS1_3repE0EEENS1_30default_config_static_selectorELNS0_4arch9wavefront6targetE1EEEvT1_
    .private_segment_fixed_size: 0
    .sgpr_count:     6
    .sgpr_spill_count: 0
    .symbol:         _ZN7rocprim17ROCPRIM_400000_NS6detail17trampoline_kernelINS0_14default_configENS1_25partition_config_selectorILNS1_17partition_subalgoE9EllbEEZZNS1_14partition_implILS5_9ELb0ES3_jPlS8_PNS0_10empty_typeENS0_5tupleIJS8_S9_EEENSB_IJS8_SA_EEENS0_18inequality_wrapperIZN2at6native12_GLOBAL__N_124unique_dim_cuda_templateIlEESt5tupleIJNSF_6TensorESK_SK_EERKSK_lbbbEUlllE0_EEPmJS9_EEE10hipError_tPvRmT3_T4_T5_T6_T7_T9_mT8_P12ihipStream_tbDpT10_ENKUlT_T0_E_clISt17integral_constantIbLb0EES19_IbLb1EEEEDaS15_S16_EUlS15_E_NS1_11comp_targetILNS1_3genE10ELNS1_11target_archE1200ELNS1_3gpuE4ELNS1_3repE0EEENS1_30default_config_static_selectorELNS0_4arch9wavefront6targetE1EEEvT1_.kd
    .uniform_work_group_size: 1
    .uses_dynamic_stack: false
    .vgpr_count:     0
    .vgpr_spill_count: 0
    .wavefront_size: 64
  - .agpr_count:     0
    .args:
      - .offset:         0
        .size:           136
        .value_kind:     by_value
    .group_segment_fixed_size: 0
    .kernarg_segment_align: 8
    .kernarg_segment_size: 136
    .language:       OpenCL C
    .language_version:
      - 2
      - 0
    .max_flat_workgroup_size: 512
    .name:           _ZN7rocprim17ROCPRIM_400000_NS6detail17trampoline_kernelINS0_14default_configENS1_25partition_config_selectorILNS1_17partition_subalgoE9EllbEEZZNS1_14partition_implILS5_9ELb0ES3_jPlS8_PNS0_10empty_typeENS0_5tupleIJS8_S9_EEENSB_IJS8_SA_EEENS0_18inequality_wrapperIZN2at6native12_GLOBAL__N_124unique_dim_cuda_templateIlEESt5tupleIJNSF_6TensorESK_SK_EERKSK_lbbbEUlllE0_EEPmJS9_EEE10hipError_tPvRmT3_T4_T5_T6_T7_T9_mT8_P12ihipStream_tbDpT10_ENKUlT_T0_E_clISt17integral_constantIbLb0EES19_IbLb1EEEEDaS15_S16_EUlS15_E_NS1_11comp_targetILNS1_3genE9ELNS1_11target_archE1100ELNS1_3gpuE3ELNS1_3repE0EEENS1_30default_config_static_selectorELNS0_4arch9wavefront6targetE1EEEvT1_
    .private_segment_fixed_size: 0
    .sgpr_count:     6
    .sgpr_spill_count: 0
    .symbol:         _ZN7rocprim17ROCPRIM_400000_NS6detail17trampoline_kernelINS0_14default_configENS1_25partition_config_selectorILNS1_17partition_subalgoE9EllbEEZZNS1_14partition_implILS5_9ELb0ES3_jPlS8_PNS0_10empty_typeENS0_5tupleIJS8_S9_EEENSB_IJS8_SA_EEENS0_18inequality_wrapperIZN2at6native12_GLOBAL__N_124unique_dim_cuda_templateIlEESt5tupleIJNSF_6TensorESK_SK_EERKSK_lbbbEUlllE0_EEPmJS9_EEE10hipError_tPvRmT3_T4_T5_T6_T7_T9_mT8_P12ihipStream_tbDpT10_ENKUlT_T0_E_clISt17integral_constantIbLb0EES19_IbLb1EEEEDaS15_S16_EUlS15_E_NS1_11comp_targetILNS1_3genE9ELNS1_11target_archE1100ELNS1_3gpuE3ELNS1_3repE0EEENS1_30default_config_static_selectorELNS0_4arch9wavefront6targetE1EEEvT1_.kd
    .uniform_work_group_size: 1
    .uses_dynamic_stack: false
    .vgpr_count:     0
    .vgpr_spill_count: 0
    .wavefront_size: 64
  - .agpr_count:     0
    .args:
      - .offset:         0
        .size:           136
        .value_kind:     by_value
    .group_segment_fixed_size: 0
    .kernarg_segment_align: 8
    .kernarg_segment_size: 136
    .language:       OpenCL C
    .language_version:
      - 2
      - 0
    .max_flat_workgroup_size: 512
    .name:           _ZN7rocprim17ROCPRIM_400000_NS6detail17trampoline_kernelINS0_14default_configENS1_25partition_config_selectorILNS1_17partition_subalgoE9EllbEEZZNS1_14partition_implILS5_9ELb0ES3_jPlS8_PNS0_10empty_typeENS0_5tupleIJS8_S9_EEENSB_IJS8_SA_EEENS0_18inequality_wrapperIZN2at6native12_GLOBAL__N_124unique_dim_cuda_templateIlEESt5tupleIJNSF_6TensorESK_SK_EERKSK_lbbbEUlllE0_EEPmJS9_EEE10hipError_tPvRmT3_T4_T5_T6_T7_T9_mT8_P12ihipStream_tbDpT10_ENKUlT_T0_E_clISt17integral_constantIbLb0EES19_IbLb1EEEEDaS15_S16_EUlS15_E_NS1_11comp_targetILNS1_3genE8ELNS1_11target_archE1030ELNS1_3gpuE2ELNS1_3repE0EEENS1_30default_config_static_selectorELNS0_4arch9wavefront6targetE1EEEvT1_
    .private_segment_fixed_size: 0
    .sgpr_count:     6
    .sgpr_spill_count: 0
    .symbol:         _ZN7rocprim17ROCPRIM_400000_NS6detail17trampoline_kernelINS0_14default_configENS1_25partition_config_selectorILNS1_17partition_subalgoE9EllbEEZZNS1_14partition_implILS5_9ELb0ES3_jPlS8_PNS0_10empty_typeENS0_5tupleIJS8_S9_EEENSB_IJS8_SA_EEENS0_18inequality_wrapperIZN2at6native12_GLOBAL__N_124unique_dim_cuda_templateIlEESt5tupleIJNSF_6TensorESK_SK_EERKSK_lbbbEUlllE0_EEPmJS9_EEE10hipError_tPvRmT3_T4_T5_T6_T7_T9_mT8_P12ihipStream_tbDpT10_ENKUlT_T0_E_clISt17integral_constantIbLb0EES19_IbLb1EEEEDaS15_S16_EUlS15_E_NS1_11comp_targetILNS1_3genE8ELNS1_11target_archE1030ELNS1_3gpuE2ELNS1_3repE0EEENS1_30default_config_static_selectorELNS0_4arch9wavefront6targetE1EEEvT1_.kd
    .uniform_work_group_size: 1
    .uses_dynamic_stack: false
    .vgpr_count:     0
    .vgpr_spill_count: 0
    .wavefront_size: 64
  - .agpr_count:     0
    .args:
      - .offset:         0
        .size:           72
        .value_kind:     by_value
      - .offset:         72
        .size:           4
        .value_kind:     hidden_block_count_x
      - .offset:         76
        .size:           4
        .value_kind:     hidden_block_count_y
      - .offset:         80
        .size:           4
        .value_kind:     hidden_block_count_z
      - .offset:         84
        .size:           2
        .value_kind:     hidden_group_size_x
      - .offset:         86
        .size:           2
        .value_kind:     hidden_group_size_y
      - .offset:         88
        .size:           2
        .value_kind:     hidden_group_size_z
      - .offset:         90
        .size:           2
        .value_kind:     hidden_remainder_x
      - .offset:         92
        .size:           2
        .value_kind:     hidden_remainder_y
      - .offset:         94
        .size:           2
        .value_kind:     hidden_remainder_z
      - .offset:         112
        .size:           8
        .value_kind:     hidden_global_offset_x
      - .offset:         120
        .size:           8
        .value_kind:     hidden_global_offset_y
      - .offset:         128
        .size:           8
        .value_kind:     hidden_global_offset_z
      - .offset:         136
        .size:           2
        .value_kind:     hidden_grid_dims
    .group_segment_fixed_size: 16896
    .kernarg_segment_align: 8
    .kernarg_segment_size: 328
    .language:       OpenCL C
    .language_version:
      - 2
      - 0
    .max_flat_workgroup_size: 256
    .name:           _ZN7rocprim17ROCPRIM_400000_NS6detail17trampoline_kernelINS0_14default_configENS1_37merge_sort_block_sort_config_selectorIlNS0_10empty_typeEEEZNS1_21merge_sort_block_sortIS3_PlS8_PS5_S9_ZN2at6native12_GLOBAL__N_124unique_dim_cuda_templateIsEESt5tupleIJNSA_6TensorESF_SF_EERKSF_lbbbEUlllE_EE10hipError_tT0_T1_T2_T3_mRjT4_P12ihipStream_tbNS1_7vsmem_tEEUlT_E_NS1_11comp_targetILNS1_3genE0ELNS1_11target_archE4294967295ELNS1_3gpuE0ELNS1_3repE0EEENS1_30default_config_static_selectorELNS0_4arch9wavefront6targetE1EEEvSM_
    .private_segment_fixed_size: 0
    .sgpr_count:     73
    .sgpr_spill_count: 0
    .symbol:         _ZN7rocprim17ROCPRIM_400000_NS6detail17trampoline_kernelINS0_14default_configENS1_37merge_sort_block_sort_config_selectorIlNS0_10empty_typeEEEZNS1_21merge_sort_block_sortIS3_PlS8_PS5_S9_ZN2at6native12_GLOBAL__N_124unique_dim_cuda_templateIsEESt5tupleIJNSA_6TensorESF_SF_EERKSF_lbbbEUlllE_EE10hipError_tT0_T1_T2_T3_mRjT4_P12ihipStream_tbNS1_7vsmem_tEEUlT_E_NS1_11comp_targetILNS1_3genE0ELNS1_11target_archE4294967295ELNS1_3gpuE0ELNS1_3repE0EEENS1_30default_config_static_selectorELNS0_4arch9wavefront6targetE1EEEvSM_.kd
    .uniform_work_group_size: 1
    .uses_dynamic_stack: false
    .vgpr_count:     55
    .vgpr_spill_count: 0
    .wavefront_size: 64
  - .agpr_count:     0
    .args:
      - .offset:         0
        .size:           72
        .value_kind:     by_value
    .group_segment_fixed_size: 0
    .kernarg_segment_align: 8
    .kernarg_segment_size: 72
    .language:       OpenCL C
    .language_version:
      - 2
      - 0
    .max_flat_workgroup_size: 256
    .name:           _ZN7rocprim17ROCPRIM_400000_NS6detail17trampoline_kernelINS0_14default_configENS1_37merge_sort_block_sort_config_selectorIlNS0_10empty_typeEEEZNS1_21merge_sort_block_sortIS3_PlS8_PS5_S9_ZN2at6native12_GLOBAL__N_124unique_dim_cuda_templateIsEESt5tupleIJNSA_6TensorESF_SF_EERKSF_lbbbEUlllE_EE10hipError_tT0_T1_T2_T3_mRjT4_P12ihipStream_tbNS1_7vsmem_tEEUlT_E_NS1_11comp_targetILNS1_3genE5ELNS1_11target_archE942ELNS1_3gpuE9ELNS1_3repE0EEENS1_30default_config_static_selectorELNS0_4arch9wavefront6targetE1EEEvSM_
    .private_segment_fixed_size: 0
    .sgpr_count:     6
    .sgpr_spill_count: 0
    .symbol:         _ZN7rocprim17ROCPRIM_400000_NS6detail17trampoline_kernelINS0_14default_configENS1_37merge_sort_block_sort_config_selectorIlNS0_10empty_typeEEEZNS1_21merge_sort_block_sortIS3_PlS8_PS5_S9_ZN2at6native12_GLOBAL__N_124unique_dim_cuda_templateIsEESt5tupleIJNSA_6TensorESF_SF_EERKSF_lbbbEUlllE_EE10hipError_tT0_T1_T2_T3_mRjT4_P12ihipStream_tbNS1_7vsmem_tEEUlT_E_NS1_11comp_targetILNS1_3genE5ELNS1_11target_archE942ELNS1_3gpuE9ELNS1_3repE0EEENS1_30default_config_static_selectorELNS0_4arch9wavefront6targetE1EEEvSM_.kd
    .uniform_work_group_size: 1
    .uses_dynamic_stack: false
    .vgpr_count:     0
    .vgpr_spill_count: 0
    .wavefront_size: 64
  - .agpr_count:     0
    .args:
      - .offset:         0
        .size:           72
        .value_kind:     by_value
    .group_segment_fixed_size: 0
    .kernarg_segment_align: 8
    .kernarg_segment_size: 72
    .language:       OpenCL C
    .language_version:
      - 2
      - 0
    .max_flat_workgroup_size: 256
    .name:           _ZN7rocprim17ROCPRIM_400000_NS6detail17trampoline_kernelINS0_14default_configENS1_37merge_sort_block_sort_config_selectorIlNS0_10empty_typeEEEZNS1_21merge_sort_block_sortIS3_PlS8_PS5_S9_ZN2at6native12_GLOBAL__N_124unique_dim_cuda_templateIsEESt5tupleIJNSA_6TensorESF_SF_EERKSF_lbbbEUlllE_EE10hipError_tT0_T1_T2_T3_mRjT4_P12ihipStream_tbNS1_7vsmem_tEEUlT_E_NS1_11comp_targetILNS1_3genE4ELNS1_11target_archE910ELNS1_3gpuE8ELNS1_3repE0EEENS1_30default_config_static_selectorELNS0_4arch9wavefront6targetE1EEEvSM_
    .private_segment_fixed_size: 0
    .sgpr_count:     6
    .sgpr_spill_count: 0
    .symbol:         _ZN7rocprim17ROCPRIM_400000_NS6detail17trampoline_kernelINS0_14default_configENS1_37merge_sort_block_sort_config_selectorIlNS0_10empty_typeEEEZNS1_21merge_sort_block_sortIS3_PlS8_PS5_S9_ZN2at6native12_GLOBAL__N_124unique_dim_cuda_templateIsEESt5tupleIJNSA_6TensorESF_SF_EERKSF_lbbbEUlllE_EE10hipError_tT0_T1_T2_T3_mRjT4_P12ihipStream_tbNS1_7vsmem_tEEUlT_E_NS1_11comp_targetILNS1_3genE4ELNS1_11target_archE910ELNS1_3gpuE8ELNS1_3repE0EEENS1_30default_config_static_selectorELNS0_4arch9wavefront6targetE1EEEvSM_.kd
    .uniform_work_group_size: 1
    .uses_dynamic_stack: false
    .vgpr_count:     0
    .vgpr_spill_count: 0
    .wavefront_size: 64
  - .agpr_count:     0
    .args:
      - .offset:         0
        .size:           72
        .value_kind:     by_value
    .group_segment_fixed_size: 0
    .kernarg_segment_align: 8
    .kernarg_segment_size: 72
    .language:       OpenCL C
    .language_version:
      - 2
      - 0
    .max_flat_workgroup_size: 256
    .name:           _ZN7rocprim17ROCPRIM_400000_NS6detail17trampoline_kernelINS0_14default_configENS1_37merge_sort_block_sort_config_selectorIlNS0_10empty_typeEEEZNS1_21merge_sort_block_sortIS3_PlS8_PS5_S9_ZN2at6native12_GLOBAL__N_124unique_dim_cuda_templateIsEESt5tupleIJNSA_6TensorESF_SF_EERKSF_lbbbEUlllE_EE10hipError_tT0_T1_T2_T3_mRjT4_P12ihipStream_tbNS1_7vsmem_tEEUlT_E_NS1_11comp_targetILNS1_3genE3ELNS1_11target_archE908ELNS1_3gpuE7ELNS1_3repE0EEENS1_30default_config_static_selectorELNS0_4arch9wavefront6targetE1EEEvSM_
    .private_segment_fixed_size: 0
    .sgpr_count:     6
    .sgpr_spill_count: 0
    .symbol:         _ZN7rocprim17ROCPRIM_400000_NS6detail17trampoline_kernelINS0_14default_configENS1_37merge_sort_block_sort_config_selectorIlNS0_10empty_typeEEEZNS1_21merge_sort_block_sortIS3_PlS8_PS5_S9_ZN2at6native12_GLOBAL__N_124unique_dim_cuda_templateIsEESt5tupleIJNSA_6TensorESF_SF_EERKSF_lbbbEUlllE_EE10hipError_tT0_T1_T2_T3_mRjT4_P12ihipStream_tbNS1_7vsmem_tEEUlT_E_NS1_11comp_targetILNS1_3genE3ELNS1_11target_archE908ELNS1_3gpuE7ELNS1_3repE0EEENS1_30default_config_static_selectorELNS0_4arch9wavefront6targetE1EEEvSM_.kd
    .uniform_work_group_size: 1
    .uses_dynamic_stack: false
    .vgpr_count:     0
    .vgpr_spill_count: 0
    .wavefront_size: 64
  - .agpr_count:     0
    .args:
      - .offset:         0
        .size:           72
        .value_kind:     by_value
    .group_segment_fixed_size: 0
    .kernarg_segment_align: 8
    .kernarg_segment_size: 72
    .language:       OpenCL C
    .language_version:
      - 2
      - 0
    .max_flat_workgroup_size: 256
    .name:           _ZN7rocprim17ROCPRIM_400000_NS6detail17trampoline_kernelINS0_14default_configENS1_37merge_sort_block_sort_config_selectorIlNS0_10empty_typeEEEZNS1_21merge_sort_block_sortIS3_PlS8_PS5_S9_ZN2at6native12_GLOBAL__N_124unique_dim_cuda_templateIsEESt5tupleIJNSA_6TensorESF_SF_EERKSF_lbbbEUlllE_EE10hipError_tT0_T1_T2_T3_mRjT4_P12ihipStream_tbNS1_7vsmem_tEEUlT_E_NS1_11comp_targetILNS1_3genE2ELNS1_11target_archE906ELNS1_3gpuE6ELNS1_3repE0EEENS1_30default_config_static_selectorELNS0_4arch9wavefront6targetE1EEEvSM_
    .private_segment_fixed_size: 0
    .sgpr_count:     6
    .sgpr_spill_count: 0
    .symbol:         _ZN7rocprim17ROCPRIM_400000_NS6detail17trampoline_kernelINS0_14default_configENS1_37merge_sort_block_sort_config_selectorIlNS0_10empty_typeEEEZNS1_21merge_sort_block_sortIS3_PlS8_PS5_S9_ZN2at6native12_GLOBAL__N_124unique_dim_cuda_templateIsEESt5tupleIJNSA_6TensorESF_SF_EERKSF_lbbbEUlllE_EE10hipError_tT0_T1_T2_T3_mRjT4_P12ihipStream_tbNS1_7vsmem_tEEUlT_E_NS1_11comp_targetILNS1_3genE2ELNS1_11target_archE906ELNS1_3gpuE6ELNS1_3repE0EEENS1_30default_config_static_selectorELNS0_4arch9wavefront6targetE1EEEvSM_.kd
    .uniform_work_group_size: 1
    .uses_dynamic_stack: false
    .vgpr_count:     0
    .vgpr_spill_count: 0
    .wavefront_size: 64
  - .agpr_count:     0
    .args:
      - .offset:         0
        .size:           72
        .value_kind:     by_value
    .group_segment_fixed_size: 0
    .kernarg_segment_align: 8
    .kernarg_segment_size: 72
    .language:       OpenCL C
    .language_version:
      - 2
      - 0
    .max_flat_workgroup_size: 256
    .name:           _ZN7rocprim17ROCPRIM_400000_NS6detail17trampoline_kernelINS0_14default_configENS1_37merge_sort_block_sort_config_selectorIlNS0_10empty_typeEEEZNS1_21merge_sort_block_sortIS3_PlS8_PS5_S9_ZN2at6native12_GLOBAL__N_124unique_dim_cuda_templateIsEESt5tupleIJNSA_6TensorESF_SF_EERKSF_lbbbEUlllE_EE10hipError_tT0_T1_T2_T3_mRjT4_P12ihipStream_tbNS1_7vsmem_tEEUlT_E_NS1_11comp_targetILNS1_3genE10ELNS1_11target_archE1201ELNS1_3gpuE5ELNS1_3repE0EEENS1_30default_config_static_selectorELNS0_4arch9wavefront6targetE1EEEvSM_
    .private_segment_fixed_size: 0
    .sgpr_count:     6
    .sgpr_spill_count: 0
    .symbol:         _ZN7rocprim17ROCPRIM_400000_NS6detail17trampoline_kernelINS0_14default_configENS1_37merge_sort_block_sort_config_selectorIlNS0_10empty_typeEEEZNS1_21merge_sort_block_sortIS3_PlS8_PS5_S9_ZN2at6native12_GLOBAL__N_124unique_dim_cuda_templateIsEESt5tupleIJNSA_6TensorESF_SF_EERKSF_lbbbEUlllE_EE10hipError_tT0_T1_T2_T3_mRjT4_P12ihipStream_tbNS1_7vsmem_tEEUlT_E_NS1_11comp_targetILNS1_3genE10ELNS1_11target_archE1201ELNS1_3gpuE5ELNS1_3repE0EEENS1_30default_config_static_selectorELNS0_4arch9wavefront6targetE1EEEvSM_.kd
    .uniform_work_group_size: 1
    .uses_dynamic_stack: false
    .vgpr_count:     0
    .vgpr_spill_count: 0
    .wavefront_size: 64
  - .agpr_count:     0
    .args:
      - .offset:         0
        .size:           72
        .value_kind:     by_value
    .group_segment_fixed_size: 0
    .kernarg_segment_align: 8
    .kernarg_segment_size: 72
    .language:       OpenCL C
    .language_version:
      - 2
      - 0
    .max_flat_workgroup_size: 512
    .name:           _ZN7rocprim17ROCPRIM_400000_NS6detail17trampoline_kernelINS0_14default_configENS1_37merge_sort_block_sort_config_selectorIlNS0_10empty_typeEEEZNS1_21merge_sort_block_sortIS3_PlS8_PS5_S9_ZN2at6native12_GLOBAL__N_124unique_dim_cuda_templateIsEESt5tupleIJNSA_6TensorESF_SF_EERKSF_lbbbEUlllE_EE10hipError_tT0_T1_T2_T3_mRjT4_P12ihipStream_tbNS1_7vsmem_tEEUlT_E_NS1_11comp_targetILNS1_3genE10ELNS1_11target_archE1200ELNS1_3gpuE4ELNS1_3repE0EEENS1_30default_config_static_selectorELNS0_4arch9wavefront6targetE1EEEvSM_
    .private_segment_fixed_size: 0
    .sgpr_count:     6
    .sgpr_spill_count: 0
    .symbol:         _ZN7rocprim17ROCPRIM_400000_NS6detail17trampoline_kernelINS0_14default_configENS1_37merge_sort_block_sort_config_selectorIlNS0_10empty_typeEEEZNS1_21merge_sort_block_sortIS3_PlS8_PS5_S9_ZN2at6native12_GLOBAL__N_124unique_dim_cuda_templateIsEESt5tupleIJNSA_6TensorESF_SF_EERKSF_lbbbEUlllE_EE10hipError_tT0_T1_T2_T3_mRjT4_P12ihipStream_tbNS1_7vsmem_tEEUlT_E_NS1_11comp_targetILNS1_3genE10ELNS1_11target_archE1200ELNS1_3gpuE4ELNS1_3repE0EEENS1_30default_config_static_selectorELNS0_4arch9wavefront6targetE1EEEvSM_.kd
    .uniform_work_group_size: 1
    .uses_dynamic_stack: false
    .vgpr_count:     0
    .vgpr_spill_count: 0
    .wavefront_size: 64
  - .agpr_count:     0
    .args:
      - .offset:         0
        .size:           72
        .value_kind:     by_value
    .group_segment_fixed_size: 0
    .kernarg_segment_align: 8
    .kernarg_segment_size: 72
    .language:       OpenCL C
    .language_version:
      - 2
      - 0
    .max_flat_workgroup_size: 256
    .name:           _ZN7rocprim17ROCPRIM_400000_NS6detail17trampoline_kernelINS0_14default_configENS1_37merge_sort_block_sort_config_selectorIlNS0_10empty_typeEEEZNS1_21merge_sort_block_sortIS3_PlS8_PS5_S9_ZN2at6native12_GLOBAL__N_124unique_dim_cuda_templateIsEESt5tupleIJNSA_6TensorESF_SF_EERKSF_lbbbEUlllE_EE10hipError_tT0_T1_T2_T3_mRjT4_P12ihipStream_tbNS1_7vsmem_tEEUlT_E_NS1_11comp_targetILNS1_3genE9ELNS1_11target_archE1100ELNS1_3gpuE3ELNS1_3repE0EEENS1_30default_config_static_selectorELNS0_4arch9wavefront6targetE1EEEvSM_
    .private_segment_fixed_size: 0
    .sgpr_count:     6
    .sgpr_spill_count: 0
    .symbol:         _ZN7rocprim17ROCPRIM_400000_NS6detail17trampoline_kernelINS0_14default_configENS1_37merge_sort_block_sort_config_selectorIlNS0_10empty_typeEEEZNS1_21merge_sort_block_sortIS3_PlS8_PS5_S9_ZN2at6native12_GLOBAL__N_124unique_dim_cuda_templateIsEESt5tupleIJNSA_6TensorESF_SF_EERKSF_lbbbEUlllE_EE10hipError_tT0_T1_T2_T3_mRjT4_P12ihipStream_tbNS1_7vsmem_tEEUlT_E_NS1_11comp_targetILNS1_3genE9ELNS1_11target_archE1100ELNS1_3gpuE3ELNS1_3repE0EEENS1_30default_config_static_selectorELNS0_4arch9wavefront6targetE1EEEvSM_.kd
    .uniform_work_group_size: 1
    .uses_dynamic_stack: false
    .vgpr_count:     0
    .vgpr_spill_count: 0
    .wavefront_size: 64
  - .agpr_count:     0
    .args:
      - .offset:         0
        .size:           72
        .value_kind:     by_value
    .group_segment_fixed_size: 0
    .kernarg_segment_align: 8
    .kernarg_segment_size: 72
    .language:       OpenCL C
    .language_version:
      - 2
      - 0
    .max_flat_workgroup_size: 256
    .name:           _ZN7rocprim17ROCPRIM_400000_NS6detail17trampoline_kernelINS0_14default_configENS1_37merge_sort_block_sort_config_selectorIlNS0_10empty_typeEEEZNS1_21merge_sort_block_sortIS3_PlS8_PS5_S9_ZN2at6native12_GLOBAL__N_124unique_dim_cuda_templateIsEESt5tupleIJNSA_6TensorESF_SF_EERKSF_lbbbEUlllE_EE10hipError_tT0_T1_T2_T3_mRjT4_P12ihipStream_tbNS1_7vsmem_tEEUlT_E_NS1_11comp_targetILNS1_3genE8ELNS1_11target_archE1030ELNS1_3gpuE2ELNS1_3repE0EEENS1_30default_config_static_selectorELNS0_4arch9wavefront6targetE1EEEvSM_
    .private_segment_fixed_size: 0
    .sgpr_count:     6
    .sgpr_spill_count: 0
    .symbol:         _ZN7rocprim17ROCPRIM_400000_NS6detail17trampoline_kernelINS0_14default_configENS1_37merge_sort_block_sort_config_selectorIlNS0_10empty_typeEEEZNS1_21merge_sort_block_sortIS3_PlS8_PS5_S9_ZN2at6native12_GLOBAL__N_124unique_dim_cuda_templateIsEESt5tupleIJNSA_6TensorESF_SF_EERKSF_lbbbEUlllE_EE10hipError_tT0_T1_T2_T3_mRjT4_P12ihipStream_tbNS1_7vsmem_tEEUlT_E_NS1_11comp_targetILNS1_3genE8ELNS1_11target_archE1030ELNS1_3gpuE2ELNS1_3repE0EEENS1_30default_config_static_selectorELNS0_4arch9wavefront6targetE1EEEvSM_.kd
    .uniform_work_group_size: 1
    .uses_dynamic_stack: false
    .vgpr_count:     0
    .vgpr_spill_count: 0
    .wavefront_size: 64
  - .agpr_count:     0
    .args:
      - .offset:         0
        .size:           56
        .value_kind:     by_value
    .group_segment_fixed_size: 0
    .kernarg_segment_align: 8
    .kernarg_segment_size: 56
    .language:       OpenCL C
    .language_version:
      - 2
      - 0
    .max_flat_workgroup_size: 128
    .name:           _ZN7rocprim17ROCPRIM_400000_NS6detail17trampoline_kernelINS0_14default_configENS1_38merge_sort_block_merge_config_selectorIlNS0_10empty_typeEEEZZNS1_27merge_sort_block_merge_implIS3_PlPS5_mZN2at6native12_GLOBAL__N_124unique_dim_cuda_templateIsEESt5tupleIJNSA_6TensorESF_SF_EERKSF_lbbbEUlllE_EE10hipError_tT0_T1_T2_jT3_P12ihipStream_tbPNSt15iterator_traitsISL_E10value_typeEPNSR_ISM_E10value_typeEPSN_NS1_7vsmem_tEENKUlT_SL_SM_SN_E_clIS8_S8_S9_S9_EESK_S10_SL_SM_SN_EUlS10_E_NS1_11comp_targetILNS1_3genE0ELNS1_11target_archE4294967295ELNS1_3gpuE0ELNS1_3repE0EEENS1_48merge_mergepath_partition_config_static_selectorELNS0_4arch9wavefront6targetE1EEEvSM_
    .private_segment_fixed_size: 0
    .sgpr_count:     38
    .sgpr_spill_count: 0
    .symbol:         _ZN7rocprim17ROCPRIM_400000_NS6detail17trampoline_kernelINS0_14default_configENS1_38merge_sort_block_merge_config_selectorIlNS0_10empty_typeEEEZZNS1_27merge_sort_block_merge_implIS3_PlPS5_mZN2at6native12_GLOBAL__N_124unique_dim_cuda_templateIsEESt5tupleIJNSA_6TensorESF_SF_EERKSF_lbbbEUlllE_EE10hipError_tT0_T1_T2_jT3_P12ihipStream_tbPNSt15iterator_traitsISL_E10value_typeEPNSR_ISM_E10value_typeEPSN_NS1_7vsmem_tEENKUlT_SL_SM_SN_E_clIS8_S8_S9_S9_EESK_S10_SL_SM_SN_EUlS10_E_NS1_11comp_targetILNS1_3genE0ELNS1_11target_archE4294967295ELNS1_3gpuE0ELNS1_3repE0EEENS1_48merge_mergepath_partition_config_static_selectorELNS0_4arch9wavefront6targetE1EEEvSM_.kd
    .uniform_work_group_size: 1
    .uses_dynamic_stack: false
    .vgpr_count:     23
    .vgpr_spill_count: 0
    .wavefront_size: 64
  - .agpr_count:     0
    .args:
      - .offset:         0
        .size:           56
        .value_kind:     by_value
    .group_segment_fixed_size: 0
    .kernarg_segment_align: 8
    .kernarg_segment_size: 56
    .language:       OpenCL C
    .language_version:
      - 2
      - 0
    .max_flat_workgroup_size: 128
    .name:           _ZN7rocprim17ROCPRIM_400000_NS6detail17trampoline_kernelINS0_14default_configENS1_38merge_sort_block_merge_config_selectorIlNS0_10empty_typeEEEZZNS1_27merge_sort_block_merge_implIS3_PlPS5_mZN2at6native12_GLOBAL__N_124unique_dim_cuda_templateIsEESt5tupleIJNSA_6TensorESF_SF_EERKSF_lbbbEUlllE_EE10hipError_tT0_T1_T2_jT3_P12ihipStream_tbPNSt15iterator_traitsISL_E10value_typeEPNSR_ISM_E10value_typeEPSN_NS1_7vsmem_tEENKUlT_SL_SM_SN_E_clIS8_S8_S9_S9_EESK_S10_SL_SM_SN_EUlS10_E_NS1_11comp_targetILNS1_3genE10ELNS1_11target_archE1201ELNS1_3gpuE5ELNS1_3repE0EEENS1_48merge_mergepath_partition_config_static_selectorELNS0_4arch9wavefront6targetE1EEEvSM_
    .private_segment_fixed_size: 0
    .sgpr_count:     6
    .sgpr_spill_count: 0
    .symbol:         _ZN7rocprim17ROCPRIM_400000_NS6detail17trampoline_kernelINS0_14default_configENS1_38merge_sort_block_merge_config_selectorIlNS0_10empty_typeEEEZZNS1_27merge_sort_block_merge_implIS3_PlPS5_mZN2at6native12_GLOBAL__N_124unique_dim_cuda_templateIsEESt5tupleIJNSA_6TensorESF_SF_EERKSF_lbbbEUlllE_EE10hipError_tT0_T1_T2_jT3_P12ihipStream_tbPNSt15iterator_traitsISL_E10value_typeEPNSR_ISM_E10value_typeEPSN_NS1_7vsmem_tEENKUlT_SL_SM_SN_E_clIS8_S8_S9_S9_EESK_S10_SL_SM_SN_EUlS10_E_NS1_11comp_targetILNS1_3genE10ELNS1_11target_archE1201ELNS1_3gpuE5ELNS1_3repE0EEENS1_48merge_mergepath_partition_config_static_selectorELNS0_4arch9wavefront6targetE1EEEvSM_.kd
    .uniform_work_group_size: 1
    .uses_dynamic_stack: false
    .vgpr_count:     0
    .vgpr_spill_count: 0
    .wavefront_size: 64
  - .agpr_count:     0
    .args:
      - .offset:         0
        .size:           56
        .value_kind:     by_value
    .group_segment_fixed_size: 0
    .kernarg_segment_align: 8
    .kernarg_segment_size: 56
    .language:       OpenCL C
    .language_version:
      - 2
      - 0
    .max_flat_workgroup_size: 128
    .name:           _ZN7rocprim17ROCPRIM_400000_NS6detail17trampoline_kernelINS0_14default_configENS1_38merge_sort_block_merge_config_selectorIlNS0_10empty_typeEEEZZNS1_27merge_sort_block_merge_implIS3_PlPS5_mZN2at6native12_GLOBAL__N_124unique_dim_cuda_templateIsEESt5tupleIJNSA_6TensorESF_SF_EERKSF_lbbbEUlllE_EE10hipError_tT0_T1_T2_jT3_P12ihipStream_tbPNSt15iterator_traitsISL_E10value_typeEPNSR_ISM_E10value_typeEPSN_NS1_7vsmem_tEENKUlT_SL_SM_SN_E_clIS8_S8_S9_S9_EESK_S10_SL_SM_SN_EUlS10_E_NS1_11comp_targetILNS1_3genE5ELNS1_11target_archE942ELNS1_3gpuE9ELNS1_3repE0EEENS1_48merge_mergepath_partition_config_static_selectorELNS0_4arch9wavefront6targetE1EEEvSM_
    .private_segment_fixed_size: 0
    .sgpr_count:     6
    .sgpr_spill_count: 0
    .symbol:         _ZN7rocprim17ROCPRIM_400000_NS6detail17trampoline_kernelINS0_14default_configENS1_38merge_sort_block_merge_config_selectorIlNS0_10empty_typeEEEZZNS1_27merge_sort_block_merge_implIS3_PlPS5_mZN2at6native12_GLOBAL__N_124unique_dim_cuda_templateIsEESt5tupleIJNSA_6TensorESF_SF_EERKSF_lbbbEUlllE_EE10hipError_tT0_T1_T2_jT3_P12ihipStream_tbPNSt15iterator_traitsISL_E10value_typeEPNSR_ISM_E10value_typeEPSN_NS1_7vsmem_tEENKUlT_SL_SM_SN_E_clIS8_S8_S9_S9_EESK_S10_SL_SM_SN_EUlS10_E_NS1_11comp_targetILNS1_3genE5ELNS1_11target_archE942ELNS1_3gpuE9ELNS1_3repE0EEENS1_48merge_mergepath_partition_config_static_selectorELNS0_4arch9wavefront6targetE1EEEvSM_.kd
    .uniform_work_group_size: 1
    .uses_dynamic_stack: false
    .vgpr_count:     0
    .vgpr_spill_count: 0
    .wavefront_size: 64
  - .agpr_count:     0
    .args:
      - .offset:         0
        .size:           56
        .value_kind:     by_value
    .group_segment_fixed_size: 0
    .kernarg_segment_align: 8
    .kernarg_segment_size: 56
    .language:       OpenCL C
    .language_version:
      - 2
      - 0
    .max_flat_workgroup_size: 128
    .name:           _ZN7rocprim17ROCPRIM_400000_NS6detail17trampoline_kernelINS0_14default_configENS1_38merge_sort_block_merge_config_selectorIlNS0_10empty_typeEEEZZNS1_27merge_sort_block_merge_implIS3_PlPS5_mZN2at6native12_GLOBAL__N_124unique_dim_cuda_templateIsEESt5tupleIJNSA_6TensorESF_SF_EERKSF_lbbbEUlllE_EE10hipError_tT0_T1_T2_jT3_P12ihipStream_tbPNSt15iterator_traitsISL_E10value_typeEPNSR_ISM_E10value_typeEPSN_NS1_7vsmem_tEENKUlT_SL_SM_SN_E_clIS8_S8_S9_S9_EESK_S10_SL_SM_SN_EUlS10_E_NS1_11comp_targetILNS1_3genE4ELNS1_11target_archE910ELNS1_3gpuE8ELNS1_3repE0EEENS1_48merge_mergepath_partition_config_static_selectorELNS0_4arch9wavefront6targetE1EEEvSM_
    .private_segment_fixed_size: 0
    .sgpr_count:     6
    .sgpr_spill_count: 0
    .symbol:         _ZN7rocprim17ROCPRIM_400000_NS6detail17trampoline_kernelINS0_14default_configENS1_38merge_sort_block_merge_config_selectorIlNS0_10empty_typeEEEZZNS1_27merge_sort_block_merge_implIS3_PlPS5_mZN2at6native12_GLOBAL__N_124unique_dim_cuda_templateIsEESt5tupleIJNSA_6TensorESF_SF_EERKSF_lbbbEUlllE_EE10hipError_tT0_T1_T2_jT3_P12ihipStream_tbPNSt15iterator_traitsISL_E10value_typeEPNSR_ISM_E10value_typeEPSN_NS1_7vsmem_tEENKUlT_SL_SM_SN_E_clIS8_S8_S9_S9_EESK_S10_SL_SM_SN_EUlS10_E_NS1_11comp_targetILNS1_3genE4ELNS1_11target_archE910ELNS1_3gpuE8ELNS1_3repE0EEENS1_48merge_mergepath_partition_config_static_selectorELNS0_4arch9wavefront6targetE1EEEvSM_.kd
    .uniform_work_group_size: 1
    .uses_dynamic_stack: false
    .vgpr_count:     0
    .vgpr_spill_count: 0
    .wavefront_size: 64
  - .agpr_count:     0
    .args:
      - .offset:         0
        .size:           56
        .value_kind:     by_value
    .group_segment_fixed_size: 0
    .kernarg_segment_align: 8
    .kernarg_segment_size: 56
    .language:       OpenCL C
    .language_version:
      - 2
      - 0
    .max_flat_workgroup_size: 128
    .name:           _ZN7rocprim17ROCPRIM_400000_NS6detail17trampoline_kernelINS0_14default_configENS1_38merge_sort_block_merge_config_selectorIlNS0_10empty_typeEEEZZNS1_27merge_sort_block_merge_implIS3_PlPS5_mZN2at6native12_GLOBAL__N_124unique_dim_cuda_templateIsEESt5tupleIJNSA_6TensorESF_SF_EERKSF_lbbbEUlllE_EE10hipError_tT0_T1_T2_jT3_P12ihipStream_tbPNSt15iterator_traitsISL_E10value_typeEPNSR_ISM_E10value_typeEPSN_NS1_7vsmem_tEENKUlT_SL_SM_SN_E_clIS8_S8_S9_S9_EESK_S10_SL_SM_SN_EUlS10_E_NS1_11comp_targetILNS1_3genE3ELNS1_11target_archE908ELNS1_3gpuE7ELNS1_3repE0EEENS1_48merge_mergepath_partition_config_static_selectorELNS0_4arch9wavefront6targetE1EEEvSM_
    .private_segment_fixed_size: 0
    .sgpr_count:     6
    .sgpr_spill_count: 0
    .symbol:         _ZN7rocprim17ROCPRIM_400000_NS6detail17trampoline_kernelINS0_14default_configENS1_38merge_sort_block_merge_config_selectorIlNS0_10empty_typeEEEZZNS1_27merge_sort_block_merge_implIS3_PlPS5_mZN2at6native12_GLOBAL__N_124unique_dim_cuda_templateIsEESt5tupleIJNSA_6TensorESF_SF_EERKSF_lbbbEUlllE_EE10hipError_tT0_T1_T2_jT3_P12ihipStream_tbPNSt15iterator_traitsISL_E10value_typeEPNSR_ISM_E10value_typeEPSN_NS1_7vsmem_tEENKUlT_SL_SM_SN_E_clIS8_S8_S9_S9_EESK_S10_SL_SM_SN_EUlS10_E_NS1_11comp_targetILNS1_3genE3ELNS1_11target_archE908ELNS1_3gpuE7ELNS1_3repE0EEENS1_48merge_mergepath_partition_config_static_selectorELNS0_4arch9wavefront6targetE1EEEvSM_.kd
    .uniform_work_group_size: 1
    .uses_dynamic_stack: false
    .vgpr_count:     0
    .vgpr_spill_count: 0
    .wavefront_size: 64
  - .agpr_count:     0
    .args:
      - .offset:         0
        .size:           56
        .value_kind:     by_value
    .group_segment_fixed_size: 0
    .kernarg_segment_align: 8
    .kernarg_segment_size: 56
    .language:       OpenCL C
    .language_version:
      - 2
      - 0
    .max_flat_workgroup_size: 128
    .name:           _ZN7rocprim17ROCPRIM_400000_NS6detail17trampoline_kernelINS0_14default_configENS1_38merge_sort_block_merge_config_selectorIlNS0_10empty_typeEEEZZNS1_27merge_sort_block_merge_implIS3_PlPS5_mZN2at6native12_GLOBAL__N_124unique_dim_cuda_templateIsEESt5tupleIJNSA_6TensorESF_SF_EERKSF_lbbbEUlllE_EE10hipError_tT0_T1_T2_jT3_P12ihipStream_tbPNSt15iterator_traitsISL_E10value_typeEPNSR_ISM_E10value_typeEPSN_NS1_7vsmem_tEENKUlT_SL_SM_SN_E_clIS8_S8_S9_S9_EESK_S10_SL_SM_SN_EUlS10_E_NS1_11comp_targetILNS1_3genE2ELNS1_11target_archE906ELNS1_3gpuE6ELNS1_3repE0EEENS1_48merge_mergepath_partition_config_static_selectorELNS0_4arch9wavefront6targetE1EEEvSM_
    .private_segment_fixed_size: 0
    .sgpr_count:     6
    .sgpr_spill_count: 0
    .symbol:         _ZN7rocprim17ROCPRIM_400000_NS6detail17trampoline_kernelINS0_14default_configENS1_38merge_sort_block_merge_config_selectorIlNS0_10empty_typeEEEZZNS1_27merge_sort_block_merge_implIS3_PlPS5_mZN2at6native12_GLOBAL__N_124unique_dim_cuda_templateIsEESt5tupleIJNSA_6TensorESF_SF_EERKSF_lbbbEUlllE_EE10hipError_tT0_T1_T2_jT3_P12ihipStream_tbPNSt15iterator_traitsISL_E10value_typeEPNSR_ISM_E10value_typeEPSN_NS1_7vsmem_tEENKUlT_SL_SM_SN_E_clIS8_S8_S9_S9_EESK_S10_SL_SM_SN_EUlS10_E_NS1_11comp_targetILNS1_3genE2ELNS1_11target_archE906ELNS1_3gpuE6ELNS1_3repE0EEENS1_48merge_mergepath_partition_config_static_selectorELNS0_4arch9wavefront6targetE1EEEvSM_.kd
    .uniform_work_group_size: 1
    .uses_dynamic_stack: false
    .vgpr_count:     0
    .vgpr_spill_count: 0
    .wavefront_size: 64
  - .agpr_count:     0
    .args:
      - .offset:         0
        .size:           56
        .value_kind:     by_value
    .group_segment_fixed_size: 0
    .kernarg_segment_align: 8
    .kernarg_segment_size: 56
    .language:       OpenCL C
    .language_version:
      - 2
      - 0
    .max_flat_workgroup_size: 128
    .name:           _ZN7rocprim17ROCPRIM_400000_NS6detail17trampoline_kernelINS0_14default_configENS1_38merge_sort_block_merge_config_selectorIlNS0_10empty_typeEEEZZNS1_27merge_sort_block_merge_implIS3_PlPS5_mZN2at6native12_GLOBAL__N_124unique_dim_cuda_templateIsEESt5tupleIJNSA_6TensorESF_SF_EERKSF_lbbbEUlllE_EE10hipError_tT0_T1_T2_jT3_P12ihipStream_tbPNSt15iterator_traitsISL_E10value_typeEPNSR_ISM_E10value_typeEPSN_NS1_7vsmem_tEENKUlT_SL_SM_SN_E_clIS8_S8_S9_S9_EESK_S10_SL_SM_SN_EUlS10_E_NS1_11comp_targetILNS1_3genE9ELNS1_11target_archE1100ELNS1_3gpuE3ELNS1_3repE0EEENS1_48merge_mergepath_partition_config_static_selectorELNS0_4arch9wavefront6targetE1EEEvSM_
    .private_segment_fixed_size: 0
    .sgpr_count:     6
    .sgpr_spill_count: 0
    .symbol:         _ZN7rocprim17ROCPRIM_400000_NS6detail17trampoline_kernelINS0_14default_configENS1_38merge_sort_block_merge_config_selectorIlNS0_10empty_typeEEEZZNS1_27merge_sort_block_merge_implIS3_PlPS5_mZN2at6native12_GLOBAL__N_124unique_dim_cuda_templateIsEESt5tupleIJNSA_6TensorESF_SF_EERKSF_lbbbEUlllE_EE10hipError_tT0_T1_T2_jT3_P12ihipStream_tbPNSt15iterator_traitsISL_E10value_typeEPNSR_ISM_E10value_typeEPSN_NS1_7vsmem_tEENKUlT_SL_SM_SN_E_clIS8_S8_S9_S9_EESK_S10_SL_SM_SN_EUlS10_E_NS1_11comp_targetILNS1_3genE9ELNS1_11target_archE1100ELNS1_3gpuE3ELNS1_3repE0EEENS1_48merge_mergepath_partition_config_static_selectorELNS0_4arch9wavefront6targetE1EEEvSM_.kd
    .uniform_work_group_size: 1
    .uses_dynamic_stack: false
    .vgpr_count:     0
    .vgpr_spill_count: 0
    .wavefront_size: 64
  - .agpr_count:     0
    .args:
      - .offset:         0
        .size:           56
        .value_kind:     by_value
    .group_segment_fixed_size: 0
    .kernarg_segment_align: 8
    .kernarg_segment_size: 56
    .language:       OpenCL C
    .language_version:
      - 2
      - 0
    .max_flat_workgroup_size: 128
    .name:           _ZN7rocprim17ROCPRIM_400000_NS6detail17trampoline_kernelINS0_14default_configENS1_38merge_sort_block_merge_config_selectorIlNS0_10empty_typeEEEZZNS1_27merge_sort_block_merge_implIS3_PlPS5_mZN2at6native12_GLOBAL__N_124unique_dim_cuda_templateIsEESt5tupleIJNSA_6TensorESF_SF_EERKSF_lbbbEUlllE_EE10hipError_tT0_T1_T2_jT3_P12ihipStream_tbPNSt15iterator_traitsISL_E10value_typeEPNSR_ISM_E10value_typeEPSN_NS1_7vsmem_tEENKUlT_SL_SM_SN_E_clIS8_S8_S9_S9_EESK_S10_SL_SM_SN_EUlS10_E_NS1_11comp_targetILNS1_3genE8ELNS1_11target_archE1030ELNS1_3gpuE2ELNS1_3repE0EEENS1_48merge_mergepath_partition_config_static_selectorELNS0_4arch9wavefront6targetE1EEEvSM_
    .private_segment_fixed_size: 0
    .sgpr_count:     6
    .sgpr_spill_count: 0
    .symbol:         _ZN7rocprim17ROCPRIM_400000_NS6detail17trampoline_kernelINS0_14default_configENS1_38merge_sort_block_merge_config_selectorIlNS0_10empty_typeEEEZZNS1_27merge_sort_block_merge_implIS3_PlPS5_mZN2at6native12_GLOBAL__N_124unique_dim_cuda_templateIsEESt5tupleIJNSA_6TensorESF_SF_EERKSF_lbbbEUlllE_EE10hipError_tT0_T1_T2_jT3_P12ihipStream_tbPNSt15iterator_traitsISL_E10value_typeEPNSR_ISM_E10value_typeEPSN_NS1_7vsmem_tEENKUlT_SL_SM_SN_E_clIS8_S8_S9_S9_EESK_S10_SL_SM_SN_EUlS10_E_NS1_11comp_targetILNS1_3genE8ELNS1_11target_archE1030ELNS1_3gpuE2ELNS1_3repE0EEENS1_48merge_mergepath_partition_config_static_selectorELNS0_4arch9wavefront6targetE1EEEvSM_.kd
    .uniform_work_group_size: 1
    .uses_dynamic_stack: false
    .vgpr_count:     0
    .vgpr_spill_count: 0
    .wavefront_size: 64
  - .agpr_count:     0
    .args:
      - .offset:         0
        .size:           88
        .value_kind:     by_value
      - .offset:         88
        .size:           4
        .value_kind:     hidden_block_count_x
      - .offset:         92
        .size:           4
        .value_kind:     hidden_block_count_y
      - .offset:         96
        .size:           4
        .value_kind:     hidden_block_count_z
      - .offset:         100
        .size:           2
        .value_kind:     hidden_group_size_x
      - .offset:         102
        .size:           2
        .value_kind:     hidden_group_size_y
      - .offset:         104
        .size:           2
        .value_kind:     hidden_group_size_z
      - .offset:         106
        .size:           2
        .value_kind:     hidden_remainder_x
      - .offset:         108
        .size:           2
        .value_kind:     hidden_remainder_y
      - .offset:         110
        .size:           2
        .value_kind:     hidden_remainder_z
      - .offset:         128
        .size:           8
        .value_kind:     hidden_global_offset_x
      - .offset:         136
        .size:           8
        .value_kind:     hidden_global_offset_y
      - .offset:         144
        .size:           8
        .value_kind:     hidden_global_offset_z
      - .offset:         152
        .size:           2
        .value_kind:     hidden_grid_dims
    .group_segment_fixed_size: 8448
    .kernarg_segment_align: 8
    .kernarg_segment_size: 344
    .language:       OpenCL C
    .language_version:
      - 2
      - 0
    .max_flat_workgroup_size: 128
    .name:           _ZN7rocprim17ROCPRIM_400000_NS6detail17trampoline_kernelINS0_14default_configENS1_38merge_sort_block_merge_config_selectorIlNS0_10empty_typeEEEZZNS1_27merge_sort_block_merge_implIS3_PlPS5_mZN2at6native12_GLOBAL__N_124unique_dim_cuda_templateIsEESt5tupleIJNSA_6TensorESF_SF_EERKSF_lbbbEUlllE_EE10hipError_tT0_T1_T2_jT3_P12ihipStream_tbPNSt15iterator_traitsISL_E10value_typeEPNSR_ISM_E10value_typeEPSN_NS1_7vsmem_tEENKUlT_SL_SM_SN_E_clIS8_S8_S9_S9_EESK_S10_SL_SM_SN_EUlS10_E0_NS1_11comp_targetILNS1_3genE0ELNS1_11target_archE4294967295ELNS1_3gpuE0ELNS1_3repE0EEENS1_38merge_mergepath_config_static_selectorELNS0_4arch9wavefront6targetE1EEEvSM_
    .private_segment_fixed_size: 0
    .sgpr_count:     58
    .sgpr_spill_count: 0
    .symbol:         _ZN7rocprim17ROCPRIM_400000_NS6detail17trampoline_kernelINS0_14default_configENS1_38merge_sort_block_merge_config_selectorIlNS0_10empty_typeEEEZZNS1_27merge_sort_block_merge_implIS3_PlPS5_mZN2at6native12_GLOBAL__N_124unique_dim_cuda_templateIsEESt5tupleIJNSA_6TensorESF_SF_EERKSF_lbbbEUlllE_EE10hipError_tT0_T1_T2_jT3_P12ihipStream_tbPNSt15iterator_traitsISL_E10value_typeEPNSR_ISM_E10value_typeEPSN_NS1_7vsmem_tEENKUlT_SL_SM_SN_E_clIS8_S8_S9_S9_EESK_S10_SL_SM_SN_EUlS10_E0_NS1_11comp_targetILNS1_3genE0ELNS1_11target_archE4294967295ELNS1_3gpuE0ELNS1_3repE0EEENS1_38merge_mergepath_config_static_selectorELNS0_4arch9wavefront6targetE1EEEvSM_.kd
    .uniform_work_group_size: 1
    .uses_dynamic_stack: false
    .vgpr_count:     38
    .vgpr_spill_count: 0
    .wavefront_size: 64
  - .agpr_count:     0
    .args:
      - .offset:         0
        .size:           88
        .value_kind:     by_value
    .group_segment_fixed_size: 0
    .kernarg_segment_align: 8
    .kernarg_segment_size: 88
    .language:       OpenCL C
    .language_version:
      - 2
      - 0
    .max_flat_workgroup_size: 512
    .name:           _ZN7rocprim17ROCPRIM_400000_NS6detail17trampoline_kernelINS0_14default_configENS1_38merge_sort_block_merge_config_selectorIlNS0_10empty_typeEEEZZNS1_27merge_sort_block_merge_implIS3_PlPS5_mZN2at6native12_GLOBAL__N_124unique_dim_cuda_templateIsEESt5tupleIJNSA_6TensorESF_SF_EERKSF_lbbbEUlllE_EE10hipError_tT0_T1_T2_jT3_P12ihipStream_tbPNSt15iterator_traitsISL_E10value_typeEPNSR_ISM_E10value_typeEPSN_NS1_7vsmem_tEENKUlT_SL_SM_SN_E_clIS8_S8_S9_S9_EESK_S10_SL_SM_SN_EUlS10_E0_NS1_11comp_targetILNS1_3genE10ELNS1_11target_archE1201ELNS1_3gpuE5ELNS1_3repE0EEENS1_38merge_mergepath_config_static_selectorELNS0_4arch9wavefront6targetE1EEEvSM_
    .private_segment_fixed_size: 0
    .sgpr_count:     6
    .sgpr_spill_count: 0
    .symbol:         _ZN7rocprim17ROCPRIM_400000_NS6detail17trampoline_kernelINS0_14default_configENS1_38merge_sort_block_merge_config_selectorIlNS0_10empty_typeEEEZZNS1_27merge_sort_block_merge_implIS3_PlPS5_mZN2at6native12_GLOBAL__N_124unique_dim_cuda_templateIsEESt5tupleIJNSA_6TensorESF_SF_EERKSF_lbbbEUlllE_EE10hipError_tT0_T1_T2_jT3_P12ihipStream_tbPNSt15iterator_traitsISL_E10value_typeEPNSR_ISM_E10value_typeEPSN_NS1_7vsmem_tEENKUlT_SL_SM_SN_E_clIS8_S8_S9_S9_EESK_S10_SL_SM_SN_EUlS10_E0_NS1_11comp_targetILNS1_3genE10ELNS1_11target_archE1201ELNS1_3gpuE5ELNS1_3repE0EEENS1_38merge_mergepath_config_static_selectorELNS0_4arch9wavefront6targetE1EEEvSM_.kd
    .uniform_work_group_size: 1
    .uses_dynamic_stack: false
    .vgpr_count:     0
    .vgpr_spill_count: 0
    .wavefront_size: 64
  - .agpr_count:     0
    .args:
      - .offset:         0
        .size:           88
        .value_kind:     by_value
    .group_segment_fixed_size: 0
    .kernarg_segment_align: 8
    .kernarg_segment_size: 88
    .language:       OpenCL C
    .language_version:
      - 2
      - 0
    .max_flat_workgroup_size: 128
    .name:           _ZN7rocprim17ROCPRIM_400000_NS6detail17trampoline_kernelINS0_14default_configENS1_38merge_sort_block_merge_config_selectorIlNS0_10empty_typeEEEZZNS1_27merge_sort_block_merge_implIS3_PlPS5_mZN2at6native12_GLOBAL__N_124unique_dim_cuda_templateIsEESt5tupleIJNSA_6TensorESF_SF_EERKSF_lbbbEUlllE_EE10hipError_tT0_T1_T2_jT3_P12ihipStream_tbPNSt15iterator_traitsISL_E10value_typeEPNSR_ISM_E10value_typeEPSN_NS1_7vsmem_tEENKUlT_SL_SM_SN_E_clIS8_S8_S9_S9_EESK_S10_SL_SM_SN_EUlS10_E0_NS1_11comp_targetILNS1_3genE5ELNS1_11target_archE942ELNS1_3gpuE9ELNS1_3repE0EEENS1_38merge_mergepath_config_static_selectorELNS0_4arch9wavefront6targetE1EEEvSM_
    .private_segment_fixed_size: 0
    .sgpr_count:     6
    .sgpr_spill_count: 0
    .symbol:         _ZN7rocprim17ROCPRIM_400000_NS6detail17trampoline_kernelINS0_14default_configENS1_38merge_sort_block_merge_config_selectorIlNS0_10empty_typeEEEZZNS1_27merge_sort_block_merge_implIS3_PlPS5_mZN2at6native12_GLOBAL__N_124unique_dim_cuda_templateIsEESt5tupleIJNSA_6TensorESF_SF_EERKSF_lbbbEUlllE_EE10hipError_tT0_T1_T2_jT3_P12ihipStream_tbPNSt15iterator_traitsISL_E10value_typeEPNSR_ISM_E10value_typeEPSN_NS1_7vsmem_tEENKUlT_SL_SM_SN_E_clIS8_S8_S9_S9_EESK_S10_SL_SM_SN_EUlS10_E0_NS1_11comp_targetILNS1_3genE5ELNS1_11target_archE942ELNS1_3gpuE9ELNS1_3repE0EEENS1_38merge_mergepath_config_static_selectorELNS0_4arch9wavefront6targetE1EEEvSM_.kd
    .uniform_work_group_size: 1
    .uses_dynamic_stack: false
    .vgpr_count:     0
    .vgpr_spill_count: 0
    .wavefront_size: 64
  - .agpr_count:     0
    .args:
      - .offset:         0
        .size:           88
        .value_kind:     by_value
    .group_segment_fixed_size: 0
    .kernarg_segment_align: 8
    .kernarg_segment_size: 88
    .language:       OpenCL C
    .language_version:
      - 2
      - 0
    .max_flat_workgroup_size: 256
    .name:           _ZN7rocprim17ROCPRIM_400000_NS6detail17trampoline_kernelINS0_14default_configENS1_38merge_sort_block_merge_config_selectorIlNS0_10empty_typeEEEZZNS1_27merge_sort_block_merge_implIS3_PlPS5_mZN2at6native12_GLOBAL__N_124unique_dim_cuda_templateIsEESt5tupleIJNSA_6TensorESF_SF_EERKSF_lbbbEUlllE_EE10hipError_tT0_T1_T2_jT3_P12ihipStream_tbPNSt15iterator_traitsISL_E10value_typeEPNSR_ISM_E10value_typeEPSN_NS1_7vsmem_tEENKUlT_SL_SM_SN_E_clIS8_S8_S9_S9_EESK_S10_SL_SM_SN_EUlS10_E0_NS1_11comp_targetILNS1_3genE4ELNS1_11target_archE910ELNS1_3gpuE8ELNS1_3repE0EEENS1_38merge_mergepath_config_static_selectorELNS0_4arch9wavefront6targetE1EEEvSM_
    .private_segment_fixed_size: 0
    .sgpr_count:     6
    .sgpr_spill_count: 0
    .symbol:         _ZN7rocprim17ROCPRIM_400000_NS6detail17trampoline_kernelINS0_14default_configENS1_38merge_sort_block_merge_config_selectorIlNS0_10empty_typeEEEZZNS1_27merge_sort_block_merge_implIS3_PlPS5_mZN2at6native12_GLOBAL__N_124unique_dim_cuda_templateIsEESt5tupleIJNSA_6TensorESF_SF_EERKSF_lbbbEUlllE_EE10hipError_tT0_T1_T2_jT3_P12ihipStream_tbPNSt15iterator_traitsISL_E10value_typeEPNSR_ISM_E10value_typeEPSN_NS1_7vsmem_tEENKUlT_SL_SM_SN_E_clIS8_S8_S9_S9_EESK_S10_SL_SM_SN_EUlS10_E0_NS1_11comp_targetILNS1_3genE4ELNS1_11target_archE910ELNS1_3gpuE8ELNS1_3repE0EEENS1_38merge_mergepath_config_static_selectorELNS0_4arch9wavefront6targetE1EEEvSM_.kd
    .uniform_work_group_size: 1
    .uses_dynamic_stack: false
    .vgpr_count:     0
    .vgpr_spill_count: 0
    .wavefront_size: 64
  - .agpr_count:     0
    .args:
      - .offset:         0
        .size:           88
        .value_kind:     by_value
    .group_segment_fixed_size: 0
    .kernarg_segment_align: 8
    .kernarg_segment_size: 88
    .language:       OpenCL C
    .language_version:
      - 2
      - 0
    .max_flat_workgroup_size: 128
    .name:           _ZN7rocprim17ROCPRIM_400000_NS6detail17trampoline_kernelINS0_14default_configENS1_38merge_sort_block_merge_config_selectorIlNS0_10empty_typeEEEZZNS1_27merge_sort_block_merge_implIS3_PlPS5_mZN2at6native12_GLOBAL__N_124unique_dim_cuda_templateIsEESt5tupleIJNSA_6TensorESF_SF_EERKSF_lbbbEUlllE_EE10hipError_tT0_T1_T2_jT3_P12ihipStream_tbPNSt15iterator_traitsISL_E10value_typeEPNSR_ISM_E10value_typeEPSN_NS1_7vsmem_tEENKUlT_SL_SM_SN_E_clIS8_S8_S9_S9_EESK_S10_SL_SM_SN_EUlS10_E0_NS1_11comp_targetILNS1_3genE3ELNS1_11target_archE908ELNS1_3gpuE7ELNS1_3repE0EEENS1_38merge_mergepath_config_static_selectorELNS0_4arch9wavefront6targetE1EEEvSM_
    .private_segment_fixed_size: 0
    .sgpr_count:     6
    .sgpr_spill_count: 0
    .symbol:         _ZN7rocprim17ROCPRIM_400000_NS6detail17trampoline_kernelINS0_14default_configENS1_38merge_sort_block_merge_config_selectorIlNS0_10empty_typeEEEZZNS1_27merge_sort_block_merge_implIS3_PlPS5_mZN2at6native12_GLOBAL__N_124unique_dim_cuda_templateIsEESt5tupleIJNSA_6TensorESF_SF_EERKSF_lbbbEUlllE_EE10hipError_tT0_T1_T2_jT3_P12ihipStream_tbPNSt15iterator_traitsISL_E10value_typeEPNSR_ISM_E10value_typeEPSN_NS1_7vsmem_tEENKUlT_SL_SM_SN_E_clIS8_S8_S9_S9_EESK_S10_SL_SM_SN_EUlS10_E0_NS1_11comp_targetILNS1_3genE3ELNS1_11target_archE908ELNS1_3gpuE7ELNS1_3repE0EEENS1_38merge_mergepath_config_static_selectorELNS0_4arch9wavefront6targetE1EEEvSM_.kd
    .uniform_work_group_size: 1
    .uses_dynamic_stack: false
    .vgpr_count:     0
    .vgpr_spill_count: 0
    .wavefront_size: 64
  - .agpr_count:     0
    .args:
      - .offset:         0
        .size:           88
        .value_kind:     by_value
    .group_segment_fixed_size: 0
    .kernarg_segment_align: 8
    .kernarg_segment_size: 88
    .language:       OpenCL C
    .language_version:
      - 2
      - 0
    .max_flat_workgroup_size: 256
    .name:           _ZN7rocprim17ROCPRIM_400000_NS6detail17trampoline_kernelINS0_14default_configENS1_38merge_sort_block_merge_config_selectorIlNS0_10empty_typeEEEZZNS1_27merge_sort_block_merge_implIS3_PlPS5_mZN2at6native12_GLOBAL__N_124unique_dim_cuda_templateIsEESt5tupleIJNSA_6TensorESF_SF_EERKSF_lbbbEUlllE_EE10hipError_tT0_T1_T2_jT3_P12ihipStream_tbPNSt15iterator_traitsISL_E10value_typeEPNSR_ISM_E10value_typeEPSN_NS1_7vsmem_tEENKUlT_SL_SM_SN_E_clIS8_S8_S9_S9_EESK_S10_SL_SM_SN_EUlS10_E0_NS1_11comp_targetILNS1_3genE2ELNS1_11target_archE906ELNS1_3gpuE6ELNS1_3repE0EEENS1_38merge_mergepath_config_static_selectorELNS0_4arch9wavefront6targetE1EEEvSM_
    .private_segment_fixed_size: 0
    .sgpr_count:     6
    .sgpr_spill_count: 0
    .symbol:         _ZN7rocprim17ROCPRIM_400000_NS6detail17trampoline_kernelINS0_14default_configENS1_38merge_sort_block_merge_config_selectorIlNS0_10empty_typeEEEZZNS1_27merge_sort_block_merge_implIS3_PlPS5_mZN2at6native12_GLOBAL__N_124unique_dim_cuda_templateIsEESt5tupleIJNSA_6TensorESF_SF_EERKSF_lbbbEUlllE_EE10hipError_tT0_T1_T2_jT3_P12ihipStream_tbPNSt15iterator_traitsISL_E10value_typeEPNSR_ISM_E10value_typeEPSN_NS1_7vsmem_tEENKUlT_SL_SM_SN_E_clIS8_S8_S9_S9_EESK_S10_SL_SM_SN_EUlS10_E0_NS1_11comp_targetILNS1_3genE2ELNS1_11target_archE906ELNS1_3gpuE6ELNS1_3repE0EEENS1_38merge_mergepath_config_static_selectorELNS0_4arch9wavefront6targetE1EEEvSM_.kd
    .uniform_work_group_size: 1
    .uses_dynamic_stack: false
    .vgpr_count:     0
    .vgpr_spill_count: 0
    .wavefront_size: 64
  - .agpr_count:     0
    .args:
      - .offset:         0
        .size:           88
        .value_kind:     by_value
    .group_segment_fixed_size: 0
    .kernarg_segment_align: 8
    .kernarg_segment_size: 88
    .language:       OpenCL C
    .language_version:
      - 2
      - 0
    .max_flat_workgroup_size: 512
    .name:           _ZN7rocprim17ROCPRIM_400000_NS6detail17trampoline_kernelINS0_14default_configENS1_38merge_sort_block_merge_config_selectorIlNS0_10empty_typeEEEZZNS1_27merge_sort_block_merge_implIS3_PlPS5_mZN2at6native12_GLOBAL__N_124unique_dim_cuda_templateIsEESt5tupleIJNSA_6TensorESF_SF_EERKSF_lbbbEUlllE_EE10hipError_tT0_T1_T2_jT3_P12ihipStream_tbPNSt15iterator_traitsISL_E10value_typeEPNSR_ISM_E10value_typeEPSN_NS1_7vsmem_tEENKUlT_SL_SM_SN_E_clIS8_S8_S9_S9_EESK_S10_SL_SM_SN_EUlS10_E0_NS1_11comp_targetILNS1_3genE9ELNS1_11target_archE1100ELNS1_3gpuE3ELNS1_3repE0EEENS1_38merge_mergepath_config_static_selectorELNS0_4arch9wavefront6targetE1EEEvSM_
    .private_segment_fixed_size: 0
    .sgpr_count:     6
    .sgpr_spill_count: 0
    .symbol:         _ZN7rocprim17ROCPRIM_400000_NS6detail17trampoline_kernelINS0_14default_configENS1_38merge_sort_block_merge_config_selectorIlNS0_10empty_typeEEEZZNS1_27merge_sort_block_merge_implIS3_PlPS5_mZN2at6native12_GLOBAL__N_124unique_dim_cuda_templateIsEESt5tupleIJNSA_6TensorESF_SF_EERKSF_lbbbEUlllE_EE10hipError_tT0_T1_T2_jT3_P12ihipStream_tbPNSt15iterator_traitsISL_E10value_typeEPNSR_ISM_E10value_typeEPSN_NS1_7vsmem_tEENKUlT_SL_SM_SN_E_clIS8_S8_S9_S9_EESK_S10_SL_SM_SN_EUlS10_E0_NS1_11comp_targetILNS1_3genE9ELNS1_11target_archE1100ELNS1_3gpuE3ELNS1_3repE0EEENS1_38merge_mergepath_config_static_selectorELNS0_4arch9wavefront6targetE1EEEvSM_.kd
    .uniform_work_group_size: 1
    .uses_dynamic_stack: false
    .vgpr_count:     0
    .vgpr_spill_count: 0
    .wavefront_size: 64
  - .agpr_count:     0
    .args:
      - .offset:         0
        .size:           88
        .value_kind:     by_value
    .group_segment_fixed_size: 0
    .kernarg_segment_align: 8
    .kernarg_segment_size: 88
    .language:       OpenCL C
    .language_version:
      - 2
      - 0
    .max_flat_workgroup_size: 1024
    .name:           _ZN7rocprim17ROCPRIM_400000_NS6detail17trampoline_kernelINS0_14default_configENS1_38merge_sort_block_merge_config_selectorIlNS0_10empty_typeEEEZZNS1_27merge_sort_block_merge_implIS3_PlPS5_mZN2at6native12_GLOBAL__N_124unique_dim_cuda_templateIsEESt5tupleIJNSA_6TensorESF_SF_EERKSF_lbbbEUlllE_EE10hipError_tT0_T1_T2_jT3_P12ihipStream_tbPNSt15iterator_traitsISL_E10value_typeEPNSR_ISM_E10value_typeEPSN_NS1_7vsmem_tEENKUlT_SL_SM_SN_E_clIS8_S8_S9_S9_EESK_S10_SL_SM_SN_EUlS10_E0_NS1_11comp_targetILNS1_3genE8ELNS1_11target_archE1030ELNS1_3gpuE2ELNS1_3repE0EEENS1_38merge_mergepath_config_static_selectorELNS0_4arch9wavefront6targetE1EEEvSM_
    .private_segment_fixed_size: 0
    .sgpr_count:     6
    .sgpr_spill_count: 0
    .symbol:         _ZN7rocprim17ROCPRIM_400000_NS6detail17trampoline_kernelINS0_14default_configENS1_38merge_sort_block_merge_config_selectorIlNS0_10empty_typeEEEZZNS1_27merge_sort_block_merge_implIS3_PlPS5_mZN2at6native12_GLOBAL__N_124unique_dim_cuda_templateIsEESt5tupleIJNSA_6TensorESF_SF_EERKSF_lbbbEUlllE_EE10hipError_tT0_T1_T2_jT3_P12ihipStream_tbPNSt15iterator_traitsISL_E10value_typeEPNSR_ISM_E10value_typeEPSN_NS1_7vsmem_tEENKUlT_SL_SM_SN_E_clIS8_S8_S9_S9_EESK_S10_SL_SM_SN_EUlS10_E0_NS1_11comp_targetILNS1_3genE8ELNS1_11target_archE1030ELNS1_3gpuE2ELNS1_3repE0EEENS1_38merge_mergepath_config_static_selectorELNS0_4arch9wavefront6targetE1EEEvSM_.kd
    .uniform_work_group_size: 1
    .uses_dynamic_stack: false
    .vgpr_count:     0
    .vgpr_spill_count: 0
    .wavefront_size: 64
  - .agpr_count:     0
    .args:
      - .offset:         0
        .size:           64
        .value_kind:     by_value
    .group_segment_fixed_size: 0
    .kernarg_segment_align: 8
    .kernarg_segment_size: 64
    .language:       OpenCL C
    .language_version:
      - 2
      - 0
    .max_flat_workgroup_size: 256
    .name:           _ZN7rocprim17ROCPRIM_400000_NS6detail17trampoline_kernelINS0_14default_configENS1_38merge_sort_block_merge_config_selectorIlNS0_10empty_typeEEEZZNS1_27merge_sort_block_merge_implIS3_PlPS5_mZN2at6native12_GLOBAL__N_124unique_dim_cuda_templateIsEESt5tupleIJNSA_6TensorESF_SF_EERKSF_lbbbEUlllE_EE10hipError_tT0_T1_T2_jT3_P12ihipStream_tbPNSt15iterator_traitsISL_E10value_typeEPNSR_ISM_E10value_typeEPSN_NS1_7vsmem_tEENKUlT_SL_SM_SN_E_clIS8_S8_S9_S9_EESK_S10_SL_SM_SN_EUlS10_E1_NS1_11comp_targetILNS1_3genE0ELNS1_11target_archE4294967295ELNS1_3gpuE0ELNS1_3repE0EEENS1_36merge_oddeven_config_static_selectorELNS0_4arch9wavefront6targetE1EEEvSM_
    .private_segment_fixed_size: 0
    .sgpr_count:     52
    .sgpr_spill_count: 0
    .symbol:         _ZN7rocprim17ROCPRIM_400000_NS6detail17trampoline_kernelINS0_14default_configENS1_38merge_sort_block_merge_config_selectorIlNS0_10empty_typeEEEZZNS1_27merge_sort_block_merge_implIS3_PlPS5_mZN2at6native12_GLOBAL__N_124unique_dim_cuda_templateIsEESt5tupleIJNSA_6TensorESF_SF_EERKSF_lbbbEUlllE_EE10hipError_tT0_T1_T2_jT3_P12ihipStream_tbPNSt15iterator_traitsISL_E10value_typeEPNSR_ISM_E10value_typeEPSN_NS1_7vsmem_tEENKUlT_SL_SM_SN_E_clIS8_S8_S9_S9_EESK_S10_SL_SM_SN_EUlS10_E1_NS1_11comp_targetILNS1_3genE0ELNS1_11target_archE4294967295ELNS1_3gpuE0ELNS1_3repE0EEENS1_36merge_oddeven_config_static_selectorELNS0_4arch9wavefront6targetE1EEEvSM_.kd
    .uniform_work_group_size: 1
    .uses_dynamic_stack: false
    .vgpr_count:     19
    .vgpr_spill_count: 0
    .wavefront_size: 64
  - .agpr_count:     0
    .args:
      - .offset:         0
        .size:           64
        .value_kind:     by_value
    .group_segment_fixed_size: 0
    .kernarg_segment_align: 8
    .kernarg_segment_size: 64
    .language:       OpenCL C
    .language_version:
      - 2
      - 0
    .max_flat_workgroup_size: 256
    .name:           _ZN7rocprim17ROCPRIM_400000_NS6detail17trampoline_kernelINS0_14default_configENS1_38merge_sort_block_merge_config_selectorIlNS0_10empty_typeEEEZZNS1_27merge_sort_block_merge_implIS3_PlPS5_mZN2at6native12_GLOBAL__N_124unique_dim_cuda_templateIsEESt5tupleIJNSA_6TensorESF_SF_EERKSF_lbbbEUlllE_EE10hipError_tT0_T1_T2_jT3_P12ihipStream_tbPNSt15iterator_traitsISL_E10value_typeEPNSR_ISM_E10value_typeEPSN_NS1_7vsmem_tEENKUlT_SL_SM_SN_E_clIS8_S8_S9_S9_EESK_S10_SL_SM_SN_EUlS10_E1_NS1_11comp_targetILNS1_3genE10ELNS1_11target_archE1201ELNS1_3gpuE5ELNS1_3repE0EEENS1_36merge_oddeven_config_static_selectorELNS0_4arch9wavefront6targetE1EEEvSM_
    .private_segment_fixed_size: 0
    .sgpr_count:     6
    .sgpr_spill_count: 0
    .symbol:         _ZN7rocprim17ROCPRIM_400000_NS6detail17trampoline_kernelINS0_14default_configENS1_38merge_sort_block_merge_config_selectorIlNS0_10empty_typeEEEZZNS1_27merge_sort_block_merge_implIS3_PlPS5_mZN2at6native12_GLOBAL__N_124unique_dim_cuda_templateIsEESt5tupleIJNSA_6TensorESF_SF_EERKSF_lbbbEUlllE_EE10hipError_tT0_T1_T2_jT3_P12ihipStream_tbPNSt15iterator_traitsISL_E10value_typeEPNSR_ISM_E10value_typeEPSN_NS1_7vsmem_tEENKUlT_SL_SM_SN_E_clIS8_S8_S9_S9_EESK_S10_SL_SM_SN_EUlS10_E1_NS1_11comp_targetILNS1_3genE10ELNS1_11target_archE1201ELNS1_3gpuE5ELNS1_3repE0EEENS1_36merge_oddeven_config_static_selectorELNS0_4arch9wavefront6targetE1EEEvSM_.kd
    .uniform_work_group_size: 1
    .uses_dynamic_stack: false
    .vgpr_count:     0
    .vgpr_spill_count: 0
    .wavefront_size: 64
  - .agpr_count:     0
    .args:
      - .offset:         0
        .size:           64
        .value_kind:     by_value
    .group_segment_fixed_size: 0
    .kernarg_segment_align: 8
    .kernarg_segment_size: 64
    .language:       OpenCL C
    .language_version:
      - 2
      - 0
    .max_flat_workgroup_size: 256
    .name:           _ZN7rocprim17ROCPRIM_400000_NS6detail17trampoline_kernelINS0_14default_configENS1_38merge_sort_block_merge_config_selectorIlNS0_10empty_typeEEEZZNS1_27merge_sort_block_merge_implIS3_PlPS5_mZN2at6native12_GLOBAL__N_124unique_dim_cuda_templateIsEESt5tupleIJNSA_6TensorESF_SF_EERKSF_lbbbEUlllE_EE10hipError_tT0_T1_T2_jT3_P12ihipStream_tbPNSt15iterator_traitsISL_E10value_typeEPNSR_ISM_E10value_typeEPSN_NS1_7vsmem_tEENKUlT_SL_SM_SN_E_clIS8_S8_S9_S9_EESK_S10_SL_SM_SN_EUlS10_E1_NS1_11comp_targetILNS1_3genE5ELNS1_11target_archE942ELNS1_3gpuE9ELNS1_3repE0EEENS1_36merge_oddeven_config_static_selectorELNS0_4arch9wavefront6targetE1EEEvSM_
    .private_segment_fixed_size: 0
    .sgpr_count:     6
    .sgpr_spill_count: 0
    .symbol:         _ZN7rocprim17ROCPRIM_400000_NS6detail17trampoline_kernelINS0_14default_configENS1_38merge_sort_block_merge_config_selectorIlNS0_10empty_typeEEEZZNS1_27merge_sort_block_merge_implIS3_PlPS5_mZN2at6native12_GLOBAL__N_124unique_dim_cuda_templateIsEESt5tupleIJNSA_6TensorESF_SF_EERKSF_lbbbEUlllE_EE10hipError_tT0_T1_T2_jT3_P12ihipStream_tbPNSt15iterator_traitsISL_E10value_typeEPNSR_ISM_E10value_typeEPSN_NS1_7vsmem_tEENKUlT_SL_SM_SN_E_clIS8_S8_S9_S9_EESK_S10_SL_SM_SN_EUlS10_E1_NS1_11comp_targetILNS1_3genE5ELNS1_11target_archE942ELNS1_3gpuE9ELNS1_3repE0EEENS1_36merge_oddeven_config_static_selectorELNS0_4arch9wavefront6targetE1EEEvSM_.kd
    .uniform_work_group_size: 1
    .uses_dynamic_stack: false
    .vgpr_count:     0
    .vgpr_spill_count: 0
    .wavefront_size: 64
  - .agpr_count:     0
    .args:
      - .offset:         0
        .size:           64
        .value_kind:     by_value
    .group_segment_fixed_size: 0
    .kernarg_segment_align: 8
    .kernarg_segment_size: 64
    .language:       OpenCL C
    .language_version:
      - 2
      - 0
    .max_flat_workgroup_size: 256
    .name:           _ZN7rocprim17ROCPRIM_400000_NS6detail17trampoline_kernelINS0_14default_configENS1_38merge_sort_block_merge_config_selectorIlNS0_10empty_typeEEEZZNS1_27merge_sort_block_merge_implIS3_PlPS5_mZN2at6native12_GLOBAL__N_124unique_dim_cuda_templateIsEESt5tupleIJNSA_6TensorESF_SF_EERKSF_lbbbEUlllE_EE10hipError_tT0_T1_T2_jT3_P12ihipStream_tbPNSt15iterator_traitsISL_E10value_typeEPNSR_ISM_E10value_typeEPSN_NS1_7vsmem_tEENKUlT_SL_SM_SN_E_clIS8_S8_S9_S9_EESK_S10_SL_SM_SN_EUlS10_E1_NS1_11comp_targetILNS1_3genE4ELNS1_11target_archE910ELNS1_3gpuE8ELNS1_3repE0EEENS1_36merge_oddeven_config_static_selectorELNS0_4arch9wavefront6targetE1EEEvSM_
    .private_segment_fixed_size: 0
    .sgpr_count:     6
    .sgpr_spill_count: 0
    .symbol:         _ZN7rocprim17ROCPRIM_400000_NS6detail17trampoline_kernelINS0_14default_configENS1_38merge_sort_block_merge_config_selectorIlNS0_10empty_typeEEEZZNS1_27merge_sort_block_merge_implIS3_PlPS5_mZN2at6native12_GLOBAL__N_124unique_dim_cuda_templateIsEESt5tupleIJNSA_6TensorESF_SF_EERKSF_lbbbEUlllE_EE10hipError_tT0_T1_T2_jT3_P12ihipStream_tbPNSt15iterator_traitsISL_E10value_typeEPNSR_ISM_E10value_typeEPSN_NS1_7vsmem_tEENKUlT_SL_SM_SN_E_clIS8_S8_S9_S9_EESK_S10_SL_SM_SN_EUlS10_E1_NS1_11comp_targetILNS1_3genE4ELNS1_11target_archE910ELNS1_3gpuE8ELNS1_3repE0EEENS1_36merge_oddeven_config_static_selectorELNS0_4arch9wavefront6targetE1EEEvSM_.kd
    .uniform_work_group_size: 1
    .uses_dynamic_stack: false
    .vgpr_count:     0
    .vgpr_spill_count: 0
    .wavefront_size: 64
  - .agpr_count:     0
    .args:
      - .offset:         0
        .size:           64
        .value_kind:     by_value
    .group_segment_fixed_size: 0
    .kernarg_segment_align: 8
    .kernarg_segment_size: 64
    .language:       OpenCL C
    .language_version:
      - 2
      - 0
    .max_flat_workgroup_size: 256
    .name:           _ZN7rocprim17ROCPRIM_400000_NS6detail17trampoline_kernelINS0_14default_configENS1_38merge_sort_block_merge_config_selectorIlNS0_10empty_typeEEEZZNS1_27merge_sort_block_merge_implIS3_PlPS5_mZN2at6native12_GLOBAL__N_124unique_dim_cuda_templateIsEESt5tupleIJNSA_6TensorESF_SF_EERKSF_lbbbEUlllE_EE10hipError_tT0_T1_T2_jT3_P12ihipStream_tbPNSt15iterator_traitsISL_E10value_typeEPNSR_ISM_E10value_typeEPSN_NS1_7vsmem_tEENKUlT_SL_SM_SN_E_clIS8_S8_S9_S9_EESK_S10_SL_SM_SN_EUlS10_E1_NS1_11comp_targetILNS1_3genE3ELNS1_11target_archE908ELNS1_3gpuE7ELNS1_3repE0EEENS1_36merge_oddeven_config_static_selectorELNS0_4arch9wavefront6targetE1EEEvSM_
    .private_segment_fixed_size: 0
    .sgpr_count:     6
    .sgpr_spill_count: 0
    .symbol:         _ZN7rocprim17ROCPRIM_400000_NS6detail17trampoline_kernelINS0_14default_configENS1_38merge_sort_block_merge_config_selectorIlNS0_10empty_typeEEEZZNS1_27merge_sort_block_merge_implIS3_PlPS5_mZN2at6native12_GLOBAL__N_124unique_dim_cuda_templateIsEESt5tupleIJNSA_6TensorESF_SF_EERKSF_lbbbEUlllE_EE10hipError_tT0_T1_T2_jT3_P12ihipStream_tbPNSt15iterator_traitsISL_E10value_typeEPNSR_ISM_E10value_typeEPSN_NS1_7vsmem_tEENKUlT_SL_SM_SN_E_clIS8_S8_S9_S9_EESK_S10_SL_SM_SN_EUlS10_E1_NS1_11comp_targetILNS1_3genE3ELNS1_11target_archE908ELNS1_3gpuE7ELNS1_3repE0EEENS1_36merge_oddeven_config_static_selectorELNS0_4arch9wavefront6targetE1EEEvSM_.kd
    .uniform_work_group_size: 1
    .uses_dynamic_stack: false
    .vgpr_count:     0
    .vgpr_spill_count: 0
    .wavefront_size: 64
  - .agpr_count:     0
    .args:
      - .offset:         0
        .size:           64
        .value_kind:     by_value
    .group_segment_fixed_size: 0
    .kernarg_segment_align: 8
    .kernarg_segment_size: 64
    .language:       OpenCL C
    .language_version:
      - 2
      - 0
    .max_flat_workgroup_size: 256
    .name:           _ZN7rocprim17ROCPRIM_400000_NS6detail17trampoline_kernelINS0_14default_configENS1_38merge_sort_block_merge_config_selectorIlNS0_10empty_typeEEEZZNS1_27merge_sort_block_merge_implIS3_PlPS5_mZN2at6native12_GLOBAL__N_124unique_dim_cuda_templateIsEESt5tupleIJNSA_6TensorESF_SF_EERKSF_lbbbEUlllE_EE10hipError_tT0_T1_T2_jT3_P12ihipStream_tbPNSt15iterator_traitsISL_E10value_typeEPNSR_ISM_E10value_typeEPSN_NS1_7vsmem_tEENKUlT_SL_SM_SN_E_clIS8_S8_S9_S9_EESK_S10_SL_SM_SN_EUlS10_E1_NS1_11comp_targetILNS1_3genE2ELNS1_11target_archE906ELNS1_3gpuE6ELNS1_3repE0EEENS1_36merge_oddeven_config_static_selectorELNS0_4arch9wavefront6targetE1EEEvSM_
    .private_segment_fixed_size: 0
    .sgpr_count:     6
    .sgpr_spill_count: 0
    .symbol:         _ZN7rocprim17ROCPRIM_400000_NS6detail17trampoline_kernelINS0_14default_configENS1_38merge_sort_block_merge_config_selectorIlNS0_10empty_typeEEEZZNS1_27merge_sort_block_merge_implIS3_PlPS5_mZN2at6native12_GLOBAL__N_124unique_dim_cuda_templateIsEESt5tupleIJNSA_6TensorESF_SF_EERKSF_lbbbEUlllE_EE10hipError_tT0_T1_T2_jT3_P12ihipStream_tbPNSt15iterator_traitsISL_E10value_typeEPNSR_ISM_E10value_typeEPSN_NS1_7vsmem_tEENKUlT_SL_SM_SN_E_clIS8_S8_S9_S9_EESK_S10_SL_SM_SN_EUlS10_E1_NS1_11comp_targetILNS1_3genE2ELNS1_11target_archE906ELNS1_3gpuE6ELNS1_3repE0EEENS1_36merge_oddeven_config_static_selectorELNS0_4arch9wavefront6targetE1EEEvSM_.kd
    .uniform_work_group_size: 1
    .uses_dynamic_stack: false
    .vgpr_count:     0
    .vgpr_spill_count: 0
    .wavefront_size: 64
  - .agpr_count:     0
    .args:
      - .offset:         0
        .size:           64
        .value_kind:     by_value
    .group_segment_fixed_size: 0
    .kernarg_segment_align: 8
    .kernarg_segment_size: 64
    .language:       OpenCL C
    .language_version:
      - 2
      - 0
    .max_flat_workgroup_size: 256
    .name:           _ZN7rocprim17ROCPRIM_400000_NS6detail17trampoline_kernelINS0_14default_configENS1_38merge_sort_block_merge_config_selectorIlNS0_10empty_typeEEEZZNS1_27merge_sort_block_merge_implIS3_PlPS5_mZN2at6native12_GLOBAL__N_124unique_dim_cuda_templateIsEESt5tupleIJNSA_6TensorESF_SF_EERKSF_lbbbEUlllE_EE10hipError_tT0_T1_T2_jT3_P12ihipStream_tbPNSt15iterator_traitsISL_E10value_typeEPNSR_ISM_E10value_typeEPSN_NS1_7vsmem_tEENKUlT_SL_SM_SN_E_clIS8_S8_S9_S9_EESK_S10_SL_SM_SN_EUlS10_E1_NS1_11comp_targetILNS1_3genE9ELNS1_11target_archE1100ELNS1_3gpuE3ELNS1_3repE0EEENS1_36merge_oddeven_config_static_selectorELNS0_4arch9wavefront6targetE1EEEvSM_
    .private_segment_fixed_size: 0
    .sgpr_count:     6
    .sgpr_spill_count: 0
    .symbol:         _ZN7rocprim17ROCPRIM_400000_NS6detail17trampoline_kernelINS0_14default_configENS1_38merge_sort_block_merge_config_selectorIlNS0_10empty_typeEEEZZNS1_27merge_sort_block_merge_implIS3_PlPS5_mZN2at6native12_GLOBAL__N_124unique_dim_cuda_templateIsEESt5tupleIJNSA_6TensorESF_SF_EERKSF_lbbbEUlllE_EE10hipError_tT0_T1_T2_jT3_P12ihipStream_tbPNSt15iterator_traitsISL_E10value_typeEPNSR_ISM_E10value_typeEPSN_NS1_7vsmem_tEENKUlT_SL_SM_SN_E_clIS8_S8_S9_S9_EESK_S10_SL_SM_SN_EUlS10_E1_NS1_11comp_targetILNS1_3genE9ELNS1_11target_archE1100ELNS1_3gpuE3ELNS1_3repE0EEENS1_36merge_oddeven_config_static_selectorELNS0_4arch9wavefront6targetE1EEEvSM_.kd
    .uniform_work_group_size: 1
    .uses_dynamic_stack: false
    .vgpr_count:     0
    .vgpr_spill_count: 0
    .wavefront_size: 64
  - .agpr_count:     0
    .args:
      - .offset:         0
        .size:           64
        .value_kind:     by_value
    .group_segment_fixed_size: 0
    .kernarg_segment_align: 8
    .kernarg_segment_size: 64
    .language:       OpenCL C
    .language_version:
      - 2
      - 0
    .max_flat_workgroup_size: 256
    .name:           _ZN7rocprim17ROCPRIM_400000_NS6detail17trampoline_kernelINS0_14default_configENS1_38merge_sort_block_merge_config_selectorIlNS0_10empty_typeEEEZZNS1_27merge_sort_block_merge_implIS3_PlPS5_mZN2at6native12_GLOBAL__N_124unique_dim_cuda_templateIsEESt5tupleIJNSA_6TensorESF_SF_EERKSF_lbbbEUlllE_EE10hipError_tT0_T1_T2_jT3_P12ihipStream_tbPNSt15iterator_traitsISL_E10value_typeEPNSR_ISM_E10value_typeEPSN_NS1_7vsmem_tEENKUlT_SL_SM_SN_E_clIS8_S8_S9_S9_EESK_S10_SL_SM_SN_EUlS10_E1_NS1_11comp_targetILNS1_3genE8ELNS1_11target_archE1030ELNS1_3gpuE2ELNS1_3repE0EEENS1_36merge_oddeven_config_static_selectorELNS0_4arch9wavefront6targetE1EEEvSM_
    .private_segment_fixed_size: 0
    .sgpr_count:     6
    .sgpr_spill_count: 0
    .symbol:         _ZN7rocprim17ROCPRIM_400000_NS6detail17trampoline_kernelINS0_14default_configENS1_38merge_sort_block_merge_config_selectorIlNS0_10empty_typeEEEZZNS1_27merge_sort_block_merge_implIS3_PlPS5_mZN2at6native12_GLOBAL__N_124unique_dim_cuda_templateIsEESt5tupleIJNSA_6TensorESF_SF_EERKSF_lbbbEUlllE_EE10hipError_tT0_T1_T2_jT3_P12ihipStream_tbPNSt15iterator_traitsISL_E10value_typeEPNSR_ISM_E10value_typeEPSN_NS1_7vsmem_tEENKUlT_SL_SM_SN_E_clIS8_S8_S9_S9_EESK_S10_SL_SM_SN_EUlS10_E1_NS1_11comp_targetILNS1_3genE8ELNS1_11target_archE1030ELNS1_3gpuE2ELNS1_3repE0EEENS1_36merge_oddeven_config_static_selectorELNS0_4arch9wavefront6targetE1EEEvSM_.kd
    .uniform_work_group_size: 1
    .uses_dynamic_stack: false
    .vgpr_count:     0
    .vgpr_spill_count: 0
    .wavefront_size: 64
  - .agpr_count:     0
    .args:
      - .offset:         0
        .size:           64
        .value_kind:     by_value
    .group_segment_fixed_size: 2048
    .kernarg_segment_align: 8
    .kernarg_segment_size: 64
    .language:       OpenCL C
    .language_version:
      - 2
      - 0
    .max_flat_workgroup_size: 128
    .name:           _ZN7rocprim17ROCPRIM_400000_NS6detail17trampoline_kernelINS0_14default_configENS1_35adjacent_difference_config_selectorILb0ElEEZNS1_24adjacent_difference_implIS3_Lb0ELb0EPlS7_ZN2at6native12_GLOBAL__N_124unique_dim_cuda_templateIsEESt5tupleIJNS8_6TensorESD_SD_EERKSD_lbbbEUlllE1_EE10hipError_tPvRmT2_T3_mT4_P12ihipStream_tbEUlT_E_NS1_11comp_targetILNS1_3genE0ELNS1_11target_archE4294967295ELNS1_3gpuE0ELNS1_3repE0EEENS1_30default_config_static_selectorELNS0_4arch9wavefront6targetE1EEEvT1_
    .private_segment_fixed_size: 0
    .sgpr_count:     38
    .sgpr_spill_count: 0
    .symbol:         _ZN7rocprim17ROCPRIM_400000_NS6detail17trampoline_kernelINS0_14default_configENS1_35adjacent_difference_config_selectorILb0ElEEZNS1_24adjacent_difference_implIS3_Lb0ELb0EPlS7_ZN2at6native12_GLOBAL__N_124unique_dim_cuda_templateIsEESt5tupleIJNS8_6TensorESD_SD_EERKSD_lbbbEUlllE1_EE10hipError_tPvRmT2_T3_mT4_P12ihipStream_tbEUlT_E_NS1_11comp_targetILNS1_3genE0ELNS1_11target_archE4294967295ELNS1_3gpuE0ELNS1_3repE0EEENS1_30default_config_static_selectorELNS0_4arch9wavefront6targetE1EEEvT1_.kd
    .uniform_work_group_size: 1
    .uses_dynamic_stack: false
    .vgpr_count:     11
    .vgpr_spill_count: 0
    .wavefront_size: 64
  - .agpr_count:     0
    .args:
      - .offset:         0
        .size:           64
        .value_kind:     by_value
    .group_segment_fixed_size: 0
    .kernarg_segment_align: 8
    .kernarg_segment_size: 64
    .language:       OpenCL C
    .language_version:
      - 2
      - 0
    .max_flat_workgroup_size: 128
    .name:           _ZN7rocprim17ROCPRIM_400000_NS6detail17trampoline_kernelINS0_14default_configENS1_35adjacent_difference_config_selectorILb0ElEEZNS1_24adjacent_difference_implIS3_Lb0ELb0EPlS7_ZN2at6native12_GLOBAL__N_124unique_dim_cuda_templateIsEESt5tupleIJNS8_6TensorESD_SD_EERKSD_lbbbEUlllE1_EE10hipError_tPvRmT2_T3_mT4_P12ihipStream_tbEUlT_E_NS1_11comp_targetILNS1_3genE10ELNS1_11target_archE1201ELNS1_3gpuE5ELNS1_3repE0EEENS1_30default_config_static_selectorELNS0_4arch9wavefront6targetE1EEEvT1_
    .private_segment_fixed_size: 0
    .sgpr_count:     6
    .sgpr_spill_count: 0
    .symbol:         _ZN7rocprim17ROCPRIM_400000_NS6detail17trampoline_kernelINS0_14default_configENS1_35adjacent_difference_config_selectorILb0ElEEZNS1_24adjacent_difference_implIS3_Lb0ELb0EPlS7_ZN2at6native12_GLOBAL__N_124unique_dim_cuda_templateIsEESt5tupleIJNS8_6TensorESD_SD_EERKSD_lbbbEUlllE1_EE10hipError_tPvRmT2_T3_mT4_P12ihipStream_tbEUlT_E_NS1_11comp_targetILNS1_3genE10ELNS1_11target_archE1201ELNS1_3gpuE5ELNS1_3repE0EEENS1_30default_config_static_selectorELNS0_4arch9wavefront6targetE1EEEvT1_.kd
    .uniform_work_group_size: 1
    .uses_dynamic_stack: false
    .vgpr_count:     0
    .vgpr_spill_count: 0
    .wavefront_size: 64
  - .agpr_count:     0
    .args:
      - .offset:         0
        .size:           64
        .value_kind:     by_value
    .group_segment_fixed_size: 0
    .kernarg_segment_align: 8
    .kernarg_segment_size: 64
    .language:       OpenCL C
    .language_version:
      - 2
      - 0
    .max_flat_workgroup_size: 64
    .name:           _ZN7rocprim17ROCPRIM_400000_NS6detail17trampoline_kernelINS0_14default_configENS1_35adjacent_difference_config_selectorILb0ElEEZNS1_24adjacent_difference_implIS3_Lb0ELb0EPlS7_ZN2at6native12_GLOBAL__N_124unique_dim_cuda_templateIsEESt5tupleIJNS8_6TensorESD_SD_EERKSD_lbbbEUlllE1_EE10hipError_tPvRmT2_T3_mT4_P12ihipStream_tbEUlT_E_NS1_11comp_targetILNS1_3genE5ELNS1_11target_archE942ELNS1_3gpuE9ELNS1_3repE0EEENS1_30default_config_static_selectorELNS0_4arch9wavefront6targetE1EEEvT1_
    .private_segment_fixed_size: 0
    .sgpr_count:     6
    .sgpr_spill_count: 0
    .symbol:         _ZN7rocprim17ROCPRIM_400000_NS6detail17trampoline_kernelINS0_14default_configENS1_35adjacent_difference_config_selectorILb0ElEEZNS1_24adjacent_difference_implIS3_Lb0ELb0EPlS7_ZN2at6native12_GLOBAL__N_124unique_dim_cuda_templateIsEESt5tupleIJNS8_6TensorESD_SD_EERKSD_lbbbEUlllE1_EE10hipError_tPvRmT2_T3_mT4_P12ihipStream_tbEUlT_E_NS1_11comp_targetILNS1_3genE5ELNS1_11target_archE942ELNS1_3gpuE9ELNS1_3repE0EEENS1_30default_config_static_selectorELNS0_4arch9wavefront6targetE1EEEvT1_.kd
    .uniform_work_group_size: 1
    .uses_dynamic_stack: false
    .vgpr_count:     0
    .vgpr_spill_count: 0
    .wavefront_size: 64
  - .agpr_count:     0
    .args:
      - .offset:         0
        .size:           64
        .value_kind:     by_value
    .group_segment_fixed_size: 0
    .kernarg_segment_align: 8
    .kernarg_segment_size: 64
    .language:       OpenCL C
    .language_version:
      - 2
      - 0
    .max_flat_workgroup_size: 256
    .name:           _ZN7rocprim17ROCPRIM_400000_NS6detail17trampoline_kernelINS0_14default_configENS1_35adjacent_difference_config_selectorILb0ElEEZNS1_24adjacent_difference_implIS3_Lb0ELb0EPlS7_ZN2at6native12_GLOBAL__N_124unique_dim_cuda_templateIsEESt5tupleIJNS8_6TensorESD_SD_EERKSD_lbbbEUlllE1_EE10hipError_tPvRmT2_T3_mT4_P12ihipStream_tbEUlT_E_NS1_11comp_targetILNS1_3genE4ELNS1_11target_archE910ELNS1_3gpuE8ELNS1_3repE0EEENS1_30default_config_static_selectorELNS0_4arch9wavefront6targetE1EEEvT1_
    .private_segment_fixed_size: 0
    .sgpr_count:     6
    .sgpr_spill_count: 0
    .symbol:         _ZN7rocprim17ROCPRIM_400000_NS6detail17trampoline_kernelINS0_14default_configENS1_35adjacent_difference_config_selectorILb0ElEEZNS1_24adjacent_difference_implIS3_Lb0ELb0EPlS7_ZN2at6native12_GLOBAL__N_124unique_dim_cuda_templateIsEESt5tupleIJNS8_6TensorESD_SD_EERKSD_lbbbEUlllE1_EE10hipError_tPvRmT2_T3_mT4_P12ihipStream_tbEUlT_E_NS1_11comp_targetILNS1_3genE4ELNS1_11target_archE910ELNS1_3gpuE8ELNS1_3repE0EEENS1_30default_config_static_selectorELNS0_4arch9wavefront6targetE1EEEvT1_.kd
    .uniform_work_group_size: 1
    .uses_dynamic_stack: false
    .vgpr_count:     0
    .vgpr_spill_count: 0
    .wavefront_size: 64
  - .agpr_count:     0
    .args:
      - .offset:         0
        .size:           64
        .value_kind:     by_value
    .group_segment_fixed_size: 0
    .kernarg_segment_align: 8
    .kernarg_segment_size: 64
    .language:       OpenCL C
    .language_version:
      - 2
      - 0
    .max_flat_workgroup_size: 128
    .name:           _ZN7rocprim17ROCPRIM_400000_NS6detail17trampoline_kernelINS0_14default_configENS1_35adjacent_difference_config_selectorILb0ElEEZNS1_24adjacent_difference_implIS3_Lb0ELb0EPlS7_ZN2at6native12_GLOBAL__N_124unique_dim_cuda_templateIsEESt5tupleIJNS8_6TensorESD_SD_EERKSD_lbbbEUlllE1_EE10hipError_tPvRmT2_T3_mT4_P12ihipStream_tbEUlT_E_NS1_11comp_targetILNS1_3genE3ELNS1_11target_archE908ELNS1_3gpuE7ELNS1_3repE0EEENS1_30default_config_static_selectorELNS0_4arch9wavefront6targetE1EEEvT1_
    .private_segment_fixed_size: 0
    .sgpr_count:     6
    .sgpr_spill_count: 0
    .symbol:         _ZN7rocprim17ROCPRIM_400000_NS6detail17trampoline_kernelINS0_14default_configENS1_35adjacent_difference_config_selectorILb0ElEEZNS1_24adjacent_difference_implIS3_Lb0ELb0EPlS7_ZN2at6native12_GLOBAL__N_124unique_dim_cuda_templateIsEESt5tupleIJNS8_6TensorESD_SD_EERKSD_lbbbEUlllE1_EE10hipError_tPvRmT2_T3_mT4_P12ihipStream_tbEUlT_E_NS1_11comp_targetILNS1_3genE3ELNS1_11target_archE908ELNS1_3gpuE7ELNS1_3repE0EEENS1_30default_config_static_selectorELNS0_4arch9wavefront6targetE1EEEvT1_.kd
    .uniform_work_group_size: 1
    .uses_dynamic_stack: false
    .vgpr_count:     0
    .vgpr_spill_count: 0
    .wavefront_size: 64
  - .agpr_count:     0
    .args:
      - .offset:         0
        .size:           64
        .value_kind:     by_value
    .group_segment_fixed_size: 0
    .kernarg_segment_align: 8
    .kernarg_segment_size: 64
    .language:       OpenCL C
    .language_version:
      - 2
      - 0
    .max_flat_workgroup_size: 128
    .name:           _ZN7rocprim17ROCPRIM_400000_NS6detail17trampoline_kernelINS0_14default_configENS1_35adjacent_difference_config_selectorILb0ElEEZNS1_24adjacent_difference_implIS3_Lb0ELb0EPlS7_ZN2at6native12_GLOBAL__N_124unique_dim_cuda_templateIsEESt5tupleIJNS8_6TensorESD_SD_EERKSD_lbbbEUlllE1_EE10hipError_tPvRmT2_T3_mT4_P12ihipStream_tbEUlT_E_NS1_11comp_targetILNS1_3genE2ELNS1_11target_archE906ELNS1_3gpuE6ELNS1_3repE0EEENS1_30default_config_static_selectorELNS0_4arch9wavefront6targetE1EEEvT1_
    .private_segment_fixed_size: 0
    .sgpr_count:     6
    .sgpr_spill_count: 0
    .symbol:         _ZN7rocprim17ROCPRIM_400000_NS6detail17trampoline_kernelINS0_14default_configENS1_35adjacent_difference_config_selectorILb0ElEEZNS1_24adjacent_difference_implIS3_Lb0ELb0EPlS7_ZN2at6native12_GLOBAL__N_124unique_dim_cuda_templateIsEESt5tupleIJNS8_6TensorESD_SD_EERKSD_lbbbEUlllE1_EE10hipError_tPvRmT2_T3_mT4_P12ihipStream_tbEUlT_E_NS1_11comp_targetILNS1_3genE2ELNS1_11target_archE906ELNS1_3gpuE6ELNS1_3repE0EEENS1_30default_config_static_selectorELNS0_4arch9wavefront6targetE1EEEvT1_.kd
    .uniform_work_group_size: 1
    .uses_dynamic_stack: false
    .vgpr_count:     0
    .vgpr_spill_count: 0
    .wavefront_size: 64
  - .agpr_count:     0
    .args:
      - .offset:         0
        .size:           64
        .value_kind:     by_value
    .group_segment_fixed_size: 0
    .kernarg_segment_align: 8
    .kernarg_segment_size: 64
    .language:       OpenCL C
    .language_version:
      - 2
      - 0
    .max_flat_workgroup_size: 512
    .name:           _ZN7rocprim17ROCPRIM_400000_NS6detail17trampoline_kernelINS0_14default_configENS1_35adjacent_difference_config_selectorILb0ElEEZNS1_24adjacent_difference_implIS3_Lb0ELb0EPlS7_ZN2at6native12_GLOBAL__N_124unique_dim_cuda_templateIsEESt5tupleIJNS8_6TensorESD_SD_EERKSD_lbbbEUlllE1_EE10hipError_tPvRmT2_T3_mT4_P12ihipStream_tbEUlT_E_NS1_11comp_targetILNS1_3genE9ELNS1_11target_archE1100ELNS1_3gpuE3ELNS1_3repE0EEENS1_30default_config_static_selectorELNS0_4arch9wavefront6targetE1EEEvT1_
    .private_segment_fixed_size: 0
    .sgpr_count:     6
    .sgpr_spill_count: 0
    .symbol:         _ZN7rocprim17ROCPRIM_400000_NS6detail17trampoline_kernelINS0_14default_configENS1_35adjacent_difference_config_selectorILb0ElEEZNS1_24adjacent_difference_implIS3_Lb0ELb0EPlS7_ZN2at6native12_GLOBAL__N_124unique_dim_cuda_templateIsEESt5tupleIJNS8_6TensorESD_SD_EERKSD_lbbbEUlllE1_EE10hipError_tPvRmT2_T3_mT4_P12ihipStream_tbEUlT_E_NS1_11comp_targetILNS1_3genE9ELNS1_11target_archE1100ELNS1_3gpuE3ELNS1_3repE0EEENS1_30default_config_static_selectorELNS0_4arch9wavefront6targetE1EEEvT1_.kd
    .uniform_work_group_size: 1
    .uses_dynamic_stack: false
    .vgpr_count:     0
    .vgpr_spill_count: 0
    .wavefront_size: 64
  - .agpr_count:     0
    .args:
      - .offset:         0
        .size:           64
        .value_kind:     by_value
    .group_segment_fixed_size: 0
    .kernarg_segment_align: 8
    .kernarg_segment_size: 64
    .language:       OpenCL C
    .language_version:
      - 2
      - 0
    .max_flat_workgroup_size: 1024
    .name:           _ZN7rocprim17ROCPRIM_400000_NS6detail17trampoline_kernelINS0_14default_configENS1_35adjacent_difference_config_selectorILb0ElEEZNS1_24adjacent_difference_implIS3_Lb0ELb0EPlS7_ZN2at6native12_GLOBAL__N_124unique_dim_cuda_templateIsEESt5tupleIJNS8_6TensorESD_SD_EERKSD_lbbbEUlllE1_EE10hipError_tPvRmT2_T3_mT4_P12ihipStream_tbEUlT_E_NS1_11comp_targetILNS1_3genE8ELNS1_11target_archE1030ELNS1_3gpuE2ELNS1_3repE0EEENS1_30default_config_static_selectorELNS0_4arch9wavefront6targetE1EEEvT1_
    .private_segment_fixed_size: 0
    .sgpr_count:     6
    .sgpr_spill_count: 0
    .symbol:         _ZN7rocprim17ROCPRIM_400000_NS6detail17trampoline_kernelINS0_14default_configENS1_35adjacent_difference_config_selectorILb0ElEEZNS1_24adjacent_difference_implIS3_Lb0ELb0EPlS7_ZN2at6native12_GLOBAL__N_124unique_dim_cuda_templateIsEESt5tupleIJNS8_6TensorESD_SD_EERKSD_lbbbEUlllE1_EE10hipError_tPvRmT2_T3_mT4_P12ihipStream_tbEUlT_E_NS1_11comp_targetILNS1_3genE8ELNS1_11target_archE1030ELNS1_3gpuE2ELNS1_3repE0EEENS1_30default_config_static_selectorELNS0_4arch9wavefront6targetE1EEEvT1_.kd
    .uniform_work_group_size: 1
    .uses_dynamic_stack: false
    .vgpr_count:     0
    .vgpr_spill_count: 0
    .wavefront_size: 64
  - .agpr_count:     0
    .args:
      - .offset:         0
        .size:           56
        .value_kind:     by_value
      - .offset:         56
        .size:           4
        .value_kind:     hidden_block_count_x
      - .offset:         60
        .size:           4
        .value_kind:     hidden_block_count_y
      - .offset:         64
        .size:           4
        .value_kind:     hidden_block_count_z
      - .offset:         68
        .size:           2
        .value_kind:     hidden_group_size_x
      - .offset:         70
        .size:           2
        .value_kind:     hidden_group_size_y
      - .offset:         72
        .size:           2
        .value_kind:     hidden_group_size_z
      - .offset:         74
        .size:           2
        .value_kind:     hidden_remainder_x
      - .offset:         76
        .size:           2
        .value_kind:     hidden_remainder_y
      - .offset:         78
        .size:           2
        .value_kind:     hidden_remainder_z
      - .offset:         96
        .size:           8
        .value_kind:     hidden_global_offset_x
      - .offset:         104
        .size:           8
        .value_kind:     hidden_global_offset_y
      - .offset:         112
        .size:           8
        .value_kind:     hidden_global_offset_z
      - .offset:         120
        .size:           2
        .value_kind:     hidden_grid_dims
    .group_segment_fixed_size: 0
    .kernarg_segment_align: 8
    .kernarg_segment_size: 312
    .language:       OpenCL C
    .language_version:
      - 2
      - 0
    .max_flat_workgroup_size: 128
    .name:           _ZN7rocprim17ROCPRIM_400000_NS6detail17trampoline_kernelINS0_14default_configENS1_25transform_config_selectorIlLb0EEEZNS1_14transform_implILb0ES3_S5_NS0_18transform_iteratorINS0_17counting_iteratorImlEEZNS1_24adjacent_difference_implIS3_Lb1ELb0EPlSB_ZN2at6native12_GLOBAL__N_124unique_dim_cuda_templateIsEESt5tupleIJNSC_6TensorESH_SH_EERKSH_lbbbEUlllE1_EE10hipError_tPvRmT2_T3_mT4_P12ihipStream_tbEUlmE_lEESB_NS0_8identityIvEEEESM_SP_SQ_mSR_ST_bEUlT_E_NS1_11comp_targetILNS1_3genE0ELNS1_11target_archE4294967295ELNS1_3gpuE0ELNS1_3repE0EEENS1_30default_config_static_selectorELNS0_4arch9wavefront6targetE1EEEvT1_
    .private_segment_fixed_size: 0
    .sgpr_count:     18
    .sgpr_spill_count: 0
    .symbol:         _ZN7rocprim17ROCPRIM_400000_NS6detail17trampoline_kernelINS0_14default_configENS1_25transform_config_selectorIlLb0EEEZNS1_14transform_implILb0ES3_S5_NS0_18transform_iteratorINS0_17counting_iteratorImlEEZNS1_24adjacent_difference_implIS3_Lb1ELb0EPlSB_ZN2at6native12_GLOBAL__N_124unique_dim_cuda_templateIsEESt5tupleIJNSC_6TensorESH_SH_EERKSH_lbbbEUlllE1_EE10hipError_tPvRmT2_T3_mT4_P12ihipStream_tbEUlmE_lEESB_NS0_8identityIvEEEESM_SP_SQ_mSR_ST_bEUlT_E_NS1_11comp_targetILNS1_3genE0ELNS1_11target_archE4294967295ELNS1_3gpuE0ELNS1_3repE0EEENS1_30default_config_static_selectorELNS0_4arch9wavefront6targetE1EEEvT1_.kd
    .uniform_work_group_size: 1
    .uses_dynamic_stack: false
    .vgpr_count:     8
    .vgpr_spill_count: 0
    .wavefront_size: 64
  - .agpr_count:     0
    .args:
      - .offset:         0
        .size:           56
        .value_kind:     by_value
    .group_segment_fixed_size: 0
    .kernarg_segment_align: 8
    .kernarg_segment_size: 56
    .language:       OpenCL C
    .language_version:
      - 2
      - 0
    .max_flat_workgroup_size: 512
    .name:           _ZN7rocprim17ROCPRIM_400000_NS6detail17trampoline_kernelINS0_14default_configENS1_25transform_config_selectorIlLb0EEEZNS1_14transform_implILb0ES3_S5_NS0_18transform_iteratorINS0_17counting_iteratorImlEEZNS1_24adjacent_difference_implIS3_Lb1ELb0EPlSB_ZN2at6native12_GLOBAL__N_124unique_dim_cuda_templateIsEESt5tupleIJNSC_6TensorESH_SH_EERKSH_lbbbEUlllE1_EE10hipError_tPvRmT2_T3_mT4_P12ihipStream_tbEUlmE_lEESB_NS0_8identityIvEEEESM_SP_SQ_mSR_ST_bEUlT_E_NS1_11comp_targetILNS1_3genE5ELNS1_11target_archE942ELNS1_3gpuE9ELNS1_3repE0EEENS1_30default_config_static_selectorELNS0_4arch9wavefront6targetE1EEEvT1_
    .private_segment_fixed_size: 0
    .sgpr_count:     6
    .sgpr_spill_count: 0
    .symbol:         _ZN7rocprim17ROCPRIM_400000_NS6detail17trampoline_kernelINS0_14default_configENS1_25transform_config_selectorIlLb0EEEZNS1_14transform_implILb0ES3_S5_NS0_18transform_iteratorINS0_17counting_iteratorImlEEZNS1_24adjacent_difference_implIS3_Lb1ELb0EPlSB_ZN2at6native12_GLOBAL__N_124unique_dim_cuda_templateIsEESt5tupleIJNSC_6TensorESH_SH_EERKSH_lbbbEUlllE1_EE10hipError_tPvRmT2_T3_mT4_P12ihipStream_tbEUlmE_lEESB_NS0_8identityIvEEEESM_SP_SQ_mSR_ST_bEUlT_E_NS1_11comp_targetILNS1_3genE5ELNS1_11target_archE942ELNS1_3gpuE9ELNS1_3repE0EEENS1_30default_config_static_selectorELNS0_4arch9wavefront6targetE1EEEvT1_.kd
    .uniform_work_group_size: 1
    .uses_dynamic_stack: false
    .vgpr_count:     0
    .vgpr_spill_count: 0
    .wavefront_size: 64
  - .agpr_count:     0
    .args:
      - .offset:         0
        .size:           56
        .value_kind:     by_value
    .group_segment_fixed_size: 0
    .kernarg_segment_align: 8
    .kernarg_segment_size: 56
    .language:       OpenCL C
    .language_version:
      - 2
      - 0
    .max_flat_workgroup_size: 256
    .name:           _ZN7rocprim17ROCPRIM_400000_NS6detail17trampoline_kernelINS0_14default_configENS1_25transform_config_selectorIlLb0EEEZNS1_14transform_implILb0ES3_S5_NS0_18transform_iteratorINS0_17counting_iteratorImlEEZNS1_24adjacent_difference_implIS3_Lb1ELb0EPlSB_ZN2at6native12_GLOBAL__N_124unique_dim_cuda_templateIsEESt5tupleIJNSC_6TensorESH_SH_EERKSH_lbbbEUlllE1_EE10hipError_tPvRmT2_T3_mT4_P12ihipStream_tbEUlmE_lEESB_NS0_8identityIvEEEESM_SP_SQ_mSR_ST_bEUlT_E_NS1_11comp_targetILNS1_3genE4ELNS1_11target_archE910ELNS1_3gpuE8ELNS1_3repE0EEENS1_30default_config_static_selectorELNS0_4arch9wavefront6targetE1EEEvT1_
    .private_segment_fixed_size: 0
    .sgpr_count:     6
    .sgpr_spill_count: 0
    .symbol:         _ZN7rocprim17ROCPRIM_400000_NS6detail17trampoline_kernelINS0_14default_configENS1_25transform_config_selectorIlLb0EEEZNS1_14transform_implILb0ES3_S5_NS0_18transform_iteratorINS0_17counting_iteratorImlEEZNS1_24adjacent_difference_implIS3_Lb1ELb0EPlSB_ZN2at6native12_GLOBAL__N_124unique_dim_cuda_templateIsEESt5tupleIJNSC_6TensorESH_SH_EERKSH_lbbbEUlllE1_EE10hipError_tPvRmT2_T3_mT4_P12ihipStream_tbEUlmE_lEESB_NS0_8identityIvEEEESM_SP_SQ_mSR_ST_bEUlT_E_NS1_11comp_targetILNS1_3genE4ELNS1_11target_archE910ELNS1_3gpuE8ELNS1_3repE0EEENS1_30default_config_static_selectorELNS0_4arch9wavefront6targetE1EEEvT1_.kd
    .uniform_work_group_size: 1
    .uses_dynamic_stack: false
    .vgpr_count:     0
    .vgpr_spill_count: 0
    .wavefront_size: 64
  - .agpr_count:     0
    .args:
      - .offset:         0
        .size:           56
        .value_kind:     by_value
    .group_segment_fixed_size: 0
    .kernarg_segment_align: 8
    .kernarg_segment_size: 56
    .language:       OpenCL C
    .language_version:
      - 2
      - 0
    .max_flat_workgroup_size: 128
    .name:           _ZN7rocprim17ROCPRIM_400000_NS6detail17trampoline_kernelINS0_14default_configENS1_25transform_config_selectorIlLb0EEEZNS1_14transform_implILb0ES3_S5_NS0_18transform_iteratorINS0_17counting_iteratorImlEEZNS1_24adjacent_difference_implIS3_Lb1ELb0EPlSB_ZN2at6native12_GLOBAL__N_124unique_dim_cuda_templateIsEESt5tupleIJNSC_6TensorESH_SH_EERKSH_lbbbEUlllE1_EE10hipError_tPvRmT2_T3_mT4_P12ihipStream_tbEUlmE_lEESB_NS0_8identityIvEEEESM_SP_SQ_mSR_ST_bEUlT_E_NS1_11comp_targetILNS1_3genE3ELNS1_11target_archE908ELNS1_3gpuE7ELNS1_3repE0EEENS1_30default_config_static_selectorELNS0_4arch9wavefront6targetE1EEEvT1_
    .private_segment_fixed_size: 0
    .sgpr_count:     6
    .sgpr_spill_count: 0
    .symbol:         _ZN7rocprim17ROCPRIM_400000_NS6detail17trampoline_kernelINS0_14default_configENS1_25transform_config_selectorIlLb0EEEZNS1_14transform_implILb0ES3_S5_NS0_18transform_iteratorINS0_17counting_iteratorImlEEZNS1_24adjacent_difference_implIS3_Lb1ELb0EPlSB_ZN2at6native12_GLOBAL__N_124unique_dim_cuda_templateIsEESt5tupleIJNSC_6TensorESH_SH_EERKSH_lbbbEUlllE1_EE10hipError_tPvRmT2_T3_mT4_P12ihipStream_tbEUlmE_lEESB_NS0_8identityIvEEEESM_SP_SQ_mSR_ST_bEUlT_E_NS1_11comp_targetILNS1_3genE3ELNS1_11target_archE908ELNS1_3gpuE7ELNS1_3repE0EEENS1_30default_config_static_selectorELNS0_4arch9wavefront6targetE1EEEvT1_.kd
    .uniform_work_group_size: 1
    .uses_dynamic_stack: false
    .vgpr_count:     0
    .vgpr_spill_count: 0
    .wavefront_size: 64
  - .agpr_count:     0
    .args:
      - .offset:         0
        .size:           56
        .value_kind:     by_value
    .group_segment_fixed_size: 0
    .kernarg_segment_align: 8
    .kernarg_segment_size: 56
    .language:       OpenCL C
    .language_version:
      - 2
      - 0
    .max_flat_workgroup_size: 512
    .name:           _ZN7rocprim17ROCPRIM_400000_NS6detail17trampoline_kernelINS0_14default_configENS1_25transform_config_selectorIlLb0EEEZNS1_14transform_implILb0ES3_S5_NS0_18transform_iteratorINS0_17counting_iteratorImlEEZNS1_24adjacent_difference_implIS3_Lb1ELb0EPlSB_ZN2at6native12_GLOBAL__N_124unique_dim_cuda_templateIsEESt5tupleIJNSC_6TensorESH_SH_EERKSH_lbbbEUlllE1_EE10hipError_tPvRmT2_T3_mT4_P12ihipStream_tbEUlmE_lEESB_NS0_8identityIvEEEESM_SP_SQ_mSR_ST_bEUlT_E_NS1_11comp_targetILNS1_3genE2ELNS1_11target_archE906ELNS1_3gpuE6ELNS1_3repE0EEENS1_30default_config_static_selectorELNS0_4arch9wavefront6targetE1EEEvT1_
    .private_segment_fixed_size: 0
    .sgpr_count:     6
    .sgpr_spill_count: 0
    .symbol:         _ZN7rocprim17ROCPRIM_400000_NS6detail17trampoline_kernelINS0_14default_configENS1_25transform_config_selectorIlLb0EEEZNS1_14transform_implILb0ES3_S5_NS0_18transform_iteratorINS0_17counting_iteratorImlEEZNS1_24adjacent_difference_implIS3_Lb1ELb0EPlSB_ZN2at6native12_GLOBAL__N_124unique_dim_cuda_templateIsEESt5tupleIJNSC_6TensorESH_SH_EERKSH_lbbbEUlllE1_EE10hipError_tPvRmT2_T3_mT4_P12ihipStream_tbEUlmE_lEESB_NS0_8identityIvEEEESM_SP_SQ_mSR_ST_bEUlT_E_NS1_11comp_targetILNS1_3genE2ELNS1_11target_archE906ELNS1_3gpuE6ELNS1_3repE0EEENS1_30default_config_static_selectorELNS0_4arch9wavefront6targetE1EEEvT1_.kd
    .uniform_work_group_size: 1
    .uses_dynamic_stack: false
    .vgpr_count:     0
    .vgpr_spill_count: 0
    .wavefront_size: 64
  - .agpr_count:     0
    .args:
      - .offset:         0
        .size:           56
        .value_kind:     by_value
    .group_segment_fixed_size: 0
    .kernarg_segment_align: 8
    .kernarg_segment_size: 56
    .language:       OpenCL C
    .language_version:
      - 2
      - 0
    .max_flat_workgroup_size: 1024
    .name:           _ZN7rocprim17ROCPRIM_400000_NS6detail17trampoline_kernelINS0_14default_configENS1_25transform_config_selectorIlLb0EEEZNS1_14transform_implILb0ES3_S5_NS0_18transform_iteratorINS0_17counting_iteratorImlEEZNS1_24adjacent_difference_implIS3_Lb1ELb0EPlSB_ZN2at6native12_GLOBAL__N_124unique_dim_cuda_templateIsEESt5tupleIJNSC_6TensorESH_SH_EERKSH_lbbbEUlllE1_EE10hipError_tPvRmT2_T3_mT4_P12ihipStream_tbEUlmE_lEESB_NS0_8identityIvEEEESM_SP_SQ_mSR_ST_bEUlT_E_NS1_11comp_targetILNS1_3genE10ELNS1_11target_archE1201ELNS1_3gpuE5ELNS1_3repE0EEENS1_30default_config_static_selectorELNS0_4arch9wavefront6targetE1EEEvT1_
    .private_segment_fixed_size: 0
    .sgpr_count:     6
    .sgpr_spill_count: 0
    .symbol:         _ZN7rocprim17ROCPRIM_400000_NS6detail17trampoline_kernelINS0_14default_configENS1_25transform_config_selectorIlLb0EEEZNS1_14transform_implILb0ES3_S5_NS0_18transform_iteratorINS0_17counting_iteratorImlEEZNS1_24adjacent_difference_implIS3_Lb1ELb0EPlSB_ZN2at6native12_GLOBAL__N_124unique_dim_cuda_templateIsEESt5tupleIJNSC_6TensorESH_SH_EERKSH_lbbbEUlllE1_EE10hipError_tPvRmT2_T3_mT4_P12ihipStream_tbEUlmE_lEESB_NS0_8identityIvEEEESM_SP_SQ_mSR_ST_bEUlT_E_NS1_11comp_targetILNS1_3genE10ELNS1_11target_archE1201ELNS1_3gpuE5ELNS1_3repE0EEENS1_30default_config_static_selectorELNS0_4arch9wavefront6targetE1EEEvT1_.kd
    .uniform_work_group_size: 1
    .uses_dynamic_stack: false
    .vgpr_count:     0
    .vgpr_spill_count: 0
    .wavefront_size: 64
  - .agpr_count:     0
    .args:
      - .offset:         0
        .size:           56
        .value_kind:     by_value
    .group_segment_fixed_size: 0
    .kernarg_segment_align: 8
    .kernarg_segment_size: 56
    .language:       OpenCL C
    .language_version:
      - 2
      - 0
    .max_flat_workgroup_size: 512
    .name:           _ZN7rocprim17ROCPRIM_400000_NS6detail17trampoline_kernelINS0_14default_configENS1_25transform_config_selectorIlLb0EEEZNS1_14transform_implILb0ES3_S5_NS0_18transform_iteratorINS0_17counting_iteratorImlEEZNS1_24adjacent_difference_implIS3_Lb1ELb0EPlSB_ZN2at6native12_GLOBAL__N_124unique_dim_cuda_templateIsEESt5tupleIJNSC_6TensorESH_SH_EERKSH_lbbbEUlllE1_EE10hipError_tPvRmT2_T3_mT4_P12ihipStream_tbEUlmE_lEESB_NS0_8identityIvEEEESM_SP_SQ_mSR_ST_bEUlT_E_NS1_11comp_targetILNS1_3genE10ELNS1_11target_archE1200ELNS1_3gpuE4ELNS1_3repE0EEENS1_30default_config_static_selectorELNS0_4arch9wavefront6targetE1EEEvT1_
    .private_segment_fixed_size: 0
    .sgpr_count:     6
    .sgpr_spill_count: 0
    .symbol:         _ZN7rocprim17ROCPRIM_400000_NS6detail17trampoline_kernelINS0_14default_configENS1_25transform_config_selectorIlLb0EEEZNS1_14transform_implILb0ES3_S5_NS0_18transform_iteratorINS0_17counting_iteratorImlEEZNS1_24adjacent_difference_implIS3_Lb1ELb0EPlSB_ZN2at6native12_GLOBAL__N_124unique_dim_cuda_templateIsEESt5tupleIJNSC_6TensorESH_SH_EERKSH_lbbbEUlllE1_EE10hipError_tPvRmT2_T3_mT4_P12ihipStream_tbEUlmE_lEESB_NS0_8identityIvEEEESM_SP_SQ_mSR_ST_bEUlT_E_NS1_11comp_targetILNS1_3genE10ELNS1_11target_archE1200ELNS1_3gpuE4ELNS1_3repE0EEENS1_30default_config_static_selectorELNS0_4arch9wavefront6targetE1EEEvT1_.kd
    .uniform_work_group_size: 1
    .uses_dynamic_stack: false
    .vgpr_count:     0
    .vgpr_spill_count: 0
    .wavefront_size: 64
  - .agpr_count:     0
    .args:
      - .offset:         0
        .size:           56
        .value_kind:     by_value
    .group_segment_fixed_size: 0
    .kernarg_segment_align: 8
    .kernarg_segment_size: 56
    .language:       OpenCL C
    .language_version:
      - 2
      - 0
    .max_flat_workgroup_size: 512
    .name:           _ZN7rocprim17ROCPRIM_400000_NS6detail17trampoline_kernelINS0_14default_configENS1_25transform_config_selectorIlLb0EEEZNS1_14transform_implILb0ES3_S5_NS0_18transform_iteratorINS0_17counting_iteratorImlEEZNS1_24adjacent_difference_implIS3_Lb1ELb0EPlSB_ZN2at6native12_GLOBAL__N_124unique_dim_cuda_templateIsEESt5tupleIJNSC_6TensorESH_SH_EERKSH_lbbbEUlllE1_EE10hipError_tPvRmT2_T3_mT4_P12ihipStream_tbEUlmE_lEESB_NS0_8identityIvEEEESM_SP_SQ_mSR_ST_bEUlT_E_NS1_11comp_targetILNS1_3genE9ELNS1_11target_archE1100ELNS1_3gpuE3ELNS1_3repE0EEENS1_30default_config_static_selectorELNS0_4arch9wavefront6targetE1EEEvT1_
    .private_segment_fixed_size: 0
    .sgpr_count:     6
    .sgpr_spill_count: 0
    .symbol:         _ZN7rocprim17ROCPRIM_400000_NS6detail17trampoline_kernelINS0_14default_configENS1_25transform_config_selectorIlLb0EEEZNS1_14transform_implILb0ES3_S5_NS0_18transform_iteratorINS0_17counting_iteratorImlEEZNS1_24adjacent_difference_implIS3_Lb1ELb0EPlSB_ZN2at6native12_GLOBAL__N_124unique_dim_cuda_templateIsEESt5tupleIJNSC_6TensorESH_SH_EERKSH_lbbbEUlllE1_EE10hipError_tPvRmT2_T3_mT4_P12ihipStream_tbEUlmE_lEESB_NS0_8identityIvEEEESM_SP_SQ_mSR_ST_bEUlT_E_NS1_11comp_targetILNS1_3genE9ELNS1_11target_archE1100ELNS1_3gpuE3ELNS1_3repE0EEENS1_30default_config_static_selectorELNS0_4arch9wavefront6targetE1EEEvT1_.kd
    .uniform_work_group_size: 1
    .uses_dynamic_stack: false
    .vgpr_count:     0
    .vgpr_spill_count: 0
    .wavefront_size: 64
  - .agpr_count:     0
    .args:
      - .offset:         0
        .size:           56
        .value_kind:     by_value
    .group_segment_fixed_size: 0
    .kernarg_segment_align: 8
    .kernarg_segment_size: 56
    .language:       OpenCL C
    .language_version:
      - 2
      - 0
    .max_flat_workgroup_size: 512
    .name:           _ZN7rocprim17ROCPRIM_400000_NS6detail17trampoline_kernelINS0_14default_configENS1_25transform_config_selectorIlLb0EEEZNS1_14transform_implILb0ES3_S5_NS0_18transform_iteratorINS0_17counting_iteratorImlEEZNS1_24adjacent_difference_implIS3_Lb1ELb0EPlSB_ZN2at6native12_GLOBAL__N_124unique_dim_cuda_templateIsEESt5tupleIJNSC_6TensorESH_SH_EERKSH_lbbbEUlllE1_EE10hipError_tPvRmT2_T3_mT4_P12ihipStream_tbEUlmE_lEESB_NS0_8identityIvEEEESM_SP_SQ_mSR_ST_bEUlT_E_NS1_11comp_targetILNS1_3genE8ELNS1_11target_archE1030ELNS1_3gpuE2ELNS1_3repE0EEENS1_30default_config_static_selectorELNS0_4arch9wavefront6targetE1EEEvT1_
    .private_segment_fixed_size: 0
    .sgpr_count:     6
    .sgpr_spill_count: 0
    .symbol:         _ZN7rocprim17ROCPRIM_400000_NS6detail17trampoline_kernelINS0_14default_configENS1_25transform_config_selectorIlLb0EEEZNS1_14transform_implILb0ES3_S5_NS0_18transform_iteratorINS0_17counting_iteratorImlEEZNS1_24adjacent_difference_implIS3_Lb1ELb0EPlSB_ZN2at6native12_GLOBAL__N_124unique_dim_cuda_templateIsEESt5tupleIJNSC_6TensorESH_SH_EERKSH_lbbbEUlllE1_EE10hipError_tPvRmT2_T3_mT4_P12ihipStream_tbEUlmE_lEESB_NS0_8identityIvEEEESM_SP_SQ_mSR_ST_bEUlT_E_NS1_11comp_targetILNS1_3genE8ELNS1_11target_archE1030ELNS1_3gpuE2ELNS1_3repE0EEENS1_30default_config_static_selectorELNS0_4arch9wavefront6targetE1EEEvT1_.kd
    .uniform_work_group_size: 1
    .uses_dynamic_stack: false
    .vgpr_count:     0
    .vgpr_spill_count: 0
    .wavefront_size: 64
  - .agpr_count:     0
    .args:
      - .offset:         0
        .size:           64
        .value_kind:     by_value
    .group_segment_fixed_size: 8448
    .kernarg_segment_align: 8
    .kernarg_segment_size: 64
    .language:       OpenCL C
    .language_version:
      - 2
      - 0
    .max_flat_workgroup_size: 512
    .name:           _ZN7rocprim17ROCPRIM_400000_NS6detail17trampoline_kernelINS0_14default_configENS1_35adjacent_difference_config_selectorILb1ElEEZNS1_24adjacent_difference_implIS3_Lb1ELb0EPlS7_ZN2at6native12_GLOBAL__N_124unique_dim_cuda_templateIsEESt5tupleIJNS8_6TensorESD_SD_EERKSD_lbbbEUlllE1_EE10hipError_tPvRmT2_T3_mT4_P12ihipStream_tbEUlT_E_NS1_11comp_targetILNS1_3genE0ELNS1_11target_archE4294967295ELNS1_3gpuE0ELNS1_3repE0EEENS1_30default_config_static_selectorELNS0_4arch9wavefront6targetE1EEEvT1_
    .private_segment_fixed_size: 0
    .sgpr_count:     42
    .sgpr_spill_count: 0
    .symbol:         _ZN7rocprim17ROCPRIM_400000_NS6detail17trampoline_kernelINS0_14default_configENS1_35adjacent_difference_config_selectorILb1ElEEZNS1_24adjacent_difference_implIS3_Lb1ELb0EPlS7_ZN2at6native12_GLOBAL__N_124unique_dim_cuda_templateIsEESt5tupleIJNS8_6TensorESD_SD_EERKSD_lbbbEUlllE1_EE10hipError_tPvRmT2_T3_mT4_P12ihipStream_tbEUlT_E_NS1_11comp_targetILNS1_3genE0ELNS1_11target_archE4294967295ELNS1_3gpuE0ELNS1_3repE0EEENS1_30default_config_static_selectorELNS0_4arch9wavefront6targetE1EEEvT1_.kd
    .uniform_work_group_size: 1
    .uses_dynamic_stack: false
    .vgpr_count:     16
    .vgpr_spill_count: 0
    .wavefront_size: 64
  - .agpr_count:     0
    .args:
      - .offset:         0
        .size:           64
        .value_kind:     by_value
    .group_segment_fixed_size: 0
    .kernarg_segment_align: 8
    .kernarg_segment_size: 64
    .language:       OpenCL C
    .language_version:
      - 2
      - 0
    .max_flat_workgroup_size: 32
    .name:           _ZN7rocprim17ROCPRIM_400000_NS6detail17trampoline_kernelINS0_14default_configENS1_35adjacent_difference_config_selectorILb1ElEEZNS1_24adjacent_difference_implIS3_Lb1ELb0EPlS7_ZN2at6native12_GLOBAL__N_124unique_dim_cuda_templateIsEESt5tupleIJNS8_6TensorESD_SD_EERKSD_lbbbEUlllE1_EE10hipError_tPvRmT2_T3_mT4_P12ihipStream_tbEUlT_E_NS1_11comp_targetILNS1_3genE10ELNS1_11target_archE1201ELNS1_3gpuE5ELNS1_3repE0EEENS1_30default_config_static_selectorELNS0_4arch9wavefront6targetE1EEEvT1_
    .private_segment_fixed_size: 0
    .sgpr_count:     6
    .sgpr_spill_count: 0
    .symbol:         _ZN7rocprim17ROCPRIM_400000_NS6detail17trampoline_kernelINS0_14default_configENS1_35adjacent_difference_config_selectorILb1ElEEZNS1_24adjacent_difference_implIS3_Lb1ELb0EPlS7_ZN2at6native12_GLOBAL__N_124unique_dim_cuda_templateIsEESt5tupleIJNS8_6TensorESD_SD_EERKSD_lbbbEUlllE1_EE10hipError_tPvRmT2_T3_mT4_P12ihipStream_tbEUlT_E_NS1_11comp_targetILNS1_3genE10ELNS1_11target_archE1201ELNS1_3gpuE5ELNS1_3repE0EEENS1_30default_config_static_selectorELNS0_4arch9wavefront6targetE1EEEvT1_.kd
    .uniform_work_group_size: 1
    .uses_dynamic_stack: false
    .vgpr_count:     0
    .vgpr_spill_count: 0
    .wavefront_size: 64
  - .agpr_count:     0
    .args:
      - .offset:         0
        .size:           64
        .value_kind:     by_value
    .group_segment_fixed_size: 0
    .kernarg_segment_align: 8
    .kernarg_segment_size: 64
    .language:       OpenCL C
    .language_version:
      - 2
      - 0
    .max_flat_workgroup_size: 256
    .name:           _ZN7rocprim17ROCPRIM_400000_NS6detail17trampoline_kernelINS0_14default_configENS1_35adjacent_difference_config_selectorILb1ElEEZNS1_24adjacent_difference_implIS3_Lb1ELb0EPlS7_ZN2at6native12_GLOBAL__N_124unique_dim_cuda_templateIsEESt5tupleIJNS8_6TensorESD_SD_EERKSD_lbbbEUlllE1_EE10hipError_tPvRmT2_T3_mT4_P12ihipStream_tbEUlT_E_NS1_11comp_targetILNS1_3genE5ELNS1_11target_archE942ELNS1_3gpuE9ELNS1_3repE0EEENS1_30default_config_static_selectorELNS0_4arch9wavefront6targetE1EEEvT1_
    .private_segment_fixed_size: 0
    .sgpr_count:     6
    .sgpr_spill_count: 0
    .symbol:         _ZN7rocprim17ROCPRIM_400000_NS6detail17trampoline_kernelINS0_14default_configENS1_35adjacent_difference_config_selectorILb1ElEEZNS1_24adjacent_difference_implIS3_Lb1ELb0EPlS7_ZN2at6native12_GLOBAL__N_124unique_dim_cuda_templateIsEESt5tupleIJNS8_6TensorESD_SD_EERKSD_lbbbEUlllE1_EE10hipError_tPvRmT2_T3_mT4_P12ihipStream_tbEUlT_E_NS1_11comp_targetILNS1_3genE5ELNS1_11target_archE942ELNS1_3gpuE9ELNS1_3repE0EEENS1_30default_config_static_selectorELNS0_4arch9wavefront6targetE1EEEvT1_.kd
    .uniform_work_group_size: 1
    .uses_dynamic_stack: false
    .vgpr_count:     0
    .vgpr_spill_count: 0
    .wavefront_size: 64
  - .agpr_count:     0
    .args:
      - .offset:         0
        .size:           64
        .value_kind:     by_value
    .group_segment_fixed_size: 0
    .kernarg_segment_align: 8
    .kernarg_segment_size: 64
    .language:       OpenCL C
    .language_version:
      - 2
      - 0
    .max_flat_workgroup_size: 512
    .name:           _ZN7rocprim17ROCPRIM_400000_NS6detail17trampoline_kernelINS0_14default_configENS1_35adjacent_difference_config_selectorILb1ElEEZNS1_24adjacent_difference_implIS3_Lb1ELb0EPlS7_ZN2at6native12_GLOBAL__N_124unique_dim_cuda_templateIsEESt5tupleIJNS8_6TensorESD_SD_EERKSD_lbbbEUlllE1_EE10hipError_tPvRmT2_T3_mT4_P12ihipStream_tbEUlT_E_NS1_11comp_targetILNS1_3genE4ELNS1_11target_archE910ELNS1_3gpuE8ELNS1_3repE0EEENS1_30default_config_static_selectorELNS0_4arch9wavefront6targetE1EEEvT1_
    .private_segment_fixed_size: 0
    .sgpr_count:     6
    .sgpr_spill_count: 0
    .symbol:         _ZN7rocprim17ROCPRIM_400000_NS6detail17trampoline_kernelINS0_14default_configENS1_35adjacent_difference_config_selectorILb1ElEEZNS1_24adjacent_difference_implIS3_Lb1ELb0EPlS7_ZN2at6native12_GLOBAL__N_124unique_dim_cuda_templateIsEESt5tupleIJNS8_6TensorESD_SD_EERKSD_lbbbEUlllE1_EE10hipError_tPvRmT2_T3_mT4_P12ihipStream_tbEUlT_E_NS1_11comp_targetILNS1_3genE4ELNS1_11target_archE910ELNS1_3gpuE8ELNS1_3repE0EEENS1_30default_config_static_selectorELNS0_4arch9wavefront6targetE1EEEvT1_.kd
    .uniform_work_group_size: 1
    .uses_dynamic_stack: false
    .vgpr_count:     0
    .vgpr_spill_count: 0
    .wavefront_size: 64
  - .agpr_count:     0
    .args:
      - .offset:         0
        .size:           64
        .value_kind:     by_value
    .group_segment_fixed_size: 0
    .kernarg_segment_align: 8
    .kernarg_segment_size: 64
    .language:       OpenCL C
    .language_version:
      - 2
      - 0
    .max_flat_workgroup_size: 512
    .name:           _ZN7rocprim17ROCPRIM_400000_NS6detail17trampoline_kernelINS0_14default_configENS1_35adjacent_difference_config_selectorILb1ElEEZNS1_24adjacent_difference_implIS3_Lb1ELb0EPlS7_ZN2at6native12_GLOBAL__N_124unique_dim_cuda_templateIsEESt5tupleIJNS8_6TensorESD_SD_EERKSD_lbbbEUlllE1_EE10hipError_tPvRmT2_T3_mT4_P12ihipStream_tbEUlT_E_NS1_11comp_targetILNS1_3genE3ELNS1_11target_archE908ELNS1_3gpuE7ELNS1_3repE0EEENS1_30default_config_static_selectorELNS0_4arch9wavefront6targetE1EEEvT1_
    .private_segment_fixed_size: 0
    .sgpr_count:     6
    .sgpr_spill_count: 0
    .symbol:         _ZN7rocprim17ROCPRIM_400000_NS6detail17trampoline_kernelINS0_14default_configENS1_35adjacent_difference_config_selectorILb1ElEEZNS1_24adjacent_difference_implIS3_Lb1ELb0EPlS7_ZN2at6native12_GLOBAL__N_124unique_dim_cuda_templateIsEESt5tupleIJNS8_6TensorESD_SD_EERKSD_lbbbEUlllE1_EE10hipError_tPvRmT2_T3_mT4_P12ihipStream_tbEUlT_E_NS1_11comp_targetILNS1_3genE3ELNS1_11target_archE908ELNS1_3gpuE7ELNS1_3repE0EEENS1_30default_config_static_selectorELNS0_4arch9wavefront6targetE1EEEvT1_.kd
    .uniform_work_group_size: 1
    .uses_dynamic_stack: false
    .vgpr_count:     0
    .vgpr_spill_count: 0
    .wavefront_size: 64
  - .agpr_count:     0
    .args:
      - .offset:         0
        .size:           64
        .value_kind:     by_value
    .group_segment_fixed_size: 0
    .kernarg_segment_align: 8
    .kernarg_segment_size: 64
    .language:       OpenCL C
    .language_version:
      - 2
      - 0
    .max_flat_workgroup_size: 128
    .name:           _ZN7rocprim17ROCPRIM_400000_NS6detail17trampoline_kernelINS0_14default_configENS1_35adjacent_difference_config_selectorILb1ElEEZNS1_24adjacent_difference_implIS3_Lb1ELb0EPlS7_ZN2at6native12_GLOBAL__N_124unique_dim_cuda_templateIsEESt5tupleIJNS8_6TensorESD_SD_EERKSD_lbbbEUlllE1_EE10hipError_tPvRmT2_T3_mT4_P12ihipStream_tbEUlT_E_NS1_11comp_targetILNS1_3genE2ELNS1_11target_archE906ELNS1_3gpuE6ELNS1_3repE0EEENS1_30default_config_static_selectorELNS0_4arch9wavefront6targetE1EEEvT1_
    .private_segment_fixed_size: 0
    .sgpr_count:     6
    .sgpr_spill_count: 0
    .symbol:         _ZN7rocprim17ROCPRIM_400000_NS6detail17trampoline_kernelINS0_14default_configENS1_35adjacent_difference_config_selectorILb1ElEEZNS1_24adjacent_difference_implIS3_Lb1ELb0EPlS7_ZN2at6native12_GLOBAL__N_124unique_dim_cuda_templateIsEESt5tupleIJNS8_6TensorESD_SD_EERKSD_lbbbEUlllE1_EE10hipError_tPvRmT2_T3_mT4_P12ihipStream_tbEUlT_E_NS1_11comp_targetILNS1_3genE2ELNS1_11target_archE906ELNS1_3gpuE6ELNS1_3repE0EEENS1_30default_config_static_selectorELNS0_4arch9wavefront6targetE1EEEvT1_.kd
    .uniform_work_group_size: 1
    .uses_dynamic_stack: false
    .vgpr_count:     0
    .vgpr_spill_count: 0
    .wavefront_size: 64
  - .agpr_count:     0
    .args:
      - .offset:         0
        .size:           64
        .value_kind:     by_value
    .group_segment_fixed_size: 0
    .kernarg_segment_align: 8
    .kernarg_segment_size: 64
    .language:       OpenCL C
    .language_version:
      - 2
      - 0
    .max_flat_workgroup_size: 128
    .name:           _ZN7rocprim17ROCPRIM_400000_NS6detail17trampoline_kernelINS0_14default_configENS1_35adjacent_difference_config_selectorILb1ElEEZNS1_24adjacent_difference_implIS3_Lb1ELb0EPlS7_ZN2at6native12_GLOBAL__N_124unique_dim_cuda_templateIsEESt5tupleIJNS8_6TensorESD_SD_EERKSD_lbbbEUlllE1_EE10hipError_tPvRmT2_T3_mT4_P12ihipStream_tbEUlT_E_NS1_11comp_targetILNS1_3genE9ELNS1_11target_archE1100ELNS1_3gpuE3ELNS1_3repE0EEENS1_30default_config_static_selectorELNS0_4arch9wavefront6targetE1EEEvT1_
    .private_segment_fixed_size: 0
    .sgpr_count:     6
    .sgpr_spill_count: 0
    .symbol:         _ZN7rocprim17ROCPRIM_400000_NS6detail17trampoline_kernelINS0_14default_configENS1_35adjacent_difference_config_selectorILb1ElEEZNS1_24adjacent_difference_implIS3_Lb1ELb0EPlS7_ZN2at6native12_GLOBAL__N_124unique_dim_cuda_templateIsEESt5tupleIJNS8_6TensorESD_SD_EERKSD_lbbbEUlllE1_EE10hipError_tPvRmT2_T3_mT4_P12ihipStream_tbEUlT_E_NS1_11comp_targetILNS1_3genE9ELNS1_11target_archE1100ELNS1_3gpuE3ELNS1_3repE0EEENS1_30default_config_static_selectorELNS0_4arch9wavefront6targetE1EEEvT1_.kd
    .uniform_work_group_size: 1
    .uses_dynamic_stack: false
    .vgpr_count:     0
    .vgpr_spill_count: 0
    .wavefront_size: 64
  - .agpr_count:     0
    .args:
      - .offset:         0
        .size:           64
        .value_kind:     by_value
    .group_segment_fixed_size: 0
    .kernarg_segment_align: 8
    .kernarg_segment_size: 64
    .language:       OpenCL C
    .language_version:
      - 2
      - 0
    .max_flat_workgroup_size: 32
    .name:           _ZN7rocprim17ROCPRIM_400000_NS6detail17trampoline_kernelINS0_14default_configENS1_35adjacent_difference_config_selectorILb1ElEEZNS1_24adjacent_difference_implIS3_Lb1ELb0EPlS7_ZN2at6native12_GLOBAL__N_124unique_dim_cuda_templateIsEESt5tupleIJNS8_6TensorESD_SD_EERKSD_lbbbEUlllE1_EE10hipError_tPvRmT2_T3_mT4_P12ihipStream_tbEUlT_E_NS1_11comp_targetILNS1_3genE8ELNS1_11target_archE1030ELNS1_3gpuE2ELNS1_3repE0EEENS1_30default_config_static_selectorELNS0_4arch9wavefront6targetE1EEEvT1_
    .private_segment_fixed_size: 0
    .sgpr_count:     6
    .sgpr_spill_count: 0
    .symbol:         _ZN7rocprim17ROCPRIM_400000_NS6detail17trampoline_kernelINS0_14default_configENS1_35adjacent_difference_config_selectorILb1ElEEZNS1_24adjacent_difference_implIS3_Lb1ELb0EPlS7_ZN2at6native12_GLOBAL__N_124unique_dim_cuda_templateIsEESt5tupleIJNS8_6TensorESD_SD_EERKSD_lbbbEUlllE1_EE10hipError_tPvRmT2_T3_mT4_P12ihipStream_tbEUlT_E_NS1_11comp_targetILNS1_3genE8ELNS1_11target_archE1030ELNS1_3gpuE2ELNS1_3repE0EEENS1_30default_config_static_selectorELNS0_4arch9wavefront6targetE1EEEvT1_.kd
    .uniform_work_group_size: 1
    .uses_dynamic_stack: false
    .vgpr_count:     0
    .vgpr_spill_count: 0
    .wavefront_size: 64
  - .agpr_count:     0
    .args:
      - .offset:         0
        .size:           120
        .value_kind:     by_value
    .group_segment_fixed_size: 28680
    .kernarg_segment_align: 8
    .kernarg_segment_size: 120
    .language:       OpenCL C
    .language_version:
      - 2
      - 0
    .max_flat_workgroup_size: 512
    .name:           _ZN7rocprim17ROCPRIM_400000_NS6detail17trampoline_kernelINS0_14default_configENS1_25partition_config_selectorILNS1_17partition_subalgoE8ElNS0_10empty_typeEbEEZZNS1_14partition_implILS5_8ELb0ES3_jPlPS6_PKS6_NS0_5tupleIJS9_S6_EEENSD_IJSA_SA_EEENS0_18inequality_wrapperIZN2at6native12_GLOBAL__N_124unique_dim_cuda_templateIsEESt5tupleIJNSH_6TensorESM_SM_EERKSM_lbbbEUlllE0_EEPmJS6_EEE10hipError_tPvRmT3_T4_T5_T6_T7_T9_mT8_P12ihipStream_tbDpT10_ENKUlT_T0_E_clISt17integral_constantIbLb0EES1C_EEDaS17_S18_EUlS17_E_NS1_11comp_targetILNS1_3genE0ELNS1_11target_archE4294967295ELNS1_3gpuE0ELNS1_3repE0EEENS1_30default_config_static_selectorELNS0_4arch9wavefront6targetE1EEEvT1_
    .private_segment_fixed_size: 0
    .sgpr_count:     56
    .sgpr_spill_count: 0
    .symbol:         _ZN7rocprim17ROCPRIM_400000_NS6detail17trampoline_kernelINS0_14default_configENS1_25partition_config_selectorILNS1_17partition_subalgoE8ElNS0_10empty_typeEbEEZZNS1_14partition_implILS5_8ELb0ES3_jPlPS6_PKS6_NS0_5tupleIJS9_S6_EEENSD_IJSA_SA_EEENS0_18inequality_wrapperIZN2at6native12_GLOBAL__N_124unique_dim_cuda_templateIsEESt5tupleIJNSH_6TensorESM_SM_EERKSM_lbbbEUlllE0_EEPmJS6_EEE10hipError_tPvRmT3_T4_T5_T6_T7_T9_mT8_P12ihipStream_tbDpT10_ENKUlT_T0_E_clISt17integral_constantIbLb0EES1C_EEDaS17_S18_EUlS17_E_NS1_11comp_targetILNS1_3genE0ELNS1_11target_archE4294967295ELNS1_3gpuE0ELNS1_3repE0EEENS1_30default_config_static_selectorELNS0_4arch9wavefront6targetE1EEEvT1_.kd
    .uniform_work_group_size: 1
    .uses_dynamic_stack: false
    .vgpr_count:     58
    .vgpr_spill_count: 0
    .wavefront_size: 64
  - .agpr_count:     0
    .args:
      - .offset:         0
        .size:           120
        .value_kind:     by_value
    .group_segment_fixed_size: 0
    .kernarg_segment_align: 8
    .kernarg_segment_size: 120
    .language:       OpenCL C
    .language_version:
      - 2
      - 0
    .max_flat_workgroup_size: 512
    .name:           _ZN7rocprim17ROCPRIM_400000_NS6detail17trampoline_kernelINS0_14default_configENS1_25partition_config_selectorILNS1_17partition_subalgoE8ElNS0_10empty_typeEbEEZZNS1_14partition_implILS5_8ELb0ES3_jPlPS6_PKS6_NS0_5tupleIJS9_S6_EEENSD_IJSA_SA_EEENS0_18inequality_wrapperIZN2at6native12_GLOBAL__N_124unique_dim_cuda_templateIsEESt5tupleIJNSH_6TensorESM_SM_EERKSM_lbbbEUlllE0_EEPmJS6_EEE10hipError_tPvRmT3_T4_T5_T6_T7_T9_mT8_P12ihipStream_tbDpT10_ENKUlT_T0_E_clISt17integral_constantIbLb0EES1C_EEDaS17_S18_EUlS17_E_NS1_11comp_targetILNS1_3genE5ELNS1_11target_archE942ELNS1_3gpuE9ELNS1_3repE0EEENS1_30default_config_static_selectorELNS0_4arch9wavefront6targetE1EEEvT1_
    .private_segment_fixed_size: 0
    .sgpr_count:     6
    .sgpr_spill_count: 0
    .symbol:         _ZN7rocprim17ROCPRIM_400000_NS6detail17trampoline_kernelINS0_14default_configENS1_25partition_config_selectorILNS1_17partition_subalgoE8ElNS0_10empty_typeEbEEZZNS1_14partition_implILS5_8ELb0ES3_jPlPS6_PKS6_NS0_5tupleIJS9_S6_EEENSD_IJSA_SA_EEENS0_18inequality_wrapperIZN2at6native12_GLOBAL__N_124unique_dim_cuda_templateIsEESt5tupleIJNSH_6TensorESM_SM_EERKSM_lbbbEUlllE0_EEPmJS6_EEE10hipError_tPvRmT3_T4_T5_T6_T7_T9_mT8_P12ihipStream_tbDpT10_ENKUlT_T0_E_clISt17integral_constantIbLb0EES1C_EEDaS17_S18_EUlS17_E_NS1_11comp_targetILNS1_3genE5ELNS1_11target_archE942ELNS1_3gpuE9ELNS1_3repE0EEENS1_30default_config_static_selectorELNS0_4arch9wavefront6targetE1EEEvT1_.kd
    .uniform_work_group_size: 1
    .uses_dynamic_stack: false
    .vgpr_count:     0
    .vgpr_spill_count: 0
    .wavefront_size: 64
  - .agpr_count:     0
    .args:
      - .offset:         0
        .size:           120
        .value_kind:     by_value
    .group_segment_fixed_size: 0
    .kernarg_segment_align: 8
    .kernarg_segment_size: 120
    .language:       OpenCL C
    .language_version:
      - 2
      - 0
    .max_flat_workgroup_size: 256
    .name:           _ZN7rocprim17ROCPRIM_400000_NS6detail17trampoline_kernelINS0_14default_configENS1_25partition_config_selectorILNS1_17partition_subalgoE8ElNS0_10empty_typeEbEEZZNS1_14partition_implILS5_8ELb0ES3_jPlPS6_PKS6_NS0_5tupleIJS9_S6_EEENSD_IJSA_SA_EEENS0_18inequality_wrapperIZN2at6native12_GLOBAL__N_124unique_dim_cuda_templateIsEESt5tupleIJNSH_6TensorESM_SM_EERKSM_lbbbEUlllE0_EEPmJS6_EEE10hipError_tPvRmT3_T4_T5_T6_T7_T9_mT8_P12ihipStream_tbDpT10_ENKUlT_T0_E_clISt17integral_constantIbLb0EES1C_EEDaS17_S18_EUlS17_E_NS1_11comp_targetILNS1_3genE4ELNS1_11target_archE910ELNS1_3gpuE8ELNS1_3repE0EEENS1_30default_config_static_selectorELNS0_4arch9wavefront6targetE1EEEvT1_
    .private_segment_fixed_size: 0
    .sgpr_count:     6
    .sgpr_spill_count: 0
    .symbol:         _ZN7rocprim17ROCPRIM_400000_NS6detail17trampoline_kernelINS0_14default_configENS1_25partition_config_selectorILNS1_17partition_subalgoE8ElNS0_10empty_typeEbEEZZNS1_14partition_implILS5_8ELb0ES3_jPlPS6_PKS6_NS0_5tupleIJS9_S6_EEENSD_IJSA_SA_EEENS0_18inequality_wrapperIZN2at6native12_GLOBAL__N_124unique_dim_cuda_templateIsEESt5tupleIJNSH_6TensorESM_SM_EERKSM_lbbbEUlllE0_EEPmJS6_EEE10hipError_tPvRmT3_T4_T5_T6_T7_T9_mT8_P12ihipStream_tbDpT10_ENKUlT_T0_E_clISt17integral_constantIbLb0EES1C_EEDaS17_S18_EUlS17_E_NS1_11comp_targetILNS1_3genE4ELNS1_11target_archE910ELNS1_3gpuE8ELNS1_3repE0EEENS1_30default_config_static_selectorELNS0_4arch9wavefront6targetE1EEEvT1_.kd
    .uniform_work_group_size: 1
    .uses_dynamic_stack: false
    .vgpr_count:     0
    .vgpr_spill_count: 0
    .wavefront_size: 64
  - .agpr_count:     0
    .args:
      - .offset:         0
        .size:           120
        .value_kind:     by_value
    .group_segment_fixed_size: 0
    .kernarg_segment_align: 8
    .kernarg_segment_size: 120
    .language:       OpenCL C
    .language_version:
      - 2
      - 0
    .max_flat_workgroup_size: 512
    .name:           _ZN7rocprim17ROCPRIM_400000_NS6detail17trampoline_kernelINS0_14default_configENS1_25partition_config_selectorILNS1_17partition_subalgoE8ElNS0_10empty_typeEbEEZZNS1_14partition_implILS5_8ELb0ES3_jPlPS6_PKS6_NS0_5tupleIJS9_S6_EEENSD_IJSA_SA_EEENS0_18inequality_wrapperIZN2at6native12_GLOBAL__N_124unique_dim_cuda_templateIsEESt5tupleIJNSH_6TensorESM_SM_EERKSM_lbbbEUlllE0_EEPmJS6_EEE10hipError_tPvRmT3_T4_T5_T6_T7_T9_mT8_P12ihipStream_tbDpT10_ENKUlT_T0_E_clISt17integral_constantIbLb0EES1C_EEDaS17_S18_EUlS17_E_NS1_11comp_targetILNS1_3genE3ELNS1_11target_archE908ELNS1_3gpuE7ELNS1_3repE0EEENS1_30default_config_static_selectorELNS0_4arch9wavefront6targetE1EEEvT1_
    .private_segment_fixed_size: 0
    .sgpr_count:     6
    .sgpr_spill_count: 0
    .symbol:         _ZN7rocprim17ROCPRIM_400000_NS6detail17trampoline_kernelINS0_14default_configENS1_25partition_config_selectorILNS1_17partition_subalgoE8ElNS0_10empty_typeEbEEZZNS1_14partition_implILS5_8ELb0ES3_jPlPS6_PKS6_NS0_5tupleIJS9_S6_EEENSD_IJSA_SA_EEENS0_18inequality_wrapperIZN2at6native12_GLOBAL__N_124unique_dim_cuda_templateIsEESt5tupleIJNSH_6TensorESM_SM_EERKSM_lbbbEUlllE0_EEPmJS6_EEE10hipError_tPvRmT3_T4_T5_T6_T7_T9_mT8_P12ihipStream_tbDpT10_ENKUlT_T0_E_clISt17integral_constantIbLb0EES1C_EEDaS17_S18_EUlS17_E_NS1_11comp_targetILNS1_3genE3ELNS1_11target_archE908ELNS1_3gpuE7ELNS1_3repE0EEENS1_30default_config_static_selectorELNS0_4arch9wavefront6targetE1EEEvT1_.kd
    .uniform_work_group_size: 1
    .uses_dynamic_stack: false
    .vgpr_count:     0
    .vgpr_spill_count: 0
    .wavefront_size: 64
  - .agpr_count:     0
    .args:
      - .offset:         0
        .size:           120
        .value_kind:     by_value
    .group_segment_fixed_size: 0
    .kernarg_segment_align: 8
    .kernarg_segment_size: 120
    .language:       OpenCL C
    .language_version:
      - 2
      - 0
    .max_flat_workgroup_size: 256
    .name:           _ZN7rocprim17ROCPRIM_400000_NS6detail17trampoline_kernelINS0_14default_configENS1_25partition_config_selectorILNS1_17partition_subalgoE8ElNS0_10empty_typeEbEEZZNS1_14partition_implILS5_8ELb0ES3_jPlPS6_PKS6_NS0_5tupleIJS9_S6_EEENSD_IJSA_SA_EEENS0_18inequality_wrapperIZN2at6native12_GLOBAL__N_124unique_dim_cuda_templateIsEESt5tupleIJNSH_6TensorESM_SM_EERKSM_lbbbEUlllE0_EEPmJS6_EEE10hipError_tPvRmT3_T4_T5_T6_T7_T9_mT8_P12ihipStream_tbDpT10_ENKUlT_T0_E_clISt17integral_constantIbLb0EES1C_EEDaS17_S18_EUlS17_E_NS1_11comp_targetILNS1_3genE2ELNS1_11target_archE906ELNS1_3gpuE6ELNS1_3repE0EEENS1_30default_config_static_selectorELNS0_4arch9wavefront6targetE1EEEvT1_
    .private_segment_fixed_size: 0
    .sgpr_count:     6
    .sgpr_spill_count: 0
    .symbol:         _ZN7rocprim17ROCPRIM_400000_NS6detail17trampoline_kernelINS0_14default_configENS1_25partition_config_selectorILNS1_17partition_subalgoE8ElNS0_10empty_typeEbEEZZNS1_14partition_implILS5_8ELb0ES3_jPlPS6_PKS6_NS0_5tupleIJS9_S6_EEENSD_IJSA_SA_EEENS0_18inequality_wrapperIZN2at6native12_GLOBAL__N_124unique_dim_cuda_templateIsEESt5tupleIJNSH_6TensorESM_SM_EERKSM_lbbbEUlllE0_EEPmJS6_EEE10hipError_tPvRmT3_T4_T5_T6_T7_T9_mT8_P12ihipStream_tbDpT10_ENKUlT_T0_E_clISt17integral_constantIbLb0EES1C_EEDaS17_S18_EUlS17_E_NS1_11comp_targetILNS1_3genE2ELNS1_11target_archE906ELNS1_3gpuE6ELNS1_3repE0EEENS1_30default_config_static_selectorELNS0_4arch9wavefront6targetE1EEEvT1_.kd
    .uniform_work_group_size: 1
    .uses_dynamic_stack: false
    .vgpr_count:     0
    .vgpr_spill_count: 0
    .wavefront_size: 64
  - .agpr_count:     0
    .args:
      - .offset:         0
        .size:           120
        .value_kind:     by_value
    .group_segment_fixed_size: 0
    .kernarg_segment_align: 8
    .kernarg_segment_size: 120
    .language:       OpenCL C
    .language_version:
      - 2
      - 0
    .max_flat_workgroup_size: 384
    .name:           _ZN7rocprim17ROCPRIM_400000_NS6detail17trampoline_kernelINS0_14default_configENS1_25partition_config_selectorILNS1_17partition_subalgoE8ElNS0_10empty_typeEbEEZZNS1_14partition_implILS5_8ELb0ES3_jPlPS6_PKS6_NS0_5tupleIJS9_S6_EEENSD_IJSA_SA_EEENS0_18inequality_wrapperIZN2at6native12_GLOBAL__N_124unique_dim_cuda_templateIsEESt5tupleIJNSH_6TensorESM_SM_EERKSM_lbbbEUlllE0_EEPmJS6_EEE10hipError_tPvRmT3_T4_T5_T6_T7_T9_mT8_P12ihipStream_tbDpT10_ENKUlT_T0_E_clISt17integral_constantIbLb0EES1C_EEDaS17_S18_EUlS17_E_NS1_11comp_targetILNS1_3genE10ELNS1_11target_archE1200ELNS1_3gpuE4ELNS1_3repE0EEENS1_30default_config_static_selectorELNS0_4arch9wavefront6targetE1EEEvT1_
    .private_segment_fixed_size: 0
    .sgpr_count:     6
    .sgpr_spill_count: 0
    .symbol:         _ZN7rocprim17ROCPRIM_400000_NS6detail17trampoline_kernelINS0_14default_configENS1_25partition_config_selectorILNS1_17partition_subalgoE8ElNS0_10empty_typeEbEEZZNS1_14partition_implILS5_8ELb0ES3_jPlPS6_PKS6_NS0_5tupleIJS9_S6_EEENSD_IJSA_SA_EEENS0_18inequality_wrapperIZN2at6native12_GLOBAL__N_124unique_dim_cuda_templateIsEESt5tupleIJNSH_6TensorESM_SM_EERKSM_lbbbEUlllE0_EEPmJS6_EEE10hipError_tPvRmT3_T4_T5_T6_T7_T9_mT8_P12ihipStream_tbDpT10_ENKUlT_T0_E_clISt17integral_constantIbLb0EES1C_EEDaS17_S18_EUlS17_E_NS1_11comp_targetILNS1_3genE10ELNS1_11target_archE1200ELNS1_3gpuE4ELNS1_3repE0EEENS1_30default_config_static_selectorELNS0_4arch9wavefront6targetE1EEEvT1_.kd
    .uniform_work_group_size: 1
    .uses_dynamic_stack: false
    .vgpr_count:     0
    .vgpr_spill_count: 0
    .wavefront_size: 64
  - .agpr_count:     0
    .args:
      - .offset:         0
        .size:           120
        .value_kind:     by_value
    .group_segment_fixed_size: 0
    .kernarg_segment_align: 8
    .kernarg_segment_size: 120
    .language:       OpenCL C
    .language_version:
      - 2
      - 0
    .max_flat_workgroup_size: 512
    .name:           _ZN7rocprim17ROCPRIM_400000_NS6detail17trampoline_kernelINS0_14default_configENS1_25partition_config_selectorILNS1_17partition_subalgoE8ElNS0_10empty_typeEbEEZZNS1_14partition_implILS5_8ELb0ES3_jPlPS6_PKS6_NS0_5tupleIJS9_S6_EEENSD_IJSA_SA_EEENS0_18inequality_wrapperIZN2at6native12_GLOBAL__N_124unique_dim_cuda_templateIsEESt5tupleIJNSH_6TensorESM_SM_EERKSM_lbbbEUlllE0_EEPmJS6_EEE10hipError_tPvRmT3_T4_T5_T6_T7_T9_mT8_P12ihipStream_tbDpT10_ENKUlT_T0_E_clISt17integral_constantIbLb0EES1C_EEDaS17_S18_EUlS17_E_NS1_11comp_targetILNS1_3genE9ELNS1_11target_archE1100ELNS1_3gpuE3ELNS1_3repE0EEENS1_30default_config_static_selectorELNS0_4arch9wavefront6targetE1EEEvT1_
    .private_segment_fixed_size: 0
    .sgpr_count:     6
    .sgpr_spill_count: 0
    .symbol:         _ZN7rocprim17ROCPRIM_400000_NS6detail17trampoline_kernelINS0_14default_configENS1_25partition_config_selectorILNS1_17partition_subalgoE8ElNS0_10empty_typeEbEEZZNS1_14partition_implILS5_8ELb0ES3_jPlPS6_PKS6_NS0_5tupleIJS9_S6_EEENSD_IJSA_SA_EEENS0_18inequality_wrapperIZN2at6native12_GLOBAL__N_124unique_dim_cuda_templateIsEESt5tupleIJNSH_6TensorESM_SM_EERKSM_lbbbEUlllE0_EEPmJS6_EEE10hipError_tPvRmT3_T4_T5_T6_T7_T9_mT8_P12ihipStream_tbDpT10_ENKUlT_T0_E_clISt17integral_constantIbLb0EES1C_EEDaS17_S18_EUlS17_E_NS1_11comp_targetILNS1_3genE9ELNS1_11target_archE1100ELNS1_3gpuE3ELNS1_3repE0EEENS1_30default_config_static_selectorELNS0_4arch9wavefront6targetE1EEEvT1_.kd
    .uniform_work_group_size: 1
    .uses_dynamic_stack: false
    .vgpr_count:     0
    .vgpr_spill_count: 0
    .wavefront_size: 64
  - .agpr_count:     0
    .args:
      - .offset:         0
        .size:           120
        .value_kind:     by_value
    .group_segment_fixed_size: 0
    .kernarg_segment_align: 8
    .kernarg_segment_size: 120
    .language:       OpenCL C
    .language_version:
      - 2
      - 0
    .max_flat_workgroup_size: 512
    .name:           _ZN7rocprim17ROCPRIM_400000_NS6detail17trampoline_kernelINS0_14default_configENS1_25partition_config_selectorILNS1_17partition_subalgoE8ElNS0_10empty_typeEbEEZZNS1_14partition_implILS5_8ELb0ES3_jPlPS6_PKS6_NS0_5tupleIJS9_S6_EEENSD_IJSA_SA_EEENS0_18inequality_wrapperIZN2at6native12_GLOBAL__N_124unique_dim_cuda_templateIsEESt5tupleIJNSH_6TensorESM_SM_EERKSM_lbbbEUlllE0_EEPmJS6_EEE10hipError_tPvRmT3_T4_T5_T6_T7_T9_mT8_P12ihipStream_tbDpT10_ENKUlT_T0_E_clISt17integral_constantIbLb0EES1C_EEDaS17_S18_EUlS17_E_NS1_11comp_targetILNS1_3genE8ELNS1_11target_archE1030ELNS1_3gpuE2ELNS1_3repE0EEENS1_30default_config_static_selectorELNS0_4arch9wavefront6targetE1EEEvT1_
    .private_segment_fixed_size: 0
    .sgpr_count:     6
    .sgpr_spill_count: 0
    .symbol:         _ZN7rocprim17ROCPRIM_400000_NS6detail17trampoline_kernelINS0_14default_configENS1_25partition_config_selectorILNS1_17partition_subalgoE8ElNS0_10empty_typeEbEEZZNS1_14partition_implILS5_8ELb0ES3_jPlPS6_PKS6_NS0_5tupleIJS9_S6_EEENSD_IJSA_SA_EEENS0_18inequality_wrapperIZN2at6native12_GLOBAL__N_124unique_dim_cuda_templateIsEESt5tupleIJNSH_6TensorESM_SM_EERKSM_lbbbEUlllE0_EEPmJS6_EEE10hipError_tPvRmT3_T4_T5_T6_T7_T9_mT8_P12ihipStream_tbDpT10_ENKUlT_T0_E_clISt17integral_constantIbLb0EES1C_EEDaS17_S18_EUlS17_E_NS1_11comp_targetILNS1_3genE8ELNS1_11target_archE1030ELNS1_3gpuE2ELNS1_3repE0EEENS1_30default_config_static_selectorELNS0_4arch9wavefront6targetE1EEEvT1_.kd
    .uniform_work_group_size: 1
    .uses_dynamic_stack: false
    .vgpr_count:     0
    .vgpr_spill_count: 0
    .wavefront_size: 64
  - .agpr_count:     0
    .args:
      - .offset:         0
        .size:           136
        .value_kind:     by_value
    .group_segment_fixed_size: 0
    .kernarg_segment_align: 8
    .kernarg_segment_size: 136
    .language:       OpenCL C
    .language_version:
      - 2
      - 0
    .max_flat_workgroup_size: 512
    .name:           _ZN7rocprim17ROCPRIM_400000_NS6detail17trampoline_kernelINS0_14default_configENS1_25partition_config_selectorILNS1_17partition_subalgoE8ElNS0_10empty_typeEbEEZZNS1_14partition_implILS5_8ELb0ES3_jPlPS6_PKS6_NS0_5tupleIJS9_S6_EEENSD_IJSA_SA_EEENS0_18inequality_wrapperIZN2at6native12_GLOBAL__N_124unique_dim_cuda_templateIsEESt5tupleIJNSH_6TensorESM_SM_EERKSM_lbbbEUlllE0_EEPmJS6_EEE10hipError_tPvRmT3_T4_T5_T6_T7_T9_mT8_P12ihipStream_tbDpT10_ENKUlT_T0_E_clISt17integral_constantIbLb1EES1C_EEDaS17_S18_EUlS17_E_NS1_11comp_targetILNS1_3genE0ELNS1_11target_archE4294967295ELNS1_3gpuE0ELNS1_3repE0EEENS1_30default_config_static_selectorELNS0_4arch9wavefront6targetE1EEEvT1_
    .private_segment_fixed_size: 0
    .sgpr_count:     6
    .sgpr_spill_count: 0
    .symbol:         _ZN7rocprim17ROCPRIM_400000_NS6detail17trampoline_kernelINS0_14default_configENS1_25partition_config_selectorILNS1_17partition_subalgoE8ElNS0_10empty_typeEbEEZZNS1_14partition_implILS5_8ELb0ES3_jPlPS6_PKS6_NS0_5tupleIJS9_S6_EEENSD_IJSA_SA_EEENS0_18inequality_wrapperIZN2at6native12_GLOBAL__N_124unique_dim_cuda_templateIsEESt5tupleIJNSH_6TensorESM_SM_EERKSM_lbbbEUlllE0_EEPmJS6_EEE10hipError_tPvRmT3_T4_T5_T6_T7_T9_mT8_P12ihipStream_tbDpT10_ENKUlT_T0_E_clISt17integral_constantIbLb1EES1C_EEDaS17_S18_EUlS17_E_NS1_11comp_targetILNS1_3genE0ELNS1_11target_archE4294967295ELNS1_3gpuE0ELNS1_3repE0EEENS1_30default_config_static_selectorELNS0_4arch9wavefront6targetE1EEEvT1_.kd
    .uniform_work_group_size: 1
    .uses_dynamic_stack: false
    .vgpr_count:     0
    .vgpr_spill_count: 0
    .wavefront_size: 64
  - .agpr_count:     0
    .args:
      - .offset:         0
        .size:           136
        .value_kind:     by_value
    .group_segment_fixed_size: 0
    .kernarg_segment_align: 8
    .kernarg_segment_size: 136
    .language:       OpenCL C
    .language_version:
      - 2
      - 0
    .max_flat_workgroup_size: 512
    .name:           _ZN7rocprim17ROCPRIM_400000_NS6detail17trampoline_kernelINS0_14default_configENS1_25partition_config_selectorILNS1_17partition_subalgoE8ElNS0_10empty_typeEbEEZZNS1_14partition_implILS5_8ELb0ES3_jPlPS6_PKS6_NS0_5tupleIJS9_S6_EEENSD_IJSA_SA_EEENS0_18inequality_wrapperIZN2at6native12_GLOBAL__N_124unique_dim_cuda_templateIsEESt5tupleIJNSH_6TensorESM_SM_EERKSM_lbbbEUlllE0_EEPmJS6_EEE10hipError_tPvRmT3_T4_T5_T6_T7_T9_mT8_P12ihipStream_tbDpT10_ENKUlT_T0_E_clISt17integral_constantIbLb1EES1C_EEDaS17_S18_EUlS17_E_NS1_11comp_targetILNS1_3genE5ELNS1_11target_archE942ELNS1_3gpuE9ELNS1_3repE0EEENS1_30default_config_static_selectorELNS0_4arch9wavefront6targetE1EEEvT1_
    .private_segment_fixed_size: 0
    .sgpr_count:     6
    .sgpr_spill_count: 0
    .symbol:         _ZN7rocprim17ROCPRIM_400000_NS6detail17trampoline_kernelINS0_14default_configENS1_25partition_config_selectorILNS1_17partition_subalgoE8ElNS0_10empty_typeEbEEZZNS1_14partition_implILS5_8ELb0ES3_jPlPS6_PKS6_NS0_5tupleIJS9_S6_EEENSD_IJSA_SA_EEENS0_18inequality_wrapperIZN2at6native12_GLOBAL__N_124unique_dim_cuda_templateIsEESt5tupleIJNSH_6TensorESM_SM_EERKSM_lbbbEUlllE0_EEPmJS6_EEE10hipError_tPvRmT3_T4_T5_T6_T7_T9_mT8_P12ihipStream_tbDpT10_ENKUlT_T0_E_clISt17integral_constantIbLb1EES1C_EEDaS17_S18_EUlS17_E_NS1_11comp_targetILNS1_3genE5ELNS1_11target_archE942ELNS1_3gpuE9ELNS1_3repE0EEENS1_30default_config_static_selectorELNS0_4arch9wavefront6targetE1EEEvT1_.kd
    .uniform_work_group_size: 1
    .uses_dynamic_stack: false
    .vgpr_count:     0
    .vgpr_spill_count: 0
    .wavefront_size: 64
  - .agpr_count:     0
    .args:
      - .offset:         0
        .size:           136
        .value_kind:     by_value
    .group_segment_fixed_size: 0
    .kernarg_segment_align: 8
    .kernarg_segment_size: 136
    .language:       OpenCL C
    .language_version:
      - 2
      - 0
    .max_flat_workgroup_size: 256
    .name:           _ZN7rocprim17ROCPRIM_400000_NS6detail17trampoline_kernelINS0_14default_configENS1_25partition_config_selectorILNS1_17partition_subalgoE8ElNS0_10empty_typeEbEEZZNS1_14partition_implILS5_8ELb0ES3_jPlPS6_PKS6_NS0_5tupleIJS9_S6_EEENSD_IJSA_SA_EEENS0_18inequality_wrapperIZN2at6native12_GLOBAL__N_124unique_dim_cuda_templateIsEESt5tupleIJNSH_6TensorESM_SM_EERKSM_lbbbEUlllE0_EEPmJS6_EEE10hipError_tPvRmT3_T4_T5_T6_T7_T9_mT8_P12ihipStream_tbDpT10_ENKUlT_T0_E_clISt17integral_constantIbLb1EES1C_EEDaS17_S18_EUlS17_E_NS1_11comp_targetILNS1_3genE4ELNS1_11target_archE910ELNS1_3gpuE8ELNS1_3repE0EEENS1_30default_config_static_selectorELNS0_4arch9wavefront6targetE1EEEvT1_
    .private_segment_fixed_size: 0
    .sgpr_count:     6
    .sgpr_spill_count: 0
    .symbol:         _ZN7rocprim17ROCPRIM_400000_NS6detail17trampoline_kernelINS0_14default_configENS1_25partition_config_selectorILNS1_17partition_subalgoE8ElNS0_10empty_typeEbEEZZNS1_14partition_implILS5_8ELb0ES3_jPlPS6_PKS6_NS0_5tupleIJS9_S6_EEENSD_IJSA_SA_EEENS0_18inequality_wrapperIZN2at6native12_GLOBAL__N_124unique_dim_cuda_templateIsEESt5tupleIJNSH_6TensorESM_SM_EERKSM_lbbbEUlllE0_EEPmJS6_EEE10hipError_tPvRmT3_T4_T5_T6_T7_T9_mT8_P12ihipStream_tbDpT10_ENKUlT_T0_E_clISt17integral_constantIbLb1EES1C_EEDaS17_S18_EUlS17_E_NS1_11comp_targetILNS1_3genE4ELNS1_11target_archE910ELNS1_3gpuE8ELNS1_3repE0EEENS1_30default_config_static_selectorELNS0_4arch9wavefront6targetE1EEEvT1_.kd
    .uniform_work_group_size: 1
    .uses_dynamic_stack: false
    .vgpr_count:     0
    .vgpr_spill_count: 0
    .wavefront_size: 64
  - .agpr_count:     0
    .args:
      - .offset:         0
        .size:           136
        .value_kind:     by_value
    .group_segment_fixed_size: 0
    .kernarg_segment_align: 8
    .kernarg_segment_size: 136
    .language:       OpenCL C
    .language_version:
      - 2
      - 0
    .max_flat_workgroup_size: 512
    .name:           _ZN7rocprim17ROCPRIM_400000_NS6detail17trampoline_kernelINS0_14default_configENS1_25partition_config_selectorILNS1_17partition_subalgoE8ElNS0_10empty_typeEbEEZZNS1_14partition_implILS5_8ELb0ES3_jPlPS6_PKS6_NS0_5tupleIJS9_S6_EEENSD_IJSA_SA_EEENS0_18inequality_wrapperIZN2at6native12_GLOBAL__N_124unique_dim_cuda_templateIsEESt5tupleIJNSH_6TensorESM_SM_EERKSM_lbbbEUlllE0_EEPmJS6_EEE10hipError_tPvRmT3_T4_T5_T6_T7_T9_mT8_P12ihipStream_tbDpT10_ENKUlT_T0_E_clISt17integral_constantIbLb1EES1C_EEDaS17_S18_EUlS17_E_NS1_11comp_targetILNS1_3genE3ELNS1_11target_archE908ELNS1_3gpuE7ELNS1_3repE0EEENS1_30default_config_static_selectorELNS0_4arch9wavefront6targetE1EEEvT1_
    .private_segment_fixed_size: 0
    .sgpr_count:     6
    .sgpr_spill_count: 0
    .symbol:         _ZN7rocprim17ROCPRIM_400000_NS6detail17trampoline_kernelINS0_14default_configENS1_25partition_config_selectorILNS1_17partition_subalgoE8ElNS0_10empty_typeEbEEZZNS1_14partition_implILS5_8ELb0ES3_jPlPS6_PKS6_NS0_5tupleIJS9_S6_EEENSD_IJSA_SA_EEENS0_18inequality_wrapperIZN2at6native12_GLOBAL__N_124unique_dim_cuda_templateIsEESt5tupleIJNSH_6TensorESM_SM_EERKSM_lbbbEUlllE0_EEPmJS6_EEE10hipError_tPvRmT3_T4_T5_T6_T7_T9_mT8_P12ihipStream_tbDpT10_ENKUlT_T0_E_clISt17integral_constantIbLb1EES1C_EEDaS17_S18_EUlS17_E_NS1_11comp_targetILNS1_3genE3ELNS1_11target_archE908ELNS1_3gpuE7ELNS1_3repE0EEENS1_30default_config_static_selectorELNS0_4arch9wavefront6targetE1EEEvT1_.kd
    .uniform_work_group_size: 1
    .uses_dynamic_stack: false
    .vgpr_count:     0
    .vgpr_spill_count: 0
    .wavefront_size: 64
  - .agpr_count:     0
    .args:
      - .offset:         0
        .size:           136
        .value_kind:     by_value
    .group_segment_fixed_size: 0
    .kernarg_segment_align: 8
    .kernarg_segment_size: 136
    .language:       OpenCL C
    .language_version:
      - 2
      - 0
    .max_flat_workgroup_size: 256
    .name:           _ZN7rocprim17ROCPRIM_400000_NS6detail17trampoline_kernelINS0_14default_configENS1_25partition_config_selectorILNS1_17partition_subalgoE8ElNS0_10empty_typeEbEEZZNS1_14partition_implILS5_8ELb0ES3_jPlPS6_PKS6_NS0_5tupleIJS9_S6_EEENSD_IJSA_SA_EEENS0_18inequality_wrapperIZN2at6native12_GLOBAL__N_124unique_dim_cuda_templateIsEESt5tupleIJNSH_6TensorESM_SM_EERKSM_lbbbEUlllE0_EEPmJS6_EEE10hipError_tPvRmT3_T4_T5_T6_T7_T9_mT8_P12ihipStream_tbDpT10_ENKUlT_T0_E_clISt17integral_constantIbLb1EES1C_EEDaS17_S18_EUlS17_E_NS1_11comp_targetILNS1_3genE2ELNS1_11target_archE906ELNS1_3gpuE6ELNS1_3repE0EEENS1_30default_config_static_selectorELNS0_4arch9wavefront6targetE1EEEvT1_
    .private_segment_fixed_size: 0
    .sgpr_count:     6
    .sgpr_spill_count: 0
    .symbol:         _ZN7rocprim17ROCPRIM_400000_NS6detail17trampoline_kernelINS0_14default_configENS1_25partition_config_selectorILNS1_17partition_subalgoE8ElNS0_10empty_typeEbEEZZNS1_14partition_implILS5_8ELb0ES3_jPlPS6_PKS6_NS0_5tupleIJS9_S6_EEENSD_IJSA_SA_EEENS0_18inequality_wrapperIZN2at6native12_GLOBAL__N_124unique_dim_cuda_templateIsEESt5tupleIJNSH_6TensorESM_SM_EERKSM_lbbbEUlllE0_EEPmJS6_EEE10hipError_tPvRmT3_T4_T5_T6_T7_T9_mT8_P12ihipStream_tbDpT10_ENKUlT_T0_E_clISt17integral_constantIbLb1EES1C_EEDaS17_S18_EUlS17_E_NS1_11comp_targetILNS1_3genE2ELNS1_11target_archE906ELNS1_3gpuE6ELNS1_3repE0EEENS1_30default_config_static_selectorELNS0_4arch9wavefront6targetE1EEEvT1_.kd
    .uniform_work_group_size: 1
    .uses_dynamic_stack: false
    .vgpr_count:     0
    .vgpr_spill_count: 0
    .wavefront_size: 64
  - .agpr_count:     0
    .args:
      - .offset:         0
        .size:           136
        .value_kind:     by_value
    .group_segment_fixed_size: 0
    .kernarg_segment_align: 8
    .kernarg_segment_size: 136
    .language:       OpenCL C
    .language_version:
      - 2
      - 0
    .max_flat_workgroup_size: 384
    .name:           _ZN7rocprim17ROCPRIM_400000_NS6detail17trampoline_kernelINS0_14default_configENS1_25partition_config_selectorILNS1_17partition_subalgoE8ElNS0_10empty_typeEbEEZZNS1_14partition_implILS5_8ELb0ES3_jPlPS6_PKS6_NS0_5tupleIJS9_S6_EEENSD_IJSA_SA_EEENS0_18inequality_wrapperIZN2at6native12_GLOBAL__N_124unique_dim_cuda_templateIsEESt5tupleIJNSH_6TensorESM_SM_EERKSM_lbbbEUlllE0_EEPmJS6_EEE10hipError_tPvRmT3_T4_T5_T6_T7_T9_mT8_P12ihipStream_tbDpT10_ENKUlT_T0_E_clISt17integral_constantIbLb1EES1C_EEDaS17_S18_EUlS17_E_NS1_11comp_targetILNS1_3genE10ELNS1_11target_archE1200ELNS1_3gpuE4ELNS1_3repE0EEENS1_30default_config_static_selectorELNS0_4arch9wavefront6targetE1EEEvT1_
    .private_segment_fixed_size: 0
    .sgpr_count:     6
    .sgpr_spill_count: 0
    .symbol:         _ZN7rocprim17ROCPRIM_400000_NS6detail17trampoline_kernelINS0_14default_configENS1_25partition_config_selectorILNS1_17partition_subalgoE8ElNS0_10empty_typeEbEEZZNS1_14partition_implILS5_8ELb0ES3_jPlPS6_PKS6_NS0_5tupleIJS9_S6_EEENSD_IJSA_SA_EEENS0_18inequality_wrapperIZN2at6native12_GLOBAL__N_124unique_dim_cuda_templateIsEESt5tupleIJNSH_6TensorESM_SM_EERKSM_lbbbEUlllE0_EEPmJS6_EEE10hipError_tPvRmT3_T4_T5_T6_T7_T9_mT8_P12ihipStream_tbDpT10_ENKUlT_T0_E_clISt17integral_constantIbLb1EES1C_EEDaS17_S18_EUlS17_E_NS1_11comp_targetILNS1_3genE10ELNS1_11target_archE1200ELNS1_3gpuE4ELNS1_3repE0EEENS1_30default_config_static_selectorELNS0_4arch9wavefront6targetE1EEEvT1_.kd
    .uniform_work_group_size: 1
    .uses_dynamic_stack: false
    .vgpr_count:     0
    .vgpr_spill_count: 0
    .wavefront_size: 64
  - .agpr_count:     0
    .args:
      - .offset:         0
        .size:           136
        .value_kind:     by_value
    .group_segment_fixed_size: 0
    .kernarg_segment_align: 8
    .kernarg_segment_size: 136
    .language:       OpenCL C
    .language_version:
      - 2
      - 0
    .max_flat_workgroup_size: 512
    .name:           _ZN7rocprim17ROCPRIM_400000_NS6detail17trampoline_kernelINS0_14default_configENS1_25partition_config_selectorILNS1_17partition_subalgoE8ElNS0_10empty_typeEbEEZZNS1_14partition_implILS5_8ELb0ES3_jPlPS6_PKS6_NS0_5tupleIJS9_S6_EEENSD_IJSA_SA_EEENS0_18inequality_wrapperIZN2at6native12_GLOBAL__N_124unique_dim_cuda_templateIsEESt5tupleIJNSH_6TensorESM_SM_EERKSM_lbbbEUlllE0_EEPmJS6_EEE10hipError_tPvRmT3_T4_T5_T6_T7_T9_mT8_P12ihipStream_tbDpT10_ENKUlT_T0_E_clISt17integral_constantIbLb1EES1C_EEDaS17_S18_EUlS17_E_NS1_11comp_targetILNS1_3genE9ELNS1_11target_archE1100ELNS1_3gpuE3ELNS1_3repE0EEENS1_30default_config_static_selectorELNS0_4arch9wavefront6targetE1EEEvT1_
    .private_segment_fixed_size: 0
    .sgpr_count:     6
    .sgpr_spill_count: 0
    .symbol:         _ZN7rocprim17ROCPRIM_400000_NS6detail17trampoline_kernelINS0_14default_configENS1_25partition_config_selectorILNS1_17partition_subalgoE8ElNS0_10empty_typeEbEEZZNS1_14partition_implILS5_8ELb0ES3_jPlPS6_PKS6_NS0_5tupleIJS9_S6_EEENSD_IJSA_SA_EEENS0_18inequality_wrapperIZN2at6native12_GLOBAL__N_124unique_dim_cuda_templateIsEESt5tupleIJNSH_6TensorESM_SM_EERKSM_lbbbEUlllE0_EEPmJS6_EEE10hipError_tPvRmT3_T4_T5_T6_T7_T9_mT8_P12ihipStream_tbDpT10_ENKUlT_T0_E_clISt17integral_constantIbLb1EES1C_EEDaS17_S18_EUlS17_E_NS1_11comp_targetILNS1_3genE9ELNS1_11target_archE1100ELNS1_3gpuE3ELNS1_3repE0EEENS1_30default_config_static_selectorELNS0_4arch9wavefront6targetE1EEEvT1_.kd
    .uniform_work_group_size: 1
    .uses_dynamic_stack: false
    .vgpr_count:     0
    .vgpr_spill_count: 0
    .wavefront_size: 64
  - .agpr_count:     0
    .args:
      - .offset:         0
        .size:           136
        .value_kind:     by_value
    .group_segment_fixed_size: 0
    .kernarg_segment_align: 8
    .kernarg_segment_size: 136
    .language:       OpenCL C
    .language_version:
      - 2
      - 0
    .max_flat_workgroup_size: 512
    .name:           _ZN7rocprim17ROCPRIM_400000_NS6detail17trampoline_kernelINS0_14default_configENS1_25partition_config_selectorILNS1_17partition_subalgoE8ElNS0_10empty_typeEbEEZZNS1_14partition_implILS5_8ELb0ES3_jPlPS6_PKS6_NS0_5tupleIJS9_S6_EEENSD_IJSA_SA_EEENS0_18inequality_wrapperIZN2at6native12_GLOBAL__N_124unique_dim_cuda_templateIsEESt5tupleIJNSH_6TensorESM_SM_EERKSM_lbbbEUlllE0_EEPmJS6_EEE10hipError_tPvRmT3_T4_T5_T6_T7_T9_mT8_P12ihipStream_tbDpT10_ENKUlT_T0_E_clISt17integral_constantIbLb1EES1C_EEDaS17_S18_EUlS17_E_NS1_11comp_targetILNS1_3genE8ELNS1_11target_archE1030ELNS1_3gpuE2ELNS1_3repE0EEENS1_30default_config_static_selectorELNS0_4arch9wavefront6targetE1EEEvT1_
    .private_segment_fixed_size: 0
    .sgpr_count:     6
    .sgpr_spill_count: 0
    .symbol:         _ZN7rocprim17ROCPRIM_400000_NS6detail17trampoline_kernelINS0_14default_configENS1_25partition_config_selectorILNS1_17partition_subalgoE8ElNS0_10empty_typeEbEEZZNS1_14partition_implILS5_8ELb0ES3_jPlPS6_PKS6_NS0_5tupleIJS9_S6_EEENSD_IJSA_SA_EEENS0_18inequality_wrapperIZN2at6native12_GLOBAL__N_124unique_dim_cuda_templateIsEESt5tupleIJNSH_6TensorESM_SM_EERKSM_lbbbEUlllE0_EEPmJS6_EEE10hipError_tPvRmT3_T4_T5_T6_T7_T9_mT8_P12ihipStream_tbDpT10_ENKUlT_T0_E_clISt17integral_constantIbLb1EES1C_EEDaS17_S18_EUlS17_E_NS1_11comp_targetILNS1_3genE8ELNS1_11target_archE1030ELNS1_3gpuE2ELNS1_3repE0EEENS1_30default_config_static_selectorELNS0_4arch9wavefront6targetE1EEEvT1_.kd
    .uniform_work_group_size: 1
    .uses_dynamic_stack: false
    .vgpr_count:     0
    .vgpr_spill_count: 0
    .wavefront_size: 64
  - .agpr_count:     0
    .args:
      - .offset:         0
        .size:           120
        .value_kind:     by_value
    .group_segment_fixed_size: 0
    .kernarg_segment_align: 8
    .kernarg_segment_size: 120
    .language:       OpenCL C
    .language_version:
      - 2
      - 0
    .max_flat_workgroup_size: 512
    .name:           _ZN7rocprim17ROCPRIM_400000_NS6detail17trampoline_kernelINS0_14default_configENS1_25partition_config_selectorILNS1_17partition_subalgoE8ElNS0_10empty_typeEbEEZZNS1_14partition_implILS5_8ELb0ES3_jPlPS6_PKS6_NS0_5tupleIJS9_S6_EEENSD_IJSA_SA_EEENS0_18inequality_wrapperIZN2at6native12_GLOBAL__N_124unique_dim_cuda_templateIsEESt5tupleIJNSH_6TensorESM_SM_EERKSM_lbbbEUlllE0_EEPmJS6_EEE10hipError_tPvRmT3_T4_T5_T6_T7_T9_mT8_P12ihipStream_tbDpT10_ENKUlT_T0_E_clISt17integral_constantIbLb1EES1B_IbLb0EEEEDaS17_S18_EUlS17_E_NS1_11comp_targetILNS1_3genE0ELNS1_11target_archE4294967295ELNS1_3gpuE0ELNS1_3repE0EEENS1_30default_config_static_selectorELNS0_4arch9wavefront6targetE1EEEvT1_
    .private_segment_fixed_size: 0
    .sgpr_count:     6
    .sgpr_spill_count: 0
    .symbol:         _ZN7rocprim17ROCPRIM_400000_NS6detail17trampoline_kernelINS0_14default_configENS1_25partition_config_selectorILNS1_17partition_subalgoE8ElNS0_10empty_typeEbEEZZNS1_14partition_implILS5_8ELb0ES3_jPlPS6_PKS6_NS0_5tupleIJS9_S6_EEENSD_IJSA_SA_EEENS0_18inequality_wrapperIZN2at6native12_GLOBAL__N_124unique_dim_cuda_templateIsEESt5tupleIJNSH_6TensorESM_SM_EERKSM_lbbbEUlllE0_EEPmJS6_EEE10hipError_tPvRmT3_T4_T5_T6_T7_T9_mT8_P12ihipStream_tbDpT10_ENKUlT_T0_E_clISt17integral_constantIbLb1EES1B_IbLb0EEEEDaS17_S18_EUlS17_E_NS1_11comp_targetILNS1_3genE0ELNS1_11target_archE4294967295ELNS1_3gpuE0ELNS1_3repE0EEENS1_30default_config_static_selectorELNS0_4arch9wavefront6targetE1EEEvT1_.kd
    .uniform_work_group_size: 1
    .uses_dynamic_stack: false
    .vgpr_count:     0
    .vgpr_spill_count: 0
    .wavefront_size: 64
  - .agpr_count:     0
    .args:
      - .offset:         0
        .size:           120
        .value_kind:     by_value
    .group_segment_fixed_size: 0
    .kernarg_segment_align: 8
    .kernarg_segment_size: 120
    .language:       OpenCL C
    .language_version:
      - 2
      - 0
    .max_flat_workgroup_size: 512
    .name:           _ZN7rocprim17ROCPRIM_400000_NS6detail17trampoline_kernelINS0_14default_configENS1_25partition_config_selectorILNS1_17partition_subalgoE8ElNS0_10empty_typeEbEEZZNS1_14partition_implILS5_8ELb0ES3_jPlPS6_PKS6_NS0_5tupleIJS9_S6_EEENSD_IJSA_SA_EEENS0_18inequality_wrapperIZN2at6native12_GLOBAL__N_124unique_dim_cuda_templateIsEESt5tupleIJNSH_6TensorESM_SM_EERKSM_lbbbEUlllE0_EEPmJS6_EEE10hipError_tPvRmT3_T4_T5_T6_T7_T9_mT8_P12ihipStream_tbDpT10_ENKUlT_T0_E_clISt17integral_constantIbLb1EES1B_IbLb0EEEEDaS17_S18_EUlS17_E_NS1_11comp_targetILNS1_3genE5ELNS1_11target_archE942ELNS1_3gpuE9ELNS1_3repE0EEENS1_30default_config_static_selectorELNS0_4arch9wavefront6targetE1EEEvT1_
    .private_segment_fixed_size: 0
    .sgpr_count:     6
    .sgpr_spill_count: 0
    .symbol:         _ZN7rocprim17ROCPRIM_400000_NS6detail17trampoline_kernelINS0_14default_configENS1_25partition_config_selectorILNS1_17partition_subalgoE8ElNS0_10empty_typeEbEEZZNS1_14partition_implILS5_8ELb0ES3_jPlPS6_PKS6_NS0_5tupleIJS9_S6_EEENSD_IJSA_SA_EEENS0_18inequality_wrapperIZN2at6native12_GLOBAL__N_124unique_dim_cuda_templateIsEESt5tupleIJNSH_6TensorESM_SM_EERKSM_lbbbEUlllE0_EEPmJS6_EEE10hipError_tPvRmT3_T4_T5_T6_T7_T9_mT8_P12ihipStream_tbDpT10_ENKUlT_T0_E_clISt17integral_constantIbLb1EES1B_IbLb0EEEEDaS17_S18_EUlS17_E_NS1_11comp_targetILNS1_3genE5ELNS1_11target_archE942ELNS1_3gpuE9ELNS1_3repE0EEENS1_30default_config_static_selectorELNS0_4arch9wavefront6targetE1EEEvT1_.kd
    .uniform_work_group_size: 1
    .uses_dynamic_stack: false
    .vgpr_count:     0
    .vgpr_spill_count: 0
    .wavefront_size: 64
  - .agpr_count:     0
    .args:
      - .offset:         0
        .size:           120
        .value_kind:     by_value
    .group_segment_fixed_size: 0
    .kernarg_segment_align: 8
    .kernarg_segment_size: 120
    .language:       OpenCL C
    .language_version:
      - 2
      - 0
    .max_flat_workgroup_size: 256
    .name:           _ZN7rocprim17ROCPRIM_400000_NS6detail17trampoline_kernelINS0_14default_configENS1_25partition_config_selectorILNS1_17partition_subalgoE8ElNS0_10empty_typeEbEEZZNS1_14partition_implILS5_8ELb0ES3_jPlPS6_PKS6_NS0_5tupleIJS9_S6_EEENSD_IJSA_SA_EEENS0_18inequality_wrapperIZN2at6native12_GLOBAL__N_124unique_dim_cuda_templateIsEESt5tupleIJNSH_6TensorESM_SM_EERKSM_lbbbEUlllE0_EEPmJS6_EEE10hipError_tPvRmT3_T4_T5_T6_T7_T9_mT8_P12ihipStream_tbDpT10_ENKUlT_T0_E_clISt17integral_constantIbLb1EES1B_IbLb0EEEEDaS17_S18_EUlS17_E_NS1_11comp_targetILNS1_3genE4ELNS1_11target_archE910ELNS1_3gpuE8ELNS1_3repE0EEENS1_30default_config_static_selectorELNS0_4arch9wavefront6targetE1EEEvT1_
    .private_segment_fixed_size: 0
    .sgpr_count:     6
    .sgpr_spill_count: 0
    .symbol:         _ZN7rocprim17ROCPRIM_400000_NS6detail17trampoline_kernelINS0_14default_configENS1_25partition_config_selectorILNS1_17partition_subalgoE8ElNS0_10empty_typeEbEEZZNS1_14partition_implILS5_8ELb0ES3_jPlPS6_PKS6_NS0_5tupleIJS9_S6_EEENSD_IJSA_SA_EEENS0_18inequality_wrapperIZN2at6native12_GLOBAL__N_124unique_dim_cuda_templateIsEESt5tupleIJNSH_6TensorESM_SM_EERKSM_lbbbEUlllE0_EEPmJS6_EEE10hipError_tPvRmT3_T4_T5_T6_T7_T9_mT8_P12ihipStream_tbDpT10_ENKUlT_T0_E_clISt17integral_constantIbLb1EES1B_IbLb0EEEEDaS17_S18_EUlS17_E_NS1_11comp_targetILNS1_3genE4ELNS1_11target_archE910ELNS1_3gpuE8ELNS1_3repE0EEENS1_30default_config_static_selectorELNS0_4arch9wavefront6targetE1EEEvT1_.kd
    .uniform_work_group_size: 1
    .uses_dynamic_stack: false
    .vgpr_count:     0
    .vgpr_spill_count: 0
    .wavefront_size: 64
  - .agpr_count:     0
    .args:
      - .offset:         0
        .size:           120
        .value_kind:     by_value
    .group_segment_fixed_size: 0
    .kernarg_segment_align: 8
    .kernarg_segment_size: 120
    .language:       OpenCL C
    .language_version:
      - 2
      - 0
    .max_flat_workgroup_size: 512
    .name:           _ZN7rocprim17ROCPRIM_400000_NS6detail17trampoline_kernelINS0_14default_configENS1_25partition_config_selectorILNS1_17partition_subalgoE8ElNS0_10empty_typeEbEEZZNS1_14partition_implILS5_8ELb0ES3_jPlPS6_PKS6_NS0_5tupleIJS9_S6_EEENSD_IJSA_SA_EEENS0_18inequality_wrapperIZN2at6native12_GLOBAL__N_124unique_dim_cuda_templateIsEESt5tupleIJNSH_6TensorESM_SM_EERKSM_lbbbEUlllE0_EEPmJS6_EEE10hipError_tPvRmT3_T4_T5_T6_T7_T9_mT8_P12ihipStream_tbDpT10_ENKUlT_T0_E_clISt17integral_constantIbLb1EES1B_IbLb0EEEEDaS17_S18_EUlS17_E_NS1_11comp_targetILNS1_3genE3ELNS1_11target_archE908ELNS1_3gpuE7ELNS1_3repE0EEENS1_30default_config_static_selectorELNS0_4arch9wavefront6targetE1EEEvT1_
    .private_segment_fixed_size: 0
    .sgpr_count:     6
    .sgpr_spill_count: 0
    .symbol:         _ZN7rocprim17ROCPRIM_400000_NS6detail17trampoline_kernelINS0_14default_configENS1_25partition_config_selectorILNS1_17partition_subalgoE8ElNS0_10empty_typeEbEEZZNS1_14partition_implILS5_8ELb0ES3_jPlPS6_PKS6_NS0_5tupleIJS9_S6_EEENSD_IJSA_SA_EEENS0_18inequality_wrapperIZN2at6native12_GLOBAL__N_124unique_dim_cuda_templateIsEESt5tupleIJNSH_6TensorESM_SM_EERKSM_lbbbEUlllE0_EEPmJS6_EEE10hipError_tPvRmT3_T4_T5_T6_T7_T9_mT8_P12ihipStream_tbDpT10_ENKUlT_T0_E_clISt17integral_constantIbLb1EES1B_IbLb0EEEEDaS17_S18_EUlS17_E_NS1_11comp_targetILNS1_3genE3ELNS1_11target_archE908ELNS1_3gpuE7ELNS1_3repE0EEENS1_30default_config_static_selectorELNS0_4arch9wavefront6targetE1EEEvT1_.kd
    .uniform_work_group_size: 1
    .uses_dynamic_stack: false
    .vgpr_count:     0
    .vgpr_spill_count: 0
    .wavefront_size: 64
  - .agpr_count:     0
    .args:
      - .offset:         0
        .size:           120
        .value_kind:     by_value
    .group_segment_fixed_size: 0
    .kernarg_segment_align: 8
    .kernarg_segment_size: 120
    .language:       OpenCL C
    .language_version:
      - 2
      - 0
    .max_flat_workgroup_size: 256
    .name:           _ZN7rocprim17ROCPRIM_400000_NS6detail17trampoline_kernelINS0_14default_configENS1_25partition_config_selectorILNS1_17partition_subalgoE8ElNS0_10empty_typeEbEEZZNS1_14partition_implILS5_8ELb0ES3_jPlPS6_PKS6_NS0_5tupleIJS9_S6_EEENSD_IJSA_SA_EEENS0_18inequality_wrapperIZN2at6native12_GLOBAL__N_124unique_dim_cuda_templateIsEESt5tupleIJNSH_6TensorESM_SM_EERKSM_lbbbEUlllE0_EEPmJS6_EEE10hipError_tPvRmT3_T4_T5_T6_T7_T9_mT8_P12ihipStream_tbDpT10_ENKUlT_T0_E_clISt17integral_constantIbLb1EES1B_IbLb0EEEEDaS17_S18_EUlS17_E_NS1_11comp_targetILNS1_3genE2ELNS1_11target_archE906ELNS1_3gpuE6ELNS1_3repE0EEENS1_30default_config_static_selectorELNS0_4arch9wavefront6targetE1EEEvT1_
    .private_segment_fixed_size: 0
    .sgpr_count:     6
    .sgpr_spill_count: 0
    .symbol:         _ZN7rocprim17ROCPRIM_400000_NS6detail17trampoline_kernelINS0_14default_configENS1_25partition_config_selectorILNS1_17partition_subalgoE8ElNS0_10empty_typeEbEEZZNS1_14partition_implILS5_8ELb0ES3_jPlPS6_PKS6_NS0_5tupleIJS9_S6_EEENSD_IJSA_SA_EEENS0_18inequality_wrapperIZN2at6native12_GLOBAL__N_124unique_dim_cuda_templateIsEESt5tupleIJNSH_6TensorESM_SM_EERKSM_lbbbEUlllE0_EEPmJS6_EEE10hipError_tPvRmT3_T4_T5_T6_T7_T9_mT8_P12ihipStream_tbDpT10_ENKUlT_T0_E_clISt17integral_constantIbLb1EES1B_IbLb0EEEEDaS17_S18_EUlS17_E_NS1_11comp_targetILNS1_3genE2ELNS1_11target_archE906ELNS1_3gpuE6ELNS1_3repE0EEENS1_30default_config_static_selectorELNS0_4arch9wavefront6targetE1EEEvT1_.kd
    .uniform_work_group_size: 1
    .uses_dynamic_stack: false
    .vgpr_count:     0
    .vgpr_spill_count: 0
    .wavefront_size: 64
  - .agpr_count:     0
    .args:
      - .offset:         0
        .size:           120
        .value_kind:     by_value
    .group_segment_fixed_size: 0
    .kernarg_segment_align: 8
    .kernarg_segment_size: 120
    .language:       OpenCL C
    .language_version:
      - 2
      - 0
    .max_flat_workgroup_size: 384
    .name:           _ZN7rocprim17ROCPRIM_400000_NS6detail17trampoline_kernelINS0_14default_configENS1_25partition_config_selectorILNS1_17partition_subalgoE8ElNS0_10empty_typeEbEEZZNS1_14partition_implILS5_8ELb0ES3_jPlPS6_PKS6_NS0_5tupleIJS9_S6_EEENSD_IJSA_SA_EEENS0_18inequality_wrapperIZN2at6native12_GLOBAL__N_124unique_dim_cuda_templateIsEESt5tupleIJNSH_6TensorESM_SM_EERKSM_lbbbEUlllE0_EEPmJS6_EEE10hipError_tPvRmT3_T4_T5_T6_T7_T9_mT8_P12ihipStream_tbDpT10_ENKUlT_T0_E_clISt17integral_constantIbLb1EES1B_IbLb0EEEEDaS17_S18_EUlS17_E_NS1_11comp_targetILNS1_3genE10ELNS1_11target_archE1200ELNS1_3gpuE4ELNS1_3repE0EEENS1_30default_config_static_selectorELNS0_4arch9wavefront6targetE1EEEvT1_
    .private_segment_fixed_size: 0
    .sgpr_count:     6
    .sgpr_spill_count: 0
    .symbol:         _ZN7rocprim17ROCPRIM_400000_NS6detail17trampoline_kernelINS0_14default_configENS1_25partition_config_selectorILNS1_17partition_subalgoE8ElNS0_10empty_typeEbEEZZNS1_14partition_implILS5_8ELb0ES3_jPlPS6_PKS6_NS0_5tupleIJS9_S6_EEENSD_IJSA_SA_EEENS0_18inequality_wrapperIZN2at6native12_GLOBAL__N_124unique_dim_cuda_templateIsEESt5tupleIJNSH_6TensorESM_SM_EERKSM_lbbbEUlllE0_EEPmJS6_EEE10hipError_tPvRmT3_T4_T5_T6_T7_T9_mT8_P12ihipStream_tbDpT10_ENKUlT_T0_E_clISt17integral_constantIbLb1EES1B_IbLb0EEEEDaS17_S18_EUlS17_E_NS1_11comp_targetILNS1_3genE10ELNS1_11target_archE1200ELNS1_3gpuE4ELNS1_3repE0EEENS1_30default_config_static_selectorELNS0_4arch9wavefront6targetE1EEEvT1_.kd
    .uniform_work_group_size: 1
    .uses_dynamic_stack: false
    .vgpr_count:     0
    .vgpr_spill_count: 0
    .wavefront_size: 64
  - .agpr_count:     0
    .args:
      - .offset:         0
        .size:           120
        .value_kind:     by_value
    .group_segment_fixed_size: 0
    .kernarg_segment_align: 8
    .kernarg_segment_size: 120
    .language:       OpenCL C
    .language_version:
      - 2
      - 0
    .max_flat_workgroup_size: 512
    .name:           _ZN7rocprim17ROCPRIM_400000_NS6detail17trampoline_kernelINS0_14default_configENS1_25partition_config_selectorILNS1_17partition_subalgoE8ElNS0_10empty_typeEbEEZZNS1_14partition_implILS5_8ELb0ES3_jPlPS6_PKS6_NS0_5tupleIJS9_S6_EEENSD_IJSA_SA_EEENS0_18inequality_wrapperIZN2at6native12_GLOBAL__N_124unique_dim_cuda_templateIsEESt5tupleIJNSH_6TensorESM_SM_EERKSM_lbbbEUlllE0_EEPmJS6_EEE10hipError_tPvRmT3_T4_T5_T6_T7_T9_mT8_P12ihipStream_tbDpT10_ENKUlT_T0_E_clISt17integral_constantIbLb1EES1B_IbLb0EEEEDaS17_S18_EUlS17_E_NS1_11comp_targetILNS1_3genE9ELNS1_11target_archE1100ELNS1_3gpuE3ELNS1_3repE0EEENS1_30default_config_static_selectorELNS0_4arch9wavefront6targetE1EEEvT1_
    .private_segment_fixed_size: 0
    .sgpr_count:     6
    .sgpr_spill_count: 0
    .symbol:         _ZN7rocprim17ROCPRIM_400000_NS6detail17trampoline_kernelINS0_14default_configENS1_25partition_config_selectorILNS1_17partition_subalgoE8ElNS0_10empty_typeEbEEZZNS1_14partition_implILS5_8ELb0ES3_jPlPS6_PKS6_NS0_5tupleIJS9_S6_EEENSD_IJSA_SA_EEENS0_18inequality_wrapperIZN2at6native12_GLOBAL__N_124unique_dim_cuda_templateIsEESt5tupleIJNSH_6TensorESM_SM_EERKSM_lbbbEUlllE0_EEPmJS6_EEE10hipError_tPvRmT3_T4_T5_T6_T7_T9_mT8_P12ihipStream_tbDpT10_ENKUlT_T0_E_clISt17integral_constantIbLb1EES1B_IbLb0EEEEDaS17_S18_EUlS17_E_NS1_11comp_targetILNS1_3genE9ELNS1_11target_archE1100ELNS1_3gpuE3ELNS1_3repE0EEENS1_30default_config_static_selectorELNS0_4arch9wavefront6targetE1EEEvT1_.kd
    .uniform_work_group_size: 1
    .uses_dynamic_stack: false
    .vgpr_count:     0
    .vgpr_spill_count: 0
    .wavefront_size: 64
  - .agpr_count:     0
    .args:
      - .offset:         0
        .size:           120
        .value_kind:     by_value
    .group_segment_fixed_size: 0
    .kernarg_segment_align: 8
    .kernarg_segment_size: 120
    .language:       OpenCL C
    .language_version:
      - 2
      - 0
    .max_flat_workgroup_size: 512
    .name:           _ZN7rocprim17ROCPRIM_400000_NS6detail17trampoline_kernelINS0_14default_configENS1_25partition_config_selectorILNS1_17partition_subalgoE8ElNS0_10empty_typeEbEEZZNS1_14partition_implILS5_8ELb0ES3_jPlPS6_PKS6_NS0_5tupleIJS9_S6_EEENSD_IJSA_SA_EEENS0_18inequality_wrapperIZN2at6native12_GLOBAL__N_124unique_dim_cuda_templateIsEESt5tupleIJNSH_6TensorESM_SM_EERKSM_lbbbEUlllE0_EEPmJS6_EEE10hipError_tPvRmT3_T4_T5_T6_T7_T9_mT8_P12ihipStream_tbDpT10_ENKUlT_T0_E_clISt17integral_constantIbLb1EES1B_IbLb0EEEEDaS17_S18_EUlS17_E_NS1_11comp_targetILNS1_3genE8ELNS1_11target_archE1030ELNS1_3gpuE2ELNS1_3repE0EEENS1_30default_config_static_selectorELNS0_4arch9wavefront6targetE1EEEvT1_
    .private_segment_fixed_size: 0
    .sgpr_count:     6
    .sgpr_spill_count: 0
    .symbol:         _ZN7rocprim17ROCPRIM_400000_NS6detail17trampoline_kernelINS0_14default_configENS1_25partition_config_selectorILNS1_17partition_subalgoE8ElNS0_10empty_typeEbEEZZNS1_14partition_implILS5_8ELb0ES3_jPlPS6_PKS6_NS0_5tupleIJS9_S6_EEENSD_IJSA_SA_EEENS0_18inequality_wrapperIZN2at6native12_GLOBAL__N_124unique_dim_cuda_templateIsEESt5tupleIJNSH_6TensorESM_SM_EERKSM_lbbbEUlllE0_EEPmJS6_EEE10hipError_tPvRmT3_T4_T5_T6_T7_T9_mT8_P12ihipStream_tbDpT10_ENKUlT_T0_E_clISt17integral_constantIbLb1EES1B_IbLb0EEEEDaS17_S18_EUlS17_E_NS1_11comp_targetILNS1_3genE8ELNS1_11target_archE1030ELNS1_3gpuE2ELNS1_3repE0EEENS1_30default_config_static_selectorELNS0_4arch9wavefront6targetE1EEEvT1_.kd
    .uniform_work_group_size: 1
    .uses_dynamic_stack: false
    .vgpr_count:     0
    .vgpr_spill_count: 0
    .wavefront_size: 64
  - .agpr_count:     0
    .args:
      - .offset:         0
        .size:           136
        .value_kind:     by_value
    .group_segment_fixed_size: 28680
    .kernarg_segment_align: 8
    .kernarg_segment_size: 136
    .language:       OpenCL C
    .language_version:
      - 2
      - 0
    .max_flat_workgroup_size: 512
    .name:           _ZN7rocprim17ROCPRIM_400000_NS6detail17trampoline_kernelINS0_14default_configENS1_25partition_config_selectorILNS1_17partition_subalgoE8ElNS0_10empty_typeEbEEZZNS1_14partition_implILS5_8ELb0ES3_jPlPS6_PKS6_NS0_5tupleIJS9_S6_EEENSD_IJSA_SA_EEENS0_18inequality_wrapperIZN2at6native12_GLOBAL__N_124unique_dim_cuda_templateIsEESt5tupleIJNSH_6TensorESM_SM_EERKSM_lbbbEUlllE0_EEPmJS6_EEE10hipError_tPvRmT3_T4_T5_T6_T7_T9_mT8_P12ihipStream_tbDpT10_ENKUlT_T0_E_clISt17integral_constantIbLb0EES1B_IbLb1EEEEDaS17_S18_EUlS17_E_NS1_11comp_targetILNS1_3genE0ELNS1_11target_archE4294967295ELNS1_3gpuE0ELNS1_3repE0EEENS1_30default_config_static_selectorELNS0_4arch9wavefront6targetE1EEEvT1_
    .private_segment_fixed_size: 0
    .sgpr_count:     60
    .sgpr_spill_count: 0
    .symbol:         _ZN7rocprim17ROCPRIM_400000_NS6detail17trampoline_kernelINS0_14default_configENS1_25partition_config_selectorILNS1_17partition_subalgoE8ElNS0_10empty_typeEbEEZZNS1_14partition_implILS5_8ELb0ES3_jPlPS6_PKS6_NS0_5tupleIJS9_S6_EEENSD_IJSA_SA_EEENS0_18inequality_wrapperIZN2at6native12_GLOBAL__N_124unique_dim_cuda_templateIsEESt5tupleIJNSH_6TensorESM_SM_EERKSM_lbbbEUlllE0_EEPmJS6_EEE10hipError_tPvRmT3_T4_T5_T6_T7_T9_mT8_P12ihipStream_tbDpT10_ENKUlT_T0_E_clISt17integral_constantIbLb0EES1B_IbLb1EEEEDaS17_S18_EUlS17_E_NS1_11comp_targetILNS1_3genE0ELNS1_11target_archE4294967295ELNS1_3gpuE0ELNS1_3repE0EEENS1_30default_config_static_selectorELNS0_4arch9wavefront6targetE1EEEvT1_.kd
    .uniform_work_group_size: 1
    .uses_dynamic_stack: false
    .vgpr_count:     58
    .vgpr_spill_count: 0
    .wavefront_size: 64
  - .agpr_count:     0
    .args:
      - .offset:         0
        .size:           136
        .value_kind:     by_value
    .group_segment_fixed_size: 0
    .kernarg_segment_align: 8
    .kernarg_segment_size: 136
    .language:       OpenCL C
    .language_version:
      - 2
      - 0
    .max_flat_workgroup_size: 512
    .name:           _ZN7rocprim17ROCPRIM_400000_NS6detail17trampoline_kernelINS0_14default_configENS1_25partition_config_selectorILNS1_17partition_subalgoE8ElNS0_10empty_typeEbEEZZNS1_14partition_implILS5_8ELb0ES3_jPlPS6_PKS6_NS0_5tupleIJS9_S6_EEENSD_IJSA_SA_EEENS0_18inequality_wrapperIZN2at6native12_GLOBAL__N_124unique_dim_cuda_templateIsEESt5tupleIJNSH_6TensorESM_SM_EERKSM_lbbbEUlllE0_EEPmJS6_EEE10hipError_tPvRmT3_T4_T5_T6_T7_T9_mT8_P12ihipStream_tbDpT10_ENKUlT_T0_E_clISt17integral_constantIbLb0EES1B_IbLb1EEEEDaS17_S18_EUlS17_E_NS1_11comp_targetILNS1_3genE5ELNS1_11target_archE942ELNS1_3gpuE9ELNS1_3repE0EEENS1_30default_config_static_selectorELNS0_4arch9wavefront6targetE1EEEvT1_
    .private_segment_fixed_size: 0
    .sgpr_count:     6
    .sgpr_spill_count: 0
    .symbol:         _ZN7rocprim17ROCPRIM_400000_NS6detail17trampoline_kernelINS0_14default_configENS1_25partition_config_selectorILNS1_17partition_subalgoE8ElNS0_10empty_typeEbEEZZNS1_14partition_implILS5_8ELb0ES3_jPlPS6_PKS6_NS0_5tupleIJS9_S6_EEENSD_IJSA_SA_EEENS0_18inequality_wrapperIZN2at6native12_GLOBAL__N_124unique_dim_cuda_templateIsEESt5tupleIJNSH_6TensorESM_SM_EERKSM_lbbbEUlllE0_EEPmJS6_EEE10hipError_tPvRmT3_T4_T5_T6_T7_T9_mT8_P12ihipStream_tbDpT10_ENKUlT_T0_E_clISt17integral_constantIbLb0EES1B_IbLb1EEEEDaS17_S18_EUlS17_E_NS1_11comp_targetILNS1_3genE5ELNS1_11target_archE942ELNS1_3gpuE9ELNS1_3repE0EEENS1_30default_config_static_selectorELNS0_4arch9wavefront6targetE1EEEvT1_.kd
    .uniform_work_group_size: 1
    .uses_dynamic_stack: false
    .vgpr_count:     0
    .vgpr_spill_count: 0
    .wavefront_size: 64
  - .agpr_count:     0
    .args:
      - .offset:         0
        .size:           136
        .value_kind:     by_value
    .group_segment_fixed_size: 0
    .kernarg_segment_align: 8
    .kernarg_segment_size: 136
    .language:       OpenCL C
    .language_version:
      - 2
      - 0
    .max_flat_workgroup_size: 256
    .name:           _ZN7rocprim17ROCPRIM_400000_NS6detail17trampoline_kernelINS0_14default_configENS1_25partition_config_selectorILNS1_17partition_subalgoE8ElNS0_10empty_typeEbEEZZNS1_14partition_implILS5_8ELb0ES3_jPlPS6_PKS6_NS0_5tupleIJS9_S6_EEENSD_IJSA_SA_EEENS0_18inequality_wrapperIZN2at6native12_GLOBAL__N_124unique_dim_cuda_templateIsEESt5tupleIJNSH_6TensorESM_SM_EERKSM_lbbbEUlllE0_EEPmJS6_EEE10hipError_tPvRmT3_T4_T5_T6_T7_T9_mT8_P12ihipStream_tbDpT10_ENKUlT_T0_E_clISt17integral_constantIbLb0EES1B_IbLb1EEEEDaS17_S18_EUlS17_E_NS1_11comp_targetILNS1_3genE4ELNS1_11target_archE910ELNS1_3gpuE8ELNS1_3repE0EEENS1_30default_config_static_selectorELNS0_4arch9wavefront6targetE1EEEvT1_
    .private_segment_fixed_size: 0
    .sgpr_count:     6
    .sgpr_spill_count: 0
    .symbol:         _ZN7rocprim17ROCPRIM_400000_NS6detail17trampoline_kernelINS0_14default_configENS1_25partition_config_selectorILNS1_17partition_subalgoE8ElNS0_10empty_typeEbEEZZNS1_14partition_implILS5_8ELb0ES3_jPlPS6_PKS6_NS0_5tupleIJS9_S6_EEENSD_IJSA_SA_EEENS0_18inequality_wrapperIZN2at6native12_GLOBAL__N_124unique_dim_cuda_templateIsEESt5tupleIJNSH_6TensorESM_SM_EERKSM_lbbbEUlllE0_EEPmJS6_EEE10hipError_tPvRmT3_T4_T5_T6_T7_T9_mT8_P12ihipStream_tbDpT10_ENKUlT_T0_E_clISt17integral_constantIbLb0EES1B_IbLb1EEEEDaS17_S18_EUlS17_E_NS1_11comp_targetILNS1_3genE4ELNS1_11target_archE910ELNS1_3gpuE8ELNS1_3repE0EEENS1_30default_config_static_selectorELNS0_4arch9wavefront6targetE1EEEvT1_.kd
    .uniform_work_group_size: 1
    .uses_dynamic_stack: false
    .vgpr_count:     0
    .vgpr_spill_count: 0
    .wavefront_size: 64
  - .agpr_count:     0
    .args:
      - .offset:         0
        .size:           136
        .value_kind:     by_value
    .group_segment_fixed_size: 0
    .kernarg_segment_align: 8
    .kernarg_segment_size: 136
    .language:       OpenCL C
    .language_version:
      - 2
      - 0
    .max_flat_workgroup_size: 512
    .name:           _ZN7rocprim17ROCPRIM_400000_NS6detail17trampoline_kernelINS0_14default_configENS1_25partition_config_selectorILNS1_17partition_subalgoE8ElNS0_10empty_typeEbEEZZNS1_14partition_implILS5_8ELb0ES3_jPlPS6_PKS6_NS0_5tupleIJS9_S6_EEENSD_IJSA_SA_EEENS0_18inequality_wrapperIZN2at6native12_GLOBAL__N_124unique_dim_cuda_templateIsEESt5tupleIJNSH_6TensorESM_SM_EERKSM_lbbbEUlllE0_EEPmJS6_EEE10hipError_tPvRmT3_T4_T5_T6_T7_T9_mT8_P12ihipStream_tbDpT10_ENKUlT_T0_E_clISt17integral_constantIbLb0EES1B_IbLb1EEEEDaS17_S18_EUlS17_E_NS1_11comp_targetILNS1_3genE3ELNS1_11target_archE908ELNS1_3gpuE7ELNS1_3repE0EEENS1_30default_config_static_selectorELNS0_4arch9wavefront6targetE1EEEvT1_
    .private_segment_fixed_size: 0
    .sgpr_count:     6
    .sgpr_spill_count: 0
    .symbol:         _ZN7rocprim17ROCPRIM_400000_NS6detail17trampoline_kernelINS0_14default_configENS1_25partition_config_selectorILNS1_17partition_subalgoE8ElNS0_10empty_typeEbEEZZNS1_14partition_implILS5_8ELb0ES3_jPlPS6_PKS6_NS0_5tupleIJS9_S6_EEENSD_IJSA_SA_EEENS0_18inequality_wrapperIZN2at6native12_GLOBAL__N_124unique_dim_cuda_templateIsEESt5tupleIJNSH_6TensorESM_SM_EERKSM_lbbbEUlllE0_EEPmJS6_EEE10hipError_tPvRmT3_T4_T5_T6_T7_T9_mT8_P12ihipStream_tbDpT10_ENKUlT_T0_E_clISt17integral_constantIbLb0EES1B_IbLb1EEEEDaS17_S18_EUlS17_E_NS1_11comp_targetILNS1_3genE3ELNS1_11target_archE908ELNS1_3gpuE7ELNS1_3repE0EEENS1_30default_config_static_selectorELNS0_4arch9wavefront6targetE1EEEvT1_.kd
    .uniform_work_group_size: 1
    .uses_dynamic_stack: false
    .vgpr_count:     0
    .vgpr_spill_count: 0
    .wavefront_size: 64
  - .agpr_count:     0
    .args:
      - .offset:         0
        .size:           136
        .value_kind:     by_value
    .group_segment_fixed_size: 0
    .kernarg_segment_align: 8
    .kernarg_segment_size: 136
    .language:       OpenCL C
    .language_version:
      - 2
      - 0
    .max_flat_workgroup_size: 256
    .name:           _ZN7rocprim17ROCPRIM_400000_NS6detail17trampoline_kernelINS0_14default_configENS1_25partition_config_selectorILNS1_17partition_subalgoE8ElNS0_10empty_typeEbEEZZNS1_14partition_implILS5_8ELb0ES3_jPlPS6_PKS6_NS0_5tupleIJS9_S6_EEENSD_IJSA_SA_EEENS0_18inequality_wrapperIZN2at6native12_GLOBAL__N_124unique_dim_cuda_templateIsEESt5tupleIJNSH_6TensorESM_SM_EERKSM_lbbbEUlllE0_EEPmJS6_EEE10hipError_tPvRmT3_T4_T5_T6_T7_T9_mT8_P12ihipStream_tbDpT10_ENKUlT_T0_E_clISt17integral_constantIbLb0EES1B_IbLb1EEEEDaS17_S18_EUlS17_E_NS1_11comp_targetILNS1_3genE2ELNS1_11target_archE906ELNS1_3gpuE6ELNS1_3repE0EEENS1_30default_config_static_selectorELNS0_4arch9wavefront6targetE1EEEvT1_
    .private_segment_fixed_size: 0
    .sgpr_count:     6
    .sgpr_spill_count: 0
    .symbol:         _ZN7rocprim17ROCPRIM_400000_NS6detail17trampoline_kernelINS0_14default_configENS1_25partition_config_selectorILNS1_17partition_subalgoE8ElNS0_10empty_typeEbEEZZNS1_14partition_implILS5_8ELb0ES3_jPlPS6_PKS6_NS0_5tupleIJS9_S6_EEENSD_IJSA_SA_EEENS0_18inequality_wrapperIZN2at6native12_GLOBAL__N_124unique_dim_cuda_templateIsEESt5tupleIJNSH_6TensorESM_SM_EERKSM_lbbbEUlllE0_EEPmJS6_EEE10hipError_tPvRmT3_T4_T5_T6_T7_T9_mT8_P12ihipStream_tbDpT10_ENKUlT_T0_E_clISt17integral_constantIbLb0EES1B_IbLb1EEEEDaS17_S18_EUlS17_E_NS1_11comp_targetILNS1_3genE2ELNS1_11target_archE906ELNS1_3gpuE6ELNS1_3repE0EEENS1_30default_config_static_selectorELNS0_4arch9wavefront6targetE1EEEvT1_.kd
    .uniform_work_group_size: 1
    .uses_dynamic_stack: false
    .vgpr_count:     0
    .vgpr_spill_count: 0
    .wavefront_size: 64
  - .agpr_count:     0
    .args:
      - .offset:         0
        .size:           136
        .value_kind:     by_value
    .group_segment_fixed_size: 0
    .kernarg_segment_align: 8
    .kernarg_segment_size: 136
    .language:       OpenCL C
    .language_version:
      - 2
      - 0
    .max_flat_workgroup_size: 384
    .name:           _ZN7rocprim17ROCPRIM_400000_NS6detail17trampoline_kernelINS0_14default_configENS1_25partition_config_selectorILNS1_17partition_subalgoE8ElNS0_10empty_typeEbEEZZNS1_14partition_implILS5_8ELb0ES3_jPlPS6_PKS6_NS0_5tupleIJS9_S6_EEENSD_IJSA_SA_EEENS0_18inequality_wrapperIZN2at6native12_GLOBAL__N_124unique_dim_cuda_templateIsEESt5tupleIJNSH_6TensorESM_SM_EERKSM_lbbbEUlllE0_EEPmJS6_EEE10hipError_tPvRmT3_T4_T5_T6_T7_T9_mT8_P12ihipStream_tbDpT10_ENKUlT_T0_E_clISt17integral_constantIbLb0EES1B_IbLb1EEEEDaS17_S18_EUlS17_E_NS1_11comp_targetILNS1_3genE10ELNS1_11target_archE1200ELNS1_3gpuE4ELNS1_3repE0EEENS1_30default_config_static_selectorELNS0_4arch9wavefront6targetE1EEEvT1_
    .private_segment_fixed_size: 0
    .sgpr_count:     6
    .sgpr_spill_count: 0
    .symbol:         _ZN7rocprim17ROCPRIM_400000_NS6detail17trampoline_kernelINS0_14default_configENS1_25partition_config_selectorILNS1_17partition_subalgoE8ElNS0_10empty_typeEbEEZZNS1_14partition_implILS5_8ELb0ES3_jPlPS6_PKS6_NS0_5tupleIJS9_S6_EEENSD_IJSA_SA_EEENS0_18inequality_wrapperIZN2at6native12_GLOBAL__N_124unique_dim_cuda_templateIsEESt5tupleIJNSH_6TensorESM_SM_EERKSM_lbbbEUlllE0_EEPmJS6_EEE10hipError_tPvRmT3_T4_T5_T6_T7_T9_mT8_P12ihipStream_tbDpT10_ENKUlT_T0_E_clISt17integral_constantIbLb0EES1B_IbLb1EEEEDaS17_S18_EUlS17_E_NS1_11comp_targetILNS1_3genE10ELNS1_11target_archE1200ELNS1_3gpuE4ELNS1_3repE0EEENS1_30default_config_static_selectorELNS0_4arch9wavefront6targetE1EEEvT1_.kd
    .uniform_work_group_size: 1
    .uses_dynamic_stack: false
    .vgpr_count:     0
    .vgpr_spill_count: 0
    .wavefront_size: 64
  - .agpr_count:     0
    .args:
      - .offset:         0
        .size:           136
        .value_kind:     by_value
    .group_segment_fixed_size: 0
    .kernarg_segment_align: 8
    .kernarg_segment_size: 136
    .language:       OpenCL C
    .language_version:
      - 2
      - 0
    .max_flat_workgroup_size: 512
    .name:           _ZN7rocprim17ROCPRIM_400000_NS6detail17trampoline_kernelINS0_14default_configENS1_25partition_config_selectorILNS1_17partition_subalgoE8ElNS0_10empty_typeEbEEZZNS1_14partition_implILS5_8ELb0ES3_jPlPS6_PKS6_NS0_5tupleIJS9_S6_EEENSD_IJSA_SA_EEENS0_18inequality_wrapperIZN2at6native12_GLOBAL__N_124unique_dim_cuda_templateIsEESt5tupleIJNSH_6TensorESM_SM_EERKSM_lbbbEUlllE0_EEPmJS6_EEE10hipError_tPvRmT3_T4_T5_T6_T7_T9_mT8_P12ihipStream_tbDpT10_ENKUlT_T0_E_clISt17integral_constantIbLb0EES1B_IbLb1EEEEDaS17_S18_EUlS17_E_NS1_11comp_targetILNS1_3genE9ELNS1_11target_archE1100ELNS1_3gpuE3ELNS1_3repE0EEENS1_30default_config_static_selectorELNS0_4arch9wavefront6targetE1EEEvT1_
    .private_segment_fixed_size: 0
    .sgpr_count:     6
    .sgpr_spill_count: 0
    .symbol:         _ZN7rocprim17ROCPRIM_400000_NS6detail17trampoline_kernelINS0_14default_configENS1_25partition_config_selectorILNS1_17partition_subalgoE8ElNS0_10empty_typeEbEEZZNS1_14partition_implILS5_8ELb0ES3_jPlPS6_PKS6_NS0_5tupleIJS9_S6_EEENSD_IJSA_SA_EEENS0_18inequality_wrapperIZN2at6native12_GLOBAL__N_124unique_dim_cuda_templateIsEESt5tupleIJNSH_6TensorESM_SM_EERKSM_lbbbEUlllE0_EEPmJS6_EEE10hipError_tPvRmT3_T4_T5_T6_T7_T9_mT8_P12ihipStream_tbDpT10_ENKUlT_T0_E_clISt17integral_constantIbLb0EES1B_IbLb1EEEEDaS17_S18_EUlS17_E_NS1_11comp_targetILNS1_3genE9ELNS1_11target_archE1100ELNS1_3gpuE3ELNS1_3repE0EEENS1_30default_config_static_selectorELNS0_4arch9wavefront6targetE1EEEvT1_.kd
    .uniform_work_group_size: 1
    .uses_dynamic_stack: false
    .vgpr_count:     0
    .vgpr_spill_count: 0
    .wavefront_size: 64
  - .agpr_count:     0
    .args:
      - .offset:         0
        .size:           136
        .value_kind:     by_value
    .group_segment_fixed_size: 0
    .kernarg_segment_align: 8
    .kernarg_segment_size: 136
    .language:       OpenCL C
    .language_version:
      - 2
      - 0
    .max_flat_workgroup_size: 512
    .name:           _ZN7rocprim17ROCPRIM_400000_NS6detail17trampoline_kernelINS0_14default_configENS1_25partition_config_selectorILNS1_17partition_subalgoE8ElNS0_10empty_typeEbEEZZNS1_14partition_implILS5_8ELb0ES3_jPlPS6_PKS6_NS0_5tupleIJS9_S6_EEENSD_IJSA_SA_EEENS0_18inequality_wrapperIZN2at6native12_GLOBAL__N_124unique_dim_cuda_templateIsEESt5tupleIJNSH_6TensorESM_SM_EERKSM_lbbbEUlllE0_EEPmJS6_EEE10hipError_tPvRmT3_T4_T5_T6_T7_T9_mT8_P12ihipStream_tbDpT10_ENKUlT_T0_E_clISt17integral_constantIbLb0EES1B_IbLb1EEEEDaS17_S18_EUlS17_E_NS1_11comp_targetILNS1_3genE8ELNS1_11target_archE1030ELNS1_3gpuE2ELNS1_3repE0EEENS1_30default_config_static_selectorELNS0_4arch9wavefront6targetE1EEEvT1_
    .private_segment_fixed_size: 0
    .sgpr_count:     6
    .sgpr_spill_count: 0
    .symbol:         _ZN7rocprim17ROCPRIM_400000_NS6detail17trampoline_kernelINS0_14default_configENS1_25partition_config_selectorILNS1_17partition_subalgoE8ElNS0_10empty_typeEbEEZZNS1_14partition_implILS5_8ELb0ES3_jPlPS6_PKS6_NS0_5tupleIJS9_S6_EEENSD_IJSA_SA_EEENS0_18inequality_wrapperIZN2at6native12_GLOBAL__N_124unique_dim_cuda_templateIsEESt5tupleIJNSH_6TensorESM_SM_EERKSM_lbbbEUlllE0_EEPmJS6_EEE10hipError_tPvRmT3_T4_T5_T6_T7_T9_mT8_P12ihipStream_tbDpT10_ENKUlT_T0_E_clISt17integral_constantIbLb0EES1B_IbLb1EEEEDaS17_S18_EUlS17_E_NS1_11comp_targetILNS1_3genE8ELNS1_11target_archE1030ELNS1_3gpuE2ELNS1_3repE0EEENS1_30default_config_static_selectorELNS0_4arch9wavefront6targetE1EEEvT1_.kd
    .uniform_work_group_size: 1
    .uses_dynamic_stack: false
    .vgpr_count:     0
    .vgpr_spill_count: 0
    .wavefront_size: 64
  - .agpr_count:     0
    .args:
      - .offset:         0
        .size:           120
        .value_kind:     by_value
    .group_segment_fixed_size: 5128
    .kernarg_segment_align: 8
    .kernarg_segment_size: 120
    .language:       OpenCL C
    .language_version:
      - 2
      - 0
    .max_flat_workgroup_size: 128
    .name:           _ZN7rocprim17ROCPRIM_400000_NS6detail17trampoline_kernelINS0_14default_configENS1_25partition_config_selectorILNS1_17partition_subalgoE9EllbEEZZNS1_14partition_implILS5_9ELb0ES3_jPlS8_PNS0_10empty_typeENS0_5tupleIJS8_S9_EEENSB_IJS8_SA_EEENS0_18inequality_wrapperIZN2at6native12_GLOBAL__N_124unique_dim_cuda_templateIsEESt5tupleIJNSF_6TensorESK_SK_EERKSK_lbbbEUlllE0_EEPmJS9_EEE10hipError_tPvRmT3_T4_T5_T6_T7_T9_mT8_P12ihipStream_tbDpT10_ENKUlT_T0_E_clISt17integral_constantIbLb0EES1A_EEDaS15_S16_EUlS15_E_NS1_11comp_targetILNS1_3genE0ELNS1_11target_archE4294967295ELNS1_3gpuE0ELNS1_3repE0EEENS1_30default_config_static_selectorELNS0_4arch9wavefront6targetE1EEEvT1_
    .private_segment_fixed_size: 0
    .sgpr_count:     52
    .sgpr_spill_count: 0
    .symbol:         _ZN7rocprim17ROCPRIM_400000_NS6detail17trampoline_kernelINS0_14default_configENS1_25partition_config_selectorILNS1_17partition_subalgoE9EllbEEZZNS1_14partition_implILS5_9ELb0ES3_jPlS8_PNS0_10empty_typeENS0_5tupleIJS8_S9_EEENSB_IJS8_SA_EEENS0_18inequality_wrapperIZN2at6native12_GLOBAL__N_124unique_dim_cuda_templateIsEESt5tupleIJNSF_6TensorESK_SK_EERKSK_lbbbEUlllE0_EEPmJS9_EEE10hipError_tPvRmT3_T4_T5_T6_T7_T9_mT8_P12ihipStream_tbDpT10_ENKUlT_T0_E_clISt17integral_constantIbLb0EES1A_EEDaS15_S16_EUlS15_E_NS1_11comp_targetILNS1_3genE0ELNS1_11target_archE4294967295ELNS1_3gpuE0ELNS1_3repE0EEENS1_30default_config_static_selectorELNS0_4arch9wavefront6targetE1EEEvT1_.kd
    .uniform_work_group_size: 1
    .uses_dynamic_stack: false
    .vgpr_count:     60
    .vgpr_spill_count: 0
    .wavefront_size: 64
  - .agpr_count:     0
    .args:
      - .offset:         0
        .size:           120
        .value_kind:     by_value
    .group_segment_fixed_size: 0
    .kernarg_segment_align: 8
    .kernarg_segment_size: 120
    .language:       OpenCL C
    .language_version:
      - 2
      - 0
    .max_flat_workgroup_size: 512
    .name:           _ZN7rocprim17ROCPRIM_400000_NS6detail17trampoline_kernelINS0_14default_configENS1_25partition_config_selectorILNS1_17partition_subalgoE9EllbEEZZNS1_14partition_implILS5_9ELb0ES3_jPlS8_PNS0_10empty_typeENS0_5tupleIJS8_S9_EEENSB_IJS8_SA_EEENS0_18inequality_wrapperIZN2at6native12_GLOBAL__N_124unique_dim_cuda_templateIsEESt5tupleIJNSF_6TensorESK_SK_EERKSK_lbbbEUlllE0_EEPmJS9_EEE10hipError_tPvRmT3_T4_T5_T6_T7_T9_mT8_P12ihipStream_tbDpT10_ENKUlT_T0_E_clISt17integral_constantIbLb0EES1A_EEDaS15_S16_EUlS15_E_NS1_11comp_targetILNS1_3genE5ELNS1_11target_archE942ELNS1_3gpuE9ELNS1_3repE0EEENS1_30default_config_static_selectorELNS0_4arch9wavefront6targetE1EEEvT1_
    .private_segment_fixed_size: 0
    .sgpr_count:     6
    .sgpr_spill_count: 0
    .symbol:         _ZN7rocprim17ROCPRIM_400000_NS6detail17trampoline_kernelINS0_14default_configENS1_25partition_config_selectorILNS1_17partition_subalgoE9EllbEEZZNS1_14partition_implILS5_9ELb0ES3_jPlS8_PNS0_10empty_typeENS0_5tupleIJS8_S9_EEENSB_IJS8_SA_EEENS0_18inequality_wrapperIZN2at6native12_GLOBAL__N_124unique_dim_cuda_templateIsEESt5tupleIJNSF_6TensorESK_SK_EERKSK_lbbbEUlllE0_EEPmJS9_EEE10hipError_tPvRmT3_T4_T5_T6_T7_T9_mT8_P12ihipStream_tbDpT10_ENKUlT_T0_E_clISt17integral_constantIbLb0EES1A_EEDaS15_S16_EUlS15_E_NS1_11comp_targetILNS1_3genE5ELNS1_11target_archE942ELNS1_3gpuE9ELNS1_3repE0EEENS1_30default_config_static_selectorELNS0_4arch9wavefront6targetE1EEEvT1_.kd
    .uniform_work_group_size: 1
    .uses_dynamic_stack: false
    .vgpr_count:     0
    .vgpr_spill_count: 0
    .wavefront_size: 64
  - .agpr_count:     0
    .args:
      - .offset:         0
        .size:           120
        .value_kind:     by_value
    .group_segment_fixed_size: 0
    .kernarg_segment_align: 8
    .kernarg_segment_size: 120
    .language:       OpenCL C
    .language_version:
      - 2
      - 0
    .max_flat_workgroup_size: 128
    .name:           _ZN7rocprim17ROCPRIM_400000_NS6detail17trampoline_kernelINS0_14default_configENS1_25partition_config_selectorILNS1_17partition_subalgoE9EllbEEZZNS1_14partition_implILS5_9ELb0ES3_jPlS8_PNS0_10empty_typeENS0_5tupleIJS8_S9_EEENSB_IJS8_SA_EEENS0_18inequality_wrapperIZN2at6native12_GLOBAL__N_124unique_dim_cuda_templateIsEESt5tupleIJNSF_6TensorESK_SK_EERKSK_lbbbEUlllE0_EEPmJS9_EEE10hipError_tPvRmT3_T4_T5_T6_T7_T9_mT8_P12ihipStream_tbDpT10_ENKUlT_T0_E_clISt17integral_constantIbLb0EES1A_EEDaS15_S16_EUlS15_E_NS1_11comp_targetILNS1_3genE4ELNS1_11target_archE910ELNS1_3gpuE8ELNS1_3repE0EEENS1_30default_config_static_selectorELNS0_4arch9wavefront6targetE1EEEvT1_
    .private_segment_fixed_size: 0
    .sgpr_count:     6
    .sgpr_spill_count: 0
    .symbol:         _ZN7rocprim17ROCPRIM_400000_NS6detail17trampoline_kernelINS0_14default_configENS1_25partition_config_selectorILNS1_17partition_subalgoE9EllbEEZZNS1_14partition_implILS5_9ELb0ES3_jPlS8_PNS0_10empty_typeENS0_5tupleIJS8_S9_EEENSB_IJS8_SA_EEENS0_18inequality_wrapperIZN2at6native12_GLOBAL__N_124unique_dim_cuda_templateIsEESt5tupleIJNSF_6TensorESK_SK_EERKSK_lbbbEUlllE0_EEPmJS9_EEE10hipError_tPvRmT3_T4_T5_T6_T7_T9_mT8_P12ihipStream_tbDpT10_ENKUlT_T0_E_clISt17integral_constantIbLb0EES1A_EEDaS15_S16_EUlS15_E_NS1_11comp_targetILNS1_3genE4ELNS1_11target_archE910ELNS1_3gpuE8ELNS1_3repE0EEENS1_30default_config_static_selectorELNS0_4arch9wavefront6targetE1EEEvT1_.kd
    .uniform_work_group_size: 1
    .uses_dynamic_stack: false
    .vgpr_count:     0
    .vgpr_spill_count: 0
    .wavefront_size: 64
  - .agpr_count:     0
    .args:
      - .offset:         0
        .size:           120
        .value_kind:     by_value
    .group_segment_fixed_size: 0
    .kernarg_segment_align: 8
    .kernarg_segment_size: 120
    .language:       OpenCL C
    .language_version:
      - 2
      - 0
    .max_flat_workgroup_size: 128
    .name:           _ZN7rocprim17ROCPRIM_400000_NS6detail17trampoline_kernelINS0_14default_configENS1_25partition_config_selectorILNS1_17partition_subalgoE9EllbEEZZNS1_14partition_implILS5_9ELb0ES3_jPlS8_PNS0_10empty_typeENS0_5tupleIJS8_S9_EEENSB_IJS8_SA_EEENS0_18inequality_wrapperIZN2at6native12_GLOBAL__N_124unique_dim_cuda_templateIsEESt5tupleIJNSF_6TensorESK_SK_EERKSK_lbbbEUlllE0_EEPmJS9_EEE10hipError_tPvRmT3_T4_T5_T6_T7_T9_mT8_P12ihipStream_tbDpT10_ENKUlT_T0_E_clISt17integral_constantIbLb0EES1A_EEDaS15_S16_EUlS15_E_NS1_11comp_targetILNS1_3genE3ELNS1_11target_archE908ELNS1_3gpuE7ELNS1_3repE0EEENS1_30default_config_static_selectorELNS0_4arch9wavefront6targetE1EEEvT1_
    .private_segment_fixed_size: 0
    .sgpr_count:     6
    .sgpr_spill_count: 0
    .symbol:         _ZN7rocprim17ROCPRIM_400000_NS6detail17trampoline_kernelINS0_14default_configENS1_25partition_config_selectorILNS1_17partition_subalgoE9EllbEEZZNS1_14partition_implILS5_9ELb0ES3_jPlS8_PNS0_10empty_typeENS0_5tupleIJS8_S9_EEENSB_IJS8_SA_EEENS0_18inequality_wrapperIZN2at6native12_GLOBAL__N_124unique_dim_cuda_templateIsEESt5tupleIJNSF_6TensorESK_SK_EERKSK_lbbbEUlllE0_EEPmJS9_EEE10hipError_tPvRmT3_T4_T5_T6_T7_T9_mT8_P12ihipStream_tbDpT10_ENKUlT_T0_E_clISt17integral_constantIbLb0EES1A_EEDaS15_S16_EUlS15_E_NS1_11comp_targetILNS1_3genE3ELNS1_11target_archE908ELNS1_3gpuE7ELNS1_3repE0EEENS1_30default_config_static_selectorELNS0_4arch9wavefront6targetE1EEEvT1_.kd
    .uniform_work_group_size: 1
    .uses_dynamic_stack: false
    .vgpr_count:     0
    .vgpr_spill_count: 0
    .wavefront_size: 64
  - .agpr_count:     0
    .args:
      - .offset:         0
        .size:           120
        .value_kind:     by_value
    .group_segment_fixed_size: 0
    .kernarg_segment_align: 8
    .kernarg_segment_size: 120
    .language:       OpenCL C
    .language_version:
      - 2
      - 0
    .max_flat_workgroup_size: 192
    .name:           _ZN7rocprim17ROCPRIM_400000_NS6detail17trampoline_kernelINS0_14default_configENS1_25partition_config_selectorILNS1_17partition_subalgoE9EllbEEZZNS1_14partition_implILS5_9ELb0ES3_jPlS8_PNS0_10empty_typeENS0_5tupleIJS8_S9_EEENSB_IJS8_SA_EEENS0_18inequality_wrapperIZN2at6native12_GLOBAL__N_124unique_dim_cuda_templateIsEESt5tupleIJNSF_6TensorESK_SK_EERKSK_lbbbEUlllE0_EEPmJS9_EEE10hipError_tPvRmT3_T4_T5_T6_T7_T9_mT8_P12ihipStream_tbDpT10_ENKUlT_T0_E_clISt17integral_constantIbLb0EES1A_EEDaS15_S16_EUlS15_E_NS1_11comp_targetILNS1_3genE2ELNS1_11target_archE906ELNS1_3gpuE6ELNS1_3repE0EEENS1_30default_config_static_selectorELNS0_4arch9wavefront6targetE1EEEvT1_
    .private_segment_fixed_size: 0
    .sgpr_count:     6
    .sgpr_spill_count: 0
    .symbol:         _ZN7rocprim17ROCPRIM_400000_NS6detail17trampoline_kernelINS0_14default_configENS1_25partition_config_selectorILNS1_17partition_subalgoE9EllbEEZZNS1_14partition_implILS5_9ELb0ES3_jPlS8_PNS0_10empty_typeENS0_5tupleIJS8_S9_EEENSB_IJS8_SA_EEENS0_18inequality_wrapperIZN2at6native12_GLOBAL__N_124unique_dim_cuda_templateIsEESt5tupleIJNSF_6TensorESK_SK_EERKSK_lbbbEUlllE0_EEPmJS9_EEE10hipError_tPvRmT3_T4_T5_T6_T7_T9_mT8_P12ihipStream_tbDpT10_ENKUlT_T0_E_clISt17integral_constantIbLb0EES1A_EEDaS15_S16_EUlS15_E_NS1_11comp_targetILNS1_3genE2ELNS1_11target_archE906ELNS1_3gpuE6ELNS1_3repE0EEENS1_30default_config_static_selectorELNS0_4arch9wavefront6targetE1EEEvT1_.kd
    .uniform_work_group_size: 1
    .uses_dynamic_stack: false
    .vgpr_count:     0
    .vgpr_spill_count: 0
    .wavefront_size: 64
  - .agpr_count:     0
    .args:
      - .offset:         0
        .size:           120
        .value_kind:     by_value
    .group_segment_fixed_size: 0
    .kernarg_segment_align: 8
    .kernarg_segment_size: 120
    .language:       OpenCL C
    .language_version:
      - 2
      - 0
    .max_flat_workgroup_size: 384
    .name:           _ZN7rocprim17ROCPRIM_400000_NS6detail17trampoline_kernelINS0_14default_configENS1_25partition_config_selectorILNS1_17partition_subalgoE9EllbEEZZNS1_14partition_implILS5_9ELb0ES3_jPlS8_PNS0_10empty_typeENS0_5tupleIJS8_S9_EEENSB_IJS8_SA_EEENS0_18inequality_wrapperIZN2at6native12_GLOBAL__N_124unique_dim_cuda_templateIsEESt5tupleIJNSF_6TensorESK_SK_EERKSK_lbbbEUlllE0_EEPmJS9_EEE10hipError_tPvRmT3_T4_T5_T6_T7_T9_mT8_P12ihipStream_tbDpT10_ENKUlT_T0_E_clISt17integral_constantIbLb0EES1A_EEDaS15_S16_EUlS15_E_NS1_11comp_targetILNS1_3genE10ELNS1_11target_archE1200ELNS1_3gpuE4ELNS1_3repE0EEENS1_30default_config_static_selectorELNS0_4arch9wavefront6targetE1EEEvT1_
    .private_segment_fixed_size: 0
    .sgpr_count:     6
    .sgpr_spill_count: 0
    .symbol:         _ZN7rocprim17ROCPRIM_400000_NS6detail17trampoline_kernelINS0_14default_configENS1_25partition_config_selectorILNS1_17partition_subalgoE9EllbEEZZNS1_14partition_implILS5_9ELb0ES3_jPlS8_PNS0_10empty_typeENS0_5tupleIJS8_S9_EEENSB_IJS8_SA_EEENS0_18inequality_wrapperIZN2at6native12_GLOBAL__N_124unique_dim_cuda_templateIsEESt5tupleIJNSF_6TensorESK_SK_EERKSK_lbbbEUlllE0_EEPmJS9_EEE10hipError_tPvRmT3_T4_T5_T6_T7_T9_mT8_P12ihipStream_tbDpT10_ENKUlT_T0_E_clISt17integral_constantIbLb0EES1A_EEDaS15_S16_EUlS15_E_NS1_11comp_targetILNS1_3genE10ELNS1_11target_archE1200ELNS1_3gpuE4ELNS1_3repE0EEENS1_30default_config_static_selectorELNS0_4arch9wavefront6targetE1EEEvT1_.kd
    .uniform_work_group_size: 1
    .uses_dynamic_stack: false
    .vgpr_count:     0
    .vgpr_spill_count: 0
    .wavefront_size: 64
  - .agpr_count:     0
    .args:
      - .offset:         0
        .size:           120
        .value_kind:     by_value
    .group_segment_fixed_size: 0
    .kernarg_segment_align: 8
    .kernarg_segment_size: 120
    .language:       OpenCL C
    .language_version:
      - 2
      - 0
    .max_flat_workgroup_size: 512
    .name:           _ZN7rocprim17ROCPRIM_400000_NS6detail17trampoline_kernelINS0_14default_configENS1_25partition_config_selectorILNS1_17partition_subalgoE9EllbEEZZNS1_14partition_implILS5_9ELb0ES3_jPlS8_PNS0_10empty_typeENS0_5tupleIJS8_S9_EEENSB_IJS8_SA_EEENS0_18inequality_wrapperIZN2at6native12_GLOBAL__N_124unique_dim_cuda_templateIsEESt5tupleIJNSF_6TensorESK_SK_EERKSK_lbbbEUlllE0_EEPmJS9_EEE10hipError_tPvRmT3_T4_T5_T6_T7_T9_mT8_P12ihipStream_tbDpT10_ENKUlT_T0_E_clISt17integral_constantIbLb0EES1A_EEDaS15_S16_EUlS15_E_NS1_11comp_targetILNS1_3genE9ELNS1_11target_archE1100ELNS1_3gpuE3ELNS1_3repE0EEENS1_30default_config_static_selectorELNS0_4arch9wavefront6targetE1EEEvT1_
    .private_segment_fixed_size: 0
    .sgpr_count:     6
    .sgpr_spill_count: 0
    .symbol:         _ZN7rocprim17ROCPRIM_400000_NS6detail17trampoline_kernelINS0_14default_configENS1_25partition_config_selectorILNS1_17partition_subalgoE9EllbEEZZNS1_14partition_implILS5_9ELb0ES3_jPlS8_PNS0_10empty_typeENS0_5tupleIJS8_S9_EEENSB_IJS8_SA_EEENS0_18inequality_wrapperIZN2at6native12_GLOBAL__N_124unique_dim_cuda_templateIsEESt5tupleIJNSF_6TensorESK_SK_EERKSK_lbbbEUlllE0_EEPmJS9_EEE10hipError_tPvRmT3_T4_T5_T6_T7_T9_mT8_P12ihipStream_tbDpT10_ENKUlT_T0_E_clISt17integral_constantIbLb0EES1A_EEDaS15_S16_EUlS15_E_NS1_11comp_targetILNS1_3genE9ELNS1_11target_archE1100ELNS1_3gpuE3ELNS1_3repE0EEENS1_30default_config_static_selectorELNS0_4arch9wavefront6targetE1EEEvT1_.kd
    .uniform_work_group_size: 1
    .uses_dynamic_stack: false
    .vgpr_count:     0
    .vgpr_spill_count: 0
    .wavefront_size: 64
  - .agpr_count:     0
    .args:
      - .offset:         0
        .size:           120
        .value_kind:     by_value
    .group_segment_fixed_size: 0
    .kernarg_segment_align: 8
    .kernarg_segment_size: 120
    .language:       OpenCL C
    .language_version:
      - 2
      - 0
    .max_flat_workgroup_size: 512
    .name:           _ZN7rocprim17ROCPRIM_400000_NS6detail17trampoline_kernelINS0_14default_configENS1_25partition_config_selectorILNS1_17partition_subalgoE9EllbEEZZNS1_14partition_implILS5_9ELb0ES3_jPlS8_PNS0_10empty_typeENS0_5tupleIJS8_S9_EEENSB_IJS8_SA_EEENS0_18inequality_wrapperIZN2at6native12_GLOBAL__N_124unique_dim_cuda_templateIsEESt5tupleIJNSF_6TensorESK_SK_EERKSK_lbbbEUlllE0_EEPmJS9_EEE10hipError_tPvRmT3_T4_T5_T6_T7_T9_mT8_P12ihipStream_tbDpT10_ENKUlT_T0_E_clISt17integral_constantIbLb0EES1A_EEDaS15_S16_EUlS15_E_NS1_11comp_targetILNS1_3genE8ELNS1_11target_archE1030ELNS1_3gpuE2ELNS1_3repE0EEENS1_30default_config_static_selectorELNS0_4arch9wavefront6targetE1EEEvT1_
    .private_segment_fixed_size: 0
    .sgpr_count:     6
    .sgpr_spill_count: 0
    .symbol:         _ZN7rocprim17ROCPRIM_400000_NS6detail17trampoline_kernelINS0_14default_configENS1_25partition_config_selectorILNS1_17partition_subalgoE9EllbEEZZNS1_14partition_implILS5_9ELb0ES3_jPlS8_PNS0_10empty_typeENS0_5tupleIJS8_S9_EEENSB_IJS8_SA_EEENS0_18inequality_wrapperIZN2at6native12_GLOBAL__N_124unique_dim_cuda_templateIsEESt5tupleIJNSF_6TensorESK_SK_EERKSK_lbbbEUlllE0_EEPmJS9_EEE10hipError_tPvRmT3_T4_T5_T6_T7_T9_mT8_P12ihipStream_tbDpT10_ENKUlT_T0_E_clISt17integral_constantIbLb0EES1A_EEDaS15_S16_EUlS15_E_NS1_11comp_targetILNS1_3genE8ELNS1_11target_archE1030ELNS1_3gpuE2ELNS1_3repE0EEENS1_30default_config_static_selectorELNS0_4arch9wavefront6targetE1EEEvT1_.kd
    .uniform_work_group_size: 1
    .uses_dynamic_stack: false
    .vgpr_count:     0
    .vgpr_spill_count: 0
    .wavefront_size: 64
  - .agpr_count:     0
    .args:
      - .offset:         0
        .size:           136
        .value_kind:     by_value
    .group_segment_fixed_size: 0
    .kernarg_segment_align: 8
    .kernarg_segment_size: 136
    .language:       OpenCL C
    .language_version:
      - 2
      - 0
    .max_flat_workgroup_size: 128
    .name:           _ZN7rocprim17ROCPRIM_400000_NS6detail17trampoline_kernelINS0_14default_configENS1_25partition_config_selectorILNS1_17partition_subalgoE9EllbEEZZNS1_14partition_implILS5_9ELb0ES3_jPlS8_PNS0_10empty_typeENS0_5tupleIJS8_S9_EEENSB_IJS8_SA_EEENS0_18inequality_wrapperIZN2at6native12_GLOBAL__N_124unique_dim_cuda_templateIsEESt5tupleIJNSF_6TensorESK_SK_EERKSK_lbbbEUlllE0_EEPmJS9_EEE10hipError_tPvRmT3_T4_T5_T6_T7_T9_mT8_P12ihipStream_tbDpT10_ENKUlT_T0_E_clISt17integral_constantIbLb1EES1A_EEDaS15_S16_EUlS15_E_NS1_11comp_targetILNS1_3genE0ELNS1_11target_archE4294967295ELNS1_3gpuE0ELNS1_3repE0EEENS1_30default_config_static_selectorELNS0_4arch9wavefront6targetE1EEEvT1_
    .private_segment_fixed_size: 0
    .sgpr_count:     6
    .sgpr_spill_count: 0
    .symbol:         _ZN7rocprim17ROCPRIM_400000_NS6detail17trampoline_kernelINS0_14default_configENS1_25partition_config_selectorILNS1_17partition_subalgoE9EllbEEZZNS1_14partition_implILS5_9ELb0ES3_jPlS8_PNS0_10empty_typeENS0_5tupleIJS8_S9_EEENSB_IJS8_SA_EEENS0_18inequality_wrapperIZN2at6native12_GLOBAL__N_124unique_dim_cuda_templateIsEESt5tupleIJNSF_6TensorESK_SK_EERKSK_lbbbEUlllE0_EEPmJS9_EEE10hipError_tPvRmT3_T4_T5_T6_T7_T9_mT8_P12ihipStream_tbDpT10_ENKUlT_T0_E_clISt17integral_constantIbLb1EES1A_EEDaS15_S16_EUlS15_E_NS1_11comp_targetILNS1_3genE0ELNS1_11target_archE4294967295ELNS1_3gpuE0ELNS1_3repE0EEENS1_30default_config_static_selectorELNS0_4arch9wavefront6targetE1EEEvT1_.kd
    .uniform_work_group_size: 1
    .uses_dynamic_stack: false
    .vgpr_count:     0
    .vgpr_spill_count: 0
    .wavefront_size: 64
  - .agpr_count:     0
    .args:
      - .offset:         0
        .size:           136
        .value_kind:     by_value
    .group_segment_fixed_size: 0
    .kernarg_segment_align: 8
    .kernarg_segment_size: 136
    .language:       OpenCL C
    .language_version:
      - 2
      - 0
    .max_flat_workgroup_size: 512
    .name:           _ZN7rocprim17ROCPRIM_400000_NS6detail17trampoline_kernelINS0_14default_configENS1_25partition_config_selectorILNS1_17partition_subalgoE9EllbEEZZNS1_14partition_implILS5_9ELb0ES3_jPlS8_PNS0_10empty_typeENS0_5tupleIJS8_S9_EEENSB_IJS8_SA_EEENS0_18inequality_wrapperIZN2at6native12_GLOBAL__N_124unique_dim_cuda_templateIsEESt5tupleIJNSF_6TensorESK_SK_EERKSK_lbbbEUlllE0_EEPmJS9_EEE10hipError_tPvRmT3_T4_T5_T6_T7_T9_mT8_P12ihipStream_tbDpT10_ENKUlT_T0_E_clISt17integral_constantIbLb1EES1A_EEDaS15_S16_EUlS15_E_NS1_11comp_targetILNS1_3genE5ELNS1_11target_archE942ELNS1_3gpuE9ELNS1_3repE0EEENS1_30default_config_static_selectorELNS0_4arch9wavefront6targetE1EEEvT1_
    .private_segment_fixed_size: 0
    .sgpr_count:     6
    .sgpr_spill_count: 0
    .symbol:         _ZN7rocprim17ROCPRIM_400000_NS6detail17trampoline_kernelINS0_14default_configENS1_25partition_config_selectorILNS1_17partition_subalgoE9EllbEEZZNS1_14partition_implILS5_9ELb0ES3_jPlS8_PNS0_10empty_typeENS0_5tupleIJS8_S9_EEENSB_IJS8_SA_EEENS0_18inequality_wrapperIZN2at6native12_GLOBAL__N_124unique_dim_cuda_templateIsEESt5tupleIJNSF_6TensorESK_SK_EERKSK_lbbbEUlllE0_EEPmJS9_EEE10hipError_tPvRmT3_T4_T5_T6_T7_T9_mT8_P12ihipStream_tbDpT10_ENKUlT_T0_E_clISt17integral_constantIbLb1EES1A_EEDaS15_S16_EUlS15_E_NS1_11comp_targetILNS1_3genE5ELNS1_11target_archE942ELNS1_3gpuE9ELNS1_3repE0EEENS1_30default_config_static_selectorELNS0_4arch9wavefront6targetE1EEEvT1_.kd
    .uniform_work_group_size: 1
    .uses_dynamic_stack: false
    .vgpr_count:     0
    .vgpr_spill_count: 0
    .wavefront_size: 64
  - .agpr_count:     0
    .args:
      - .offset:         0
        .size:           136
        .value_kind:     by_value
    .group_segment_fixed_size: 0
    .kernarg_segment_align: 8
    .kernarg_segment_size: 136
    .language:       OpenCL C
    .language_version:
      - 2
      - 0
    .max_flat_workgroup_size: 128
    .name:           _ZN7rocprim17ROCPRIM_400000_NS6detail17trampoline_kernelINS0_14default_configENS1_25partition_config_selectorILNS1_17partition_subalgoE9EllbEEZZNS1_14partition_implILS5_9ELb0ES3_jPlS8_PNS0_10empty_typeENS0_5tupleIJS8_S9_EEENSB_IJS8_SA_EEENS0_18inequality_wrapperIZN2at6native12_GLOBAL__N_124unique_dim_cuda_templateIsEESt5tupleIJNSF_6TensorESK_SK_EERKSK_lbbbEUlllE0_EEPmJS9_EEE10hipError_tPvRmT3_T4_T5_T6_T7_T9_mT8_P12ihipStream_tbDpT10_ENKUlT_T0_E_clISt17integral_constantIbLb1EES1A_EEDaS15_S16_EUlS15_E_NS1_11comp_targetILNS1_3genE4ELNS1_11target_archE910ELNS1_3gpuE8ELNS1_3repE0EEENS1_30default_config_static_selectorELNS0_4arch9wavefront6targetE1EEEvT1_
    .private_segment_fixed_size: 0
    .sgpr_count:     6
    .sgpr_spill_count: 0
    .symbol:         _ZN7rocprim17ROCPRIM_400000_NS6detail17trampoline_kernelINS0_14default_configENS1_25partition_config_selectorILNS1_17partition_subalgoE9EllbEEZZNS1_14partition_implILS5_9ELb0ES3_jPlS8_PNS0_10empty_typeENS0_5tupleIJS8_S9_EEENSB_IJS8_SA_EEENS0_18inequality_wrapperIZN2at6native12_GLOBAL__N_124unique_dim_cuda_templateIsEESt5tupleIJNSF_6TensorESK_SK_EERKSK_lbbbEUlllE0_EEPmJS9_EEE10hipError_tPvRmT3_T4_T5_T6_T7_T9_mT8_P12ihipStream_tbDpT10_ENKUlT_T0_E_clISt17integral_constantIbLb1EES1A_EEDaS15_S16_EUlS15_E_NS1_11comp_targetILNS1_3genE4ELNS1_11target_archE910ELNS1_3gpuE8ELNS1_3repE0EEENS1_30default_config_static_selectorELNS0_4arch9wavefront6targetE1EEEvT1_.kd
    .uniform_work_group_size: 1
    .uses_dynamic_stack: false
    .vgpr_count:     0
    .vgpr_spill_count: 0
    .wavefront_size: 64
  - .agpr_count:     0
    .args:
      - .offset:         0
        .size:           136
        .value_kind:     by_value
    .group_segment_fixed_size: 0
    .kernarg_segment_align: 8
    .kernarg_segment_size: 136
    .language:       OpenCL C
    .language_version:
      - 2
      - 0
    .max_flat_workgroup_size: 128
    .name:           _ZN7rocprim17ROCPRIM_400000_NS6detail17trampoline_kernelINS0_14default_configENS1_25partition_config_selectorILNS1_17partition_subalgoE9EllbEEZZNS1_14partition_implILS5_9ELb0ES3_jPlS8_PNS0_10empty_typeENS0_5tupleIJS8_S9_EEENSB_IJS8_SA_EEENS0_18inequality_wrapperIZN2at6native12_GLOBAL__N_124unique_dim_cuda_templateIsEESt5tupleIJNSF_6TensorESK_SK_EERKSK_lbbbEUlllE0_EEPmJS9_EEE10hipError_tPvRmT3_T4_T5_T6_T7_T9_mT8_P12ihipStream_tbDpT10_ENKUlT_T0_E_clISt17integral_constantIbLb1EES1A_EEDaS15_S16_EUlS15_E_NS1_11comp_targetILNS1_3genE3ELNS1_11target_archE908ELNS1_3gpuE7ELNS1_3repE0EEENS1_30default_config_static_selectorELNS0_4arch9wavefront6targetE1EEEvT1_
    .private_segment_fixed_size: 0
    .sgpr_count:     6
    .sgpr_spill_count: 0
    .symbol:         _ZN7rocprim17ROCPRIM_400000_NS6detail17trampoline_kernelINS0_14default_configENS1_25partition_config_selectorILNS1_17partition_subalgoE9EllbEEZZNS1_14partition_implILS5_9ELb0ES3_jPlS8_PNS0_10empty_typeENS0_5tupleIJS8_S9_EEENSB_IJS8_SA_EEENS0_18inequality_wrapperIZN2at6native12_GLOBAL__N_124unique_dim_cuda_templateIsEESt5tupleIJNSF_6TensorESK_SK_EERKSK_lbbbEUlllE0_EEPmJS9_EEE10hipError_tPvRmT3_T4_T5_T6_T7_T9_mT8_P12ihipStream_tbDpT10_ENKUlT_T0_E_clISt17integral_constantIbLb1EES1A_EEDaS15_S16_EUlS15_E_NS1_11comp_targetILNS1_3genE3ELNS1_11target_archE908ELNS1_3gpuE7ELNS1_3repE0EEENS1_30default_config_static_selectorELNS0_4arch9wavefront6targetE1EEEvT1_.kd
    .uniform_work_group_size: 1
    .uses_dynamic_stack: false
    .vgpr_count:     0
    .vgpr_spill_count: 0
    .wavefront_size: 64
  - .agpr_count:     0
    .args:
      - .offset:         0
        .size:           136
        .value_kind:     by_value
    .group_segment_fixed_size: 0
    .kernarg_segment_align: 8
    .kernarg_segment_size: 136
    .language:       OpenCL C
    .language_version:
      - 2
      - 0
    .max_flat_workgroup_size: 192
    .name:           _ZN7rocprim17ROCPRIM_400000_NS6detail17trampoline_kernelINS0_14default_configENS1_25partition_config_selectorILNS1_17partition_subalgoE9EllbEEZZNS1_14partition_implILS5_9ELb0ES3_jPlS8_PNS0_10empty_typeENS0_5tupleIJS8_S9_EEENSB_IJS8_SA_EEENS0_18inequality_wrapperIZN2at6native12_GLOBAL__N_124unique_dim_cuda_templateIsEESt5tupleIJNSF_6TensorESK_SK_EERKSK_lbbbEUlllE0_EEPmJS9_EEE10hipError_tPvRmT3_T4_T5_T6_T7_T9_mT8_P12ihipStream_tbDpT10_ENKUlT_T0_E_clISt17integral_constantIbLb1EES1A_EEDaS15_S16_EUlS15_E_NS1_11comp_targetILNS1_3genE2ELNS1_11target_archE906ELNS1_3gpuE6ELNS1_3repE0EEENS1_30default_config_static_selectorELNS0_4arch9wavefront6targetE1EEEvT1_
    .private_segment_fixed_size: 0
    .sgpr_count:     6
    .sgpr_spill_count: 0
    .symbol:         _ZN7rocprim17ROCPRIM_400000_NS6detail17trampoline_kernelINS0_14default_configENS1_25partition_config_selectorILNS1_17partition_subalgoE9EllbEEZZNS1_14partition_implILS5_9ELb0ES3_jPlS8_PNS0_10empty_typeENS0_5tupleIJS8_S9_EEENSB_IJS8_SA_EEENS0_18inequality_wrapperIZN2at6native12_GLOBAL__N_124unique_dim_cuda_templateIsEESt5tupleIJNSF_6TensorESK_SK_EERKSK_lbbbEUlllE0_EEPmJS9_EEE10hipError_tPvRmT3_T4_T5_T6_T7_T9_mT8_P12ihipStream_tbDpT10_ENKUlT_T0_E_clISt17integral_constantIbLb1EES1A_EEDaS15_S16_EUlS15_E_NS1_11comp_targetILNS1_3genE2ELNS1_11target_archE906ELNS1_3gpuE6ELNS1_3repE0EEENS1_30default_config_static_selectorELNS0_4arch9wavefront6targetE1EEEvT1_.kd
    .uniform_work_group_size: 1
    .uses_dynamic_stack: false
    .vgpr_count:     0
    .vgpr_spill_count: 0
    .wavefront_size: 64
  - .agpr_count:     0
    .args:
      - .offset:         0
        .size:           136
        .value_kind:     by_value
    .group_segment_fixed_size: 0
    .kernarg_segment_align: 8
    .kernarg_segment_size: 136
    .language:       OpenCL C
    .language_version:
      - 2
      - 0
    .max_flat_workgroup_size: 384
    .name:           _ZN7rocprim17ROCPRIM_400000_NS6detail17trampoline_kernelINS0_14default_configENS1_25partition_config_selectorILNS1_17partition_subalgoE9EllbEEZZNS1_14partition_implILS5_9ELb0ES3_jPlS8_PNS0_10empty_typeENS0_5tupleIJS8_S9_EEENSB_IJS8_SA_EEENS0_18inequality_wrapperIZN2at6native12_GLOBAL__N_124unique_dim_cuda_templateIsEESt5tupleIJNSF_6TensorESK_SK_EERKSK_lbbbEUlllE0_EEPmJS9_EEE10hipError_tPvRmT3_T4_T5_T6_T7_T9_mT8_P12ihipStream_tbDpT10_ENKUlT_T0_E_clISt17integral_constantIbLb1EES1A_EEDaS15_S16_EUlS15_E_NS1_11comp_targetILNS1_3genE10ELNS1_11target_archE1200ELNS1_3gpuE4ELNS1_3repE0EEENS1_30default_config_static_selectorELNS0_4arch9wavefront6targetE1EEEvT1_
    .private_segment_fixed_size: 0
    .sgpr_count:     6
    .sgpr_spill_count: 0
    .symbol:         _ZN7rocprim17ROCPRIM_400000_NS6detail17trampoline_kernelINS0_14default_configENS1_25partition_config_selectorILNS1_17partition_subalgoE9EllbEEZZNS1_14partition_implILS5_9ELb0ES3_jPlS8_PNS0_10empty_typeENS0_5tupleIJS8_S9_EEENSB_IJS8_SA_EEENS0_18inequality_wrapperIZN2at6native12_GLOBAL__N_124unique_dim_cuda_templateIsEESt5tupleIJNSF_6TensorESK_SK_EERKSK_lbbbEUlllE0_EEPmJS9_EEE10hipError_tPvRmT3_T4_T5_T6_T7_T9_mT8_P12ihipStream_tbDpT10_ENKUlT_T0_E_clISt17integral_constantIbLb1EES1A_EEDaS15_S16_EUlS15_E_NS1_11comp_targetILNS1_3genE10ELNS1_11target_archE1200ELNS1_3gpuE4ELNS1_3repE0EEENS1_30default_config_static_selectorELNS0_4arch9wavefront6targetE1EEEvT1_.kd
    .uniform_work_group_size: 1
    .uses_dynamic_stack: false
    .vgpr_count:     0
    .vgpr_spill_count: 0
    .wavefront_size: 64
  - .agpr_count:     0
    .args:
      - .offset:         0
        .size:           136
        .value_kind:     by_value
    .group_segment_fixed_size: 0
    .kernarg_segment_align: 8
    .kernarg_segment_size: 136
    .language:       OpenCL C
    .language_version:
      - 2
      - 0
    .max_flat_workgroup_size: 512
    .name:           _ZN7rocprim17ROCPRIM_400000_NS6detail17trampoline_kernelINS0_14default_configENS1_25partition_config_selectorILNS1_17partition_subalgoE9EllbEEZZNS1_14partition_implILS5_9ELb0ES3_jPlS8_PNS0_10empty_typeENS0_5tupleIJS8_S9_EEENSB_IJS8_SA_EEENS0_18inequality_wrapperIZN2at6native12_GLOBAL__N_124unique_dim_cuda_templateIsEESt5tupleIJNSF_6TensorESK_SK_EERKSK_lbbbEUlllE0_EEPmJS9_EEE10hipError_tPvRmT3_T4_T5_T6_T7_T9_mT8_P12ihipStream_tbDpT10_ENKUlT_T0_E_clISt17integral_constantIbLb1EES1A_EEDaS15_S16_EUlS15_E_NS1_11comp_targetILNS1_3genE9ELNS1_11target_archE1100ELNS1_3gpuE3ELNS1_3repE0EEENS1_30default_config_static_selectorELNS0_4arch9wavefront6targetE1EEEvT1_
    .private_segment_fixed_size: 0
    .sgpr_count:     6
    .sgpr_spill_count: 0
    .symbol:         _ZN7rocprim17ROCPRIM_400000_NS6detail17trampoline_kernelINS0_14default_configENS1_25partition_config_selectorILNS1_17partition_subalgoE9EllbEEZZNS1_14partition_implILS5_9ELb0ES3_jPlS8_PNS0_10empty_typeENS0_5tupleIJS8_S9_EEENSB_IJS8_SA_EEENS0_18inequality_wrapperIZN2at6native12_GLOBAL__N_124unique_dim_cuda_templateIsEESt5tupleIJNSF_6TensorESK_SK_EERKSK_lbbbEUlllE0_EEPmJS9_EEE10hipError_tPvRmT3_T4_T5_T6_T7_T9_mT8_P12ihipStream_tbDpT10_ENKUlT_T0_E_clISt17integral_constantIbLb1EES1A_EEDaS15_S16_EUlS15_E_NS1_11comp_targetILNS1_3genE9ELNS1_11target_archE1100ELNS1_3gpuE3ELNS1_3repE0EEENS1_30default_config_static_selectorELNS0_4arch9wavefront6targetE1EEEvT1_.kd
    .uniform_work_group_size: 1
    .uses_dynamic_stack: false
    .vgpr_count:     0
    .vgpr_spill_count: 0
    .wavefront_size: 64
  - .agpr_count:     0
    .args:
      - .offset:         0
        .size:           136
        .value_kind:     by_value
    .group_segment_fixed_size: 0
    .kernarg_segment_align: 8
    .kernarg_segment_size: 136
    .language:       OpenCL C
    .language_version:
      - 2
      - 0
    .max_flat_workgroup_size: 512
    .name:           _ZN7rocprim17ROCPRIM_400000_NS6detail17trampoline_kernelINS0_14default_configENS1_25partition_config_selectorILNS1_17partition_subalgoE9EllbEEZZNS1_14partition_implILS5_9ELb0ES3_jPlS8_PNS0_10empty_typeENS0_5tupleIJS8_S9_EEENSB_IJS8_SA_EEENS0_18inequality_wrapperIZN2at6native12_GLOBAL__N_124unique_dim_cuda_templateIsEESt5tupleIJNSF_6TensorESK_SK_EERKSK_lbbbEUlllE0_EEPmJS9_EEE10hipError_tPvRmT3_T4_T5_T6_T7_T9_mT8_P12ihipStream_tbDpT10_ENKUlT_T0_E_clISt17integral_constantIbLb1EES1A_EEDaS15_S16_EUlS15_E_NS1_11comp_targetILNS1_3genE8ELNS1_11target_archE1030ELNS1_3gpuE2ELNS1_3repE0EEENS1_30default_config_static_selectorELNS0_4arch9wavefront6targetE1EEEvT1_
    .private_segment_fixed_size: 0
    .sgpr_count:     6
    .sgpr_spill_count: 0
    .symbol:         _ZN7rocprim17ROCPRIM_400000_NS6detail17trampoline_kernelINS0_14default_configENS1_25partition_config_selectorILNS1_17partition_subalgoE9EllbEEZZNS1_14partition_implILS5_9ELb0ES3_jPlS8_PNS0_10empty_typeENS0_5tupleIJS8_S9_EEENSB_IJS8_SA_EEENS0_18inequality_wrapperIZN2at6native12_GLOBAL__N_124unique_dim_cuda_templateIsEESt5tupleIJNSF_6TensorESK_SK_EERKSK_lbbbEUlllE0_EEPmJS9_EEE10hipError_tPvRmT3_T4_T5_T6_T7_T9_mT8_P12ihipStream_tbDpT10_ENKUlT_T0_E_clISt17integral_constantIbLb1EES1A_EEDaS15_S16_EUlS15_E_NS1_11comp_targetILNS1_3genE8ELNS1_11target_archE1030ELNS1_3gpuE2ELNS1_3repE0EEENS1_30default_config_static_selectorELNS0_4arch9wavefront6targetE1EEEvT1_.kd
    .uniform_work_group_size: 1
    .uses_dynamic_stack: false
    .vgpr_count:     0
    .vgpr_spill_count: 0
    .wavefront_size: 64
  - .agpr_count:     0
    .args:
      - .offset:         0
        .size:           120
        .value_kind:     by_value
    .group_segment_fixed_size: 0
    .kernarg_segment_align: 8
    .kernarg_segment_size: 120
    .language:       OpenCL C
    .language_version:
      - 2
      - 0
    .max_flat_workgroup_size: 128
    .name:           _ZN7rocprim17ROCPRIM_400000_NS6detail17trampoline_kernelINS0_14default_configENS1_25partition_config_selectorILNS1_17partition_subalgoE9EllbEEZZNS1_14partition_implILS5_9ELb0ES3_jPlS8_PNS0_10empty_typeENS0_5tupleIJS8_S9_EEENSB_IJS8_SA_EEENS0_18inequality_wrapperIZN2at6native12_GLOBAL__N_124unique_dim_cuda_templateIsEESt5tupleIJNSF_6TensorESK_SK_EERKSK_lbbbEUlllE0_EEPmJS9_EEE10hipError_tPvRmT3_T4_T5_T6_T7_T9_mT8_P12ihipStream_tbDpT10_ENKUlT_T0_E_clISt17integral_constantIbLb1EES19_IbLb0EEEEDaS15_S16_EUlS15_E_NS1_11comp_targetILNS1_3genE0ELNS1_11target_archE4294967295ELNS1_3gpuE0ELNS1_3repE0EEENS1_30default_config_static_selectorELNS0_4arch9wavefront6targetE1EEEvT1_
    .private_segment_fixed_size: 0
    .sgpr_count:     6
    .sgpr_spill_count: 0
    .symbol:         _ZN7rocprim17ROCPRIM_400000_NS6detail17trampoline_kernelINS0_14default_configENS1_25partition_config_selectorILNS1_17partition_subalgoE9EllbEEZZNS1_14partition_implILS5_9ELb0ES3_jPlS8_PNS0_10empty_typeENS0_5tupleIJS8_S9_EEENSB_IJS8_SA_EEENS0_18inequality_wrapperIZN2at6native12_GLOBAL__N_124unique_dim_cuda_templateIsEESt5tupleIJNSF_6TensorESK_SK_EERKSK_lbbbEUlllE0_EEPmJS9_EEE10hipError_tPvRmT3_T4_T5_T6_T7_T9_mT8_P12ihipStream_tbDpT10_ENKUlT_T0_E_clISt17integral_constantIbLb1EES19_IbLb0EEEEDaS15_S16_EUlS15_E_NS1_11comp_targetILNS1_3genE0ELNS1_11target_archE4294967295ELNS1_3gpuE0ELNS1_3repE0EEENS1_30default_config_static_selectorELNS0_4arch9wavefront6targetE1EEEvT1_.kd
    .uniform_work_group_size: 1
    .uses_dynamic_stack: false
    .vgpr_count:     0
    .vgpr_spill_count: 0
    .wavefront_size: 64
  - .agpr_count:     0
    .args:
      - .offset:         0
        .size:           120
        .value_kind:     by_value
    .group_segment_fixed_size: 0
    .kernarg_segment_align: 8
    .kernarg_segment_size: 120
    .language:       OpenCL C
    .language_version:
      - 2
      - 0
    .max_flat_workgroup_size: 512
    .name:           _ZN7rocprim17ROCPRIM_400000_NS6detail17trampoline_kernelINS0_14default_configENS1_25partition_config_selectorILNS1_17partition_subalgoE9EllbEEZZNS1_14partition_implILS5_9ELb0ES3_jPlS8_PNS0_10empty_typeENS0_5tupleIJS8_S9_EEENSB_IJS8_SA_EEENS0_18inequality_wrapperIZN2at6native12_GLOBAL__N_124unique_dim_cuda_templateIsEESt5tupleIJNSF_6TensorESK_SK_EERKSK_lbbbEUlllE0_EEPmJS9_EEE10hipError_tPvRmT3_T4_T5_T6_T7_T9_mT8_P12ihipStream_tbDpT10_ENKUlT_T0_E_clISt17integral_constantIbLb1EES19_IbLb0EEEEDaS15_S16_EUlS15_E_NS1_11comp_targetILNS1_3genE5ELNS1_11target_archE942ELNS1_3gpuE9ELNS1_3repE0EEENS1_30default_config_static_selectorELNS0_4arch9wavefront6targetE1EEEvT1_
    .private_segment_fixed_size: 0
    .sgpr_count:     6
    .sgpr_spill_count: 0
    .symbol:         _ZN7rocprim17ROCPRIM_400000_NS6detail17trampoline_kernelINS0_14default_configENS1_25partition_config_selectorILNS1_17partition_subalgoE9EllbEEZZNS1_14partition_implILS5_9ELb0ES3_jPlS8_PNS0_10empty_typeENS0_5tupleIJS8_S9_EEENSB_IJS8_SA_EEENS0_18inequality_wrapperIZN2at6native12_GLOBAL__N_124unique_dim_cuda_templateIsEESt5tupleIJNSF_6TensorESK_SK_EERKSK_lbbbEUlllE0_EEPmJS9_EEE10hipError_tPvRmT3_T4_T5_T6_T7_T9_mT8_P12ihipStream_tbDpT10_ENKUlT_T0_E_clISt17integral_constantIbLb1EES19_IbLb0EEEEDaS15_S16_EUlS15_E_NS1_11comp_targetILNS1_3genE5ELNS1_11target_archE942ELNS1_3gpuE9ELNS1_3repE0EEENS1_30default_config_static_selectorELNS0_4arch9wavefront6targetE1EEEvT1_.kd
    .uniform_work_group_size: 1
    .uses_dynamic_stack: false
    .vgpr_count:     0
    .vgpr_spill_count: 0
    .wavefront_size: 64
  - .agpr_count:     0
    .args:
      - .offset:         0
        .size:           120
        .value_kind:     by_value
    .group_segment_fixed_size: 0
    .kernarg_segment_align: 8
    .kernarg_segment_size: 120
    .language:       OpenCL C
    .language_version:
      - 2
      - 0
    .max_flat_workgroup_size: 128
    .name:           _ZN7rocprim17ROCPRIM_400000_NS6detail17trampoline_kernelINS0_14default_configENS1_25partition_config_selectorILNS1_17partition_subalgoE9EllbEEZZNS1_14partition_implILS5_9ELb0ES3_jPlS8_PNS0_10empty_typeENS0_5tupleIJS8_S9_EEENSB_IJS8_SA_EEENS0_18inequality_wrapperIZN2at6native12_GLOBAL__N_124unique_dim_cuda_templateIsEESt5tupleIJNSF_6TensorESK_SK_EERKSK_lbbbEUlllE0_EEPmJS9_EEE10hipError_tPvRmT3_T4_T5_T6_T7_T9_mT8_P12ihipStream_tbDpT10_ENKUlT_T0_E_clISt17integral_constantIbLb1EES19_IbLb0EEEEDaS15_S16_EUlS15_E_NS1_11comp_targetILNS1_3genE4ELNS1_11target_archE910ELNS1_3gpuE8ELNS1_3repE0EEENS1_30default_config_static_selectorELNS0_4arch9wavefront6targetE1EEEvT1_
    .private_segment_fixed_size: 0
    .sgpr_count:     6
    .sgpr_spill_count: 0
    .symbol:         _ZN7rocprim17ROCPRIM_400000_NS6detail17trampoline_kernelINS0_14default_configENS1_25partition_config_selectorILNS1_17partition_subalgoE9EllbEEZZNS1_14partition_implILS5_9ELb0ES3_jPlS8_PNS0_10empty_typeENS0_5tupleIJS8_S9_EEENSB_IJS8_SA_EEENS0_18inequality_wrapperIZN2at6native12_GLOBAL__N_124unique_dim_cuda_templateIsEESt5tupleIJNSF_6TensorESK_SK_EERKSK_lbbbEUlllE0_EEPmJS9_EEE10hipError_tPvRmT3_T4_T5_T6_T7_T9_mT8_P12ihipStream_tbDpT10_ENKUlT_T0_E_clISt17integral_constantIbLb1EES19_IbLb0EEEEDaS15_S16_EUlS15_E_NS1_11comp_targetILNS1_3genE4ELNS1_11target_archE910ELNS1_3gpuE8ELNS1_3repE0EEENS1_30default_config_static_selectorELNS0_4arch9wavefront6targetE1EEEvT1_.kd
    .uniform_work_group_size: 1
    .uses_dynamic_stack: false
    .vgpr_count:     0
    .vgpr_spill_count: 0
    .wavefront_size: 64
  - .agpr_count:     0
    .args:
      - .offset:         0
        .size:           120
        .value_kind:     by_value
    .group_segment_fixed_size: 0
    .kernarg_segment_align: 8
    .kernarg_segment_size: 120
    .language:       OpenCL C
    .language_version:
      - 2
      - 0
    .max_flat_workgroup_size: 128
    .name:           _ZN7rocprim17ROCPRIM_400000_NS6detail17trampoline_kernelINS0_14default_configENS1_25partition_config_selectorILNS1_17partition_subalgoE9EllbEEZZNS1_14partition_implILS5_9ELb0ES3_jPlS8_PNS0_10empty_typeENS0_5tupleIJS8_S9_EEENSB_IJS8_SA_EEENS0_18inequality_wrapperIZN2at6native12_GLOBAL__N_124unique_dim_cuda_templateIsEESt5tupleIJNSF_6TensorESK_SK_EERKSK_lbbbEUlllE0_EEPmJS9_EEE10hipError_tPvRmT3_T4_T5_T6_T7_T9_mT8_P12ihipStream_tbDpT10_ENKUlT_T0_E_clISt17integral_constantIbLb1EES19_IbLb0EEEEDaS15_S16_EUlS15_E_NS1_11comp_targetILNS1_3genE3ELNS1_11target_archE908ELNS1_3gpuE7ELNS1_3repE0EEENS1_30default_config_static_selectorELNS0_4arch9wavefront6targetE1EEEvT1_
    .private_segment_fixed_size: 0
    .sgpr_count:     6
    .sgpr_spill_count: 0
    .symbol:         _ZN7rocprim17ROCPRIM_400000_NS6detail17trampoline_kernelINS0_14default_configENS1_25partition_config_selectorILNS1_17partition_subalgoE9EllbEEZZNS1_14partition_implILS5_9ELb0ES3_jPlS8_PNS0_10empty_typeENS0_5tupleIJS8_S9_EEENSB_IJS8_SA_EEENS0_18inequality_wrapperIZN2at6native12_GLOBAL__N_124unique_dim_cuda_templateIsEESt5tupleIJNSF_6TensorESK_SK_EERKSK_lbbbEUlllE0_EEPmJS9_EEE10hipError_tPvRmT3_T4_T5_T6_T7_T9_mT8_P12ihipStream_tbDpT10_ENKUlT_T0_E_clISt17integral_constantIbLb1EES19_IbLb0EEEEDaS15_S16_EUlS15_E_NS1_11comp_targetILNS1_3genE3ELNS1_11target_archE908ELNS1_3gpuE7ELNS1_3repE0EEENS1_30default_config_static_selectorELNS0_4arch9wavefront6targetE1EEEvT1_.kd
    .uniform_work_group_size: 1
    .uses_dynamic_stack: false
    .vgpr_count:     0
    .vgpr_spill_count: 0
    .wavefront_size: 64
  - .agpr_count:     0
    .args:
      - .offset:         0
        .size:           120
        .value_kind:     by_value
    .group_segment_fixed_size: 0
    .kernarg_segment_align: 8
    .kernarg_segment_size: 120
    .language:       OpenCL C
    .language_version:
      - 2
      - 0
    .max_flat_workgroup_size: 192
    .name:           _ZN7rocprim17ROCPRIM_400000_NS6detail17trampoline_kernelINS0_14default_configENS1_25partition_config_selectorILNS1_17partition_subalgoE9EllbEEZZNS1_14partition_implILS5_9ELb0ES3_jPlS8_PNS0_10empty_typeENS0_5tupleIJS8_S9_EEENSB_IJS8_SA_EEENS0_18inequality_wrapperIZN2at6native12_GLOBAL__N_124unique_dim_cuda_templateIsEESt5tupleIJNSF_6TensorESK_SK_EERKSK_lbbbEUlllE0_EEPmJS9_EEE10hipError_tPvRmT3_T4_T5_T6_T7_T9_mT8_P12ihipStream_tbDpT10_ENKUlT_T0_E_clISt17integral_constantIbLb1EES19_IbLb0EEEEDaS15_S16_EUlS15_E_NS1_11comp_targetILNS1_3genE2ELNS1_11target_archE906ELNS1_3gpuE6ELNS1_3repE0EEENS1_30default_config_static_selectorELNS0_4arch9wavefront6targetE1EEEvT1_
    .private_segment_fixed_size: 0
    .sgpr_count:     6
    .sgpr_spill_count: 0
    .symbol:         _ZN7rocprim17ROCPRIM_400000_NS6detail17trampoline_kernelINS0_14default_configENS1_25partition_config_selectorILNS1_17partition_subalgoE9EllbEEZZNS1_14partition_implILS5_9ELb0ES3_jPlS8_PNS0_10empty_typeENS0_5tupleIJS8_S9_EEENSB_IJS8_SA_EEENS0_18inequality_wrapperIZN2at6native12_GLOBAL__N_124unique_dim_cuda_templateIsEESt5tupleIJNSF_6TensorESK_SK_EERKSK_lbbbEUlllE0_EEPmJS9_EEE10hipError_tPvRmT3_T4_T5_T6_T7_T9_mT8_P12ihipStream_tbDpT10_ENKUlT_T0_E_clISt17integral_constantIbLb1EES19_IbLb0EEEEDaS15_S16_EUlS15_E_NS1_11comp_targetILNS1_3genE2ELNS1_11target_archE906ELNS1_3gpuE6ELNS1_3repE0EEENS1_30default_config_static_selectorELNS0_4arch9wavefront6targetE1EEEvT1_.kd
    .uniform_work_group_size: 1
    .uses_dynamic_stack: false
    .vgpr_count:     0
    .vgpr_spill_count: 0
    .wavefront_size: 64
  - .agpr_count:     0
    .args:
      - .offset:         0
        .size:           120
        .value_kind:     by_value
    .group_segment_fixed_size: 0
    .kernarg_segment_align: 8
    .kernarg_segment_size: 120
    .language:       OpenCL C
    .language_version:
      - 2
      - 0
    .max_flat_workgroup_size: 384
    .name:           _ZN7rocprim17ROCPRIM_400000_NS6detail17trampoline_kernelINS0_14default_configENS1_25partition_config_selectorILNS1_17partition_subalgoE9EllbEEZZNS1_14partition_implILS5_9ELb0ES3_jPlS8_PNS0_10empty_typeENS0_5tupleIJS8_S9_EEENSB_IJS8_SA_EEENS0_18inequality_wrapperIZN2at6native12_GLOBAL__N_124unique_dim_cuda_templateIsEESt5tupleIJNSF_6TensorESK_SK_EERKSK_lbbbEUlllE0_EEPmJS9_EEE10hipError_tPvRmT3_T4_T5_T6_T7_T9_mT8_P12ihipStream_tbDpT10_ENKUlT_T0_E_clISt17integral_constantIbLb1EES19_IbLb0EEEEDaS15_S16_EUlS15_E_NS1_11comp_targetILNS1_3genE10ELNS1_11target_archE1200ELNS1_3gpuE4ELNS1_3repE0EEENS1_30default_config_static_selectorELNS0_4arch9wavefront6targetE1EEEvT1_
    .private_segment_fixed_size: 0
    .sgpr_count:     6
    .sgpr_spill_count: 0
    .symbol:         _ZN7rocprim17ROCPRIM_400000_NS6detail17trampoline_kernelINS0_14default_configENS1_25partition_config_selectorILNS1_17partition_subalgoE9EllbEEZZNS1_14partition_implILS5_9ELb0ES3_jPlS8_PNS0_10empty_typeENS0_5tupleIJS8_S9_EEENSB_IJS8_SA_EEENS0_18inequality_wrapperIZN2at6native12_GLOBAL__N_124unique_dim_cuda_templateIsEESt5tupleIJNSF_6TensorESK_SK_EERKSK_lbbbEUlllE0_EEPmJS9_EEE10hipError_tPvRmT3_T4_T5_T6_T7_T9_mT8_P12ihipStream_tbDpT10_ENKUlT_T0_E_clISt17integral_constantIbLb1EES19_IbLb0EEEEDaS15_S16_EUlS15_E_NS1_11comp_targetILNS1_3genE10ELNS1_11target_archE1200ELNS1_3gpuE4ELNS1_3repE0EEENS1_30default_config_static_selectorELNS0_4arch9wavefront6targetE1EEEvT1_.kd
    .uniform_work_group_size: 1
    .uses_dynamic_stack: false
    .vgpr_count:     0
    .vgpr_spill_count: 0
    .wavefront_size: 64
  - .agpr_count:     0
    .args:
      - .offset:         0
        .size:           120
        .value_kind:     by_value
    .group_segment_fixed_size: 0
    .kernarg_segment_align: 8
    .kernarg_segment_size: 120
    .language:       OpenCL C
    .language_version:
      - 2
      - 0
    .max_flat_workgroup_size: 512
    .name:           _ZN7rocprim17ROCPRIM_400000_NS6detail17trampoline_kernelINS0_14default_configENS1_25partition_config_selectorILNS1_17partition_subalgoE9EllbEEZZNS1_14partition_implILS5_9ELb0ES3_jPlS8_PNS0_10empty_typeENS0_5tupleIJS8_S9_EEENSB_IJS8_SA_EEENS0_18inequality_wrapperIZN2at6native12_GLOBAL__N_124unique_dim_cuda_templateIsEESt5tupleIJNSF_6TensorESK_SK_EERKSK_lbbbEUlllE0_EEPmJS9_EEE10hipError_tPvRmT3_T4_T5_T6_T7_T9_mT8_P12ihipStream_tbDpT10_ENKUlT_T0_E_clISt17integral_constantIbLb1EES19_IbLb0EEEEDaS15_S16_EUlS15_E_NS1_11comp_targetILNS1_3genE9ELNS1_11target_archE1100ELNS1_3gpuE3ELNS1_3repE0EEENS1_30default_config_static_selectorELNS0_4arch9wavefront6targetE1EEEvT1_
    .private_segment_fixed_size: 0
    .sgpr_count:     6
    .sgpr_spill_count: 0
    .symbol:         _ZN7rocprim17ROCPRIM_400000_NS6detail17trampoline_kernelINS0_14default_configENS1_25partition_config_selectorILNS1_17partition_subalgoE9EllbEEZZNS1_14partition_implILS5_9ELb0ES3_jPlS8_PNS0_10empty_typeENS0_5tupleIJS8_S9_EEENSB_IJS8_SA_EEENS0_18inequality_wrapperIZN2at6native12_GLOBAL__N_124unique_dim_cuda_templateIsEESt5tupleIJNSF_6TensorESK_SK_EERKSK_lbbbEUlllE0_EEPmJS9_EEE10hipError_tPvRmT3_T4_T5_T6_T7_T9_mT8_P12ihipStream_tbDpT10_ENKUlT_T0_E_clISt17integral_constantIbLb1EES19_IbLb0EEEEDaS15_S16_EUlS15_E_NS1_11comp_targetILNS1_3genE9ELNS1_11target_archE1100ELNS1_3gpuE3ELNS1_3repE0EEENS1_30default_config_static_selectorELNS0_4arch9wavefront6targetE1EEEvT1_.kd
    .uniform_work_group_size: 1
    .uses_dynamic_stack: false
    .vgpr_count:     0
    .vgpr_spill_count: 0
    .wavefront_size: 64
  - .agpr_count:     0
    .args:
      - .offset:         0
        .size:           120
        .value_kind:     by_value
    .group_segment_fixed_size: 0
    .kernarg_segment_align: 8
    .kernarg_segment_size: 120
    .language:       OpenCL C
    .language_version:
      - 2
      - 0
    .max_flat_workgroup_size: 512
    .name:           _ZN7rocprim17ROCPRIM_400000_NS6detail17trampoline_kernelINS0_14default_configENS1_25partition_config_selectorILNS1_17partition_subalgoE9EllbEEZZNS1_14partition_implILS5_9ELb0ES3_jPlS8_PNS0_10empty_typeENS0_5tupleIJS8_S9_EEENSB_IJS8_SA_EEENS0_18inequality_wrapperIZN2at6native12_GLOBAL__N_124unique_dim_cuda_templateIsEESt5tupleIJNSF_6TensorESK_SK_EERKSK_lbbbEUlllE0_EEPmJS9_EEE10hipError_tPvRmT3_T4_T5_T6_T7_T9_mT8_P12ihipStream_tbDpT10_ENKUlT_T0_E_clISt17integral_constantIbLb1EES19_IbLb0EEEEDaS15_S16_EUlS15_E_NS1_11comp_targetILNS1_3genE8ELNS1_11target_archE1030ELNS1_3gpuE2ELNS1_3repE0EEENS1_30default_config_static_selectorELNS0_4arch9wavefront6targetE1EEEvT1_
    .private_segment_fixed_size: 0
    .sgpr_count:     6
    .sgpr_spill_count: 0
    .symbol:         _ZN7rocprim17ROCPRIM_400000_NS6detail17trampoline_kernelINS0_14default_configENS1_25partition_config_selectorILNS1_17partition_subalgoE9EllbEEZZNS1_14partition_implILS5_9ELb0ES3_jPlS8_PNS0_10empty_typeENS0_5tupleIJS8_S9_EEENSB_IJS8_SA_EEENS0_18inequality_wrapperIZN2at6native12_GLOBAL__N_124unique_dim_cuda_templateIsEESt5tupleIJNSF_6TensorESK_SK_EERKSK_lbbbEUlllE0_EEPmJS9_EEE10hipError_tPvRmT3_T4_T5_T6_T7_T9_mT8_P12ihipStream_tbDpT10_ENKUlT_T0_E_clISt17integral_constantIbLb1EES19_IbLb0EEEEDaS15_S16_EUlS15_E_NS1_11comp_targetILNS1_3genE8ELNS1_11target_archE1030ELNS1_3gpuE2ELNS1_3repE0EEENS1_30default_config_static_selectorELNS0_4arch9wavefront6targetE1EEEvT1_.kd
    .uniform_work_group_size: 1
    .uses_dynamic_stack: false
    .vgpr_count:     0
    .vgpr_spill_count: 0
    .wavefront_size: 64
  - .agpr_count:     0
    .args:
      - .offset:         0
        .size:           136
        .value_kind:     by_value
    .group_segment_fixed_size: 5128
    .kernarg_segment_align: 8
    .kernarg_segment_size: 136
    .language:       OpenCL C
    .language_version:
      - 2
      - 0
    .max_flat_workgroup_size: 128
    .name:           _ZN7rocprim17ROCPRIM_400000_NS6detail17trampoline_kernelINS0_14default_configENS1_25partition_config_selectorILNS1_17partition_subalgoE9EllbEEZZNS1_14partition_implILS5_9ELb0ES3_jPlS8_PNS0_10empty_typeENS0_5tupleIJS8_S9_EEENSB_IJS8_SA_EEENS0_18inequality_wrapperIZN2at6native12_GLOBAL__N_124unique_dim_cuda_templateIsEESt5tupleIJNSF_6TensorESK_SK_EERKSK_lbbbEUlllE0_EEPmJS9_EEE10hipError_tPvRmT3_T4_T5_T6_T7_T9_mT8_P12ihipStream_tbDpT10_ENKUlT_T0_E_clISt17integral_constantIbLb0EES19_IbLb1EEEEDaS15_S16_EUlS15_E_NS1_11comp_targetILNS1_3genE0ELNS1_11target_archE4294967295ELNS1_3gpuE0ELNS1_3repE0EEENS1_30default_config_static_selectorELNS0_4arch9wavefront6targetE1EEEvT1_
    .private_segment_fixed_size: 0
    .sgpr_count:     58
    .sgpr_spill_count: 0
    .symbol:         _ZN7rocprim17ROCPRIM_400000_NS6detail17trampoline_kernelINS0_14default_configENS1_25partition_config_selectorILNS1_17partition_subalgoE9EllbEEZZNS1_14partition_implILS5_9ELb0ES3_jPlS8_PNS0_10empty_typeENS0_5tupleIJS8_S9_EEENSB_IJS8_SA_EEENS0_18inequality_wrapperIZN2at6native12_GLOBAL__N_124unique_dim_cuda_templateIsEESt5tupleIJNSF_6TensorESK_SK_EERKSK_lbbbEUlllE0_EEPmJS9_EEE10hipError_tPvRmT3_T4_T5_T6_T7_T9_mT8_P12ihipStream_tbDpT10_ENKUlT_T0_E_clISt17integral_constantIbLb0EES19_IbLb1EEEEDaS15_S16_EUlS15_E_NS1_11comp_targetILNS1_3genE0ELNS1_11target_archE4294967295ELNS1_3gpuE0ELNS1_3repE0EEENS1_30default_config_static_selectorELNS0_4arch9wavefront6targetE1EEEvT1_.kd
    .uniform_work_group_size: 1
    .uses_dynamic_stack: false
    .vgpr_count:     60
    .vgpr_spill_count: 0
    .wavefront_size: 64
  - .agpr_count:     0
    .args:
      - .offset:         0
        .size:           136
        .value_kind:     by_value
    .group_segment_fixed_size: 0
    .kernarg_segment_align: 8
    .kernarg_segment_size: 136
    .language:       OpenCL C
    .language_version:
      - 2
      - 0
    .max_flat_workgroup_size: 512
    .name:           _ZN7rocprim17ROCPRIM_400000_NS6detail17trampoline_kernelINS0_14default_configENS1_25partition_config_selectorILNS1_17partition_subalgoE9EllbEEZZNS1_14partition_implILS5_9ELb0ES3_jPlS8_PNS0_10empty_typeENS0_5tupleIJS8_S9_EEENSB_IJS8_SA_EEENS0_18inequality_wrapperIZN2at6native12_GLOBAL__N_124unique_dim_cuda_templateIsEESt5tupleIJNSF_6TensorESK_SK_EERKSK_lbbbEUlllE0_EEPmJS9_EEE10hipError_tPvRmT3_T4_T5_T6_T7_T9_mT8_P12ihipStream_tbDpT10_ENKUlT_T0_E_clISt17integral_constantIbLb0EES19_IbLb1EEEEDaS15_S16_EUlS15_E_NS1_11comp_targetILNS1_3genE5ELNS1_11target_archE942ELNS1_3gpuE9ELNS1_3repE0EEENS1_30default_config_static_selectorELNS0_4arch9wavefront6targetE1EEEvT1_
    .private_segment_fixed_size: 0
    .sgpr_count:     6
    .sgpr_spill_count: 0
    .symbol:         _ZN7rocprim17ROCPRIM_400000_NS6detail17trampoline_kernelINS0_14default_configENS1_25partition_config_selectorILNS1_17partition_subalgoE9EllbEEZZNS1_14partition_implILS5_9ELb0ES3_jPlS8_PNS0_10empty_typeENS0_5tupleIJS8_S9_EEENSB_IJS8_SA_EEENS0_18inequality_wrapperIZN2at6native12_GLOBAL__N_124unique_dim_cuda_templateIsEESt5tupleIJNSF_6TensorESK_SK_EERKSK_lbbbEUlllE0_EEPmJS9_EEE10hipError_tPvRmT3_T4_T5_T6_T7_T9_mT8_P12ihipStream_tbDpT10_ENKUlT_T0_E_clISt17integral_constantIbLb0EES19_IbLb1EEEEDaS15_S16_EUlS15_E_NS1_11comp_targetILNS1_3genE5ELNS1_11target_archE942ELNS1_3gpuE9ELNS1_3repE0EEENS1_30default_config_static_selectorELNS0_4arch9wavefront6targetE1EEEvT1_.kd
    .uniform_work_group_size: 1
    .uses_dynamic_stack: false
    .vgpr_count:     0
    .vgpr_spill_count: 0
    .wavefront_size: 64
  - .agpr_count:     0
    .args:
      - .offset:         0
        .size:           136
        .value_kind:     by_value
    .group_segment_fixed_size: 0
    .kernarg_segment_align: 8
    .kernarg_segment_size: 136
    .language:       OpenCL C
    .language_version:
      - 2
      - 0
    .max_flat_workgroup_size: 128
    .name:           _ZN7rocprim17ROCPRIM_400000_NS6detail17trampoline_kernelINS0_14default_configENS1_25partition_config_selectorILNS1_17partition_subalgoE9EllbEEZZNS1_14partition_implILS5_9ELb0ES3_jPlS8_PNS0_10empty_typeENS0_5tupleIJS8_S9_EEENSB_IJS8_SA_EEENS0_18inequality_wrapperIZN2at6native12_GLOBAL__N_124unique_dim_cuda_templateIsEESt5tupleIJNSF_6TensorESK_SK_EERKSK_lbbbEUlllE0_EEPmJS9_EEE10hipError_tPvRmT3_T4_T5_T6_T7_T9_mT8_P12ihipStream_tbDpT10_ENKUlT_T0_E_clISt17integral_constantIbLb0EES19_IbLb1EEEEDaS15_S16_EUlS15_E_NS1_11comp_targetILNS1_3genE4ELNS1_11target_archE910ELNS1_3gpuE8ELNS1_3repE0EEENS1_30default_config_static_selectorELNS0_4arch9wavefront6targetE1EEEvT1_
    .private_segment_fixed_size: 0
    .sgpr_count:     6
    .sgpr_spill_count: 0
    .symbol:         _ZN7rocprim17ROCPRIM_400000_NS6detail17trampoline_kernelINS0_14default_configENS1_25partition_config_selectorILNS1_17partition_subalgoE9EllbEEZZNS1_14partition_implILS5_9ELb0ES3_jPlS8_PNS0_10empty_typeENS0_5tupleIJS8_S9_EEENSB_IJS8_SA_EEENS0_18inequality_wrapperIZN2at6native12_GLOBAL__N_124unique_dim_cuda_templateIsEESt5tupleIJNSF_6TensorESK_SK_EERKSK_lbbbEUlllE0_EEPmJS9_EEE10hipError_tPvRmT3_T4_T5_T6_T7_T9_mT8_P12ihipStream_tbDpT10_ENKUlT_T0_E_clISt17integral_constantIbLb0EES19_IbLb1EEEEDaS15_S16_EUlS15_E_NS1_11comp_targetILNS1_3genE4ELNS1_11target_archE910ELNS1_3gpuE8ELNS1_3repE0EEENS1_30default_config_static_selectorELNS0_4arch9wavefront6targetE1EEEvT1_.kd
    .uniform_work_group_size: 1
    .uses_dynamic_stack: false
    .vgpr_count:     0
    .vgpr_spill_count: 0
    .wavefront_size: 64
  - .agpr_count:     0
    .args:
      - .offset:         0
        .size:           136
        .value_kind:     by_value
    .group_segment_fixed_size: 0
    .kernarg_segment_align: 8
    .kernarg_segment_size: 136
    .language:       OpenCL C
    .language_version:
      - 2
      - 0
    .max_flat_workgroup_size: 128
    .name:           _ZN7rocprim17ROCPRIM_400000_NS6detail17trampoline_kernelINS0_14default_configENS1_25partition_config_selectorILNS1_17partition_subalgoE9EllbEEZZNS1_14partition_implILS5_9ELb0ES3_jPlS8_PNS0_10empty_typeENS0_5tupleIJS8_S9_EEENSB_IJS8_SA_EEENS0_18inequality_wrapperIZN2at6native12_GLOBAL__N_124unique_dim_cuda_templateIsEESt5tupleIJNSF_6TensorESK_SK_EERKSK_lbbbEUlllE0_EEPmJS9_EEE10hipError_tPvRmT3_T4_T5_T6_T7_T9_mT8_P12ihipStream_tbDpT10_ENKUlT_T0_E_clISt17integral_constantIbLb0EES19_IbLb1EEEEDaS15_S16_EUlS15_E_NS1_11comp_targetILNS1_3genE3ELNS1_11target_archE908ELNS1_3gpuE7ELNS1_3repE0EEENS1_30default_config_static_selectorELNS0_4arch9wavefront6targetE1EEEvT1_
    .private_segment_fixed_size: 0
    .sgpr_count:     6
    .sgpr_spill_count: 0
    .symbol:         _ZN7rocprim17ROCPRIM_400000_NS6detail17trampoline_kernelINS0_14default_configENS1_25partition_config_selectorILNS1_17partition_subalgoE9EllbEEZZNS1_14partition_implILS5_9ELb0ES3_jPlS8_PNS0_10empty_typeENS0_5tupleIJS8_S9_EEENSB_IJS8_SA_EEENS0_18inequality_wrapperIZN2at6native12_GLOBAL__N_124unique_dim_cuda_templateIsEESt5tupleIJNSF_6TensorESK_SK_EERKSK_lbbbEUlllE0_EEPmJS9_EEE10hipError_tPvRmT3_T4_T5_T6_T7_T9_mT8_P12ihipStream_tbDpT10_ENKUlT_T0_E_clISt17integral_constantIbLb0EES19_IbLb1EEEEDaS15_S16_EUlS15_E_NS1_11comp_targetILNS1_3genE3ELNS1_11target_archE908ELNS1_3gpuE7ELNS1_3repE0EEENS1_30default_config_static_selectorELNS0_4arch9wavefront6targetE1EEEvT1_.kd
    .uniform_work_group_size: 1
    .uses_dynamic_stack: false
    .vgpr_count:     0
    .vgpr_spill_count: 0
    .wavefront_size: 64
  - .agpr_count:     0
    .args:
      - .offset:         0
        .size:           136
        .value_kind:     by_value
    .group_segment_fixed_size: 0
    .kernarg_segment_align: 8
    .kernarg_segment_size: 136
    .language:       OpenCL C
    .language_version:
      - 2
      - 0
    .max_flat_workgroup_size: 192
    .name:           _ZN7rocprim17ROCPRIM_400000_NS6detail17trampoline_kernelINS0_14default_configENS1_25partition_config_selectorILNS1_17partition_subalgoE9EllbEEZZNS1_14partition_implILS5_9ELb0ES3_jPlS8_PNS0_10empty_typeENS0_5tupleIJS8_S9_EEENSB_IJS8_SA_EEENS0_18inequality_wrapperIZN2at6native12_GLOBAL__N_124unique_dim_cuda_templateIsEESt5tupleIJNSF_6TensorESK_SK_EERKSK_lbbbEUlllE0_EEPmJS9_EEE10hipError_tPvRmT3_T4_T5_T6_T7_T9_mT8_P12ihipStream_tbDpT10_ENKUlT_T0_E_clISt17integral_constantIbLb0EES19_IbLb1EEEEDaS15_S16_EUlS15_E_NS1_11comp_targetILNS1_3genE2ELNS1_11target_archE906ELNS1_3gpuE6ELNS1_3repE0EEENS1_30default_config_static_selectorELNS0_4arch9wavefront6targetE1EEEvT1_
    .private_segment_fixed_size: 0
    .sgpr_count:     6
    .sgpr_spill_count: 0
    .symbol:         _ZN7rocprim17ROCPRIM_400000_NS6detail17trampoline_kernelINS0_14default_configENS1_25partition_config_selectorILNS1_17partition_subalgoE9EllbEEZZNS1_14partition_implILS5_9ELb0ES3_jPlS8_PNS0_10empty_typeENS0_5tupleIJS8_S9_EEENSB_IJS8_SA_EEENS0_18inequality_wrapperIZN2at6native12_GLOBAL__N_124unique_dim_cuda_templateIsEESt5tupleIJNSF_6TensorESK_SK_EERKSK_lbbbEUlllE0_EEPmJS9_EEE10hipError_tPvRmT3_T4_T5_T6_T7_T9_mT8_P12ihipStream_tbDpT10_ENKUlT_T0_E_clISt17integral_constantIbLb0EES19_IbLb1EEEEDaS15_S16_EUlS15_E_NS1_11comp_targetILNS1_3genE2ELNS1_11target_archE906ELNS1_3gpuE6ELNS1_3repE0EEENS1_30default_config_static_selectorELNS0_4arch9wavefront6targetE1EEEvT1_.kd
    .uniform_work_group_size: 1
    .uses_dynamic_stack: false
    .vgpr_count:     0
    .vgpr_spill_count: 0
    .wavefront_size: 64
  - .agpr_count:     0
    .args:
      - .offset:         0
        .size:           136
        .value_kind:     by_value
    .group_segment_fixed_size: 0
    .kernarg_segment_align: 8
    .kernarg_segment_size: 136
    .language:       OpenCL C
    .language_version:
      - 2
      - 0
    .max_flat_workgroup_size: 384
    .name:           _ZN7rocprim17ROCPRIM_400000_NS6detail17trampoline_kernelINS0_14default_configENS1_25partition_config_selectorILNS1_17partition_subalgoE9EllbEEZZNS1_14partition_implILS5_9ELb0ES3_jPlS8_PNS0_10empty_typeENS0_5tupleIJS8_S9_EEENSB_IJS8_SA_EEENS0_18inequality_wrapperIZN2at6native12_GLOBAL__N_124unique_dim_cuda_templateIsEESt5tupleIJNSF_6TensorESK_SK_EERKSK_lbbbEUlllE0_EEPmJS9_EEE10hipError_tPvRmT3_T4_T5_T6_T7_T9_mT8_P12ihipStream_tbDpT10_ENKUlT_T0_E_clISt17integral_constantIbLb0EES19_IbLb1EEEEDaS15_S16_EUlS15_E_NS1_11comp_targetILNS1_3genE10ELNS1_11target_archE1200ELNS1_3gpuE4ELNS1_3repE0EEENS1_30default_config_static_selectorELNS0_4arch9wavefront6targetE1EEEvT1_
    .private_segment_fixed_size: 0
    .sgpr_count:     6
    .sgpr_spill_count: 0
    .symbol:         _ZN7rocprim17ROCPRIM_400000_NS6detail17trampoline_kernelINS0_14default_configENS1_25partition_config_selectorILNS1_17partition_subalgoE9EllbEEZZNS1_14partition_implILS5_9ELb0ES3_jPlS8_PNS0_10empty_typeENS0_5tupleIJS8_S9_EEENSB_IJS8_SA_EEENS0_18inequality_wrapperIZN2at6native12_GLOBAL__N_124unique_dim_cuda_templateIsEESt5tupleIJNSF_6TensorESK_SK_EERKSK_lbbbEUlllE0_EEPmJS9_EEE10hipError_tPvRmT3_T4_T5_T6_T7_T9_mT8_P12ihipStream_tbDpT10_ENKUlT_T0_E_clISt17integral_constantIbLb0EES19_IbLb1EEEEDaS15_S16_EUlS15_E_NS1_11comp_targetILNS1_3genE10ELNS1_11target_archE1200ELNS1_3gpuE4ELNS1_3repE0EEENS1_30default_config_static_selectorELNS0_4arch9wavefront6targetE1EEEvT1_.kd
    .uniform_work_group_size: 1
    .uses_dynamic_stack: false
    .vgpr_count:     0
    .vgpr_spill_count: 0
    .wavefront_size: 64
  - .agpr_count:     0
    .args:
      - .offset:         0
        .size:           136
        .value_kind:     by_value
    .group_segment_fixed_size: 0
    .kernarg_segment_align: 8
    .kernarg_segment_size: 136
    .language:       OpenCL C
    .language_version:
      - 2
      - 0
    .max_flat_workgroup_size: 512
    .name:           _ZN7rocprim17ROCPRIM_400000_NS6detail17trampoline_kernelINS0_14default_configENS1_25partition_config_selectorILNS1_17partition_subalgoE9EllbEEZZNS1_14partition_implILS5_9ELb0ES3_jPlS8_PNS0_10empty_typeENS0_5tupleIJS8_S9_EEENSB_IJS8_SA_EEENS0_18inequality_wrapperIZN2at6native12_GLOBAL__N_124unique_dim_cuda_templateIsEESt5tupleIJNSF_6TensorESK_SK_EERKSK_lbbbEUlllE0_EEPmJS9_EEE10hipError_tPvRmT3_T4_T5_T6_T7_T9_mT8_P12ihipStream_tbDpT10_ENKUlT_T0_E_clISt17integral_constantIbLb0EES19_IbLb1EEEEDaS15_S16_EUlS15_E_NS1_11comp_targetILNS1_3genE9ELNS1_11target_archE1100ELNS1_3gpuE3ELNS1_3repE0EEENS1_30default_config_static_selectorELNS0_4arch9wavefront6targetE1EEEvT1_
    .private_segment_fixed_size: 0
    .sgpr_count:     6
    .sgpr_spill_count: 0
    .symbol:         _ZN7rocprim17ROCPRIM_400000_NS6detail17trampoline_kernelINS0_14default_configENS1_25partition_config_selectorILNS1_17partition_subalgoE9EllbEEZZNS1_14partition_implILS5_9ELb0ES3_jPlS8_PNS0_10empty_typeENS0_5tupleIJS8_S9_EEENSB_IJS8_SA_EEENS0_18inequality_wrapperIZN2at6native12_GLOBAL__N_124unique_dim_cuda_templateIsEESt5tupleIJNSF_6TensorESK_SK_EERKSK_lbbbEUlllE0_EEPmJS9_EEE10hipError_tPvRmT3_T4_T5_T6_T7_T9_mT8_P12ihipStream_tbDpT10_ENKUlT_T0_E_clISt17integral_constantIbLb0EES19_IbLb1EEEEDaS15_S16_EUlS15_E_NS1_11comp_targetILNS1_3genE9ELNS1_11target_archE1100ELNS1_3gpuE3ELNS1_3repE0EEENS1_30default_config_static_selectorELNS0_4arch9wavefront6targetE1EEEvT1_.kd
    .uniform_work_group_size: 1
    .uses_dynamic_stack: false
    .vgpr_count:     0
    .vgpr_spill_count: 0
    .wavefront_size: 64
  - .agpr_count:     0
    .args:
      - .offset:         0
        .size:           136
        .value_kind:     by_value
    .group_segment_fixed_size: 0
    .kernarg_segment_align: 8
    .kernarg_segment_size: 136
    .language:       OpenCL C
    .language_version:
      - 2
      - 0
    .max_flat_workgroup_size: 512
    .name:           _ZN7rocprim17ROCPRIM_400000_NS6detail17trampoline_kernelINS0_14default_configENS1_25partition_config_selectorILNS1_17partition_subalgoE9EllbEEZZNS1_14partition_implILS5_9ELb0ES3_jPlS8_PNS0_10empty_typeENS0_5tupleIJS8_S9_EEENSB_IJS8_SA_EEENS0_18inequality_wrapperIZN2at6native12_GLOBAL__N_124unique_dim_cuda_templateIsEESt5tupleIJNSF_6TensorESK_SK_EERKSK_lbbbEUlllE0_EEPmJS9_EEE10hipError_tPvRmT3_T4_T5_T6_T7_T9_mT8_P12ihipStream_tbDpT10_ENKUlT_T0_E_clISt17integral_constantIbLb0EES19_IbLb1EEEEDaS15_S16_EUlS15_E_NS1_11comp_targetILNS1_3genE8ELNS1_11target_archE1030ELNS1_3gpuE2ELNS1_3repE0EEENS1_30default_config_static_selectorELNS0_4arch9wavefront6targetE1EEEvT1_
    .private_segment_fixed_size: 0
    .sgpr_count:     6
    .sgpr_spill_count: 0
    .symbol:         _ZN7rocprim17ROCPRIM_400000_NS6detail17trampoline_kernelINS0_14default_configENS1_25partition_config_selectorILNS1_17partition_subalgoE9EllbEEZZNS1_14partition_implILS5_9ELb0ES3_jPlS8_PNS0_10empty_typeENS0_5tupleIJS8_S9_EEENSB_IJS8_SA_EEENS0_18inequality_wrapperIZN2at6native12_GLOBAL__N_124unique_dim_cuda_templateIsEESt5tupleIJNSF_6TensorESK_SK_EERKSK_lbbbEUlllE0_EEPmJS9_EEE10hipError_tPvRmT3_T4_T5_T6_T7_T9_mT8_P12ihipStream_tbDpT10_ENKUlT_T0_E_clISt17integral_constantIbLb0EES19_IbLb1EEEEDaS15_S16_EUlS15_E_NS1_11comp_targetILNS1_3genE8ELNS1_11target_archE1030ELNS1_3gpuE2ELNS1_3repE0EEENS1_30default_config_static_selectorELNS0_4arch9wavefront6targetE1EEEvT1_.kd
    .uniform_work_group_size: 1
    .uses_dynamic_stack: false
    .vgpr_count:     0
    .vgpr_spill_count: 0
    .wavefront_size: 64
  - .agpr_count:     0
    .args:
      - .offset:         0
        .size:           72
        .value_kind:     by_value
      - .offset:         72
        .size:           4
        .value_kind:     hidden_block_count_x
      - .offset:         76
        .size:           4
        .value_kind:     hidden_block_count_y
      - .offset:         80
        .size:           4
        .value_kind:     hidden_block_count_z
      - .offset:         84
        .size:           2
        .value_kind:     hidden_group_size_x
      - .offset:         86
        .size:           2
        .value_kind:     hidden_group_size_y
      - .offset:         88
        .size:           2
        .value_kind:     hidden_group_size_z
      - .offset:         90
        .size:           2
        .value_kind:     hidden_remainder_x
      - .offset:         92
        .size:           2
        .value_kind:     hidden_remainder_y
      - .offset:         94
        .size:           2
        .value_kind:     hidden_remainder_z
      - .offset:         112
        .size:           8
        .value_kind:     hidden_global_offset_x
      - .offset:         120
        .size:           8
        .value_kind:     hidden_global_offset_y
      - .offset:         128
        .size:           8
        .value_kind:     hidden_global_offset_z
      - .offset:         136
        .size:           2
        .value_kind:     hidden_grid_dims
    .group_segment_fixed_size: 16896
    .kernarg_segment_align: 8
    .kernarg_segment_size: 328
    .language:       OpenCL C
    .language_version:
      - 2
      - 0
    .max_flat_workgroup_size: 256
    .name:           _ZN7rocprim17ROCPRIM_400000_NS6detail17trampoline_kernelINS0_14default_configENS1_37merge_sort_block_sort_config_selectorIlNS0_10empty_typeEEEZNS1_21merge_sort_block_sortIS3_PlS8_PS5_S9_ZN2at6native12_GLOBAL__N_124unique_dim_cuda_templateIdEESt5tupleIJNSA_6TensorESF_SF_EERKSF_lbbbEUlllE_EE10hipError_tT0_T1_T2_T3_mRjT4_P12ihipStream_tbNS1_7vsmem_tEEUlT_E_NS1_11comp_targetILNS1_3genE0ELNS1_11target_archE4294967295ELNS1_3gpuE0ELNS1_3repE0EEENS1_30default_config_static_selectorELNS0_4arch9wavefront6targetE1EEEvSM_
    .private_segment_fixed_size: 0
    .sgpr_count:     78
    .sgpr_spill_count: 0
    .symbol:         _ZN7rocprim17ROCPRIM_400000_NS6detail17trampoline_kernelINS0_14default_configENS1_37merge_sort_block_sort_config_selectorIlNS0_10empty_typeEEEZNS1_21merge_sort_block_sortIS3_PlS8_PS5_S9_ZN2at6native12_GLOBAL__N_124unique_dim_cuda_templateIdEESt5tupleIJNSA_6TensorESF_SF_EERKSF_lbbbEUlllE_EE10hipError_tT0_T1_T2_T3_mRjT4_P12ihipStream_tbNS1_7vsmem_tEEUlT_E_NS1_11comp_targetILNS1_3genE0ELNS1_11target_archE4294967295ELNS1_3gpuE0ELNS1_3repE0EEENS1_30default_config_static_selectorELNS0_4arch9wavefront6targetE1EEEvSM_.kd
    .uniform_work_group_size: 1
    .uses_dynamic_stack: false
    .vgpr_count:     58
    .vgpr_spill_count: 0
    .wavefront_size: 64
  - .agpr_count:     0
    .args:
      - .offset:         0
        .size:           72
        .value_kind:     by_value
    .group_segment_fixed_size: 0
    .kernarg_segment_align: 8
    .kernarg_segment_size: 72
    .language:       OpenCL C
    .language_version:
      - 2
      - 0
    .max_flat_workgroup_size: 256
    .name:           _ZN7rocprim17ROCPRIM_400000_NS6detail17trampoline_kernelINS0_14default_configENS1_37merge_sort_block_sort_config_selectorIlNS0_10empty_typeEEEZNS1_21merge_sort_block_sortIS3_PlS8_PS5_S9_ZN2at6native12_GLOBAL__N_124unique_dim_cuda_templateIdEESt5tupleIJNSA_6TensorESF_SF_EERKSF_lbbbEUlllE_EE10hipError_tT0_T1_T2_T3_mRjT4_P12ihipStream_tbNS1_7vsmem_tEEUlT_E_NS1_11comp_targetILNS1_3genE5ELNS1_11target_archE942ELNS1_3gpuE9ELNS1_3repE0EEENS1_30default_config_static_selectorELNS0_4arch9wavefront6targetE1EEEvSM_
    .private_segment_fixed_size: 0
    .sgpr_count:     6
    .sgpr_spill_count: 0
    .symbol:         _ZN7rocprim17ROCPRIM_400000_NS6detail17trampoline_kernelINS0_14default_configENS1_37merge_sort_block_sort_config_selectorIlNS0_10empty_typeEEEZNS1_21merge_sort_block_sortIS3_PlS8_PS5_S9_ZN2at6native12_GLOBAL__N_124unique_dim_cuda_templateIdEESt5tupleIJNSA_6TensorESF_SF_EERKSF_lbbbEUlllE_EE10hipError_tT0_T1_T2_T3_mRjT4_P12ihipStream_tbNS1_7vsmem_tEEUlT_E_NS1_11comp_targetILNS1_3genE5ELNS1_11target_archE942ELNS1_3gpuE9ELNS1_3repE0EEENS1_30default_config_static_selectorELNS0_4arch9wavefront6targetE1EEEvSM_.kd
    .uniform_work_group_size: 1
    .uses_dynamic_stack: false
    .vgpr_count:     0
    .vgpr_spill_count: 0
    .wavefront_size: 64
  - .agpr_count:     0
    .args:
      - .offset:         0
        .size:           72
        .value_kind:     by_value
    .group_segment_fixed_size: 0
    .kernarg_segment_align: 8
    .kernarg_segment_size: 72
    .language:       OpenCL C
    .language_version:
      - 2
      - 0
    .max_flat_workgroup_size: 256
    .name:           _ZN7rocprim17ROCPRIM_400000_NS6detail17trampoline_kernelINS0_14default_configENS1_37merge_sort_block_sort_config_selectorIlNS0_10empty_typeEEEZNS1_21merge_sort_block_sortIS3_PlS8_PS5_S9_ZN2at6native12_GLOBAL__N_124unique_dim_cuda_templateIdEESt5tupleIJNSA_6TensorESF_SF_EERKSF_lbbbEUlllE_EE10hipError_tT0_T1_T2_T3_mRjT4_P12ihipStream_tbNS1_7vsmem_tEEUlT_E_NS1_11comp_targetILNS1_3genE4ELNS1_11target_archE910ELNS1_3gpuE8ELNS1_3repE0EEENS1_30default_config_static_selectorELNS0_4arch9wavefront6targetE1EEEvSM_
    .private_segment_fixed_size: 0
    .sgpr_count:     6
    .sgpr_spill_count: 0
    .symbol:         _ZN7rocprim17ROCPRIM_400000_NS6detail17trampoline_kernelINS0_14default_configENS1_37merge_sort_block_sort_config_selectorIlNS0_10empty_typeEEEZNS1_21merge_sort_block_sortIS3_PlS8_PS5_S9_ZN2at6native12_GLOBAL__N_124unique_dim_cuda_templateIdEESt5tupleIJNSA_6TensorESF_SF_EERKSF_lbbbEUlllE_EE10hipError_tT0_T1_T2_T3_mRjT4_P12ihipStream_tbNS1_7vsmem_tEEUlT_E_NS1_11comp_targetILNS1_3genE4ELNS1_11target_archE910ELNS1_3gpuE8ELNS1_3repE0EEENS1_30default_config_static_selectorELNS0_4arch9wavefront6targetE1EEEvSM_.kd
    .uniform_work_group_size: 1
    .uses_dynamic_stack: false
    .vgpr_count:     0
    .vgpr_spill_count: 0
    .wavefront_size: 64
  - .agpr_count:     0
    .args:
      - .offset:         0
        .size:           72
        .value_kind:     by_value
    .group_segment_fixed_size: 0
    .kernarg_segment_align: 8
    .kernarg_segment_size: 72
    .language:       OpenCL C
    .language_version:
      - 2
      - 0
    .max_flat_workgroup_size: 256
    .name:           _ZN7rocprim17ROCPRIM_400000_NS6detail17trampoline_kernelINS0_14default_configENS1_37merge_sort_block_sort_config_selectorIlNS0_10empty_typeEEEZNS1_21merge_sort_block_sortIS3_PlS8_PS5_S9_ZN2at6native12_GLOBAL__N_124unique_dim_cuda_templateIdEESt5tupleIJNSA_6TensorESF_SF_EERKSF_lbbbEUlllE_EE10hipError_tT0_T1_T2_T3_mRjT4_P12ihipStream_tbNS1_7vsmem_tEEUlT_E_NS1_11comp_targetILNS1_3genE3ELNS1_11target_archE908ELNS1_3gpuE7ELNS1_3repE0EEENS1_30default_config_static_selectorELNS0_4arch9wavefront6targetE1EEEvSM_
    .private_segment_fixed_size: 0
    .sgpr_count:     6
    .sgpr_spill_count: 0
    .symbol:         _ZN7rocprim17ROCPRIM_400000_NS6detail17trampoline_kernelINS0_14default_configENS1_37merge_sort_block_sort_config_selectorIlNS0_10empty_typeEEEZNS1_21merge_sort_block_sortIS3_PlS8_PS5_S9_ZN2at6native12_GLOBAL__N_124unique_dim_cuda_templateIdEESt5tupleIJNSA_6TensorESF_SF_EERKSF_lbbbEUlllE_EE10hipError_tT0_T1_T2_T3_mRjT4_P12ihipStream_tbNS1_7vsmem_tEEUlT_E_NS1_11comp_targetILNS1_3genE3ELNS1_11target_archE908ELNS1_3gpuE7ELNS1_3repE0EEENS1_30default_config_static_selectorELNS0_4arch9wavefront6targetE1EEEvSM_.kd
    .uniform_work_group_size: 1
    .uses_dynamic_stack: false
    .vgpr_count:     0
    .vgpr_spill_count: 0
    .wavefront_size: 64
  - .agpr_count:     0
    .args:
      - .offset:         0
        .size:           72
        .value_kind:     by_value
    .group_segment_fixed_size: 0
    .kernarg_segment_align: 8
    .kernarg_segment_size: 72
    .language:       OpenCL C
    .language_version:
      - 2
      - 0
    .max_flat_workgroup_size: 256
    .name:           _ZN7rocprim17ROCPRIM_400000_NS6detail17trampoline_kernelINS0_14default_configENS1_37merge_sort_block_sort_config_selectorIlNS0_10empty_typeEEEZNS1_21merge_sort_block_sortIS3_PlS8_PS5_S9_ZN2at6native12_GLOBAL__N_124unique_dim_cuda_templateIdEESt5tupleIJNSA_6TensorESF_SF_EERKSF_lbbbEUlllE_EE10hipError_tT0_T1_T2_T3_mRjT4_P12ihipStream_tbNS1_7vsmem_tEEUlT_E_NS1_11comp_targetILNS1_3genE2ELNS1_11target_archE906ELNS1_3gpuE6ELNS1_3repE0EEENS1_30default_config_static_selectorELNS0_4arch9wavefront6targetE1EEEvSM_
    .private_segment_fixed_size: 0
    .sgpr_count:     6
    .sgpr_spill_count: 0
    .symbol:         _ZN7rocprim17ROCPRIM_400000_NS6detail17trampoline_kernelINS0_14default_configENS1_37merge_sort_block_sort_config_selectorIlNS0_10empty_typeEEEZNS1_21merge_sort_block_sortIS3_PlS8_PS5_S9_ZN2at6native12_GLOBAL__N_124unique_dim_cuda_templateIdEESt5tupleIJNSA_6TensorESF_SF_EERKSF_lbbbEUlllE_EE10hipError_tT0_T1_T2_T3_mRjT4_P12ihipStream_tbNS1_7vsmem_tEEUlT_E_NS1_11comp_targetILNS1_3genE2ELNS1_11target_archE906ELNS1_3gpuE6ELNS1_3repE0EEENS1_30default_config_static_selectorELNS0_4arch9wavefront6targetE1EEEvSM_.kd
    .uniform_work_group_size: 1
    .uses_dynamic_stack: false
    .vgpr_count:     0
    .vgpr_spill_count: 0
    .wavefront_size: 64
  - .agpr_count:     0
    .args:
      - .offset:         0
        .size:           72
        .value_kind:     by_value
    .group_segment_fixed_size: 0
    .kernarg_segment_align: 8
    .kernarg_segment_size: 72
    .language:       OpenCL C
    .language_version:
      - 2
      - 0
    .max_flat_workgroup_size: 256
    .name:           _ZN7rocprim17ROCPRIM_400000_NS6detail17trampoline_kernelINS0_14default_configENS1_37merge_sort_block_sort_config_selectorIlNS0_10empty_typeEEEZNS1_21merge_sort_block_sortIS3_PlS8_PS5_S9_ZN2at6native12_GLOBAL__N_124unique_dim_cuda_templateIdEESt5tupleIJNSA_6TensorESF_SF_EERKSF_lbbbEUlllE_EE10hipError_tT0_T1_T2_T3_mRjT4_P12ihipStream_tbNS1_7vsmem_tEEUlT_E_NS1_11comp_targetILNS1_3genE10ELNS1_11target_archE1201ELNS1_3gpuE5ELNS1_3repE0EEENS1_30default_config_static_selectorELNS0_4arch9wavefront6targetE1EEEvSM_
    .private_segment_fixed_size: 0
    .sgpr_count:     6
    .sgpr_spill_count: 0
    .symbol:         _ZN7rocprim17ROCPRIM_400000_NS6detail17trampoline_kernelINS0_14default_configENS1_37merge_sort_block_sort_config_selectorIlNS0_10empty_typeEEEZNS1_21merge_sort_block_sortIS3_PlS8_PS5_S9_ZN2at6native12_GLOBAL__N_124unique_dim_cuda_templateIdEESt5tupleIJNSA_6TensorESF_SF_EERKSF_lbbbEUlllE_EE10hipError_tT0_T1_T2_T3_mRjT4_P12ihipStream_tbNS1_7vsmem_tEEUlT_E_NS1_11comp_targetILNS1_3genE10ELNS1_11target_archE1201ELNS1_3gpuE5ELNS1_3repE0EEENS1_30default_config_static_selectorELNS0_4arch9wavefront6targetE1EEEvSM_.kd
    .uniform_work_group_size: 1
    .uses_dynamic_stack: false
    .vgpr_count:     0
    .vgpr_spill_count: 0
    .wavefront_size: 64
  - .agpr_count:     0
    .args:
      - .offset:         0
        .size:           72
        .value_kind:     by_value
    .group_segment_fixed_size: 0
    .kernarg_segment_align: 8
    .kernarg_segment_size: 72
    .language:       OpenCL C
    .language_version:
      - 2
      - 0
    .max_flat_workgroup_size: 512
    .name:           _ZN7rocprim17ROCPRIM_400000_NS6detail17trampoline_kernelINS0_14default_configENS1_37merge_sort_block_sort_config_selectorIlNS0_10empty_typeEEEZNS1_21merge_sort_block_sortIS3_PlS8_PS5_S9_ZN2at6native12_GLOBAL__N_124unique_dim_cuda_templateIdEESt5tupleIJNSA_6TensorESF_SF_EERKSF_lbbbEUlllE_EE10hipError_tT0_T1_T2_T3_mRjT4_P12ihipStream_tbNS1_7vsmem_tEEUlT_E_NS1_11comp_targetILNS1_3genE10ELNS1_11target_archE1200ELNS1_3gpuE4ELNS1_3repE0EEENS1_30default_config_static_selectorELNS0_4arch9wavefront6targetE1EEEvSM_
    .private_segment_fixed_size: 0
    .sgpr_count:     6
    .sgpr_spill_count: 0
    .symbol:         _ZN7rocprim17ROCPRIM_400000_NS6detail17trampoline_kernelINS0_14default_configENS1_37merge_sort_block_sort_config_selectorIlNS0_10empty_typeEEEZNS1_21merge_sort_block_sortIS3_PlS8_PS5_S9_ZN2at6native12_GLOBAL__N_124unique_dim_cuda_templateIdEESt5tupleIJNSA_6TensorESF_SF_EERKSF_lbbbEUlllE_EE10hipError_tT0_T1_T2_T3_mRjT4_P12ihipStream_tbNS1_7vsmem_tEEUlT_E_NS1_11comp_targetILNS1_3genE10ELNS1_11target_archE1200ELNS1_3gpuE4ELNS1_3repE0EEENS1_30default_config_static_selectorELNS0_4arch9wavefront6targetE1EEEvSM_.kd
    .uniform_work_group_size: 1
    .uses_dynamic_stack: false
    .vgpr_count:     0
    .vgpr_spill_count: 0
    .wavefront_size: 64
  - .agpr_count:     0
    .args:
      - .offset:         0
        .size:           72
        .value_kind:     by_value
    .group_segment_fixed_size: 0
    .kernarg_segment_align: 8
    .kernarg_segment_size: 72
    .language:       OpenCL C
    .language_version:
      - 2
      - 0
    .max_flat_workgroup_size: 256
    .name:           _ZN7rocprim17ROCPRIM_400000_NS6detail17trampoline_kernelINS0_14default_configENS1_37merge_sort_block_sort_config_selectorIlNS0_10empty_typeEEEZNS1_21merge_sort_block_sortIS3_PlS8_PS5_S9_ZN2at6native12_GLOBAL__N_124unique_dim_cuda_templateIdEESt5tupleIJNSA_6TensorESF_SF_EERKSF_lbbbEUlllE_EE10hipError_tT0_T1_T2_T3_mRjT4_P12ihipStream_tbNS1_7vsmem_tEEUlT_E_NS1_11comp_targetILNS1_3genE9ELNS1_11target_archE1100ELNS1_3gpuE3ELNS1_3repE0EEENS1_30default_config_static_selectorELNS0_4arch9wavefront6targetE1EEEvSM_
    .private_segment_fixed_size: 0
    .sgpr_count:     6
    .sgpr_spill_count: 0
    .symbol:         _ZN7rocprim17ROCPRIM_400000_NS6detail17trampoline_kernelINS0_14default_configENS1_37merge_sort_block_sort_config_selectorIlNS0_10empty_typeEEEZNS1_21merge_sort_block_sortIS3_PlS8_PS5_S9_ZN2at6native12_GLOBAL__N_124unique_dim_cuda_templateIdEESt5tupleIJNSA_6TensorESF_SF_EERKSF_lbbbEUlllE_EE10hipError_tT0_T1_T2_T3_mRjT4_P12ihipStream_tbNS1_7vsmem_tEEUlT_E_NS1_11comp_targetILNS1_3genE9ELNS1_11target_archE1100ELNS1_3gpuE3ELNS1_3repE0EEENS1_30default_config_static_selectorELNS0_4arch9wavefront6targetE1EEEvSM_.kd
    .uniform_work_group_size: 1
    .uses_dynamic_stack: false
    .vgpr_count:     0
    .vgpr_spill_count: 0
    .wavefront_size: 64
  - .agpr_count:     0
    .args:
      - .offset:         0
        .size:           72
        .value_kind:     by_value
    .group_segment_fixed_size: 0
    .kernarg_segment_align: 8
    .kernarg_segment_size: 72
    .language:       OpenCL C
    .language_version:
      - 2
      - 0
    .max_flat_workgroup_size: 256
    .name:           _ZN7rocprim17ROCPRIM_400000_NS6detail17trampoline_kernelINS0_14default_configENS1_37merge_sort_block_sort_config_selectorIlNS0_10empty_typeEEEZNS1_21merge_sort_block_sortIS3_PlS8_PS5_S9_ZN2at6native12_GLOBAL__N_124unique_dim_cuda_templateIdEESt5tupleIJNSA_6TensorESF_SF_EERKSF_lbbbEUlllE_EE10hipError_tT0_T1_T2_T3_mRjT4_P12ihipStream_tbNS1_7vsmem_tEEUlT_E_NS1_11comp_targetILNS1_3genE8ELNS1_11target_archE1030ELNS1_3gpuE2ELNS1_3repE0EEENS1_30default_config_static_selectorELNS0_4arch9wavefront6targetE1EEEvSM_
    .private_segment_fixed_size: 0
    .sgpr_count:     6
    .sgpr_spill_count: 0
    .symbol:         _ZN7rocprim17ROCPRIM_400000_NS6detail17trampoline_kernelINS0_14default_configENS1_37merge_sort_block_sort_config_selectorIlNS0_10empty_typeEEEZNS1_21merge_sort_block_sortIS3_PlS8_PS5_S9_ZN2at6native12_GLOBAL__N_124unique_dim_cuda_templateIdEESt5tupleIJNSA_6TensorESF_SF_EERKSF_lbbbEUlllE_EE10hipError_tT0_T1_T2_T3_mRjT4_P12ihipStream_tbNS1_7vsmem_tEEUlT_E_NS1_11comp_targetILNS1_3genE8ELNS1_11target_archE1030ELNS1_3gpuE2ELNS1_3repE0EEENS1_30default_config_static_selectorELNS0_4arch9wavefront6targetE1EEEvSM_.kd
    .uniform_work_group_size: 1
    .uses_dynamic_stack: false
    .vgpr_count:     0
    .vgpr_spill_count: 0
    .wavefront_size: 64
  - .agpr_count:     0
    .args:
      - .offset:         0
        .size:           56
        .value_kind:     by_value
    .group_segment_fixed_size: 0
    .kernarg_segment_align: 8
    .kernarg_segment_size: 56
    .language:       OpenCL C
    .language_version:
      - 2
      - 0
    .max_flat_workgroup_size: 128
    .name:           _ZN7rocprim17ROCPRIM_400000_NS6detail17trampoline_kernelINS0_14default_configENS1_38merge_sort_block_merge_config_selectorIlNS0_10empty_typeEEEZZNS1_27merge_sort_block_merge_implIS3_PlPS5_mZN2at6native12_GLOBAL__N_124unique_dim_cuda_templateIdEESt5tupleIJNSA_6TensorESF_SF_EERKSF_lbbbEUlllE_EE10hipError_tT0_T1_T2_jT3_P12ihipStream_tbPNSt15iterator_traitsISL_E10value_typeEPNSR_ISM_E10value_typeEPSN_NS1_7vsmem_tEENKUlT_SL_SM_SN_E_clIS8_S8_S9_S9_EESK_S10_SL_SM_SN_EUlS10_E_NS1_11comp_targetILNS1_3genE0ELNS1_11target_archE4294967295ELNS1_3gpuE0ELNS1_3repE0EEENS1_48merge_mergepath_partition_config_static_selectorELNS0_4arch9wavefront6targetE1EEEvSM_
    .private_segment_fixed_size: 0
    .sgpr_count:     38
    .sgpr_spill_count: 0
    .symbol:         _ZN7rocprim17ROCPRIM_400000_NS6detail17trampoline_kernelINS0_14default_configENS1_38merge_sort_block_merge_config_selectorIlNS0_10empty_typeEEEZZNS1_27merge_sort_block_merge_implIS3_PlPS5_mZN2at6native12_GLOBAL__N_124unique_dim_cuda_templateIdEESt5tupleIJNSA_6TensorESF_SF_EERKSF_lbbbEUlllE_EE10hipError_tT0_T1_T2_jT3_P12ihipStream_tbPNSt15iterator_traitsISL_E10value_typeEPNSR_ISM_E10value_typeEPSN_NS1_7vsmem_tEENKUlT_SL_SM_SN_E_clIS8_S8_S9_S9_EESK_S10_SL_SM_SN_EUlS10_E_NS1_11comp_targetILNS1_3genE0ELNS1_11target_archE4294967295ELNS1_3gpuE0ELNS1_3repE0EEENS1_48merge_mergepath_partition_config_static_selectorELNS0_4arch9wavefront6targetE1EEEvSM_.kd
    .uniform_work_group_size: 1
    .uses_dynamic_stack: false
    .vgpr_count:     23
    .vgpr_spill_count: 0
    .wavefront_size: 64
  - .agpr_count:     0
    .args:
      - .offset:         0
        .size:           56
        .value_kind:     by_value
    .group_segment_fixed_size: 0
    .kernarg_segment_align: 8
    .kernarg_segment_size: 56
    .language:       OpenCL C
    .language_version:
      - 2
      - 0
    .max_flat_workgroup_size: 128
    .name:           _ZN7rocprim17ROCPRIM_400000_NS6detail17trampoline_kernelINS0_14default_configENS1_38merge_sort_block_merge_config_selectorIlNS0_10empty_typeEEEZZNS1_27merge_sort_block_merge_implIS3_PlPS5_mZN2at6native12_GLOBAL__N_124unique_dim_cuda_templateIdEESt5tupleIJNSA_6TensorESF_SF_EERKSF_lbbbEUlllE_EE10hipError_tT0_T1_T2_jT3_P12ihipStream_tbPNSt15iterator_traitsISL_E10value_typeEPNSR_ISM_E10value_typeEPSN_NS1_7vsmem_tEENKUlT_SL_SM_SN_E_clIS8_S8_S9_S9_EESK_S10_SL_SM_SN_EUlS10_E_NS1_11comp_targetILNS1_3genE10ELNS1_11target_archE1201ELNS1_3gpuE5ELNS1_3repE0EEENS1_48merge_mergepath_partition_config_static_selectorELNS0_4arch9wavefront6targetE1EEEvSM_
    .private_segment_fixed_size: 0
    .sgpr_count:     6
    .sgpr_spill_count: 0
    .symbol:         _ZN7rocprim17ROCPRIM_400000_NS6detail17trampoline_kernelINS0_14default_configENS1_38merge_sort_block_merge_config_selectorIlNS0_10empty_typeEEEZZNS1_27merge_sort_block_merge_implIS3_PlPS5_mZN2at6native12_GLOBAL__N_124unique_dim_cuda_templateIdEESt5tupleIJNSA_6TensorESF_SF_EERKSF_lbbbEUlllE_EE10hipError_tT0_T1_T2_jT3_P12ihipStream_tbPNSt15iterator_traitsISL_E10value_typeEPNSR_ISM_E10value_typeEPSN_NS1_7vsmem_tEENKUlT_SL_SM_SN_E_clIS8_S8_S9_S9_EESK_S10_SL_SM_SN_EUlS10_E_NS1_11comp_targetILNS1_3genE10ELNS1_11target_archE1201ELNS1_3gpuE5ELNS1_3repE0EEENS1_48merge_mergepath_partition_config_static_selectorELNS0_4arch9wavefront6targetE1EEEvSM_.kd
    .uniform_work_group_size: 1
    .uses_dynamic_stack: false
    .vgpr_count:     0
    .vgpr_spill_count: 0
    .wavefront_size: 64
  - .agpr_count:     0
    .args:
      - .offset:         0
        .size:           56
        .value_kind:     by_value
    .group_segment_fixed_size: 0
    .kernarg_segment_align: 8
    .kernarg_segment_size: 56
    .language:       OpenCL C
    .language_version:
      - 2
      - 0
    .max_flat_workgroup_size: 128
    .name:           _ZN7rocprim17ROCPRIM_400000_NS6detail17trampoline_kernelINS0_14default_configENS1_38merge_sort_block_merge_config_selectorIlNS0_10empty_typeEEEZZNS1_27merge_sort_block_merge_implIS3_PlPS5_mZN2at6native12_GLOBAL__N_124unique_dim_cuda_templateIdEESt5tupleIJNSA_6TensorESF_SF_EERKSF_lbbbEUlllE_EE10hipError_tT0_T1_T2_jT3_P12ihipStream_tbPNSt15iterator_traitsISL_E10value_typeEPNSR_ISM_E10value_typeEPSN_NS1_7vsmem_tEENKUlT_SL_SM_SN_E_clIS8_S8_S9_S9_EESK_S10_SL_SM_SN_EUlS10_E_NS1_11comp_targetILNS1_3genE5ELNS1_11target_archE942ELNS1_3gpuE9ELNS1_3repE0EEENS1_48merge_mergepath_partition_config_static_selectorELNS0_4arch9wavefront6targetE1EEEvSM_
    .private_segment_fixed_size: 0
    .sgpr_count:     6
    .sgpr_spill_count: 0
    .symbol:         _ZN7rocprim17ROCPRIM_400000_NS6detail17trampoline_kernelINS0_14default_configENS1_38merge_sort_block_merge_config_selectorIlNS0_10empty_typeEEEZZNS1_27merge_sort_block_merge_implIS3_PlPS5_mZN2at6native12_GLOBAL__N_124unique_dim_cuda_templateIdEESt5tupleIJNSA_6TensorESF_SF_EERKSF_lbbbEUlllE_EE10hipError_tT0_T1_T2_jT3_P12ihipStream_tbPNSt15iterator_traitsISL_E10value_typeEPNSR_ISM_E10value_typeEPSN_NS1_7vsmem_tEENKUlT_SL_SM_SN_E_clIS8_S8_S9_S9_EESK_S10_SL_SM_SN_EUlS10_E_NS1_11comp_targetILNS1_3genE5ELNS1_11target_archE942ELNS1_3gpuE9ELNS1_3repE0EEENS1_48merge_mergepath_partition_config_static_selectorELNS0_4arch9wavefront6targetE1EEEvSM_.kd
    .uniform_work_group_size: 1
    .uses_dynamic_stack: false
    .vgpr_count:     0
    .vgpr_spill_count: 0
    .wavefront_size: 64
  - .agpr_count:     0
    .args:
      - .offset:         0
        .size:           56
        .value_kind:     by_value
    .group_segment_fixed_size: 0
    .kernarg_segment_align: 8
    .kernarg_segment_size: 56
    .language:       OpenCL C
    .language_version:
      - 2
      - 0
    .max_flat_workgroup_size: 128
    .name:           _ZN7rocprim17ROCPRIM_400000_NS6detail17trampoline_kernelINS0_14default_configENS1_38merge_sort_block_merge_config_selectorIlNS0_10empty_typeEEEZZNS1_27merge_sort_block_merge_implIS3_PlPS5_mZN2at6native12_GLOBAL__N_124unique_dim_cuda_templateIdEESt5tupleIJNSA_6TensorESF_SF_EERKSF_lbbbEUlllE_EE10hipError_tT0_T1_T2_jT3_P12ihipStream_tbPNSt15iterator_traitsISL_E10value_typeEPNSR_ISM_E10value_typeEPSN_NS1_7vsmem_tEENKUlT_SL_SM_SN_E_clIS8_S8_S9_S9_EESK_S10_SL_SM_SN_EUlS10_E_NS1_11comp_targetILNS1_3genE4ELNS1_11target_archE910ELNS1_3gpuE8ELNS1_3repE0EEENS1_48merge_mergepath_partition_config_static_selectorELNS0_4arch9wavefront6targetE1EEEvSM_
    .private_segment_fixed_size: 0
    .sgpr_count:     6
    .sgpr_spill_count: 0
    .symbol:         _ZN7rocprim17ROCPRIM_400000_NS6detail17trampoline_kernelINS0_14default_configENS1_38merge_sort_block_merge_config_selectorIlNS0_10empty_typeEEEZZNS1_27merge_sort_block_merge_implIS3_PlPS5_mZN2at6native12_GLOBAL__N_124unique_dim_cuda_templateIdEESt5tupleIJNSA_6TensorESF_SF_EERKSF_lbbbEUlllE_EE10hipError_tT0_T1_T2_jT3_P12ihipStream_tbPNSt15iterator_traitsISL_E10value_typeEPNSR_ISM_E10value_typeEPSN_NS1_7vsmem_tEENKUlT_SL_SM_SN_E_clIS8_S8_S9_S9_EESK_S10_SL_SM_SN_EUlS10_E_NS1_11comp_targetILNS1_3genE4ELNS1_11target_archE910ELNS1_3gpuE8ELNS1_3repE0EEENS1_48merge_mergepath_partition_config_static_selectorELNS0_4arch9wavefront6targetE1EEEvSM_.kd
    .uniform_work_group_size: 1
    .uses_dynamic_stack: false
    .vgpr_count:     0
    .vgpr_spill_count: 0
    .wavefront_size: 64
  - .agpr_count:     0
    .args:
      - .offset:         0
        .size:           56
        .value_kind:     by_value
    .group_segment_fixed_size: 0
    .kernarg_segment_align: 8
    .kernarg_segment_size: 56
    .language:       OpenCL C
    .language_version:
      - 2
      - 0
    .max_flat_workgroup_size: 128
    .name:           _ZN7rocprim17ROCPRIM_400000_NS6detail17trampoline_kernelINS0_14default_configENS1_38merge_sort_block_merge_config_selectorIlNS0_10empty_typeEEEZZNS1_27merge_sort_block_merge_implIS3_PlPS5_mZN2at6native12_GLOBAL__N_124unique_dim_cuda_templateIdEESt5tupleIJNSA_6TensorESF_SF_EERKSF_lbbbEUlllE_EE10hipError_tT0_T1_T2_jT3_P12ihipStream_tbPNSt15iterator_traitsISL_E10value_typeEPNSR_ISM_E10value_typeEPSN_NS1_7vsmem_tEENKUlT_SL_SM_SN_E_clIS8_S8_S9_S9_EESK_S10_SL_SM_SN_EUlS10_E_NS1_11comp_targetILNS1_3genE3ELNS1_11target_archE908ELNS1_3gpuE7ELNS1_3repE0EEENS1_48merge_mergepath_partition_config_static_selectorELNS0_4arch9wavefront6targetE1EEEvSM_
    .private_segment_fixed_size: 0
    .sgpr_count:     6
    .sgpr_spill_count: 0
    .symbol:         _ZN7rocprim17ROCPRIM_400000_NS6detail17trampoline_kernelINS0_14default_configENS1_38merge_sort_block_merge_config_selectorIlNS0_10empty_typeEEEZZNS1_27merge_sort_block_merge_implIS3_PlPS5_mZN2at6native12_GLOBAL__N_124unique_dim_cuda_templateIdEESt5tupleIJNSA_6TensorESF_SF_EERKSF_lbbbEUlllE_EE10hipError_tT0_T1_T2_jT3_P12ihipStream_tbPNSt15iterator_traitsISL_E10value_typeEPNSR_ISM_E10value_typeEPSN_NS1_7vsmem_tEENKUlT_SL_SM_SN_E_clIS8_S8_S9_S9_EESK_S10_SL_SM_SN_EUlS10_E_NS1_11comp_targetILNS1_3genE3ELNS1_11target_archE908ELNS1_3gpuE7ELNS1_3repE0EEENS1_48merge_mergepath_partition_config_static_selectorELNS0_4arch9wavefront6targetE1EEEvSM_.kd
    .uniform_work_group_size: 1
    .uses_dynamic_stack: false
    .vgpr_count:     0
    .vgpr_spill_count: 0
    .wavefront_size: 64
  - .agpr_count:     0
    .args:
      - .offset:         0
        .size:           56
        .value_kind:     by_value
    .group_segment_fixed_size: 0
    .kernarg_segment_align: 8
    .kernarg_segment_size: 56
    .language:       OpenCL C
    .language_version:
      - 2
      - 0
    .max_flat_workgroup_size: 128
    .name:           _ZN7rocprim17ROCPRIM_400000_NS6detail17trampoline_kernelINS0_14default_configENS1_38merge_sort_block_merge_config_selectorIlNS0_10empty_typeEEEZZNS1_27merge_sort_block_merge_implIS3_PlPS5_mZN2at6native12_GLOBAL__N_124unique_dim_cuda_templateIdEESt5tupleIJNSA_6TensorESF_SF_EERKSF_lbbbEUlllE_EE10hipError_tT0_T1_T2_jT3_P12ihipStream_tbPNSt15iterator_traitsISL_E10value_typeEPNSR_ISM_E10value_typeEPSN_NS1_7vsmem_tEENKUlT_SL_SM_SN_E_clIS8_S8_S9_S9_EESK_S10_SL_SM_SN_EUlS10_E_NS1_11comp_targetILNS1_3genE2ELNS1_11target_archE906ELNS1_3gpuE6ELNS1_3repE0EEENS1_48merge_mergepath_partition_config_static_selectorELNS0_4arch9wavefront6targetE1EEEvSM_
    .private_segment_fixed_size: 0
    .sgpr_count:     6
    .sgpr_spill_count: 0
    .symbol:         _ZN7rocprim17ROCPRIM_400000_NS6detail17trampoline_kernelINS0_14default_configENS1_38merge_sort_block_merge_config_selectorIlNS0_10empty_typeEEEZZNS1_27merge_sort_block_merge_implIS3_PlPS5_mZN2at6native12_GLOBAL__N_124unique_dim_cuda_templateIdEESt5tupleIJNSA_6TensorESF_SF_EERKSF_lbbbEUlllE_EE10hipError_tT0_T1_T2_jT3_P12ihipStream_tbPNSt15iterator_traitsISL_E10value_typeEPNSR_ISM_E10value_typeEPSN_NS1_7vsmem_tEENKUlT_SL_SM_SN_E_clIS8_S8_S9_S9_EESK_S10_SL_SM_SN_EUlS10_E_NS1_11comp_targetILNS1_3genE2ELNS1_11target_archE906ELNS1_3gpuE6ELNS1_3repE0EEENS1_48merge_mergepath_partition_config_static_selectorELNS0_4arch9wavefront6targetE1EEEvSM_.kd
    .uniform_work_group_size: 1
    .uses_dynamic_stack: false
    .vgpr_count:     0
    .vgpr_spill_count: 0
    .wavefront_size: 64
  - .agpr_count:     0
    .args:
      - .offset:         0
        .size:           56
        .value_kind:     by_value
    .group_segment_fixed_size: 0
    .kernarg_segment_align: 8
    .kernarg_segment_size: 56
    .language:       OpenCL C
    .language_version:
      - 2
      - 0
    .max_flat_workgroup_size: 128
    .name:           _ZN7rocprim17ROCPRIM_400000_NS6detail17trampoline_kernelINS0_14default_configENS1_38merge_sort_block_merge_config_selectorIlNS0_10empty_typeEEEZZNS1_27merge_sort_block_merge_implIS3_PlPS5_mZN2at6native12_GLOBAL__N_124unique_dim_cuda_templateIdEESt5tupleIJNSA_6TensorESF_SF_EERKSF_lbbbEUlllE_EE10hipError_tT0_T1_T2_jT3_P12ihipStream_tbPNSt15iterator_traitsISL_E10value_typeEPNSR_ISM_E10value_typeEPSN_NS1_7vsmem_tEENKUlT_SL_SM_SN_E_clIS8_S8_S9_S9_EESK_S10_SL_SM_SN_EUlS10_E_NS1_11comp_targetILNS1_3genE9ELNS1_11target_archE1100ELNS1_3gpuE3ELNS1_3repE0EEENS1_48merge_mergepath_partition_config_static_selectorELNS0_4arch9wavefront6targetE1EEEvSM_
    .private_segment_fixed_size: 0
    .sgpr_count:     6
    .sgpr_spill_count: 0
    .symbol:         _ZN7rocprim17ROCPRIM_400000_NS6detail17trampoline_kernelINS0_14default_configENS1_38merge_sort_block_merge_config_selectorIlNS0_10empty_typeEEEZZNS1_27merge_sort_block_merge_implIS3_PlPS5_mZN2at6native12_GLOBAL__N_124unique_dim_cuda_templateIdEESt5tupleIJNSA_6TensorESF_SF_EERKSF_lbbbEUlllE_EE10hipError_tT0_T1_T2_jT3_P12ihipStream_tbPNSt15iterator_traitsISL_E10value_typeEPNSR_ISM_E10value_typeEPSN_NS1_7vsmem_tEENKUlT_SL_SM_SN_E_clIS8_S8_S9_S9_EESK_S10_SL_SM_SN_EUlS10_E_NS1_11comp_targetILNS1_3genE9ELNS1_11target_archE1100ELNS1_3gpuE3ELNS1_3repE0EEENS1_48merge_mergepath_partition_config_static_selectorELNS0_4arch9wavefront6targetE1EEEvSM_.kd
    .uniform_work_group_size: 1
    .uses_dynamic_stack: false
    .vgpr_count:     0
    .vgpr_spill_count: 0
    .wavefront_size: 64
  - .agpr_count:     0
    .args:
      - .offset:         0
        .size:           56
        .value_kind:     by_value
    .group_segment_fixed_size: 0
    .kernarg_segment_align: 8
    .kernarg_segment_size: 56
    .language:       OpenCL C
    .language_version:
      - 2
      - 0
    .max_flat_workgroup_size: 128
    .name:           _ZN7rocprim17ROCPRIM_400000_NS6detail17trampoline_kernelINS0_14default_configENS1_38merge_sort_block_merge_config_selectorIlNS0_10empty_typeEEEZZNS1_27merge_sort_block_merge_implIS3_PlPS5_mZN2at6native12_GLOBAL__N_124unique_dim_cuda_templateIdEESt5tupleIJNSA_6TensorESF_SF_EERKSF_lbbbEUlllE_EE10hipError_tT0_T1_T2_jT3_P12ihipStream_tbPNSt15iterator_traitsISL_E10value_typeEPNSR_ISM_E10value_typeEPSN_NS1_7vsmem_tEENKUlT_SL_SM_SN_E_clIS8_S8_S9_S9_EESK_S10_SL_SM_SN_EUlS10_E_NS1_11comp_targetILNS1_3genE8ELNS1_11target_archE1030ELNS1_3gpuE2ELNS1_3repE0EEENS1_48merge_mergepath_partition_config_static_selectorELNS0_4arch9wavefront6targetE1EEEvSM_
    .private_segment_fixed_size: 0
    .sgpr_count:     6
    .sgpr_spill_count: 0
    .symbol:         _ZN7rocprim17ROCPRIM_400000_NS6detail17trampoline_kernelINS0_14default_configENS1_38merge_sort_block_merge_config_selectorIlNS0_10empty_typeEEEZZNS1_27merge_sort_block_merge_implIS3_PlPS5_mZN2at6native12_GLOBAL__N_124unique_dim_cuda_templateIdEESt5tupleIJNSA_6TensorESF_SF_EERKSF_lbbbEUlllE_EE10hipError_tT0_T1_T2_jT3_P12ihipStream_tbPNSt15iterator_traitsISL_E10value_typeEPNSR_ISM_E10value_typeEPSN_NS1_7vsmem_tEENKUlT_SL_SM_SN_E_clIS8_S8_S9_S9_EESK_S10_SL_SM_SN_EUlS10_E_NS1_11comp_targetILNS1_3genE8ELNS1_11target_archE1030ELNS1_3gpuE2ELNS1_3repE0EEENS1_48merge_mergepath_partition_config_static_selectorELNS0_4arch9wavefront6targetE1EEEvSM_.kd
    .uniform_work_group_size: 1
    .uses_dynamic_stack: false
    .vgpr_count:     0
    .vgpr_spill_count: 0
    .wavefront_size: 64
  - .agpr_count:     0
    .args:
      - .offset:         0
        .size:           88
        .value_kind:     by_value
      - .offset:         88
        .size:           4
        .value_kind:     hidden_block_count_x
      - .offset:         92
        .size:           4
        .value_kind:     hidden_block_count_y
      - .offset:         96
        .size:           4
        .value_kind:     hidden_block_count_z
      - .offset:         100
        .size:           2
        .value_kind:     hidden_group_size_x
      - .offset:         102
        .size:           2
        .value_kind:     hidden_group_size_y
      - .offset:         104
        .size:           2
        .value_kind:     hidden_group_size_z
      - .offset:         106
        .size:           2
        .value_kind:     hidden_remainder_x
      - .offset:         108
        .size:           2
        .value_kind:     hidden_remainder_y
      - .offset:         110
        .size:           2
        .value_kind:     hidden_remainder_z
      - .offset:         128
        .size:           8
        .value_kind:     hidden_global_offset_x
      - .offset:         136
        .size:           8
        .value_kind:     hidden_global_offset_y
      - .offset:         144
        .size:           8
        .value_kind:     hidden_global_offset_z
      - .offset:         152
        .size:           2
        .value_kind:     hidden_grid_dims
    .group_segment_fixed_size: 8448
    .kernarg_segment_align: 8
    .kernarg_segment_size: 344
    .language:       OpenCL C
    .language_version:
      - 2
      - 0
    .max_flat_workgroup_size: 128
    .name:           _ZN7rocprim17ROCPRIM_400000_NS6detail17trampoline_kernelINS0_14default_configENS1_38merge_sort_block_merge_config_selectorIlNS0_10empty_typeEEEZZNS1_27merge_sort_block_merge_implIS3_PlPS5_mZN2at6native12_GLOBAL__N_124unique_dim_cuda_templateIdEESt5tupleIJNSA_6TensorESF_SF_EERKSF_lbbbEUlllE_EE10hipError_tT0_T1_T2_jT3_P12ihipStream_tbPNSt15iterator_traitsISL_E10value_typeEPNSR_ISM_E10value_typeEPSN_NS1_7vsmem_tEENKUlT_SL_SM_SN_E_clIS8_S8_S9_S9_EESK_S10_SL_SM_SN_EUlS10_E0_NS1_11comp_targetILNS1_3genE0ELNS1_11target_archE4294967295ELNS1_3gpuE0ELNS1_3repE0EEENS1_38merge_mergepath_config_static_selectorELNS0_4arch9wavefront6targetE1EEEvSM_
    .private_segment_fixed_size: 0
    .sgpr_count:     60
    .sgpr_spill_count: 0
    .symbol:         _ZN7rocprim17ROCPRIM_400000_NS6detail17trampoline_kernelINS0_14default_configENS1_38merge_sort_block_merge_config_selectorIlNS0_10empty_typeEEEZZNS1_27merge_sort_block_merge_implIS3_PlPS5_mZN2at6native12_GLOBAL__N_124unique_dim_cuda_templateIdEESt5tupleIJNSA_6TensorESF_SF_EERKSF_lbbbEUlllE_EE10hipError_tT0_T1_T2_jT3_P12ihipStream_tbPNSt15iterator_traitsISL_E10value_typeEPNSR_ISM_E10value_typeEPSN_NS1_7vsmem_tEENKUlT_SL_SM_SN_E_clIS8_S8_S9_S9_EESK_S10_SL_SM_SN_EUlS10_E0_NS1_11comp_targetILNS1_3genE0ELNS1_11target_archE4294967295ELNS1_3gpuE0ELNS1_3repE0EEENS1_38merge_mergepath_config_static_selectorELNS0_4arch9wavefront6targetE1EEEvSM_.kd
    .uniform_work_group_size: 1
    .uses_dynamic_stack: false
    .vgpr_count:     42
    .vgpr_spill_count: 0
    .wavefront_size: 64
  - .agpr_count:     0
    .args:
      - .offset:         0
        .size:           88
        .value_kind:     by_value
    .group_segment_fixed_size: 0
    .kernarg_segment_align: 8
    .kernarg_segment_size: 88
    .language:       OpenCL C
    .language_version:
      - 2
      - 0
    .max_flat_workgroup_size: 512
    .name:           _ZN7rocprim17ROCPRIM_400000_NS6detail17trampoline_kernelINS0_14default_configENS1_38merge_sort_block_merge_config_selectorIlNS0_10empty_typeEEEZZNS1_27merge_sort_block_merge_implIS3_PlPS5_mZN2at6native12_GLOBAL__N_124unique_dim_cuda_templateIdEESt5tupleIJNSA_6TensorESF_SF_EERKSF_lbbbEUlllE_EE10hipError_tT0_T1_T2_jT3_P12ihipStream_tbPNSt15iterator_traitsISL_E10value_typeEPNSR_ISM_E10value_typeEPSN_NS1_7vsmem_tEENKUlT_SL_SM_SN_E_clIS8_S8_S9_S9_EESK_S10_SL_SM_SN_EUlS10_E0_NS1_11comp_targetILNS1_3genE10ELNS1_11target_archE1201ELNS1_3gpuE5ELNS1_3repE0EEENS1_38merge_mergepath_config_static_selectorELNS0_4arch9wavefront6targetE1EEEvSM_
    .private_segment_fixed_size: 0
    .sgpr_count:     6
    .sgpr_spill_count: 0
    .symbol:         _ZN7rocprim17ROCPRIM_400000_NS6detail17trampoline_kernelINS0_14default_configENS1_38merge_sort_block_merge_config_selectorIlNS0_10empty_typeEEEZZNS1_27merge_sort_block_merge_implIS3_PlPS5_mZN2at6native12_GLOBAL__N_124unique_dim_cuda_templateIdEESt5tupleIJNSA_6TensorESF_SF_EERKSF_lbbbEUlllE_EE10hipError_tT0_T1_T2_jT3_P12ihipStream_tbPNSt15iterator_traitsISL_E10value_typeEPNSR_ISM_E10value_typeEPSN_NS1_7vsmem_tEENKUlT_SL_SM_SN_E_clIS8_S8_S9_S9_EESK_S10_SL_SM_SN_EUlS10_E0_NS1_11comp_targetILNS1_3genE10ELNS1_11target_archE1201ELNS1_3gpuE5ELNS1_3repE0EEENS1_38merge_mergepath_config_static_selectorELNS0_4arch9wavefront6targetE1EEEvSM_.kd
    .uniform_work_group_size: 1
    .uses_dynamic_stack: false
    .vgpr_count:     0
    .vgpr_spill_count: 0
    .wavefront_size: 64
  - .agpr_count:     0
    .args:
      - .offset:         0
        .size:           88
        .value_kind:     by_value
    .group_segment_fixed_size: 0
    .kernarg_segment_align: 8
    .kernarg_segment_size: 88
    .language:       OpenCL C
    .language_version:
      - 2
      - 0
    .max_flat_workgroup_size: 128
    .name:           _ZN7rocprim17ROCPRIM_400000_NS6detail17trampoline_kernelINS0_14default_configENS1_38merge_sort_block_merge_config_selectorIlNS0_10empty_typeEEEZZNS1_27merge_sort_block_merge_implIS3_PlPS5_mZN2at6native12_GLOBAL__N_124unique_dim_cuda_templateIdEESt5tupleIJNSA_6TensorESF_SF_EERKSF_lbbbEUlllE_EE10hipError_tT0_T1_T2_jT3_P12ihipStream_tbPNSt15iterator_traitsISL_E10value_typeEPNSR_ISM_E10value_typeEPSN_NS1_7vsmem_tEENKUlT_SL_SM_SN_E_clIS8_S8_S9_S9_EESK_S10_SL_SM_SN_EUlS10_E0_NS1_11comp_targetILNS1_3genE5ELNS1_11target_archE942ELNS1_3gpuE9ELNS1_3repE0EEENS1_38merge_mergepath_config_static_selectorELNS0_4arch9wavefront6targetE1EEEvSM_
    .private_segment_fixed_size: 0
    .sgpr_count:     6
    .sgpr_spill_count: 0
    .symbol:         _ZN7rocprim17ROCPRIM_400000_NS6detail17trampoline_kernelINS0_14default_configENS1_38merge_sort_block_merge_config_selectorIlNS0_10empty_typeEEEZZNS1_27merge_sort_block_merge_implIS3_PlPS5_mZN2at6native12_GLOBAL__N_124unique_dim_cuda_templateIdEESt5tupleIJNSA_6TensorESF_SF_EERKSF_lbbbEUlllE_EE10hipError_tT0_T1_T2_jT3_P12ihipStream_tbPNSt15iterator_traitsISL_E10value_typeEPNSR_ISM_E10value_typeEPSN_NS1_7vsmem_tEENKUlT_SL_SM_SN_E_clIS8_S8_S9_S9_EESK_S10_SL_SM_SN_EUlS10_E0_NS1_11comp_targetILNS1_3genE5ELNS1_11target_archE942ELNS1_3gpuE9ELNS1_3repE0EEENS1_38merge_mergepath_config_static_selectorELNS0_4arch9wavefront6targetE1EEEvSM_.kd
    .uniform_work_group_size: 1
    .uses_dynamic_stack: false
    .vgpr_count:     0
    .vgpr_spill_count: 0
    .wavefront_size: 64
  - .agpr_count:     0
    .args:
      - .offset:         0
        .size:           88
        .value_kind:     by_value
    .group_segment_fixed_size: 0
    .kernarg_segment_align: 8
    .kernarg_segment_size: 88
    .language:       OpenCL C
    .language_version:
      - 2
      - 0
    .max_flat_workgroup_size: 256
    .name:           _ZN7rocprim17ROCPRIM_400000_NS6detail17trampoline_kernelINS0_14default_configENS1_38merge_sort_block_merge_config_selectorIlNS0_10empty_typeEEEZZNS1_27merge_sort_block_merge_implIS3_PlPS5_mZN2at6native12_GLOBAL__N_124unique_dim_cuda_templateIdEESt5tupleIJNSA_6TensorESF_SF_EERKSF_lbbbEUlllE_EE10hipError_tT0_T1_T2_jT3_P12ihipStream_tbPNSt15iterator_traitsISL_E10value_typeEPNSR_ISM_E10value_typeEPSN_NS1_7vsmem_tEENKUlT_SL_SM_SN_E_clIS8_S8_S9_S9_EESK_S10_SL_SM_SN_EUlS10_E0_NS1_11comp_targetILNS1_3genE4ELNS1_11target_archE910ELNS1_3gpuE8ELNS1_3repE0EEENS1_38merge_mergepath_config_static_selectorELNS0_4arch9wavefront6targetE1EEEvSM_
    .private_segment_fixed_size: 0
    .sgpr_count:     6
    .sgpr_spill_count: 0
    .symbol:         _ZN7rocprim17ROCPRIM_400000_NS6detail17trampoline_kernelINS0_14default_configENS1_38merge_sort_block_merge_config_selectorIlNS0_10empty_typeEEEZZNS1_27merge_sort_block_merge_implIS3_PlPS5_mZN2at6native12_GLOBAL__N_124unique_dim_cuda_templateIdEESt5tupleIJNSA_6TensorESF_SF_EERKSF_lbbbEUlllE_EE10hipError_tT0_T1_T2_jT3_P12ihipStream_tbPNSt15iterator_traitsISL_E10value_typeEPNSR_ISM_E10value_typeEPSN_NS1_7vsmem_tEENKUlT_SL_SM_SN_E_clIS8_S8_S9_S9_EESK_S10_SL_SM_SN_EUlS10_E0_NS1_11comp_targetILNS1_3genE4ELNS1_11target_archE910ELNS1_3gpuE8ELNS1_3repE0EEENS1_38merge_mergepath_config_static_selectorELNS0_4arch9wavefront6targetE1EEEvSM_.kd
    .uniform_work_group_size: 1
    .uses_dynamic_stack: false
    .vgpr_count:     0
    .vgpr_spill_count: 0
    .wavefront_size: 64
  - .agpr_count:     0
    .args:
      - .offset:         0
        .size:           88
        .value_kind:     by_value
    .group_segment_fixed_size: 0
    .kernarg_segment_align: 8
    .kernarg_segment_size: 88
    .language:       OpenCL C
    .language_version:
      - 2
      - 0
    .max_flat_workgroup_size: 128
    .name:           _ZN7rocprim17ROCPRIM_400000_NS6detail17trampoline_kernelINS0_14default_configENS1_38merge_sort_block_merge_config_selectorIlNS0_10empty_typeEEEZZNS1_27merge_sort_block_merge_implIS3_PlPS5_mZN2at6native12_GLOBAL__N_124unique_dim_cuda_templateIdEESt5tupleIJNSA_6TensorESF_SF_EERKSF_lbbbEUlllE_EE10hipError_tT0_T1_T2_jT3_P12ihipStream_tbPNSt15iterator_traitsISL_E10value_typeEPNSR_ISM_E10value_typeEPSN_NS1_7vsmem_tEENKUlT_SL_SM_SN_E_clIS8_S8_S9_S9_EESK_S10_SL_SM_SN_EUlS10_E0_NS1_11comp_targetILNS1_3genE3ELNS1_11target_archE908ELNS1_3gpuE7ELNS1_3repE0EEENS1_38merge_mergepath_config_static_selectorELNS0_4arch9wavefront6targetE1EEEvSM_
    .private_segment_fixed_size: 0
    .sgpr_count:     6
    .sgpr_spill_count: 0
    .symbol:         _ZN7rocprim17ROCPRIM_400000_NS6detail17trampoline_kernelINS0_14default_configENS1_38merge_sort_block_merge_config_selectorIlNS0_10empty_typeEEEZZNS1_27merge_sort_block_merge_implIS3_PlPS5_mZN2at6native12_GLOBAL__N_124unique_dim_cuda_templateIdEESt5tupleIJNSA_6TensorESF_SF_EERKSF_lbbbEUlllE_EE10hipError_tT0_T1_T2_jT3_P12ihipStream_tbPNSt15iterator_traitsISL_E10value_typeEPNSR_ISM_E10value_typeEPSN_NS1_7vsmem_tEENKUlT_SL_SM_SN_E_clIS8_S8_S9_S9_EESK_S10_SL_SM_SN_EUlS10_E0_NS1_11comp_targetILNS1_3genE3ELNS1_11target_archE908ELNS1_3gpuE7ELNS1_3repE0EEENS1_38merge_mergepath_config_static_selectorELNS0_4arch9wavefront6targetE1EEEvSM_.kd
    .uniform_work_group_size: 1
    .uses_dynamic_stack: false
    .vgpr_count:     0
    .vgpr_spill_count: 0
    .wavefront_size: 64
  - .agpr_count:     0
    .args:
      - .offset:         0
        .size:           88
        .value_kind:     by_value
    .group_segment_fixed_size: 0
    .kernarg_segment_align: 8
    .kernarg_segment_size: 88
    .language:       OpenCL C
    .language_version:
      - 2
      - 0
    .max_flat_workgroup_size: 256
    .name:           _ZN7rocprim17ROCPRIM_400000_NS6detail17trampoline_kernelINS0_14default_configENS1_38merge_sort_block_merge_config_selectorIlNS0_10empty_typeEEEZZNS1_27merge_sort_block_merge_implIS3_PlPS5_mZN2at6native12_GLOBAL__N_124unique_dim_cuda_templateIdEESt5tupleIJNSA_6TensorESF_SF_EERKSF_lbbbEUlllE_EE10hipError_tT0_T1_T2_jT3_P12ihipStream_tbPNSt15iterator_traitsISL_E10value_typeEPNSR_ISM_E10value_typeEPSN_NS1_7vsmem_tEENKUlT_SL_SM_SN_E_clIS8_S8_S9_S9_EESK_S10_SL_SM_SN_EUlS10_E0_NS1_11comp_targetILNS1_3genE2ELNS1_11target_archE906ELNS1_3gpuE6ELNS1_3repE0EEENS1_38merge_mergepath_config_static_selectorELNS0_4arch9wavefront6targetE1EEEvSM_
    .private_segment_fixed_size: 0
    .sgpr_count:     6
    .sgpr_spill_count: 0
    .symbol:         _ZN7rocprim17ROCPRIM_400000_NS6detail17trampoline_kernelINS0_14default_configENS1_38merge_sort_block_merge_config_selectorIlNS0_10empty_typeEEEZZNS1_27merge_sort_block_merge_implIS3_PlPS5_mZN2at6native12_GLOBAL__N_124unique_dim_cuda_templateIdEESt5tupleIJNSA_6TensorESF_SF_EERKSF_lbbbEUlllE_EE10hipError_tT0_T1_T2_jT3_P12ihipStream_tbPNSt15iterator_traitsISL_E10value_typeEPNSR_ISM_E10value_typeEPSN_NS1_7vsmem_tEENKUlT_SL_SM_SN_E_clIS8_S8_S9_S9_EESK_S10_SL_SM_SN_EUlS10_E0_NS1_11comp_targetILNS1_3genE2ELNS1_11target_archE906ELNS1_3gpuE6ELNS1_3repE0EEENS1_38merge_mergepath_config_static_selectorELNS0_4arch9wavefront6targetE1EEEvSM_.kd
    .uniform_work_group_size: 1
    .uses_dynamic_stack: false
    .vgpr_count:     0
    .vgpr_spill_count: 0
    .wavefront_size: 64
  - .agpr_count:     0
    .args:
      - .offset:         0
        .size:           88
        .value_kind:     by_value
    .group_segment_fixed_size: 0
    .kernarg_segment_align: 8
    .kernarg_segment_size: 88
    .language:       OpenCL C
    .language_version:
      - 2
      - 0
    .max_flat_workgroup_size: 512
    .name:           _ZN7rocprim17ROCPRIM_400000_NS6detail17trampoline_kernelINS0_14default_configENS1_38merge_sort_block_merge_config_selectorIlNS0_10empty_typeEEEZZNS1_27merge_sort_block_merge_implIS3_PlPS5_mZN2at6native12_GLOBAL__N_124unique_dim_cuda_templateIdEESt5tupleIJNSA_6TensorESF_SF_EERKSF_lbbbEUlllE_EE10hipError_tT0_T1_T2_jT3_P12ihipStream_tbPNSt15iterator_traitsISL_E10value_typeEPNSR_ISM_E10value_typeEPSN_NS1_7vsmem_tEENKUlT_SL_SM_SN_E_clIS8_S8_S9_S9_EESK_S10_SL_SM_SN_EUlS10_E0_NS1_11comp_targetILNS1_3genE9ELNS1_11target_archE1100ELNS1_3gpuE3ELNS1_3repE0EEENS1_38merge_mergepath_config_static_selectorELNS0_4arch9wavefront6targetE1EEEvSM_
    .private_segment_fixed_size: 0
    .sgpr_count:     6
    .sgpr_spill_count: 0
    .symbol:         _ZN7rocprim17ROCPRIM_400000_NS6detail17trampoline_kernelINS0_14default_configENS1_38merge_sort_block_merge_config_selectorIlNS0_10empty_typeEEEZZNS1_27merge_sort_block_merge_implIS3_PlPS5_mZN2at6native12_GLOBAL__N_124unique_dim_cuda_templateIdEESt5tupleIJNSA_6TensorESF_SF_EERKSF_lbbbEUlllE_EE10hipError_tT0_T1_T2_jT3_P12ihipStream_tbPNSt15iterator_traitsISL_E10value_typeEPNSR_ISM_E10value_typeEPSN_NS1_7vsmem_tEENKUlT_SL_SM_SN_E_clIS8_S8_S9_S9_EESK_S10_SL_SM_SN_EUlS10_E0_NS1_11comp_targetILNS1_3genE9ELNS1_11target_archE1100ELNS1_3gpuE3ELNS1_3repE0EEENS1_38merge_mergepath_config_static_selectorELNS0_4arch9wavefront6targetE1EEEvSM_.kd
    .uniform_work_group_size: 1
    .uses_dynamic_stack: false
    .vgpr_count:     0
    .vgpr_spill_count: 0
    .wavefront_size: 64
  - .agpr_count:     0
    .args:
      - .offset:         0
        .size:           88
        .value_kind:     by_value
    .group_segment_fixed_size: 0
    .kernarg_segment_align: 8
    .kernarg_segment_size: 88
    .language:       OpenCL C
    .language_version:
      - 2
      - 0
    .max_flat_workgroup_size: 1024
    .name:           _ZN7rocprim17ROCPRIM_400000_NS6detail17trampoline_kernelINS0_14default_configENS1_38merge_sort_block_merge_config_selectorIlNS0_10empty_typeEEEZZNS1_27merge_sort_block_merge_implIS3_PlPS5_mZN2at6native12_GLOBAL__N_124unique_dim_cuda_templateIdEESt5tupleIJNSA_6TensorESF_SF_EERKSF_lbbbEUlllE_EE10hipError_tT0_T1_T2_jT3_P12ihipStream_tbPNSt15iterator_traitsISL_E10value_typeEPNSR_ISM_E10value_typeEPSN_NS1_7vsmem_tEENKUlT_SL_SM_SN_E_clIS8_S8_S9_S9_EESK_S10_SL_SM_SN_EUlS10_E0_NS1_11comp_targetILNS1_3genE8ELNS1_11target_archE1030ELNS1_3gpuE2ELNS1_3repE0EEENS1_38merge_mergepath_config_static_selectorELNS0_4arch9wavefront6targetE1EEEvSM_
    .private_segment_fixed_size: 0
    .sgpr_count:     6
    .sgpr_spill_count: 0
    .symbol:         _ZN7rocprim17ROCPRIM_400000_NS6detail17trampoline_kernelINS0_14default_configENS1_38merge_sort_block_merge_config_selectorIlNS0_10empty_typeEEEZZNS1_27merge_sort_block_merge_implIS3_PlPS5_mZN2at6native12_GLOBAL__N_124unique_dim_cuda_templateIdEESt5tupleIJNSA_6TensorESF_SF_EERKSF_lbbbEUlllE_EE10hipError_tT0_T1_T2_jT3_P12ihipStream_tbPNSt15iterator_traitsISL_E10value_typeEPNSR_ISM_E10value_typeEPSN_NS1_7vsmem_tEENKUlT_SL_SM_SN_E_clIS8_S8_S9_S9_EESK_S10_SL_SM_SN_EUlS10_E0_NS1_11comp_targetILNS1_3genE8ELNS1_11target_archE1030ELNS1_3gpuE2ELNS1_3repE0EEENS1_38merge_mergepath_config_static_selectorELNS0_4arch9wavefront6targetE1EEEvSM_.kd
    .uniform_work_group_size: 1
    .uses_dynamic_stack: false
    .vgpr_count:     0
    .vgpr_spill_count: 0
    .wavefront_size: 64
  - .agpr_count:     0
    .args:
      - .offset:         0
        .size:           64
        .value_kind:     by_value
    .group_segment_fixed_size: 0
    .kernarg_segment_align: 8
    .kernarg_segment_size: 64
    .language:       OpenCL C
    .language_version:
      - 2
      - 0
    .max_flat_workgroup_size: 256
    .name:           _ZN7rocprim17ROCPRIM_400000_NS6detail17trampoline_kernelINS0_14default_configENS1_38merge_sort_block_merge_config_selectorIlNS0_10empty_typeEEEZZNS1_27merge_sort_block_merge_implIS3_PlPS5_mZN2at6native12_GLOBAL__N_124unique_dim_cuda_templateIdEESt5tupleIJNSA_6TensorESF_SF_EERKSF_lbbbEUlllE_EE10hipError_tT0_T1_T2_jT3_P12ihipStream_tbPNSt15iterator_traitsISL_E10value_typeEPNSR_ISM_E10value_typeEPSN_NS1_7vsmem_tEENKUlT_SL_SM_SN_E_clIS8_S8_S9_S9_EESK_S10_SL_SM_SN_EUlS10_E1_NS1_11comp_targetILNS1_3genE0ELNS1_11target_archE4294967295ELNS1_3gpuE0ELNS1_3repE0EEENS1_36merge_oddeven_config_static_selectorELNS0_4arch9wavefront6targetE1EEEvSM_
    .private_segment_fixed_size: 0
    .sgpr_count:     52
    .sgpr_spill_count: 0
    .symbol:         _ZN7rocprim17ROCPRIM_400000_NS6detail17trampoline_kernelINS0_14default_configENS1_38merge_sort_block_merge_config_selectorIlNS0_10empty_typeEEEZZNS1_27merge_sort_block_merge_implIS3_PlPS5_mZN2at6native12_GLOBAL__N_124unique_dim_cuda_templateIdEESt5tupleIJNSA_6TensorESF_SF_EERKSF_lbbbEUlllE_EE10hipError_tT0_T1_T2_jT3_P12ihipStream_tbPNSt15iterator_traitsISL_E10value_typeEPNSR_ISM_E10value_typeEPSN_NS1_7vsmem_tEENKUlT_SL_SM_SN_E_clIS8_S8_S9_S9_EESK_S10_SL_SM_SN_EUlS10_E1_NS1_11comp_targetILNS1_3genE0ELNS1_11target_archE4294967295ELNS1_3gpuE0ELNS1_3repE0EEENS1_36merge_oddeven_config_static_selectorELNS0_4arch9wavefront6targetE1EEEvSM_.kd
    .uniform_work_group_size: 1
    .uses_dynamic_stack: false
    .vgpr_count:     22
    .vgpr_spill_count: 0
    .wavefront_size: 64
  - .agpr_count:     0
    .args:
      - .offset:         0
        .size:           64
        .value_kind:     by_value
    .group_segment_fixed_size: 0
    .kernarg_segment_align: 8
    .kernarg_segment_size: 64
    .language:       OpenCL C
    .language_version:
      - 2
      - 0
    .max_flat_workgroup_size: 256
    .name:           _ZN7rocprim17ROCPRIM_400000_NS6detail17trampoline_kernelINS0_14default_configENS1_38merge_sort_block_merge_config_selectorIlNS0_10empty_typeEEEZZNS1_27merge_sort_block_merge_implIS3_PlPS5_mZN2at6native12_GLOBAL__N_124unique_dim_cuda_templateIdEESt5tupleIJNSA_6TensorESF_SF_EERKSF_lbbbEUlllE_EE10hipError_tT0_T1_T2_jT3_P12ihipStream_tbPNSt15iterator_traitsISL_E10value_typeEPNSR_ISM_E10value_typeEPSN_NS1_7vsmem_tEENKUlT_SL_SM_SN_E_clIS8_S8_S9_S9_EESK_S10_SL_SM_SN_EUlS10_E1_NS1_11comp_targetILNS1_3genE10ELNS1_11target_archE1201ELNS1_3gpuE5ELNS1_3repE0EEENS1_36merge_oddeven_config_static_selectorELNS0_4arch9wavefront6targetE1EEEvSM_
    .private_segment_fixed_size: 0
    .sgpr_count:     6
    .sgpr_spill_count: 0
    .symbol:         _ZN7rocprim17ROCPRIM_400000_NS6detail17trampoline_kernelINS0_14default_configENS1_38merge_sort_block_merge_config_selectorIlNS0_10empty_typeEEEZZNS1_27merge_sort_block_merge_implIS3_PlPS5_mZN2at6native12_GLOBAL__N_124unique_dim_cuda_templateIdEESt5tupleIJNSA_6TensorESF_SF_EERKSF_lbbbEUlllE_EE10hipError_tT0_T1_T2_jT3_P12ihipStream_tbPNSt15iterator_traitsISL_E10value_typeEPNSR_ISM_E10value_typeEPSN_NS1_7vsmem_tEENKUlT_SL_SM_SN_E_clIS8_S8_S9_S9_EESK_S10_SL_SM_SN_EUlS10_E1_NS1_11comp_targetILNS1_3genE10ELNS1_11target_archE1201ELNS1_3gpuE5ELNS1_3repE0EEENS1_36merge_oddeven_config_static_selectorELNS0_4arch9wavefront6targetE1EEEvSM_.kd
    .uniform_work_group_size: 1
    .uses_dynamic_stack: false
    .vgpr_count:     0
    .vgpr_spill_count: 0
    .wavefront_size: 64
  - .agpr_count:     0
    .args:
      - .offset:         0
        .size:           64
        .value_kind:     by_value
    .group_segment_fixed_size: 0
    .kernarg_segment_align: 8
    .kernarg_segment_size: 64
    .language:       OpenCL C
    .language_version:
      - 2
      - 0
    .max_flat_workgroup_size: 256
    .name:           _ZN7rocprim17ROCPRIM_400000_NS6detail17trampoline_kernelINS0_14default_configENS1_38merge_sort_block_merge_config_selectorIlNS0_10empty_typeEEEZZNS1_27merge_sort_block_merge_implIS3_PlPS5_mZN2at6native12_GLOBAL__N_124unique_dim_cuda_templateIdEESt5tupleIJNSA_6TensorESF_SF_EERKSF_lbbbEUlllE_EE10hipError_tT0_T1_T2_jT3_P12ihipStream_tbPNSt15iterator_traitsISL_E10value_typeEPNSR_ISM_E10value_typeEPSN_NS1_7vsmem_tEENKUlT_SL_SM_SN_E_clIS8_S8_S9_S9_EESK_S10_SL_SM_SN_EUlS10_E1_NS1_11comp_targetILNS1_3genE5ELNS1_11target_archE942ELNS1_3gpuE9ELNS1_3repE0EEENS1_36merge_oddeven_config_static_selectorELNS0_4arch9wavefront6targetE1EEEvSM_
    .private_segment_fixed_size: 0
    .sgpr_count:     6
    .sgpr_spill_count: 0
    .symbol:         _ZN7rocprim17ROCPRIM_400000_NS6detail17trampoline_kernelINS0_14default_configENS1_38merge_sort_block_merge_config_selectorIlNS0_10empty_typeEEEZZNS1_27merge_sort_block_merge_implIS3_PlPS5_mZN2at6native12_GLOBAL__N_124unique_dim_cuda_templateIdEESt5tupleIJNSA_6TensorESF_SF_EERKSF_lbbbEUlllE_EE10hipError_tT0_T1_T2_jT3_P12ihipStream_tbPNSt15iterator_traitsISL_E10value_typeEPNSR_ISM_E10value_typeEPSN_NS1_7vsmem_tEENKUlT_SL_SM_SN_E_clIS8_S8_S9_S9_EESK_S10_SL_SM_SN_EUlS10_E1_NS1_11comp_targetILNS1_3genE5ELNS1_11target_archE942ELNS1_3gpuE9ELNS1_3repE0EEENS1_36merge_oddeven_config_static_selectorELNS0_4arch9wavefront6targetE1EEEvSM_.kd
    .uniform_work_group_size: 1
    .uses_dynamic_stack: false
    .vgpr_count:     0
    .vgpr_spill_count: 0
    .wavefront_size: 64
  - .agpr_count:     0
    .args:
      - .offset:         0
        .size:           64
        .value_kind:     by_value
    .group_segment_fixed_size: 0
    .kernarg_segment_align: 8
    .kernarg_segment_size: 64
    .language:       OpenCL C
    .language_version:
      - 2
      - 0
    .max_flat_workgroup_size: 256
    .name:           _ZN7rocprim17ROCPRIM_400000_NS6detail17trampoline_kernelINS0_14default_configENS1_38merge_sort_block_merge_config_selectorIlNS0_10empty_typeEEEZZNS1_27merge_sort_block_merge_implIS3_PlPS5_mZN2at6native12_GLOBAL__N_124unique_dim_cuda_templateIdEESt5tupleIJNSA_6TensorESF_SF_EERKSF_lbbbEUlllE_EE10hipError_tT0_T1_T2_jT3_P12ihipStream_tbPNSt15iterator_traitsISL_E10value_typeEPNSR_ISM_E10value_typeEPSN_NS1_7vsmem_tEENKUlT_SL_SM_SN_E_clIS8_S8_S9_S9_EESK_S10_SL_SM_SN_EUlS10_E1_NS1_11comp_targetILNS1_3genE4ELNS1_11target_archE910ELNS1_3gpuE8ELNS1_3repE0EEENS1_36merge_oddeven_config_static_selectorELNS0_4arch9wavefront6targetE1EEEvSM_
    .private_segment_fixed_size: 0
    .sgpr_count:     6
    .sgpr_spill_count: 0
    .symbol:         _ZN7rocprim17ROCPRIM_400000_NS6detail17trampoline_kernelINS0_14default_configENS1_38merge_sort_block_merge_config_selectorIlNS0_10empty_typeEEEZZNS1_27merge_sort_block_merge_implIS3_PlPS5_mZN2at6native12_GLOBAL__N_124unique_dim_cuda_templateIdEESt5tupleIJNSA_6TensorESF_SF_EERKSF_lbbbEUlllE_EE10hipError_tT0_T1_T2_jT3_P12ihipStream_tbPNSt15iterator_traitsISL_E10value_typeEPNSR_ISM_E10value_typeEPSN_NS1_7vsmem_tEENKUlT_SL_SM_SN_E_clIS8_S8_S9_S9_EESK_S10_SL_SM_SN_EUlS10_E1_NS1_11comp_targetILNS1_3genE4ELNS1_11target_archE910ELNS1_3gpuE8ELNS1_3repE0EEENS1_36merge_oddeven_config_static_selectorELNS0_4arch9wavefront6targetE1EEEvSM_.kd
    .uniform_work_group_size: 1
    .uses_dynamic_stack: false
    .vgpr_count:     0
    .vgpr_spill_count: 0
    .wavefront_size: 64
  - .agpr_count:     0
    .args:
      - .offset:         0
        .size:           64
        .value_kind:     by_value
    .group_segment_fixed_size: 0
    .kernarg_segment_align: 8
    .kernarg_segment_size: 64
    .language:       OpenCL C
    .language_version:
      - 2
      - 0
    .max_flat_workgroup_size: 256
    .name:           _ZN7rocprim17ROCPRIM_400000_NS6detail17trampoline_kernelINS0_14default_configENS1_38merge_sort_block_merge_config_selectorIlNS0_10empty_typeEEEZZNS1_27merge_sort_block_merge_implIS3_PlPS5_mZN2at6native12_GLOBAL__N_124unique_dim_cuda_templateIdEESt5tupleIJNSA_6TensorESF_SF_EERKSF_lbbbEUlllE_EE10hipError_tT0_T1_T2_jT3_P12ihipStream_tbPNSt15iterator_traitsISL_E10value_typeEPNSR_ISM_E10value_typeEPSN_NS1_7vsmem_tEENKUlT_SL_SM_SN_E_clIS8_S8_S9_S9_EESK_S10_SL_SM_SN_EUlS10_E1_NS1_11comp_targetILNS1_3genE3ELNS1_11target_archE908ELNS1_3gpuE7ELNS1_3repE0EEENS1_36merge_oddeven_config_static_selectorELNS0_4arch9wavefront6targetE1EEEvSM_
    .private_segment_fixed_size: 0
    .sgpr_count:     6
    .sgpr_spill_count: 0
    .symbol:         _ZN7rocprim17ROCPRIM_400000_NS6detail17trampoline_kernelINS0_14default_configENS1_38merge_sort_block_merge_config_selectorIlNS0_10empty_typeEEEZZNS1_27merge_sort_block_merge_implIS3_PlPS5_mZN2at6native12_GLOBAL__N_124unique_dim_cuda_templateIdEESt5tupleIJNSA_6TensorESF_SF_EERKSF_lbbbEUlllE_EE10hipError_tT0_T1_T2_jT3_P12ihipStream_tbPNSt15iterator_traitsISL_E10value_typeEPNSR_ISM_E10value_typeEPSN_NS1_7vsmem_tEENKUlT_SL_SM_SN_E_clIS8_S8_S9_S9_EESK_S10_SL_SM_SN_EUlS10_E1_NS1_11comp_targetILNS1_3genE3ELNS1_11target_archE908ELNS1_3gpuE7ELNS1_3repE0EEENS1_36merge_oddeven_config_static_selectorELNS0_4arch9wavefront6targetE1EEEvSM_.kd
    .uniform_work_group_size: 1
    .uses_dynamic_stack: false
    .vgpr_count:     0
    .vgpr_spill_count: 0
    .wavefront_size: 64
  - .agpr_count:     0
    .args:
      - .offset:         0
        .size:           64
        .value_kind:     by_value
    .group_segment_fixed_size: 0
    .kernarg_segment_align: 8
    .kernarg_segment_size: 64
    .language:       OpenCL C
    .language_version:
      - 2
      - 0
    .max_flat_workgroup_size: 256
    .name:           _ZN7rocprim17ROCPRIM_400000_NS6detail17trampoline_kernelINS0_14default_configENS1_38merge_sort_block_merge_config_selectorIlNS0_10empty_typeEEEZZNS1_27merge_sort_block_merge_implIS3_PlPS5_mZN2at6native12_GLOBAL__N_124unique_dim_cuda_templateIdEESt5tupleIJNSA_6TensorESF_SF_EERKSF_lbbbEUlllE_EE10hipError_tT0_T1_T2_jT3_P12ihipStream_tbPNSt15iterator_traitsISL_E10value_typeEPNSR_ISM_E10value_typeEPSN_NS1_7vsmem_tEENKUlT_SL_SM_SN_E_clIS8_S8_S9_S9_EESK_S10_SL_SM_SN_EUlS10_E1_NS1_11comp_targetILNS1_3genE2ELNS1_11target_archE906ELNS1_3gpuE6ELNS1_3repE0EEENS1_36merge_oddeven_config_static_selectorELNS0_4arch9wavefront6targetE1EEEvSM_
    .private_segment_fixed_size: 0
    .sgpr_count:     6
    .sgpr_spill_count: 0
    .symbol:         _ZN7rocprim17ROCPRIM_400000_NS6detail17trampoline_kernelINS0_14default_configENS1_38merge_sort_block_merge_config_selectorIlNS0_10empty_typeEEEZZNS1_27merge_sort_block_merge_implIS3_PlPS5_mZN2at6native12_GLOBAL__N_124unique_dim_cuda_templateIdEESt5tupleIJNSA_6TensorESF_SF_EERKSF_lbbbEUlllE_EE10hipError_tT0_T1_T2_jT3_P12ihipStream_tbPNSt15iterator_traitsISL_E10value_typeEPNSR_ISM_E10value_typeEPSN_NS1_7vsmem_tEENKUlT_SL_SM_SN_E_clIS8_S8_S9_S9_EESK_S10_SL_SM_SN_EUlS10_E1_NS1_11comp_targetILNS1_3genE2ELNS1_11target_archE906ELNS1_3gpuE6ELNS1_3repE0EEENS1_36merge_oddeven_config_static_selectorELNS0_4arch9wavefront6targetE1EEEvSM_.kd
    .uniform_work_group_size: 1
    .uses_dynamic_stack: false
    .vgpr_count:     0
    .vgpr_spill_count: 0
    .wavefront_size: 64
  - .agpr_count:     0
    .args:
      - .offset:         0
        .size:           64
        .value_kind:     by_value
    .group_segment_fixed_size: 0
    .kernarg_segment_align: 8
    .kernarg_segment_size: 64
    .language:       OpenCL C
    .language_version:
      - 2
      - 0
    .max_flat_workgroup_size: 256
    .name:           _ZN7rocprim17ROCPRIM_400000_NS6detail17trampoline_kernelINS0_14default_configENS1_38merge_sort_block_merge_config_selectorIlNS0_10empty_typeEEEZZNS1_27merge_sort_block_merge_implIS3_PlPS5_mZN2at6native12_GLOBAL__N_124unique_dim_cuda_templateIdEESt5tupleIJNSA_6TensorESF_SF_EERKSF_lbbbEUlllE_EE10hipError_tT0_T1_T2_jT3_P12ihipStream_tbPNSt15iterator_traitsISL_E10value_typeEPNSR_ISM_E10value_typeEPSN_NS1_7vsmem_tEENKUlT_SL_SM_SN_E_clIS8_S8_S9_S9_EESK_S10_SL_SM_SN_EUlS10_E1_NS1_11comp_targetILNS1_3genE9ELNS1_11target_archE1100ELNS1_3gpuE3ELNS1_3repE0EEENS1_36merge_oddeven_config_static_selectorELNS0_4arch9wavefront6targetE1EEEvSM_
    .private_segment_fixed_size: 0
    .sgpr_count:     6
    .sgpr_spill_count: 0
    .symbol:         _ZN7rocprim17ROCPRIM_400000_NS6detail17trampoline_kernelINS0_14default_configENS1_38merge_sort_block_merge_config_selectorIlNS0_10empty_typeEEEZZNS1_27merge_sort_block_merge_implIS3_PlPS5_mZN2at6native12_GLOBAL__N_124unique_dim_cuda_templateIdEESt5tupleIJNSA_6TensorESF_SF_EERKSF_lbbbEUlllE_EE10hipError_tT0_T1_T2_jT3_P12ihipStream_tbPNSt15iterator_traitsISL_E10value_typeEPNSR_ISM_E10value_typeEPSN_NS1_7vsmem_tEENKUlT_SL_SM_SN_E_clIS8_S8_S9_S9_EESK_S10_SL_SM_SN_EUlS10_E1_NS1_11comp_targetILNS1_3genE9ELNS1_11target_archE1100ELNS1_3gpuE3ELNS1_3repE0EEENS1_36merge_oddeven_config_static_selectorELNS0_4arch9wavefront6targetE1EEEvSM_.kd
    .uniform_work_group_size: 1
    .uses_dynamic_stack: false
    .vgpr_count:     0
    .vgpr_spill_count: 0
    .wavefront_size: 64
  - .agpr_count:     0
    .args:
      - .offset:         0
        .size:           64
        .value_kind:     by_value
    .group_segment_fixed_size: 0
    .kernarg_segment_align: 8
    .kernarg_segment_size: 64
    .language:       OpenCL C
    .language_version:
      - 2
      - 0
    .max_flat_workgroup_size: 256
    .name:           _ZN7rocprim17ROCPRIM_400000_NS6detail17trampoline_kernelINS0_14default_configENS1_38merge_sort_block_merge_config_selectorIlNS0_10empty_typeEEEZZNS1_27merge_sort_block_merge_implIS3_PlPS5_mZN2at6native12_GLOBAL__N_124unique_dim_cuda_templateIdEESt5tupleIJNSA_6TensorESF_SF_EERKSF_lbbbEUlllE_EE10hipError_tT0_T1_T2_jT3_P12ihipStream_tbPNSt15iterator_traitsISL_E10value_typeEPNSR_ISM_E10value_typeEPSN_NS1_7vsmem_tEENKUlT_SL_SM_SN_E_clIS8_S8_S9_S9_EESK_S10_SL_SM_SN_EUlS10_E1_NS1_11comp_targetILNS1_3genE8ELNS1_11target_archE1030ELNS1_3gpuE2ELNS1_3repE0EEENS1_36merge_oddeven_config_static_selectorELNS0_4arch9wavefront6targetE1EEEvSM_
    .private_segment_fixed_size: 0
    .sgpr_count:     6
    .sgpr_spill_count: 0
    .symbol:         _ZN7rocprim17ROCPRIM_400000_NS6detail17trampoline_kernelINS0_14default_configENS1_38merge_sort_block_merge_config_selectorIlNS0_10empty_typeEEEZZNS1_27merge_sort_block_merge_implIS3_PlPS5_mZN2at6native12_GLOBAL__N_124unique_dim_cuda_templateIdEESt5tupleIJNSA_6TensorESF_SF_EERKSF_lbbbEUlllE_EE10hipError_tT0_T1_T2_jT3_P12ihipStream_tbPNSt15iterator_traitsISL_E10value_typeEPNSR_ISM_E10value_typeEPSN_NS1_7vsmem_tEENKUlT_SL_SM_SN_E_clIS8_S8_S9_S9_EESK_S10_SL_SM_SN_EUlS10_E1_NS1_11comp_targetILNS1_3genE8ELNS1_11target_archE1030ELNS1_3gpuE2ELNS1_3repE0EEENS1_36merge_oddeven_config_static_selectorELNS0_4arch9wavefront6targetE1EEEvSM_.kd
    .uniform_work_group_size: 1
    .uses_dynamic_stack: false
    .vgpr_count:     0
    .vgpr_spill_count: 0
    .wavefront_size: 64
  - .agpr_count:     0
    .args:
      - .offset:         0
        .size:           64
        .value_kind:     by_value
    .group_segment_fixed_size: 2048
    .kernarg_segment_align: 8
    .kernarg_segment_size: 64
    .language:       OpenCL C
    .language_version:
      - 2
      - 0
    .max_flat_workgroup_size: 128
    .name:           _ZN7rocprim17ROCPRIM_400000_NS6detail17trampoline_kernelINS0_14default_configENS1_35adjacent_difference_config_selectorILb0ElEEZNS1_24adjacent_difference_implIS3_Lb0ELb0EPlS7_ZN2at6native12_GLOBAL__N_124unique_dim_cuda_templateIdEESt5tupleIJNS8_6TensorESD_SD_EERKSD_lbbbEUlllE1_EE10hipError_tPvRmT2_T3_mT4_P12ihipStream_tbEUlT_E_NS1_11comp_targetILNS1_3genE0ELNS1_11target_archE4294967295ELNS1_3gpuE0ELNS1_3repE0EEENS1_30default_config_static_selectorELNS0_4arch9wavefront6targetE1EEEvT1_
    .private_segment_fixed_size: 0
    .sgpr_count:     38
    .sgpr_spill_count: 0
    .symbol:         _ZN7rocprim17ROCPRIM_400000_NS6detail17trampoline_kernelINS0_14default_configENS1_35adjacent_difference_config_selectorILb0ElEEZNS1_24adjacent_difference_implIS3_Lb0ELb0EPlS7_ZN2at6native12_GLOBAL__N_124unique_dim_cuda_templateIdEESt5tupleIJNS8_6TensorESD_SD_EERKSD_lbbbEUlllE1_EE10hipError_tPvRmT2_T3_mT4_P12ihipStream_tbEUlT_E_NS1_11comp_targetILNS1_3genE0ELNS1_11target_archE4294967295ELNS1_3gpuE0ELNS1_3repE0EEENS1_30default_config_static_selectorELNS0_4arch9wavefront6targetE1EEEvT1_.kd
    .uniform_work_group_size: 1
    .uses_dynamic_stack: false
    .vgpr_count:     14
    .vgpr_spill_count: 0
    .wavefront_size: 64
  - .agpr_count:     0
    .args:
      - .offset:         0
        .size:           64
        .value_kind:     by_value
    .group_segment_fixed_size: 0
    .kernarg_segment_align: 8
    .kernarg_segment_size: 64
    .language:       OpenCL C
    .language_version:
      - 2
      - 0
    .max_flat_workgroup_size: 128
    .name:           _ZN7rocprim17ROCPRIM_400000_NS6detail17trampoline_kernelINS0_14default_configENS1_35adjacent_difference_config_selectorILb0ElEEZNS1_24adjacent_difference_implIS3_Lb0ELb0EPlS7_ZN2at6native12_GLOBAL__N_124unique_dim_cuda_templateIdEESt5tupleIJNS8_6TensorESD_SD_EERKSD_lbbbEUlllE1_EE10hipError_tPvRmT2_T3_mT4_P12ihipStream_tbEUlT_E_NS1_11comp_targetILNS1_3genE10ELNS1_11target_archE1201ELNS1_3gpuE5ELNS1_3repE0EEENS1_30default_config_static_selectorELNS0_4arch9wavefront6targetE1EEEvT1_
    .private_segment_fixed_size: 0
    .sgpr_count:     6
    .sgpr_spill_count: 0
    .symbol:         _ZN7rocprim17ROCPRIM_400000_NS6detail17trampoline_kernelINS0_14default_configENS1_35adjacent_difference_config_selectorILb0ElEEZNS1_24adjacent_difference_implIS3_Lb0ELb0EPlS7_ZN2at6native12_GLOBAL__N_124unique_dim_cuda_templateIdEESt5tupleIJNS8_6TensorESD_SD_EERKSD_lbbbEUlllE1_EE10hipError_tPvRmT2_T3_mT4_P12ihipStream_tbEUlT_E_NS1_11comp_targetILNS1_3genE10ELNS1_11target_archE1201ELNS1_3gpuE5ELNS1_3repE0EEENS1_30default_config_static_selectorELNS0_4arch9wavefront6targetE1EEEvT1_.kd
    .uniform_work_group_size: 1
    .uses_dynamic_stack: false
    .vgpr_count:     0
    .vgpr_spill_count: 0
    .wavefront_size: 64
  - .agpr_count:     0
    .args:
      - .offset:         0
        .size:           64
        .value_kind:     by_value
    .group_segment_fixed_size: 0
    .kernarg_segment_align: 8
    .kernarg_segment_size: 64
    .language:       OpenCL C
    .language_version:
      - 2
      - 0
    .max_flat_workgroup_size: 64
    .name:           _ZN7rocprim17ROCPRIM_400000_NS6detail17trampoline_kernelINS0_14default_configENS1_35adjacent_difference_config_selectorILb0ElEEZNS1_24adjacent_difference_implIS3_Lb0ELb0EPlS7_ZN2at6native12_GLOBAL__N_124unique_dim_cuda_templateIdEESt5tupleIJNS8_6TensorESD_SD_EERKSD_lbbbEUlllE1_EE10hipError_tPvRmT2_T3_mT4_P12ihipStream_tbEUlT_E_NS1_11comp_targetILNS1_3genE5ELNS1_11target_archE942ELNS1_3gpuE9ELNS1_3repE0EEENS1_30default_config_static_selectorELNS0_4arch9wavefront6targetE1EEEvT1_
    .private_segment_fixed_size: 0
    .sgpr_count:     6
    .sgpr_spill_count: 0
    .symbol:         _ZN7rocprim17ROCPRIM_400000_NS6detail17trampoline_kernelINS0_14default_configENS1_35adjacent_difference_config_selectorILb0ElEEZNS1_24adjacent_difference_implIS3_Lb0ELb0EPlS7_ZN2at6native12_GLOBAL__N_124unique_dim_cuda_templateIdEESt5tupleIJNS8_6TensorESD_SD_EERKSD_lbbbEUlllE1_EE10hipError_tPvRmT2_T3_mT4_P12ihipStream_tbEUlT_E_NS1_11comp_targetILNS1_3genE5ELNS1_11target_archE942ELNS1_3gpuE9ELNS1_3repE0EEENS1_30default_config_static_selectorELNS0_4arch9wavefront6targetE1EEEvT1_.kd
    .uniform_work_group_size: 1
    .uses_dynamic_stack: false
    .vgpr_count:     0
    .vgpr_spill_count: 0
    .wavefront_size: 64
  - .agpr_count:     0
    .args:
      - .offset:         0
        .size:           64
        .value_kind:     by_value
    .group_segment_fixed_size: 0
    .kernarg_segment_align: 8
    .kernarg_segment_size: 64
    .language:       OpenCL C
    .language_version:
      - 2
      - 0
    .max_flat_workgroup_size: 256
    .name:           _ZN7rocprim17ROCPRIM_400000_NS6detail17trampoline_kernelINS0_14default_configENS1_35adjacent_difference_config_selectorILb0ElEEZNS1_24adjacent_difference_implIS3_Lb0ELb0EPlS7_ZN2at6native12_GLOBAL__N_124unique_dim_cuda_templateIdEESt5tupleIJNS8_6TensorESD_SD_EERKSD_lbbbEUlllE1_EE10hipError_tPvRmT2_T3_mT4_P12ihipStream_tbEUlT_E_NS1_11comp_targetILNS1_3genE4ELNS1_11target_archE910ELNS1_3gpuE8ELNS1_3repE0EEENS1_30default_config_static_selectorELNS0_4arch9wavefront6targetE1EEEvT1_
    .private_segment_fixed_size: 0
    .sgpr_count:     6
    .sgpr_spill_count: 0
    .symbol:         _ZN7rocprim17ROCPRIM_400000_NS6detail17trampoline_kernelINS0_14default_configENS1_35adjacent_difference_config_selectorILb0ElEEZNS1_24adjacent_difference_implIS3_Lb0ELb0EPlS7_ZN2at6native12_GLOBAL__N_124unique_dim_cuda_templateIdEESt5tupleIJNS8_6TensorESD_SD_EERKSD_lbbbEUlllE1_EE10hipError_tPvRmT2_T3_mT4_P12ihipStream_tbEUlT_E_NS1_11comp_targetILNS1_3genE4ELNS1_11target_archE910ELNS1_3gpuE8ELNS1_3repE0EEENS1_30default_config_static_selectorELNS0_4arch9wavefront6targetE1EEEvT1_.kd
    .uniform_work_group_size: 1
    .uses_dynamic_stack: false
    .vgpr_count:     0
    .vgpr_spill_count: 0
    .wavefront_size: 64
  - .agpr_count:     0
    .args:
      - .offset:         0
        .size:           64
        .value_kind:     by_value
    .group_segment_fixed_size: 0
    .kernarg_segment_align: 8
    .kernarg_segment_size: 64
    .language:       OpenCL C
    .language_version:
      - 2
      - 0
    .max_flat_workgroup_size: 128
    .name:           _ZN7rocprim17ROCPRIM_400000_NS6detail17trampoline_kernelINS0_14default_configENS1_35adjacent_difference_config_selectorILb0ElEEZNS1_24adjacent_difference_implIS3_Lb0ELb0EPlS7_ZN2at6native12_GLOBAL__N_124unique_dim_cuda_templateIdEESt5tupleIJNS8_6TensorESD_SD_EERKSD_lbbbEUlllE1_EE10hipError_tPvRmT2_T3_mT4_P12ihipStream_tbEUlT_E_NS1_11comp_targetILNS1_3genE3ELNS1_11target_archE908ELNS1_3gpuE7ELNS1_3repE0EEENS1_30default_config_static_selectorELNS0_4arch9wavefront6targetE1EEEvT1_
    .private_segment_fixed_size: 0
    .sgpr_count:     6
    .sgpr_spill_count: 0
    .symbol:         _ZN7rocprim17ROCPRIM_400000_NS6detail17trampoline_kernelINS0_14default_configENS1_35adjacent_difference_config_selectorILb0ElEEZNS1_24adjacent_difference_implIS3_Lb0ELb0EPlS7_ZN2at6native12_GLOBAL__N_124unique_dim_cuda_templateIdEESt5tupleIJNS8_6TensorESD_SD_EERKSD_lbbbEUlllE1_EE10hipError_tPvRmT2_T3_mT4_P12ihipStream_tbEUlT_E_NS1_11comp_targetILNS1_3genE3ELNS1_11target_archE908ELNS1_3gpuE7ELNS1_3repE0EEENS1_30default_config_static_selectorELNS0_4arch9wavefront6targetE1EEEvT1_.kd
    .uniform_work_group_size: 1
    .uses_dynamic_stack: false
    .vgpr_count:     0
    .vgpr_spill_count: 0
    .wavefront_size: 64
  - .agpr_count:     0
    .args:
      - .offset:         0
        .size:           64
        .value_kind:     by_value
    .group_segment_fixed_size: 0
    .kernarg_segment_align: 8
    .kernarg_segment_size: 64
    .language:       OpenCL C
    .language_version:
      - 2
      - 0
    .max_flat_workgroup_size: 128
    .name:           _ZN7rocprim17ROCPRIM_400000_NS6detail17trampoline_kernelINS0_14default_configENS1_35adjacent_difference_config_selectorILb0ElEEZNS1_24adjacent_difference_implIS3_Lb0ELb0EPlS7_ZN2at6native12_GLOBAL__N_124unique_dim_cuda_templateIdEESt5tupleIJNS8_6TensorESD_SD_EERKSD_lbbbEUlllE1_EE10hipError_tPvRmT2_T3_mT4_P12ihipStream_tbEUlT_E_NS1_11comp_targetILNS1_3genE2ELNS1_11target_archE906ELNS1_3gpuE6ELNS1_3repE0EEENS1_30default_config_static_selectorELNS0_4arch9wavefront6targetE1EEEvT1_
    .private_segment_fixed_size: 0
    .sgpr_count:     6
    .sgpr_spill_count: 0
    .symbol:         _ZN7rocprim17ROCPRIM_400000_NS6detail17trampoline_kernelINS0_14default_configENS1_35adjacent_difference_config_selectorILb0ElEEZNS1_24adjacent_difference_implIS3_Lb0ELb0EPlS7_ZN2at6native12_GLOBAL__N_124unique_dim_cuda_templateIdEESt5tupleIJNS8_6TensorESD_SD_EERKSD_lbbbEUlllE1_EE10hipError_tPvRmT2_T3_mT4_P12ihipStream_tbEUlT_E_NS1_11comp_targetILNS1_3genE2ELNS1_11target_archE906ELNS1_3gpuE6ELNS1_3repE0EEENS1_30default_config_static_selectorELNS0_4arch9wavefront6targetE1EEEvT1_.kd
    .uniform_work_group_size: 1
    .uses_dynamic_stack: false
    .vgpr_count:     0
    .vgpr_spill_count: 0
    .wavefront_size: 64
  - .agpr_count:     0
    .args:
      - .offset:         0
        .size:           64
        .value_kind:     by_value
    .group_segment_fixed_size: 0
    .kernarg_segment_align: 8
    .kernarg_segment_size: 64
    .language:       OpenCL C
    .language_version:
      - 2
      - 0
    .max_flat_workgroup_size: 512
    .name:           _ZN7rocprim17ROCPRIM_400000_NS6detail17trampoline_kernelINS0_14default_configENS1_35adjacent_difference_config_selectorILb0ElEEZNS1_24adjacent_difference_implIS3_Lb0ELb0EPlS7_ZN2at6native12_GLOBAL__N_124unique_dim_cuda_templateIdEESt5tupleIJNS8_6TensorESD_SD_EERKSD_lbbbEUlllE1_EE10hipError_tPvRmT2_T3_mT4_P12ihipStream_tbEUlT_E_NS1_11comp_targetILNS1_3genE9ELNS1_11target_archE1100ELNS1_3gpuE3ELNS1_3repE0EEENS1_30default_config_static_selectorELNS0_4arch9wavefront6targetE1EEEvT1_
    .private_segment_fixed_size: 0
    .sgpr_count:     6
    .sgpr_spill_count: 0
    .symbol:         _ZN7rocprim17ROCPRIM_400000_NS6detail17trampoline_kernelINS0_14default_configENS1_35adjacent_difference_config_selectorILb0ElEEZNS1_24adjacent_difference_implIS3_Lb0ELb0EPlS7_ZN2at6native12_GLOBAL__N_124unique_dim_cuda_templateIdEESt5tupleIJNS8_6TensorESD_SD_EERKSD_lbbbEUlllE1_EE10hipError_tPvRmT2_T3_mT4_P12ihipStream_tbEUlT_E_NS1_11comp_targetILNS1_3genE9ELNS1_11target_archE1100ELNS1_3gpuE3ELNS1_3repE0EEENS1_30default_config_static_selectorELNS0_4arch9wavefront6targetE1EEEvT1_.kd
    .uniform_work_group_size: 1
    .uses_dynamic_stack: false
    .vgpr_count:     0
    .vgpr_spill_count: 0
    .wavefront_size: 64
  - .agpr_count:     0
    .args:
      - .offset:         0
        .size:           64
        .value_kind:     by_value
    .group_segment_fixed_size: 0
    .kernarg_segment_align: 8
    .kernarg_segment_size: 64
    .language:       OpenCL C
    .language_version:
      - 2
      - 0
    .max_flat_workgroup_size: 1024
    .name:           _ZN7rocprim17ROCPRIM_400000_NS6detail17trampoline_kernelINS0_14default_configENS1_35adjacent_difference_config_selectorILb0ElEEZNS1_24adjacent_difference_implIS3_Lb0ELb0EPlS7_ZN2at6native12_GLOBAL__N_124unique_dim_cuda_templateIdEESt5tupleIJNS8_6TensorESD_SD_EERKSD_lbbbEUlllE1_EE10hipError_tPvRmT2_T3_mT4_P12ihipStream_tbEUlT_E_NS1_11comp_targetILNS1_3genE8ELNS1_11target_archE1030ELNS1_3gpuE2ELNS1_3repE0EEENS1_30default_config_static_selectorELNS0_4arch9wavefront6targetE1EEEvT1_
    .private_segment_fixed_size: 0
    .sgpr_count:     6
    .sgpr_spill_count: 0
    .symbol:         _ZN7rocprim17ROCPRIM_400000_NS6detail17trampoline_kernelINS0_14default_configENS1_35adjacent_difference_config_selectorILb0ElEEZNS1_24adjacent_difference_implIS3_Lb0ELb0EPlS7_ZN2at6native12_GLOBAL__N_124unique_dim_cuda_templateIdEESt5tupleIJNS8_6TensorESD_SD_EERKSD_lbbbEUlllE1_EE10hipError_tPvRmT2_T3_mT4_P12ihipStream_tbEUlT_E_NS1_11comp_targetILNS1_3genE8ELNS1_11target_archE1030ELNS1_3gpuE2ELNS1_3repE0EEENS1_30default_config_static_selectorELNS0_4arch9wavefront6targetE1EEEvT1_.kd
    .uniform_work_group_size: 1
    .uses_dynamic_stack: false
    .vgpr_count:     0
    .vgpr_spill_count: 0
    .wavefront_size: 64
  - .agpr_count:     0
    .args:
      - .offset:         0
        .size:           56
        .value_kind:     by_value
      - .offset:         56
        .size:           4
        .value_kind:     hidden_block_count_x
      - .offset:         60
        .size:           4
        .value_kind:     hidden_block_count_y
      - .offset:         64
        .size:           4
        .value_kind:     hidden_block_count_z
      - .offset:         68
        .size:           2
        .value_kind:     hidden_group_size_x
      - .offset:         70
        .size:           2
        .value_kind:     hidden_group_size_y
      - .offset:         72
        .size:           2
        .value_kind:     hidden_group_size_z
      - .offset:         74
        .size:           2
        .value_kind:     hidden_remainder_x
      - .offset:         76
        .size:           2
        .value_kind:     hidden_remainder_y
      - .offset:         78
        .size:           2
        .value_kind:     hidden_remainder_z
      - .offset:         96
        .size:           8
        .value_kind:     hidden_global_offset_x
      - .offset:         104
        .size:           8
        .value_kind:     hidden_global_offset_y
      - .offset:         112
        .size:           8
        .value_kind:     hidden_global_offset_z
      - .offset:         120
        .size:           2
        .value_kind:     hidden_grid_dims
    .group_segment_fixed_size: 0
    .kernarg_segment_align: 8
    .kernarg_segment_size: 312
    .language:       OpenCL C
    .language_version:
      - 2
      - 0
    .max_flat_workgroup_size: 128
    .name:           _ZN7rocprim17ROCPRIM_400000_NS6detail17trampoline_kernelINS0_14default_configENS1_25transform_config_selectorIlLb0EEEZNS1_14transform_implILb0ES3_S5_NS0_18transform_iteratorINS0_17counting_iteratorImlEEZNS1_24adjacent_difference_implIS3_Lb1ELb0EPlSB_ZN2at6native12_GLOBAL__N_124unique_dim_cuda_templateIdEESt5tupleIJNSC_6TensorESH_SH_EERKSH_lbbbEUlllE1_EE10hipError_tPvRmT2_T3_mT4_P12ihipStream_tbEUlmE_lEESB_NS0_8identityIvEEEESM_SP_SQ_mSR_ST_bEUlT_E_NS1_11comp_targetILNS1_3genE0ELNS1_11target_archE4294967295ELNS1_3gpuE0ELNS1_3repE0EEENS1_30default_config_static_selectorELNS0_4arch9wavefront6targetE1EEEvT1_
    .private_segment_fixed_size: 0
    .sgpr_count:     18
    .sgpr_spill_count: 0
    .symbol:         _ZN7rocprim17ROCPRIM_400000_NS6detail17trampoline_kernelINS0_14default_configENS1_25transform_config_selectorIlLb0EEEZNS1_14transform_implILb0ES3_S5_NS0_18transform_iteratorINS0_17counting_iteratorImlEEZNS1_24adjacent_difference_implIS3_Lb1ELb0EPlSB_ZN2at6native12_GLOBAL__N_124unique_dim_cuda_templateIdEESt5tupleIJNSC_6TensorESH_SH_EERKSH_lbbbEUlllE1_EE10hipError_tPvRmT2_T3_mT4_P12ihipStream_tbEUlmE_lEESB_NS0_8identityIvEEEESM_SP_SQ_mSR_ST_bEUlT_E_NS1_11comp_targetILNS1_3genE0ELNS1_11target_archE4294967295ELNS1_3gpuE0ELNS1_3repE0EEENS1_30default_config_static_selectorELNS0_4arch9wavefront6targetE1EEEvT1_.kd
    .uniform_work_group_size: 1
    .uses_dynamic_stack: false
    .vgpr_count:     8
    .vgpr_spill_count: 0
    .wavefront_size: 64
  - .agpr_count:     0
    .args:
      - .offset:         0
        .size:           56
        .value_kind:     by_value
    .group_segment_fixed_size: 0
    .kernarg_segment_align: 8
    .kernarg_segment_size: 56
    .language:       OpenCL C
    .language_version:
      - 2
      - 0
    .max_flat_workgroup_size: 512
    .name:           _ZN7rocprim17ROCPRIM_400000_NS6detail17trampoline_kernelINS0_14default_configENS1_25transform_config_selectorIlLb0EEEZNS1_14transform_implILb0ES3_S5_NS0_18transform_iteratorINS0_17counting_iteratorImlEEZNS1_24adjacent_difference_implIS3_Lb1ELb0EPlSB_ZN2at6native12_GLOBAL__N_124unique_dim_cuda_templateIdEESt5tupleIJNSC_6TensorESH_SH_EERKSH_lbbbEUlllE1_EE10hipError_tPvRmT2_T3_mT4_P12ihipStream_tbEUlmE_lEESB_NS0_8identityIvEEEESM_SP_SQ_mSR_ST_bEUlT_E_NS1_11comp_targetILNS1_3genE5ELNS1_11target_archE942ELNS1_3gpuE9ELNS1_3repE0EEENS1_30default_config_static_selectorELNS0_4arch9wavefront6targetE1EEEvT1_
    .private_segment_fixed_size: 0
    .sgpr_count:     6
    .sgpr_spill_count: 0
    .symbol:         _ZN7rocprim17ROCPRIM_400000_NS6detail17trampoline_kernelINS0_14default_configENS1_25transform_config_selectorIlLb0EEEZNS1_14transform_implILb0ES3_S5_NS0_18transform_iteratorINS0_17counting_iteratorImlEEZNS1_24adjacent_difference_implIS3_Lb1ELb0EPlSB_ZN2at6native12_GLOBAL__N_124unique_dim_cuda_templateIdEESt5tupleIJNSC_6TensorESH_SH_EERKSH_lbbbEUlllE1_EE10hipError_tPvRmT2_T3_mT4_P12ihipStream_tbEUlmE_lEESB_NS0_8identityIvEEEESM_SP_SQ_mSR_ST_bEUlT_E_NS1_11comp_targetILNS1_3genE5ELNS1_11target_archE942ELNS1_3gpuE9ELNS1_3repE0EEENS1_30default_config_static_selectorELNS0_4arch9wavefront6targetE1EEEvT1_.kd
    .uniform_work_group_size: 1
    .uses_dynamic_stack: false
    .vgpr_count:     0
    .vgpr_spill_count: 0
    .wavefront_size: 64
  - .agpr_count:     0
    .args:
      - .offset:         0
        .size:           56
        .value_kind:     by_value
    .group_segment_fixed_size: 0
    .kernarg_segment_align: 8
    .kernarg_segment_size: 56
    .language:       OpenCL C
    .language_version:
      - 2
      - 0
    .max_flat_workgroup_size: 256
    .name:           _ZN7rocprim17ROCPRIM_400000_NS6detail17trampoline_kernelINS0_14default_configENS1_25transform_config_selectorIlLb0EEEZNS1_14transform_implILb0ES3_S5_NS0_18transform_iteratorINS0_17counting_iteratorImlEEZNS1_24adjacent_difference_implIS3_Lb1ELb0EPlSB_ZN2at6native12_GLOBAL__N_124unique_dim_cuda_templateIdEESt5tupleIJNSC_6TensorESH_SH_EERKSH_lbbbEUlllE1_EE10hipError_tPvRmT2_T3_mT4_P12ihipStream_tbEUlmE_lEESB_NS0_8identityIvEEEESM_SP_SQ_mSR_ST_bEUlT_E_NS1_11comp_targetILNS1_3genE4ELNS1_11target_archE910ELNS1_3gpuE8ELNS1_3repE0EEENS1_30default_config_static_selectorELNS0_4arch9wavefront6targetE1EEEvT1_
    .private_segment_fixed_size: 0
    .sgpr_count:     6
    .sgpr_spill_count: 0
    .symbol:         _ZN7rocprim17ROCPRIM_400000_NS6detail17trampoline_kernelINS0_14default_configENS1_25transform_config_selectorIlLb0EEEZNS1_14transform_implILb0ES3_S5_NS0_18transform_iteratorINS0_17counting_iteratorImlEEZNS1_24adjacent_difference_implIS3_Lb1ELb0EPlSB_ZN2at6native12_GLOBAL__N_124unique_dim_cuda_templateIdEESt5tupleIJNSC_6TensorESH_SH_EERKSH_lbbbEUlllE1_EE10hipError_tPvRmT2_T3_mT4_P12ihipStream_tbEUlmE_lEESB_NS0_8identityIvEEEESM_SP_SQ_mSR_ST_bEUlT_E_NS1_11comp_targetILNS1_3genE4ELNS1_11target_archE910ELNS1_3gpuE8ELNS1_3repE0EEENS1_30default_config_static_selectorELNS0_4arch9wavefront6targetE1EEEvT1_.kd
    .uniform_work_group_size: 1
    .uses_dynamic_stack: false
    .vgpr_count:     0
    .vgpr_spill_count: 0
    .wavefront_size: 64
  - .agpr_count:     0
    .args:
      - .offset:         0
        .size:           56
        .value_kind:     by_value
    .group_segment_fixed_size: 0
    .kernarg_segment_align: 8
    .kernarg_segment_size: 56
    .language:       OpenCL C
    .language_version:
      - 2
      - 0
    .max_flat_workgroup_size: 128
    .name:           _ZN7rocprim17ROCPRIM_400000_NS6detail17trampoline_kernelINS0_14default_configENS1_25transform_config_selectorIlLb0EEEZNS1_14transform_implILb0ES3_S5_NS0_18transform_iteratorINS0_17counting_iteratorImlEEZNS1_24adjacent_difference_implIS3_Lb1ELb0EPlSB_ZN2at6native12_GLOBAL__N_124unique_dim_cuda_templateIdEESt5tupleIJNSC_6TensorESH_SH_EERKSH_lbbbEUlllE1_EE10hipError_tPvRmT2_T3_mT4_P12ihipStream_tbEUlmE_lEESB_NS0_8identityIvEEEESM_SP_SQ_mSR_ST_bEUlT_E_NS1_11comp_targetILNS1_3genE3ELNS1_11target_archE908ELNS1_3gpuE7ELNS1_3repE0EEENS1_30default_config_static_selectorELNS0_4arch9wavefront6targetE1EEEvT1_
    .private_segment_fixed_size: 0
    .sgpr_count:     6
    .sgpr_spill_count: 0
    .symbol:         _ZN7rocprim17ROCPRIM_400000_NS6detail17trampoline_kernelINS0_14default_configENS1_25transform_config_selectorIlLb0EEEZNS1_14transform_implILb0ES3_S5_NS0_18transform_iteratorINS0_17counting_iteratorImlEEZNS1_24adjacent_difference_implIS3_Lb1ELb0EPlSB_ZN2at6native12_GLOBAL__N_124unique_dim_cuda_templateIdEESt5tupleIJNSC_6TensorESH_SH_EERKSH_lbbbEUlllE1_EE10hipError_tPvRmT2_T3_mT4_P12ihipStream_tbEUlmE_lEESB_NS0_8identityIvEEEESM_SP_SQ_mSR_ST_bEUlT_E_NS1_11comp_targetILNS1_3genE3ELNS1_11target_archE908ELNS1_3gpuE7ELNS1_3repE0EEENS1_30default_config_static_selectorELNS0_4arch9wavefront6targetE1EEEvT1_.kd
    .uniform_work_group_size: 1
    .uses_dynamic_stack: false
    .vgpr_count:     0
    .vgpr_spill_count: 0
    .wavefront_size: 64
  - .agpr_count:     0
    .args:
      - .offset:         0
        .size:           56
        .value_kind:     by_value
    .group_segment_fixed_size: 0
    .kernarg_segment_align: 8
    .kernarg_segment_size: 56
    .language:       OpenCL C
    .language_version:
      - 2
      - 0
    .max_flat_workgroup_size: 512
    .name:           _ZN7rocprim17ROCPRIM_400000_NS6detail17trampoline_kernelINS0_14default_configENS1_25transform_config_selectorIlLb0EEEZNS1_14transform_implILb0ES3_S5_NS0_18transform_iteratorINS0_17counting_iteratorImlEEZNS1_24adjacent_difference_implIS3_Lb1ELb0EPlSB_ZN2at6native12_GLOBAL__N_124unique_dim_cuda_templateIdEESt5tupleIJNSC_6TensorESH_SH_EERKSH_lbbbEUlllE1_EE10hipError_tPvRmT2_T3_mT4_P12ihipStream_tbEUlmE_lEESB_NS0_8identityIvEEEESM_SP_SQ_mSR_ST_bEUlT_E_NS1_11comp_targetILNS1_3genE2ELNS1_11target_archE906ELNS1_3gpuE6ELNS1_3repE0EEENS1_30default_config_static_selectorELNS0_4arch9wavefront6targetE1EEEvT1_
    .private_segment_fixed_size: 0
    .sgpr_count:     6
    .sgpr_spill_count: 0
    .symbol:         _ZN7rocprim17ROCPRIM_400000_NS6detail17trampoline_kernelINS0_14default_configENS1_25transform_config_selectorIlLb0EEEZNS1_14transform_implILb0ES3_S5_NS0_18transform_iteratorINS0_17counting_iteratorImlEEZNS1_24adjacent_difference_implIS3_Lb1ELb0EPlSB_ZN2at6native12_GLOBAL__N_124unique_dim_cuda_templateIdEESt5tupleIJNSC_6TensorESH_SH_EERKSH_lbbbEUlllE1_EE10hipError_tPvRmT2_T3_mT4_P12ihipStream_tbEUlmE_lEESB_NS0_8identityIvEEEESM_SP_SQ_mSR_ST_bEUlT_E_NS1_11comp_targetILNS1_3genE2ELNS1_11target_archE906ELNS1_3gpuE6ELNS1_3repE0EEENS1_30default_config_static_selectorELNS0_4arch9wavefront6targetE1EEEvT1_.kd
    .uniform_work_group_size: 1
    .uses_dynamic_stack: false
    .vgpr_count:     0
    .vgpr_spill_count: 0
    .wavefront_size: 64
  - .agpr_count:     0
    .args:
      - .offset:         0
        .size:           56
        .value_kind:     by_value
    .group_segment_fixed_size: 0
    .kernarg_segment_align: 8
    .kernarg_segment_size: 56
    .language:       OpenCL C
    .language_version:
      - 2
      - 0
    .max_flat_workgroup_size: 1024
    .name:           _ZN7rocprim17ROCPRIM_400000_NS6detail17trampoline_kernelINS0_14default_configENS1_25transform_config_selectorIlLb0EEEZNS1_14transform_implILb0ES3_S5_NS0_18transform_iteratorINS0_17counting_iteratorImlEEZNS1_24adjacent_difference_implIS3_Lb1ELb0EPlSB_ZN2at6native12_GLOBAL__N_124unique_dim_cuda_templateIdEESt5tupleIJNSC_6TensorESH_SH_EERKSH_lbbbEUlllE1_EE10hipError_tPvRmT2_T3_mT4_P12ihipStream_tbEUlmE_lEESB_NS0_8identityIvEEEESM_SP_SQ_mSR_ST_bEUlT_E_NS1_11comp_targetILNS1_3genE10ELNS1_11target_archE1201ELNS1_3gpuE5ELNS1_3repE0EEENS1_30default_config_static_selectorELNS0_4arch9wavefront6targetE1EEEvT1_
    .private_segment_fixed_size: 0
    .sgpr_count:     6
    .sgpr_spill_count: 0
    .symbol:         _ZN7rocprim17ROCPRIM_400000_NS6detail17trampoline_kernelINS0_14default_configENS1_25transform_config_selectorIlLb0EEEZNS1_14transform_implILb0ES3_S5_NS0_18transform_iteratorINS0_17counting_iteratorImlEEZNS1_24adjacent_difference_implIS3_Lb1ELb0EPlSB_ZN2at6native12_GLOBAL__N_124unique_dim_cuda_templateIdEESt5tupleIJNSC_6TensorESH_SH_EERKSH_lbbbEUlllE1_EE10hipError_tPvRmT2_T3_mT4_P12ihipStream_tbEUlmE_lEESB_NS0_8identityIvEEEESM_SP_SQ_mSR_ST_bEUlT_E_NS1_11comp_targetILNS1_3genE10ELNS1_11target_archE1201ELNS1_3gpuE5ELNS1_3repE0EEENS1_30default_config_static_selectorELNS0_4arch9wavefront6targetE1EEEvT1_.kd
    .uniform_work_group_size: 1
    .uses_dynamic_stack: false
    .vgpr_count:     0
    .vgpr_spill_count: 0
    .wavefront_size: 64
  - .agpr_count:     0
    .args:
      - .offset:         0
        .size:           56
        .value_kind:     by_value
    .group_segment_fixed_size: 0
    .kernarg_segment_align: 8
    .kernarg_segment_size: 56
    .language:       OpenCL C
    .language_version:
      - 2
      - 0
    .max_flat_workgroup_size: 512
    .name:           _ZN7rocprim17ROCPRIM_400000_NS6detail17trampoline_kernelINS0_14default_configENS1_25transform_config_selectorIlLb0EEEZNS1_14transform_implILb0ES3_S5_NS0_18transform_iteratorINS0_17counting_iteratorImlEEZNS1_24adjacent_difference_implIS3_Lb1ELb0EPlSB_ZN2at6native12_GLOBAL__N_124unique_dim_cuda_templateIdEESt5tupleIJNSC_6TensorESH_SH_EERKSH_lbbbEUlllE1_EE10hipError_tPvRmT2_T3_mT4_P12ihipStream_tbEUlmE_lEESB_NS0_8identityIvEEEESM_SP_SQ_mSR_ST_bEUlT_E_NS1_11comp_targetILNS1_3genE10ELNS1_11target_archE1200ELNS1_3gpuE4ELNS1_3repE0EEENS1_30default_config_static_selectorELNS0_4arch9wavefront6targetE1EEEvT1_
    .private_segment_fixed_size: 0
    .sgpr_count:     6
    .sgpr_spill_count: 0
    .symbol:         _ZN7rocprim17ROCPRIM_400000_NS6detail17trampoline_kernelINS0_14default_configENS1_25transform_config_selectorIlLb0EEEZNS1_14transform_implILb0ES3_S5_NS0_18transform_iteratorINS0_17counting_iteratorImlEEZNS1_24adjacent_difference_implIS3_Lb1ELb0EPlSB_ZN2at6native12_GLOBAL__N_124unique_dim_cuda_templateIdEESt5tupleIJNSC_6TensorESH_SH_EERKSH_lbbbEUlllE1_EE10hipError_tPvRmT2_T3_mT4_P12ihipStream_tbEUlmE_lEESB_NS0_8identityIvEEEESM_SP_SQ_mSR_ST_bEUlT_E_NS1_11comp_targetILNS1_3genE10ELNS1_11target_archE1200ELNS1_3gpuE4ELNS1_3repE0EEENS1_30default_config_static_selectorELNS0_4arch9wavefront6targetE1EEEvT1_.kd
    .uniform_work_group_size: 1
    .uses_dynamic_stack: false
    .vgpr_count:     0
    .vgpr_spill_count: 0
    .wavefront_size: 64
  - .agpr_count:     0
    .args:
      - .offset:         0
        .size:           56
        .value_kind:     by_value
    .group_segment_fixed_size: 0
    .kernarg_segment_align: 8
    .kernarg_segment_size: 56
    .language:       OpenCL C
    .language_version:
      - 2
      - 0
    .max_flat_workgroup_size: 512
    .name:           _ZN7rocprim17ROCPRIM_400000_NS6detail17trampoline_kernelINS0_14default_configENS1_25transform_config_selectorIlLb0EEEZNS1_14transform_implILb0ES3_S5_NS0_18transform_iteratorINS0_17counting_iteratorImlEEZNS1_24adjacent_difference_implIS3_Lb1ELb0EPlSB_ZN2at6native12_GLOBAL__N_124unique_dim_cuda_templateIdEESt5tupleIJNSC_6TensorESH_SH_EERKSH_lbbbEUlllE1_EE10hipError_tPvRmT2_T3_mT4_P12ihipStream_tbEUlmE_lEESB_NS0_8identityIvEEEESM_SP_SQ_mSR_ST_bEUlT_E_NS1_11comp_targetILNS1_3genE9ELNS1_11target_archE1100ELNS1_3gpuE3ELNS1_3repE0EEENS1_30default_config_static_selectorELNS0_4arch9wavefront6targetE1EEEvT1_
    .private_segment_fixed_size: 0
    .sgpr_count:     6
    .sgpr_spill_count: 0
    .symbol:         _ZN7rocprim17ROCPRIM_400000_NS6detail17trampoline_kernelINS0_14default_configENS1_25transform_config_selectorIlLb0EEEZNS1_14transform_implILb0ES3_S5_NS0_18transform_iteratorINS0_17counting_iteratorImlEEZNS1_24adjacent_difference_implIS3_Lb1ELb0EPlSB_ZN2at6native12_GLOBAL__N_124unique_dim_cuda_templateIdEESt5tupleIJNSC_6TensorESH_SH_EERKSH_lbbbEUlllE1_EE10hipError_tPvRmT2_T3_mT4_P12ihipStream_tbEUlmE_lEESB_NS0_8identityIvEEEESM_SP_SQ_mSR_ST_bEUlT_E_NS1_11comp_targetILNS1_3genE9ELNS1_11target_archE1100ELNS1_3gpuE3ELNS1_3repE0EEENS1_30default_config_static_selectorELNS0_4arch9wavefront6targetE1EEEvT1_.kd
    .uniform_work_group_size: 1
    .uses_dynamic_stack: false
    .vgpr_count:     0
    .vgpr_spill_count: 0
    .wavefront_size: 64
  - .agpr_count:     0
    .args:
      - .offset:         0
        .size:           56
        .value_kind:     by_value
    .group_segment_fixed_size: 0
    .kernarg_segment_align: 8
    .kernarg_segment_size: 56
    .language:       OpenCL C
    .language_version:
      - 2
      - 0
    .max_flat_workgroup_size: 512
    .name:           _ZN7rocprim17ROCPRIM_400000_NS6detail17trampoline_kernelINS0_14default_configENS1_25transform_config_selectorIlLb0EEEZNS1_14transform_implILb0ES3_S5_NS0_18transform_iteratorINS0_17counting_iteratorImlEEZNS1_24adjacent_difference_implIS3_Lb1ELb0EPlSB_ZN2at6native12_GLOBAL__N_124unique_dim_cuda_templateIdEESt5tupleIJNSC_6TensorESH_SH_EERKSH_lbbbEUlllE1_EE10hipError_tPvRmT2_T3_mT4_P12ihipStream_tbEUlmE_lEESB_NS0_8identityIvEEEESM_SP_SQ_mSR_ST_bEUlT_E_NS1_11comp_targetILNS1_3genE8ELNS1_11target_archE1030ELNS1_3gpuE2ELNS1_3repE0EEENS1_30default_config_static_selectorELNS0_4arch9wavefront6targetE1EEEvT1_
    .private_segment_fixed_size: 0
    .sgpr_count:     6
    .sgpr_spill_count: 0
    .symbol:         _ZN7rocprim17ROCPRIM_400000_NS6detail17trampoline_kernelINS0_14default_configENS1_25transform_config_selectorIlLb0EEEZNS1_14transform_implILb0ES3_S5_NS0_18transform_iteratorINS0_17counting_iteratorImlEEZNS1_24adjacent_difference_implIS3_Lb1ELb0EPlSB_ZN2at6native12_GLOBAL__N_124unique_dim_cuda_templateIdEESt5tupleIJNSC_6TensorESH_SH_EERKSH_lbbbEUlllE1_EE10hipError_tPvRmT2_T3_mT4_P12ihipStream_tbEUlmE_lEESB_NS0_8identityIvEEEESM_SP_SQ_mSR_ST_bEUlT_E_NS1_11comp_targetILNS1_3genE8ELNS1_11target_archE1030ELNS1_3gpuE2ELNS1_3repE0EEENS1_30default_config_static_selectorELNS0_4arch9wavefront6targetE1EEEvT1_.kd
    .uniform_work_group_size: 1
    .uses_dynamic_stack: false
    .vgpr_count:     0
    .vgpr_spill_count: 0
    .wavefront_size: 64
  - .agpr_count:     0
    .args:
      - .offset:         0
        .size:           64
        .value_kind:     by_value
    .group_segment_fixed_size: 8448
    .kernarg_segment_align: 8
    .kernarg_segment_size: 64
    .language:       OpenCL C
    .language_version:
      - 2
      - 0
    .max_flat_workgroup_size: 512
    .name:           _ZN7rocprim17ROCPRIM_400000_NS6detail17trampoline_kernelINS0_14default_configENS1_35adjacent_difference_config_selectorILb1ElEEZNS1_24adjacent_difference_implIS3_Lb1ELb0EPlS7_ZN2at6native12_GLOBAL__N_124unique_dim_cuda_templateIdEESt5tupleIJNS8_6TensorESD_SD_EERKSD_lbbbEUlllE1_EE10hipError_tPvRmT2_T3_mT4_P12ihipStream_tbEUlT_E_NS1_11comp_targetILNS1_3genE0ELNS1_11target_archE4294967295ELNS1_3gpuE0ELNS1_3repE0EEENS1_30default_config_static_selectorELNS0_4arch9wavefront6targetE1EEEvT1_
    .private_segment_fixed_size: 0
    .sgpr_count:     42
    .sgpr_spill_count: 0
    .symbol:         _ZN7rocprim17ROCPRIM_400000_NS6detail17trampoline_kernelINS0_14default_configENS1_35adjacent_difference_config_selectorILb1ElEEZNS1_24adjacent_difference_implIS3_Lb1ELb0EPlS7_ZN2at6native12_GLOBAL__N_124unique_dim_cuda_templateIdEESt5tupleIJNS8_6TensorESD_SD_EERKSD_lbbbEUlllE1_EE10hipError_tPvRmT2_T3_mT4_P12ihipStream_tbEUlT_E_NS1_11comp_targetILNS1_3genE0ELNS1_11target_archE4294967295ELNS1_3gpuE0ELNS1_3repE0EEENS1_30default_config_static_selectorELNS0_4arch9wavefront6targetE1EEEvT1_.kd
    .uniform_work_group_size: 1
    .uses_dynamic_stack: false
    .vgpr_count:     18
    .vgpr_spill_count: 0
    .wavefront_size: 64
  - .agpr_count:     0
    .args:
      - .offset:         0
        .size:           64
        .value_kind:     by_value
    .group_segment_fixed_size: 0
    .kernarg_segment_align: 8
    .kernarg_segment_size: 64
    .language:       OpenCL C
    .language_version:
      - 2
      - 0
    .max_flat_workgroup_size: 32
    .name:           _ZN7rocprim17ROCPRIM_400000_NS6detail17trampoline_kernelINS0_14default_configENS1_35adjacent_difference_config_selectorILb1ElEEZNS1_24adjacent_difference_implIS3_Lb1ELb0EPlS7_ZN2at6native12_GLOBAL__N_124unique_dim_cuda_templateIdEESt5tupleIJNS8_6TensorESD_SD_EERKSD_lbbbEUlllE1_EE10hipError_tPvRmT2_T3_mT4_P12ihipStream_tbEUlT_E_NS1_11comp_targetILNS1_3genE10ELNS1_11target_archE1201ELNS1_3gpuE5ELNS1_3repE0EEENS1_30default_config_static_selectorELNS0_4arch9wavefront6targetE1EEEvT1_
    .private_segment_fixed_size: 0
    .sgpr_count:     6
    .sgpr_spill_count: 0
    .symbol:         _ZN7rocprim17ROCPRIM_400000_NS6detail17trampoline_kernelINS0_14default_configENS1_35adjacent_difference_config_selectorILb1ElEEZNS1_24adjacent_difference_implIS3_Lb1ELb0EPlS7_ZN2at6native12_GLOBAL__N_124unique_dim_cuda_templateIdEESt5tupleIJNS8_6TensorESD_SD_EERKSD_lbbbEUlllE1_EE10hipError_tPvRmT2_T3_mT4_P12ihipStream_tbEUlT_E_NS1_11comp_targetILNS1_3genE10ELNS1_11target_archE1201ELNS1_3gpuE5ELNS1_3repE0EEENS1_30default_config_static_selectorELNS0_4arch9wavefront6targetE1EEEvT1_.kd
    .uniform_work_group_size: 1
    .uses_dynamic_stack: false
    .vgpr_count:     0
    .vgpr_spill_count: 0
    .wavefront_size: 64
  - .agpr_count:     0
    .args:
      - .offset:         0
        .size:           64
        .value_kind:     by_value
    .group_segment_fixed_size: 0
    .kernarg_segment_align: 8
    .kernarg_segment_size: 64
    .language:       OpenCL C
    .language_version:
      - 2
      - 0
    .max_flat_workgroup_size: 256
    .name:           _ZN7rocprim17ROCPRIM_400000_NS6detail17trampoline_kernelINS0_14default_configENS1_35adjacent_difference_config_selectorILb1ElEEZNS1_24adjacent_difference_implIS3_Lb1ELb0EPlS7_ZN2at6native12_GLOBAL__N_124unique_dim_cuda_templateIdEESt5tupleIJNS8_6TensorESD_SD_EERKSD_lbbbEUlllE1_EE10hipError_tPvRmT2_T3_mT4_P12ihipStream_tbEUlT_E_NS1_11comp_targetILNS1_3genE5ELNS1_11target_archE942ELNS1_3gpuE9ELNS1_3repE0EEENS1_30default_config_static_selectorELNS0_4arch9wavefront6targetE1EEEvT1_
    .private_segment_fixed_size: 0
    .sgpr_count:     6
    .sgpr_spill_count: 0
    .symbol:         _ZN7rocprim17ROCPRIM_400000_NS6detail17trampoline_kernelINS0_14default_configENS1_35adjacent_difference_config_selectorILb1ElEEZNS1_24adjacent_difference_implIS3_Lb1ELb0EPlS7_ZN2at6native12_GLOBAL__N_124unique_dim_cuda_templateIdEESt5tupleIJNS8_6TensorESD_SD_EERKSD_lbbbEUlllE1_EE10hipError_tPvRmT2_T3_mT4_P12ihipStream_tbEUlT_E_NS1_11comp_targetILNS1_3genE5ELNS1_11target_archE942ELNS1_3gpuE9ELNS1_3repE0EEENS1_30default_config_static_selectorELNS0_4arch9wavefront6targetE1EEEvT1_.kd
    .uniform_work_group_size: 1
    .uses_dynamic_stack: false
    .vgpr_count:     0
    .vgpr_spill_count: 0
    .wavefront_size: 64
  - .agpr_count:     0
    .args:
      - .offset:         0
        .size:           64
        .value_kind:     by_value
    .group_segment_fixed_size: 0
    .kernarg_segment_align: 8
    .kernarg_segment_size: 64
    .language:       OpenCL C
    .language_version:
      - 2
      - 0
    .max_flat_workgroup_size: 512
    .name:           _ZN7rocprim17ROCPRIM_400000_NS6detail17trampoline_kernelINS0_14default_configENS1_35adjacent_difference_config_selectorILb1ElEEZNS1_24adjacent_difference_implIS3_Lb1ELb0EPlS7_ZN2at6native12_GLOBAL__N_124unique_dim_cuda_templateIdEESt5tupleIJNS8_6TensorESD_SD_EERKSD_lbbbEUlllE1_EE10hipError_tPvRmT2_T3_mT4_P12ihipStream_tbEUlT_E_NS1_11comp_targetILNS1_3genE4ELNS1_11target_archE910ELNS1_3gpuE8ELNS1_3repE0EEENS1_30default_config_static_selectorELNS0_4arch9wavefront6targetE1EEEvT1_
    .private_segment_fixed_size: 0
    .sgpr_count:     6
    .sgpr_spill_count: 0
    .symbol:         _ZN7rocprim17ROCPRIM_400000_NS6detail17trampoline_kernelINS0_14default_configENS1_35adjacent_difference_config_selectorILb1ElEEZNS1_24adjacent_difference_implIS3_Lb1ELb0EPlS7_ZN2at6native12_GLOBAL__N_124unique_dim_cuda_templateIdEESt5tupleIJNS8_6TensorESD_SD_EERKSD_lbbbEUlllE1_EE10hipError_tPvRmT2_T3_mT4_P12ihipStream_tbEUlT_E_NS1_11comp_targetILNS1_3genE4ELNS1_11target_archE910ELNS1_3gpuE8ELNS1_3repE0EEENS1_30default_config_static_selectorELNS0_4arch9wavefront6targetE1EEEvT1_.kd
    .uniform_work_group_size: 1
    .uses_dynamic_stack: false
    .vgpr_count:     0
    .vgpr_spill_count: 0
    .wavefront_size: 64
  - .agpr_count:     0
    .args:
      - .offset:         0
        .size:           64
        .value_kind:     by_value
    .group_segment_fixed_size: 0
    .kernarg_segment_align: 8
    .kernarg_segment_size: 64
    .language:       OpenCL C
    .language_version:
      - 2
      - 0
    .max_flat_workgroup_size: 512
    .name:           _ZN7rocprim17ROCPRIM_400000_NS6detail17trampoline_kernelINS0_14default_configENS1_35adjacent_difference_config_selectorILb1ElEEZNS1_24adjacent_difference_implIS3_Lb1ELb0EPlS7_ZN2at6native12_GLOBAL__N_124unique_dim_cuda_templateIdEESt5tupleIJNS8_6TensorESD_SD_EERKSD_lbbbEUlllE1_EE10hipError_tPvRmT2_T3_mT4_P12ihipStream_tbEUlT_E_NS1_11comp_targetILNS1_3genE3ELNS1_11target_archE908ELNS1_3gpuE7ELNS1_3repE0EEENS1_30default_config_static_selectorELNS0_4arch9wavefront6targetE1EEEvT1_
    .private_segment_fixed_size: 0
    .sgpr_count:     6
    .sgpr_spill_count: 0
    .symbol:         _ZN7rocprim17ROCPRIM_400000_NS6detail17trampoline_kernelINS0_14default_configENS1_35adjacent_difference_config_selectorILb1ElEEZNS1_24adjacent_difference_implIS3_Lb1ELb0EPlS7_ZN2at6native12_GLOBAL__N_124unique_dim_cuda_templateIdEESt5tupleIJNS8_6TensorESD_SD_EERKSD_lbbbEUlllE1_EE10hipError_tPvRmT2_T3_mT4_P12ihipStream_tbEUlT_E_NS1_11comp_targetILNS1_3genE3ELNS1_11target_archE908ELNS1_3gpuE7ELNS1_3repE0EEENS1_30default_config_static_selectorELNS0_4arch9wavefront6targetE1EEEvT1_.kd
    .uniform_work_group_size: 1
    .uses_dynamic_stack: false
    .vgpr_count:     0
    .vgpr_spill_count: 0
    .wavefront_size: 64
  - .agpr_count:     0
    .args:
      - .offset:         0
        .size:           64
        .value_kind:     by_value
    .group_segment_fixed_size: 0
    .kernarg_segment_align: 8
    .kernarg_segment_size: 64
    .language:       OpenCL C
    .language_version:
      - 2
      - 0
    .max_flat_workgroup_size: 128
    .name:           _ZN7rocprim17ROCPRIM_400000_NS6detail17trampoline_kernelINS0_14default_configENS1_35adjacent_difference_config_selectorILb1ElEEZNS1_24adjacent_difference_implIS3_Lb1ELb0EPlS7_ZN2at6native12_GLOBAL__N_124unique_dim_cuda_templateIdEESt5tupleIJNS8_6TensorESD_SD_EERKSD_lbbbEUlllE1_EE10hipError_tPvRmT2_T3_mT4_P12ihipStream_tbEUlT_E_NS1_11comp_targetILNS1_3genE2ELNS1_11target_archE906ELNS1_3gpuE6ELNS1_3repE0EEENS1_30default_config_static_selectorELNS0_4arch9wavefront6targetE1EEEvT1_
    .private_segment_fixed_size: 0
    .sgpr_count:     6
    .sgpr_spill_count: 0
    .symbol:         _ZN7rocprim17ROCPRIM_400000_NS6detail17trampoline_kernelINS0_14default_configENS1_35adjacent_difference_config_selectorILb1ElEEZNS1_24adjacent_difference_implIS3_Lb1ELb0EPlS7_ZN2at6native12_GLOBAL__N_124unique_dim_cuda_templateIdEESt5tupleIJNS8_6TensorESD_SD_EERKSD_lbbbEUlllE1_EE10hipError_tPvRmT2_T3_mT4_P12ihipStream_tbEUlT_E_NS1_11comp_targetILNS1_3genE2ELNS1_11target_archE906ELNS1_3gpuE6ELNS1_3repE0EEENS1_30default_config_static_selectorELNS0_4arch9wavefront6targetE1EEEvT1_.kd
    .uniform_work_group_size: 1
    .uses_dynamic_stack: false
    .vgpr_count:     0
    .vgpr_spill_count: 0
    .wavefront_size: 64
  - .agpr_count:     0
    .args:
      - .offset:         0
        .size:           64
        .value_kind:     by_value
    .group_segment_fixed_size: 0
    .kernarg_segment_align: 8
    .kernarg_segment_size: 64
    .language:       OpenCL C
    .language_version:
      - 2
      - 0
    .max_flat_workgroup_size: 128
    .name:           _ZN7rocprim17ROCPRIM_400000_NS6detail17trampoline_kernelINS0_14default_configENS1_35adjacent_difference_config_selectorILb1ElEEZNS1_24adjacent_difference_implIS3_Lb1ELb0EPlS7_ZN2at6native12_GLOBAL__N_124unique_dim_cuda_templateIdEESt5tupleIJNS8_6TensorESD_SD_EERKSD_lbbbEUlllE1_EE10hipError_tPvRmT2_T3_mT4_P12ihipStream_tbEUlT_E_NS1_11comp_targetILNS1_3genE9ELNS1_11target_archE1100ELNS1_3gpuE3ELNS1_3repE0EEENS1_30default_config_static_selectorELNS0_4arch9wavefront6targetE1EEEvT1_
    .private_segment_fixed_size: 0
    .sgpr_count:     6
    .sgpr_spill_count: 0
    .symbol:         _ZN7rocprim17ROCPRIM_400000_NS6detail17trampoline_kernelINS0_14default_configENS1_35adjacent_difference_config_selectorILb1ElEEZNS1_24adjacent_difference_implIS3_Lb1ELb0EPlS7_ZN2at6native12_GLOBAL__N_124unique_dim_cuda_templateIdEESt5tupleIJNS8_6TensorESD_SD_EERKSD_lbbbEUlllE1_EE10hipError_tPvRmT2_T3_mT4_P12ihipStream_tbEUlT_E_NS1_11comp_targetILNS1_3genE9ELNS1_11target_archE1100ELNS1_3gpuE3ELNS1_3repE0EEENS1_30default_config_static_selectorELNS0_4arch9wavefront6targetE1EEEvT1_.kd
    .uniform_work_group_size: 1
    .uses_dynamic_stack: false
    .vgpr_count:     0
    .vgpr_spill_count: 0
    .wavefront_size: 64
  - .agpr_count:     0
    .args:
      - .offset:         0
        .size:           64
        .value_kind:     by_value
    .group_segment_fixed_size: 0
    .kernarg_segment_align: 8
    .kernarg_segment_size: 64
    .language:       OpenCL C
    .language_version:
      - 2
      - 0
    .max_flat_workgroup_size: 32
    .name:           _ZN7rocprim17ROCPRIM_400000_NS6detail17trampoline_kernelINS0_14default_configENS1_35adjacent_difference_config_selectorILb1ElEEZNS1_24adjacent_difference_implIS3_Lb1ELb0EPlS7_ZN2at6native12_GLOBAL__N_124unique_dim_cuda_templateIdEESt5tupleIJNS8_6TensorESD_SD_EERKSD_lbbbEUlllE1_EE10hipError_tPvRmT2_T3_mT4_P12ihipStream_tbEUlT_E_NS1_11comp_targetILNS1_3genE8ELNS1_11target_archE1030ELNS1_3gpuE2ELNS1_3repE0EEENS1_30default_config_static_selectorELNS0_4arch9wavefront6targetE1EEEvT1_
    .private_segment_fixed_size: 0
    .sgpr_count:     6
    .sgpr_spill_count: 0
    .symbol:         _ZN7rocprim17ROCPRIM_400000_NS6detail17trampoline_kernelINS0_14default_configENS1_35adjacent_difference_config_selectorILb1ElEEZNS1_24adjacent_difference_implIS3_Lb1ELb0EPlS7_ZN2at6native12_GLOBAL__N_124unique_dim_cuda_templateIdEESt5tupleIJNS8_6TensorESD_SD_EERKSD_lbbbEUlllE1_EE10hipError_tPvRmT2_T3_mT4_P12ihipStream_tbEUlT_E_NS1_11comp_targetILNS1_3genE8ELNS1_11target_archE1030ELNS1_3gpuE2ELNS1_3repE0EEENS1_30default_config_static_selectorELNS0_4arch9wavefront6targetE1EEEvT1_.kd
    .uniform_work_group_size: 1
    .uses_dynamic_stack: false
    .vgpr_count:     0
    .vgpr_spill_count: 0
    .wavefront_size: 64
  - .agpr_count:     0
    .args:
      - .offset:         0
        .size:           120
        .value_kind:     by_value
    .group_segment_fixed_size: 28680
    .kernarg_segment_align: 8
    .kernarg_segment_size: 120
    .language:       OpenCL C
    .language_version:
      - 2
      - 0
    .max_flat_workgroup_size: 512
    .name:           _ZN7rocprim17ROCPRIM_400000_NS6detail17trampoline_kernelINS0_14default_configENS1_25partition_config_selectorILNS1_17partition_subalgoE8ElNS0_10empty_typeEbEEZZNS1_14partition_implILS5_8ELb0ES3_jPlPS6_PKS6_NS0_5tupleIJS9_S6_EEENSD_IJSA_SA_EEENS0_18inequality_wrapperIZN2at6native12_GLOBAL__N_124unique_dim_cuda_templateIdEESt5tupleIJNSH_6TensorESM_SM_EERKSM_lbbbEUlllE0_EEPmJS6_EEE10hipError_tPvRmT3_T4_T5_T6_T7_T9_mT8_P12ihipStream_tbDpT10_ENKUlT_T0_E_clISt17integral_constantIbLb0EES1C_EEDaS17_S18_EUlS17_E_NS1_11comp_targetILNS1_3genE0ELNS1_11target_archE4294967295ELNS1_3gpuE0ELNS1_3repE0EEENS1_30default_config_static_selectorELNS0_4arch9wavefront6targetE1EEEvT1_
    .private_segment_fixed_size: 0
    .sgpr_count:     56
    .sgpr_spill_count: 0
    .symbol:         _ZN7rocprim17ROCPRIM_400000_NS6detail17trampoline_kernelINS0_14default_configENS1_25partition_config_selectorILNS1_17partition_subalgoE8ElNS0_10empty_typeEbEEZZNS1_14partition_implILS5_8ELb0ES3_jPlPS6_PKS6_NS0_5tupleIJS9_S6_EEENSD_IJSA_SA_EEENS0_18inequality_wrapperIZN2at6native12_GLOBAL__N_124unique_dim_cuda_templateIdEESt5tupleIJNSH_6TensorESM_SM_EERKSM_lbbbEUlllE0_EEPmJS6_EEE10hipError_tPvRmT3_T4_T5_T6_T7_T9_mT8_P12ihipStream_tbDpT10_ENKUlT_T0_E_clISt17integral_constantIbLb0EES1C_EEDaS17_S18_EUlS17_E_NS1_11comp_targetILNS1_3genE0ELNS1_11target_archE4294967295ELNS1_3gpuE0ELNS1_3repE0EEENS1_30default_config_static_selectorELNS0_4arch9wavefront6targetE1EEEvT1_.kd
    .uniform_work_group_size: 1
    .uses_dynamic_stack: false
    .vgpr_count:     58
    .vgpr_spill_count: 0
    .wavefront_size: 64
  - .agpr_count:     0
    .args:
      - .offset:         0
        .size:           120
        .value_kind:     by_value
    .group_segment_fixed_size: 0
    .kernarg_segment_align: 8
    .kernarg_segment_size: 120
    .language:       OpenCL C
    .language_version:
      - 2
      - 0
    .max_flat_workgroup_size: 512
    .name:           _ZN7rocprim17ROCPRIM_400000_NS6detail17trampoline_kernelINS0_14default_configENS1_25partition_config_selectorILNS1_17partition_subalgoE8ElNS0_10empty_typeEbEEZZNS1_14partition_implILS5_8ELb0ES3_jPlPS6_PKS6_NS0_5tupleIJS9_S6_EEENSD_IJSA_SA_EEENS0_18inequality_wrapperIZN2at6native12_GLOBAL__N_124unique_dim_cuda_templateIdEESt5tupleIJNSH_6TensorESM_SM_EERKSM_lbbbEUlllE0_EEPmJS6_EEE10hipError_tPvRmT3_T4_T5_T6_T7_T9_mT8_P12ihipStream_tbDpT10_ENKUlT_T0_E_clISt17integral_constantIbLb0EES1C_EEDaS17_S18_EUlS17_E_NS1_11comp_targetILNS1_3genE5ELNS1_11target_archE942ELNS1_3gpuE9ELNS1_3repE0EEENS1_30default_config_static_selectorELNS0_4arch9wavefront6targetE1EEEvT1_
    .private_segment_fixed_size: 0
    .sgpr_count:     6
    .sgpr_spill_count: 0
    .symbol:         _ZN7rocprim17ROCPRIM_400000_NS6detail17trampoline_kernelINS0_14default_configENS1_25partition_config_selectorILNS1_17partition_subalgoE8ElNS0_10empty_typeEbEEZZNS1_14partition_implILS5_8ELb0ES3_jPlPS6_PKS6_NS0_5tupleIJS9_S6_EEENSD_IJSA_SA_EEENS0_18inequality_wrapperIZN2at6native12_GLOBAL__N_124unique_dim_cuda_templateIdEESt5tupleIJNSH_6TensorESM_SM_EERKSM_lbbbEUlllE0_EEPmJS6_EEE10hipError_tPvRmT3_T4_T5_T6_T7_T9_mT8_P12ihipStream_tbDpT10_ENKUlT_T0_E_clISt17integral_constantIbLb0EES1C_EEDaS17_S18_EUlS17_E_NS1_11comp_targetILNS1_3genE5ELNS1_11target_archE942ELNS1_3gpuE9ELNS1_3repE0EEENS1_30default_config_static_selectorELNS0_4arch9wavefront6targetE1EEEvT1_.kd
    .uniform_work_group_size: 1
    .uses_dynamic_stack: false
    .vgpr_count:     0
    .vgpr_spill_count: 0
    .wavefront_size: 64
  - .agpr_count:     0
    .args:
      - .offset:         0
        .size:           120
        .value_kind:     by_value
    .group_segment_fixed_size: 0
    .kernarg_segment_align: 8
    .kernarg_segment_size: 120
    .language:       OpenCL C
    .language_version:
      - 2
      - 0
    .max_flat_workgroup_size: 256
    .name:           _ZN7rocprim17ROCPRIM_400000_NS6detail17trampoline_kernelINS0_14default_configENS1_25partition_config_selectorILNS1_17partition_subalgoE8ElNS0_10empty_typeEbEEZZNS1_14partition_implILS5_8ELb0ES3_jPlPS6_PKS6_NS0_5tupleIJS9_S6_EEENSD_IJSA_SA_EEENS0_18inequality_wrapperIZN2at6native12_GLOBAL__N_124unique_dim_cuda_templateIdEESt5tupleIJNSH_6TensorESM_SM_EERKSM_lbbbEUlllE0_EEPmJS6_EEE10hipError_tPvRmT3_T4_T5_T6_T7_T9_mT8_P12ihipStream_tbDpT10_ENKUlT_T0_E_clISt17integral_constantIbLb0EES1C_EEDaS17_S18_EUlS17_E_NS1_11comp_targetILNS1_3genE4ELNS1_11target_archE910ELNS1_3gpuE8ELNS1_3repE0EEENS1_30default_config_static_selectorELNS0_4arch9wavefront6targetE1EEEvT1_
    .private_segment_fixed_size: 0
    .sgpr_count:     6
    .sgpr_spill_count: 0
    .symbol:         _ZN7rocprim17ROCPRIM_400000_NS6detail17trampoline_kernelINS0_14default_configENS1_25partition_config_selectorILNS1_17partition_subalgoE8ElNS0_10empty_typeEbEEZZNS1_14partition_implILS5_8ELb0ES3_jPlPS6_PKS6_NS0_5tupleIJS9_S6_EEENSD_IJSA_SA_EEENS0_18inequality_wrapperIZN2at6native12_GLOBAL__N_124unique_dim_cuda_templateIdEESt5tupleIJNSH_6TensorESM_SM_EERKSM_lbbbEUlllE0_EEPmJS6_EEE10hipError_tPvRmT3_T4_T5_T6_T7_T9_mT8_P12ihipStream_tbDpT10_ENKUlT_T0_E_clISt17integral_constantIbLb0EES1C_EEDaS17_S18_EUlS17_E_NS1_11comp_targetILNS1_3genE4ELNS1_11target_archE910ELNS1_3gpuE8ELNS1_3repE0EEENS1_30default_config_static_selectorELNS0_4arch9wavefront6targetE1EEEvT1_.kd
    .uniform_work_group_size: 1
    .uses_dynamic_stack: false
    .vgpr_count:     0
    .vgpr_spill_count: 0
    .wavefront_size: 64
  - .agpr_count:     0
    .args:
      - .offset:         0
        .size:           120
        .value_kind:     by_value
    .group_segment_fixed_size: 0
    .kernarg_segment_align: 8
    .kernarg_segment_size: 120
    .language:       OpenCL C
    .language_version:
      - 2
      - 0
    .max_flat_workgroup_size: 512
    .name:           _ZN7rocprim17ROCPRIM_400000_NS6detail17trampoline_kernelINS0_14default_configENS1_25partition_config_selectorILNS1_17partition_subalgoE8ElNS0_10empty_typeEbEEZZNS1_14partition_implILS5_8ELb0ES3_jPlPS6_PKS6_NS0_5tupleIJS9_S6_EEENSD_IJSA_SA_EEENS0_18inequality_wrapperIZN2at6native12_GLOBAL__N_124unique_dim_cuda_templateIdEESt5tupleIJNSH_6TensorESM_SM_EERKSM_lbbbEUlllE0_EEPmJS6_EEE10hipError_tPvRmT3_T4_T5_T6_T7_T9_mT8_P12ihipStream_tbDpT10_ENKUlT_T0_E_clISt17integral_constantIbLb0EES1C_EEDaS17_S18_EUlS17_E_NS1_11comp_targetILNS1_3genE3ELNS1_11target_archE908ELNS1_3gpuE7ELNS1_3repE0EEENS1_30default_config_static_selectorELNS0_4arch9wavefront6targetE1EEEvT1_
    .private_segment_fixed_size: 0
    .sgpr_count:     6
    .sgpr_spill_count: 0
    .symbol:         _ZN7rocprim17ROCPRIM_400000_NS6detail17trampoline_kernelINS0_14default_configENS1_25partition_config_selectorILNS1_17partition_subalgoE8ElNS0_10empty_typeEbEEZZNS1_14partition_implILS5_8ELb0ES3_jPlPS6_PKS6_NS0_5tupleIJS9_S6_EEENSD_IJSA_SA_EEENS0_18inequality_wrapperIZN2at6native12_GLOBAL__N_124unique_dim_cuda_templateIdEESt5tupleIJNSH_6TensorESM_SM_EERKSM_lbbbEUlllE0_EEPmJS6_EEE10hipError_tPvRmT3_T4_T5_T6_T7_T9_mT8_P12ihipStream_tbDpT10_ENKUlT_T0_E_clISt17integral_constantIbLb0EES1C_EEDaS17_S18_EUlS17_E_NS1_11comp_targetILNS1_3genE3ELNS1_11target_archE908ELNS1_3gpuE7ELNS1_3repE0EEENS1_30default_config_static_selectorELNS0_4arch9wavefront6targetE1EEEvT1_.kd
    .uniform_work_group_size: 1
    .uses_dynamic_stack: false
    .vgpr_count:     0
    .vgpr_spill_count: 0
    .wavefront_size: 64
  - .agpr_count:     0
    .args:
      - .offset:         0
        .size:           120
        .value_kind:     by_value
    .group_segment_fixed_size: 0
    .kernarg_segment_align: 8
    .kernarg_segment_size: 120
    .language:       OpenCL C
    .language_version:
      - 2
      - 0
    .max_flat_workgroup_size: 256
    .name:           _ZN7rocprim17ROCPRIM_400000_NS6detail17trampoline_kernelINS0_14default_configENS1_25partition_config_selectorILNS1_17partition_subalgoE8ElNS0_10empty_typeEbEEZZNS1_14partition_implILS5_8ELb0ES3_jPlPS6_PKS6_NS0_5tupleIJS9_S6_EEENSD_IJSA_SA_EEENS0_18inequality_wrapperIZN2at6native12_GLOBAL__N_124unique_dim_cuda_templateIdEESt5tupleIJNSH_6TensorESM_SM_EERKSM_lbbbEUlllE0_EEPmJS6_EEE10hipError_tPvRmT3_T4_T5_T6_T7_T9_mT8_P12ihipStream_tbDpT10_ENKUlT_T0_E_clISt17integral_constantIbLb0EES1C_EEDaS17_S18_EUlS17_E_NS1_11comp_targetILNS1_3genE2ELNS1_11target_archE906ELNS1_3gpuE6ELNS1_3repE0EEENS1_30default_config_static_selectorELNS0_4arch9wavefront6targetE1EEEvT1_
    .private_segment_fixed_size: 0
    .sgpr_count:     6
    .sgpr_spill_count: 0
    .symbol:         _ZN7rocprim17ROCPRIM_400000_NS6detail17trampoline_kernelINS0_14default_configENS1_25partition_config_selectorILNS1_17partition_subalgoE8ElNS0_10empty_typeEbEEZZNS1_14partition_implILS5_8ELb0ES3_jPlPS6_PKS6_NS0_5tupleIJS9_S6_EEENSD_IJSA_SA_EEENS0_18inequality_wrapperIZN2at6native12_GLOBAL__N_124unique_dim_cuda_templateIdEESt5tupleIJNSH_6TensorESM_SM_EERKSM_lbbbEUlllE0_EEPmJS6_EEE10hipError_tPvRmT3_T4_T5_T6_T7_T9_mT8_P12ihipStream_tbDpT10_ENKUlT_T0_E_clISt17integral_constantIbLb0EES1C_EEDaS17_S18_EUlS17_E_NS1_11comp_targetILNS1_3genE2ELNS1_11target_archE906ELNS1_3gpuE6ELNS1_3repE0EEENS1_30default_config_static_selectorELNS0_4arch9wavefront6targetE1EEEvT1_.kd
    .uniform_work_group_size: 1
    .uses_dynamic_stack: false
    .vgpr_count:     0
    .vgpr_spill_count: 0
    .wavefront_size: 64
  - .agpr_count:     0
    .args:
      - .offset:         0
        .size:           120
        .value_kind:     by_value
    .group_segment_fixed_size: 0
    .kernarg_segment_align: 8
    .kernarg_segment_size: 120
    .language:       OpenCL C
    .language_version:
      - 2
      - 0
    .max_flat_workgroup_size: 384
    .name:           _ZN7rocprim17ROCPRIM_400000_NS6detail17trampoline_kernelINS0_14default_configENS1_25partition_config_selectorILNS1_17partition_subalgoE8ElNS0_10empty_typeEbEEZZNS1_14partition_implILS5_8ELb0ES3_jPlPS6_PKS6_NS0_5tupleIJS9_S6_EEENSD_IJSA_SA_EEENS0_18inequality_wrapperIZN2at6native12_GLOBAL__N_124unique_dim_cuda_templateIdEESt5tupleIJNSH_6TensorESM_SM_EERKSM_lbbbEUlllE0_EEPmJS6_EEE10hipError_tPvRmT3_T4_T5_T6_T7_T9_mT8_P12ihipStream_tbDpT10_ENKUlT_T0_E_clISt17integral_constantIbLb0EES1C_EEDaS17_S18_EUlS17_E_NS1_11comp_targetILNS1_3genE10ELNS1_11target_archE1200ELNS1_3gpuE4ELNS1_3repE0EEENS1_30default_config_static_selectorELNS0_4arch9wavefront6targetE1EEEvT1_
    .private_segment_fixed_size: 0
    .sgpr_count:     6
    .sgpr_spill_count: 0
    .symbol:         _ZN7rocprim17ROCPRIM_400000_NS6detail17trampoline_kernelINS0_14default_configENS1_25partition_config_selectorILNS1_17partition_subalgoE8ElNS0_10empty_typeEbEEZZNS1_14partition_implILS5_8ELb0ES3_jPlPS6_PKS6_NS0_5tupleIJS9_S6_EEENSD_IJSA_SA_EEENS0_18inequality_wrapperIZN2at6native12_GLOBAL__N_124unique_dim_cuda_templateIdEESt5tupleIJNSH_6TensorESM_SM_EERKSM_lbbbEUlllE0_EEPmJS6_EEE10hipError_tPvRmT3_T4_T5_T6_T7_T9_mT8_P12ihipStream_tbDpT10_ENKUlT_T0_E_clISt17integral_constantIbLb0EES1C_EEDaS17_S18_EUlS17_E_NS1_11comp_targetILNS1_3genE10ELNS1_11target_archE1200ELNS1_3gpuE4ELNS1_3repE0EEENS1_30default_config_static_selectorELNS0_4arch9wavefront6targetE1EEEvT1_.kd
    .uniform_work_group_size: 1
    .uses_dynamic_stack: false
    .vgpr_count:     0
    .vgpr_spill_count: 0
    .wavefront_size: 64
  - .agpr_count:     0
    .args:
      - .offset:         0
        .size:           120
        .value_kind:     by_value
    .group_segment_fixed_size: 0
    .kernarg_segment_align: 8
    .kernarg_segment_size: 120
    .language:       OpenCL C
    .language_version:
      - 2
      - 0
    .max_flat_workgroup_size: 512
    .name:           _ZN7rocprim17ROCPRIM_400000_NS6detail17trampoline_kernelINS0_14default_configENS1_25partition_config_selectorILNS1_17partition_subalgoE8ElNS0_10empty_typeEbEEZZNS1_14partition_implILS5_8ELb0ES3_jPlPS6_PKS6_NS0_5tupleIJS9_S6_EEENSD_IJSA_SA_EEENS0_18inequality_wrapperIZN2at6native12_GLOBAL__N_124unique_dim_cuda_templateIdEESt5tupleIJNSH_6TensorESM_SM_EERKSM_lbbbEUlllE0_EEPmJS6_EEE10hipError_tPvRmT3_T4_T5_T6_T7_T9_mT8_P12ihipStream_tbDpT10_ENKUlT_T0_E_clISt17integral_constantIbLb0EES1C_EEDaS17_S18_EUlS17_E_NS1_11comp_targetILNS1_3genE9ELNS1_11target_archE1100ELNS1_3gpuE3ELNS1_3repE0EEENS1_30default_config_static_selectorELNS0_4arch9wavefront6targetE1EEEvT1_
    .private_segment_fixed_size: 0
    .sgpr_count:     6
    .sgpr_spill_count: 0
    .symbol:         _ZN7rocprim17ROCPRIM_400000_NS6detail17trampoline_kernelINS0_14default_configENS1_25partition_config_selectorILNS1_17partition_subalgoE8ElNS0_10empty_typeEbEEZZNS1_14partition_implILS5_8ELb0ES3_jPlPS6_PKS6_NS0_5tupleIJS9_S6_EEENSD_IJSA_SA_EEENS0_18inequality_wrapperIZN2at6native12_GLOBAL__N_124unique_dim_cuda_templateIdEESt5tupleIJNSH_6TensorESM_SM_EERKSM_lbbbEUlllE0_EEPmJS6_EEE10hipError_tPvRmT3_T4_T5_T6_T7_T9_mT8_P12ihipStream_tbDpT10_ENKUlT_T0_E_clISt17integral_constantIbLb0EES1C_EEDaS17_S18_EUlS17_E_NS1_11comp_targetILNS1_3genE9ELNS1_11target_archE1100ELNS1_3gpuE3ELNS1_3repE0EEENS1_30default_config_static_selectorELNS0_4arch9wavefront6targetE1EEEvT1_.kd
    .uniform_work_group_size: 1
    .uses_dynamic_stack: false
    .vgpr_count:     0
    .vgpr_spill_count: 0
    .wavefront_size: 64
  - .agpr_count:     0
    .args:
      - .offset:         0
        .size:           120
        .value_kind:     by_value
    .group_segment_fixed_size: 0
    .kernarg_segment_align: 8
    .kernarg_segment_size: 120
    .language:       OpenCL C
    .language_version:
      - 2
      - 0
    .max_flat_workgroup_size: 512
    .name:           _ZN7rocprim17ROCPRIM_400000_NS6detail17trampoline_kernelINS0_14default_configENS1_25partition_config_selectorILNS1_17partition_subalgoE8ElNS0_10empty_typeEbEEZZNS1_14partition_implILS5_8ELb0ES3_jPlPS6_PKS6_NS0_5tupleIJS9_S6_EEENSD_IJSA_SA_EEENS0_18inequality_wrapperIZN2at6native12_GLOBAL__N_124unique_dim_cuda_templateIdEESt5tupleIJNSH_6TensorESM_SM_EERKSM_lbbbEUlllE0_EEPmJS6_EEE10hipError_tPvRmT3_T4_T5_T6_T7_T9_mT8_P12ihipStream_tbDpT10_ENKUlT_T0_E_clISt17integral_constantIbLb0EES1C_EEDaS17_S18_EUlS17_E_NS1_11comp_targetILNS1_3genE8ELNS1_11target_archE1030ELNS1_3gpuE2ELNS1_3repE0EEENS1_30default_config_static_selectorELNS0_4arch9wavefront6targetE1EEEvT1_
    .private_segment_fixed_size: 0
    .sgpr_count:     6
    .sgpr_spill_count: 0
    .symbol:         _ZN7rocprim17ROCPRIM_400000_NS6detail17trampoline_kernelINS0_14default_configENS1_25partition_config_selectorILNS1_17partition_subalgoE8ElNS0_10empty_typeEbEEZZNS1_14partition_implILS5_8ELb0ES3_jPlPS6_PKS6_NS0_5tupleIJS9_S6_EEENSD_IJSA_SA_EEENS0_18inequality_wrapperIZN2at6native12_GLOBAL__N_124unique_dim_cuda_templateIdEESt5tupleIJNSH_6TensorESM_SM_EERKSM_lbbbEUlllE0_EEPmJS6_EEE10hipError_tPvRmT3_T4_T5_T6_T7_T9_mT8_P12ihipStream_tbDpT10_ENKUlT_T0_E_clISt17integral_constantIbLb0EES1C_EEDaS17_S18_EUlS17_E_NS1_11comp_targetILNS1_3genE8ELNS1_11target_archE1030ELNS1_3gpuE2ELNS1_3repE0EEENS1_30default_config_static_selectorELNS0_4arch9wavefront6targetE1EEEvT1_.kd
    .uniform_work_group_size: 1
    .uses_dynamic_stack: false
    .vgpr_count:     0
    .vgpr_spill_count: 0
    .wavefront_size: 64
  - .agpr_count:     0
    .args:
      - .offset:         0
        .size:           136
        .value_kind:     by_value
    .group_segment_fixed_size: 0
    .kernarg_segment_align: 8
    .kernarg_segment_size: 136
    .language:       OpenCL C
    .language_version:
      - 2
      - 0
    .max_flat_workgroup_size: 512
    .name:           _ZN7rocprim17ROCPRIM_400000_NS6detail17trampoline_kernelINS0_14default_configENS1_25partition_config_selectorILNS1_17partition_subalgoE8ElNS0_10empty_typeEbEEZZNS1_14partition_implILS5_8ELb0ES3_jPlPS6_PKS6_NS0_5tupleIJS9_S6_EEENSD_IJSA_SA_EEENS0_18inequality_wrapperIZN2at6native12_GLOBAL__N_124unique_dim_cuda_templateIdEESt5tupleIJNSH_6TensorESM_SM_EERKSM_lbbbEUlllE0_EEPmJS6_EEE10hipError_tPvRmT3_T4_T5_T6_T7_T9_mT8_P12ihipStream_tbDpT10_ENKUlT_T0_E_clISt17integral_constantIbLb1EES1C_EEDaS17_S18_EUlS17_E_NS1_11comp_targetILNS1_3genE0ELNS1_11target_archE4294967295ELNS1_3gpuE0ELNS1_3repE0EEENS1_30default_config_static_selectorELNS0_4arch9wavefront6targetE1EEEvT1_
    .private_segment_fixed_size: 0
    .sgpr_count:     6
    .sgpr_spill_count: 0
    .symbol:         _ZN7rocprim17ROCPRIM_400000_NS6detail17trampoline_kernelINS0_14default_configENS1_25partition_config_selectorILNS1_17partition_subalgoE8ElNS0_10empty_typeEbEEZZNS1_14partition_implILS5_8ELb0ES3_jPlPS6_PKS6_NS0_5tupleIJS9_S6_EEENSD_IJSA_SA_EEENS0_18inequality_wrapperIZN2at6native12_GLOBAL__N_124unique_dim_cuda_templateIdEESt5tupleIJNSH_6TensorESM_SM_EERKSM_lbbbEUlllE0_EEPmJS6_EEE10hipError_tPvRmT3_T4_T5_T6_T7_T9_mT8_P12ihipStream_tbDpT10_ENKUlT_T0_E_clISt17integral_constantIbLb1EES1C_EEDaS17_S18_EUlS17_E_NS1_11comp_targetILNS1_3genE0ELNS1_11target_archE4294967295ELNS1_3gpuE0ELNS1_3repE0EEENS1_30default_config_static_selectorELNS0_4arch9wavefront6targetE1EEEvT1_.kd
    .uniform_work_group_size: 1
    .uses_dynamic_stack: false
    .vgpr_count:     0
    .vgpr_spill_count: 0
    .wavefront_size: 64
  - .agpr_count:     0
    .args:
      - .offset:         0
        .size:           136
        .value_kind:     by_value
    .group_segment_fixed_size: 0
    .kernarg_segment_align: 8
    .kernarg_segment_size: 136
    .language:       OpenCL C
    .language_version:
      - 2
      - 0
    .max_flat_workgroup_size: 512
    .name:           _ZN7rocprim17ROCPRIM_400000_NS6detail17trampoline_kernelINS0_14default_configENS1_25partition_config_selectorILNS1_17partition_subalgoE8ElNS0_10empty_typeEbEEZZNS1_14partition_implILS5_8ELb0ES3_jPlPS6_PKS6_NS0_5tupleIJS9_S6_EEENSD_IJSA_SA_EEENS0_18inequality_wrapperIZN2at6native12_GLOBAL__N_124unique_dim_cuda_templateIdEESt5tupleIJNSH_6TensorESM_SM_EERKSM_lbbbEUlllE0_EEPmJS6_EEE10hipError_tPvRmT3_T4_T5_T6_T7_T9_mT8_P12ihipStream_tbDpT10_ENKUlT_T0_E_clISt17integral_constantIbLb1EES1C_EEDaS17_S18_EUlS17_E_NS1_11comp_targetILNS1_3genE5ELNS1_11target_archE942ELNS1_3gpuE9ELNS1_3repE0EEENS1_30default_config_static_selectorELNS0_4arch9wavefront6targetE1EEEvT1_
    .private_segment_fixed_size: 0
    .sgpr_count:     6
    .sgpr_spill_count: 0
    .symbol:         _ZN7rocprim17ROCPRIM_400000_NS6detail17trampoline_kernelINS0_14default_configENS1_25partition_config_selectorILNS1_17partition_subalgoE8ElNS0_10empty_typeEbEEZZNS1_14partition_implILS5_8ELb0ES3_jPlPS6_PKS6_NS0_5tupleIJS9_S6_EEENSD_IJSA_SA_EEENS0_18inequality_wrapperIZN2at6native12_GLOBAL__N_124unique_dim_cuda_templateIdEESt5tupleIJNSH_6TensorESM_SM_EERKSM_lbbbEUlllE0_EEPmJS6_EEE10hipError_tPvRmT3_T4_T5_T6_T7_T9_mT8_P12ihipStream_tbDpT10_ENKUlT_T0_E_clISt17integral_constantIbLb1EES1C_EEDaS17_S18_EUlS17_E_NS1_11comp_targetILNS1_3genE5ELNS1_11target_archE942ELNS1_3gpuE9ELNS1_3repE0EEENS1_30default_config_static_selectorELNS0_4arch9wavefront6targetE1EEEvT1_.kd
    .uniform_work_group_size: 1
    .uses_dynamic_stack: false
    .vgpr_count:     0
    .vgpr_spill_count: 0
    .wavefront_size: 64
  - .agpr_count:     0
    .args:
      - .offset:         0
        .size:           136
        .value_kind:     by_value
    .group_segment_fixed_size: 0
    .kernarg_segment_align: 8
    .kernarg_segment_size: 136
    .language:       OpenCL C
    .language_version:
      - 2
      - 0
    .max_flat_workgroup_size: 256
    .name:           _ZN7rocprim17ROCPRIM_400000_NS6detail17trampoline_kernelINS0_14default_configENS1_25partition_config_selectorILNS1_17partition_subalgoE8ElNS0_10empty_typeEbEEZZNS1_14partition_implILS5_8ELb0ES3_jPlPS6_PKS6_NS0_5tupleIJS9_S6_EEENSD_IJSA_SA_EEENS0_18inequality_wrapperIZN2at6native12_GLOBAL__N_124unique_dim_cuda_templateIdEESt5tupleIJNSH_6TensorESM_SM_EERKSM_lbbbEUlllE0_EEPmJS6_EEE10hipError_tPvRmT3_T4_T5_T6_T7_T9_mT8_P12ihipStream_tbDpT10_ENKUlT_T0_E_clISt17integral_constantIbLb1EES1C_EEDaS17_S18_EUlS17_E_NS1_11comp_targetILNS1_3genE4ELNS1_11target_archE910ELNS1_3gpuE8ELNS1_3repE0EEENS1_30default_config_static_selectorELNS0_4arch9wavefront6targetE1EEEvT1_
    .private_segment_fixed_size: 0
    .sgpr_count:     6
    .sgpr_spill_count: 0
    .symbol:         _ZN7rocprim17ROCPRIM_400000_NS6detail17trampoline_kernelINS0_14default_configENS1_25partition_config_selectorILNS1_17partition_subalgoE8ElNS0_10empty_typeEbEEZZNS1_14partition_implILS5_8ELb0ES3_jPlPS6_PKS6_NS0_5tupleIJS9_S6_EEENSD_IJSA_SA_EEENS0_18inequality_wrapperIZN2at6native12_GLOBAL__N_124unique_dim_cuda_templateIdEESt5tupleIJNSH_6TensorESM_SM_EERKSM_lbbbEUlllE0_EEPmJS6_EEE10hipError_tPvRmT3_T4_T5_T6_T7_T9_mT8_P12ihipStream_tbDpT10_ENKUlT_T0_E_clISt17integral_constantIbLb1EES1C_EEDaS17_S18_EUlS17_E_NS1_11comp_targetILNS1_3genE4ELNS1_11target_archE910ELNS1_3gpuE8ELNS1_3repE0EEENS1_30default_config_static_selectorELNS0_4arch9wavefront6targetE1EEEvT1_.kd
    .uniform_work_group_size: 1
    .uses_dynamic_stack: false
    .vgpr_count:     0
    .vgpr_spill_count: 0
    .wavefront_size: 64
  - .agpr_count:     0
    .args:
      - .offset:         0
        .size:           136
        .value_kind:     by_value
    .group_segment_fixed_size: 0
    .kernarg_segment_align: 8
    .kernarg_segment_size: 136
    .language:       OpenCL C
    .language_version:
      - 2
      - 0
    .max_flat_workgroup_size: 512
    .name:           _ZN7rocprim17ROCPRIM_400000_NS6detail17trampoline_kernelINS0_14default_configENS1_25partition_config_selectorILNS1_17partition_subalgoE8ElNS0_10empty_typeEbEEZZNS1_14partition_implILS5_8ELb0ES3_jPlPS6_PKS6_NS0_5tupleIJS9_S6_EEENSD_IJSA_SA_EEENS0_18inequality_wrapperIZN2at6native12_GLOBAL__N_124unique_dim_cuda_templateIdEESt5tupleIJNSH_6TensorESM_SM_EERKSM_lbbbEUlllE0_EEPmJS6_EEE10hipError_tPvRmT3_T4_T5_T6_T7_T9_mT8_P12ihipStream_tbDpT10_ENKUlT_T0_E_clISt17integral_constantIbLb1EES1C_EEDaS17_S18_EUlS17_E_NS1_11comp_targetILNS1_3genE3ELNS1_11target_archE908ELNS1_3gpuE7ELNS1_3repE0EEENS1_30default_config_static_selectorELNS0_4arch9wavefront6targetE1EEEvT1_
    .private_segment_fixed_size: 0
    .sgpr_count:     6
    .sgpr_spill_count: 0
    .symbol:         _ZN7rocprim17ROCPRIM_400000_NS6detail17trampoline_kernelINS0_14default_configENS1_25partition_config_selectorILNS1_17partition_subalgoE8ElNS0_10empty_typeEbEEZZNS1_14partition_implILS5_8ELb0ES3_jPlPS6_PKS6_NS0_5tupleIJS9_S6_EEENSD_IJSA_SA_EEENS0_18inequality_wrapperIZN2at6native12_GLOBAL__N_124unique_dim_cuda_templateIdEESt5tupleIJNSH_6TensorESM_SM_EERKSM_lbbbEUlllE0_EEPmJS6_EEE10hipError_tPvRmT3_T4_T5_T6_T7_T9_mT8_P12ihipStream_tbDpT10_ENKUlT_T0_E_clISt17integral_constantIbLb1EES1C_EEDaS17_S18_EUlS17_E_NS1_11comp_targetILNS1_3genE3ELNS1_11target_archE908ELNS1_3gpuE7ELNS1_3repE0EEENS1_30default_config_static_selectorELNS0_4arch9wavefront6targetE1EEEvT1_.kd
    .uniform_work_group_size: 1
    .uses_dynamic_stack: false
    .vgpr_count:     0
    .vgpr_spill_count: 0
    .wavefront_size: 64
  - .agpr_count:     0
    .args:
      - .offset:         0
        .size:           136
        .value_kind:     by_value
    .group_segment_fixed_size: 0
    .kernarg_segment_align: 8
    .kernarg_segment_size: 136
    .language:       OpenCL C
    .language_version:
      - 2
      - 0
    .max_flat_workgroup_size: 256
    .name:           _ZN7rocprim17ROCPRIM_400000_NS6detail17trampoline_kernelINS0_14default_configENS1_25partition_config_selectorILNS1_17partition_subalgoE8ElNS0_10empty_typeEbEEZZNS1_14partition_implILS5_8ELb0ES3_jPlPS6_PKS6_NS0_5tupleIJS9_S6_EEENSD_IJSA_SA_EEENS0_18inequality_wrapperIZN2at6native12_GLOBAL__N_124unique_dim_cuda_templateIdEESt5tupleIJNSH_6TensorESM_SM_EERKSM_lbbbEUlllE0_EEPmJS6_EEE10hipError_tPvRmT3_T4_T5_T6_T7_T9_mT8_P12ihipStream_tbDpT10_ENKUlT_T0_E_clISt17integral_constantIbLb1EES1C_EEDaS17_S18_EUlS17_E_NS1_11comp_targetILNS1_3genE2ELNS1_11target_archE906ELNS1_3gpuE6ELNS1_3repE0EEENS1_30default_config_static_selectorELNS0_4arch9wavefront6targetE1EEEvT1_
    .private_segment_fixed_size: 0
    .sgpr_count:     6
    .sgpr_spill_count: 0
    .symbol:         _ZN7rocprim17ROCPRIM_400000_NS6detail17trampoline_kernelINS0_14default_configENS1_25partition_config_selectorILNS1_17partition_subalgoE8ElNS0_10empty_typeEbEEZZNS1_14partition_implILS5_8ELb0ES3_jPlPS6_PKS6_NS0_5tupleIJS9_S6_EEENSD_IJSA_SA_EEENS0_18inequality_wrapperIZN2at6native12_GLOBAL__N_124unique_dim_cuda_templateIdEESt5tupleIJNSH_6TensorESM_SM_EERKSM_lbbbEUlllE0_EEPmJS6_EEE10hipError_tPvRmT3_T4_T5_T6_T7_T9_mT8_P12ihipStream_tbDpT10_ENKUlT_T0_E_clISt17integral_constantIbLb1EES1C_EEDaS17_S18_EUlS17_E_NS1_11comp_targetILNS1_3genE2ELNS1_11target_archE906ELNS1_3gpuE6ELNS1_3repE0EEENS1_30default_config_static_selectorELNS0_4arch9wavefront6targetE1EEEvT1_.kd
    .uniform_work_group_size: 1
    .uses_dynamic_stack: false
    .vgpr_count:     0
    .vgpr_spill_count: 0
    .wavefront_size: 64
  - .agpr_count:     0
    .args:
      - .offset:         0
        .size:           136
        .value_kind:     by_value
    .group_segment_fixed_size: 0
    .kernarg_segment_align: 8
    .kernarg_segment_size: 136
    .language:       OpenCL C
    .language_version:
      - 2
      - 0
    .max_flat_workgroup_size: 384
    .name:           _ZN7rocprim17ROCPRIM_400000_NS6detail17trampoline_kernelINS0_14default_configENS1_25partition_config_selectorILNS1_17partition_subalgoE8ElNS0_10empty_typeEbEEZZNS1_14partition_implILS5_8ELb0ES3_jPlPS6_PKS6_NS0_5tupleIJS9_S6_EEENSD_IJSA_SA_EEENS0_18inequality_wrapperIZN2at6native12_GLOBAL__N_124unique_dim_cuda_templateIdEESt5tupleIJNSH_6TensorESM_SM_EERKSM_lbbbEUlllE0_EEPmJS6_EEE10hipError_tPvRmT3_T4_T5_T6_T7_T9_mT8_P12ihipStream_tbDpT10_ENKUlT_T0_E_clISt17integral_constantIbLb1EES1C_EEDaS17_S18_EUlS17_E_NS1_11comp_targetILNS1_3genE10ELNS1_11target_archE1200ELNS1_3gpuE4ELNS1_3repE0EEENS1_30default_config_static_selectorELNS0_4arch9wavefront6targetE1EEEvT1_
    .private_segment_fixed_size: 0
    .sgpr_count:     6
    .sgpr_spill_count: 0
    .symbol:         _ZN7rocprim17ROCPRIM_400000_NS6detail17trampoline_kernelINS0_14default_configENS1_25partition_config_selectorILNS1_17partition_subalgoE8ElNS0_10empty_typeEbEEZZNS1_14partition_implILS5_8ELb0ES3_jPlPS6_PKS6_NS0_5tupleIJS9_S6_EEENSD_IJSA_SA_EEENS0_18inequality_wrapperIZN2at6native12_GLOBAL__N_124unique_dim_cuda_templateIdEESt5tupleIJNSH_6TensorESM_SM_EERKSM_lbbbEUlllE0_EEPmJS6_EEE10hipError_tPvRmT3_T4_T5_T6_T7_T9_mT8_P12ihipStream_tbDpT10_ENKUlT_T0_E_clISt17integral_constantIbLb1EES1C_EEDaS17_S18_EUlS17_E_NS1_11comp_targetILNS1_3genE10ELNS1_11target_archE1200ELNS1_3gpuE4ELNS1_3repE0EEENS1_30default_config_static_selectorELNS0_4arch9wavefront6targetE1EEEvT1_.kd
    .uniform_work_group_size: 1
    .uses_dynamic_stack: false
    .vgpr_count:     0
    .vgpr_spill_count: 0
    .wavefront_size: 64
  - .agpr_count:     0
    .args:
      - .offset:         0
        .size:           136
        .value_kind:     by_value
    .group_segment_fixed_size: 0
    .kernarg_segment_align: 8
    .kernarg_segment_size: 136
    .language:       OpenCL C
    .language_version:
      - 2
      - 0
    .max_flat_workgroup_size: 512
    .name:           _ZN7rocprim17ROCPRIM_400000_NS6detail17trampoline_kernelINS0_14default_configENS1_25partition_config_selectorILNS1_17partition_subalgoE8ElNS0_10empty_typeEbEEZZNS1_14partition_implILS5_8ELb0ES3_jPlPS6_PKS6_NS0_5tupleIJS9_S6_EEENSD_IJSA_SA_EEENS0_18inequality_wrapperIZN2at6native12_GLOBAL__N_124unique_dim_cuda_templateIdEESt5tupleIJNSH_6TensorESM_SM_EERKSM_lbbbEUlllE0_EEPmJS6_EEE10hipError_tPvRmT3_T4_T5_T6_T7_T9_mT8_P12ihipStream_tbDpT10_ENKUlT_T0_E_clISt17integral_constantIbLb1EES1C_EEDaS17_S18_EUlS17_E_NS1_11comp_targetILNS1_3genE9ELNS1_11target_archE1100ELNS1_3gpuE3ELNS1_3repE0EEENS1_30default_config_static_selectorELNS0_4arch9wavefront6targetE1EEEvT1_
    .private_segment_fixed_size: 0
    .sgpr_count:     6
    .sgpr_spill_count: 0
    .symbol:         _ZN7rocprim17ROCPRIM_400000_NS6detail17trampoline_kernelINS0_14default_configENS1_25partition_config_selectorILNS1_17partition_subalgoE8ElNS0_10empty_typeEbEEZZNS1_14partition_implILS5_8ELb0ES3_jPlPS6_PKS6_NS0_5tupleIJS9_S6_EEENSD_IJSA_SA_EEENS0_18inequality_wrapperIZN2at6native12_GLOBAL__N_124unique_dim_cuda_templateIdEESt5tupleIJNSH_6TensorESM_SM_EERKSM_lbbbEUlllE0_EEPmJS6_EEE10hipError_tPvRmT3_T4_T5_T6_T7_T9_mT8_P12ihipStream_tbDpT10_ENKUlT_T0_E_clISt17integral_constantIbLb1EES1C_EEDaS17_S18_EUlS17_E_NS1_11comp_targetILNS1_3genE9ELNS1_11target_archE1100ELNS1_3gpuE3ELNS1_3repE0EEENS1_30default_config_static_selectorELNS0_4arch9wavefront6targetE1EEEvT1_.kd
    .uniform_work_group_size: 1
    .uses_dynamic_stack: false
    .vgpr_count:     0
    .vgpr_spill_count: 0
    .wavefront_size: 64
  - .agpr_count:     0
    .args:
      - .offset:         0
        .size:           136
        .value_kind:     by_value
    .group_segment_fixed_size: 0
    .kernarg_segment_align: 8
    .kernarg_segment_size: 136
    .language:       OpenCL C
    .language_version:
      - 2
      - 0
    .max_flat_workgroup_size: 512
    .name:           _ZN7rocprim17ROCPRIM_400000_NS6detail17trampoline_kernelINS0_14default_configENS1_25partition_config_selectorILNS1_17partition_subalgoE8ElNS0_10empty_typeEbEEZZNS1_14partition_implILS5_8ELb0ES3_jPlPS6_PKS6_NS0_5tupleIJS9_S6_EEENSD_IJSA_SA_EEENS0_18inequality_wrapperIZN2at6native12_GLOBAL__N_124unique_dim_cuda_templateIdEESt5tupleIJNSH_6TensorESM_SM_EERKSM_lbbbEUlllE0_EEPmJS6_EEE10hipError_tPvRmT3_T4_T5_T6_T7_T9_mT8_P12ihipStream_tbDpT10_ENKUlT_T0_E_clISt17integral_constantIbLb1EES1C_EEDaS17_S18_EUlS17_E_NS1_11comp_targetILNS1_3genE8ELNS1_11target_archE1030ELNS1_3gpuE2ELNS1_3repE0EEENS1_30default_config_static_selectorELNS0_4arch9wavefront6targetE1EEEvT1_
    .private_segment_fixed_size: 0
    .sgpr_count:     6
    .sgpr_spill_count: 0
    .symbol:         _ZN7rocprim17ROCPRIM_400000_NS6detail17trampoline_kernelINS0_14default_configENS1_25partition_config_selectorILNS1_17partition_subalgoE8ElNS0_10empty_typeEbEEZZNS1_14partition_implILS5_8ELb0ES3_jPlPS6_PKS6_NS0_5tupleIJS9_S6_EEENSD_IJSA_SA_EEENS0_18inequality_wrapperIZN2at6native12_GLOBAL__N_124unique_dim_cuda_templateIdEESt5tupleIJNSH_6TensorESM_SM_EERKSM_lbbbEUlllE0_EEPmJS6_EEE10hipError_tPvRmT3_T4_T5_T6_T7_T9_mT8_P12ihipStream_tbDpT10_ENKUlT_T0_E_clISt17integral_constantIbLb1EES1C_EEDaS17_S18_EUlS17_E_NS1_11comp_targetILNS1_3genE8ELNS1_11target_archE1030ELNS1_3gpuE2ELNS1_3repE0EEENS1_30default_config_static_selectorELNS0_4arch9wavefront6targetE1EEEvT1_.kd
    .uniform_work_group_size: 1
    .uses_dynamic_stack: false
    .vgpr_count:     0
    .vgpr_spill_count: 0
    .wavefront_size: 64
  - .agpr_count:     0
    .args:
      - .offset:         0
        .size:           120
        .value_kind:     by_value
    .group_segment_fixed_size: 0
    .kernarg_segment_align: 8
    .kernarg_segment_size: 120
    .language:       OpenCL C
    .language_version:
      - 2
      - 0
    .max_flat_workgroup_size: 512
    .name:           _ZN7rocprim17ROCPRIM_400000_NS6detail17trampoline_kernelINS0_14default_configENS1_25partition_config_selectorILNS1_17partition_subalgoE8ElNS0_10empty_typeEbEEZZNS1_14partition_implILS5_8ELb0ES3_jPlPS6_PKS6_NS0_5tupleIJS9_S6_EEENSD_IJSA_SA_EEENS0_18inequality_wrapperIZN2at6native12_GLOBAL__N_124unique_dim_cuda_templateIdEESt5tupleIJNSH_6TensorESM_SM_EERKSM_lbbbEUlllE0_EEPmJS6_EEE10hipError_tPvRmT3_T4_T5_T6_T7_T9_mT8_P12ihipStream_tbDpT10_ENKUlT_T0_E_clISt17integral_constantIbLb1EES1B_IbLb0EEEEDaS17_S18_EUlS17_E_NS1_11comp_targetILNS1_3genE0ELNS1_11target_archE4294967295ELNS1_3gpuE0ELNS1_3repE0EEENS1_30default_config_static_selectorELNS0_4arch9wavefront6targetE1EEEvT1_
    .private_segment_fixed_size: 0
    .sgpr_count:     6
    .sgpr_spill_count: 0
    .symbol:         _ZN7rocprim17ROCPRIM_400000_NS6detail17trampoline_kernelINS0_14default_configENS1_25partition_config_selectorILNS1_17partition_subalgoE8ElNS0_10empty_typeEbEEZZNS1_14partition_implILS5_8ELb0ES3_jPlPS6_PKS6_NS0_5tupleIJS9_S6_EEENSD_IJSA_SA_EEENS0_18inequality_wrapperIZN2at6native12_GLOBAL__N_124unique_dim_cuda_templateIdEESt5tupleIJNSH_6TensorESM_SM_EERKSM_lbbbEUlllE0_EEPmJS6_EEE10hipError_tPvRmT3_T4_T5_T6_T7_T9_mT8_P12ihipStream_tbDpT10_ENKUlT_T0_E_clISt17integral_constantIbLb1EES1B_IbLb0EEEEDaS17_S18_EUlS17_E_NS1_11comp_targetILNS1_3genE0ELNS1_11target_archE4294967295ELNS1_3gpuE0ELNS1_3repE0EEENS1_30default_config_static_selectorELNS0_4arch9wavefront6targetE1EEEvT1_.kd
    .uniform_work_group_size: 1
    .uses_dynamic_stack: false
    .vgpr_count:     0
    .vgpr_spill_count: 0
    .wavefront_size: 64
  - .agpr_count:     0
    .args:
      - .offset:         0
        .size:           120
        .value_kind:     by_value
    .group_segment_fixed_size: 0
    .kernarg_segment_align: 8
    .kernarg_segment_size: 120
    .language:       OpenCL C
    .language_version:
      - 2
      - 0
    .max_flat_workgroup_size: 512
    .name:           _ZN7rocprim17ROCPRIM_400000_NS6detail17trampoline_kernelINS0_14default_configENS1_25partition_config_selectorILNS1_17partition_subalgoE8ElNS0_10empty_typeEbEEZZNS1_14partition_implILS5_8ELb0ES3_jPlPS6_PKS6_NS0_5tupleIJS9_S6_EEENSD_IJSA_SA_EEENS0_18inequality_wrapperIZN2at6native12_GLOBAL__N_124unique_dim_cuda_templateIdEESt5tupleIJNSH_6TensorESM_SM_EERKSM_lbbbEUlllE0_EEPmJS6_EEE10hipError_tPvRmT3_T4_T5_T6_T7_T9_mT8_P12ihipStream_tbDpT10_ENKUlT_T0_E_clISt17integral_constantIbLb1EES1B_IbLb0EEEEDaS17_S18_EUlS17_E_NS1_11comp_targetILNS1_3genE5ELNS1_11target_archE942ELNS1_3gpuE9ELNS1_3repE0EEENS1_30default_config_static_selectorELNS0_4arch9wavefront6targetE1EEEvT1_
    .private_segment_fixed_size: 0
    .sgpr_count:     6
    .sgpr_spill_count: 0
    .symbol:         _ZN7rocprim17ROCPRIM_400000_NS6detail17trampoline_kernelINS0_14default_configENS1_25partition_config_selectorILNS1_17partition_subalgoE8ElNS0_10empty_typeEbEEZZNS1_14partition_implILS5_8ELb0ES3_jPlPS6_PKS6_NS0_5tupleIJS9_S6_EEENSD_IJSA_SA_EEENS0_18inequality_wrapperIZN2at6native12_GLOBAL__N_124unique_dim_cuda_templateIdEESt5tupleIJNSH_6TensorESM_SM_EERKSM_lbbbEUlllE0_EEPmJS6_EEE10hipError_tPvRmT3_T4_T5_T6_T7_T9_mT8_P12ihipStream_tbDpT10_ENKUlT_T0_E_clISt17integral_constantIbLb1EES1B_IbLb0EEEEDaS17_S18_EUlS17_E_NS1_11comp_targetILNS1_3genE5ELNS1_11target_archE942ELNS1_3gpuE9ELNS1_3repE0EEENS1_30default_config_static_selectorELNS0_4arch9wavefront6targetE1EEEvT1_.kd
    .uniform_work_group_size: 1
    .uses_dynamic_stack: false
    .vgpr_count:     0
    .vgpr_spill_count: 0
    .wavefront_size: 64
  - .agpr_count:     0
    .args:
      - .offset:         0
        .size:           120
        .value_kind:     by_value
    .group_segment_fixed_size: 0
    .kernarg_segment_align: 8
    .kernarg_segment_size: 120
    .language:       OpenCL C
    .language_version:
      - 2
      - 0
    .max_flat_workgroup_size: 256
    .name:           _ZN7rocprim17ROCPRIM_400000_NS6detail17trampoline_kernelINS0_14default_configENS1_25partition_config_selectorILNS1_17partition_subalgoE8ElNS0_10empty_typeEbEEZZNS1_14partition_implILS5_8ELb0ES3_jPlPS6_PKS6_NS0_5tupleIJS9_S6_EEENSD_IJSA_SA_EEENS0_18inequality_wrapperIZN2at6native12_GLOBAL__N_124unique_dim_cuda_templateIdEESt5tupleIJNSH_6TensorESM_SM_EERKSM_lbbbEUlllE0_EEPmJS6_EEE10hipError_tPvRmT3_T4_T5_T6_T7_T9_mT8_P12ihipStream_tbDpT10_ENKUlT_T0_E_clISt17integral_constantIbLb1EES1B_IbLb0EEEEDaS17_S18_EUlS17_E_NS1_11comp_targetILNS1_3genE4ELNS1_11target_archE910ELNS1_3gpuE8ELNS1_3repE0EEENS1_30default_config_static_selectorELNS0_4arch9wavefront6targetE1EEEvT1_
    .private_segment_fixed_size: 0
    .sgpr_count:     6
    .sgpr_spill_count: 0
    .symbol:         _ZN7rocprim17ROCPRIM_400000_NS6detail17trampoline_kernelINS0_14default_configENS1_25partition_config_selectorILNS1_17partition_subalgoE8ElNS0_10empty_typeEbEEZZNS1_14partition_implILS5_8ELb0ES3_jPlPS6_PKS6_NS0_5tupleIJS9_S6_EEENSD_IJSA_SA_EEENS0_18inequality_wrapperIZN2at6native12_GLOBAL__N_124unique_dim_cuda_templateIdEESt5tupleIJNSH_6TensorESM_SM_EERKSM_lbbbEUlllE0_EEPmJS6_EEE10hipError_tPvRmT3_T4_T5_T6_T7_T9_mT8_P12ihipStream_tbDpT10_ENKUlT_T0_E_clISt17integral_constantIbLb1EES1B_IbLb0EEEEDaS17_S18_EUlS17_E_NS1_11comp_targetILNS1_3genE4ELNS1_11target_archE910ELNS1_3gpuE8ELNS1_3repE0EEENS1_30default_config_static_selectorELNS0_4arch9wavefront6targetE1EEEvT1_.kd
    .uniform_work_group_size: 1
    .uses_dynamic_stack: false
    .vgpr_count:     0
    .vgpr_spill_count: 0
    .wavefront_size: 64
  - .agpr_count:     0
    .args:
      - .offset:         0
        .size:           120
        .value_kind:     by_value
    .group_segment_fixed_size: 0
    .kernarg_segment_align: 8
    .kernarg_segment_size: 120
    .language:       OpenCL C
    .language_version:
      - 2
      - 0
    .max_flat_workgroup_size: 512
    .name:           _ZN7rocprim17ROCPRIM_400000_NS6detail17trampoline_kernelINS0_14default_configENS1_25partition_config_selectorILNS1_17partition_subalgoE8ElNS0_10empty_typeEbEEZZNS1_14partition_implILS5_8ELb0ES3_jPlPS6_PKS6_NS0_5tupleIJS9_S6_EEENSD_IJSA_SA_EEENS0_18inequality_wrapperIZN2at6native12_GLOBAL__N_124unique_dim_cuda_templateIdEESt5tupleIJNSH_6TensorESM_SM_EERKSM_lbbbEUlllE0_EEPmJS6_EEE10hipError_tPvRmT3_T4_T5_T6_T7_T9_mT8_P12ihipStream_tbDpT10_ENKUlT_T0_E_clISt17integral_constantIbLb1EES1B_IbLb0EEEEDaS17_S18_EUlS17_E_NS1_11comp_targetILNS1_3genE3ELNS1_11target_archE908ELNS1_3gpuE7ELNS1_3repE0EEENS1_30default_config_static_selectorELNS0_4arch9wavefront6targetE1EEEvT1_
    .private_segment_fixed_size: 0
    .sgpr_count:     6
    .sgpr_spill_count: 0
    .symbol:         _ZN7rocprim17ROCPRIM_400000_NS6detail17trampoline_kernelINS0_14default_configENS1_25partition_config_selectorILNS1_17partition_subalgoE8ElNS0_10empty_typeEbEEZZNS1_14partition_implILS5_8ELb0ES3_jPlPS6_PKS6_NS0_5tupleIJS9_S6_EEENSD_IJSA_SA_EEENS0_18inequality_wrapperIZN2at6native12_GLOBAL__N_124unique_dim_cuda_templateIdEESt5tupleIJNSH_6TensorESM_SM_EERKSM_lbbbEUlllE0_EEPmJS6_EEE10hipError_tPvRmT3_T4_T5_T6_T7_T9_mT8_P12ihipStream_tbDpT10_ENKUlT_T0_E_clISt17integral_constantIbLb1EES1B_IbLb0EEEEDaS17_S18_EUlS17_E_NS1_11comp_targetILNS1_3genE3ELNS1_11target_archE908ELNS1_3gpuE7ELNS1_3repE0EEENS1_30default_config_static_selectorELNS0_4arch9wavefront6targetE1EEEvT1_.kd
    .uniform_work_group_size: 1
    .uses_dynamic_stack: false
    .vgpr_count:     0
    .vgpr_spill_count: 0
    .wavefront_size: 64
  - .agpr_count:     0
    .args:
      - .offset:         0
        .size:           120
        .value_kind:     by_value
    .group_segment_fixed_size: 0
    .kernarg_segment_align: 8
    .kernarg_segment_size: 120
    .language:       OpenCL C
    .language_version:
      - 2
      - 0
    .max_flat_workgroup_size: 256
    .name:           _ZN7rocprim17ROCPRIM_400000_NS6detail17trampoline_kernelINS0_14default_configENS1_25partition_config_selectorILNS1_17partition_subalgoE8ElNS0_10empty_typeEbEEZZNS1_14partition_implILS5_8ELb0ES3_jPlPS6_PKS6_NS0_5tupleIJS9_S6_EEENSD_IJSA_SA_EEENS0_18inequality_wrapperIZN2at6native12_GLOBAL__N_124unique_dim_cuda_templateIdEESt5tupleIJNSH_6TensorESM_SM_EERKSM_lbbbEUlllE0_EEPmJS6_EEE10hipError_tPvRmT3_T4_T5_T6_T7_T9_mT8_P12ihipStream_tbDpT10_ENKUlT_T0_E_clISt17integral_constantIbLb1EES1B_IbLb0EEEEDaS17_S18_EUlS17_E_NS1_11comp_targetILNS1_3genE2ELNS1_11target_archE906ELNS1_3gpuE6ELNS1_3repE0EEENS1_30default_config_static_selectorELNS0_4arch9wavefront6targetE1EEEvT1_
    .private_segment_fixed_size: 0
    .sgpr_count:     6
    .sgpr_spill_count: 0
    .symbol:         _ZN7rocprim17ROCPRIM_400000_NS6detail17trampoline_kernelINS0_14default_configENS1_25partition_config_selectorILNS1_17partition_subalgoE8ElNS0_10empty_typeEbEEZZNS1_14partition_implILS5_8ELb0ES3_jPlPS6_PKS6_NS0_5tupleIJS9_S6_EEENSD_IJSA_SA_EEENS0_18inequality_wrapperIZN2at6native12_GLOBAL__N_124unique_dim_cuda_templateIdEESt5tupleIJNSH_6TensorESM_SM_EERKSM_lbbbEUlllE0_EEPmJS6_EEE10hipError_tPvRmT3_T4_T5_T6_T7_T9_mT8_P12ihipStream_tbDpT10_ENKUlT_T0_E_clISt17integral_constantIbLb1EES1B_IbLb0EEEEDaS17_S18_EUlS17_E_NS1_11comp_targetILNS1_3genE2ELNS1_11target_archE906ELNS1_3gpuE6ELNS1_3repE0EEENS1_30default_config_static_selectorELNS0_4arch9wavefront6targetE1EEEvT1_.kd
    .uniform_work_group_size: 1
    .uses_dynamic_stack: false
    .vgpr_count:     0
    .vgpr_spill_count: 0
    .wavefront_size: 64
  - .agpr_count:     0
    .args:
      - .offset:         0
        .size:           120
        .value_kind:     by_value
    .group_segment_fixed_size: 0
    .kernarg_segment_align: 8
    .kernarg_segment_size: 120
    .language:       OpenCL C
    .language_version:
      - 2
      - 0
    .max_flat_workgroup_size: 384
    .name:           _ZN7rocprim17ROCPRIM_400000_NS6detail17trampoline_kernelINS0_14default_configENS1_25partition_config_selectorILNS1_17partition_subalgoE8ElNS0_10empty_typeEbEEZZNS1_14partition_implILS5_8ELb0ES3_jPlPS6_PKS6_NS0_5tupleIJS9_S6_EEENSD_IJSA_SA_EEENS0_18inequality_wrapperIZN2at6native12_GLOBAL__N_124unique_dim_cuda_templateIdEESt5tupleIJNSH_6TensorESM_SM_EERKSM_lbbbEUlllE0_EEPmJS6_EEE10hipError_tPvRmT3_T4_T5_T6_T7_T9_mT8_P12ihipStream_tbDpT10_ENKUlT_T0_E_clISt17integral_constantIbLb1EES1B_IbLb0EEEEDaS17_S18_EUlS17_E_NS1_11comp_targetILNS1_3genE10ELNS1_11target_archE1200ELNS1_3gpuE4ELNS1_3repE0EEENS1_30default_config_static_selectorELNS0_4arch9wavefront6targetE1EEEvT1_
    .private_segment_fixed_size: 0
    .sgpr_count:     6
    .sgpr_spill_count: 0
    .symbol:         _ZN7rocprim17ROCPRIM_400000_NS6detail17trampoline_kernelINS0_14default_configENS1_25partition_config_selectorILNS1_17partition_subalgoE8ElNS0_10empty_typeEbEEZZNS1_14partition_implILS5_8ELb0ES3_jPlPS6_PKS6_NS0_5tupleIJS9_S6_EEENSD_IJSA_SA_EEENS0_18inequality_wrapperIZN2at6native12_GLOBAL__N_124unique_dim_cuda_templateIdEESt5tupleIJNSH_6TensorESM_SM_EERKSM_lbbbEUlllE0_EEPmJS6_EEE10hipError_tPvRmT3_T4_T5_T6_T7_T9_mT8_P12ihipStream_tbDpT10_ENKUlT_T0_E_clISt17integral_constantIbLb1EES1B_IbLb0EEEEDaS17_S18_EUlS17_E_NS1_11comp_targetILNS1_3genE10ELNS1_11target_archE1200ELNS1_3gpuE4ELNS1_3repE0EEENS1_30default_config_static_selectorELNS0_4arch9wavefront6targetE1EEEvT1_.kd
    .uniform_work_group_size: 1
    .uses_dynamic_stack: false
    .vgpr_count:     0
    .vgpr_spill_count: 0
    .wavefront_size: 64
  - .agpr_count:     0
    .args:
      - .offset:         0
        .size:           120
        .value_kind:     by_value
    .group_segment_fixed_size: 0
    .kernarg_segment_align: 8
    .kernarg_segment_size: 120
    .language:       OpenCL C
    .language_version:
      - 2
      - 0
    .max_flat_workgroup_size: 512
    .name:           _ZN7rocprim17ROCPRIM_400000_NS6detail17trampoline_kernelINS0_14default_configENS1_25partition_config_selectorILNS1_17partition_subalgoE8ElNS0_10empty_typeEbEEZZNS1_14partition_implILS5_8ELb0ES3_jPlPS6_PKS6_NS0_5tupleIJS9_S6_EEENSD_IJSA_SA_EEENS0_18inequality_wrapperIZN2at6native12_GLOBAL__N_124unique_dim_cuda_templateIdEESt5tupleIJNSH_6TensorESM_SM_EERKSM_lbbbEUlllE0_EEPmJS6_EEE10hipError_tPvRmT3_T4_T5_T6_T7_T9_mT8_P12ihipStream_tbDpT10_ENKUlT_T0_E_clISt17integral_constantIbLb1EES1B_IbLb0EEEEDaS17_S18_EUlS17_E_NS1_11comp_targetILNS1_3genE9ELNS1_11target_archE1100ELNS1_3gpuE3ELNS1_3repE0EEENS1_30default_config_static_selectorELNS0_4arch9wavefront6targetE1EEEvT1_
    .private_segment_fixed_size: 0
    .sgpr_count:     6
    .sgpr_spill_count: 0
    .symbol:         _ZN7rocprim17ROCPRIM_400000_NS6detail17trampoline_kernelINS0_14default_configENS1_25partition_config_selectorILNS1_17partition_subalgoE8ElNS0_10empty_typeEbEEZZNS1_14partition_implILS5_8ELb0ES3_jPlPS6_PKS6_NS0_5tupleIJS9_S6_EEENSD_IJSA_SA_EEENS0_18inequality_wrapperIZN2at6native12_GLOBAL__N_124unique_dim_cuda_templateIdEESt5tupleIJNSH_6TensorESM_SM_EERKSM_lbbbEUlllE0_EEPmJS6_EEE10hipError_tPvRmT3_T4_T5_T6_T7_T9_mT8_P12ihipStream_tbDpT10_ENKUlT_T0_E_clISt17integral_constantIbLb1EES1B_IbLb0EEEEDaS17_S18_EUlS17_E_NS1_11comp_targetILNS1_3genE9ELNS1_11target_archE1100ELNS1_3gpuE3ELNS1_3repE0EEENS1_30default_config_static_selectorELNS0_4arch9wavefront6targetE1EEEvT1_.kd
    .uniform_work_group_size: 1
    .uses_dynamic_stack: false
    .vgpr_count:     0
    .vgpr_spill_count: 0
    .wavefront_size: 64
  - .agpr_count:     0
    .args:
      - .offset:         0
        .size:           120
        .value_kind:     by_value
    .group_segment_fixed_size: 0
    .kernarg_segment_align: 8
    .kernarg_segment_size: 120
    .language:       OpenCL C
    .language_version:
      - 2
      - 0
    .max_flat_workgroup_size: 512
    .name:           _ZN7rocprim17ROCPRIM_400000_NS6detail17trampoline_kernelINS0_14default_configENS1_25partition_config_selectorILNS1_17partition_subalgoE8ElNS0_10empty_typeEbEEZZNS1_14partition_implILS5_8ELb0ES3_jPlPS6_PKS6_NS0_5tupleIJS9_S6_EEENSD_IJSA_SA_EEENS0_18inequality_wrapperIZN2at6native12_GLOBAL__N_124unique_dim_cuda_templateIdEESt5tupleIJNSH_6TensorESM_SM_EERKSM_lbbbEUlllE0_EEPmJS6_EEE10hipError_tPvRmT3_T4_T5_T6_T7_T9_mT8_P12ihipStream_tbDpT10_ENKUlT_T0_E_clISt17integral_constantIbLb1EES1B_IbLb0EEEEDaS17_S18_EUlS17_E_NS1_11comp_targetILNS1_3genE8ELNS1_11target_archE1030ELNS1_3gpuE2ELNS1_3repE0EEENS1_30default_config_static_selectorELNS0_4arch9wavefront6targetE1EEEvT1_
    .private_segment_fixed_size: 0
    .sgpr_count:     6
    .sgpr_spill_count: 0
    .symbol:         _ZN7rocprim17ROCPRIM_400000_NS6detail17trampoline_kernelINS0_14default_configENS1_25partition_config_selectorILNS1_17partition_subalgoE8ElNS0_10empty_typeEbEEZZNS1_14partition_implILS5_8ELb0ES3_jPlPS6_PKS6_NS0_5tupleIJS9_S6_EEENSD_IJSA_SA_EEENS0_18inequality_wrapperIZN2at6native12_GLOBAL__N_124unique_dim_cuda_templateIdEESt5tupleIJNSH_6TensorESM_SM_EERKSM_lbbbEUlllE0_EEPmJS6_EEE10hipError_tPvRmT3_T4_T5_T6_T7_T9_mT8_P12ihipStream_tbDpT10_ENKUlT_T0_E_clISt17integral_constantIbLb1EES1B_IbLb0EEEEDaS17_S18_EUlS17_E_NS1_11comp_targetILNS1_3genE8ELNS1_11target_archE1030ELNS1_3gpuE2ELNS1_3repE0EEENS1_30default_config_static_selectorELNS0_4arch9wavefront6targetE1EEEvT1_.kd
    .uniform_work_group_size: 1
    .uses_dynamic_stack: false
    .vgpr_count:     0
    .vgpr_spill_count: 0
    .wavefront_size: 64
  - .agpr_count:     0
    .args:
      - .offset:         0
        .size:           136
        .value_kind:     by_value
    .group_segment_fixed_size: 28680
    .kernarg_segment_align: 8
    .kernarg_segment_size: 136
    .language:       OpenCL C
    .language_version:
      - 2
      - 0
    .max_flat_workgroup_size: 512
    .name:           _ZN7rocprim17ROCPRIM_400000_NS6detail17trampoline_kernelINS0_14default_configENS1_25partition_config_selectorILNS1_17partition_subalgoE8ElNS0_10empty_typeEbEEZZNS1_14partition_implILS5_8ELb0ES3_jPlPS6_PKS6_NS0_5tupleIJS9_S6_EEENSD_IJSA_SA_EEENS0_18inequality_wrapperIZN2at6native12_GLOBAL__N_124unique_dim_cuda_templateIdEESt5tupleIJNSH_6TensorESM_SM_EERKSM_lbbbEUlllE0_EEPmJS6_EEE10hipError_tPvRmT3_T4_T5_T6_T7_T9_mT8_P12ihipStream_tbDpT10_ENKUlT_T0_E_clISt17integral_constantIbLb0EES1B_IbLb1EEEEDaS17_S18_EUlS17_E_NS1_11comp_targetILNS1_3genE0ELNS1_11target_archE4294967295ELNS1_3gpuE0ELNS1_3repE0EEENS1_30default_config_static_selectorELNS0_4arch9wavefront6targetE1EEEvT1_
    .private_segment_fixed_size: 0
    .sgpr_count:     60
    .sgpr_spill_count: 0
    .symbol:         _ZN7rocprim17ROCPRIM_400000_NS6detail17trampoline_kernelINS0_14default_configENS1_25partition_config_selectorILNS1_17partition_subalgoE8ElNS0_10empty_typeEbEEZZNS1_14partition_implILS5_8ELb0ES3_jPlPS6_PKS6_NS0_5tupleIJS9_S6_EEENSD_IJSA_SA_EEENS0_18inequality_wrapperIZN2at6native12_GLOBAL__N_124unique_dim_cuda_templateIdEESt5tupleIJNSH_6TensorESM_SM_EERKSM_lbbbEUlllE0_EEPmJS6_EEE10hipError_tPvRmT3_T4_T5_T6_T7_T9_mT8_P12ihipStream_tbDpT10_ENKUlT_T0_E_clISt17integral_constantIbLb0EES1B_IbLb1EEEEDaS17_S18_EUlS17_E_NS1_11comp_targetILNS1_3genE0ELNS1_11target_archE4294967295ELNS1_3gpuE0ELNS1_3repE0EEENS1_30default_config_static_selectorELNS0_4arch9wavefront6targetE1EEEvT1_.kd
    .uniform_work_group_size: 1
    .uses_dynamic_stack: false
    .vgpr_count:     58
    .vgpr_spill_count: 0
    .wavefront_size: 64
  - .agpr_count:     0
    .args:
      - .offset:         0
        .size:           136
        .value_kind:     by_value
    .group_segment_fixed_size: 0
    .kernarg_segment_align: 8
    .kernarg_segment_size: 136
    .language:       OpenCL C
    .language_version:
      - 2
      - 0
    .max_flat_workgroup_size: 512
    .name:           _ZN7rocprim17ROCPRIM_400000_NS6detail17trampoline_kernelINS0_14default_configENS1_25partition_config_selectorILNS1_17partition_subalgoE8ElNS0_10empty_typeEbEEZZNS1_14partition_implILS5_8ELb0ES3_jPlPS6_PKS6_NS0_5tupleIJS9_S6_EEENSD_IJSA_SA_EEENS0_18inequality_wrapperIZN2at6native12_GLOBAL__N_124unique_dim_cuda_templateIdEESt5tupleIJNSH_6TensorESM_SM_EERKSM_lbbbEUlllE0_EEPmJS6_EEE10hipError_tPvRmT3_T4_T5_T6_T7_T9_mT8_P12ihipStream_tbDpT10_ENKUlT_T0_E_clISt17integral_constantIbLb0EES1B_IbLb1EEEEDaS17_S18_EUlS17_E_NS1_11comp_targetILNS1_3genE5ELNS1_11target_archE942ELNS1_3gpuE9ELNS1_3repE0EEENS1_30default_config_static_selectorELNS0_4arch9wavefront6targetE1EEEvT1_
    .private_segment_fixed_size: 0
    .sgpr_count:     6
    .sgpr_spill_count: 0
    .symbol:         _ZN7rocprim17ROCPRIM_400000_NS6detail17trampoline_kernelINS0_14default_configENS1_25partition_config_selectorILNS1_17partition_subalgoE8ElNS0_10empty_typeEbEEZZNS1_14partition_implILS5_8ELb0ES3_jPlPS6_PKS6_NS0_5tupleIJS9_S6_EEENSD_IJSA_SA_EEENS0_18inequality_wrapperIZN2at6native12_GLOBAL__N_124unique_dim_cuda_templateIdEESt5tupleIJNSH_6TensorESM_SM_EERKSM_lbbbEUlllE0_EEPmJS6_EEE10hipError_tPvRmT3_T4_T5_T6_T7_T9_mT8_P12ihipStream_tbDpT10_ENKUlT_T0_E_clISt17integral_constantIbLb0EES1B_IbLb1EEEEDaS17_S18_EUlS17_E_NS1_11comp_targetILNS1_3genE5ELNS1_11target_archE942ELNS1_3gpuE9ELNS1_3repE0EEENS1_30default_config_static_selectorELNS0_4arch9wavefront6targetE1EEEvT1_.kd
    .uniform_work_group_size: 1
    .uses_dynamic_stack: false
    .vgpr_count:     0
    .vgpr_spill_count: 0
    .wavefront_size: 64
  - .agpr_count:     0
    .args:
      - .offset:         0
        .size:           136
        .value_kind:     by_value
    .group_segment_fixed_size: 0
    .kernarg_segment_align: 8
    .kernarg_segment_size: 136
    .language:       OpenCL C
    .language_version:
      - 2
      - 0
    .max_flat_workgroup_size: 256
    .name:           _ZN7rocprim17ROCPRIM_400000_NS6detail17trampoline_kernelINS0_14default_configENS1_25partition_config_selectorILNS1_17partition_subalgoE8ElNS0_10empty_typeEbEEZZNS1_14partition_implILS5_8ELb0ES3_jPlPS6_PKS6_NS0_5tupleIJS9_S6_EEENSD_IJSA_SA_EEENS0_18inequality_wrapperIZN2at6native12_GLOBAL__N_124unique_dim_cuda_templateIdEESt5tupleIJNSH_6TensorESM_SM_EERKSM_lbbbEUlllE0_EEPmJS6_EEE10hipError_tPvRmT3_T4_T5_T6_T7_T9_mT8_P12ihipStream_tbDpT10_ENKUlT_T0_E_clISt17integral_constantIbLb0EES1B_IbLb1EEEEDaS17_S18_EUlS17_E_NS1_11comp_targetILNS1_3genE4ELNS1_11target_archE910ELNS1_3gpuE8ELNS1_3repE0EEENS1_30default_config_static_selectorELNS0_4arch9wavefront6targetE1EEEvT1_
    .private_segment_fixed_size: 0
    .sgpr_count:     6
    .sgpr_spill_count: 0
    .symbol:         _ZN7rocprim17ROCPRIM_400000_NS6detail17trampoline_kernelINS0_14default_configENS1_25partition_config_selectorILNS1_17partition_subalgoE8ElNS0_10empty_typeEbEEZZNS1_14partition_implILS5_8ELb0ES3_jPlPS6_PKS6_NS0_5tupleIJS9_S6_EEENSD_IJSA_SA_EEENS0_18inequality_wrapperIZN2at6native12_GLOBAL__N_124unique_dim_cuda_templateIdEESt5tupleIJNSH_6TensorESM_SM_EERKSM_lbbbEUlllE0_EEPmJS6_EEE10hipError_tPvRmT3_T4_T5_T6_T7_T9_mT8_P12ihipStream_tbDpT10_ENKUlT_T0_E_clISt17integral_constantIbLb0EES1B_IbLb1EEEEDaS17_S18_EUlS17_E_NS1_11comp_targetILNS1_3genE4ELNS1_11target_archE910ELNS1_3gpuE8ELNS1_3repE0EEENS1_30default_config_static_selectorELNS0_4arch9wavefront6targetE1EEEvT1_.kd
    .uniform_work_group_size: 1
    .uses_dynamic_stack: false
    .vgpr_count:     0
    .vgpr_spill_count: 0
    .wavefront_size: 64
  - .agpr_count:     0
    .args:
      - .offset:         0
        .size:           136
        .value_kind:     by_value
    .group_segment_fixed_size: 0
    .kernarg_segment_align: 8
    .kernarg_segment_size: 136
    .language:       OpenCL C
    .language_version:
      - 2
      - 0
    .max_flat_workgroup_size: 512
    .name:           _ZN7rocprim17ROCPRIM_400000_NS6detail17trampoline_kernelINS0_14default_configENS1_25partition_config_selectorILNS1_17partition_subalgoE8ElNS0_10empty_typeEbEEZZNS1_14partition_implILS5_8ELb0ES3_jPlPS6_PKS6_NS0_5tupleIJS9_S6_EEENSD_IJSA_SA_EEENS0_18inequality_wrapperIZN2at6native12_GLOBAL__N_124unique_dim_cuda_templateIdEESt5tupleIJNSH_6TensorESM_SM_EERKSM_lbbbEUlllE0_EEPmJS6_EEE10hipError_tPvRmT3_T4_T5_T6_T7_T9_mT8_P12ihipStream_tbDpT10_ENKUlT_T0_E_clISt17integral_constantIbLb0EES1B_IbLb1EEEEDaS17_S18_EUlS17_E_NS1_11comp_targetILNS1_3genE3ELNS1_11target_archE908ELNS1_3gpuE7ELNS1_3repE0EEENS1_30default_config_static_selectorELNS0_4arch9wavefront6targetE1EEEvT1_
    .private_segment_fixed_size: 0
    .sgpr_count:     6
    .sgpr_spill_count: 0
    .symbol:         _ZN7rocprim17ROCPRIM_400000_NS6detail17trampoline_kernelINS0_14default_configENS1_25partition_config_selectorILNS1_17partition_subalgoE8ElNS0_10empty_typeEbEEZZNS1_14partition_implILS5_8ELb0ES3_jPlPS6_PKS6_NS0_5tupleIJS9_S6_EEENSD_IJSA_SA_EEENS0_18inequality_wrapperIZN2at6native12_GLOBAL__N_124unique_dim_cuda_templateIdEESt5tupleIJNSH_6TensorESM_SM_EERKSM_lbbbEUlllE0_EEPmJS6_EEE10hipError_tPvRmT3_T4_T5_T6_T7_T9_mT8_P12ihipStream_tbDpT10_ENKUlT_T0_E_clISt17integral_constantIbLb0EES1B_IbLb1EEEEDaS17_S18_EUlS17_E_NS1_11comp_targetILNS1_3genE3ELNS1_11target_archE908ELNS1_3gpuE7ELNS1_3repE0EEENS1_30default_config_static_selectorELNS0_4arch9wavefront6targetE1EEEvT1_.kd
    .uniform_work_group_size: 1
    .uses_dynamic_stack: false
    .vgpr_count:     0
    .vgpr_spill_count: 0
    .wavefront_size: 64
  - .agpr_count:     0
    .args:
      - .offset:         0
        .size:           136
        .value_kind:     by_value
    .group_segment_fixed_size: 0
    .kernarg_segment_align: 8
    .kernarg_segment_size: 136
    .language:       OpenCL C
    .language_version:
      - 2
      - 0
    .max_flat_workgroup_size: 256
    .name:           _ZN7rocprim17ROCPRIM_400000_NS6detail17trampoline_kernelINS0_14default_configENS1_25partition_config_selectorILNS1_17partition_subalgoE8ElNS0_10empty_typeEbEEZZNS1_14partition_implILS5_8ELb0ES3_jPlPS6_PKS6_NS0_5tupleIJS9_S6_EEENSD_IJSA_SA_EEENS0_18inequality_wrapperIZN2at6native12_GLOBAL__N_124unique_dim_cuda_templateIdEESt5tupleIJNSH_6TensorESM_SM_EERKSM_lbbbEUlllE0_EEPmJS6_EEE10hipError_tPvRmT3_T4_T5_T6_T7_T9_mT8_P12ihipStream_tbDpT10_ENKUlT_T0_E_clISt17integral_constantIbLb0EES1B_IbLb1EEEEDaS17_S18_EUlS17_E_NS1_11comp_targetILNS1_3genE2ELNS1_11target_archE906ELNS1_3gpuE6ELNS1_3repE0EEENS1_30default_config_static_selectorELNS0_4arch9wavefront6targetE1EEEvT1_
    .private_segment_fixed_size: 0
    .sgpr_count:     6
    .sgpr_spill_count: 0
    .symbol:         _ZN7rocprim17ROCPRIM_400000_NS6detail17trampoline_kernelINS0_14default_configENS1_25partition_config_selectorILNS1_17partition_subalgoE8ElNS0_10empty_typeEbEEZZNS1_14partition_implILS5_8ELb0ES3_jPlPS6_PKS6_NS0_5tupleIJS9_S6_EEENSD_IJSA_SA_EEENS0_18inequality_wrapperIZN2at6native12_GLOBAL__N_124unique_dim_cuda_templateIdEESt5tupleIJNSH_6TensorESM_SM_EERKSM_lbbbEUlllE0_EEPmJS6_EEE10hipError_tPvRmT3_T4_T5_T6_T7_T9_mT8_P12ihipStream_tbDpT10_ENKUlT_T0_E_clISt17integral_constantIbLb0EES1B_IbLb1EEEEDaS17_S18_EUlS17_E_NS1_11comp_targetILNS1_3genE2ELNS1_11target_archE906ELNS1_3gpuE6ELNS1_3repE0EEENS1_30default_config_static_selectorELNS0_4arch9wavefront6targetE1EEEvT1_.kd
    .uniform_work_group_size: 1
    .uses_dynamic_stack: false
    .vgpr_count:     0
    .vgpr_spill_count: 0
    .wavefront_size: 64
  - .agpr_count:     0
    .args:
      - .offset:         0
        .size:           136
        .value_kind:     by_value
    .group_segment_fixed_size: 0
    .kernarg_segment_align: 8
    .kernarg_segment_size: 136
    .language:       OpenCL C
    .language_version:
      - 2
      - 0
    .max_flat_workgroup_size: 384
    .name:           _ZN7rocprim17ROCPRIM_400000_NS6detail17trampoline_kernelINS0_14default_configENS1_25partition_config_selectorILNS1_17partition_subalgoE8ElNS0_10empty_typeEbEEZZNS1_14partition_implILS5_8ELb0ES3_jPlPS6_PKS6_NS0_5tupleIJS9_S6_EEENSD_IJSA_SA_EEENS0_18inequality_wrapperIZN2at6native12_GLOBAL__N_124unique_dim_cuda_templateIdEESt5tupleIJNSH_6TensorESM_SM_EERKSM_lbbbEUlllE0_EEPmJS6_EEE10hipError_tPvRmT3_T4_T5_T6_T7_T9_mT8_P12ihipStream_tbDpT10_ENKUlT_T0_E_clISt17integral_constantIbLb0EES1B_IbLb1EEEEDaS17_S18_EUlS17_E_NS1_11comp_targetILNS1_3genE10ELNS1_11target_archE1200ELNS1_3gpuE4ELNS1_3repE0EEENS1_30default_config_static_selectorELNS0_4arch9wavefront6targetE1EEEvT1_
    .private_segment_fixed_size: 0
    .sgpr_count:     6
    .sgpr_spill_count: 0
    .symbol:         _ZN7rocprim17ROCPRIM_400000_NS6detail17trampoline_kernelINS0_14default_configENS1_25partition_config_selectorILNS1_17partition_subalgoE8ElNS0_10empty_typeEbEEZZNS1_14partition_implILS5_8ELb0ES3_jPlPS6_PKS6_NS0_5tupleIJS9_S6_EEENSD_IJSA_SA_EEENS0_18inequality_wrapperIZN2at6native12_GLOBAL__N_124unique_dim_cuda_templateIdEESt5tupleIJNSH_6TensorESM_SM_EERKSM_lbbbEUlllE0_EEPmJS6_EEE10hipError_tPvRmT3_T4_T5_T6_T7_T9_mT8_P12ihipStream_tbDpT10_ENKUlT_T0_E_clISt17integral_constantIbLb0EES1B_IbLb1EEEEDaS17_S18_EUlS17_E_NS1_11comp_targetILNS1_3genE10ELNS1_11target_archE1200ELNS1_3gpuE4ELNS1_3repE0EEENS1_30default_config_static_selectorELNS0_4arch9wavefront6targetE1EEEvT1_.kd
    .uniform_work_group_size: 1
    .uses_dynamic_stack: false
    .vgpr_count:     0
    .vgpr_spill_count: 0
    .wavefront_size: 64
  - .agpr_count:     0
    .args:
      - .offset:         0
        .size:           136
        .value_kind:     by_value
    .group_segment_fixed_size: 0
    .kernarg_segment_align: 8
    .kernarg_segment_size: 136
    .language:       OpenCL C
    .language_version:
      - 2
      - 0
    .max_flat_workgroup_size: 512
    .name:           _ZN7rocprim17ROCPRIM_400000_NS6detail17trampoline_kernelINS0_14default_configENS1_25partition_config_selectorILNS1_17partition_subalgoE8ElNS0_10empty_typeEbEEZZNS1_14partition_implILS5_8ELb0ES3_jPlPS6_PKS6_NS0_5tupleIJS9_S6_EEENSD_IJSA_SA_EEENS0_18inequality_wrapperIZN2at6native12_GLOBAL__N_124unique_dim_cuda_templateIdEESt5tupleIJNSH_6TensorESM_SM_EERKSM_lbbbEUlllE0_EEPmJS6_EEE10hipError_tPvRmT3_T4_T5_T6_T7_T9_mT8_P12ihipStream_tbDpT10_ENKUlT_T0_E_clISt17integral_constantIbLb0EES1B_IbLb1EEEEDaS17_S18_EUlS17_E_NS1_11comp_targetILNS1_3genE9ELNS1_11target_archE1100ELNS1_3gpuE3ELNS1_3repE0EEENS1_30default_config_static_selectorELNS0_4arch9wavefront6targetE1EEEvT1_
    .private_segment_fixed_size: 0
    .sgpr_count:     6
    .sgpr_spill_count: 0
    .symbol:         _ZN7rocprim17ROCPRIM_400000_NS6detail17trampoline_kernelINS0_14default_configENS1_25partition_config_selectorILNS1_17partition_subalgoE8ElNS0_10empty_typeEbEEZZNS1_14partition_implILS5_8ELb0ES3_jPlPS6_PKS6_NS0_5tupleIJS9_S6_EEENSD_IJSA_SA_EEENS0_18inequality_wrapperIZN2at6native12_GLOBAL__N_124unique_dim_cuda_templateIdEESt5tupleIJNSH_6TensorESM_SM_EERKSM_lbbbEUlllE0_EEPmJS6_EEE10hipError_tPvRmT3_T4_T5_T6_T7_T9_mT8_P12ihipStream_tbDpT10_ENKUlT_T0_E_clISt17integral_constantIbLb0EES1B_IbLb1EEEEDaS17_S18_EUlS17_E_NS1_11comp_targetILNS1_3genE9ELNS1_11target_archE1100ELNS1_3gpuE3ELNS1_3repE0EEENS1_30default_config_static_selectorELNS0_4arch9wavefront6targetE1EEEvT1_.kd
    .uniform_work_group_size: 1
    .uses_dynamic_stack: false
    .vgpr_count:     0
    .vgpr_spill_count: 0
    .wavefront_size: 64
  - .agpr_count:     0
    .args:
      - .offset:         0
        .size:           136
        .value_kind:     by_value
    .group_segment_fixed_size: 0
    .kernarg_segment_align: 8
    .kernarg_segment_size: 136
    .language:       OpenCL C
    .language_version:
      - 2
      - 0
    .max_flat_workgroup_size: 512
    .name:           _ZN7rocprim17ROCPRIM_400000_NS6detail17trampoline_kernelINS0_14default_configENS1_25partition_config_selectorILNS1_17partition_subalgoE8ElNS0_10empty_typeEbEEZZNS1_14partition_implILS5_8ELb0ES3_jPlPS6_PKS6_NS0_5tupleIJS9_S6_EEENSD_IJSA_SA_EEENS0_18inequality_wrapperIZN2at6native12_GLOBAL__N_124unique_dim_cuda_templateIdEESt5tupleIJNSH_6TensorESM_SM_EERKSM_lbbbEUlllE0_EEPmJS6_EEE10hipError_tPvRmT3_T4_T5_T6_T7_T9_mT8_P12ihipStream_tbDpT10_ENKUlT_T0_E_clISt17integral_constantIbLb0EES1B_IbLb1EEEEDaS17_S18_EUlS17_E_NS1_11comp_targetILNS1_3genE8ELNS1_11target_archE1030ELNS1_3gpuE2ELNS1_3repE0EEENS1_30default_config_static_selectorELNS0_4arch9wavefront6targetE1EEEvT1_
    .private_segment_fixed_size: 0
    .sgpr_count:     6
    .sgpr_spill_count: 0
    .symbol:         _ZN7rocprim17ROCPRIM_400000_NS6detail17trampoline_kernelINS0_14default_configENS1_25partition_config_selectorILNS1_17partition_subalgoE8ElNS0_10empty_typeEbEEZZNS1_14partition_implILS5_8ELb0ES3_jPlPS6_PKS6_NS0_5tupleIJS9_S6_EEENSD_IJSA_SA_EEENS0_18inequality_wrapperIZN2at6native12_GLOBAL__N_124unique_dim_cuda_templateIdEESt5tupleIJNSH_6TensorESM_SM_EERKSM_lbbbEUlllE0_EEPmJS6_EEE10hipError_tPvRmT3_T4_T5_T6_T7_T9_mT8_P12ihipStream_tbDpT10_ENKUlT_T0_E_clISt17integral_constantIbLb0EES1B_IbLb1EEEEDaS17_S18_EUlS17_E_NS1_11comp_targetILNS1_3genE8ELNS1_11target_archE1030ELNS1_3gpuE2ELNS1_3repE0EEENS1_30default_config_static_selectorELNS0_4arch9wavefront6targetE1EEEvT1_.kd
    .uniform_work_group_size: 1
    .uses_dynamic_stack: false
    .vgpr_count:     0
    .vgpr_spill_count: 0
    .wavefront_size: 64
  - .agpr_count:     0
    .args:
      - .offset:         0
        .size:           120
        .value_kind:     by_value
    .group_segment_fixed_size: 5128
    .kernarg_segment_align: 8
    .kernarg_segment_size: 120
    .language:       OpenCL C
    .language_version:
      - 2
      - 0
    .max_flat_workgroup_size: 128
    .name:           _ZN7rocprim17ROCPRIM_400000_NS6detail17trampoline_kernelINS0_14default_configENS1_25partition_config_selectorILNS1_17partition_subalgoE9EllbEEZZNS1_14partition_implILS5_9ELb0ES3_jPlS8_PNS0_10empty_typeENS0_5tupleIJS8_S9_EEENSB_IJS8_SA_EEENS0_18inequality_wrapperIZN2at6native12_GLOBAL__N_124unique_dim_cuda_templateIdEESt5tupleIJNSF_6TensorESK_SK_EERKSK_lbbbEUlllE0_EEPmJS9_EEE10hipError_tPvRmT3_T4_T5_T6_T7_T9_mT8_P12ihipStream_tbDpT10_ENKUlT_T0_E_clISt17integral_constantIbLb0EES1A_EEDaS15_S16_EUlS15_E_NS1_11comp_targetILNS1_3genE0ELNS1_11target_archE4294967295ELNS1_3gpuE0ELNS1_3repE0EEENS1_30default_config_static_selectorELNS0_4arch9wavefront6targetE1EEEvT1_
    .private_segment_fixed_size: 0
    .sgpr_count:     52
    .sgpr_spill_count: 0
    .symbol:         _ZN7rocprim17ROCPRIM_400000_NS6detail17trampoline_kernelINS0_14default_configENS1_25partition_config_selectorILNS1_17partition_subalgoE9EllbEEZZNS1_14partition_implILS5_9ELb0ES3_jPlS8_PNS0_10empty_typeENS0_5tupleIJS8_S9_EEENSB_IJS8_SA_EEENS0_18inequality_wrapperIZN2at6native12_GLOBAL__N_124unique_dim_cuda_templateIdEESt5tupleIJNSF_6TensorESK_SK_EERKSK_lbbbEUlllE0_EEPmJS9_EEE10hipError_tPvRmT3_T4_T5_T6_T7_T9_mT8_P12ihipStream_tbDpT10_ENKUlT_T0_E_clISt17integral_constantIbLb0EES1A_EEDaS15_S16_EUlS15_E_NS1_11comp_targetILNS1_3genE0ELNS1_11target_archE4294967295ELNS1_3gpuE0ELNS1_3repE0EEENS1_30default_config_static_selectorELNS0_4arch9wavefront6targetE1EEEvT1_.kd
    .uniform_work_group_size: 1
    .uses_dynamic_stack: false
    .vgpr_count:     60
    .vgpr_spill_count: 0
    .wavefront_size: 64
  - .agpr_count:     0
    .args:
      - .offset:         0
        .size:           120
        .value_kind:     by_value
    .group_segment_fixed_size: 0
    .kernarg_segment_align: 8
    .kernarg_segment_size: 120
    .language:       OpenCL C
    .language_version:
      - 2
      - 0
    .max_flat_workgroup_size: 512
    .name:           _ZN7rocprim17ROCPRIM_400000_NS6detail17trampoline_kernelINS0_14default_configENS1_25partition_config_selectorILNS1_17partition_subalgoE9EllbEEZZNS1_14partition_implILS5_9ELb0ES3_jPlS8_PNS0_10empty_typeENS0_5tupleIJS8_S9_EEENSB_IJS8_SA_EEENS0_18inequality_wrapperIZN2at6native12_GLOBAL__N_124unique_dim_cuda_templateIdEESt5tupleIJNSF_6TensorESK_SK_EERKSK_lbbbEUlllE0_EEPmJS9_EEE10hipError_tPvRmT3_T4_T5_T6_T7_T9_mT8_P12ihipStream_tbDpT10_ENKUlT_T0_E_clISt17integral_constantIbLb0EES1A_EEDaS15_S16_EUlS15_E_NS1_11comp_targetILNS1_3genE5ELNS1_11target_archE942ELNS1_3gpuE9ELNS1_3repE0EEENS1_30default_config_static_selectorELNS0_4arch9wavefront6targetE1EEEvT1_
    .private_segment_fixed_size: 0
    .sgpr_count:     6
    .sgpr_spill_count: 0
    .symbol:         _ZN7rocprim17ROCPRIM_400000_NS6detail17trampoline_kernelINS0_14default_configENS1_25partition_config_selectorILNS1_17partition_subalgoE9EllbEEZZNS1_14partition_implILS5_9ELb0ES3_jPlS8_PNS0_10empty_typeENS0_5tupleIJS8_S9_EEENSB_IJS8_SA_EEENS0_18inequality_wrapperIZN2at6native12_GLOBAL__N_124unique_dim_cuda_templateIdEESt5tupleIJNSF_6TensorESK_SK_EERKSK_lbbbEUlllE0_EEPmJS9_EEE10hipError_tPvRmT3_T4_T5_T6_T7_T9_mT8_P12ihipStream_tbDpT10_ENKUlT_T0_E_clISt17integral_constantIbLb0EES1A_EEDaS15_S16_EUlS15_E_NS1_11comp_targetILNS1_3genE5ELNS1_11target_archE942ELNS1_3gpuE9ELNS1_3repE0EEENS1_30default_config_static_selectorELNS0_4arch9wavefront6targetE1EEEvT1_.kd
    .uniform_work_group_size: 1
    .uses_dynamic_stack: false
    .vgpr_count:     0
    .vgpr_spill_count: 0
    .wavefront_size: 64
  - .agpr_count:     0
    .args:
      - .offset:         0
        .size:           120
        .value_kind:     by_value
    .group_segment_fixed_size: 0
    .kernarg_segment_align: 8
    .kernarg_segment_size: 120
    .language:       OpenCL C
    .language_version:
      - 2
      - 0
    .max_flat_workgroup_size: 128
    .name:           _ZN7rocprim17ROCPRIM_400000_NS6detail17trampoline_kernelINS0_14default_configENS1_25partition_config_selectorILNS1_17partition_subalgoE9EllbEEZZNS1_14partition_implILS5_9ELb0ES3_jPlS8_PNS0_10empty_typeENS0_5tupleIJS8_S9_EEENSB_IJS8_SA_EEENS0_18inequality_wrapperIZN2at6native12_GLOBAL__N_124unique_dim_cuda_templateIdEESt5tupleIJNSF_6TensorESK_SK_EERKSK_lbbbEUlllE0_EEPmJS9_EEE10hipError_tPvRmT3_T4_T5_T6_T7_T9_mT8_P12ihipStream_tbDpT10_ENKUlT_T0_E_clISt17integral_constantIbLb0EES1A_EEDaS15_S16_EUlS15_E_NS1_11comp_targetILNS1_3genE4ELNS1_11target_archE910ELNS1_3gpuE8ELNS1_3repE0EEENS1_30default_config_static_selectorELNS0_4arch9wavefront6targetE1EEEvT1_
    .private_segment_fixed_size: 0
    .sgpr_count:     6
    .sgpr_spill_count: 0
    .symbol:         _ZN7rocprim17ROCPRIM_400000_NS6detail17trampoline_kernelINS0_14default_configENS1_25partition_config_selectorILNS1_17partition_subalgoE9EllbEEZZNS1_14partition_implILS5_9ELb0ES3_jPlS8_PNS0_10empty_typeENS0_5tupleIJS8_S9_EEENSB_IJS8_SA_EEENS0_18inequality_wrapperIZN2at6native12_GLOBAL__N_124unique_dim_cuda_templateIdEESt5tupleIJNSF_6TensorESK_SK_EERKSK_lbbbEUlllE0_EEPmJS9_EEE10hipError_tPvRmT3_T4_T5_T6_T7_T9_mT8_P12ihipStream_tbDpT10_ENKUlT_T0_E_clISt17integral_constantIbLb0EES1A_EEDaS15_S16_EUlS15_E_NS1_11comp_targetILNS1_3genE4ELNS1_11target_archE910ELNS1_3gpuE8ELNS1_3repE0EEENS1_30default_config_static_selectorELNS0_4arch9wavefront6targetE1EEEvT1_.kd
    .uniform_work_group_size: 1
    .uses_dynamic_stack: false
    .vgpr_count:     0
    .vgpr_spill_count: 0
    .wavefront_size: 64
  - .agpr_count:     0
    .args:
      - .offset:         0
        .size:           120
        .value_kind:     by_value
    .group_segment_fixed_size: 0
    .kernarg_segment_align: 8
    .kernarg_segment_size: 120
    .language:       OpenCL C
    .language_version:
      - 2
      - 0
    .max_flat_workgroup_size: 128
    .name:           _ZN7rocprim17ROCPRIM_400000_NS6detail17trampoline_kernelINS0_14default_configENS1_25partition_config_selectorILNS1_17partition_subalgoE9EllbEEZZNS1_14partition_implILS5_9ELb0ES3_jPlS8_PNS0_10empty_typeENS0_5tupleIJS8_S9_EEENSB_IJS8_SA_EEENS0_18inequality_wrapperIZN2at6native12_GLOBAL__N_124unique_dim_cuda_templateIdEESt5tupleIJNSF_6TensorESK_SK_EERKSK_lbbbEUlllE0_EEPmJS9_EEE10hipError_tPvRmT3_T4_T5_T6_T7_T9_mT8_P12ihipStream_tbDpT10_ENKUlT_T0_E_clISt17integral_constantIbLb0EES1A_EEDaS15_S16_EUlS15_E_NS1_11comp_targetILNS1_3genE3ELNS1_11target_archE908ELNS1_3gpuE7ELNS1_3repE0EEENS1_30default_config_static_selectorELNS0_4arch9wavefront6targetE1EEEvT1_
    .private_segment_fixed_size: 0
    .sgpr_count:     6
    .sgpr_spill_count: 0
    .symbol:         _ZN7rocprim17ROCPRIM_400000_NS6detail17trampoline_kernelINS0_14default_configENS1_25partition_config_selectorILNS1_17partition_subalgoE9EllbEEZZNS1_14partition_implILS5_9ELb0ES3_jPlS8_PNS0_10empty_typeENS0_5tupleIJS8_S9_EEENSB_IJS8_SA_EEENS0_18inequality_wrapperIZN2at6native12_GLOBAL__N_124unique_dim_cuda_templateIdEESt5tupleIJNSF_6TensorESK_SK_EERKSK_lbbbEUlllE0_EEPmJS9_EEE10hipError_tPvRmT3_T4_T5_T6_T7_T9_mT8_P12ihipStream_tbDpT10_ENKUlT_T0_E_clISt17integral_constantIbLb0EES1A_EEDaS15_S16_EUlS15_E_NS1_11comp_targetILNS1_3genE3ELNS1_11target_archE908ELNS1_3gpuE7ELNS1_3repE0EEENS1_30default_config_static_selectorELNS0_4arch9wavefront6targetE1EEEvT1_.kd
    .uniform_work_group_size: 1
    .uses_dynamic_stack: false
    .vgpr_count:     0
    .vgpr_spill_count: 0
    .wavefront_size: 64
  - .agpr_count:     0
    .args:
      - .offset:         0
        .size:           120
        .value_kind:     by_value
    .group_segment_fixed_size: 0
    .kernarg_segment_align: 8
    .kernarg_segment_size: 120
    .language:       OpenCL C
    .language_version:
      - 2
      - 0
    .max_flat_workgroup_size: 192
    .name:           _ZN7rocprim17ROCPRIM_400000_NS6detail17trampoline_kernelINS0_14default_configENS1_25partition_config_selectorILNS1_17partition_subalgoE9EllbEEZZNS1_14partition_implILS5_9ELb0ES3_jPlS8_PNS0_10empty_typeENS0_5tupleIJS8_S9_EEENSB_IJS8_SA_EEENS0_18inequality_wrapperIZN2at6native12_GLOBAL__N_124unique_dim_cuda_templateIdEESt5tupleIJNSF_6TensorESK_SK_EERKSK_lbbbEUlllE0_EEPmJS9_EEE10hipError_tPvRmT3_T4_T5_T6_T7_T9_mT8_P12ihipStream_tbDpT10_ENKUlT_T0_E_clISt17integral_constantIbLb0EES1A_EEDaS15_S16_EUlS15_E_NS1_11comp_targetILNS1_3genE2ELNS1_11target_archE906ELNS1_3gpuE6ELNS1_3repE0EEENS1_30default_config_static_selectorELNS0_4arch9wavefront6targetE1EEEvT1_
    .private_segment_fixed_size: 0
    .sgpr_count:     6
    .sgpr_spill_count: 0
    .symbol:         _ZN7rocprim17ROCPRIM_400000_NS6detail17trampoline_kernelINS0_14default_configENS1_25partition_config_selectorILNS1_17partition_subalgoE9EllbEEZZNS1_14partition_implILS5_9ELb0ES3_jPlS8_PNS0_10empty_typeENS0_5tupleIJS8_S9_EEENSB_IJS8_SA_EEENS0_18inequality_wrapperIZN2at6native12_GLOBAL__N_124unique_dim_cuda_templateIdEESt5tupleIJNSF_6TensorESK_SK_EERKSK_lbbbEUlllE0_EEPmJS9_EEE10hipError_tPvRmT3_T4_T5_T6_T7_T9_mT8_P12ihipStream_tbDpT10_ENKUlT_T0_E_clISt17integral_constantIbLb0EES1A_EEDaS15_S16_EUlS15_E_NS1_11comp_targetILNS1_3genE2ELNS1_11target_archE906ELNS1_3gpuE6ELNS1_3repE0EEENS1_30default_config_static_selectorELNS0_4arch9wavefront6targetE1EEEvT1_.kd
    .uniform_work_group_size: 1
    .uses_dynamic_stack: false
    .vgpr_count:     0
    .vgpr_spill_count: 0
    .wavefront_size: 64
  - .agpr_count:     0
    .args:
      - .offset:         0
        .size:           120
        .value_kind:     by_value
    .group_segment_fixed_size: 0
    .kernarg_segment_align: 8
    .kernarg_segment_size: 120
    .language:       OpenCL C
    .language_version:
      - 2
      - 0
    .max_flat_workgroup_size: 384
    .name:           _ZN7rocprim17ROCPRIM_400000_NS6detail17trampoline_kernelINS0_14default_configENS1_25partition_config_selectorILNS1_17partition_subalgoE9EllbEEZZNS1_14partition_implILS5_9ELb0ES3_jPlS8_PNS0_10empty_typeENS0_5tupleIJS8_S9_EEENSB_IJS8_SA_EEENS0_18inequality_wrapperIZN2at6native12_GLOBAL__N_124unique_dim_cuda_templateIdEESt5tupleIJNSF_6TensorESK_SK_EERKSK_lbbbEUlllE0_EEPmJS9_EEE10hipError_tPvRmT3_T4_T5_T6_T7_T9_mT8_P12ihipStream_tbDpT10_ENKUlT_T0_E_clISt17integral_constantIbLb0EES1A_EEDaS15_S16_EUlS15_E_NS1_11comp_targetILNS1_3genE10ELNS1_11target_archE1200ELNS1_3gpuE4ELNS1_3repE0EEENS1_30default_config_static_selectorELNS0_4arch9wavefront6targetE1EEEvT1_
    .private_segment_fixed_size: 0
    .sgpr_count:     6
    .sgpr_spill_count: 0
    .symbol:         _ZN7rocprim17ROCPRIM_400000_NS6detail17trampoline_kernelINS0_14default_configENS1_25partition_config_selectorILNS1_17partition_subalgoE9EllbEEZZNS1_14partition_implILS5_9ELb0ES3_jPlS8_PNS0_10empty_typeENS0_5tupleIJS8_S9_EEENSB_IJS8_SA_EEENS0_18inequality_wrapperIZN2at6native12_GLOBAL__N_124unique_dim_cuda_templateIdEESt5tupleIJNSF_6TensorESK_SK_EERKSK_lbbbEUlllE0_EEPmJS9_EEE10hipError_tPvRmT3_T4_T5_T6_T7_T9_mT8_P12ihipStream_tbDpT10_ENKUlT_T0_E_clISt17integral_constantIbLb0EES1A_EEDaS15_S16_EUlS15_E_NS1_11comp_targetILNS1_3genE10ELNS1_11target_archE1200ELNS1_3gpuE4ELNS1_3repE0EEENS1_30default_config_static_selectorELNS0_4arch9wavefront6targetE1EEEvT1_.kd
    .uniform_work_group_size: 1
    .uses_dynamic_stack: false
    .vgpr_count:     0
    .vgpr_spill_count: 0
    .wavefront_size: 64
  - .agpr_count:     0
    .args:
      - .offset:         0
        .size:           120
        .value_kind:     by_value
    .group_segment_fixed_size: 0
    .kernarg_segment_align: 8
    .kernarg_segment_size: 120
    .language:       OpenCL C
    .language_version:
      - 2
      - 0
    .max_flat_workgroup_size: 512
    .name:           _ZN7rocprim17ROCPRIM_400000_NS6detail17trampoline_kernelINS0_14default_configENS1_25partition_config_selectorILNS1_17partition_subalgoE9EllbEEZZNS1_14partition_implILS5_9ELb0ES3_jPlS8_PNS0_10empty_typeENS0_5tupleIJS8_S9_EEENSB_IJS8_SA_EEENS0_18inequality_wrapperIZN2at6native12_GLOBAL__N_124unique_dim_cuda_templateIdEESt5tupleIJNSF_6TensorESK_SK_EERKSK_lbbbEUlllE0_EEPmJS9_EEE10hipError_tPvRmT3_T4_T5_T6_T7_T9_mT8_P12ihipStream_tbDpT10_ENKUlT_T0_E_clISt17integral_constantIbLb0EES1A_EEDaS15_S16_EUlS15_E_NS1_11comp_targetILNS1_3genE9ELNS1_11target_archE1100ELNS1_3gpuE3ELNS1_3repE0EEENS1_30default_config_static_selectorELNS0_4arch9wavefront6targetE1EEEvT1_
    .private_segment_fixed_size: 0
    .sgpr_count:     6
    .sgpr_spill_count: 0
    .symbol:         _ZN7rocprim17ROCPRIM_400000_NS6detail17trampoline_kernelINS0_14default_configENS1_25partition_config_selectorILNS1_17partition_subalgoE9EllbEEZZNS1_14partition_implILS5_9ELb0ES3_jPlS8_PNS0_10empty_typeENS0_5tupleIJS8_S9_EEENSB_IJS8_SA_EEENS0_18inequality_wrapperIZN2at6native12_GLOBAL__N_124unique_dim_cuda_templateIdEESt5tupleIJNSF_6TensorESK_SK_EERKSK_lbbbEUlllE0_EEPmJS9_EEE10hipError_tPvRmT3_T4_T5_T6_T7_T9_mT8_P12ihipStream_tbDpT10_ENKUlT_T0_E_clISt17integral_constantIbLb0EES1A_EEDaS15_S16_EUlS15_E_NS1_11comp_targetILNS1_3genE9ELNS1_11target_archE1100ELNS1_3gpuE3ELNS1_3repE0EEENS1_30default_config_static_selectorELNS0_4arch9wavefront6targetE1EEEvT1_.kd
    .uniform_work_group_size: 1
    .uses_dynamic_stack: false
    .vgpr_count:     0
    .vgpr_spill_count: 0
    .wavefront_size: 64
  - .agpr_count:     0
    .args:
      - .offset:         0
        .size:           120
        .value_kind:     by_value
    .group_segment_fixed_size: 0
    .kernarg_segment_align: 8
    .kernarg_segment_size: 120
    .language:       OpenCL C
    .language_version:
      - 2
      - 0
    .max_flat_workgroup_size: 512
    .name:           _ZN7rocprim17ROCPRIM_400000_NS6detail17trampoline_kernelINS0_14default_configENS1_25partition_config_selectorILNS1_17partition_subalgoE9EllbEEZZNS1_14partition_implILS5_9ELb0ES3_jPlS8_PNS0_10empty_typeENS0_5tupleIJS8_S9_EEENSB_IJS8_SA_EEENS0_18inequality_wrapperIZN2at6native12_GLOBAL__N_124unique_dim_cuda_templateIdEESt5tupleIJNSF_6TensorESK_SK_EERKSK_lbbbEUlllE0_EEPmJS9_EEE10hipError_tPvRmT3_T4_T5_T6_T7_T9_mT8_P12ihipStream_tbDpT10_ENKUlT_T0_E_clISt17integral_constantIbLb0EES1A_EEDaS15_S16_EUlS15_E_NS1_11comp_targetILNS1_3genE8ELNS1_11target_archE1030ELNS1_3gpuE2ELNS1_3repE0EEENS1_30default_config_static_selectorELNS0_4arch9wavefront6targetE1EEEvT1_
    .private_segment_fixed_size: 0
    .sgpr_count:     6
    .sgpr_spill_count: 0
    .symbol:         _ZN7rocprim17ROCPRIM_400000_NS6detail17trampoline_kernelINS0_14default_configENS1_25partition_config_selectorILNS1_17partition_subalgoE9EllbEEZZNS1_14partition_implILS5_9ELb0ES3_jPlS8_PNS0_10empty_typeENS0_5tupleIJS8_S9_EEENSB_IJS8_SA_EEENS0_18inequality_wrapperIZN2at6native12_GLOBAL__N_124unique_dim_cuda_templateIdEESt5tupleIJNSF_6TensorESK_SK_EERKSK_lbbbEUlllE0_EEPmJS9_EEE10hipError_tPvRmT3_T4_T5_T6_T7_T9_mT8_P12ihipStream_tbDpT10_ENKUlT_T0_E_clISt17integral_constantIbLb0EES1A_EEDaS15_S16_EUlS15_E_NS1_11comp_targetILNS1_3genE8ELNS1_11target_archE1030ELNS1_3gpuE2ELNS1_3repE0EEENS1_30default_config_static_selectorELNS0_4arch9wavefront6targetE1EEEvT1_.kd
    .uniform_work_group_size: 1
    .uses_dynamic_stack: false
    .vgpr_count:     0
    .vgpr_spill_count: 0
    .wavefront_size: 64
  - .agpr_count:     0
    .args:
      - .offset:         0
        .size:           136
        .value_kind:     by_value
    .group_segment_fixed_size: 0
    .kernarg_segment_align: 8
    .kernarg_segment_size: 136
    .language:       OpenCL C
    .language_version:
      - 2
      - 0
    .max_flat_workgroup_size: 128
    .name:           _ZN7rocprim17ROCPRIM_400000_NS6detail17trampoline_kernelINS0_14default_configENS1_25partition_config_selectorILNS1_17partition_subalgoE9EllbEEZZNS1_14partition_implILS5_9ELb0ES3_jPlS8_PNS0_10empty_typeENS0_5tupleIJS8_S9_EEENSB_IJS8_SA_EEENS0_18inequality_wrapperIZN2at6native12_GLOBAL__N_124unique_dim_cuda_templateIdEESt5tupleIJNSF_6TensorESK_SK_EERKSK_lbbbEUlllE0_EEPmJS9_EEE10hipError_tPvRmT3_T4_T5_T6_T7_T9_mT8_P12ihipStream_tbDpT10_ENKUlT_T0_E_clISt17integral_constantIbLb1EES1A_EEDaS15_S16_EUlS15_E_NS1_11comp_targetILNS1_3genE0ELNS1_11target_archE4294967295ELNS1_3gpuE0ELNS1_3repE0EEENS1_30default_config_static_selectorELNS0_4arch9wavefront6targetE1EEEvT1_
    .private_segment_fixed_size: 0
    .sgpr_count:     6
    .sgpr_spill_count: 0
    .symbol:         _ZN7rocprim17ROCPRIM_400000_NS6detail17trampoline_kernelINS0_14default_configENS1_25partition_config_selectorILNS1_17partition_subalgoE9EllbEEZZNS1_14partition_implILS5_9ELb0ES3_jPlS8_PNS0_10empty_typeENS0_5tupleIJS8_S9_EEENSB_IJS8_SA_EEENS0_18inequality_wrapperIZN2at6native12_GLOBAL__N_124unique_dim_cuda_templateIdEESt5tupleIJNSF_6TensorESK_SK_EERKSK_lbbbEUlllE0_EEPmJS9_EEE10hipError_tPvRmT3_T4_T5_T6_T7_T9_mT8_P12ihipStream_tbDpT10_ENKUlT_T0_E_clISt17integral_constantIbLb1EES1A_EEDaS15_S16_EUlS15_E_NS1_11comp_targetILNS1_3genE0ELNS1_11target_archE4294967295ELNS1_3gpuE0ELNS1_3repE0EEENS1_30default_config_static_selectorELNS0_4arch9wavefront6targetE1EEEvT1_.kd
    .uniform_work_group_size: 1
    .uses_dynamic_stack: false
    .vgpr_count:     0
    .vgpr_spill_count: 0
    .wavefront_size: 64
  - .agpr_count:     0
    .args:
      - .offset:         0
        .size:           136
        .value_kind:     by_value
    .group_segment_fixed_size: 0
    .kernarg_segment_align: 8
    .kernarg_segment_size: 136
    .language:       OpenCL C
    .language_version:
      - 2
      - 0
    .max_flat_workgroup_size: 512
    .name:           _ZN7rocprim17ROCPRIM_400000_NS6detail17trampoline_kernelINS0_14default_configENS1_25partition_config_selectorILNS1_17partition_subalgoE9EllbEEZZNS1_14partition_implILS5_9ELb0ES3_jPlS8_PNS0_10empty_typeENS0_5tupleIJS8_S9_EEENSB_IJS8_SA_EEENS0_18inequality_wrapperIZN2at6native12_GLOBAL__N_124unique_dim_cuda_templateIdEESt5tupleIJNSF_6TensorESK_SK_EERKSK_lbbbEUlllE0_EEPmJS9_EEE10hipError_tPvRmT3_T4_T5_T6_T7_T9_mT8_P12ihipStream_tbDpT10_ENKUlT_T0_E_clISt17integral_constantIbLb1EES1A_EEDaS15_S16_EUlS15_E_NS1_11comp_targetILNS1_3genE5ELNS1_11target_archE942ELNS1_3gpuE9ELNS1_3repE0EEENS1_30default_config_static_selectorELNS0_4arch9wavefront6targetE1EEEvT1_
    .private_segment_fixed_size: 0
    .sgpr_count:     6
    .sgpr_spill_count: 0
    .symbol:         _ZN7rocprim17ROCPRIM_400000_NS6detail17trampoline_kernelINS0_14default_configENS1_25partition_config_selectorILNS1_17partition_subalgoE9EllbEEZZNS1_14partition_implILS5_9ELb0ES3_jPlS8_PNS0_10empty_typeENS0_5tupleIJS8_S9_EEENSB_IJS8_SA_EEENS0_18inequality_wrapperIZN2at6native12_GLOBAL__N_124unique_dim_cuda_templateIdEESt5tupleIJNSF_6TensorESK_SK_EERKSK_lbbbEUlllE0_EEPmJS9_EEE10hipError_tPvRmT3_T4_T5_T6_T7_T9_mT8_P12ihipStream_tbDpT10_ENKUlT_T0_E_clISt17integral_constantIbLb1EES1A_EEDaS15_S16_EUlS15_E_NS1_11comp_targetILNS1_3genE5ELNS1_11target_archE942ELNS1_3gpuE9ELNS1_3repE0EEENS1_30default_config_static_selectorELNS0_4arch9wavefront6targetE1EEEvT1_.kd
    .uniform_work_group_size: 1
    .uses_dynamic_stack: false
    .vgpr_count:     0
    .vgpr_spill_count: 0
    .wavefront_size: 64
  - .agpr_count:     0
    .args:
      - .offset:         0
        .size:           136
        .value_kind:     by_value
    .group_segment_fixed_size: 0
    .kernarg_segment_align: 8
    .kernarg_segment_size: 136
    .language:       OpenCL C
    .language_version:
      - 2
      - 0
    .max_flat_workgroup_size: 128
    .name:           _ZN7rocprim17ROCPRIM_400000_NS6detail17trampoline_kernelINS0_14default_configENS1_25partition_config_selectorILNS1_17partition_subalgoE9EllbEEZZNS1_14partition_implILS5_9ELb0ES3_jPlS8_PNS0_10empty_typeENS0_5tupleIJS8_S9_EEENSB_IJS8_SA_EEENS0_18inequality_wrapperIZN2at6native12_GLOBAL__N_124unique_dim_cuda_templateIdEESt5tupleIJNSF_6TensorESK_SK_EERKSK_lbbbEUlllE0_EEPmJS9_EEE10hipError_tPvRmT3_T4_T5_T6_T7_T9_mT8_P12ihipStream_tbDpT10_ENKUlT_T0_E_clISt17integral_constantIbLb1EES1A_EEDaS15_S16_EUlS15_E_NS1_11comp_targetILNS1_3genE4ELNS1_11target_archE910ELNS1_3gpuE8ELNS1_3repE0EEENS1_30default_config_static_selectorELNS0_4arch9wavefront6targetE1EEEvT1_
    .private_segment_fixed_size: 0
    .sgpr_count:     6
    .sgpr_spill_count: 0
    .symbol:         _ZN7rocprim17ROCPRIM_400000_NS6detail17trampoline_kernelINS0_14default_configENS1_25partition_config_selectorILNS1_17partition_subalgoE9EllbEEZZNS1_14partition_implILS5_9ELb0ES3_jPlS8_PNS0_10empty_typeENS0_5tupleIJS8_S9_EEENSB_IJS8_SA_EEENS0_18inequality_wrapperIZN2at6native12_GLOBAL__N_124unique_dim_cuda_templateIdEESt5tupleIJNSF_6TensorESK_SK_EERKSK_lbbbEUlllE0_EEPmJS9_EEE10hipError_tPvRmT3_T4_T5_T6_T7_T9_mT8_P12ihipStream_tbDpT10_ENKUlT_T0_E_clISt17integral_constantIbLb1EES1A_EEDaS15_S16_EUlS15_E_NS1_11comp_targetILNS1_3genE4ELNS1_11target_archE910ELNS1_3gpuE8ELNS1_3repE0EEENS1_30default_config_static_selectorELNS0_4arch9wavefront6targetE1EEEvT1_.kd
    .uniform_work_group_size: 1
    .uses_dynamic_stack: false
    .vgpr_count:     0
    .vgpr_spill_count: 0
    .wavefront_size: 64
  - .agpr_count:     0
    .args:
      - .offset:         0
        .size:           136
        .value_kind:     by_value
    .group_segment_fixed_size: 0
    .kernarg_segment_align: 8
    .kernarg_segment_size: 136
    .language:       OpenCL C
    .language_version:
      - 2
      - 0
    .max_flat_workgroup_size: 128
    .name:           _ZN7rocprim17ROCPRIM_400000_NS6detail17trampoline_kernelINS0_14default_configENS1_25partition_config_selectorILNS1_17partition_subalgoE9EllbEEZZNS1_14partition_implILS5_9ELb0ES3_jPlS8_PNS0_10empty_typeENS0_5tupleIJS8_S9_EEENSB_IJS8_SA_EEENS0_18inequality_wrapperIZN2at6native12_GLOBAL__N_124unique_dim_cuda_templateIdEESt5tupleIJNSF_6TensorESK_SK_EERKSK_lbbbEUlllE0_EEPmJS9_EEE10hipError_tPvRmT3_T4_T5_T6_T7_T9_mT8_P12ihipStream_tbDpT10_ENKUlT_T0_E_clISt17integral_constantIbLb1EES1A_EEDaS15_S16_EUlS15_E_NS1_11comp_targetILNS1_3genE3ELNS1_11target_archE908ELNS1_3gpuE7ELNS1_3repE0EEENS1_30default_config_static_selectorELNS0_4arch9wavefront6targetE1EEEvT1_
    .private_segment_fixed_size: 0
    .sgpr_count:     6
    .sgpr_spill_count: 0
    .symbol:         _ZN7rocprim17ROCPRIM_400000_NS6detail17trampoline_kernelINS0_14default_configENS1_25partition_config_selectorILNS1_17partition_subalgoE9EllbEEZZNS1_14partition_implILS5_9ELb0ES3_jPlS8_PNS0_10empty_typeENS0_5tupleIJS8_S9_EEENSB_IJS8_SA_EEENS0_18inequality_wrapperIZN2at6native12_GLOBAL__N_124unique_dim_cuda_templateIdEESt5tupleIJNSF_6TensorESK_SK_EERKSK_lbbbEUlllE0_EEPmJS9_EEE10hipError_tPvRmT3_T4_T5_T6_T7_T9_mT8_P12ihipStream_tbDpT10_ENKUlT_T0_E_clISt17integral_constantIbLb1EES1A_EEDaS15_S16_EUlS15_E_NS1_11comp_targetILNS1_3genE3ELNS1_11target_archE908ELNS1_3gpuE7ELNS1_3repE0EEENS1_30default_config_static_selectorELNS0_4arch9wavefront6targetE1EEEvT1_.kd
    .uniform_work_group_size: 1
    .uses_dynamic_stack: false
    .vgpr_count:     0
    .vgpr_spill_count: 0
    .wavefront_size: 64
  - .agpr_count:     0
    .args:
      - .offset:         0
        .size:           136
        .value_kind:     by_value
    .group_segment_fixed_size: 0
    .kernarg_segment_align: 8
    .kernarg_segment_size: 136
    .language:       OpenCL C
    .language_version:
      - 2
      - 0
    .max_flat_workgroup_size: 192
    .name:           _ZN7rocprim17ROCPRIM_400000_NS6detail17trampoline_kernelINS0_14default_configENS1_25partition_config_selectorILNS1_17partition_subalgoE9EllbEEZZNS1_14partition_implILS5_9ELb0ES3_jPlS8_PNS0_10empty_typeENS0_5tupleIJS8_S9_EEENSB_IJS8_SA_EEENS0_18inequality_wrapperIZN2at6native12_GLOBAL__N_124unique_dim_cuda_templateIdEESt5tupleIJNSF_6TensorESK_SK_EERKSK_lbbbEUlllE0_EEPmJS9_EEE10hipError_tPvRmT3_T4_T5_T6_T7_T9_mT8_P12ihipStream_tbDpT10_ENKUlT_T0_E_clISt17integral_constantIbLb1EES1A_EEDaS15_S16_EUlS15_E_NS1_11comp_targetILNS1_3genE2ELNS1_11target_archE906ELNS1_3gpuE6ELNS1_3repE0EEENS1_30default_config_static_selectorELNS0_4arch9wavefront6targetE1EEEvT1_
    .private_segment_fixed_size: 0
    .sgpr_count:     6
    .sgpr_spill_count: 0
    .symbol:         _ZN7rocprim17ROCPRIM_400000_NS6detail17trampoline_kernelINS0_14default_configENS1_25partition_config_selectorILNS1_17partition_subalgoE9EllbEEZZNS1_14partition_implILS5_9ELb0ES3_jPlS8_PNS0_10empty_typeENS0_5tupleIJS8_S9_EEENSB_IJS8_SA_EEENS0_18inequality_wrapperIZN2at6native12_GLOBAL__N_124unique_dim_cuda_templateIdEESt5tupleIJNSF_6TensorESK_SK_EERKSK_lbbbEUlllE0_EEPmJS9_EEE10hipError_tPvRmT3_T4_T5_T6_T7_T9_mT8_P12ihipStream_tbDpT10_ENKUlT_T0_E_clISt17integral_constantIbLb1EES1A_EEDaS15_S16_EUlS15_E_NS1_11comp_targetILNS1_3genE2ELNS1_11target_archE906ELNS1_3gpuE6ELNS1_3repE0EEENS1_30default_config_static_selectorELNS0_4arch9wavefront6targetE1EEEvT1_.kd
    .uniform_work_group_size: 1
    .uses_dynamic_stack: false
    .vgpr_count:     0
    .vgpr_spill_count: 0
    .wavefront_size: 64
  - .agpr_count:     0
    .args:
      - .offset:         0
        .size:           136
        .value_kind:     by_value
    .group_segment_fixed_size: 0
    .kernarg_segment_align: 8
    .kernarg_segment_size: 136
    .language:       OpenCL C
    .language_version:
      - 2
      - 0
    .max_flat_workgroup_size: 384
    .name:           _ZN7rocprim17ROCPRIM_400000_NS6detail17trampoline_kernelINS0_14default_configENS1_25partition_config_selectorILNS1_17partition_subalgoE9EllbEEZZNS1_14partition_implILS5_9ELb0ES3_jPlS8_PNS0_10empty_typeENS0_5tupleIJS8_S9_EEENSB_IJS8_SA_EEENS0_18inequality_wrapperIZN2at6native12_GLOBAL__N_124unique_dim_cuda_templateIdEESt5tupleIJNSF_6TensorESK_SK_EERKSK_lbbbEUlllE0_EEPmJS9_EEE10hipError_tPvRmT3_T4_T5_T6_T7_T9_mT8_P12ihipStream_tbDpT10_ENKUlT_T0_E_clISt17integral_constantIbLb1EES1A_EEDaS15_S16_EUlS15_E_NS1_11comp_targetILNS1_3genE10ELNS1_11target_archE1200ELNS1_3gpuE4ELNS1_3repE0EEENS1_30default_config_static_selectorELNS0_4arch9wavefront6targetE1EEEvT1_
    .private_segment_fixed_size: 0
    .sgpr_count:     6
    .sgpr_spill_count: 0
    .symbol:         _ZN7rocprim17ROCPRIM_400000_NS6detail17trampoline_kernelINS0_14default_configENS1_25partition_config_selectorILNS1_17partition_subalgoE9EllbEEZZNS1_14partition_implILS5_9ELb0ES3_jPlS8_PNS0_10empty_typeENS0_5tupleIJS8_S9_EEENSB_IJS8_SA_EEENS0_18inequality_wrapperIZN2at6native12_GLOBAL__N_124unique_dim_cuda_templateIdEESt5tupleIJNSF_6TensorESK_SK_EERKSK_lbbbEUlllE0_EEPmJS9_EEE10hipError_tPvRmT3_T4_T5_T6_T7_T9_mT8_P12ihipStream_tbDpT10_ENKUlT_T0_E_clISt17integral_constantIbLb1EES1A_EEDaS15_S16_EUlS15_E_NS1_11comp_targetILNS1_3genE10ELNS1_11target_archE1200ELNS1_3gpuE4ELNS1_3repE0EEENS1_30default_config_static_selectorELNS0_4arch9wavefront6targetE1EEEvT1_.kd
    .uniform_work_group_size: 1
    .uses_dynamic_stack: false
    .vgpr_count:     0
    .vgpr_spill_count: 0
    .wavefront_size: 64
  - .agpr_count:     0
    .args:
      - .offset:         0
        .size:           136
        .value_kind:     by_value
    .group_segment_fixed_size: 0
    .kernarg_segment_align: 8
    .kernarg_segment_size: 136
    .language:       OpenCL C
    .language_version:
      - 2
      - 0
    .max_flat_workgroup_size: 512
    .name:           _ZN7rocprim17ROCPRIM_400000_NS6detail17trampoline_kernelINS0_14default_configENS1_25partition_config_selectorILNS1_17partition_subalgoE9EllbEEZZNS1_14partition_implILS5_9ELb0ES3_jPlS8_PNS0_10empty_typeENS0_5tupleIJS8_S9_EEENSB_IJS8_SA_EEENS0_18inequality_wrapperIZN2at6native12_GLOBAL__N_124unique_dim_cuda_templateIdEESt5tupleIJNSF_6TensorESK_SK_EERKSK_lbbbEUlllE0_EEPmJS9_EEE10hipError_tPvRmT3_T4_T5_T6_T7_T9_mT8_P12ihipStream_tbDpT10_ENKUlT_T0_E_clISt17integral_constantIbLb1EES1A_EEDaS15_S16_EUlS15_E_NS1_11comp_targetILNS1_3genE9ELNS1_11target_archE1100ELNS1_3gpuE3ELNS1_3repE0EEENS1_30default_config_static_selectorELNS0_4arch9wavefront6targetE1EEEvT1_
    .private_segment_fixed_size: 0
    .sgpr_count:     6
    .sgpr_spill_count: 0
    .symbol:         _ZN7rocprim17ROCPRIM_400000_NS6detail17trampoline_kernelINS0_14default_configENS1_25partition_config_selectorILNS1_17partition_subalgoE9EllbEEZZNS1_14partition_implILS5_9ELb0ES3_jPlS8_PNS0_10empty_typeENS0_5tupleIJS8_S9_EEENSB_IJS8_SA_EEENS0_18inequality_wrapperIZN2at6native12_GLOBAL__N_124unique_dim_cuda_templateIdEESt5tupleIJNSF_6TensorESK_SK_EERKSK_lbbbEUlllE0_EEPmJS9_EEE10hipError_tPvRmT3_T4_T5_T6_T7_T9_mT8_P12ihipStream_tbDpT10_ENKUlT_T0_E_clISt17integral_constantIbLb1EES1A_EEDaS15_S16_EUlS15_E_NS1_11comp_targetILNS1_3genE9ELNS1_11target_archE1100ELNS1_3gpuE3ELNS1_3repE0EEENS1_30default_config_static_selectorELNS0_4arch9wavefront6targetE1EEEvT1_.kd
    .uniform_work_group_size: 1
    .uses_dynamic_stack: false
    .vgpr_count:     0
    .vgpr_spill_count: 0
    .wavefront_size: 64
  - .agpr_count:     0
    .args:
      - .offset:         0
        .size:           136
        .value_kind:     by_value
    .group_segment_fixed_size: 0
    .kernarg_segment_align: 8
    .kernarg_segment_size: 136
    .language:       OpenCL C
    .language_version:
      - 2
      - 0
    .max_flat_workgroup_size: 512
    .name:           _ZN7rocprim17ROCPRIM_400000_NS6detail17trampoline_kernelINS0_14default_configENS1_25partition_config_selectorILNS1_17partition_subalgoE9EllbEEZZNS1_14partition_implILS5_9ELb0ES3_jPlS8_PNS0_10empty_typeENS0_5tupleIJS8_S9_EEENSB_IJS8_SA_EEENS0_18inequality_wrapperIZN2at6native12_GLOBAL__N_124unique_dim_cuda_templateIdEESt5tupleIJNSF_6TensorESK_SK_EERKSK_lbbbEUlllE0_EEPmJS9_EEE10hipError_tPvRmT3_T4_T5_T6_T7_T9_mT8_P12ihipStream_tbDpT10_ENKUlT_T0_E_clISt17integral_constantIbLb1EES1A_EEDaS15_S16_EUlS15_E_NS1_11comp_targetILNS1_3genE8ELNS1_11target_archE1030ELNS1_3gpuE2ELNS1_3repE0EEENS1_30default_config_static_selectorELNS0_4arch9wavefront6targetE1EEEvT1_
    .private_segment_fixed_size: 0
    .sgpr_count:     6
    .sgpr_spill_count: 0
    .symbol:         _ZN7rocprim17ROCPRIM_400000_NS6detail17trampoline_kernelINS0_14default_configENS1_25partition_config_selectorILNS1_17partition_subalgoE9EllbEEZZNS1_14partition_implILS5_9ELb0ES3_jPlS8_PNS0_10empty_typeENS0_5tupleIJS8_S9_EEENSB_IJS8_SA_EEENS0_18inequality_wrapperIZN2at6native12_GLOBAL__N_124unique_dim_cuda_templateIdEESt5tupleIJNSF_6TensorESK_SK_EERKSK_lbbbEUlllE0_EEPmJS9_EEE10hipError_tPvRmT3_T4_T5_T6_T7_T9_mT8_P12ihipStream_tbDpT10_ENKUlT_T0_E_clISt17integral_constantIbLb1EES1A_EEDaS15_S16_EUlS15_E_NS1_11comp_targetILNS1_3genE8ELNS1_11target_archE1030ELNS1_3gpuE2ELNS1_3repE0EEENS1_30default_config_static_selectorELNS0_4arch9wavefront6targetE1EEEvT1_.kd
    .uniform_work_group_size: 1
    .uses_dynamic_stack: false
    .vgpr_count:     0
    .vgpr_spill_count: 0
    .wavefront_size: 64
  - .agpr_count:     0
    .args:
      - .offset:         0
        .size:           120
        .value_kind:     by_value
    .group_segment_fixed_size: 0
    .kernarg_segment_align: 8
    .kernarg_segment_size: 120
    .language:       OpenCL C
    .language_version:
      - 2
      - 0
    .max_flat_workgroup_size: 128
    .name:           _ZN7rocprim17ROCPRIM_400000_NS6detail17trampoline_kernelINS0_14default_configENS1_25partition_config_selectorILNS1_17partition_subalgoE9EllbEEZZNS1_14partition_implILS5_9ELb0ES3_jPlS8_PNS0_10empty_typeENS0_5tupleIJS8_S9_EEENSB_IJS8_SA_EEENS0_18inequality_wrapperIZN2at6native12_GLOBAL__N_124unique_dim_cuda_templateIdEESt5tupleIJNSF_6TensorESK_SK_EERKSK_lbbbEUlllE0_EEPmJS9_EEE10hipError_tPvRmT3_T4_T5_T6_T7_T9_mT8_P12ihipStream_tbDpT10_ENKUlT_T0_E_clISt17integral_constantIbLb1EES19_IbLb0EEEEDaS15_S16_EUlS15_E_NS1_11comp_targetILNS1_3genE0ELNS1_11target_archE4294967295ELNS1_3gpuE0ELNS1_3repE0EEENS1_30default_config_static_selectorELNS0_4arch9wavefront6targetE1EEEvT1_
    .private_segment_fixed_size: 0
    .sgpr_count:     6
    .sgpr_spill_count: 0
    .symbol:         _ZN7rocprim17ROCPRIM_400000_NS6detail17trampoline_kernelINS0_14default_configENS1_25partition_config_selectorILNS1_17partition_subalgoE9EllbEEZZNS1_14partition_implILS5_9ELb0ES3_jPlS8_PNS0_10empty_typeENS0_5tupleIJS8_S9_EEENSB_IJS8_SA_EEENS0_18inequality_wrapperIZN2at6native12_GLOBAL__N_124unique_dim_cuda_templateIdEESt5tupleIJNSF_6TensorESK_SK_EERKSK_lbbbEUlllE0_EEPmJS9_EEE10hipError_tPvRmT3_T4_T5_T6_T7_T9_mT8_P12ihipStream_tbDpT10_ENKUlT_T0_E_clISt17integral_constantIbLb1EES19_IbLb0EEEEDaS15_S16_EUlS15_E_NS1_11comp_targetILNS1_3genE0ELNS1_11target_archE4294967295ELNS1_3gpuE0ELNS1_3repE0EEENS1_30default_config_static_selectorELNS0_4arch9wavefront6targetE1EEEvT1_.kd
    .uniform_work_group_size: 1
    .uses_dynamic_stack: false
    .vgpr_count:     0
    .vgpr_spill_count: 0
    .wavefront_size: 64
  - .agpr_count:     0
    .args:
      - .offset:         0
        .size:           120
        .value_kind:     by_value
    .group_segment_fixed_size: 0
    .kernarg_segment_align: 8
    .kernarg_segment_size: 120
    .language:       OpenCL C
    .language_version:
      - 2
      - 0
    .max_flat_workgroup_size: 512
    .name:           _ZN7rocprim17ROCPRIM_400000_NS6detail17trampoline_kernelINS0_14default_configENS1_25partition_config_selectorILNS1_17partition_subalgoE9EllbEEZZNS1_14partition_implILS5_9ELb0ES3_jPlS8_PNS0_10empty_typeENS0_5tupleIJS8_S9_EEENSB_IJS8_SA_EEENS0_18inequality_wrapperIZN2at6native12_GLOBAL__N_124unique_dim_cuda_templateIdEESt5tupleIJNSF_6TensorESK_SK_EERKSK_lbbbEUlllE0_EEPmJS9_EEE10hipError_tPvRmT3_T4_T5_T6_T7_T9_mT8_P12ihipStream_tbDpT10_ENKUlT_T0_E_clISt17integral_constantIbLb1EES19_IbLb0EEEEDaS15_S16_EUlS15_E_NS1_11comp_targetILNS1_3genE5ELNS1_11target_archE942ELNS1_3gpuE9ELNS1_3repE0EEENS1_30default_config_static_selectorELNS0_4arch9wavefront6targetE1EEEvT1_
    .private_segment_fixed_size: 0
    .sgpr_count:     6
    .sgpr_spill_count: 0
    .symbol:         _ZN7rocprim17ROCPRIM_400000_NS6detail17trampoline_kernelINS0_14default_configENS1_25partition_config_selectorILNS1_17partition_subalgoE9EllbEEZZNS1_14partition_implILS5_9ELb0ES3_jPlS8_PNS0_10empty_typeENS0_5tupleIJS8_S9_EEENSB_IJS8_SA_EEENS0_18inequality_wrapperIZN2at6native12_GLOBAL__N_124unique_dim_cuda_templateIdEESt5tupleIJNSF_6TensorESK_SK_EERKSK_lbbbEUlllE0_EEPmJS9_EEE10hipError_tPvRmT3_T4_T5_T6_T7_T9_mT8_P12ihipStream_tbDpT10_ENKUlT_T0_E_clISt17integral_constantIbLb1EES19_IbLb0EEEEDaS15_S16_EUlS15_E_NS1_11comp_targetILNS1_3genE5ELNS1_11target_archE942ELNS1_3gpuE9ELNS1_3repE0EEENS1_30default_config_static_selectorELNS0_4arch9wavefront6targetE1EEEvT1_.kd
    .uniform_work_group_size: 1
    .uses_dynamic_stack: false
    .vgpr_count:     0
    .vgpr_spill_count: 0
    .wavefront_size: 64
  - .agpr_count:     0
    .args:
      - .offset:         0
        .size:           120
        .value_kind:     by_value
    .group_segment_fixed_size: 0
    .kernarg_segment_align: 8
    .kernarg_segment_size: 120
    .language:       OpenCL C
    .language_version:
      - 2
      - 0
    .max_flat_workgroup_size: 128
    .name:           _ZN7rocprim17ROCPRIM_400000_NS6detail17trampoline_kernelINS0_14default_configENS1_25partition_config_selectorILNS1_17partition_subalgoE9EllbEEZZNS1_14partition_implILS5_9ELb0ES3_jPlS8_PNS0_10empty_typeENS0_5tupleIJS8_S9_EEENSB_IJS8_SA_EEENS0_18inequality_wrapperIZN2at6native12_GLOBAL__N_124unique_dim_cuda_templateIdEESt5tupleIJNSF_6TensorESK_SK_EERKSK_lbbbEUlllE0_EEPmJS9_EEE10hipError_tPvRmT3_T4_T5_T6_T7_T9_mT8_P12ihipStream_tbDpT10_ENKUlT_T0_E_clISt17integral_constantIbLb1EES19_IbLb0EEEEDaS15_S16_EUlS15_E_NS1_11comp_targetILNS1_3genE4ELNS1_11target_archE910ELNS1_3gpuE8ELNS1_3repE0EEENS1_30default_config_static_selectorELNS0_4arch9wavefront6targetE1EEEvT1_
    .private_segment_fixed_size: 0
    .sgpr_count:     6
    .sgpr_spill_count: 0
    .symbol:         _ZN7rocprim17ROCPRIM_400000_NS6detail17trampoline_kernelINS0_14default_configENS1_25partition_config_selectorILNS1_17partition_subalgoE9EllbEEZZNS1_14partition_implILS5_9ELb0ES3_jPlS8_PNS0_10empty_typeENS0_5tupleIJS8_S9_EEENSB_IJS8_SA_EEENS0_18inequality_wrapperIZN2at6native12_GLOBAL__N_124unique_dim_cuda_templateIdEESt5tupleIJNSF_6TensorESK_SK_EERKSK_lbbbEUlllE0_EEPmJS9_EEE10hipError_tPvRmT3_T4_T5_T6_T7_T9_mT8_P12ihipStream_tbDpT10_ENKUlT_T0_E_clISt17integral_constantIbLb1EES19_IbLb0EEEEDaS15_S16_EUlS15_E_NS1_11comp_targetILNS1_3genE4ELNS1_11target_archE910ELNS1_3gpuE8ELNS1_3repE0EEENS1_30default_config_static_selectorELNS0_4arch9wavefront6targetE1EEEvT1_.kd
    .uniform_work_group_size: 1
    .uses_dynamic_stack: false
    .vgpr_count:     0
    .vgpr_spill_count: 0
    .wavefront_size: 64
  - .agpr_count:     0
    .args:
      - .offset:         0
        .size:           120
        .value_kind:     by_value
    .group_segment_fixed_size: 0
    .kernarg_segment_align: 8
    .kernarg_segment_size: 120
    .language:       OpenCL C
    .language_version:
      - 2
      - 0
    .max_flat_workgroup_size: 128
    .name:           _ZN7rocprim17ROCPRIM_400000_NS6detail17trampoline_kernelINS0_14default_configENS1_25partition_config_selectorILNS1_17partition_subalgoE9EllbEEZZNS1_14partition_implILS5_9ELb0ES3_jPlS8_PNS0_10empty_typeENS0_5tupleIJS8_S9_EEENSB_IJS8_SA_EEENS0_18inequality_wrapperIZN2at6native12_GLOBAL__N_124unique_dim_cuda_templateIdEESt5tupleIJNSF_6TensorESK_SK_EERKSK_lbbbEUlllE0_EEPmJS9_EEE10hipError_tPvRmT3_T4_T5_T6_T7_T9_mT8_P12ihipStream_tbDpT10_ENKUlT_T0_E_clISt17integral_constantIbLb1EES19_IbLb0EEEEDaS15_S16_EUlS15_E_NS1_11comp_targetILNS1_3genE3ELNS1_11target_archE908ELNS1_3gpuE7ELNS1_3repE0EEENS1_30default_config_static_selectorELNS0_4arch9wavefront6targetE1EEEvT1_
    .private_segment_fixed_size: 0
    .sgpr_count:     6
    .sgpr_spill_count: 0
    .symbol:         _ZN7rocprim17ROCPRIM_400000_NS6detail17trampoline_kernelINS0_14default_configENS1_25partition_config_selectorILNS1_17partition_subalgoE9EllbEEZZNS1_14partition_implILS5_9ELb0ES3_jPlS8_PNS0_10empty_typeENS0_5tupleIJS8_S9_EEENSB_IJS8_SA_EEENS0_18inequality_wrapperIZN2at6native12_GLOBAL__N_124unique_dim_cuda_templateIdEESt5tupleIJNSF_6TensorESK_SK_EERKSK_lbbbEUlllE0_EEPmJS9_EEE10hipError_tPvRmT3_T4_T5_T6_T7_T9_mT8_P12ihipStream_tbDpT10_ENKUlT_T0_E_clISt17integral_constantIbLb1EES19_IbLb0EEEEDaS15_S16_EUlS15_E_NS1_11comp_targetILNS1_3genE3ELNS1_11target_archE908ELNS1_3gpuE7ELNS1_3repE0EEENS1_30default_config_static_selectorELNS0_4arch9wavefront6targetE1EEEvT1_.kd
    .uniform_work_group_size: 1
    .uses_dynamic_stack: false
    .vgpr_count:     0
    .vgpr_spill_count: 0
    .wavefront_size: 64
  - .agpr_count:     0
    .args:
      - .offset:         0
        .size:           120
        .value_kind:     by_value
    .group_segment_fixed_size: 0
    .kernarg_segment_align: 8
    .kernarg_segment_size: 120
    .language:       OpenCL C
    .language_version:
      - 2
      - 0
    .max_flat_workgroup_size: 192
    .name:           _ZN7rocprim17ROCPRIM_400000_NS6detail17trampoline_kernelINS0_14default_configENS1_25partition_config_selectorILNS1_17partition_subalgoE9EllbEEZZNS1_14partition_implILS5_9ELb0ES3_jPlS8_PNS0_10empty_typeENS0_5tupleIJS8_S9_EEENSB_IJS8_SA_EEENS0_18inequality_wrapperIZN2at6native12_GLOBAL__N_124unique_dim_cuda_templateIdEESt5tupleIJNSF_6TensorESK_SK_EERKSK_lbbbEUlllE0_EEPmJS9_EEE10hipError_tPvRmT3_T4_T5_T6_T7_T9_mT8_P12ihipStream_tbDpT10_ENKUlT_T0_E_clISt17integral_constantIbLb1EES19_IbLb0EEEEDaS15_S16_EUlS15_E_NS1_11comp_targetILNS1_3genE2ELNS1_11target_archE906ELNS1_3gpuE6ELNS1_3repE0EEENS1_30default_config_static_selectorELNS0_4arch9wavefront6targetE1EEEvT1_
    .private_segment_fixed_size: 0
    .sgpr_count:     6
    .sgpr_spill_count: 0
    .symbol:         _ZN7rocprim17ROCPRIM_400000_NS6detail17trampoline_kernelINS0_14default_configENS1_25partition_config_selectorILNS1_17partition_subalgoE9EllbEEZZNS1_14partition_implILS5_9ELb0ES3_jPlS8_PNS0_10empty_typeENS0_5tupleIJS8_S9_EEENSB_IJS8_SA_EEENS0_18inequality_wrapperIZN2at6native12_GLOBAL__N_124unique_dim_cuda_templateIdEESt5tupleIJNSF_6TensorESK_SK_EERKSK_lbbbEUlllE0_EEPmJS9_EEE10hipError_tPvRmT3_T4_T5_T6_T7_T9_mT8_P12ihipStream_tbDpT10_ENKUlT_T0_E_clISt17integral_constantIbLb1EES19_IbLb0EEEEDaS15_S16_EUlS15_E_NS1_11comp_targetILNS1_3genE2ELNS1_11target_archE906ELNS1_3gpuE6ELNS1_3repE0EEENS1_30default_config_static_selectorELNS0_4arch9wavefront6targetE1EEEvT1_.kd
    .uniform_work_group_size: 1
    .uses_dynamic_stack: false
    .vgpr_count:     0
    .vgpr_spill_count: 0
    .wavefront_size: 64
  - .agpr_count:     0
    .args:
      - .offset:         0
        .size:           120
        .value_kind:     by_value
    .group_segment_fixed_size: 0
    .kernarg_segment_align: 8
    .kernarg_segment_size: 120
    .language:       OpenCL C
    .language_version:
      - 2
      - 0
    .max_flat_workgroup_size: 384
    .name:           _ZN7rocprim17ROCPRIM_400000_NS6detail17trampoline_kernelINS0_14default_configENS1_25partition_config_selectorILNS1_17partition_subalgoE9EllbEEZZNS1_14partition_implILS5_9ELb0ES3_jPlS8_PNS0_10empty_typeENS0_5tupleIJS8_S9_EEENSB_IJS8_SA_EEENS0_18inequality_wrapperIZN2at6native12_GLOBAL__N_124unique_dim_cuda_templateIdEESt5tupleIJNSF_6TensorESK_SK_EERKSK_lbbbEUlllE0_EEPmJS9_EEE10hipError_tPvRmT3_T4_T5_T6_T7_T9_mT8_P12ihipStream_tbDpT10_ENKUlT_T0_E_clISt17integral_constantIbLb1EES19_IbLb0EEEEDaS15_S16_EUlS15_E_NS1_11comp_targetILNS1_3genE10ELNS1_11target_archE1200ELNS1_3gpuE4ELNS1_3repE0EEENS1_30default_config_static_selectorELNS0_4arch9wavefront6targetE1EEEvT1_
    .private_segment_fixed_size: 0
    .sgpr_count:     6
    .sgpr_spill_count: 0
    .symbol:         _ZN7rocprim17ROCPRIM_400000_NS6detail17trampoline_kernelINS0_14default_configENS1_25partition_config_selectorILNS1_17partition_subalgoE9EllbEEZZNS1_14partition_implILS5_9ELb0ES3_jPlS8_PNS0_10empty_typeENS0_5tupleIJS8_S9_EEENSB_IJS8_SA_EEENS0_18inequality_wrapperIZN2at6native12_GLOBAL__N_124unique_dim_cuda_templateIdEESt5tupleIJNSF_6TensorESK_SK_EERKSK_lbbbEUlllE0_EEPmJS9_EEE10hipError_tPvRmT3_T4_T5_T6_T7_T9_mT8_P12ihipStream_tbDpT10_ENKUlT_T0_E_clISt17integral_constantIbLb1EES19_IbLb0EEEEDaS15_S16_EUlS15_E_NS1_11comp_targetILNS1_3genE10ELNS1_11target_archE1200ELNS1_3gpuE4ELNS1_3repE0EEENS1_30default_config_static_selectorELNS0_4arch9wavefront6targetE1EEEvT1_.kd
    .uniform_work_group_size: 1
    .uses_dynamic_stack: false
    .vgpr_count:     0
    .vgpr_spill_count: 0
    .wavefront_size: 64
  - .agpr_count:     0
    .args:
      - .offset:         0
        .size:           120
        .value_kind:     by_value
    .group_segment_fixed_size: 0
    .kernarg_segment_align: 8
    .kernarg_segment_size: 120
    .language:       OpenCL C
    .language_version:
      - 2
      - 0
    .max_flat_workgroup_size: 512
    .name:           _ZN7rocprim17ROCPRIM_400000_NS6detail17trampoline_kernelINS0_14default_configENS1_25partition_config_selectorILNS1_17partition_subalgoE9EllbEEZZNS1_14partition_implILS5_9ELb0ES3_jPlS8_PNS0_10empty_typeENS0_5tupleIJS8_S9_EEENSB_IJS8_SA_EEENS0_18inequality_wrapperIZN2at6native12_GLOBAL__N_124unique_dim_cuda_templateIdEESt5tupleIJNSF_6TensorESK_SK_EERKSK_lbbbEUlllE0_EEPmJS9_EEE10hipError_tPvRmT3_T4_T5_T6_T7_T9_mT8_P12ihipStream_tbDpT10_ENKUlT_T0_E_clISt17integral_constantIbLb1EES19_IbLb0EEEEDaS15_S16_EUlS15_E_NS1_11comp_targetILNS1_3genE9ELNS1_11target_archE1100ELNS1_3gpuE3ELNS1_3repE0EEENS1_30default_config_static_selectorELNS0_4arch9wavefront6targetE1EEEvT1_
    .private_segment_fixed_size: 0
    .sgpr_count:     6
    .sgpr_spill_count: 0
    .symbol:         _ZN7rocprim17ROCPRIM_400000_NS6detail17trampoline_kernelINS0_14default_configENS1_25partition_config_selectorILNS1_17partition_subalgoE9EllbEEZZNS1_14partition_implILS5_9ELb0ES3_jPlS8_PNS0_10empty_typeENS0_5tupleIJS8_S9_EEENSB_IJS8_SA_EEENS0_18inequality_wrapperIZN2at6native12_GLOBAL__N_124unique_dim_cuda_templateIdEESt5tupleIJNSF_6TensorESK_SK_EERKSK_lbbbEUlllE0_EEPmJS9_EEE10hipError_tPvRmT3_T4_T5_T6_T7_T9_mT8_P12ihipStream_tbDpT10_ENKUlT_T0_E_clISt17integral_constantIbLb1EES19_IbLb0EEEEDaS15_S16_EUlS15_E_NS1_11comp_targetILNS1_3genE9ELNS1_11target_archE1100ELNS1_3gpuE3ELNS1_3repE0EEENS1_30default_config_static_selectorELNS0_4arch9wavefront6targetE1EEEvT1_.kd
    .uniform_work_group_size: 1
    .uses_dynamic_stack: false
    .vgpr_count:     0
    .vgpr_spill_count: 0
    .wavefront_size: 64
  - .agpr_count:     0
    .args:
      - .offset:         0
        .size:           120
        .value_kind:     by_value
    .group_segment_fixed_size: 0
    .kernarg_segment_align: 8
    .kernarg_segment_size: 120
    .language:       OpenCL C
    .language_version:
      - 2
      - 0
    .max_flat_workgroup_size: 512
    .name:           _ZN7rocprim17ROCPRIM_400000_NS6detail17trampoline_kernelINS0_14default_configENS1_25partition_config_selectorILNS1_17partition_subalgoE9EllbEEZZNS1_14partition_implILS5_9ELb0ES3_jPlS8_PNS0_10empty_typeENS0_5tupleIJS8_S9_EEENSB_IJS8_SA_EEENS0_18inequality_wrapperIZN2at6native12_GLOBAL__N_124unique_dim_cuda_templateIdEESt5tupleIJNSF_6TensorESK_SK_EERKSK_lbbbEUlllE0_EEPmJS9_EEE10hipError_tPvRmT3_T4_T5_T6_T7_T9_mT8_P12ihipStream_tbDpT10_ENKUlT_T0_E_clISt17integral_constantIbLb1EES19_IbLb0EEEEDaS15_S16_EUlS15_E_NS1_11comp_targetILNS1_3genE8ELNS1_11target_archE1030ELNS1_3gpuE2ELNS1_3repE0EEENS1_30default_config_static_selectorELNS0_4arch9wavefront6targetE1EEEvT1_
    .private_segment_fixed_size: 0
    .sgpr_count:     6
    .sgpr_spill_count: 0
    .symbol:         _ZN7rocprim17ROCPRIM_400000_NS6detail17trampoline_kernelINS0_14default_configENS1_25partition_config_selectorILNS1_17partition_subalgoE9EllbEEZZNS1_14partition_implILS5_9ELb0ES3_jPlS8_PNS0_10empty_typeENS0_5tupleIJS8_S9_EEENSB_IJS8_SA_EEENS0_18inequality_wrapperIZN2at6native12_GLOBAL__N_124unique_dim_cuda_templateIdEESt5tupleIJNSF_6TensorESK_SK_EERKSK_lbbbEUlllE0_EEPmJS9_EEE10hipError_tPvRmT3_T4_T5_T6_T7_T9_mT8_P12ihipStream_tbDpT10_ENKUlT_T0_E_clISt17integral_constantIbLb1EES19_IbLb0EEEEDaS15_S16_EUlS15_E_NS1_11comp_targetILNS1_3genE8ELNS1_11target_archE1030ELNS1_3gpuE2ELNS1_3repE0EEENS1_30default_config_static_selectorELNS0_4arch9wavefront6targetE1EEEvT1_.kd
    .uniform_work_group_size: 1
    .uses_dynamic_stack: false
    .vgpr_count:     0
    .vgpr_spill_count: 0
    .wavefront_size: 64
  - .agpr_count:     0
    .args:
      - .offset:         0
        .size:           136
        .value_kind:     by_value
    .group_segment_fixed_size: 5128
    .kernarg_segment_align: 8
    .kernarg_segment_size: 136
    .language:       OpenCL C
    .language_version:
      - 2
      - 0
    .max_flat_workgroup_size: 128
    .name:           _ZN7rocprim17ROCPRIM_400000_NS6detail17trampoline_kernelINS0_14default_configENS1_25partition_config_selectorILNS1_17partition_subalgoE9EllbEEZZNS1_14partition_implILS5_9ELb0ES3_jPlS8_PNS0_10empty_typeENS0_5tupleIJS8_S9_EEENSB_IJS8_SA_EEENS0_18inequality_wrapperIZN2at6native12_GLOBAL__N_124unique_dim_cuda_templateIdEESt5tupleIJNSF_6TensorESK_SK_EERKSK_lbbbEUlllE0_EEPmJS9_EEE10hipError_tPvRmT3_T4_T5_T6_T7_T9_mT8_P12ihipStream_tbDpT10_ENKUlT_T0_E_clISt17integral_constantIbLb0EES19_IbLb1EEEEDaS15_S16_EUlS15_E_NS1_11comp_targetILNS1_3genE0ELNS1_11target_archE4294967295ELNS1_3gpuE0ELNS1_3repE0EEENS1_30default_config_static_selectorELNS0_4arch9wavefront6targetE1EEEvT1_
    .private_segment_fixed_size: 0
    .sgpr_count:     58
    .sgpr_spill_count: 0
    .symbol:         _ZN7rocprim17ROCPRIM_400000_NS6detail17trampoline_kernelINS0_14default_configENS1_25partition_config_selectorILNS1_17partition_subalgoE9EllbEEZZNS1_14partition_implILS5_9ELb0ES3_jPlS8_PNS0_10empty_typeENS0_5tupleIJS8_S9_EEENSB_IJS8_SA_EEENS0_18inequality_wrapperIZN2at6native12_GLOBAL__N_124unique_dim_cuda_templateIdEESt5tupleIJNSF_6TensorESK_SK_EERKSK_lbbbEUlllE0_EEPmJS9_EEE10hipError_tPvRmT3_T4_T5_T6_T7_T9_mT8_P12ihipStream_tbDpT10_ENKUlT_T0_E_clISt17integral_constantIbLb0EES19_IbLb1EEEEDaS15_S16_EUlS15_E_NS1_11comp_targetILNS1_3genE0ELNS1_11target_archE4294967295ELNS1_3gpuE0ELNS1_3repE0EEENS1_30default_config_static_selectorELNS0_4arch9wavefront6targetE1EEEvT1_.kd
    .uniform_work_group_size: 1
    .uses_dynamic_stack: false
    .vgpr_count:     60
    .vgpr_spill_count: 0
    .wavefront_size: 64
  - .agpr_count:     0
    .args:
      - .offset:         0
        .size:           136
        .value_kind:     by_value
    .group_segment_fixed_size: 0
    .kernarg_segment_align: 8
    .kernarg_segment_size: 136
    .language:       OpenCL C
    .language_version:
      - 2
      - 0
    .max_flat_workgroup_size: 512
    .name:           _ZN7rocprim17ROCPRIM_400000_NS6detail17trampoline_kernelINS0_14default_configENS1_25partition_config_selectorILNS1_17partition_subalgoE9EllbEEZZNS1_14partition_implILS5_9ELb0ES3_jPlS8_PNS0_10empty_typeENS0_5tupleIJS8_S9_EEENSB_IJS8_SA_EEENS0_18inequality_wrapperIZN2at6native12_GLOBAL__N_124unique_dim_cuda_templateIdEESt5tupleIJNSF_6TensorESK_SK_EERKSK_lbbbEUlllE0_EEPmJS9_EEE10hipError_tPvRmT3_T4_T5_T6_T7_T9_mT8_P12ihipStream_tbDpT10_ENKUlT_T0_E_clISt17integral_constantIbLb0EES19_IbLb1EEEEDaS15_S16_EUlS15_E_NS1_11comp_targetILNS1_3genE5ELNS1_11target_archE942ELNS1_3gpuE9ELNS1_3repE0EEENS1_30default_config_static_selectorELNS0_4arch9wavefront6targetE1EEEvT1_
    .private_segment_fixed_size: 0
    .sgpr_count:     6
    .sgpr_spill_count: 0
    .symbol:         _ZN7rocprim17ROCPRIM_400000_NS6detail17trampoline_kernelINS0_14default_configENS1_25partition_config_selectorILNS1_17partition_subalgoE9EllbEEZZNS1_14partition_implILS5_9ELb0ES3_jPlS8_PNS0_10empty_typeENS0_5tupleIJS8_S9_EEENSB_IJS8_SA_EEENS0_18inequality_wrapperIZN2at6native12_GLOBAL__N_124unique_dim_cuda_templateIdEESt5tupleIJNSF_6TensorESK_SK_EERKSK_lbbbEUlllE0_EEPmJS9_EEE10hipError_tPvRmT3_T4_T5_T6_T7_T9_mT8_P12ihipStream_tbDpT10_ENKUlT_T0_E_clISt17integral_constantIbLb0EES19_IbLb1EEEEDaS15_S16_EUlS15_E_NS1_11comp_targetILNS1_3genE5ELNS1_11target_archE942ELNS1_3gpuE9ELNS1_3repE0EEENS1_30default_config_static_selectorELNS0_4arch9wavefront6targetE1EEEvT1_.kd
    .uniform_work_group_size: 1
    .uses_dynamic_stack: false
    .vgpr_count:     0
    .vgpr_spill_count: 0
    .wavefront_size: 64
  - .agpr_count:     0
    .args:
      - .offset:         0
        .size:           136
        .value_kind:     by_value
    .group_segment_fixed_size: 0
    .kernarg_segment_align: 8
    .kernarg_segment_size: 136
    .language:       OpenCL C
    .language_version:
      - 2
      - 0
    .max_flat_workgroup_size: 128
    .name:           _ZN7rocprim17ROCPRIM_400000_NS6detail17trampoline_kernelINS0_14default_configENS1_25partition_config_selectorILNS1_17partition_subalgoE9EllbEEZZNS1_14partition_implILS5_9ELb0ES3_jPlS8_PNS0_10empty_typeENS0_5tupleIJS8_S9_EEENSB_IJS8_SA_EEENS0_18inequality_wrapperIZN2at6native12_GLOBAL__N_124unique_dim_cuda_templateIdEESt5tupleIJNSF_6TensorESK_SK_EERKSK_lbbbEUlllE0_EEPmJS9_EEE10hipError_tPvRmT3_T4_T5_T6_T7_T9_mT8_P12ihipStream_tbDpT10_ENKUlT_T0_E_clISt17integral_constantIbLb0EES19_IbLb1EEEEDaS15_S16_EUlS15_E_NS1_11comp_targetILNS1_3genE4ELNS1_11target_archE910ELNS1_3gpuE8ELNS1_3repE0EEENS1_30default_config_static_selectorELNS0_4arch9wavefront6targetE1EEEvT1_
    .private_segment_fixed_size: 0
    .sgpr_count:     6
    .sgpr_spill_count: 0
    .symbol:         _ZN7rocprim17ROCPRIM_400000_NS6detail17trampoline_kernelINS0_14default_configENS1_25partition_config_selectorILNS1_17partition_subalgoE9EllbEEZZNS1_14partition_implILS5_9ELb0ES3_jPlS8_PNS0_10empty_typeENS0_5tupleIJS8_S9_EEENSB_IJS8_SA_EEENS0_18inequality_wrapperIZN2at6native12_GLOBAL__N_124unique_dim_cuda_templateIdEESt5tupleIJNSF_6TensorESK_SK_EERKSK_lbbbEUlllE0_EEPmJS9_EEE10hipError_tPvRmT3_T4_T5_T6_T7_T9_mT8_P12ihipStream_tbDpT10_ENKUlT_T0_E_clISt17integral_constantIbLb0EES19_IbLb1EEEEDaS15_S16_EUlS15_E_NS1_11comp_targetILNS1_3genE4ELNS1_11target_archE910ELNS1_3gpuE8ELNS1_3repE0EEENS1_30default_config_static_selectorELNS0_4arch9wavefront6targetE1EEEvT1_.kd
    .uniform_work_group_size: 1
    .uses_dynamic_stack: false
    .vgpr_count:     0
    .vgpr_spill_count: 0
    .wavefront_size: 64
  - .agpr_count:     0
    .args:
      - .offset:         0
        .size:           136
        .value_kind:     by_value
    .group_segment_fixed_size: 0
    .kernarg_segment_align: 8
    .kernarg_segment_size: 136
    .language:       OpenCL C
    .language_version:
      - 2
      - 0
    .max_flat_workgroup_size: 128
    .name:           _ZN7rocprim17ROCPRIM_400000_NS6detail17trampoline_kernelINS0_14default_configENS1_25partition_config_selectorILNS1_17partition_subalgoE9EllbEEZZNS1_14partition_implILS5_9ELb0ES3_jPlS8_PNS0_10empty_typeENS0_5tupleIJS8_S9_EEENSB_IJS8_SA_EEENS0_18inequality_wrapperIZN2at6native12_GLOBAL__N_124unique_dim_cuda_templateIdEESt5tupleIJNSF_6TensorESK_SK_EERKSK_lbbbEUlllE0_EEPmJS9_EEE10hipError_tPvRmT3_T4_T5_T6_T7_T9_mT8_P12ihipStream_tbDpT10_ENKUlT_T0_E_clISt17integral_constantIbLb0EES19_IbLb1EEEEDaS15_S16_EUlS15_E_NS1_11comp_targetILNS1_3genE3ELNS1_11target_archE908ELNS1_3gpuE7ELNS1_3repE0EEENS1_30default_config_static_selectorELNS0_4arch9wavefront6targetE1EEEvT1_
    .private_segment_fixed_size: 0
    .sgpr_count:     6
    .sgpr_spill_count: 0
    .symbol:         _ZN7rocprim17ROCPRIM_400000_NS6detail17trampoline_kernelINS0_14default_configENS1_25partition_config_selectorILNS1_17partition_subalgoE9EllbEEZZNS1_14partition_implILS5_9ELb0ES3_jPlS8_PNS0_10empty_typeENS0_5tupleIJS8_S9_EEENSB_IJS8_SA_EEENS0_18inequality_wrapperIZN2at6native12_GLOBAL__N_124unique_dim_cuda_templateIdEESt5tupleIJNSF_6TensorESK_SK_EERKSK_lbbbEUlllE0_EEPmJS9_EEE10hipError_tPvRmT3_T4_T5_T6_T7_T9_mT8_P12ihipStream_tbDpT10_ENKUlT_T0_E_clISt17integral_constantIbLb0EES19_IbLb1EEEEDaS15_S16_EUlS15_E_NS1_11comp_targetILNS1_3genE3ELNS1_11target_archE908ELNS1_3gpuE7ELNS1_3repE0EEENS1_30default_config_static_selectorELNS0_4arch9wavefront6targetE1EEEvT1_.kd
    .uniform_work_group_size: 1
    .uses_dynamic_stack: false
    .vgpr_count:     0
    .vgpr_spill_count: 0
    .wavefront_size: 64
  - .agpr_count:     0
    .args:
      - .offset:         0
        .size:           136
        .value_kind:     by_value
    .group_segment_fixed_size: 0
    .kernarg_segment_align: 8
    .kernarg_segment_size: 136
    .language:       OpenCL C
    .language_version:
      - 2
      - 0
    .max_flat_workgroup_size: 192
    .name:           _ZN7rocprim17ROCPRIM_400000_NS6detail17trampoline_kernelINS0_14default_configENS1_25partition_config_selectorILNS1_17partition_subalgoE9EllbEEZZNS1_14partition_implILS5_9ELb0ES3_jPlS8_PNS0_10empty_typeENS0_5tupleIJS8_S9_EEENSB_IJS8_SA_EEENS0_18inequality_wrapperIZN2at6native12_GLOBAL__N_124unique_dim_cuda_templateIdEESt5tupleIJNSF_6TensorESK_SK_EERKSK_lbbbEUlllE0_EEPmJS9_EEE10hipError_tPvRmT3_T4_T5_T6_T7_T9_mT8_P12ihipStream_tbDpT10_ENKUlT_T0_E_clISt17integral_constantIbLb0EES19_IbLb1EEEEDaS15_S16_EUlS15_E_NS1_11comp_targetILNS1_3genE2ELNS1_11target_archE906ELNS1_3gpuE6ELNS1_3repE0EEENS1_30default_config_static_selectorELNS0_4arch9wavefront6targetE1EEEvT1_
    .private_segment_fixed_size: 0
    .sgpr_count:     6
    .sgpr_spill_count: 0
    .symbol:         _ZN7rocprim17ROCPRIM_400000_NS6detail17trampoline_kernelINS0_14default_configENS1_25partition_config_selectorILNS1_17partition_subalgoE9EllbEEZZNS1_14partition_implILS5_9ELb0ES3_jPlS8_PNS0_10empty_typeENS0_5tupleIJS8_S9_EEENSB_IJS8_SA_EEENS0_18inequality_wrapperIZN2at6native12_GLOBAL__N_124unique_dim_cuda_templateIdEESt5tupleIJNSF_6TensorESK_SK_EERKSK_lbbbEUlllE0_EEPmJS9_EEE10hipError_tPvRmT3_T4_T5_T6_T7_T9_mT8_P12ihipStream_tbDpT10_ENKUlT_T0_E_clISt17integral_constantIbLb0EES19_IbLb1EEEEDaS15_S16_EUlS15_E_NS1_11comp_targetILNS1_3genE2ELNS1_11target_archE906ELNS1_3gpuE6ELNS1_3repE0EEENS1_30default_config_static_selectorELNS0_4arch9wavefront6targetE1EEEvT1_.kd
    .uniform_work_group_size: 1
    .uses_dynamic_stack: false
    .vgpr_count:     0
    .vgpr_spill_count: 0
    .wavefront_size: 64
  - .agpr_count:     0
    .args:
      - .offset:         0
        .size:           136
        .value_kind:     by_value
    .group_segment_fixed_size: 0
    .kernarg_segment_align: 8
    .kernarg_segment_size: 136
    .language:       OpenCL C
    .language_version:
      - 2
      - 0
    .max_flat_workgroup_size: 384
    .name:           _ZN7rocprim17ROCPRIM_400000_NS6detail17trampoline_kernelINS0_14default_configENS1_25partition_config_selectorILNS1_17partition_subalgoE9EllbEEZZNS1_14partition_implILS5_9ELb0ES3_jPlS8_PNS0_10empty_typeENS0_5tupleIJS8_S9_EEENSB_IJS8_SA_EEENS0_18inequality_wrapperIZN2at6native12_GLOBAL__N_124unique_dim_cuda_templateIdEESt5tupleIJNSF_6TensorESK_SK_EERKSK_lbbbEUlllE0_EEPmJS9_EEE10hipError_tPvRmT3_T4_T5_T6_T7_T9_mT8_P12ihipStream_tbDpT10_ENKUlT_T0_E_clISt17integral_constantIbLb0EES19_IbLb1EEEEDaS15_S16_EUlS15_E_NS1_11comp_targetILNS1_3genE10ELNS1_11target_archE1200ELNS1_3gpuE4ELNS1_3repE0EEENS1_30default_config_static_selectorELNS0_4arch9wavefront6targetE1EEEvT1_
    .private_segment_fixed_size: 0
    .sgpr_count:     6
    .sgpr_spill_count: 0
    .symbol:         _ZN7rocprim17ROCPRIM_400000_NS6detail17trampoline_kernelINS0_14default_configENS1_25partition_config_selectorILNS1_17partition_subalgoE9EllbEEZZNS1_14partition_implILS5_9ELb0ES3_jPlS8_PNS0_10empty_typeENS0_5tupleIJS8_S9_EEENSB_IJS8_SA_EEENS0_18inequality_wrapperIZN2at6native12_GLOBAL__N_124unique_dim_cuda_templateIdEESt5tupleIJNSF_6TensorESK_SK_EERKSK_lbbbEUlllE0_EEPmJS9_EEE10hipError_tPvRmT3_T4_T5_T6_T7_T9_mT8_P12ihipStream_tbDpT10_ENKUlT_T0_E_clISt17integral_constantIbLb0EES19_IbLb1EEEEDaS15_S16_EUlS15_E_NS1_11comp_targetILNS1_3genE10ELNS1_11target_archE1200ELNS1_3gpuE4ELNS1_3repE0EEENS1_30default_config_static_selectorELNS0_4arch9wavefront6targetE1EEEvT1_.kd
    .uniform_work_group_size: 1
    .uses_dynamic_stack: false
    .vgpr_count:     0
    .vgpr_spill_count: 0
    .wavefront_size: 64
  - .agpr_count:     0
    .args:
      - .offset:         0
        .size:           136
        .value_kind:     by_value
    .group_segment_fixed_size: 0
    .kernarg_segment_align: 8
    .kernarg_segment_size: 136
    .language:       OpenCL C
    .language_version:
      - 2
      - 0
    .max_flat_workgroup_size: 512
    .name:           _ZN7rocprim17ROCPRIM_400000_NS6detail17trampoline_kernelINS0_14default_configENS1_25partition_config_selectorILNS1_17partition_subalgoE9EllbEEZZNS1_14partition_implILS5_9ELb0ES3_jPlS8_PNS0_10empty_typeENS0_5tupleIJS8_S9_EEENSB_IJS8_SA_EEENS0_18inequality_wrapperIZN2at6native12_GLOBAL__N_124unique_dim_cuda_templateIdEESt5tupleIJNSF_6TensorESK_SK_EERKSK_lbbbEUlllE0_EEPmJS9_EEE10hipError_tPvRmT3_T4_T5_T6_T7_T9_mT8_P12ihipStream_tbDpT10_ENKUlT_T0_E_clISt17integral_constantIbLb0EES19_IbLb1EEEEDaS15_S16_EUlS15_E_NS1_11comp_targetILNS1_3genE9ELNS1_11target_archE1100ELNS1_3gpuE3ELNS1_3repE0EEENS1_30default_config_static_selectorELNS0_4arch9wavefront6targetE1EEEvT1_
    .private_segment_fixed_size: 0
    .sgpr_count:     6
    .sgpr_spill_count: 0
    .symbol:         _ZN7rocprim17ROCPRIM_400000_NS6detail17trampoline_kernelINS0_14default_configENS1_25partition_config_selectorILNS1_17partition_subalgoE9EllbEEZZNS1_14partition_implILS5_9ELb0ES3_jPlS8_PNS0_10empty_typeENS0_5tupleIJS8_S9_EEENSB_IJS8_SA_EEENS0_18inequality_wrapperIZN2at6native12_GLOBAL__N_124unique_dim_cuda_templateIdEESt5tupleIJNSF_6TensorESK_SK_EERKSK_lbbbEUlllE0_EEPmJS9_EEE10hipError_tPvRmT3_T4_T5_T6_T7_T9_mT8_P12ihipStream_tbDpT10_ENKUlT_T0_E_clISt17integral_constantIbLb0EES19_IbLb1EEEEDaS15_S16_EUlS15_E_NS1_11comp_targetILNS1_3genE9ELNS1_11target_archE1100ELNS1_3gpuE3ELNS1_3repE0EEENS1_30default_config_static_selectorELNS0_4arch9wavefront6targetE1EEEvT1_.kd
    .uniform_work_group_size: 1
    .uses_dynamic_stack: false
    .vgpr_count:     0
    .vgpr_spill_count: 0
    .wavefront_size: 64
  - .agpr_count:     0
    .args:
      - .offset:         0
        .size:           136
        .value_kind:     by_value
    .group_segment_fixed_size: 0
    .kernarg_segment_align: 8
    .kernarg_segment_size: 136
    .language:       OpenCL C
    .language_version:
      - 2
      - 0
    .max_flat_workgroup_size: 512
    .name:           _ZN7rocprim17ROCPRIM_400000_NS6detail17trampoline_kernelINS0_14default_configENS1_25partition_config_selectorILNS1_17partition_subalgoE9EllbEEZZNS1_14partition_implILS5_9ELb0ES3_jPlS8_PNS0_10empty_typeENS0_5tupleIJS8_S9_EEENSB_IJS8_SA_EEENS0_18inequality_wrapperIZN2at6native12_GLOBAL__N_124unique_dim_cuda_templateIdEESt5tupleIJNSF_6TensorESK_SK_EERKSK_lbbbEUlllE0_EEPmJS9_EEE10hipError_tPvRmT3_T4_T5_T6_T7_T9_mT8_P12ihipStream_tbDpT10_ENKUlT_T0_E_clISt17integral_constantIbLb0EES19_IbLb1EEEEDaS15_S16_EUlS15_E_NS1_11comp_targetILNS1_3genE8ELNS1_11target_archE1030ELNS1_3gpuE2ELNS1_3repE0EEENS1_30default_config_static_selectorELNS0_4arch9wavefront6targetE1EEEvT1_
    .private_segment_fixed_size: 0
    .sgpr_count:     6
    .sgpr_spill_count: 0
    .symbol:         _ZN7rocprim17ROCPRIM_400000_NS6detail17trampoline_kernelINS0_14default_configENS1_25partition_config_selectorILNS1_17partition_subalgoE9EllbEEZZNS1_14partition_implILS5_9ELb0ES3_jPlS8_PNS0_10empty_typeENS0_5tupleIJS8_S9_EEENSB_IJS8_SA_EEENS0_18inequality_wrapperIZN2at6native12_GLOBAL__N_124unique_dim_cuda_templateIdEESt5tupleIJNSF_6TensorESK_SK_EERKSK_lbbbEUlllE0_EEPmJS9_EEE10hipError_tPvRmT3_T4_T5_T6_T7_T9_mT8_P12ihipStream_tbDpT10_ENKUlT_T0_E_clISt17integral_constantIbLb0EES19_IbLb1EEEEDaS15_S16_EUlS15_E_NS1_11comp_targetILNS1_3genE8ELNS1_11target_archE1030ELNS1_3gpuE2ELNS1_3repE0EEENS1_30default_config_static_selectorELNS0_4arch9wavefront6targetE1EEEvT1_.kd
    .uniform_work_group_size: 1
    .uses_dynamic_stack: false
    .vgpr_count:     0
    .vgpr_spill_count: 0
    .wavefront_size: 64
  - .agpr_count:     0
    .args:
      - .offset:         0
        .size:           72
        .value_kind:     by_value
      - .offset:         72
        .size:           4
        .value_kind:     hidden_block_count_x
      - .offset:         76
        .size:           4
        .value_kind:     hidden_block_count_y
      - .offset:         80
        .size:           4
        .value_kind:     hidden_block_count_z
      - .offset:         84
        .size:           2
        .value_kind:     hidden_group_size_x
      - .offset:         86
        .size:           2
        .value_kind:     hidden_group_size_y
      - .offset:         88
        .size:           2
        .value_kind:     hidden_group_size_z
      - .offset:         90
        .size:           2
        .value_kind:     hidden_remainder_x
      - .offset:         92
        .size:           2
        .value_kind:     hidden_remainder_y
      - .offset:         94
        .size:           2
        .value_kind:     hidden_remainder_z
      - .offset:         112
        .size:           8
        .value_kind:     hidden_global_offset_x
      - .offset:         120
        .size:           8
        .value_kind:     hidden_global_offset_y
      - .offset:         128
        .size:           8
        .value_kind:     hidden_global_offset_z
      - .offset:         136
        .size:           2
        .value_kind:     hidden_grid_dims
    .group_segment_fixed_size: 16896
    .kernarg_segment_align: 8
    .kernarg_segment_size: 328
    .language:       OpenCL C
    .language_version:
      - 2
      - 0
    .max_flat_workgroup_size: 256
    .name:           _ZN7rocprim17ROCPRIM_400000_NS6detail17trampoline_kernelINS0_14default_configENS1_37merge_sort_block_sort_config_selectorIlNS0_10empty_typeEEEZNS1_21merge_sort_block_sortIS3_PlS8_PS5_S9_ZN2at6native12_GLOBAL__N_124unique_dim_cuda_templateIfEESt5tupleIJNSA_6TensorESF_SF_EERKSF_lbbbEUlllE_EE10hipError_tT0_T1_T2_T3_mRjT4_P12ihipStream_tbNS1_7vsmem_tEEUlT_E_NS1_11comp_targetILNS1_3genE0ELNS1_11target_archE4294967295ELNS1_3gpuE0ELNS1_3repE0EEENS1_30default_config_static_selectorELNS0_4arch9wavefront6targetE1EEEvSM_
    .private_segment_fixed_size: 0
    .sgpr_count:     78
    .sgpr_spill_count: 0
    .symbol:         _ZN7rocprim17ROCPRIM_400000_NS6detail17trampoline_kernelINS0_14default_configENS1_37merge_sort_block_sort_config_selectorIlNS0_10empty_typeEEEZNS1_21merge_sort_block_sortIS3_PlS8_PS5_S9_ZN2at6native12_GLOBAL__N_124unique_dim_cuda_templateIfEESt5tupleIJNSA_6TensorESF_SF_EERKSF_lbbbEUlllE_EE10hipError_tT0_T1_T2_T3_mRjT4_P12ihipStream_tbNS1_7vsmem_tEEUlT_E_NS1_11comp_targetILNS1_3genE0ELNS1_11target_archE4294967295ELNS1_3gpuE0ELNS1_3repE0EEENS1_30default_config_static_selectorELNS0_4arch9wavefront6targetE1EEEvSM_.kd
    .uniform_work_group_size: 1
    .uses_dynamic_stack: false
    .vgpr_count:     55
    .vgpr_spill_count: 0
    .wavefront_size: 64
  - .agpr_count:     0
    .args:
      - .offset:         0
        .size:           72
        .value_kind:     by_value
    .group_segment_fixed_size: 0
    .kernarg_segment_align: 8
    .kernarg_segment_size: 72
    .language:       OpenCL C
    .language_version:
      - 2
      - 0
    .max_flat_workgroup_size: 256
    .name:           _ZN7rocprim17ROCPRIM_400000_NS6detail17trampoline_kernelINS0_14default_configENS1_37merge_sort_block_sort_config_selectorIlNS0_10empty_typeEEEZNS1_21merge_sort_block_sortIS3_PlS8_PS5_S9_ZN2at6native12_GLOBAL__N_124unique_dim_cuda_templateIfEESt5tupleIJNSA_6TensorESF_SF_EERKSF_lbbbEUlllE_EE10hipError_tT0_T1_T2_T3_mRjT4_P12ihipStream_tbNS1_7vsmem_tEEUlT_E_NS1_11comp_targetILNS1_3genE5ELNS1_11target_archE942ELNS1_3gpuE9ELNS1_3repE0EEENS1_30default_config_static_selectorELNS0_4arch9wavefront6targetE1EEEvSM_
    .private_segment_fixed_size: 0
    .sgpr_count:     6
    .sgpr_spill_count: 0
    .symbol:         _ZN7rocprim17ROCPRIM_400000_NS6detail17trampoline_kernelINS0_14default_configENS1_37merge_sort_block_sort_config_selectorIlNS0_10empty_typeEEEZNS1_21merge_sort_block_sortIS3_PlS8_PS5_S9_ZN2at6native12_GLOBAL__N_124unique_dim_cuda_templateIfEESt5tupleIJNSA_6TensorESF_SF_EERKSF_lbbbEUlllE_EE10hipError_tT0_T1_T2_T3_mRjT4_P12ihipStream_tbNS1_7vsmem_tEEUlT_E_NS1_11comp_targetILNS1_3genE5ELNS1_11target_archE942ELNS1_3gpuE9ELNS1_3repE0EEENS1_30default_config_static_selectorELNS0_4arch9wavefront6targetE1EEEvSM_.kd
    .uniform_work_group_size: 1
    .uses_dynamic_stack: false
    .vgpr_count:     0
    .vgpr_spill_count: 0
    .wavefront_size: 64
  - .agpr_count:     0
    .args:
      - .offset:         0
        .size:           72
        .value_kind:     by_value
    .group_segment_fixed_size: 0
    .kernarg_segment_align: 8
    .kernarg_segment_size: 72
    .language:       OpenCL C
    .language_version:
      - 2
      - 0
    .max_flat_workgroup_size: 256
    .name:           _ZN7rocprim17ROCPRIM_400000_NS6detail17trampoline_kernelINS0_14default_configENS1_37merge_sort_block_sort_config_selectorIlNS0_10empty_typeEEEZNS1_21merge_sort_block_sortIS3_PlS8_PS5_S9_ZN2at6native12_GLOBAL__N_124unique_dim_cuda_templateIfEESt5tupleIJNSA_6TensorESF_SF_EERKSF_lbbbEUlllE_EE10hipError_tT0_T1_T2_T3_mRjT4_P12ihipStream_tbNS1_7vsmem_tEEUlT_E_NS1_11comp_targetILNS1_3genE4ELNS1_11target_archE910ELNS1_3gpuE8ELNS1_3repE0EEENS1_30default_config_static_selectorELNS0_4arch9wavefront6targetE1EEEvSM_
    .private_segment_fixed_size: 0
    .sgpr_count:     6
    .sgpr_spill_count: 0
    .symbol:         _ZN7rocprim17ROCPRIM_400000_NS6detail17trampoline_kernelINS0_14default_configENS1_37merge_sort_block_sort_config_selectorIlNS0_10empty_typeEEEZNS1_21merge_sort_block_sortIS3_PlS8_PS5_S9_ZN2at6native12_GLOBAL__N_124unique_dim_cuda_templateIfEESt5tupleIJNSA_6TensorESF_SF_EERKSF_lbbbEUlllE_EE10hipError_tT0_T1_T2_T3_mRjT4_P12ihipStream_tbNS1_7vsmem_tEEUlT_E_NS1_11comp_targetILNS1_3genE4ELNS1_11target_archE910ELNS1_3gpuE8ELNS1_3repE0EEENS1_30default_config_static_selectorELNS0_4arch9wavefront6targetE1EEEvSM_.kd
    .uniform_work_group_size: 1
    .uses_dynamic_stack: false
    .vgpr_count:     0
    .vgpr_spill_count: 0
    .wavefront_size: 64
  - .agpr_count:     0
    .args:
      - .offset:         0
        .size:           72
        .value_kind:     by_value
    .group_segment_fixed_size: 0
    .kernarg_segment_align: 8
    .kernarg_segment_size: 72
    .language:       OpenCL C
    .language_version:
      - 2
      - 0
    .max_flat_workgroup_size: 256
    .name:           _ZN7rocprim17ROCPRIM_400000_NS6detail17trampoline_kernelINS0_14default_configENS1_37merge_sort_block_sort_config_selectorIlNS0_10empty_typeEEEZNS1_21merge_sort_block_sortIS3_PlS8_PS5_S9_ZN2at6native12_GLOBAL__N_124unique_dim_cuda_templateIfEESt5tupleIJNSA_6TensorESF_SF_EERKSF_lbbbEUlllE_EE10hipError_tT0_T1_T2_T3_mRjT4_P12ihipStream_tbNS1_7vsmem_tEEUlT_E_NS1_11comp_targetILNS1_3genE3ELNS1_11target_archE908ELNS1_3gpuE7ELNS1_3repE0EEENS1_30default_config_static_selectorELNS0_4arch9wavefront6targetE1EEEvSM_
    .private_segment_fixed_size: 0
    .sgpr_count:     6
    .sgpr_spill_count: 0
    .symbol:         _ZN7rocprim17ROCPRIM_400000_NS6detail17trampoline_kernelINS0_14default_configENS1_37merge_sort_block_sort_config_selectorIlNS0_10empty_typeEEEZNS1_21merge_sort_block_sortIS3_PlS8_PS5_S9_ZN2at6native12_GLOBAL__N_124unique_dim_cuda_templateIfEESt5tupleIJNSA_6TensorESF_SF_EERKSF_lbbbEUlllE_EE10hipError_tT0_T1_T2_T3_mRjT4_P12ihipStream_tbNS1_7vsmem_tEEUlT_E_NS1_11comp_targetILNS1_3genE3ELNS1_11target_archE908ELNS1_3gpuE7ELNS1_3repE0EEENS1_30default_config_static_selectorELNS0_4arch9wavefront6targetE1EEEvSM_.kd
    .uniform_work_group_size: 1
    .uses_dynamic_stack: false
    .vgpr_count:     0
    .vgpr_spill_count: 0
    .wavefront_size: 64
  - .agpr_count:     0
    .args:
      - .offset:         0
        .size:           72
        .value_kind:     by_value
    .group_segment_fixed_size: 0
    .kernarg_segment_align: 8
    .kernarg_segment_size: 72
    .language:       OpenCL C
    .language_version:
      - 2
      - 0
    .max_flat_workgroup_size: 256
    .name:           _ZN7rocprim17ROCPRIM_400000_NS6detail17trampoline_kernelINS0_14default_configENS1_37merge_sort_block_sort_config_selectorIlNS0_10empty_typeEEEZNS1_21merge_sort_block_sortIS3_PlS8_PS5_S9_ZN2at6native12_GLOBAL__N_124unique_dim_cuda_templateIfEESt5tupleIJNSA_6TensorESF_SF_EERKSF_lbbbEUlllE_EE10hipError_tT0_T1_T2_T3_mRjT4_P12ihipStream_tbNS1_7vsmem_tEEUlT_E_NS1_11comp_targetILNS1_3genE2ELNS1_11target_archE906ELNS1_3gpuE6ELNS1_3repE0EEENS1_30default_config_static_selectorELNS0_4arch9wavefront6targetE1EEEvSM_
    .private_segment_fixed_size: 0
    .sgpr_count:     6
    .sgpr_spill_count: 0
    .symbol:         _ZN7rocprim17ROCPRIM_400000_NS6detail17trampoline_kernelINS0_14default_configENS1_37merge_sort_block_sort_config_selectorIlNS0_10empty_typeEEEZNS1_21merge_sort_block_sortIS3_PlS8_PS5_S9_ZN2at6native12_GLOBAL__N_124unique_dim_cuda_templateIfEESt5tupleIJNSA_6TensorESF_SF_EERKSF_lbbbEUlllE_EE10hipError_tT0_T1_T2_T3_mRjT4_P12ihipStream_tbNS1_7vsmem_tEEUlT_E_NS1_11comp_targetILNS1_3genE2ELNS1_11target_archE906ELNS1_3gpuE6ELNS1_3repE0EEENS1_30default_config_static_selectorELNS0_4arch9wavefront6targetE1EEEvSM_.kd
    .uniform_work_group_size: 1
    .uses_dynamic_stack: false
    .vgpr_count:     0
    .vgpr_spill_count: 0
    .wavefront_size: 64
  - .agpr_count:     0
    .args:
      - .offset:         0
        .size:           72
        .value_kind:     by_value
    .group_segment_fixed_size: 0
    .kernarg_segment_align: 8
    .kernarg_segment_size: 72
    .language:       OpenCL C
    .language_version:
      - 2
      - 0
    .max_flat_workgroup_size: 256
    .name:           _ZN7rocprim17ROCPRIM_400000_NS6detail17trampoline_kernelINS0_14default_configENS1_37merge_sort_block_sort_config_selectorIlNS0_10empty_typeEEEZNS1_21merge_sort_block_sortIS3_PlS8_PS5_S9_ZN2at6native12_GLOBAL__N_124unique_dim_cuda_templateIfEESt5tupleIJNSA_6TensorESF_SF_EERKSF_lbbbEUlllE_EE10hipError_tT0_T1_T2_T3_mRjT4_P12ihipStream_tbNS1_7vsmem_tEEUlT_E_NS1_11comp_targetILNS1_3genE10ELNS1_11target_archE1201ELNS1_3gpuE5ELNS1_3repE0EEENS1_30default_config_static_selectorELNS0_4arch9wavefront6targetE1EEEvSM_
    .private_segment_fixed_size: 0
    .sgpr_count:     6
    .sgpr_spill_count: 0
    .symbol:         _ZN7rocprim17ROCPRIM_400000_NS6detail17trampoline_kernelINS0_14default_configENS1_37merge_sort_block_sort_config_selectorIlNS0_10empty_typeEEEZNS1_21merge_sort_block_sortIS3_PlS8_PS5_S9_ZN2at6native12_GLOBAL__N_124unique_dim_cuda_templateIfEESt5tupleIJNSA_6TensorESF_SF_EERKSF_lbbbEUlllE_EE10hipError_tT0_T1_T2_T3_mRjT4_P12ihipStream_tbNS1_7vsmem_tEEUlT_E_NS1_11comp_targetILNS1_3genE10ELNS1_11target_archE1201ELNS1_3gpuE5ELNS1_3repE0EEENS1_30default_config_static_selectorELNS0_4arch9wavefront6targetE1EEEvSM_.kd
    .uniform_work_group_size: 1
    .uses_dynamic_stack: false
    .vgpr_count:     0
    .vgpr_spill_count: 0
    .wavefront_size: 64
  - .agpr_count:     0
    .args:
      - .offset:         0
        .size:           72
        .value_kind:     by_value
    .group_segment_fixed_size: 0
    .kernarg_segment_align: 8
    .kernarg_segment_size: 72
    .language:       OpenCL C
    .language_version:
      - 2
      - 0
    .max_flat_workgroup_size: 512
    .name:           _ZN7rocprim17ROCPRIM_400000_NS6detail17trampoline_kernelINS0_14default_configENS1_37merge_sort_block_sort_config_selectorIlNS0_10empty_typeEEEZNS1_21merge_sort_block_sortIS3_PlS8_PS5_S9_ZN2at6native12_GLOBAL__N_124unique_dim_cuda_templateIfEESt5tupleIJNSA_6TensorESF_SF_EERKSF_lbbbEUlllE_EE10hipError_tT0_T1_T2_T3_mRjT4_P12ihipStream_tbNS1_7vsmem_tEEUlT_E_NS1_11comp_targetILNS1_3genE10ELNS1_11target_archE1200ELNS1_3gpuE4ELNS1_3repE0EEENS1_30default_config_static_selectorELNS0_4arch9wavefront6targetE1EEEvSM_
    .private_segment_fixed_size: 0
    .sgpr_count:     6
    .sgpr_spill_count: 0
    .symbol:         _ZN7rocprim17ROCPRIM_400000_NS6detail17trampoline_kernelINS0_14default_configENS1_37merge_sort_block_sort_config_selectorIlNS0_10empty_typeEEEZNS1_21merge_sort_block_sortIS3_PlS8_PS5_S9_ZN2at6native12_GLOBAL__N_124unique_dim_cuda_templateIfEESt5tupleIJNSA_6TensorESF_SF_EERKSF_lbbbEUlllE_EE10hipError_tT0_T1_T2_T3_mRjT4_P12ihipStream_tbNS1_7vsmem_tEEUlT_E_NS1_11comp_targetILNS1_3genE10ELNS1_11target_archE1200ELNS1_3gpuE4ELNS1_3repE0EEENS1_30default_config_static_selectorELNS0_4arch9wavefront6targetE1EEEvSM_.kd
    .uniform_work_group_size: 1
    .uses_dynamic_stack: false
    .vgpr_count:     0
    .vgpr_spill_count: 0
    .wavefront_size: 64
  - .agpr_count:     0
    .args:
      - .offset:         0
        .size:           72
        .value_kind:     by_value
    .group_segment_fixed_size: 0
    .kernarg_segment_align: 8
    .kernarg_segment_size: 72
    .language:       OpenCL C
    .language_version:
      - 2
      - 0
    .max_flat_workgroup_size: 256
    .name:           _ZN7rocprim17ROCPRIM_400000_NS6detail17trampoline_kernelINS0_14default_configENS1_37merge_sort_block_sort_config_selectorIlNS0_10empty_typeEEEZNS1_21merge_sort_block_sortIS3_PlS8_PS5_S9_ZN2at6native12_GLOBAL__N_124unique_dim_cuda_templateIfEESt5tupleIJNSA_6TensorESF_SF_EERKSF_lbbbEUlllE_EE10hipError_tT0_T1_T2_T3_mRjT4_P12ihipStream_tbNS1_7vsmem_tEEUlT_E_NS1_11comp_targetILNS1_3genE9ELNS1_11target_archE1100ELNS1_3gpuE3ELNS1_3repE0EEENS1_30default_config_static_selectorELNS0_4arch9wavefront6targetE1EEEvSM_
    .private_segment_fixed_size: 0
    .sgpr_count:     6
    .sgpr_spill_count: 0
    .symbol:         _ZN7rocprim17ROCPRIM_400000_NS6detail17trampoline_kernelINS0_14default_configENS1_37merge_sort_block_sort_config_selectorIlNS0_10empty_typeEEEZNS1_21merge_sort_block_sortIS3_PlS8_PS5_S9_ZN2at6native12_GLOBAL__N_124unique_dim_cuda_templateIfEESt5tupleIJNSA_6TensorESF_SF_EERKSF_lbbbEUlllE_EE10hipError_tT0_T1_T2_T3_mRjT4_P12ihipStream_tbNS1_7vsmem_tEEUlT_E_NS1_11comp_targetILNS1_3genE9ELNS1_11target_archE1100ELNS1_3gpuE3ELNS1_3repE0EEENS1_30default_config_static_selectorELNS0_4arch9wavefront6targetE1EEEvSM_.kd
    .uniform_work_group_size: 1
    .uses_dynamic_stack: false
    .vgpr_count:     0
    .vgpr_spill_count: 0
    .wavefront_size: 64
  - .agpr_count:     0
    .args:
      - .offset:         0
        .size:           72
        .value_kind:     by_value
    .group_segment_fixed_size: 0
    .kernarg_segment_align: 8
    .kernarg_segment_size: 72
    .language:       OpenCL C
    .language_version:
      - 2
      - 0
    .max_flat_workgroup_size: 256
    .name:           _ZN7rocprim17ROCPRIM_400000_NS6detail17trampoline_kernelINS0_14default_configENS1_37merge_sort_block_sort_config_selectorIlNS0_10empty_typeEEEZNS1_21merge_sort_block_sortIS3_PlS8_PS5_S9_ZN2at6native12_GLOBAL__N_124unique_dim_cuda_templateIfEESt5tupleIJNSA_6TensorESF_SF_EERKSF_lbbbEUlllE_EE10hipError_tT0_T1_T2_T3_mRjT4_P12ihipStream_tbNS1_7vsmem_tEEUlT_E_NS1_11comp_targetILNS1_3genE8ELNS1_11target_archE1030ELNS1_3gpuE2ELNS1_3repE0EEENS1_30default_config_static_selectorELNS0_4arch9wavefront6targetE1EEEvSM_
    .private_segment_fixed_size: 0
    .sgpr_count:     6
    .sgpr_spill_count: 0
    .symbol:         _ZN7rocprim17ROCPRIM_400000_NS6detail17trampoline_kernelINS0_14default_configENS1_37merge_sort_block_sort_config_selectorIlNS0_10empty_typeEEEZNS1_21merge_sort_block_sortIS3_PlS8_PS5_S9_ZN2at6native12_GLOBAL__N_124unique_dim_cuda_templateIfEESt5tupleIJNSA_6TensorESF_SF_EERKSF_lbbbEUlllE_EE10hipError_tT0_T1_T2_T3_mRjT4_P12ihipStream_tbNS1_7vsmem_tEEUlT_E_NS1_11comp_targetILNS1_3genE8ELNS1_11target_archE1030ELNS1_3gpuE2ELNS1_3repE0EEENS1_30default_config_static_selectorELNS0_4arch9wavefront6targetE1EEEvSM_.kd
    .uniform_work_group_size: 1
    .uses_dynamic_stack: false
    .vgpr_count:     0
    .vgpr_spill_count: 0
    .wavefront_size: 64
  - .agpr_count:     0
    .args:
      - .offset:         0
        .size:           56
        .value_kind:     by_value
    .group_segment_fixed_size: 0
    .kernarg_segment_align: 8
    .kernarg_segment_size: 56
    .language:       OpenCL C
    .language_version:
      - 2
      - 0
    .max_flat_workgroup_size: 128
    .name:           _ZN7rocprim17ROCPRIM_400000_NS6detail17trampoline_kernelINS0_14default_configENS1_38merge_sort_block_merge_config_selectorIlNS0_10empty_typeEEEZZNS1_27merge_sort_block_merge_implIS3_PlPS5_mZN2at6native12_GLOBAL__N_124unique_dim_cuda_templateIfEESt5tupleIJNSA_6TensorESF_SF_EERKSF_lbbbEUlllE_EE10hipError_tT0_T1_T2_jT3_P12ihipStream_tbPNSt15iterator_traitsISL_E10value_typeEPNSR_ISM_E10value_typeEPSN_NS1_7vsmem_tEENKUlT_SL_SM_SN_E_clIS8_S8_S9_S9_EESK_S10_SL_SM_SN_EUlS10_E_NS1_11comp_targetILNS1_3genE0ELNS1_11target_archE4294967295ELNS1_3gpuE0ELNS1_3repE0EEENS1_48merge_mergepath_partition_config_static_selectorELNS0_4arch9wavefront6targetE1EEEvSM_
    .private_segment_fixed_size: 0
    .sgpr_count:     38
    .sgpr_spill_count: 0
    .symbol:         _ZN7rocprim17ROCPRIM_400000_NS6detail17trampoline_kernelINS0_14default_configENS1_38merge_sort_block_merge_config_selectorIlNS0_10empty_typeEEEZZNS1_27merge_sort_block_merge_implIS3_PlPS5_mZN2at6native12_GLOBAL__N_124unique_dim_cuda_templateIfEESt5tupleIJNSA_6TensorESF_SF_EERKSF_lbbbEUlllE_EE10hipError_tT0_T1_T2_jT3_P12ihipStream_tbPNSt15iterator_traitsISL_E10value_typeEPNSR_ISM_E10value_typeEPSN_NS1_7vsmem_tEENKUlT_SL_SM_SN_E_clIS8_S8_S9_S9_EESK_S10_SL_SM_SN_EUlS10_E_NS1_11comp_targetILNS1_3genE0ELNS1_11target_archE4294967295ELNS1_3gpuE0ELNS1_3repE0EEENS1_48merge_mergepath_partition_config_static_selectorELNS0_4arch9wavefront6targetE1EEEvSM_.kd
    .uniform_work_group_size: 1
    .uses_dynamic_stack: false
    .vgpr_count:     23
    .vgpr_spill_count: 0
    .wavefront_size: 64
  - .agpr_count:     0
    .args:
      - .offset:         0
        .size:           56
        .value_kind:     by_value
    .group_segment_fixed_size: 0
    .kernarg_segment_align: 8
    .kernarg_segment_size: 56
    .language:       OpenCL C
    .language_version:
      - 2
      - 0
    .max_flat_workgroup_size: 128
    .name:           _ZN7rocprim17ROCPRIM_400000_NS6detail17trampoline_kernelINS0_14default_configENS1_38merge_sort_block_merge_config_selectorIlNS0_10empty_typeEEEZZNS1_27merge_sort_block_merge_implIS3_PlPS5_mZN2at6native12_GLOBAL__N_124unique_dim_cuda_templateIfEESt5tupleIJNSA_6TensorESF_SF_EERKSF_lbbbEUlllE_EE10hipError_tT0_T1_T2_jT3_P12ihipStream_tbPNSt15iterator_traitsISL_E10value_typeEPNSR_ISM_E10value_typeEPSN_NS1_7vsmem_tEENKUlT_SL_SM_SN_E_clIS8_S8_S9_S9_EESK_S10_SL_SM_SN_EUlS10_E_NS1_11comp_targetILNS1_3genE10ELNS1_11target_archE1201ELNS1_3gpuE5ELNS1_3repE0EEENS1_48merge_mergepath_partition_config_static_selectorELNS0_4arch9wavefront6targetE1EEEvSM_
    .private_segment_fixed_size: 0
    .sgpr_count:     6
    .sgpr_spill_count: 0
    .symbol:         _ZN7rocprim17ROCPRIM_400000_NS6detail17trampoline_kernelINS0_14default_configENS1_38merge_sort_block_merge_config_selectorIlNS0_10empty_typeEEEZZNS1_27merge_sort_block_merge_implIS3_PlPS5_mZN2at6native12_GLOBAL__N_124unique_dim_cuda_templateIfEESt5tupleIJNSA_6TensorESF_SF_EERKSF_lbbbEUlllE_EE10hipError_tT0_T1_T2_jT3_P12ihipStream_tbPNSt15iterator_traitsISL_E10value_typeEPNSR_ISM_E10value_typeEPSN_NS1_7vsmem_tEENKUlT_SL_SM_SN_E_clIS8_S8_S9_S9_EESK_S10_SL_SM_SN_EUlS10_E_NS1_11comp_targetILNS1_3genE10ELNS1_11target_archE1201ELNS1_3gpuE5ELNS1_3repE0EEENS1_48merge_mergepath_partition_config_static_selectorELNS0_4arch9wavefront6targetE1EEEvSM_.kd
    .uniform_work_group_size: 1
    .uses_dynamic_stack: false
    .vgpr_count:     0
    .vgpr_spill_count: 0
    .wavefront_size: 64
  - .agpr_count:     0
    .args:
      - .offset:         0
        .size:           56
        .value_kind:     by_value
    .group_segment_fixed_size: 0
    .kernarg_segment_align: 8
    .kernarg_segment_size: 56
    .language:       OpenCL C
    .language_version:
      - 2
      - 0
    .max_flat_workgroup_size: 128
    .name:           _ZN7rocprim17ROCPRIM_400000_NS6detail17trampoline_kernelINS0_14default_configENS1_38merge_sort_block_merge_config_selectorIlNS0_10empty_typeEEEZZNS1_27merge_sort_block_merge_implIS3_PlPS5_mZN2at6native12_GLOBAL__N_124unique_dim_cuda_templateIfEESt5tupleIJNSA_6TensorESF_SF_EERKSF_lbbbEUlllE_EE10hipError_tT0_T1_T2_jT3_P12ihipStream_tbPNSt15iterator_traitsISL_E10value_typeEPNSR_ISM_E10value_typeEPSN_NS1_7vsmem_tEENKUlT_SL_SM_SN_E_clIS8_S8_S9_S9_EESK_S10_SL_SM_SN_EUlS10_E_NS1_11comp_targetILNS1_3genE5ELNS1_11target_archE942ELNS1_3gpuE9ELNS1_3repE0EEENS1_48merge_mergepath_partition_config_static_selectorELNS0_4arch9wavefront6targetE1EEEvSM_
    .private_segment_fixed_size: 0
    .sgpr_count:     6
    .sgpr_spill_count: 0
    .symbol:         _ZN7rocprim17ROCPRIM_400000_NS6detail17trampoline_kernelINS0_14default_configENS1_38merge_sort_block_merge_config_selectorIlNS0_10empty_typeEEEZZNS1_27merge_sort_block_merge_implIS3_PlPS5_mZN2at6native12_GLOBAL__N_124unique_dim_cuda_templateIfEESt5tupleIJNSA_6TensorESF_SF_EERKSF_lbbbEUlllE_EE10hipError_tT0_T1_T2_jT3_P12ihipStream_tbPNSt15iterator_traitsISL_E10value_typeEPNSR_ISM_E10value_typeEPSN_NS1_7vsmem_tEENKUlT_SL_SM_SN_E_clIS8_S8_S9_S9_EESK_S10_SL_SM_SN_EUlS10_E_NS1_11comp_targetILNS1_3genE5ELNS1_11target_archE942ELNS1_3gpuE9ELNS1_3repE0EEENS1_48merge_mergepath_partition_config_static_selectorELNS0_4arch9wavefront6targetE1EEEvSM_.kd
    .uniform_work_group_size: 1
    .uses_dynamic_stack: false
    .vgpr_count:     0
    .vgpr_spill_count: 0
    .wavefront_size: 64
  - .agpr_count:     0
    .args:
      - .offset:         0
        .size:           56
        .value_kind:     by_value
    .group_segment_fixed_size: 0
    .kernarg_segment_align: 8
    .kernarg_segment_size: 56
    .language:       OpenCL C
    .language_version:
      - 2
      - 0
    .max_flat_workgroup_size: 128
    .name:           _ZN7rocprim17ROCPRIM_400000_NS6detail17trampoline_kernelINS0_14default_configENS1_38merge_sort_block_merge_config_selectorIlNS0_10empty_typeEEEZZNS1_27merge_sort_block_merge_implIS3_PlPS5_mZN2at6native12_GLOBAL__N_124unique_dim_cuda_templateIfEESt5tupleIJNSA_6TensorESF_SF_EERKSF_lbbbEUlllE_EE10hipError_tT0_T1_T2_jT3_P12ihipStream_tbPNSt15iterator_traitsISL_E10value_typeEPNSR_ISM_E10value_typeEPSN_NS1_7vsmem_tEENKUlT_SL_SM_SN_E_clIS8_S8_S9_S9_EESK_S10_SL_SM_SN_EUlS10_E_NS1_11comp_targetILNS1_3genE4ELNS1_11target_archE910ELNS1_3gpuE8ELNS1_3repE0EEENS1_48merge_mergepath_partition_config_static_selectorELNS0_4arch9wavefront6targetE1EEEvSM_
    .private_segment_fixed_size: 0
    .sgpr_count:     6
    .sgpr_spill_count: 0
    .symbol:         _ZN7rocprim17ROCPRIM_400000_NS6detail17trampoline_kernelINS0_14default_configENS1_38merge_sort_block_merge_config_selectorIlNS0_10empty_typeEEEZZNS1_27merge_sort_block_merge_implIS3_PlPS5_mZN2at6native12_GLOBAL__N_124unique_dim_cuda_templateIfEESt5tupleIJNSA_6TensorESF_SF_EERKSF_lbbbEUlllE_EE10hipError_tT0_T1_T2_jT3_P12ihipStream_tbPNSt15iterator_traitsISL_E10value_typeEPNSR_ISM_E10value_typeEPSN_NS1_7vsmem_tEENKUlT_SL_SM_SN_E_clIS8_S8_S9_S9_EESK_S10_SL_SM_SN_EUlS10_E_NS1_11comp_targetILNS1_3genE4ELNS1_11target_archE910ELNS1_3gpuE8ELNS1_3repE0EEENS1_48merge_mergepath_partition_config_static_selectorELNS0_4arch9wavefront6targetE1EEEvSM_.kd
    .uniform_work_group_size: 1
    .uses_dynamic_stack: false
    .vgpr_count:     0
    .vgpr_spill_count: 0
    .wavefront_size: 64
  - .agpr_count:     0
    .args:
      - .offset:         0
        .size:           56
        .value_kind:     by_value
    .group_segment_fixed_size: 0
    .kernarg_segment_align: 8
    .kernarg_segment_size: 56
    .language:       OpenCL C
    .language_version:
      - 2
      - 0
    .max_flat_workgroup_size: 128
    .name:           _ZN7rocprim17ROCPRIM_400000_NS6detail17trampoline_kernelINS0_14default_configENS1_38merge_sort_block_merge_config_selectorIlNS0_10empty_typeEEEZZNS1_27merge_sort_block_merge_implIS3_PlPS5_mZN2at6native12_GLOBAL__N_124unique_dim_cuda_templateIfEESt5tupleIJNSA_6TensorESF_SF_EERKSF_lbbbEUlllE_EE10hipError_tT0_T1_T2_jT3_P12ihipStream_tbPNSt15iterator_traitsISL_E10value_typeEPNSR_ISM_E10value_typeEPSN_NS1_7vsmem_tEENKUlT_SL_SM_SN_E_clIS8_S8_S9_S9_EESK_S10_SL_SM_SN_EUlS10_E_NS1_11comp_targetILNS1_3genE3ELNS1_11target_archE908ELNS1_3gpuE7ELNS1_3repE0EEENS1_48merge_mergepath_partition_config_static_selectorELNS0_4arch9wavefront6targetE1EEEvSM_
    .private_segment_fixed_size: 0
    .sgpr_count:     6
    .sgpr_spill_count: 0
    .symbol:         _ZN7rocprim17ROCPRIM_400000_NS6detail17trampoline_kernelINS0_14default_configENS1_38merge_sort_block_merge_config_selectorIlNS0_10empty_typeEEEZZNS1_27merge_sort_block_merge_implIS3_PlPS5_mZN2at6native12_GLOBAL__N_124unique_dim_cuda_templateIfEESt5tupleIJNSA_6TensorESF_SF_EERKSF_lbbbEUlllE_EE10hipError_tT0_T1_T2_jT3_P12ihipStream_tbPNSt15iterator_traitsISL_E10value_typeEPNSR_ISM_E10value_typeEPSN_NS1_7vsmem_tEENKUlT_SL_SM_SN_E_clIS8_S8_S9_S9_EESK_S10_SL_SM_SN_EUlS10_E_NS1_11comp_targetILNS1_3genE3ELNS1_11target_archE908ELNS1_3gpuE7ELNS1_3repE0EEENS1_48merge_mergepath_partition_config_static_selectorELNS0_4arch9wavefront6targetE1EEEvSM_.kd
    .uniform_work_group_size: 1
    .uses_dynamic_stack: false
    .vgpr_count:     0
    .vgpr_spill_count: 0
    .wavefront_size: 64
  - .agpr_count:     0
    .args:
      - .offset:         0
        .size:           56
        .value_kind:     by_value
    .group_segment_fixed_size: 0
    .kernarg_segment_align: 8
    .kernarg_segment_size: 56
    .language:       OpenCL C
    .language_version:
      - 2
      - 0
    .max_flat_workgroup_size: 128
    .name:           _ZN7rocprim17ROCPRIM_400000_NS6detail17trampoline_kernelINS0_14default_configENS1_38merge_sort_block_merge_config_selectorIlNS0_10empty_typeEEEZZNS1_27merge_sort_block_merge_implIS3_PlPS5_mZN2at6native12_GLOBAL__N_124unique_dim_cuda_templateIfEESt5tupleIJNSA_6TensorESF_SF_EERKSF_lbbbEUlllE_EE10hipError_tT0_T1_T2_jT3_P12ihipStream_tbPNSt15iterator_traitsISL_E10value_typeEPNSR_ISM_E10value_typeEPSN_NS1_7vsmem_tEENKUlT_SL_SM_SN_E_clIS8_S8_S9_S9_EESK_S10_SL_SM_SN_EUlS10_E_NS1_11comp_targetILNS1_3genE2ELNS1_11target_archE906ELNS1_3gpuE6ELNS1_3repE0EEENS1_48merge_mergepath_partition_config_static_selectorELNS0_4arch9wavefront6targetE1EEEvSM_
    .private_segment_fixed_size: 0
    .sgpr_count:     6
    .sgpr_spill_count: 0
    .symbol:         _ZN7rocprim17ROCPRIM_400000_NS6detail17trampoline_kernelINS0_14default_configENS1_38merge_sort_block_merge_config_selectorIlNS0_10empty_typeEEEZZNS1_27merge_sort_block_merge_implIS3_PlPS5_mZN2at6native12_GLOBAL__N_124unique_dim_cuda_templateIfEESt5tupleIJNSA_6TensorESF_SF_EERKSF_lbbbEUlllE_EE10hipError_tT0_T1_T2_jT3_P12ihipStream_tbPNSt15iterator_traitsISL_E10value_typeEPNSR_ISM_E10value_typeEPSN_NS1_7vsmem_tEENKUlT_SL_SM_SN_E_clIS8_S8_S9_S9_EESK_S10_SL_SM_SN_EUlS10_E_NS1_11comp_targetILNS1_3genE2ELNS1_11target_archE906ELNS1_3gpuE6ELNS1_3repE0EEENS1_48merge_mergepath_partition_config_static_selectorELNS0_4arch9wavefront6targetE1EEEvSM_.kd
    .uniform_work_group_size: 1
    .uses_dynamic_stack: false
    .vgpr_count:     0
    .vgpr_spill_count: 0
    .wavefront_size: 64
  - .agpr_count:     0
    .args:
      - .offset:         0
        .size:           56
        .value_kind:     by_value
    .group_segment_fixed_size: 0
    .kernarg_segment_align: 8
    .kernarg_segment_size: 56
    .language:       OpenCL C
    .language_version:
      - 2
      - 0
    .max_flat_workgroup_size: 128
    .name:           _ZN7rocprim17ROCPRIM_400000_NS6detail17trampoline_kernelINS0_14default_configENS1_38merge_sort_block_merge_config_selectorIlNS0_10empty_typeEEEZZNS1_27merge_sort_block_merge_implIS3_PlPS5_mZN2at6native12_GLOBAL__N_124unique_dim_cuda_templateIfEESt5tupleIJNSA_6TensorESF_SF_EERKSF_lbbbEUlllE_EE10hipError_tT0_T1_T2_jT3_P12ihipStream_tbPNSt15iterator_traitsISL_E10value_typeEPNSR_ISM_E10value_typeEPSN_NS1_7vsmem_tEENKUlT_SL_SM_SN_E_clIS8_S8_S9_S9_EESK_S10_SL_SM_SN_EUlS10_E_NS1_11comp_targetILNS1_3genE9ELNS1_11target_archE1100ELNS1_3gpuE3ELNS1_3repE0EEENS1_48merge_mergepath_partition_config_static_selectorELNS0_4arch9wavefront6targetE1EEEvSM_
    .private_segment_fixed_size: 0
    .sgpr_count:     6
    .sgpr_spill_count: 0
    .symbol:         _ZN7rocprim17ROCPRIM_400000_NS6detail17trampoline_kernelINS0_14default_configENS1_38merge_sort_block_merge_config_selectorIlNS0_10empty_typeEEEZZNS1_27merge_sort_block_merge_implIS3_PlPS5_mZN2at6native12_GLOBAL__N_124unique_dim_cuda_templateIfEESt5tupleIJNSA_6TensorESF_SF_EERKSF_lbbbEUlllE_EE10hipError_tT0_T1_T2_jT3_P12ihipStream_tbPNSt15iterator_traitsISL_E10value_typeEPNSR_ISM_E10value_typeEPSN_NS1_7vsmem_tEENKUlT_SL_SM_SN_E_clIS8_S8_S9_S9_EESK_S10_SL_SM_SN_EUlS10_E_NS1_11comp_targetILNS1_3genE9ELNS1_11target_archE1100ELNS1_3gpuE3ELNS1_3repE0EEENS1_48merge_mergepath_partition_config_static_selectorELNS0_4arch9wavefront6targetE1EEEvSM_.kd
    .uniform_work_group_size: 1
    .uses_dynamic_stack: false
    .vgpr_count:     0
    .vgpr_spill_count: 0
    .wavefront_size: 64
  - .agpr_count:     0
    .args:
      - .offset:         0
        .size:           56
        .value_kind:     by_value
    .group_segment_fixed_size: 0
    .kernarg_segment_align: 8
    .kernarg_segment_size: 56
    .language:       OpenCL C
    .language_version:
      - 2
      - 0
    .max_flat_workgroup_size: 128
    .name:           _ZN7rocprim17ROCPRIM_400000_NS6detail17trampoline_kernelINS0_14default_configENS1_38merge_sort_block_merge_config_selectorIlNS0_10empty_typeEEEZZNS1_27merge_sort_block_merge_implIS3_PlPS5_mZN2at6native12_GLOBAL__N_124unique_dim_cuda_templateIfEESt5tupleIJNSA_6TensorESF_SF_EERKSF_lbbbEUlllE_EE10hipError_tT0_T1_T2_jT3_P12ihipStream_tbPNSt15iterator_traitsISL_E10value_typeEPNSR_ISM_E10value_typeEPSN_NS1_7vsmem_tEENKUlT_SL_SM_SN_E_clIS8_S8_S9_S9_EESK_S10_SL_SM_SN_EUlS10_E_NS1_11comp_targetILNS1_3genE8ELNS1_11target_archE1030ELNS1_3gpuE2ELNS1_3repE0EEENS1_48merge_mergepath_partition_config_static_selectorELNS0_4arch9wavefront6targetE1EEEvSM_
    .private_segment_fixed_size: 0
    .sgpr_count:     6
    .sgpr_spill_count: 0
    .symbol:         _ZN7rocprim17ROCPRIM_400000_NS6detail17trampoline_kernelINS0_14default_configENS1_38merge_sort_block_merge_config_selectorIlNS0_10empty_typeEEEZZNS1_27merge_sort_block_merge_implIS3_PlPS5_mZN2at6native12_GLOBAL__N_124unique_dim_cuda_templateIfEESt5tupleIJNSA_6TensorESF_SF_EERKSF_lbbbEUlllE_EE10hipError_tT0_T1_T2_jT3_P12ihipStream_tbPNSt15iterator_traitsISL_E10value_typeEPNSR_ISM_E10value_typeEPSN_NS1_7vsmem_tEENKUlT_SL_SM_SN_E_clIS8_S8_S9_S9_EESK_S10_SL_SM_SN_EUlS10_E_NS1_11comp_targetILNS1_3genE8ELNS1_11target_archE1030ELNS1_3gpuE2ELNS1_3repE0EEENS1_48merge_mergepath_partition_config_static_selectorELNS0_4arch9wavefront6targetE1EEEvSM_.kd
    .uniform_work_group_size: 1
    .uses_dynamic_stack: false
    .vgpr_count:     0
    .vgpr_spill_count: 0
    .wavefront_size: 64
  - .agpr_count:     0
    .args:
      - .offset:         0
        .size:           88
        .value_kind:     by_value
      - .offset:         88
        .size:           4
        .value_kind:     hidden_block_count_x
      - .offset:         92
        .size:           4
        .value_kind:     hidden_block_count_y
      - .offset:         96
        .size:           4
        .value_kind:     hidden_block_count_z
      - .offset:         100
        .size:           2
        .value_kind:     hidden_group_size_x
      - .offset:         102
        .size:           2
        .value_kind:     hidden_group_size_y
      - .offset:         104
        .size:           2
        .value_kind:     hidden_group_size_z
      - .offset:         106
        .size:           2
        .value_kind:     hidden_remainder_x
      - .offset:         108
        .size:           2
        .value_kind:     hidden_remainder_y
      - .offset:         110
        .size:           2
        .value_kind:     hidden_remainder_z
      - .offset:         128
        .size:           8
        .value_kind:     hidden_global_offset_x
      - .offset:         136
        .size:           8
        .value_kind:     hidden_global_offset_y
      - .offset:         144
        .size:           8
        .value_kind:     hidden_global_offset_z
      - .offset:         152
        .size:           2
        .value_kind:     hidden_grid_dims
    .group_segment_fixed_size: 8448
    .kernarg_segment_align: 8
    .kernarg_segment_size: 344
    .language:       OpenCL C
    .language_version:
      - 2
      - 0
    .max_flat_workgroup_size: 128
    .name:           _ZN7rocprim17ROCPRIM_400000_NS6detail17trampoline_kernelINS0_14default_configENS1_38merge_sort_block_merge_config_selectorIlNS0_10empty_typeEEEZZNS1_27merge_sort_block_merge_implIS3_PlPS5_mZN2at6native12_GLOBAL__N_124unique_dim_cuda_templateIfEESt5tupleIJNSA_6TensorESF_SF_EERKSF_lbbbEUlllE_EE10hipError_tT0_T1_T2_jT3_P12ihipStream_tbPNSt15iterator_traitsISL_E10value_typeEPNSR_ISM_E10value_typeEPSN_NS1_7vsmem_tEENKUlT_SL_SM_SN_E_clIS8_S8_S9_S9_EESK_S10_SL_SM_SN_EUlS10_E0_NS1_11comp_targetILNS1_3genE0ELNS1_11target_archE4294967295ELNS1_3gpuE0ELNS1_3repE0EEENS1_38merge_mergepath_config_static_selectorELNS0_4arch9wavefront6targetE1EEEvSM_
    .private_segment_fixed_size: 0
    .sgpr_count:     60
    .sgpr_spill_count: 0
    .symbol:         _ZN7rocprim17ROCPRIM_400000_NS6detail17trampoline_kernelINS0_14default_configENS1_38merge_sort_block_merge_config_selectorIlNS0_10empty_typeEEEZZNS1_27merge_sort_block_merge_implIS3_PlPS5_mZN2at6native12_GLOBAL__N_124unique_dim_cuda_templateIfEESt5tupleIJNSA_6TensorESF_SF_EERKSF_lbbbEUlllE_EE10hipError_tT0_T1_T2_jT3_P12ihipStream_tbPNSt15iterator_traitsISL_E10value_typeEPNSR_ISM_E10value_typeEPSN_NS1_7vsmem_tEENKUlT_SL_SM_SN_E_clIS8_S8_S9_S9_EESK_S10_SL_SM_SN_EUlS10_E0_NS1_11comp_targetILNS1_3genE0ELNS1_11target_archE4294967295ELNS1_3gpuE0ELNS1_3repE0EEENS1_38merge_mergepath_config_static_selectorELNS0_4arch9wavefront6targetE1EEEvSM_.kd
    .uniform_work_group_size: 1
    .uses_dynamic_stack: false
    .vgpr_count:     40
    .vgpr_spill_count: 0
    .wavefront_size: 64
  - .agpr_count:     0
    .args:
      - .offset:         0
        .size:           88
        .value_kind:     by_value
    .group_segment_fixed_size: 0
    .kernarg_segment_align: 8
    .kernarg_segment_size: 88
    .language:       OpenCL C
    .language_version:
      - 2
      - 0
    .max_flat_workgroup_size: 512
    .name:           _ZN7rocprim17ROCPRIM_400000_NS6detail17trampoline_kernelINS0_14default_configENS1_38merge_sort_block_merge_config_selectorIlNS0_10empty_typeEEEZZNS1_27merge_sort_block_merge_implIS3_PlPS5_mZN2at6native12_GLOBAL__N_124unique_dim_cuda_templateIfEESt5tupleIJNSA_6TensorESF_SF_EERKSF_lbbbEUlllE_EE10hipError_tT0_T1_T2_jT3_P12ihipStream_tbPNSt15iterator_traitsISL_E10value_typeEPNSR_ISM_E10value_typeEPSN_NS1_7vsmem_tEENKUlT_SL_SM_SN_E_clIS8_S8_S9_S9_EESK_S10_SL_SM_SN_EUlS10_E0_NS1_11comp_targetILNS1_3genE10ELNS1_11target_archE1201ELNS1_3gpuE5ELNS1_3repE0EEENS1_38merge_mergepath_config_static_selectorELNS0_4arch9wavefront6targetE1EEEvSM_
    .private_segment_fixed_size: 0
    .sgpr_count:     6
    .sgpr_spill_count: 0
    .symbol:         _ZN7rocprim17ROCPRIM_400000_NS6detail17trampoline_kernelINS0_14default_configENS1_38merge_sort_block_merge_config_selectorIlNS0_10empty_typeEEEZZNS1_27merge_sort_block_merge_implIS3_PlPS5_mZN2at6native12_GLOBAL__N_124unique_dim_cuda_templateIfEESt5tupleIJNSA_6TensorESF_SF_EERKSF_lbbbEUlllE_EE10hipError_tT0_T1_T2_jT3_P12ihipStream_tbPNSt15iterator_traitsISL_E10value_typeEPNSR_ISM_E10value_typeEPSN_NS1_7vsmem_tEENKUlT_SL_SM_SN_E_clIS8_S8_S9_S9_EESK_S10_SL_SM_SN_EUlS10_E0_NS1_11comp_targetILNS1_3genE10ELNS1_11target_archE1201ELNS1_3gpuE5ELNS1_3repE0EEENS1_38merge_mergepath_config_static_selectorELNS0_4arch9wavefront6targetE1EEEvSM_.kd
    .uniform_work_group_size: 1
    .uses_dynamic_stack: false
    .vgpr_count:     0
    .vgpr_spill_count: 0
    .wavefront_size: 64
  - .agpr_count:     0
    .args:
      - .offset:         0
        .size:           88
        .value_kind:     by_value
    .group_segment_fixed_size: 0
    .kernarg_segment_align: 8
    .kernarg_segment_size: 88
    .language:       OpenCL C
    .language_version:
      - 2
      - 0
    .max_flat_workgroup_size: 128
    .name:           _ZN7rocprim17ROCPRIM_400000_NS6detail17trampoline_kernelINS0_14default_configENS1_38merge_sort_block_merge_config_selectorIlNS0_10empty_typeEEEZZNS1_27merge_sort_block_merge_implIS3_PlPS5_mZN2at6native12_GLOBAL__N_124unique_dim_cuda_templateIfEESt5tupleIJNSA_6TensorESF_SF_EERKSF_lbbbEUlllE_EE10hipError_tT0_T1_T2_jT3_P12ihipStream_tbPNSt15iterator_traitsISL_E10value_typeEPNSR_ISM_E10value_typeEPSN_NS1_7vsmem_tEENKUlT_SL_SM_SN_E_clIS8_S8_S9_S9_EESK_S10_SL_SM_SN_EUlS10_E0_NS1_11comp_targetILNS1_3genE5ELNS1_11target_archE942ELNS1_3gpuE9ELNS1_3repE0EEENS1_38merge_mergepath_config_static_selectorELNS0_4arch9wavefront6targetE1EEEvSM_
    .private_segment_fixed_size: 0
    .sgpr_count:     6
    .sgpr_spill_count: 0
    .symbol:         _ZN7rocprim17ROCPRIM_400000_NS6detail17trampoline_kernelINS0_14default_configENS1_38merge_sort_block_merge_config_selectorIlNS0_10empty_typeEEEZZNS1_27merge_sort_block_merge_implIS3_PlPS5_mZN2at6native12_GLOBAL__N_124unique_dim_cuda_templateIfEESt5tupleIJNSA_6TensorESF_SF_EERKSF_lbbbEUlllE_EE10hipError_tT0_T1_T2_jT3_P12ihipStream_tbPNSt15iterator_traitsISL_E10value_typeEPNSR_ISM_E10value_typeEPSN_NS1_7vsmem_tEENKUlT_SL_SM_SN_E_clIS8_S8_S9_S9_EESK_S10_SL_SM_SN_EUlS10_E0_NS1_11comp_targetILNS1_3genE5ELNS1_11target_archE942ELNS1_3gpuE9ELNS1_3repE0EEENS1_38merge_mergepath_config_static_selectorELNS0_4arch9wavefront6targetE1EEEvSM_.kd
    .uniform_work_group_size: 1
    .uses_dynamic_stack: false
    .vgpr_count:     0
    .vgpr_spill_count: 0
    .wavefront_size: 64
  - .agpr_count:     0
    .args:
      - .offset:         0
        .size:           88
        .value_kind:     by_value
    .group_segment_fixed_size: 0
    .kernarg_segment_align: 8
    .kernarg_segment_size: 88
    .language:       OpenCL C
    .language_version:
      - 2
      - 0
    .max_flat_workgroup_size: 256
    .name:           _ZN7rocprim17ROCPRIM_400000_NS6detail17trampoline_kernelINS0_14default_configENS1_38merge_sort_block_merge_config_selectorIlNS0_10empty_typeEEEZZNS1_27merge_sort_block_merge_implIS3_PlPS5_mZN2at6native12_GLOBAL__N_124unique_dim_cuda_templateIfEESt5tupleIJNSA_6TensorESF_SF_EERKSF_lbbbEUlllE_EE10hipError_tT0_T1_T2_jT3_P12ihipStream_tbPNSt15iterator_traitsISL_E10value_typeEPNSR_ISM_E10value_typeEPSN_NS1_7vsmem_tEENKUlT_SL_SM_SN_E_clIS8_S8_S9_S9_EESK_S10_SL_SM_SN_EUlS10_E0_NS1_11comp_targetILNS1_3genE4ELNS1_11target_archE910ELNS1_3gpuE8ELNS1_3repE0EEENS1_38merge_mergepath_config_static_selectorELNS0_4arch9wavefront6targetE1EEEvSM_
    .private_segment_fixed_size: 0
    .sgpr_count:     6
    .sgpr_spill_count: 0
    .symbol:         _ZN7rocprim17ROCPRIM_400000_NS6detail17trampoline_kernelINS0_14default_configENS1_38merge_sort_block_merge_config_selectorIlNS0_10empty_typeEEEZZNS1_27merge_sort_block_merge_implIS3_PlPS5_mZN2at6native12_GLOBAL__N_124unique_dim_cuda_templateIfEESt5tupleIJNSA_6TensorESF_SF_EERKSF_lbbbEUlllE_EE10hipError_tT0_T1_T2_jT3_P12ihipStream_tbPNSt15iterator_traitsISL_E10value_typeEPNSR_ISM_E10value_typeEPSN_NS1_7vsmem_tEENKUlT_SL_SM_SN_E_clIS8_S8_S9_S9_EESK_S10_SL_SM_SN_EUlS10_E0_NS1_11comp_targetILNS1_3genE4ELNS1_11target_archE910ELNS1_3gpuE8ELNS1_3repE0EEENS1_38merge_mergepath_config_static_selectorELNS0_4arch9wavefront6targetE1EEEvSM_.kd
    .uniform_work_group_size: 1
    .uses_dynamic_stack: false
    .vgpr_count:     0
    .vgpr_spill_count: 0
    .wavefront_size: 64
  - .agpr_count:     0
    .args:
      - .offset:         0
        .size:           88
        .value_kind:     by_value
    .group_segment_fixed_size: 0
    .kernarg_segment_align: 8
    .kernarg_segment_size: 88
    .language:       OpenCL C
    .language_version:
      - 2
      - 0
    .max_flat_workgroup_size: 128
    .name:           _ZN7rocprim17ROCPRIM_400000_NS6detail17trampoline_kernelINS0_14default_configENS1_38merge_sort_block_merge_config_selectorIlNS0_10empty_typeEEEZZNS1_27merge_sort_block_merge_implIS3_PlPS5_mZN2at6native12_GLOBAL__N_124unique_dim_cuda_templateIfEESt5tupleIJNSA_6TensorESF_SF_EERKSF_lbbbEUlllE_EE10hipError_tT0_T1_T2_jT3_P12ihipStream_tbPNSt15iterator_traitsISL_E10value_typeEPNSR_ISM_E10value_typeEPSN_NS1_7vsmem_tEENKUlT_SL_SM_SN_E_clIS8_S8_S9_S9_EESK_S10_SL_SM_SN_EUlS10_E0_NS1_11comp_targetILNS1_3genE3ELNS1_11target_archE908ELNS1_3gpuE7ELNS1_3repE0EEENS1_38merge_mergepath_config_static_selectorELNS0_4arch9wavefront6targetE1EEEvSM_
    .private_segment_fixed_size: 0
    .sgpr_count:     6
    .sgpr_spill_count: 0
    .symbol:         _ZN7rocprim17ROCPRIM_400000_NS6detail17trampoline_kernelINS0_14default_configENS1_38merge_sort_block_merge_config_selectorIlNS0_10empty_typeEEEZZNS1_27merge_sort_block_merge_implIS3_PlPS5_mZN2at6native12_GLOBAL__N_124unique_dim_cuda_templateIfEESt5tupleIJNSA_6TensorESF_SF_EERKSF_lbbbEUlllE_EE10hipError_tT0_T1_T2_jT3_P12ihipStream_tbPNSt15iterator_traitsISL_E10value_typeEPNSR_ISM_E10value_typeEPSN_NS1_7vsmem_tEENKUlT_SL_SM_SN_E_clIS8_S8_S9_S9_EESK_S10_SL_SM_SN_EUlS10_E0_NS1_11comp_targetILNS1_3genE3ELNS1_11target_archE908ELNS1_3gpuE7ELNS1_3repE0EEENS1_38merge_mergepath_config_static_selectorELNS0_4arch9wavefront6targetE1EEEvSM_.kd
    .uniform_work_group_size: 1
    .uses_dynamic_stack: false
    .vgpr_count:     0
    .vgpr_spill_count: 0
    .wavefront_size: 64
  - .agpr_count:     0
    .args:
      - .offset:         0
        .size:           88
        .value_kind:     by_value
    .group_segment_fixed_size: 0
    .kernarg_segment_align: 8
    .kernarg_segment_size: 88
    .language:       OpenCL C
    .language_version:
      - 2
      - 0
    .max_flat_workgroup_size: 256
    .name:           _ZN7rocprim17ROCPRIM_400000_NS6detail17trampoline_kernelINS0_14default_configENS1_38merge_sort_block_merge_config_selectorIlNS0_10empty_typeEEEZZNS1_27merge_sort_block_merge_implIS3_PlPS5_mZN2at6native12_GLOBAL__N_124unique_dim_cuda_templateIfEESt5tupleIJNSA_6TensorESF_SF_EERKSF_lbbbEUlllE_EE10hipError_tT0_T1_T2_jT3_P12ihipStream_tbPNSt15iterator_traitsISL_E10value_typeEPNSR_ISM_E10value_typeEPSN_NS1_7vsmem_tEENKUlT_SL_SM_SN_E_clIS8_S8_S9_S9_EESK_S10_SL_SM_SN_EUlS10_E0_NS1_11comp_targetILNS1_3genE2ELNS1_11target_archE906ELNS1_3gpuE6ELNS1_3repE0EEENS1_38merge_mergepath_config_static_selectorELNS0_4arch9wavefront6targetE1EEEvSM_
    .private_segment_fixed_size: 0
    .sgpr_count:     6
    .sgpr_spill_count: 0
    .symbol:         _ZN7rocprim17ROCPRIM_400000_NS6detail17trampoline_kernelINS0_14default_configENS1_38merge_sort_block_merge_config_selectorIlNS0_10empty_typeEEEZZNS1_27merge_sort_block_merge_implIS3_PlPS5_mZN2at6native12_GLOBAL__N_124unique_dim_cuda_templateIfEESt5tupleIJNSA_6TensorESF_SF_EERKSF_lbbbEUlllE_EE10hipError_tT0_T1_T2_jT3_P12ihipStream_tbPNSt15iterator_traitsISL_E10value_typeEPNSR_ISM_E10value_typeEPSN_NS1_7vsmem_tEENKUlT_SL_SM_SN_E_clIS8_S8_S9_S9_EESK_S10_SL_SM_SN_EUlS10_E0_NS1_11comp_targetILNS1_3genE2ELNS1_11target_archE906ELNS1_3gpuE6ELNS1_3repE0EEENS1_38merge_mergepath_config_static_selectorELNS0_4arch9wavefront6targetE1EEEvSM_.kd
    .uniform_work_group_size: 1
    .uses_dynamic_stack: false
    .vgpr_count:     0
    .vgpr_spill_count: 0
    .wavefront_size: 64
  - .agpr_count:     0
    .args:
      - .offset:         0
        .size:           88
        .value_kind:     by_value
    .group_segment_fixed_size: 0
    .kernarg_segment_align: 8
    .kernarg_segment_size: 88
    .language:       OpenCL C
    .language_version:
      - 2
      - 0
    .max_flat_workgroup_size: 512
    .name:           _ZN7rocprim17ROCPRIM_400000_NS6detail17trampoline_kernelINS0_14default_configENS1_38merge_sort_block_merge_config_selectorIlNS0_10empty_typeEEEZZNS1_27merge_sort_block_merge_implIS3_PlPS5_mZN2at6native12_GLOBAL__N_124unique_dim_cuda_templateIfEESt5tupleIJNSA_6TensorESF_SF_EERKSF_lbbbEUlllE_EE10hipError_tT0_T1_T2_jT3_P12ihipStream_tbPNSt15iterator_traitsISL_E10value_typeEPNSR_ISM_E10value_typeEPSN_NS1_7vsmem_tEENKUlT_SL_SM_SN_E_clIS8_S8_S9_S9_EESK_S10_SL_SM_SN_EUlS10_E0_NS1_11comp_targetILNS1_3genE9ELNS1_11target_archE1100ELNS1_3gpuE3ELNS1_3repE0EEENS1_38merge_mergepath_config_static_selectorELNS0_4arch9wavefront6targetE1EEEvSM_
    .private_segment_fixed_size: 0
    .sgpr_count:     6
    .sgpr_spill_count: 0
    .symbol:         _ZN7rocprim17ROCPRIM_400000_NS6detail17trampoline_kernelINS0_14default_configENS1_38merge_sort_block_merge_config_selectorIlNS0_10empty_typeEEEZZNS1_27merge_sort_block_merge_implIS3_PlPS5_mZN2at6native12_GLOBAL__N_124unique_dim_cuda_templateIfEESt5tupleIJNSA_6TensorESF_SF_EERKSF_lbbbEUlllE_EE10hipError_tT0_T1_T2_jT3_P12ihipStream_tbPNSt15iterator_traitsISL_E10value_typeEPNSR_ISM_E10value_typeEPSN_NS1_7vsmem_tEENKUlT_SL_SM_SN_E_clIS8_S8_S9_S9_EESK_S10_SL_SM_SN_EUlS10_E0_NS1_11comp_targetILNS1_3genE9ELNS1_11target_archE1100ELNS1_3gpuE3ELNS1_3repE0EEENS1_38merge_mergepath_config_static_selectorELNS0_4arch9wavefront6targetE1EEEvSM_.kd
    .uniform_work_group_size: 1
    .uses_dynamic_stack: false
    .vgpr_count:     0
    .vgpr_spill_count: 0
    .wavefront_size: 64
  - .agpr_count:     0
    .args:
      - .offset:         0
        .size:           88
        .value_kind:     by_value
    .group_segment_fixed_size: 0
    .kernarg_segment_align: 8
    .kernarg_segment_size: 88
    .language:       OpenCL C
    .language_version:
      - 2
      - 0
    .max_flat_workgroup_size: 1024
    .name:           _ZN7rocprim17ROCPRIM_400000_NS6detail17trampoline_kernelINS0_14default_configENS1_38merge_sort_block_merge_config_selectorIlNS0_10empty_typeEEEZZNS1_27merge_sort_block_merge_implIS3_PlPS5_mZN2at6native12_GLOBAL__N_124unique_dim_cuda_templateIfEESt5tupleIJNSA_6TensorESF_SF_EERKSF_lbbbEUlllE_EE10hipError_tT0_T1_T2_jT3_P12ihipStream_tbPNSt15iterator_traitsISL_E10value_typeEPNSR_ISM_E10value_typeEPSN_NS1_7vsmem_tEENKUlT_SL_SM_SN_E_clIS8_S8_S9_S9_EESK_S10_SL_SM_SN_EUlS10_E0_NS1_11comp_targetILNS1_3genE8ELNS1_11target_archE1030ELNS1_3gpuE2ELNS1_3repE0EEENS1_38merge_mergepath_config_static_selectorELNS0_4arch9wavefront6targetE1EEEvSM_
    .private_segment_fixed_size: 0
    .sgpr_count:     6
    .sgpr_spill_count: 0
    .symbol:         _ZN7rocprim17ROCPRIM_400000_NS6detail17trampoline_kernelINS0_14default_configENS1_38merge_sort_block_merge_config_selectorIlNS0_10empty_typeEEEZZNS1_27merge_sort_block_merge_implIS3_PlPS5_mZN2at6native12_GLOBAL__N_124unique_dim_cuda_templateIfEESt5tupleIJNSA_6TensorESF_SF_EERKSF_lbbbEUlllE_EE10hipError_tT0_T1_T2_jT3_P12ihipStream_tbPNSt15iterator_traitsISL_E10value_typeEPNSR_ISM_E10value_typeEPSN_NS1_7vsmem_tEENKUlT_SL_SM_SN_E_clIS8_S8_S9_S9_EESK_S10_SL_SM_SN_EUlS10_E0_NS1_11comp_targetILNS1_3genE8ELNS1_11target_archE1030ELNS1_3gpuE2ELNS1_3repE0EEENS1_38merge_mergepath_config_static_selectorELNS0_4arch9wavefront6targetE1EEEvSM_.kd
    .uniform_work_group_size: 1
    .uses_dynamic_stack: false
    .vgpr_count:     0
    .vgpr_spill_count: 0
    .wavefront_size: 64
  - .agpr_count:     0
    .args:
      - .offset:         0
        .size:           64
        .value_kind:     by_value
    .group_segment_fixed_size: 0
    .kernarg_segment_align: 8
    .kernarg_segment_size: 64
    .language:       OpenCL C
    .language_version:
      - 2
      - 0
    .max_flat_workgroup_size: 256
    .name:           _ZN7rocprim17ROCPRIM_400000_NS6detail17trampoline_kernelINS0_14default_configENS1_38merge_sort_block_merge_config_selectorIlNS0_10empty_typeEEEZZNS1_27merge_sort_block_merge_implIS3_PlPS5_mZN2at6native12_GLOBAL__N_124unique_dim_cuda_templateIfEESt5tupleIJNSA_6TensorESF_SF_EERKSF_lbbbEUlllE_EE10hipError_tT0_T1_T2_jT3_P12ihipStream_tbPNSt15iterator_traitsISL_E10value_typeEPNSR_ISM_E10value_typeEPSN_NS1_7vsmem_tEENKUlT_SL_SM_SN_E_clIS8_S8_S9_S9_EESK_S10_SL_SM_SN_EUlS10_E1_NS1_11comp_targetILNS1_3genE0ELNS1_11target_archE4294967295ELNS1_3gpuE0ELNS1_3repE0EEENS1_36merge_oddeven_config_static_selectorELNS0_4arch9wavefront6targetE1EEEvSM_
    .private_segment_fixed_size: 0
    .sgpr_count:     52
    .sgpr_spill_count: 0
    .symbol:         _ZN7rocprim17ROCPRIM_400000_NS6detail17trampoline_kernelINS0_14default_configENS1_38merge_sort_block_merge_config_selectorIlNS0_10empty_typeEEEZZNS1_27merge_sort_block_merge_implIS3_PlPS5_mZN2at6native12_GLOBAL__N_124unique_dim_cuda_templateIfEESt5tupleIJNSA_6TensorESF_SF_EERKSF_lbbbEUlllE_EE10hipError_tT0_T1_T2_jT3_P12ihipStream_tbPNSt15iterator_traitsISL_E10value_typeEPNSR_ISM_E10value_typeEPSN_NS1_7vsmem_tEENKUlT_SL_SM_SN_E_clIS8_S8_S9_S9_EESK_S10_SL_SM_SN_EUlS10_E1_NS1_11comp_targetILNS1_3genE0ELNS1_11target_archE4294967295ELNS1_3gpuE0ELNS1_3repE0EEENS1_36merge_oddeven_config_static_selectorELNS0_4arch9wavefront6targetE1EEEvSM_.kd
    .uniform_work_group_size: 1
    .uses_dynamic_stack: false
    .vgpr_count:     19
    .vgpr_spill_count: 0
    .wavefront_size: 64
  - .agpr_count:     0
    .args:
      - .offset:         0
        .size:           64
        .value_kind:     by_value
    .group_segment_fixed_size: 0
    .kernarg_segment_align: 8
    .kernarg_segment_size: 64
    .language:       OpenCL C
    .language_version:
      - 2
      - 0
    .max_flat_workgroup_size: 256
    .name:           _ZN7rocprim17ROCPRIM_400000_NS6detail17trampoline_kernelINS0_14default_configENS1_38merge_sort_block_merge_config_selectorIlNS0_10empty_typeEEEZZNS1_27merge_sort_block_merge_implIS3_PlPS5_mZN2at6native12_GLOBAL__N_124unique_dim_cuda_templateIfEESt5tupleIJNSA_6TensorESF_SF_EERKSF_lbbbEUlllE_EE10hipError_tT0_T1_T2_jT3_P12ihipStream_tbPNSt15iterator_traitsISL_E10value_typeEPNSR_ISM_E10value_typeEPSN_NS1_7vsmem_tEENKUlT_SL_SM_SN_E_clIS8_S8_S9_S9_EESK_S10_SL_SM_SN_EUlS10_E1_NS1_11comp_targetILNS1_3genE10ELNS1_11target_archE1201ELNS1_3gpuE5ELNS1_3repE0EEENS1_36merge_oddeven_config_static_selectorELNS0_4arch9wavefront6targetE1EEEvSM_
    .private_segment_fixed_size: 0
    .sgpr_count:     6
    .sgpr_spill_count: 0
    .symbol:         _ZN7rocprim17ROCPRIM_400000_NS6detail17trampoline_kernelINS0_14default_configENS1_38merge_sort_block_merge_config_selectorIlNS0_10empty_typeEEEZZNS1_27merge_sort_block_merge_implIS3_PlPS5_mZN2at6native12_GLOBAL__N_124unique_dim_cuda_templateIfEESt5tupleIJNSA_6TensorESF_SF_EERKSF_lbbbEUlllE_EE10hipError_tT0_T1_T2_jT3_P12ihipStream_tbPNSt15iterator_traitsISL_E10value_typeEPNSR_ISM_E10value_typeEPSN_NS1_7vsmem_tEENKUlT_SL_SM_SN_E_clIS8_S8_S9_S9_EESK_S10_SL_SM_SN_EUlS10_E1_NS1_11comp_targetILNS1_3genE10ELNS1_11target_archE1201ELNS1_3gpuE5ELNS1_3repE0EEENS1_36merge_oddeven_config_static_selectorELNS0_4arch9wavefront6targetE1EEEvSM_.kd
    .uniform_work_group_size: 1
    .uses_dynamic_stack: false
    .vgpr_count:     0
    .vgpr_spill_count: 0
    .wavefront_size: 64
  - .agpr_count:     0
    .args:
      - .offset:         0
        .size:           64
        .value_kind:     by_value
    .group_segment_fixed_size: 0
    .kernarg_segment_align: 8
    .kernarg_segment_size: 64
    .language:       OpenCL C
    .language_version:
      - 2
      - 0
    .max_flat_workgroup_size: 256
    .name:           _ZN7rocprim17ROCPRIM_400000_NS6detail17trampoline_kernelINS0_14default_configENS1_38merge_sort_block_merge_config_selectorIlNS0_10empty_typeEEEZZNS1_27merge_sort_block_merge_implIS3_PlPS5_mZN2at6native12_GLOBAL__N_124unique_dim_cuda_templateIfEESt5tupleIJNSA_6TensorESF_SF_EERKSF_lbbbEUlllE_EE10hipError_tT0_T1_T2_jT3_P12ihipStream_tbPNSt15iterator_traitsISL_E10value_typeEPNSR_ISM_E10value_typeEPSN_NS1_7vsmem_tEENKUlT_SL_SM_SN_E_clIS8_S8_S9_S9_EESK_S10_SL_SM_SN_EUlS10_E1_NS1_11comp_targetILNS1_3genE5ELNS1_11target_archE942ELNS1_3gpuE9ELNS1_3repE0EEENS1_36merge_oddeven_config_static_selectorELNS0_4arch9wavefront6targetE1EEEvSM_
    .private_segment_fixed_size: 0
    .sgpr_count:     6
    .sgpr_spill_count: 0
    .symbol:         _ZN7rocprim17ROCPRIM_400000_NS6detail17trampoline_kernelINS0_14default_configENS1_38merge_sort_block_merge_config_selectorIlNS0_10empty_typeEEEZZNS1_27merge_sort_block_merge_implIS3_PlPS5_mZN2at6native12_GLOBAL__N_124unique_dim_cuda_templateIfEESt5tupleIJNSA_6TensorESF_SF_EERKSF_lbbbEUlllE_EE10hipError_tT0_T1_T2_jT3_P12ihipStream_tbPNSt15iterator_traitsISL_E10value_typeEPNSR_ISM_E10value_typeEPSN_NS1_7vsmem_tEENKUlT_SL_SM_SN_E_clIS8_S8_S9_S9_EESK_S10_SL_SM_SN_EUlS10_E1_NS1_11comp_targetILNS1_3genE5ELNS1_11target_archE942ELNS1_3gpuE9ELNS1_3repE0EEENS1_36merge_oddeven_config_static_selectorELNS0_4arch9wavefront6targetE1EEEvSM_.kd
    .uniform_work_group_size: 1
    .uses_dynamic_stack: false
    .vgpr_count:     0
    .vgpr_spill_count: 0
    .wavefront_size: 64
  - .agpr_count:     0
    .args:
      - .offset:         0
        .size:           64
        .value_kind:     by_value
    .group_segment_fixed_size: 0
    .kernarg_segment_align: 8
    .kernarg_segment_size: 64
    .language:       OpenCL C
    .language_version:
      - 2
      - 0
    .max_flat_workgroup_size: 256
    .name:           _ZN7rocprim17ROCPRIM_400000_NS6detail17trampoline_kernelINS0_14default_configENS1_38merge_sort_block_merge_config_selectorIlNS0_10empty_typeEEEZZNS1_27merge_sort_block_merge_implIS3_PlPS5_mZN2at6native12_GLOBAL__N_124unique_dim_cuda_templateIfEESt5tupleIJNSA_6TensorESF_SF_EERKSF_lbbbEUlllE_EE10hipError_tT0_T1_T2_jT3_P12ihipStream_tbPNSt15iterator_traitsISL_E10value_typeEPNSR_ISM_E10value_typeEPSN_NS1_7vsmem_tEENKUlT_SL_SM_SN_E_clIS8_S8_S9_S9_EESK_S10_SL_SM_SN_EUlS10_E1_NS1_11comp_targetILNS1_3genE4ELNS1_11target_archE910ELNS1_3gpuE8ELNS1_3repE0EEENS1_36merge_oddeven_config_static_selectorELNS0_4arch9wavefront6targetE1EEEvSM_
    .private_segment_fixed_size: 0
    .sgpr_count:     6
    .sgpr_spill_count: 0
    .symbol:         _ZN7rocprim17ROCPRIM_400000_NS6detail17trampoline_kernelINS0_14default_configENS1_38merge_sort_block_merge_config_selectorIlNS0_10empty_typeEEEZZNS1_27merge_sort_block_merge_implIS3_PlPS5_mZN2at6native12_GLOBAL__N_124unique_dim_cuda_templateIfEESt5tupleIJNSA_6TensorESF_SF_EERKSF_lbbbEUlllE_EE10hipError_tT0_T1_T2_jT3_P12ihipStream_tbPNSt15iterator_traitsISL_E10value_typeEPNSR_ISM_E10value_typeEPSN_NS1_7vsmem_tEENKUlT_SL_SM_SN_E_clIS8_S8_S9_S9_EESK_S10_SL_SM_SN_EUlS10_E1_NS1_11comp_targetILNS1_3genE4ELNS1_11target_archE910ELNS1_3gpuE8ELNS1_3repE0EEENS1_36merge_oddeven_config_static_selectorELNS0_4arch9wavefront6targetE1EEEvSM_.kd
    .uniform_work_group_size: 1
    .uses_dynamic_stack: false
    .vgpr_count:     0
    .vgpr_spill_count: 0
    .wavefront_size: 64
  - .agpr_count:     0
    .args:
      - .offset:         0
        .size:           64
        .value_kind:     by_value
    .group_segment_fixed_size: 0
    .kernarg_segment_align: 8
    .kernarg_segment_size: 64
    .language:       OpenCL C
    .language_version:
      - 2
      - 0
    .max_flat_workgroup_size: 256
    .name:           _ZN7rocprim17ROCPRIM_400000_NS6detail17trampoline_kernelINS0_14default_configENS1_38merge_sort_block_merge_config_selectorIlNS0_10empty_typeEEEZZNS1_27merge_sort_block_merge_implIS3_PlPS5_mZN2at6native12_GLOBAL__N_124unique_dim_cuda_templateIfEESt5tupleIJNSA_6TensorESF_SF_EERKSF_lbbbEUlllE_EE10hipError_tT0_T1_T2_jT3_P12ihipStream_tbPNSt15iterator_traitsISL_E10value_typeEPNSR_ISM_E10value_typeEPSN_NS1_7vsmem_tEENKUlT_SL_SM_SN_E_clIS8_S8_S9_S9_EESK_S10_SL_SM_SN_EUlS10_E1_NS1_11comp_targetILNS1_3genE3ELNS1_11target_archE908ELNS1_3gpuE7ELNS1_3repE0EEENS1_36merge_oddeven_config_static_selectorELNS0_4arch9wavefront6targetE1EEEvSM_
    .private_segment_fixed_size: 0
    .sgpr_count:     6
    .sgpr_spill_count: 0
    .symbol:         _ZN7rocprim17ROCPRIM_400000_NS6detail17trampoline_kernelINS0_14default_configENS1_38merge_sort_block_merge_config_selectorIlNS0_10empty_typeEEEZZNS1_27merge_sort_block_merge_implIS3_PlPS5_mZN2at6native12_GLOBAL__N_124unique_dim_cuda_templateIfEESt5tupleIJNSA_6TensorESF_SF_EERKSF_lbbbEUlllE_EE10hipError_tT0_T1_T2_jT3_P12ihipStream_tbPNSt15iterator_traitsISL_E10value_typeEPNSR_ISM_E10value_typeEPSN_NS1_7vsmem_tEENKUlT_SL_SM_SN_E_clIS8_S8_S9_S9_EESK_S10_SL_SM_SN_EUlS10_E1_NS1_11comp_targetILNS1_3genE3ELNS1_11target_archE908ELNS1_3gpuE7ELNS1_3repE0EEENS1_36merge_oddeven_config_static_selectorELNS0_4arch9wavefront6targetE1EEEvSM_.kd
    .uniform_work_group_size: 1
    .uses_dynamic_stack: false
    .vgpr_count:     0
    .vgpr_spill_count: 0
    .wavefront_size: 64
  - .agpr_count:     0
    .args:
      - .offset:         0
        .size:           64
        .value_kind:     by_value
    .group_segment_fixed_size: 0
    .kernarg_segment_align: 8
    .kernarg_segment_size: 64
    .language:       OpenCL C
    .language_version:
      - 2
      - 0
    .max_flat_workgroup_size: 256
    .name:           _ZN7rocprim17ROCPRIM_400000_NS6detail17trampoline_kernelINS0_14default_configENS1_38merge_sort_block_merge_config_selectorIlNS0_10empty_typeEEEZZNS1_27merge_sort_block_merge_implIS3_PlPS5_mZN2at6native12_GLOBAL__N_124unique_dim_cuda_templateIfEESt5tupleIJNSA_6TensorESF_SF_EERKSF_lbbbEUlllE_EE10hipError_tT0_T1_T2_jT3_P12ihipStream_tbPNSt15iterator_traitsISL_E10value_typeEPNSR_ISM_E10value_typeEPSN_NS1_7vsmem_tEENKUlT_SL_SM_SN_E_clIS8_S8_S9_S9_EESK_S10_SL_SM_SN_EUlS10_E1_NS1_11comp_targetILNS1_3genE2ELNS1_11target_archE906ELNS1_3gpuE6ELNS1_3repE0EEENS1_36merge_oddeven_config_static_selectorELNS0_4arch9wavefront6targetE1EEEvSM_
    .private_segment_fixed_size: 0
    .sgpr_count:     6
    .sgpr_spill_count: 0
    .symbol:         _ZN7rocprim17ROCPRIM_400000_NS6detail17trampoline_kernelINS0_14default_configENS1_38merge_sort_block_merge_config_selectorIlNS0_10empty_typeEEEZZNS1_27merge_sort_block_merge_implIS3_PlPS5_mZN2at6native12_GLOBAL__N_124unique_dim_cuda_templateIfEESt5tupleIJNSA_6TensorESF_SF_EERKSF_lbbbEUlllE_EE10hipError_tT0_T1_T2_jT3_P12ihipStream_tbPNSt15iterator_traitsISL_E10value_typeEPNSR_ISM_E10value_typeEPSN_NS1_7vsmem_tEENKUlT_SL_SM_SN_E_clIS8_S8_S9_S9_EESK_S10_SL_SM_SN_EUlS10_E1_NS1_11comp_targetILNS1_3genE2ELNS1_11target_archE906ELNS1_3gpuE6ELNS1_3repE0EEENS1_36merge_oddeven_config_static_selectorELNS0_4arch9wavefront6targetE1EEEvSM_.kd
    .uniform_work_group_size: 1
    .uses_dynamic_stack: false
    .vgpr_count:     0
    .vgpr_spill_count: 0
    .wavefront_size: 64
  - .agpr_count:     0
    .args:
      - .offset:         0
        .size:           64
        .value_kind:     by_value
    .group_segment_fixed_size: 0
    .kernarg_segment_align: 8
    .kernarg_segment_size: 64
    .language:       OpenCL C
    .language_version:
      - 2
      - 0
    .max_flat_workgroup_size: 256
    .name:           _ZN7rocprim17ROCPRIM_400000_NS6detail17trampoline_kernelINS0_14default_configENS1_38merge_sort_block_merge_config_selectorIlNS0_10empty_typeEEEZZNS1_27merge_sort_block_merge_implIS3_PlPS5_mZN2at6native12_GLOBAL__N_124unique_dim_cuda_templateIfEESt5tupleIJNSA_6TensorESF_SF_EERKSF_lbbbEUlllE_EE10hipError_tT0_T1_T2_jT3_P12ihipStream_tbPNSt15iterator_traitsISL_E10value_typeEPNSR_ISM_E10value_typeEPSN_NS1_7vsmem_tEENKUlT_SL_SM_SN_E_clIS8_S8_S9_S9_EESK_S10_SL_SM_SN_EUlS10_E1_NS1_11comp_targetILNS1_3genE9ELNS1_11target_archE1100ELNS1_3gpuE3ELNS1_3repE0EEENS1_36merge_oddeven_config_static_selectorELNS0_4arch9wavefront6targetE1EEEvSM_
    .private_segment_fixed_size: 0
    .sgpr_count:     6
    .sgpr_spill_count: 0
    .symbol:         _ZN7rocprim17ROCPRIM_400000_NS6detail17trampoline_kernelINS0_14default_configENS1_38merge_sort_block_merge_config_selectorIlNS0_10empty_typeEEEZZNS1_27merge_sort_block_merge_implIS3_PlPS5_mZN2at6native12_GLOBAL__N_124unique_dim_cuda_templateIfEESt5tupleIJNSA_6TensorESF_SF_EERKSF_lbbbEUlllE_EE10hipError_tT0_T1_T2_jT3_P12ihipStream_tbPNSt15iterator_traitsISL_E10value_typeEPNSR_ISM_E10value_typeEPSN_NS1_7vsmem_tEENKUlT_SL_SM_SN_E_clIS8_S8_S9_S9_EESK_S10_SL_SM_SN_EUlS10_E1_NS1_11comp_targetILNS1_3genE9ELNS1_11target_archE1100ELNS1_3gpuE3ELNS1_3repE0EEENS1_36merge_oddeven_config_static_selectorELNS0_4arch9wavefront6targetE1EEEvSM_.kd
    .uniform_work_group_size: 1
    .uses_dynamic_stack: false
    .vgpr_count:     0
    .vgpr_spill_count: 0
    .wavefront_size: 64
  - .agpr_count:     0
    .args:
      - .offset:         0
        .size:           64
        .value_kind:     by_value
    .group_segment_fixed_size: 0
    .kernarg_segment_align: 8
    .kernarg_segment_size: 64
    .language:       OpenCL C
    .language_version:
      - 2
      - 0
    .max_flat_workgroup_size: 256
    .name:           _ZN7rocprim17ROCPRIM_400000_NS6detail17trampoline_kernelINS0_14default_configENS1_38merge_sort_block_merge_config_selectorIlNS0_10empty_typeEEEZZNS1_27merge_sort_block_merge_implIS3_PlPS5_mZN2at6native12_GLOBAL__N_124unique_dim_cuda_templateIfEESt5tupleIJNSA_6TensorESF_SF_EERKSF_lbbbEUlllE_EE10hipError_tT0_T1_T2_jT3_P12ihipStream_tbPNSt15iterator_traitsISL_E10value_typeEPNSR_ISM_E10value_typeEPSN_NS1_7vsmem_tEENKUlT_SL_SM_SN_E_clIS8_S8_S9_S9_EESK_S10_SL_SM_SN_EUlS10_E1_NS1_11comp_targetILNS1_3genE8ELNS1_11target_archE1030ELNS1_3gpuE2ELNS1_3repE0EEENS1_36merge_oddeven_config_static_selectorELNS0_4arch9wavefront6targetE1EEEvSM_
    .private_segment_fixed_size: 0
    .sgpr_count:     6
    .sgpr_spill_count: 0
    .symbol:         _ZN7rocprim17ROCPRIM_400000_NS6detail17trampoline_kernelINS0_14default_configENS1_38merge_sort_block_merge_config_selectorIlNS0_10empty_typeEEEZZNS1_27merge_sort_block_merge_implIS3_PlPS5_mZN2at6native12_GLOBAL__N_124unique_dim_cuda_templateIfEESt5tupleIJNSA_6TensorESF_SF_EERKSF_lbbbEUlllE_EE10hipError_tT0_T1_T2_jT3_P12ihipStream_tbPNSt15iterator_traitsISL_E10value_typeEPNSR_ISM_E10value_typeEPSN_NS1_7vsmem_tEENKUlT_SL_SM_SN_E_clIS8_S8_S9_S9_EESK_S10_SL_SM_SN_EUlS10_E1_NS1_11comp_targetILNS1_3genE8ELNS1_11target_archE1030ELNS1_3gpuE2ELNS1_3repE0EEENS1_36merge_oddeven_config_static_selectorELNS0_4arch9wavefront6targetE1EEEvSM_.kd
    .uniform_work_group_size: 1
    .uses_dynamic_stack: false
    .vgpr_count:     0
    .vgpr_spill_count: 0
    .wavefront_size: 64
  - .agpr_count:     0
    .args:
      - .offset:         0
        .size:           64
        .value_kind:     by_value
    .group_segment_fixed_size: 2048
    .kernarg_segment_align: 8
    .kernarg_segment_size: 64
    .language:       OpenCL C
    .language_version:
      - 2
      - 0
    .max_flat_workgroup_size: 128
    .name:           _ZN7rocprim17ROCPRIM_400000_NS6detail17trampoline_kernelINS0_14default_configENS1_35adjacent_difference_config_selectorILb0ElEEZNS1_24adjacent_difference_implIS3_Lb0ELb0EPlS7_ZN2at6native12_GLOBAL__N_124unique_dim_cuda_templateIfEESt5tupleIJNS8_6TensorESD_SD_EERKSD_lbbbEUlllE1_EE10hipError_tPvRmT2_T3_mT4_P12ihipStream_tbEUlT_E_NS1_11comp_targetILNS1_3genE0ELNS1_11target_archE4294967295ELNS1_3gpuE0ELNS1_3repE0EEENS1_30default_config_static_selectorELNS0_4arch9wavefront6targetE1EEEvT1_
    .private_segment_fixed_size: 0
    .sgpr_count:     38
    .sgpr_spill_count: 0
    .symbol:         _ZN7rocprim17ROCPRIM_400000_NS6detail17trampoline_kernelINS0_14default_configENS1_35adjacent_difference_config_selectorILb0ElEEZNS1_24adjacent_difference_implIS3_Lb0ELb0EPlS7_ZN2at6native12_GLOBAL__N_124unique_dim_cuda_templateIfEESt5tupleIJNS8_6TensorESD_SD_EERKSD_lbbbEUlllE1_EE10hipError_tPvRmT2_T3_mT4_P12ihipStream_tbEUlT_E_NS1_11comp_targetILNS1_3genE0ELNS1_11target_archE4294967295ELNS1_3gpuE0ELNS1_3repE0EEENS1_30default_config_static_selectorELNS0_4arch9wavefront6targetE1EEEvT1_.kd
    .uniform_work_group_size: 1
    .uses_dynamic_stack: false
    .vgpr_count:     11
    .vgpr_spill_count: 0
    .wavefront_size: 64
  - .agpr_count:     0
    .args:
      - .offset:         0
        .size:           64
        .value_kind:     by_value
    .group_segment_fixed_size: 0
    .kernarg_segment_align: 8
    .kernarg_segment_size: 64
    .language:       OpenCL C
    .language_version:
      - 2
      - 0
    .max_flat_workgroup_size: 128
    .name:           _ZN7rocprim17ROCPRIM_400000_NS6detail17trampoline_kernelINS0_14default_configENS1_35adjacent_difference_config_selectorILb0ElEEZNS1_24adjacent_difference_implIS3_Lb0ELb0EPlS7_ZN2at6native12_GLOBAL__N_124unique_dim_cuda_templateIfEESt5tupleIJNS8_6TensorESD_SD_EERKSD_lbbbEUlllE1_EE10hipError_tPvRmT2_T3_mT4_P12ihipStream_tbEUlT_E_NS1_11comp_targetILNS1_3genE10ELNS1_11target_archE1201ELNS1_3gpuE5ELNS1_3repE0EEENS1_30default_config_static_selectorELNS0_4arch9wavefront6targetE1EEEvT1_
    .private_segment_fixed_size: 0
    .sgpr_count:     6
    .sgpr_spill_count: 0
    .symbol:         _ZN7rocprim17ROCPRIM_400000_NS6detail17trampoline_kernelINS0_14default_configENS1_35adjacent_difference_config_selectorILb0ElEEZNS1_24adjacent_difference_implIS3_Lb0ELb0EPlS7_ZN2at6native12_GLOBAL__N_124unique_dim_cuda_templateIfEESt5tupleIJNS8_6TensorESD_SD_EERKSD_lbbbEUlllE1_EE10hipError_tPvRmT2_T3_mT4_P12ihipStream_tbEUlT_E_NS1_11comp_targetILNS1_3genE10ELNS1_11target_archE1201ELNS1_3gpuE5ELNS1_3repE0EEENS1_30default_config_static_selectorELNS0_4arch9wavefront6targetE1EEEvT1_.kd
    .uniform_work_group_size: 1
    .uses_dynamic_stack: false
    .vgpr_count:     0
    .vgpr_spill_count: 0
    .wavefront_size: 64
  - .agpr_count:     0
    .args:
      - .offset:         0
        .size:           64
        .value_kind:     by_value
    .group_segment_fixed_size: 0
    .kernarg_segment_align: 8
    .kernarg_segment_size: 64
    .language:       OpenCL C
    .language_version:
      - 2
      - 0
    .max_flat_workgroup_size: 64
    .name:           _ZN7rocprim17ROCPRIM_400000_NS6detail17trampoline_kernelINS0_14default_configENS1_35adjacent_difference_config_selectorILb0ElEEZNS1_24adjacent_difference_implIS3_Lb0ELb0EPlS7_ZN2at6native12_GLOBAL__N_124unique_dim_cuda_templateIfEESt5tupleIJNS8_6TensorESD_SD_EERKSD_lbbbEUlllE1_EE10hipError_tPvRmT2_T3_mT4_P12ihipStream_tbEUlT_E_NS1_11comp_targetILNS1_3genE5ELNS1_11target_archE942ELNS1_3gpuE9ELNS1_3repE0EEENS1_30default_config_static_selectorELNS0_4arch9wavefront6targetE1EEEvT1_
    .private_segment_fixed_size: 0
    .sgpr_count:     6
    .sgpr_spill_count: 0
    .symbol:         _ZN7rocprim17ROCPRIM_400000_NS6detail17trampoline_kernelINS0_14default_configENS1_35adjacent_difference_config_selectorILb0ElEEZNS1_24adjacent_difference_implIS3_Lb0ELb0EPlS7_ZN2at6native12_GLOBAL__N_124unique_dim_cuda_templateIfEESt5tupleIJNS8_6TensorESD_SD_EERKSD_lbbbEUlllE1_EE10hipError_tPvRmT2_T3_mT4_P12ihipStream_tbEUlT_E_NS1_11comp_targetILNS1_3genE5ELNS1_11target_archE942ELNS1_3gpuE9ELNS1_3repE0EEENS1_30default_config_static_selectorELNS0_4arch9wavefront6targetE1EEEvT1_.kd
    .uniform_work_group_size: 1
    .uses_dynamic_stack: false
    .vgpr_count:     0
    .vgpr_spill_count: 0
    .wavefront_size: 64
  - .agpr_count:     0
    .args:
      - .offset:         0
        .size:           64
        .value_kind:     by_value
    .group_segment_fixed_size: 0
    .kernarg_segment_align: 8
    .kernarg_segment_size: 64
    .language:       OpenCL C
    .language_version:
      - 2
      - 0
    .max_flat_workgroup_size: 256
    .name:           _ZN7rocprim17ROCPRIM_400000_NS6detail17trampoline_kernelINS0_14default_configENS1_35adjacent_difference_config_selectorILb0ElEEZNS1_24adjacent_difference_implIS3_Lb0ELb0EPlS7_ZN2at6native12_GLOBAL__N_124unique_dim_cuda_templateIfEESt5tupleIJNS8_6TensorESD_SD_EERKSD_lbbbEUlllE1_EE10hipError_tPvRmT2_T3_mT4_P12ihipStream_tbEUlT_E_NS1_11comp_targetILNS1_3genE4ELNS1_11target_archE910ELNS1_3gpuE8ELNS1_3repE0EEENS1_30default_config_static_selectorELNS0_4arch9wavefront6targetE1EEEvT1_
    .private_segment_fixed_size: 0
    .sgpr_count:     6
    .sgpr_spill_count: 0
    .symbol:         _ZN7rocprim17ROCPRIM_400000_NS6detail17trampoline_kernelINS0_14default_configENS1_35adjacent_difference_config_selectorILb0ElEEZNS1_24adjacent_difference_implIS3_Lb0ELb0EPlS7_ZN2at6native12_GLOBAL__N_124unique_dim_cuda_templateIfEESt5tupleIJNS8_6TensorESD_SD_EERKSD_lbbbEUlllE1_EE10hipError_tPvRmT2_T3_mT4_P12ihipStream_tbEUlT_E_NS1_11comp_targetILNS1_3genE4ELNS1_11target_archE910ELNS1_3gpuE8ELNS1_3repE0EEENS1_30default_config_static_selectorELNS0_4arch9wavefront6targetE1EEEvT1_.kd
    .uniform_work_group_size: 1
    .uses_dynamic_stack: false
    .vgpr_count:     0
    .vgpr_spill_count: 0
    .wavefront_size: 64
  - .agpr_count:     0
    .args:
      - .offset:         0
        .size:           64
        .value_kind:     by_value
    .group_segment_fixed_size: 0
    .kernarg_segment_align: 8
    .kernarg_segment_size: 64
    .language:       OpenCL C
    .language_version:
      - 2
      - 0
    .max_flat_workgroup_size: 128
    .name:           _ZN7rocprim17ROCPRIM_400000_NS6detail17trampoline_kernelINS0_14default_configENS1_35adjacent_difference_config_selectorILb0ElEEZNS1_24adjacent_difference_implIS3_Lb0ELb0EPlS7_ZN2at6native12_GLOBAL__N_124unique_dim_cuda_templateIfEESt5tupleIJNS8_6TensorESD_SD_EERKSD_lbbbEUlllE1_EE10hipError_tPvRmT2_T3_mT4_P12ihipStream_tbEUlT_E_NS1_11comp_targetILNS1_3genE3ELNS1_11target_archE908ELNS1_3gpuE7ELNS1_3repE0EEENS1_30default_config_static_selectorELNS0_4arch9wavefront6targetE1EEEvT1_
    .private_segment_fixed_size: 0
    .sgpr_count:     6
    .sgpr_spill_count: 0
    .symbol:         _ZN7rocprim17ROCPRIM_400000_NS6detail17trampoline_kernelINS0_14default_configENS1_35adjacent_difference_config_selectorILb0ElEEZNS1_24adjacent_difference_implIS3_Lb0ELb0EPlS7_ZN2at6native12_GLOBAL__N_124unique_dim_cuda_templateIfEESt5tupleIJNS8_6TensorESD_SD_EERKSD_lbbbEUlllE1_EE10hipError_tPvRmT2_T3_mT4_P12ihipStream_tbEUlT_E_NS1_11comp_targetILNS1_3genE3ELNS1_11target_archE908ELNS1_3gpuE7ELNS1_3repE0EEENS1_30default_config_static_selectorELNS0_4arch9wavefront6targetE1EEEvT1_.kd
    .uniform_work_group_size: 1
    .uses_dynamic_stack: false
    .vgpr_count:     0
    .vgpr_spill_count: 0
    .wavefront_size: 64
  - .agpr_count:     0
    .args:
      - .offset:         0
        .size:           64
        .value_kind:     by_value
    .group_segment_fixed_size: 0
    .kernarg_segment_align: 8
    .kernarg_segment_size: 64
    .language:       OpenCL C
    .language_version:
      - 2
      - 0
    .max_flat_workgroup_size: 128
    .name:           _ZN7rocprim17ROCPRIM_400000_NS6detail17trampoline_kernelINS0_14default_configENS1_35adjacent_difference_config_selectorILb0ElEEZNS1_24adjacent_difference_implIS3_Lb0ELb0EPlS7_ZN2at6native12_GLOBAL__N_124unique_dim_cuda_templateIfEESt5tupleIJNS8_6TensorESD_SD_EERKSD_lbbbEUlllE1_EE10hipError_tPvRmT2_T3_mT4_P12ihipStream_tbEUlT_E_NS1_11comp_targetILNS1_3genE2ELNS1_11target_archE906ELNS1_3gpuE6ELNS1_3repE0EEENS1_30default_config_static_selectorELNS0_4arch9wavefront6targetE1EEEvT1_
    .private_segment_fixed_size: 0
    .sgpr_count:     6
    .sgpr_spill_count: 0
    .symbol:         _ZN7rocprim17ROCPRIM_400000_NS6detail17trampoline_kernelINS0_14default_configENS1_35adjacent_difference_config_selectorILb0ElEEZNS1_24adjacent_difference_implIS3_Lb0ELb0EPlS7_ZN2at6native12_GLOBAL__N_124unique_dim_cuda_templateIfEESt5tupleIJNS8_6TensorESD_SD_EERKSD_lbbbEUlllE1_EE10hipError_tPvRmT2_T3_mT4_P12ihipStream_tbEUlT_E_NS1_11comp_targetILNS1_3genE2ELNS1_11target_archE906ELNS1_3gpuE6ELNS1_3repE0EEENS1_30default_config_static_selectorELNS0_4arch9wavefront6targetE1EEEvT1_.kd
    .uniform_work_group_size: 1
    .uses_dynamic_stack: false
    .vgpr_count:     0
    .vgpr_spill_count: 0
    .wavefront_size: 64
  - .agpr_count:     0
    .args:
      - .offset:         0
        .size:           64
        .value_kind:     by_value
    .group_segment_fixed_size: 0
    .kernarg_segment_align: 8
    .kernarg_segment_size: 64
    .language:       OpenCL C
    .language_version:
      - 2
      - 0
    .max_flat_workgroup_size: 512
    .name:           _ZN7rocprim17ROCPRIM_400000_NS6detail17trampoline_kernelINS0_14default_configENS1_35adjacent_difference_config_selectorILb0ElEEZNS1_24adjacent_difference_implIS3_Lb0ELb0EPlS7_ZN2at6native12_GLOBAL__N_124unique_dim_cuda_templateIfEESt5tupleIJNS8_6TensorESD_SD_EERKSD_lbbbEUlllE1_EE10hipError_tPvRmT2_T3_mT4_P12ihipStream_tbEUlT_E_NS1_11comp_targetILNS1_3genE9ELNS1_11target_archE1100ELNS1_3gpuE3ELNS1_3repE0EEENS1_30default_config_static_selectorELNS0_4arch9wavefront6targetE1EEEvT1_
    .private_segment_fixed_size: 0
    .sgpr_count:     6
    .sgpr_spill_count: 0
    .symbol:         _ZN7rocprim17ROCPRIM_400000_NS6detail17trampoline_kernelINS0_14default_configENS1_35adjacent_difference_config_selectorILb0ElEEZNS1_24adjacent_difference_implIS3_Lb0ELb0EPlS7_ZN2at6native12_GLOBAL__N_124unique_dim_cuda_templateIfEESt5tupleIJNS8_6TensorESD_SD_EERKSD_lbbbEUlllE1_EE10hipError_tPvRmT2_T3_mT4_P12ihipStream_tbEUlT_E_NS1_11comp_targetILNS1_3genE9ELNS1_11target_archE1100ELNS1_3gpuE3ELNS1_3repE0EEENS1_30default_config_static_selectorELNS0_4arch9wavefront6targetE1EEEvT1_.kd
    .uniform_work_group_size: 1
    .uses_dynamic_stack: false
    .vgpr_count:     0
    .vgpr_spill_count: 0
    .wavefront_size: 64
  - .agpr_count:     0
    .args:
      - .offset:         0
        .size:           64
        .value_kind:     by_value
    .group_segment_fixed_size: 0
    .kernarg_segment_align: 8
    .kernarg_segment_size: 64
    .language:       OpenCL C
    .language_version:
      - 2
      - 0
    .max_flat_workgroup_size: 1024
    .name:           _ZN7rocprim17ROCPRIM_400000_NS6detail17trampoline_kernelINS0_14default_configENS1_35adjacent_difference_config_selectorILb0ElEEZNS1_24adjacent_difference_implIS3_Lb0ELb0EPlS7_ZN2at6native12_GLOBAL__N_124unique_dim_cuda_templateIfEESt5tupleIJNS8_6TensorESD_SD_EERKSD_lbbbEUlllE1_EE10hipError_tPvRmT2_T3_mT4_P12ihipStream_tbEUlT_E_NS1_11comp_targetILNS1_3genE8ELNS1_11target_archE1030ELNS1_3gpuE2ELNS1_3repE0EEENS1_30default_config_static_selectorELNS0_4arch9wavefront6targetE1EEEvT1_
    .private_segment_fixed_size: 0
    .sgpr_count:     6
    .sgpr_spill_count: 0
    .symbol:         _ZN7rocprim17ROCPRIM_400000_NS6detail17trampoline_kernelINS0_14default_configENS1_35adjacent_difference_config_selectorILb0ElEEZNS1_24adjacent_difference_implIS3_Lb0ELb0EPlS7_ZN2at6native12_GLOBAL__N_124unique_dim_cuda_templateIfEESt5tupleIJNS8_6TensorESD_SD_EERKSD_lbbbEUlllE1_EE10hipError_tPvRmT2_T3_mT4_P12ihipStream_tbEUlT_E_NS1_11comp_targetILNS1_3genE8ELNS1_11target_archE1030ELNS1_3gpuE2ELNS1_3repE0EEENS1_30default_config_static_selectorELNS0_4arch9wavefront6targetE1EEEvT1_.kd
    .uniform_work_group_size: 1
    .uses_dynamic_stack: false
    .vgpr_count:     0
    .vgpr_spill_count: 0
    .wavefront_size: 64
  - .agpr_count:     0
    .args:
      - .offset:         0
        .size:           56
        .value_kind:     by_value
      - .offset:         56
        .size:           4
        .value_kind:     hidden_block_count_x
      - .offset:         60
        .size:           4
        .value_kind:     hidden_block_count_y
      - .offset:         64
        .size:           4
        .value_kind:     hidden_block_count_z
      - .offset:         68
        .size:           2
        .value_kind:     hidden_group_size_x
      - .offset:         70
        .size:           2
        .value_kind:     hidden_group_size_y
      - .offset:         72
        .size:           2
        .value_kind:     hidden_group_size_z
      - .offset:         74
        .size:           2
        .value_kind:     hidden_remainder_x
      - .offset:         76
        .size:           2
        .value_kind:     hidden_remainder_y
      - .offset:         78
        .size:           2
        .value_kind:     hidden_remainder_z
      - .offset:         96
        .size:           8
        .value_kind:     hidden_global_offset_x
      - .offset:         104
        .size:           8
        .value_kind:     hidden_global_offset_y
      - .offset:         112
        .size:           8
        .value_kind:     hidden_global_offset_z
      - .offset:         120
        .size:           2
        .value_kind:     hidden_grid_dims
    .group_segment_fixed_size: 0
    .kernarg_segment_align: 8
    .kernarg_segment_size: 312
    .language:       OpenCL C
    .language_version:
      - 2
      - 0
    .max_flat_workgroup_size: 128
    .name:           _ZN7rocprim17ROCPRIM_400000_NS6detail17trampoline_kernelINS0_14default_configENS1_25transform_config_selectorIlLb0EEEZNS1_14transform_implILb0ES3_S5_NS0_18transform_iteratorINS0_17counting_iteratorImlEEZNS1_24adjacent_difference_implIS3_Lb1ELb0EPlSB_ZN2at6native12_GLOBAL__N_124unique_dim_cuda_templateIfEESt5tupleIJNSC_6TensorESH_SH_EERKSH_lbbbEUlllE1_EE10hipError_tPvRmT2_T3_mT4_P12ihipStream_tbEUlmE_lEESB_NS0_8identityIvEEEESM_SP_SQ_mSR_ST_bEUlT_E_NS1_11comp_targetILNS1_3genE0ELNS1_11target_archE4294967295ELNS1_3gpuE0ELNS1_3repE0EEENS1_30default_config_static_selectorELNS0_4arch9wavefront6targetE1EEEvT1_
    .private_segment_fixed_size: 0
    .sgpr_count:     18
    .sgpr_spill_count: 0
    .symbol:         _ZN7rocprim17ROCPRIM_400000_NS6detail17trampoline_kernelINS0_14default_configENS1_25transform_config_selectorIlLb0EEEZNS1_14transform_implILb0ES3_S5_NS0_18transform_iteratorINS0_17counting_iteratorImlEEZNS1_24adjacent_difference_implIS3_Lb1ELb0EPlSB_ZN2at6native12_GLOBAL__N_124unique_dim_cuda_templateIfEESt5tupleIJNSC_6TensorESH_SH_EERKSH_lbbbEUlllE1_EE10hipError_tPvRmT2_T3_mT4_P12ihipStream_tbEUlmE_lEESB_NS0_8identityIvEEEESM_SP_SQ_mSR_ST_bEUlT_E_NS1_11comp_targetILNS1_3genE0ELNS1_11target_archE4294967295ELNS1_3gpuE0ELNS1_3repE0EEENS1_30default_config_static_selectorELNS0_4arch9wavefront6targetE1EEEvT1_.kd
    .uniform_work_group_size: 1
    .uses_dynamic_stack: false
    .vgpr_count:     8
    .vgpr_spill_count: 0
    .wavefront_size: 64
  - .agpr_count:     0
    .args:
      - .offset:         0
        .size:           56
        .value_kind:     by_value
    .group_segment_fixed_size: 0
    .kernarg_segment_align: 8
    .kernarg_segment_size: 56
    .language:       OpenCL C
    .language_version:
      - 2
      - 0
    .max_flat_workgroup_size: 512
    .name:           _ZN7rocprim17ROCPRIM_400000_NS6detail17trampoline_kernelINS0_14default_configENS1_25transform_config_selectorIlLb0EEEZNS1_14transform_implILb0ES3_S5_NS0_18transform_iteratorINS0_17counting_iteratorImlEEZNS1_24adjacent_difference_implIS3_Lb1ELb0EPlSB_ZN2at6native12_GLOBAL__N_124unique_dim_cuda_templateIfEESt5tupleIJNSC_6TensorESH_SH_EERKSH_lbbbEUlllE1_EE10hipError_tPvRmT2_T3_mT4_P12ihipStream_tbEUlmE_lEESB_NS0_8identityIvEEEESM_SP_SQ_mSR_ST_bEUlT_E_NS1_11comp_targetILNS1_3genE5ELNS1_11target_archE942ELNS1_3gpuE9ELNS1_3repE0EEENS1_30default_config_static_selectorELNS0_4arch9wavefront6targetE1EEEvT1_
    .private_segment_fixed_size: 0
    .sgpr_count:     6
    .sgpr_spill_count: 0
    .symbol:         _ZN7rocprim17ROCPRIM_400000_NS6detail17trampoline_kernelINS0_14default_configENS1_25transform_config_selectorIlLb0EEEZNS1_14transform_implILb0ES3_S5_NS0_18transform_iteratorINS0_17counting_iteratorImlEEZNS1_24adjacent_difference_implIS3_Lb1ELb0EPlSB_ZN2at6native12_GLOBAL__N_124unique_dim_cuda_templateIfEESt5tupleIJNSC_6TensorESH_SH_EERKSH_lbbbEUlllE1_EE10hipError_tPvRmT2_T3_mT4_P12ihipStream_tbEUlmE_lEESB_NS0_8identityIvEEEESM_SP_SQ_mSR_ST_bEUlT_E_NS1_11comp_targetILNS1_3genE5ELNS1_11target_archE942ELNS1_3gpuE9ELNS1_3repE0EEENS1_30default_config_static_selectorELNS0_4arch9wavefront6targetE1EEEvT1_.kd
    .uniform_work_group_size: 1
    .uses_dynamic_stack: false
    .vgpr_count:     0
    .vgpr_spill_count: 0
    .wavefront_size: 64
  - .agpr_count:     0
    .args:
      - .offset:         0
        .size:           56
        .value_kind:     by_value
    .group_segment_fixed_size: 0
    .kernarg_segment_align: 8
    .kernarg_segment_size: 56
    .language:       OpenCL C
    .language_version:
      - 2
      - 0
    .max_flat_workgroup_size: 256
    .name:           _ZN7rocprim17ROCPRIM_400000_NS6detail17trampoline_kernelINS0_14default_configENS1_25transform_config_selectorIlLb0EEEZNS1_14transform_implILb0ES3_S5_NS0_18transform_iteratorINS0_17counting_iteratorImlEEZNS1_24adjacent_difference_implIS3_Lb1ELb0EPlSB_ZN2at6native12_GLOBAL__N_124unique_dim_cuda_templateIfEESt5tupleIJNSC_6TensorESH_SH_EERKSH_lbbbEUlllE1_EE10hipError_tPvRmT2_T3_mT4_P12ihipStream_tbEUlmE_lEESB_NS0_8identityIvEEEESM_SP_SQ_mSR_ST_bEUlT_E_NS1_11comp_targetILNS1_3genE4ELNS1_11target_archE910ELNS1_3gpuE8ELNS1_3repE0EEENS1_30default_config_static_selectorELNS0_4arch9wavefront6targetE1EEEvT1_
    .private_segment_fixed_size: 0
    .sgpr_count:     6
    .sgpr_spill_count: 0
    .symbol:         _ZN7rocprim17ROCPRIM_400000_NS6detail17trampoline_kernelINS0_14default_configENS1_25transform_config_selectorIlLb0EEEZNS1_14transform_implILb0ES3_S5_NS0_18transform_iteratorINS0_17counting_iteratorImlEEZNS1_24adjacent_difference_implIS3_Lb1ELb0EPlSB_ZN2at6native12_GLOBAL__N_124unique_dim_cuda_templateIfEESt5tupleIJNSC_6TensorESH_SH_EERKSH_lbbbEUlllE1_EE10hipError_tPvRmT2_T3_mT4_P12ihipStream_tbEUlmE_lEESB_NS0_8identityIvEEEESM_SP_SQ_mSR_ST_bEUlT_E_NS1_11comp_targetILNS1_3genE4ELNS1_11target_archE910ELNS1_3gpuE8ELNS1_3repE0EEENS1_30default_config_static_selectorELNS0_4arch9wavefront6targetE1EEEvT1_.kd
    .uniform_work_group_size: 1
    .uses_dynamic_stack: false
    .vgpr_count:     0
    .vgpr_spill_count: 0
    .wavefront_size: 64
  - .agpr_count:     0
    .args:
      - .offset:         0
        .size:           56
        .value_kind:     by_value
    .group_segment_fixed_size: 0
    .kernarg_segment_align: 8
    .kernarg_segment_size: 56
    .language:       OpenCL C
    .language_version:
      - 2
      - 0
    .max_flat_workgroup_size: 128
    .name:           _ZN7rocprim17ROCPRIM_400000_NS6detail17trampoline_kernelINS0_14default_configENS1_25transform_config_selectorIlLb0EEEZNS1_14transform_implILb0ES3_S5_NS0_18transform_iteratorINS0_17counting_iteratorImlEEZNS1_24adjacent_difference_implIS3_Lb1ELb0EPlSB_ZN2at6native12_GLOBAL__N_124unique_dim_cuda_templateIfEESt5tupleIJNSC_6TensorESH_SH_EERKSH_lbbbEUlllE1_EE10hipError_tPvRmT2_T3_mT4_P12ihipStream_tbEUlmE_lEESB_NS0_8identityIvEEEESM_SP_SQ_mSR_ST_bEUlT_E_NS1_11comp_targetILNS1_3genE3ELNS1_11target_archE908ELNS1_3gpuE7ELNS1_3repE0EEENS1_30default_config_static_selectorELNS0_4arch9wavefront6targetE1EEEvT1_
    .private_segment_fixed_size: 0
    .sgpr_count:     6
    .sgpr_spill_count: 0
    .symbol:         _ZN7rocprim17ROCPRIM_400000_NS6detail17trampoline_kernelINS0_14default_configENS1_25transform_config_selectorIlLb0EEEZNS1_14transform_implILb0ES3_S5_NS0_18transform_iteratorINS0_17counting_iteratorImlEEZNS1_24adjacent_difference_implIS3_Lb1ELb0EPlSB_ZN2at6native12_GLOBAL__N_124unique_dim_cuda_templateIfEESt5tupleIJNSC_6TensorESH_SH_EERKSH_lbbbEUlllE1_EE10hipError_tPvRmT2_T3_mT4_P12ihipStream_tbEUlmE_lEESB_NS0_8identityIvEEEESM_SP_SQ_mSR_ST_bEUlT_E_NS1_11comp_targetILNS1_3genE3ELNS1_11target_archE908ELNS1_3gpuE7ELNS1_3repE0EEENS1_30default_config_static_selectorELNS0_4arch9wavefront6targetE1EEEvT1_.kd
    .uniform_work_group_size: 1
    .uses_dynamic_stack: false
    .vgpr_count:     0
    .vgpr_spill_count: 0
    .wavefront_size: 64
  - .agpr_count:     0
    .args:
      - .offset:         0
        .size:           56
        .value_kind:     by_value
    .group_segment_fixed_size: 0
    .kernarg_segment_align: 8
    .kernarg_segment_size: 56
    .language:       OpenCL C
    .language_version:
      - 2
      - 0
    .max_flat_workgroup_size: 512
    .name:           _ZN7rocprim17ROCPRIM_400000_NS6detail17trampoline_kernelINS0_14default_configENS1_25transform_config_selectorIlLb0EEEZNS1_14transform_implILb0ES3_S5_NS0_18transform_iteratorINS0_17counting_iteratorImlEEZNS1_24adjacent_difference_implIS3_Lb1ELb0EPlSB_ZN2at6native12_GLOBAL__N_124unique_dim_cuda_templateIfEESt5tupleIJNSC_6TensorESH_SH_EERKSH_lbbbEUlllE1_EE10hipError_tPvRmT2_T3_mT4_P12ihipStream_tbEUlmE_lEESB_NS0_8identityIvEEEESM_SP_SQ_mSR_ST_bEUlT_E_NS1_11comp_targetILNS1_3genE2ELNS1_11target_archE906ELNS1_3gpuE6ELNS1_3repE0EEENS1_30default_config_static_selectorELNS0_4arch9wavefront6targetE1EEEvT1_
    .private_segment_fixed_size: 0
    .sgpr_count:     6
    .sgpr_spill_count: 0
    .symbol:         _ZN7rocprim17ROCPRIM_400000_NS6detail17trampoline_kernelINS0_14default_configENS1_25transform_config_selectorIlLb0EEEZNS1_14transform_implILb0ES3_S5_NS0_18transform_iteratorINS0_17counting_iteratorImlEEZNS1_24adjacent_difference_implIS3_Lb1ELb0EPlSB_ZN2at6native12_GLOBAL__N_124unique_dim_cuda_templateIfEESt5tupleIJNSC_6TensorESH_SH_EERKSH_lbbbEUlllE1_EE10hipError_tPvRmT2_T3_mT4_P12ihipStream_tbEUlmE_lEESB_NS0_8identityIvEEEESM_SP_SQ_mSR_ST_bEUlT_E_NS1_11comp_targetILNS1_3genE2ELNS1_11target_archE906ELNS1_3gpuE6ELNS1_3repE0EEENS1_30default_config_static_selectorELNS0_4arch9wavefront6targetE1EEEvT1_.kd
    .uniform_work_group_size: 1
    .uses_dynamic_stack: false
    .vgpr_count:     0
    .vgpr_spill_count: 0
    .wavefront_size: 64
  - .agpr_count:     0
    .args:
      - .offset:         0
        .size:           56
        .value_kind:     by_value
    .group_segment_fixed_size: 0
    .kernarg_segment_align: 8
    .kernarg_segment_size: 56
    .language:       OpenCL C
    .language_version:
      - 2
      - 0
    .max_flat_workgroup_size: 1024
    .name:           _ZN7rocprim17ROCPRIM_400000_NS6detail17trampoline_kernelINS0_14default_configENS1_25transform_config_selectorIlLb0EEEZNS1_14transform_implILb0ES3_S5_NS0_18transform_iteratorINS0_17counting_iteratorImlEEZNS1_24adjacent_difference_implIS3_Lb1ELb0EPlSB_ZN2at6native12_GLOBAL__N_124unique_dim_cuda_templateIfEESt5tupleIJNSC_6TensorESH_SH_EERKSH_lbbbEUlllE1_EE10hipError_tPvRmT2_T3_mT4_P12ihipStream_tbEUlmE_lEESB_NS0_8identityIvEEEESM_SP_SQ_mSR_ST_bEUlT_E_NS1_11comp_targetILNS1_3genE10ELNS1_11target_archE1201ELNS1_3gpuE5ELNS1_3repE0EEENS1_30default_config_static_selectorELNS0_4arch9wavefront6targetE1EEEvT1_
    .private_segment_fixed_size: 0
    .sgpr_count:     6
    .sgpr_spill_count: 0
    .symbol:         _ZN7rocprim17ROCPRIM_400000_NS6detail17trampoline_kernelINS0_14default_configENS1_25transform_config_selectorIlLb0EEEZNS1_14transform_implILb0ES3_S5_NS0_18transform_iteratorINS0_17counting_iteratorImlEEZNS1_24adjacent_difference_implIS3_Lb1ELb0EPlSB_ZN2at6native12_GLOBAL__N_124unique_dim_cuda_templateIfEESt5tupleIJNSC_6TensorESH_SH_EERKSH_lbbbEUlllE1_EE10hipError_tPvRmT2_T3_mT4_P12ihipStream_tbEUlmE_lEESB_NS0_8identityIvEEEESM_SP_SQ_mSR_ST_bEUlT_E_NS1_11comp_targetILNS1_3genE10ELNS1_11target_archE1201ELNS1_3gpuE5ELNS1_3repE0EEENS1_30default_config_static_selectorELNS0_4arch9wavefront6targetE1EEEvT1_.kd
    .uniform_work_group_size: 1
    .uses_dynamic_stack: false
    .vgpr_count:     0
    .vgpr_spill_count: 0
    .wavefront_size: 64
  - .agpr_count:     0
    .args:
      - .offset:         0
        .size:           56
        .value_kind:     by_value
    .group_segment_fixed_size: 0
    .kernarg_segment_align: 8
    .kernarg_segment_size: 56
    .language:       OpenCL C
    .language_version:
      - 2
      - 0
    .max_flat_workgroup_size: 512
    .name:           _ZN7rocprim17ROCPRIM_400000_NS6detail17trampoline_kernelINS0_14default_configENS1_25transform_config_selectorIlLb0EEEZNS1_14transform_implILb0ES3_S5_NS0_18transform_iteratorINS0_17counting_iteratorImlEEZNS1_24adjacent_difference_implIS3_Lb1ELb0EPlSB_ZN2at6native12_GLOBAL__N_124unique_dim_cuda_templateIfEESt5tupleIJNSC_6TensorESH_SH_EERKSH_lbbbEUlllE1_EE10hipError_tPvRmT2_T3_mT4_P12ihipStream_tbEUlmE_lEESB_NS0_8identityIvEEEESM_SP_SQ_mSR_ST_bEUlT_E_NS1_11comp_targetILNS1_3genE10ELNS1_11target_archE1200ELNS1_3gpuE4ELNS1_3repE0EEENS1_30default_config_static_selectorELNS0_4arch9wavefront6targetE1EEEvT1_
    .private_segment_fixed_size: 0
    .sgpr_count:     6
    .sgpr_spill_count: 0
    .symbol:         _ZN7rocprim17ROCPRIM_400000_NS6detail17trampoline_kernelINS0_14default_configENS1_25transform_config_selectorIlLb0EEEZNS1_14transform_implILb0ES3_S5_NS0_18transform_iteratorINS0_17counting_iteratorImlEEZNS1_24adjacent_difference_implIS3_Lb1ELb0EPlSB_ZN2at6native12_GLOBAL__N_124unique_dim_cuda_templateIfEESt5tupleIJNSC_6TensorESH_SH_EERKSH_lbbbEUlllE1_EE10hipError_tPvRmT2_T3_mT4_P12ihipStream_tbEUlmE_lEESB_NS0_8identityIvEEEESM_SP_SQ_mSR_ST_bEUlT_E_NS1_11comp_targetILNS1_3genE10ELNS1_11target_archE1200ELNS1_3gpuE4ELNS1_3repE0EEENS1_30default_config_static_selectorELNS0_4arch9wavefront6targetE1EEEvT1_.kd
    .uniform_work_group_size: 1
    .uses_dynamic_stack: false
    .vgpr_count:     0
    .vgpr_spill_count: 0
    .wavefront_size: 64
  - .agpr_count:     0
    .args:
      - .offset:         0
        .size:           56
        .value_kind:     by_value
    .group_segment_fixed_size: 0
    .kernarg_segment_align: 8
    .kernarg_segment_size: 56
    .language:       OpenCL C
    .language_version:
      - 2
      - 0
    .max_flat_workgroup_size: 512
    .name:           _ZN7rocprim17ROCPRIM_400000_NS6detail17trampoline_kernelINS0_14default_configENS1_25transform_config_selectorIlLb0EEEZNS1_14transform_implILb0ES3_S5_NS0_18transform_iteratorINS0_17counting_iteratorImlEEZNS1_24adjacent_difference_implIS3_Lb1ELb0EPlSB_ZN2at6native12_GLOBAL__N_124unique_dim_cuda_templateIfEESt5tupleIJNSC_6TensorESH_SH_EERKSH_lbbbEUlllE1_EE10hipError_tPvRmT2_T3_mT4_P12ihipStream_tbEUlmE_lEESB_NS0_8identityIvEEEESM_SP_SQ_mSR_ST_bEUlT_E_NS1_11comp_targetILNS1_3genE9ELNS1_11target_archE1100ELNS1_3gpuE3ELNS1_3repE0EEENS1_30default_config_static_selectorELNS0_4arch9wavefront6targetE1EEEvT1_
    .private_segment_fixed_size: 0
    .sgpr_count:     6
    .sgpr_spill_count: 0
    .symbol:         _ZN7rocprim17ROCPRIM_400000_NS6detail17trampoline_kernelINS0_14default_configENS1_25transform_config_selectorIlLb0EEEZNS1_14transform_implILb0ES3_S5_NS0_18transform_iteratorINS0_17counting_iteratorImlEEZNS1_24adjacent_difference_implIS3_Lb1ELb0EPlSB_ZN2at6native12_GLOBAL__N_124unique_dim_cuda_templateIfEESt5tupleIJNSC_6TensorESH_SH_EERKSH_lbbbEUlllE1_EE10hipError_tPvRmT2_T3_mT4_P12ihipStream_tbEUlmE_lEESB_NS0_8identityIvEEEESM_SP_SQ_mSR_ST_bEUlT_E_NS1_11comp_targetILNS1_3genE9ELNS1_11target_archE1100ELNS1_3gpuE3ELNS1_3repE0EEENS1_30default_config_static_selectorELNS0_4arch9wavefront6targetE1EEEvT1_.kd
    .uniform_work_group_size: 1
    .uses_dynamic_stack: false
    .vgpr_count:     0
    .vgpr_spill_count: 0
    .wavefront_size: 64
  - .agpr_count:     0
    .args:
      - .offset:         0
        .size:           56
        .value_kind:     by_value
    .group_segment_fixed_size: 0
    .kernarg_segment_align: 8
    .kernarg_segment_size: 56
    .language:       OpenCL C
    .language_version:
      - 2
      - 0
    .max_flat_workgroup_size: 512
    .name:           _ZN7rocprim17ROCPRIM_400000_NS6detail17trampoline_kernelINS0_14default_configENS1_25transform_config_selectorIlLb0EEEZNS1_14transform_implILb0ES3_S5_NS0_18transform_iteratorINS0_17counting_iteratorImlEEZNS1_24adjacent_difference_implIS3_Lb1ELb0EPlSB_ZN2at6native12_GLOBAL__N_124unique_dim_cuda_templateIfEESt5tupleIJNSC_6TensorESH_SH_EERKSH_lbbbEUlllE1_EE10hipError_tPvRmT2_T3_mT4_P12ihipStream_tbEUlmE_lEESB_NS0_8identityIvEEEESM_SP_SQ_mSR_ST_bEUlT_E_NS1_11comp_targetILNS1_3genE8ELNS1_11target_archE1030ELNS1_3gpuE2ELNS1_3repE0EEENS1_30default_config_static_selectorELNS0_4arch9wavefront6targetE1EEEvT1_
    .private_segment_fixed_size: 0
    .sgpr_count:     6
    .sgpr_spill_count: 0
    .symbol:         _ZN7rocprim17ROCPRIM_400000_NS6detail17trampoline_kernelINS0_14default_configENS1_25transform_config_selectorIlLb0EEEZNS1_14transform_implILb0ES3_S5_NS0_18transform_iteratorINS0_17counting_iteratorImlEEZNS1_24adjacent_difference_implIS3_Lb1ELb0EPlSB_ZN2at6native12_GLOBAL__N_124unique_dim_cuda_templateIfEESt5tupleIJNSC_6TensorESH_SH_EERKSH_lbbbEUlllE1_EE10hipError_tPvRmT2_T3_mT4_P12ihipStream_tbEUlmE_lEESB_NS0_8identityIvEEEESM_SP_SQ_mSR_ST_bEUlT_E_NS1_11comp_targetILNS1_3genE8ELNS1_11target_archE1030ELNS1_3gpuE2ELNS1_3repE0EEENS1_30default_config_static_selectorELNS0_4arch9wavefront6targetE1EEEvT1_.kd
    .uniform_work_group_size: 1
    .uses_dynamic_stack: false
    .vgpr_count:     0
    .vgpr_spill_count: 0
    .wavefront_size: 64
  - .agpr_count:     0
    .args:
      - .offset:         0
        .size:           64
        .value_kind:     by_value
    .group_segment_fixed_size: 8448
    .kernarg_segment_align: 8
    .kernarg_segment_size: 64
    .language:       OpenCL C
    .language_version:
      - 2
      - 0
    .max_flat_workgroup_size: 512
    .name:           _ZN7rocprim17ROCPRIM_400000_NS6detail17trampoline_kernelINS0_14default_configENS1_35adjacent_difference_config_selectorILb1ElEEZNS1_24adjacent_difference_implIS3_Lb1ELb0EPlS7_ZN2at6native12_GLOBAL__N_124unique_dim_cuda_templateIfEESt5tupleIJNS8_6TensorESD_SD_EERKSD_lbbbEUlllE1_EE10hipError_tPvRmT2_T3_mT4_P12ihipStream_tbEUlT_E_NS1_11comp_targetILNS1_3genE0ELNS1_11target_archE4294967295ELNS1_3gpuE0ELNS1_3repE0EEENS1_30default_config_static_selectorELNS0_4arch9wavefront6targetE1EEEvT1_
    .private_segment_fixed_size: 0
    .sgpr_count:     42
    .sgpr_spill_count: 0
    .symbol:         _ZN7rocprim17ROCPRIM_400000_NS6detail17trampoline_kernelINS0_14default_configENS1_35adjacent_difference_config_selectorILb1ElEEZNS1_24adjacent_difference_implIS3_Lb1ELb0EPlS7_ZN2at6native12_GLOBAL__N_124unique_dim_cuda_templateIfEESt5tupleIJNS8_6TensorESD_SD_EERKSD_lbbbEUlllE1_EE10hipError_tPvRmT2_T3_mT4_P12ihipStream_tbEUlT_E_NS1_11comp_targetILNS1_3genE0ELNS1_11target_archE4294967295ELNS1_3gpuE0ELNS1_3repE0EEENS1_30default_config_static_selectorELNS0_4arch9wavefront6targetE1EEEvT1_.kd
    .uniform_work_group_size: 1
    .uses_dynamic_stack: false
    .vgpr_count:     16
    .vgpr_spill_count: 0
    .wavefront_size: 64
  - .agpr_count:     0
    .args:
      - .offset:         0
        .size:           64
        .value_kind:     by_value
    .group_segment_fixed_size: 0
    .kernarg_segment_align: 8
    .kernarg_segment_size: 64
    .language:       OpenCL C
    .language_version:
      - 2
      - 0
    .max_flat_workgroup_size: 32
    .name:           _ZN7rocprim17ROCPRIM_400000_NS6detail17trampoline_kernelINS0_14default_configENS1_35adjacent_difference_config_selectorILb1ElEEZNS1_24adjacent_difference_implIS3_Lb1ELb0EPlS7_ZN2at6native12_GLOBAL__N_124unique_dim_cuda_templateIfEESt5tupleIJNS8_6TensorESD_SD_EERKSD_lbbbEUlllE1_EE10hipError_tPvRmT2_T3_mT4_P12ihipStream_tbEUlT_E_NS1_11comp_targetILNS1_3genE10ELNS1_11target_archE1201ELNS1_3gpuE5ELNS1_3repE0EEENS1_30default_config_static_selectorELNS0_4arch9wavefront6targetE1EEEvT1_
    .private_segment_fixed_size: 0
    .sgpr_count:     6
    .sgpr_spill_count: 0
    .symbol:         _ZN7rocprim17ROCPRIM_400000_NS6detail17trampoline_kernelINS0_14default_configENS1_35adjacent_difference_config_selectorILb1ElEEZNS1_24adjacent_difference_implIS3_Lb1ELb0EPlS7_ZN2at6native12_GLOBAL__N_124unique_dim_cuda_templateIfEESt5tupleIJNS8_6TensorESD_SD_EERKSD_lbbbEUlllE1_EE10hipError_tPvRmT2_T3_mT4_P12ihipStream_tbEUlT_E_NS1_11comp_targetILNS1_3genE10ELNS1_11target_archE1201ELNS1_3gpuE5ELNS1_3repE0EEENS1_30default_config_static_selectorELNS0_4arch9wavefront6targetE1EEEvT1_.kd
    .uniform_work_group_size: 1
    .uses_dynamic_stack: false
    .vgpr_count:     0
    .vgpr_spill_count: 0
    .wavefront_size: 64
  - .agpr_count:     0
    .args:
      - .offset:         0
        .size:           64
        .value_kind:     by_value
    .group_segment_fixed_size: 0
    .kernarg_segment_align: 8
    .kernarg_segment_size: 64
    .language:       OpenCL C
    .language_version:
      - 2
      - 0
    .max_flat_workgroup_size: 256
    .name:           _ZN7rocprim17ROCPRIM_400000_NS6detail17trampoline_kernelINS0_14default_configENS1_35adjacent_difference_config_selectorILb1ElEEZNS1_24adjacent_difference_implIS3_Lb1ELb0EPlS7_ZN2at6native12_GLOBAL__N_124unique_dim_cuda_templateIfEESt5tupleIJNS8_6TensorESD_SD_EERKSD_lbbbEUlllE1_EE10hipError_tPvRmT2_T3_mT4_P12ihipStream_tbEUlT_E_NS1_11comp_targetILNS1_3genE5ELNS1_11target_archE942ELNS1_3gpuE9ELNS1_3repE0EEENS1_30default_config_static_selectorELNS0_4arch9wavefront6targetE1EEEvT1_
    .private_segment_fixed_size: 0
    .sgpr_count:     6
    .sgpr_spill_count: 0
    .symbol:         _ZN7rocprim17ROCPRIM_400000_NS6detail17trampoline_kernelINS0_14default_configENS1_35adjacent_difference_config_selectorILb1ElEEZNS1_24adjacent_difference_implIS3_Lb1ELb0EPlS7_ZN2at6native12_GLOBAL__N_124unique_dim_cuda_templateIfEESt5tupleIJNS8_6TensorESD_SD_EERKSD_lbbbEUlllE1_EE10hipError_tPvRmT2_T3_mT4_P12ihipStream_tbEUlT_E_NS1_11comp_targetILNS1_3genE5ELNS1_11target_archE942ELNS1_3gpuE9ELNS1_3repE0EEENS1_30default_config_static_selectorELNS0_4arch9wavefront6targetE1EEEvT1_.kd
    .uniform_work_group_size: 1
    .uses_dynamic_stack: false
    .vgpr_count:     0
    .vgpr_spill_count: 0
    .wavefront_size: 64
  - .agpr_count:     0
    .args:
      - .offset:         0
        .size:           64
        .value_kind:     by_value
    .group_segment_fixed_size: 0
    .kernarg_segment_align: 8
    .kernarg_segment_size: 64
    .language:       OpenCL C
    .language_version:
      - 2
      - 0
    .max_flat_workgroup_size: 512
    .name:           _ZN7rocprim17ROCPRIM_400000_NS6detail17trampoline_kernelINS0_14default_configENS1_35adjacent_difference_config_selectorILb1ElEEZNS1_24adjacent_difference_implIS3_Lb1ELb0EPlS7_ZN2at6native12_GLOBAL__N_124unique_dim_cuda_templateIfEESt5tupleIJNS8_6TensorESD_SD_EERKSD_lbbbEUlllE1_EE10hipError_tPvRmT2_T3_mT4_P12ihipStream_tbEUlT_E_NS1_11comp_targetILNS1_3genE4ELNS1_11target_archE910ELNS1_3gpuE8ELNS1_3repE0EEENS1_30default_config_static_selectorELNS0_4arch9wavefront6targetE1EEEvT1_
    .private_segment_fixed_size: 0
    .sgpr_count:     6
    .sgpr_spill_count: 0
    .symbol:         _ZN7rocprim17ROCPRIM_400000_NS6detail17trampoline_kernelINS0_14default_configENS1_35adjacent_difference_config_selectorILb1ElEEZNS1_24adjacent_difference_implIS3_Lb1ELb0EPlS7_ZN2at6native12_GLOBAL__N_124unique_dim_cuda_templateIfEESt5tupleIJNS8_6TensorESD_SD_EERKSD_lbbbEUlllE1_EE10hipError_tPvRmT2_T3_mT4_P12ihipStream_tbEUlT_E_NS1_11comp_targetILNS1_3genE4ELNS1_11target_archE910ELNS1_3gpuE8ELNS1_3repE0EEENS1_30default_config_static_selectorELNS0_4arch9wavefront6targetE1EEEvT1_.kd
    .uniform_work_group_size: 1
    .uses_dynamic_stack: false
    .vgpr_count:     0
    .vgpr_spill_count: 0
    .wavefront_size: 64
  - .agpr_count:     0
    .args:
      - .offset:         0
        .size:           64
        .value_kind:     by_value
    .group_segment_fixed_size: 0
    .kernarg_segment_align: 8
    .kernarg_segment_size: 64
    .language:       OpenCL C
    .language_version:
      - 2
      - 0
    .max_flat_workgroup_size: 512
    .name:           _ZN7rocprim17ROCPRIM_400000_NS6detail17trampoline_kernelINS0_14default_configENS1_35adjacent_difference_config_selectorILb1ElEEZNS1_24adjacent_difference_implIS3_Lb1ELb0EPlS7_ZN2at6native12_GLOBAL__N_124unique_dim_cuda_templateIfEESt5tupleIJNS8_6TensorESD_SD_EERKSD_lbbbEUlllE1_EE10hipError_tPvRmT2_T3_mT4_P12ihipStream_tbEUlT_E_NS1_11comp_targetILNS1_3genE3ELNS1_11target_archE908ELNS1_3gpuE7ELNS1_3repE0EEENS1_30default_config_static_selectorELNS0_4arch9wavefront6targetE1EEEvT1_
    .private_segment_fixed_size: 0
    .sgpr_count:     6
    .sgpr_spill_count: 0
    .symbol:         _ZN7rocprim17ROCPRIM_400000_NS6detail17trampoline_kernelINS0_14default_configENS1_35adjacent_difference_config_selectorILb1ElEEZNS1_24adjacent_difference_implIS3_Lb1ELb0EPlS7_ZN2at6native12_GLOBAL__N_124unique_dim_cuda_templateIfEESt5tupleIJNS8_6TensorESD_SD_EERKSD_lbbbEUlllE1_EE10hipError_tPvRmT2_T3_mT4_P12ihipStream_tbEUlT_E_NS1_11comp_targetILNS1_3genE3ELNS1_11target_archE908ELNS1_3gpuE7ELNS1_3repE0EEENS1_30default_config_static_selectorELNS0_4arch9wavefront6targetE1EEEvT1_.kd
    .uniform_work_group_size: 1
    .uses_dynamic_stack: false
    .vgpr_count:     0
    .vgpr_spill_count: 0
    .wavefront_size: 64
  - .agpr_count:     0
    .args:
      - .offset:         0
        .size:           64
        .value_kind:     by_value
    .group_segment_fixed_size: 0
    .kernarg_segment_align: 8
    .kernarg_segment_size: 64
    .language:       OpenCL C
    .language_version:
      - 2
      - 0
    .max_flat_workgroup_size: 128
    .name:           _ZN7rocprim17ROCPRIM_400000_NS6detail17trampoline_kernelINS0_14default_configENS1_35adjacent_difference_config_selectorILb1ElEEZNS1_24adjacent_difference_implIS3_Lb1ELb0EPlS7_ZN2at6native12_GLOBAL__N_124unique_dim_cuda_templateIfEESt5tupleIJNS8_6TensorESD_SD_EERKSD_lbbbEUlllE1_EE10hipError_tPvRmT2_T3_mT4_P12ihipStream_tbEUlT_E_NS1_11comp_targetILNS1_3genE2ELNS1_11target_archE906ELNS1_3gpuE6ELNS1_3repE0EEENS1_30default_config_static_selectorELNS0_4arch9wavefront6targetE1EEEvT1_
    .private_segment_fixed_size: 0
    .sgpr_count:     6
    .sgpr_spill_count: 0
    .symbol:         _ZN7rocprim17ROCPRIM_400000_NS6detail17trampoline_kernelINS0_14default_configENS1_35adjacent_difference_config_selectorILb1ElEEZNS1_24adjacent_difference_implIS3_Lb1ELb0EPlS7_ZN2at6native12_GLOBAL__N_124unique_dim_cuda_templateIfEESt5tupleIJNS8_6TensorESD_SD_EERKSD_lbbbEUlllE1_EE10hipError_tPvRmT2_T3_mT4_P12ihipStream_tbEUlT_E_NS1_11comp_targetILNS1_3genE2ELNS1_11target_archE906ELNS1_3gpuE6ELNS1_3repE0EEENS1_30default_config_static_selectorELNS0_4arch9wavefront6targetE1EEEvT1_.kd
    .uniform_work_group_size: 1
    .uses_dynamic_stack: false
    .vgpr_count:     0
    .vgpr_spill_count: 0
    .wavefront_size: 64
  - .agpr_count:     0
    .args:
      - .offset:         0
        .size:           64
        .value_kind:     by_value
    .group_segment_fixed_size: 0
    .kernarg_segment_align: 8
    .kernarg_segment_size: 64
    .language:       OpenCL C
    .language_version:
      - 2
      - 0
    .max_flat_workgroup_size: 128
    .name:           _ZN7rocprim17ROCPRIM_400000_NS6detail17trampoline_kernelINS0_14default_configENS1_35adjacent_difference_config_selectorILb1ElEEZNS1_24adjacent_difference_implIS3_Lb1ELb0EPlS7_ZN2at6native12_GLOBAL__N_124unique_dim_cuda_templateIfEESt5tupleIJNS8_6TensorESD_SD_EERKSD_lbbbEUlllE1_EE10hipError_tPvRmT2_T3_mT4_P12ihipStream_tbEUlT_E_NS1_11comp_targetILNS1_3genE9ELNS1_11target_archE1100ELNS1_3gpuE3ELNS1_3repE0EEENS1_30default_config_static_selectorELNS0_4arch9wavefront6targetE1EEEvT1_
    .private_segment_fixed_size: 0
    .sgpr_count:     6
    .sgpr_spill_count: 0
    .symbol:         _ZN7rocprim17ROCPRIM_400000_NS6detail17trampoline_kernelINS0_14default_configENS1_35adjacent_difference_config_selectorILb1ElEEZNS1_24adjacent_difference_implIS3_Lb1ELb0EPlS7_ZN2at6native12_GLOBAL__N_124unique_dim_cuda_templateIfEESt5tupleIJNS8_6TensorESD_SD_EERKSD_lbbbEUlllE1_EE10hipError_tPvRmT2_T3_mT4_P12ihipStream_tbEUlT_E_NS1_11comp_targetILNS1_3genE9ELNS1_11target_archE1100ELNS1_3gpuE3ELNS1_3repE0EEENS1_30default_config_static_selectorELNS0_4arch9wavefront6targetE1EEEvT1_.kd
    .uniform_work_group_size: 1
    .uses_dynamic_stack: false
    .vgpr_count:     0
    .vgpr_spill_count: 0
    .wavefront_size: 64
  - .agpr_count:     0
    .args:
      - .offset:         0
        .size:           64
        .value_kind:     by_value
    .group_segment_fixed_size: 0
    .kernarg_segment_align: 8
    .kernarg_segment_size: 64
    .language:       OpenCL C
    .language_version:
      - 2
      - 0
    .max_flat_workgroup_size: 32
    .name:           _ZN7rocprim17ROCPRIM_400000_NS6detail17trampoline_kernelINS0_14default_configENS1_35adjacent_difference_config_selectorILb1ElEEZNS1_24adjacent_difference_implIS3_Lb1ELb0EPlS7_ZN2at6native12_GLOBAL__N_124unique_dim_cuda_templateIfEESt5tupleIJNS8_6TensorESD_SD_EERKSD_lbbbEUlllE1_EE10hipError_tPvRmT2_T3_mT4_P12ihipStream_tbEUlT_E_NS1_11comp_targetILNS1_3genE8ELNS1_11target_archE1030ELNS1_3gpuE2ELNS1_3repE0EEENS1_30default_config_static_selectorELNS0_4arch9wavefront6targetE1EEEvT1_
    .private_segment_fixed_size: 0
    .sgpr_count:     6
    .sgpr_spill_count: 0
    .symbol:         _ZN7rocprim17ROCPRIM_400000_NS6detail17trampoline_kernelINS0_14default_configENS1_35adjacent_difference_config_selectorILb1ElEEZNS1_24adjacent_difference_implIS3_Lb1ELb0EPlS7_ZN2at6native12_GLOBAL__N_124unique_dim_cuda_templateIfEESt5tupleIJNS8_6TensorESD_SD_EERKSD_lbbbEUlllE1_EE10hipError_tPvRmT2_T3_mT4_P12ihipStream_tbEUlT_E_NS1_11comp_targetILNS1_3genE8ELNS1_11target_archE1030ELNS1_3gpuE2ELNS1_3repE0EEENS1_30default_config_static_selectorELNS0_4arch9wavefront6targetE1EEEvT1_.kd
    .uniform_work_group_size: 1
    .uses_dynamic_stack: false
    .vgpr_count:     0
    .vgpr_spill_count: 0
    .wavefront_size: 64
  - .agpr_count:     0
    .args:
      - .offset:         0
        .size:           120
        .value_kind:     by_value
    .group_segment_fixed_size: 28680
    .kernarg_segment_align: 8
    .kernarg_segment_size: 120
    .language:       OpenCL C
    .language_version:
      - 2
      - 0
    .max_flat_workgroup_size: 512
    .name:           _ZN7rocprim17ROCPRIM_400000_NS6detail17trampoline_kernelINS0_14default_configENS1_25partition_config_selectorILNS1_17partition_subalgoE8ElNS0_10empty_typeEbEEZZNS1_14partition_implILS5_8ELb0ES3_jPlPS6_PKS6_NS0_5tupleIJS9_S6_EEENSD_IJSA_SA_EEENS0_18inequality_wrapperIZN2at6native12_GLOBAL__N_124unique_dim_cuda_templateIfEESt5tupleIJNSH_6TensorESM_SM_EERKSM_lbbbEUlllE0_EEPmJS6_EEE10hipError_tPvRmT3_T4_T5_T6_T7_T9_mT8_P12ihipStream_tbDpT10_ENKUlT_T0_E_clISt17integral_constantIbLb0EES1C_EEDaS17_S18_EUlS17_E_NS1_11comp_targetILNS1_3genE0ELNS1_11target_archE4294967295ELNS1_3gpuE0ELNS1_3repE0EEENS1_30default_config_static_selectorELNS0_4arch9wavefront6targetE1EEEvT1_
    .private_segment_fixed_size: 0
    .sgpr_count:     56
    .sgpr_spill_count: 0
    .symbol:         _ZN7rocprim17ROCPRIM_400000_NS6detail17trampoline_kernelINS0_14default_configENS1_25partition_config_selectorILNS1_17partition_subalgoE8ElNS0_10empty_typeEbEEZZNS1_14partition_implILS5_8ELb0ES3_jPlPS6_PKS6_NS0_5tupleIJS9_S6_EEENSD_IJSA_SA_EEENS0_18inequality_wrapperIZN2at6native12_GLOBAL__N_124unique_dim_cuda_templateIfEESt5tupleIJNSH_6TensorESM_SM_EERKSM_lbbbEUlllE0_EEPmJS6_EEE10hipError_tPvRmT3_T4_T5_T6_T7_T9_mT8_P12ihipStream_tbDpT10_ENKUlT_T0_E_clISt17integral_constantIbLb0EES1C_EEDaS17_S18_EUlS17_E_NS1_11comp_targetILNS1_3genE0ELNS1_11target_archE4294967295ELNS1_3gpuE0ELNS1_3repE0EEENS1_30default_config_static_selectorELNS0_4arch9wavefront6targetE1EEEvT1_.kd
    .uniform_work_group_size: 1
    .uses_dynamic_stack: false
    .vgpr_count:     58
    .vgpr_spill_count: 0
    .wavefront_size: 64
  - .agpr_count:     0
    .args:
      - .offset:         0
        .size:           120
        .value_kind:     by_value
    .group_segment_fixed_size: 0
    .kernarg_segment_align: 8
    .kernarg_segment_size: 120
    .language:       OpenCL C
    .language_version:
      - 2
      - 0
    .max_flat_workgroup_size: 512
    .name:           _ZN7rocprim17ROCPRIM_400000_NS6detail17trampoline_kernelINS0_14default_configENS1_25partition_config_selectorILNS1_17partition_subalgoE8ElNS0_10empty_typeEbEEZZNS1_14partition_implILS5_8ELb0ES3_jPlPS6_PKS6_NS0_5tupleIJS9_S6_EEENSD_IJSA_SA_EEENS0_18inequality_wrapperIZN2at6native12_GLOBAL__N_124unique_dim_cuda_templateIfEESt5tupleIJNSH_6TensorESM_SM_EERKSM_lbbbEUlllE0_EEPmJS6_EEE10hipError_tPvRmT3_T4_T5_T6_T7_T9_mT8_P12ihipStream_tbDpT10_ENKUlT_T0_E_clISt17integral_constantIbLb0EES1C_EEDaS17_S18_EUlS17_E_NS1_11comp_targetILNS1_3genE5ELNS1_11target_archE942ELNS1_3gpuE9ELNS1_3repE0EEENS1_30default_config_static_selectorELNS0_4arch9wavefront6targetE1EEEvT1_
    .private_segment_fixed_size: 0
    .sgpr_count:     6
    .sgpr_spill_count: 0
    .symbol:         _ZN7rocprim17ROCPRIM_400000_NS6detail17trampoline_kernelINS0_14default_configENS1_25partition_config_selectorILNS1_17partition_subalgoE8ElNS0_10empty_typeEbEEZZNS1_14partition_implILS5_8ELb0ES3_jPlPS6_PKS6_NS0_5tupleIJS9_S6_EEENSD_IJSA_SA_EEENS0_18inequality_wrapperIZN2at6native12_GLOBAL__N_124unique_dim_cuda_templateIfEESt5tupleIJNSH_6TensorESM_SM_EERKSM_lbbbEUlllE0_EEPmJS6_EEE10hipError_tPvRmT3_T4_T5_T6_T7_T9_mT8_P12ihipStream_tbDpT10_ENKUlT_T0_E_clISt17integral_constantIbLb0EES1C_EEDaS17_S18_EUlS17_E_NS1_11comp_targetILNS1_3genE5ELNS1_11target_archE942ELNS1_3gpuE9ELNS1_3repE0EEENS1_30default_config_static_selectorELNS0_4arch9wavefront6targetE1EEEvT1_.kd
    .uniform_work_group_size: 1
    .uses_dynamic_stack: false
    .vgpr_count:     0
    .vgpr_spill_count: 0
    .wavefront_size: 64
  - .agpr_count:     0
    .args:
      - .offset:         0
        .size:           120
        .value_kind:     by_value
    .group_segment_fixed_size: 0
    .kernarg_segment_align: 8
    .kernarg_segment_size: 120
    .language:       OpenCL C
    .language_version:
      - 2
      - 0
    .max_flat_workgroup_size: 256
    .name:           _ZN7rocprim17ROCPRIM_400000_NS6detail17trampoline_kernelINS0_14default_configENS1_25partition_config_selectorILNS1_17partition_subalgoE8ElNS0_10empty_typeEbEEZZNS1_14partition_implILS5_8ELb0ES3_jPlPS6_PKS6_NS0_5tupleIJS9_S6_EEENSD_IJSA_SA_EEENS0_18inequality_wrapperIZN2at6native12_GLOBAL__N_124unique_dim_cuda_templateIfEESt5tupleIJNSH_6TensorESM_SM_EERKSM_lbbbEUlllE0_EEPmJS6_EEE10hipError_tPvRmT3_T4_T5_T6_T7_T9_mT8_P12ihipStream_tbDpT10_ENKUlT_T0_E_clISt17integral_constantIbLb0EES1C_EEDaS17_S18_EUlS17_E_NS1_11comp_targetILNS1_3genE4ELNS1_11target_archE910ELNS1_3gpuE8ELNS1_3repE0EEENS1_30default_config_static_selectorELNS0_4arch9wavefront6targetE1EEEvT1_
    .private_segment_fixed_size: 0
    .sgpr_count:     6
    .sgpr_spill_count: 0
    .symbol:         _ZN7rocprim17ROCPRIM_400000_NS6detail17trampoline_kernelINS0_14default_configENS1_25partition_config_selectorILNS1_17partition_subalgoE8ElNS0_10empty_typeEbEEZZNS1_14partition_implILS5_8ELb0ES3_jPlPS6_PKS6_NS0_5tupleIJS9_S6_EEENSD_IJSA_SA_EEENS0_18inequality_wrapperIZN2at6native12_GLOBAL__N_124unique_dim_cuda_templateIfEESt5tupleIJNSH_6TensorESM_SM_EERKSM_lbbbEUlllE0_EEPmJS6_EEE10hipError_tPvRmT3_T4_T5_T6_T7_T9_mT8_P12ihipStream_tbDpT10_ENKUlT_T0_E_clISt17integral_constantIbLb0EES1C_EEDaS17_S18_EUlS17_E_NS1_11comp_targetILNS1_3genE4ELNS1_11target_archE910ELNS1_3gpuE8ELNS1_3repE0EEENS1_30default_config_static_selectorELNS0_4arch9wavefront6targetE1EEEvT1_.kd
    .uniform_work_group_size: 1
    .uses_dynamic_stack: false
    .vgpr_count:     0
    .vgpr_spill_count: 0
    .wavefront_size: 64
  - .agpr_count:     0
    .args:
      - .offset:         0
        .size:           120
        .value_kind:     by_value
    .group_segment_fixed_size: 0
    .kernarg_segment_align: 8
    .kernarg_segment_size: 120
    .language:       OpenCL C
    .language_version:
      - 2
      - 0
    .max_flat_workgroup_size: 512
    .name:           _ZN7rocprim17ROCPRIM_400000_NS6detail17trampoline_kernelINS0_14default_configENS1_25partition_config_selectorILNS1_17partition_subalgoE8ElNS0_10empty_typeEbEEZZNS1_14partition_implILS5_8ELb0ES3_jPlPS6_PKS6_NS0_5tupleIJS9_S6_EEENSD_IJSA_SA_EEENS0_18inequality_wrapperIZN2at6native12_GLOBAL__N_124unique_dim_cuda_templateIfEESt5tupleIJNSH_6TensorESM_SM_EERKSM_lbbbEUlllE0_EEPmJS6_EEE10hipError_tPvRmT3_T4_T5_T6_T7_T9_mT8_P12ihipStream_tbDpT10_ENKUlT_T0_E_clISt17integral_constantIbLb0EES1C_EEDaS17_S18_EUlS17_E_NS1_11comp_targetILNS1_3genE3ELNS1_11target_archE908ELNS1_3gpuE7ELNS1_3repE0EEENS1_30default_config_static_selectorELNS0_4arch9wavefront6targetE1EEEvT1_
    .private_segment_fixed_size: 0
    .sgpr_count:     6
    .sgpr_spill_count: 0
    .symbol:         _ZN7rocprim17ROCPRIM_400000_NS6detail17trampoline_kernelINS0_14default_configENS1_25partition_config_selectorILNS1_17partition_subalgoE8ElNS0_10empty_typeEbEEZZNS1_14partition_implILS5_8ELb0ES3_jPlPS6_PKS6_NS0_5tupleIJS9_S6_EEENSD_IJSA_SA_EEENS0_18inequality_wrapperIZN2at6native12_GLOBAL__N_124unique_dim_cuda_templateIfEESt5tupleIJNSH_6TensorESM_SM_EERKSM_lbbbEUlllE0_EEPmJS6_EEE10hipError_tPvRmT3_T4_T5_T6_T7_T9_mT8_P12ihipStream_tbDpT10_ENKUlT_T0_E_clISt17integral_constantIbLb0EES1C_EEDaS17_S18_EUlS17_E_NS1_11comp_targetILNS1_3genE3ELNS1_11target_archE908ELNS1_3gpuE7ELNS1_3repE0EEENS1_30default_config_static_selectorELNS0_4arch9wavefront6targetE1EEEvT1_.kd
    .uniform_work_group_size: 1
    .uses_dynamic_stack: false
    .vgpr_count:     0
    .vgpr_spill_count: 0
    .wavefront_size: 64
  - .agpr_count:     0
    .args:
      - .offset:         0
        .size:           120
        .value_kind:     by_value
    .group_segment_fixed_size: 0
    .kernarg_segment_align: 8
    .kernarg_segment_size: 120
    .language:       OpenCL C
    .language_version:
      - 2
      - 0
    .max_flat_workgroup_size: 256
    .name:           _ZN7rocprim17ROCPRIM_400000_NS6detail17trampoline_kernelINS0_14default_configENS1_25partition_config_selectorILNS1_17partition_subalgoE8ElNS0_10empty_typeEbEEZZNS1_14partition_implILS5_8ELb0ES3_jPlPS6_PKS6_NS0_5tupleIJS9_S6_EEENSD_IJSA_SA_EEENS0_18inequality_wrapperIZN2at6native12_GLOBAL__N_124unique_dim_cuda_templateIfEESt5tupleIJNSH_6TensorESM_SM_EERKSM_lbbbEUlllE0_EEPmJS6_EEE10hipError_tPvRmT3_T4_T5_T6_T7_T9_mT8_P12ihipStream_tbDpT10_ENKUlT_T0_E_clISt17integral_constantIbLb0EES1C_EEDaS17_S18_EUlS17_E_NS1_11comp_targetILNS1_3genE2ELNS1_11target_archE906ELNS1_3gpuE6ELNS1_3repE0EEENS1_30default_config_static_selectorELNS0_4arch9wavefront6targetE1EEEvT1_
    .private_segment_fixed_size: 0
    .sgpr_count:     6
    .sgpr_spill_count: 0
    .symbol:         _ZN7rocprim17ROCPRIM_400000_NS6detail17trampoline_kernelINS0_14default_configENS1_25partition_config_selectorILNS1_17partition_subalgoE8ElNS0_10empty_typeEbEEZZNS1_14partition_implILS5_8ELb0ES3_jPlPS6_PKS6_NS0_5tupleIJS9_S6_EEENSD_IJSA_SA_EEENS0_18inequality_wrapperIZN2at6native12_GLOBAL__N_124unique_dim_cuda_templateIfEESt5tupleIJNSH_6TensorESM_SM_EERKSM_lbbbEUlllE0_EEPmJS6_EEE10hipError_tPvRmT3_T4_T5_T6_T7_T9_mT8_P12ihipStream_tbDpT10_ENKUlT_T0_E_clISt17integral_constantIbLb0EES1C_EEDaS17_S18_EUlS17_E_NS1_11comp_targetILNS1_3genE2ELNS1_11target_archE906ELNS1_3gpuE6ELNS1_3repE0EEENS1_30default_config_static_selectorELNS0_4arch9wavefront6targetE1EEEvT1_.kd
    .uniform_work_group_size: 1
    .uses_dynamic_stack: false
    .vgpr_count:     0
    .vgpr_spill_count: 0
    .wavefront_size: 64
  - .agpr_count:     0
    .args:
      - .offset:         0
        .size:           120
        .value_kind:     by_value
    .group_segment_fixed_size: 0
    .kernarg_segment_align: 8
    .kernarg_segment_size: 120
    .language:       OpenCL C
    .language_version:
      - 2
      - 0
    .max_flat_workgroup_size: 384
    .name:           _ZN7rocprim17ROCPRIM_400000_NS6detail17trampoline_kernelINS0_14default_configENS1_25partition_config_selectorILNS1_17partition_subalgoE8ElNS0_10empty_typeEbEEZZNS1_14partition_implILS5_8ELb0ES3_jPlPS6_PKS6_NS0_5tupleIJS9_S6_EEENSD_IJSA_SA_EEENS0_18inequality_wrapperIZN2at6native12_GLOBAL__N_124unique_dim_cuda_templateIfEESt5tupleIJNSH_6TensorESM_SM_EERKSM_lbbbEUlllE0_EEPmJS6_EEE10hipError_tPvRmT3_T4_T5_T6_T7_T9_mT8_P12ihipStream_tbDpT10_ENKUlT_T0_E_clISt17integral_constantIbLb0EES1C_EEDaS17_S18_EUlS17_E_NS1_11comp_targetILNS1_3genE10ELNS1_11target_archE1200ELNS1_3gpuE4ELNS1_3repE0EEENS1_30default_config_static_selectorELNS0_4arch9wavefront6targetE1EEEvT1_
    .private_segment_fixed_size: 0
    .sgpr_count:     6
    .sgpr_spill_count: 0
    .symbol:         _ZN7rocprim17ROCPRIM_400000_NS6detail17trampoline_kernelINS0_14default_configENS1_25partition_config_selectorILNS1_17partition_subalgoE8ElNS0_10empty_typeEbEEZZNS1_14partition_implILS5_8ELb0ES3_jPlPS6_PKS6_NS0_5tupleIJS9_S6_EEENSD_IJSA_SA_EEENS0_18inequality_wrapperIZN2at6native12_GLOBAL__N_124unique_dim_cuda_templateIfEESt5tupleIJNSH_6TensorESM_SM_EERKSM_lbbbEUlllE0_EEPmJS6_EEE10hipError_tPvRmT3_T4_T5_T6_T7_T9_mT8_P12ihipStream_tbDpT10_ENKUlT_T0_E_clISt17integral_constantIbLb0EES1C_EEDaS17_S18_EUlS17_E_NS1_11comp_targetILNS1_3genE10ELNS1_11target_archE1200ELNS1_3gpuE4ELNS1_3repE0EEENS1_30default_config_static_selectorELNS0_4arch9wavefront6targetE1EEEvT1_.kd
    .uniform_work_group_size: 1
    .uses_dynamic_stack: false
    .vgpr_count:     0
    .vgpr_spill_count: 0
    .wavefront_size: 64
  - .agpr_count:     0
    .args:
      - .offset:         0
        .size:           120
        .value_kind:     by_value
    .group_segment_fixed_size: 0
    .kernarg_segment_align: 8
    .kernarg_segment_size: 120
    .language:       OpenCL C
    .language_version:
      - 2
      - 0
    .max_flat_workgroup_size: 512
    .name:           _ZN7rocprim17ROCPRIM_400000_NS6detail17trampoline_kernelINS0_14default_configENS1_25partition_config_selectorILNS1_17partition_subalgoE8ElNS0_10empty_typeEbEEZZNS1_14partition_implILS5_8ELb0ES3_jPlPS6_PKS6_NS0_5tupleIJS9_S6_EEENSD_IJSA_SA_EEENS0_18inequality_wrapperIZN2at6native12_GLOBAL__N_124unique_dim_cuda_templateIfEESt5tupleIJNSH_6TensorESM_SM_EERKSM_lbbbEUlllE0_EEPmJS6_EEE10hipError_tPvRmT3_T4_T5_T6_T7_T9_mT8_P12ihipStream_tbDpT10_ENKUlT_T0_E_clISt17integral_constantIbLb0EES1C_EEDaS17_S18_EUlS17_E_NS1_11comp_targetILNS1_3genE9ELNS1_11target_archE1100ELNS1_3gpuE3ELNS1_3repE0EEENS1_30default_config_static_selectorELNS0_4arch9wavefront6targetE1EEEvT1_
    .private_segment_fixed_size: 0
    .sgpr_count:     6
    .sgpr_spill_count: 0
    .symbol:         _ZN7rocprim17ROCPRIM_400000_NS6detail17trampoline_kernelINS0_14default_configENS1_25partition_config_selectorILNS1_17partition_subalgoE8ElNS0_10empty_typeEbEEZZNS1_14partition_implILS5_8ELb0ES3_jPlPS6_PKS6_NS0_5tupleIJS9_S6_EEENSD_IJSA_SA_EEENS0_18inequality_wrapperIZN2at6native12_GLOBAL__N_124unique_dim_cuda_templateIfEESt5tupleIJNSH_6TensorESM_SM_EERKSM_lbbbEUlllE0_EEPmJS6_EEE10hipError_tPvRmT3_T4_T5_T6_T7_T9_mT8_P12ihipStream_tbDpT10_ENKUlT_T0_E_clISt17integral_constantIbLb0EES1C_EEDaS17_S18_EUlS17_E_NS1_11comp_targetILNS1_3genE9ELNS1_11target_archE1100ELNS1_3gpuE3ELNS1_3repE0EEENS1_30default_config_static_selectorELNS0_4arch9wavefront6targetE1EEEvT1_.kd
    .uniform_work_group_size: 1
    .uses_dynamic_stack: false
    .vgpr_count:     0
    .vgpr_spill_count: 0
    .wavefront_size: 64
  - .agpr_count:     0
    .args:
      - .offset:         0
        .size:           120
        .value_kind:     by_value
    .group_segment_fixed_size: 0
    .kernarg_segment_align: 8
    .kernarg_segment_size: 120
    .language:       OpenCL C
    .language_version:
      - 2
      - 0
    .max_flat_workgroup_size: 512
    .name:           _ZN7rocprim17ROCPRIM_400000_NS6detail17trampoline_kernelINS0_14default_configENS1_25partition_config_selectorILNS1_17partition_subalgoE8ElNS0_10empty_typeEbEEZZNS1_14partition_implILS5_8ELb0ES3_jPlPS6_PKS6_NS0_5tupleIJS9_S6_EEENSD_IJSA_SA_EEENS0_18inequality_wrapperIZN2at6native12_GLOBAL__N_124unique_dim_cuda_templateIfEESt5tupleIJNSH_6TensorESM_SM_EERKSM_lbbbEUlllE0_EEPmJS6_EEE10hipError_tPvRmT3_T4_T5_T6_T7_T9_mT8_P12ihipStream_tbDpT10_ENKUlT_T0_E_clISt17integral_constantIbLb0EES1C_EEDaS17_S18_EUlS17_E_NS1_11comp_targetILNS1_3genE8ELNS1_11target_archE1030ELNS1_3gpuE2ELNS1_3repE0EEENS1_30default_config_static_selectorELNS0_4arch9wavefront6targetE1EEEvT1_
    .private_segment_fixed_size: 0
    .sgpr_count:     6
    .sgpr_spill_count: 0
    .symbol:         _ZN7rocprim17ROCPRIM_400000_NS6detail17trampoline_kernelINS0_14default_configENS1_25partition_config_selectorILNS1_17partition_subalgoE8ElNS0_10empty_typeEbEEZZNS1_14partition_implILS5_8ELb0ES3_jPlPS6_PKS6_NS0_5tupleIJS9_S6_EEENSD_IJSA_SA_EEENS0_18inequality_wrapperIZN2at6native12_GLOBAL__N_124unique_dim_cuda_templateIfEESt5tupleIJNSH_6TensorESM_SM_EERKSM_lbbbEUlllE0_EEPmJS6_EEE10hipError_tPvRmT3_T4_T5_T6_T7_T9_mT8_P12ihipStream_tbDpT10_ENKUlT_T0_E_clISt17integral_constantIbLb0EES1C_EEDaS17_S18_EUlS17_E_NS1_11comp_targetILNS1_3genE8ELNS1_11target_archE1030ELNS1_3gpuE2ELNS1_3repE0EEENS1_30default_config_static_selectorELNS0_4arch9wavefront6targetE1EEEvT1_.kd
    .uniform_work_group_size: 1
    .uses_dynamic_stack: false
    .vgpr_count:     0
    .vgpr_spill_count: 0
    .wavefront_size: 64
  - .agpr_count:     0
    .args:
      - .offset:         0
        .size:           136
        .value_kind:     by_value
    .group_segment_fixed_size: 0
    .kernarg_segment_align: 8
    .kernarg_segment_size: 136
    .language:       OpenCL C
    .language_version:
      - 2
      - 0
    .max_flat_workgroup_size: 512
    .name:           _ZN7rocprim17ROCPRIM_400000_NS6detail17trampoline_kernelINS0_14default_configENS1_25partition_config_selectorILNS1_17partition_subalgoE8ElNS0_10empty_typeEbEEZZNS1_14partition_implILS5_8ELb0ES3_jPlPS6_PKS6_NS0_5tupleIJS9_S6_EEENSD_IJSA_SA_EEENS0_18inequality_wrapperIZN2at6native12_GLOBAL__N_124unique_dim_cuda_templateIfEESt5tupleIJNSH_6TensorESM_SM_EERKSM_lbbbEUlllE0_EEPmJS6_EEE10hipError_tPvRmT3_T4_T5_T6_T7_T9_mT8_P12ihipStream_tbDpT10_ENKUlT_T0_E_clISt17integral_constantIbLb1EES1C_EEDaS17_S18_EUlS17_E_NS1_11comp_targetILNS1_3genE0ELNS1_11target_archE4294967295ELNS1_3gpuE0ELNS1_3repE0EEENS1_30default_config_static_selectorELNS0_4arch9wavefront6targetE1EEEvT1_
    .private_segment_fixed_size: 0
    .sgpr_count:     6
    .sgpr_spill_count: 0
    .symbol:         _ZN7rocprim17ROCPRIM_400000_NS6detail17trampoline_kernelINS0_14default_configENS1_25partition_config_selectorILNS1_17partition_subalgoE8ElNS0_10empty_typeEbEEZZNS1_14partition_implILS5_8ELb0ES3_jPlPS6_PKS6_NS0_5tupleIJS9_S6_EEENSD_IJSA_SA_EEENS0_18inequality_wrapperIZN2at6native12_GLOBAL__N_124unique_dim_cuda_templateIfEESt5tupleIJNSH_6TensorESM_SM_EERKSM_lbbbEUlllE0_EEPmJS6_EEE10hipError_tPvRmT3_T4_T5_T6_T7_T9_mT8_P12ihipStream_tbDpT10_ENKUlT_T0_E_clISt17integral_constantIbLb1EES1C_EEDaS17_S18_EUlS17_E_NS1_11comp_targetILNS1_3genE0ELNS1_11target_archE4294967295ELNS1_3gpuE0ELNS1_3repE0EEENS1_30default_config_static_selectorELNS0_4arch9wavefront6targetE1EEEvT1_.kd
    .uniform_work_group_size: 1
    .uses_dynamic_stack: false
    .vgpr_count:     0
    .vgpr_spill_count: 0
    .wavefront_size: 64
  - .agpr_count:     0
    .args:
      - .offset:         0
        .size:           136
        .value_kind:     by_value
    .group_segment_fixed_size: 0
    .kernarg_segment_align: 8
    .kernarg_segment_size: 136
    .language:       OpenCL C
    .language_version:
      - 2
      - 0
    .max_flat_workgroup_size: 512
    .name:           _ZN7rocprim17ROCPRIM_400000_NS6detail17trampoline_kernelINS0_14default_configENS1_25partition_config_selectorILNS1_17partition_subalgoE8ElNS0_10empty_typeEbEEZZNS1_14partition_implILS5_8ELb0ES3_jPlPS6_PKS6_NS0_5tupleIJS9_S6_EEENSD_IJSA_SA_EEENS0_18inequality_wrapperIZN2at6native12_GLOBAL__N_124unique_dim_cuda_templateIfEESt5tupleIJNSH_6TensorESM_SM_EERKSM_lbbbEUlllE0_EEPmJS6_EEE10hipError_tPvRmT3_T4_T5_T6_T7_T9_mT8_P12ihipStream_tbDpT10_ENKUlT_T0_E_clISt17integral_constantIbLb1EES1C_EEDaS17_S18_EUlS17_E_NS1_11comp_targetILNS1_3genE5ELNS1_11target_archE942ELNS1_3gpuE9ELNS1_3repE0EEENS1_30default_config_static_selectorELNS0_4arch9wavefront6targetE1EEEvT1_
    .private_segment_fixed_size: 0
    .sgpr_count:     6
    .sgpr_spill_count: 0
    .symbol:         _ZN7rocprim17ROCPRIM_400000_NS6detail17trampoline_kernelINS0_14default_configENS1_25partition_config_selectorILNS1_17partition_subalgoE8ElNS0_10empty_typeEbEEZZNS1_14partition_implILS5_8ELb0ES3_jPlPS6_PKS6_NS0_5tupleIJS9_S6_EEENSD_IJSA_SA_EEENS0_18inequality_wrapperIZN2at6native12_GLOBAL__N_124unique_dim_cuda_templateIfEESt5tupleIJNSH_6TensorESM_SM_EERKSM_lbbbEUlllE0_EEPmJS6_EEE10hipError_tPvRmT3_T4_T5_T6_T7_T9_mT8_P12ihipStream_tbDpT10_ENKUlT_T0_E_clISt17integral_constantIbLb1EES1C_EEDaS17_S18_EUlS17_E_NS1_11comp_targetILNS1_3genE5ELNS1_11target_archE942ELNS1_3gpuE9ELNS1_3repE0EEENS1_30default_config_static_selectorELNS0_4arch9wavefront6targetE1EEEvT1_.kd
    .uniform_work_group_size: 1
    .uses_dynamic_stack: false
    .vgpr_count:     0
    .vgpr_spill_count: 0
    .wavefront_size: 64
  - .agpr_count:     0
    .args:
      - .offset:         0
        .size:           136
        .value_kind:     by_value
    .group_segment_fixed_size: 0
    .kernarg_segment_align: 8
    .kernarg_segment_size: 136
    .language:       OpenCL C
    .language_version:
      - 2
      - 0
    .max_flat_workgroup_size: 256
    .name:           _ZN7rocprim17ROCPRIM_400000_NS6detail17trampoline_kernelINS0_14default_configENS1_25partition_config_selectorILNS1_17partition_subalgoE8ElNS0_10empty_typeEbEEZZNS1_14partition_implILS5_8ELb0ES3_jPlPS6_PKS6_NS0_5tupleIJS9_S6_EEENSD_IJSA_SA_EEENS0_18inequality_wrapperIZN2at6native12_GLOBAL__N_124unique_dim_cuda_templateIfEESt5tupleIJNSH_6TensorESM_SM_EERKSM_lbbbEUlllE0_EEPmJS6_EEE10hipError_tPvRmT3_T4_T5_T6_T7_T9_mT8_P12ihipStream_tbDpT10_ENKUlT_T0_E_clISt17integral_constantIbLb1EES1C_EEDaS17_S18_EUlS17_E_NS1_11comp_targetILNS1_3genE4ELNS1_11target_archE910ELNS1_3gpuE8ELNS1_3repE0EEENS1_30default_config_static_selectorELNS0_4arch9wavefront6targetE1EEEvT1_
    .private_segment_fixed_size: 0
    .sgpr_count:     6
    .sgpr_spill_count: 0
    .symbol:         _ZN7rocprim17ROCPRIM_400000_NS6detail17trampoline_kernelINS0_14default_configENS1_25partition_config_selectorILNS1_17partition_subalgoE8ElNS0_10empty_typeEbEEZZNS1_14partition_implILS5_8ELb0ES3_jPlPS6_PKS6_NS0_5tupleIJS9_S6_EEENSD_IJSA_SA_EEENS0_18inequality_wrapperIZN2at6native12_GLOBAL__N_124unique_dim_cuda_templateIfEESt5tupleIJNSH_6TensorESM_SM_EERKSM_lbbbEUlllE0_EEPmJS6_EEE10hipError_tPvRmT3_T4_T5_T6_T7_T9_mT8_P12ihipStream_tbDpT10_ENKUlT_T0_E_clISt17integral_constantIbLb1EES1C_EEDaS17_S18_EUlS17_E_NS1_11comp_targetILNS1_3genE4ELNS1_11target_archE910ELNS1_3gpuE8ELNS1_3repE0EEENS1_30default_config_static_selectorELNS0_4arch9wavefront6targetE1EEEvT1_.kd
    .uniform_work_group_size: 1
    .uses_dynamic_stack: false
    .vgpr_count:     0
    .vgpr_spill_count: 0
    .wavefront_size: 64
  - .agpr_count:     0
    .args:
      - .offset:         0
        .size:           136
        .value_kind:     by_value
    .group_segment_fixed_size: 0
    .kernarg_segment_align: 8
    .kernarg_segment_size: 136
    .language:       OpenCL C
    .language_version:
      - 2
      - 0
    .max_flat_workgroup_size: 512
    .name:           _ZN7rocprim17ROCPRIM_400000_NS6detail17trampoline_kernelINS0_14default_configENS1_25partition_config_selectorILNS1_17partition_subalgoE8ElNS0_10empty_typeEbEEZZNS1_14partition_implILS5_8ELb0ES3_jPlPS6_PKS6_NS0_5tupleIJS9_S6_EEENSD_IJSA_SA_EEENS0_18inequality_wrapperIZN2at6native12_GLOBAL__N_124unique_dim_cuda_templateIfEESt5tupleIJNSH_6TensorESM_SM_EERKSM_lbbbEUlllE0_EEPmJS6_EEE10hipError_tPvRmT3_T4_T5_T6_T7_T9_mT8_P12ihipStream_tbDpT10_ENKUlT_T0_E_clISt17integral_constantIbLb1EES1C_EEDaS17_S18_EUlS17_E_NS1_11comp_targetILNS1_3genE3ELNS1_11target_archE908ELNS1_3gpuE7ELNS1_3repE0EEENS1_30default_config_static_selectorELNS0_4arch9wavefront6targetE1EEEvT1_
    .private_segment_fixed_size: 0
    .sgpr_count:     6
    .sgpr_spill_count: 0
    .symbol:         _ZN7rocprim17ROCPRIM_400000_NS6detail17trampoline_kernelINS0_14default_configENS1_25partition_config_selectorILNS1_17partition_subalgoE8ElNS0_10empty_typeEbEEZZNS1_14partition_implILS5_8ELb0ES3_jPlPS6_PKS6_NS0_5tupleIJS9_S6_EEENSD_IJSA_SA_EEENS0_18inequality_wrapperIZN2at6native12_GLOBAL__N_124unique_dim_cuda_templateIfEESt5tupleIJNSH_6TensorESM_SM_EERKSM_lbbbEUlllE0_EEPmJS6_EEE10hipError_tPvRmT3_T4_T5_T6_T7_T9_mT8_P12ihipStream_tbDpT10_ENKUlT_T0_E_clISt17integral_constantIbLb1EES1C_EEDaS17_S18_EUlS17_E_NS1_11comp_targetILNS1_3genE3ELNS1_11target_archE908ELNS1_3gpuE7ELNS1_3repE0EEENS1_30default_config_static_selectorELNS0_4arch9wavefront6targetE1EEEvT1_.kd
    .uniform_work_group_size: 1
    .uses_dynamic_stack: false
    .vgpr_count:     0
    .vgpr_spill_count: 0
    .wavefront_size: 64
  - .agpr_count:     0
    .args:
      - .offset:         0
        .size:           136
        .value_kind:     by_value
    .group_segment_fixed_size: 0
    .kernarg_segment_align: 8
    .kernarg_segment_size: 136
    .language:       OpenCL C
    .language_version:
      - 2
      - 0
    .max_flat_workgroup_size: 256
    .name:           _ZN7rocprim17ROCPRIM_400000_NS6detail17trampoline_kernelINS0_14default_configENS1_25partition_config_selectorILNS1_17partition_subalgoE8ElNS0_10empty_typeEbEEZZNS1_14partition_implILS5_8ELb0ES3_jPlPS6_PKS6_NS0_5tupleIJS9_S6_EEENSD_IJSA_SA_EEENS0_18inequality_wrapperIZN2at6native12_GLOBAL__N_124unique_dim_cuda_templateIfEESt5tupleIJNSH_6TensorESM_SM_EERKSM_lbbbEUlllE0_EEPmJS6_EEE10hipError_tPvRmT3_T4_T5_T6_T7_T9_mT8_P12ihipStream_tbDpT10_ENKUlT_T0_E_clISt17integral_constantIbLb1EES1C_EEDaS17_S18_EUlS17_E_NS1_11comp_targetILNS1_3genE2ELNS1_11target_archE906ELNS1_3gpuE6ELNS1_3repE0EEENS1_30default_config_static_selectorELNS0_4arch9wavefront6targetE1EEEvT1_
    .private_segment_fixed_size: 0
    .sgpr_count:     6
    .sgpr_spill_count: 0
    .symbol:         _ZN7rocprim17ROCPRIM_400000_NS6detail17trampoline_kernelINS0_14default_configENS1_25partition_config_selectorILNS1_17partition_subalgoE8ElNS0_10empty_typeEbEEZZNS1_14partition_implILS5_8ELb0ES3_jPlPS6_PKS6_NS0_5tupleIJS9_S6_EEENSD_IJSA_SA_EEENS0_18inequality_wrapperIZN2at6native12_GLOBAL__N_124unique_dim_cuda_templateIfEESt5tupleIJNSH_6TensorESM_SM_EERKSM_lbbbEUlllE0_EEPmJS6_EEE10hipError_tPvRmT3_T4_T5_T6_T7_T9_mT8_P12ihipStream_tbDpT10_ENKUlT_T0_E_clISt17integral_constantIbLb1EES1C_EEDaS17_S18_EUlS17_E_NS1_11comp_targetILNS1_3genE2ELNS1_11target_archE906ELNS1_3gpuE6ELNS1_3repE0EEENS1_30default_config_static_selectorELNS0_4arch9wavefront6targetE1EEEvT1_.kd
    .uniform_work_group_size: 1
    .uses_dynamic_stack: false
    .vgpr_count:     0
    .vgpr_spill_count: 0
    .wavefront_size: 64
  - .agpr_count:     0
    .args:
      - .offset:         0
        .size:           136
        .value_kind:     by_value
    .group_segment_fixed_size: 0
    .kernarg_segment_align: 8
    .kernarg_segment_size: 136
    .language:       OpenCL C
    .language_version:
      - 2
      - 0
    .max_flat_workgroup_size: 384
    .name:           _ZN7rocprim17ROCPRIM_400000_NS6detail17trampoline_kernelINS0_14default_configENS1_25partition_config_selectorILNS1_17partition_subalgoE8ElNS0_10empty_typeEbEEZZNS1_14partition_implILS5_8ELb0ES3_jPlPS6_PKS6_NS0_5tupleIJS9_S6_EEENSD_IJSA_SA_EEENS0_18inequality_wrapperIZN2at6native12_GLOBAL__N_124unique_dim_cuda_templateIfEESt5tupleIJNSH_6TensorESM_SM_EERKSM_lbbbEUlllE0_EEPmJS6_EEE10hipError_tPvRmT3_T4_T5_T6_T7_T9_mT8_P12ihipStream_tbDpT10_ENKUlT_T0_E_clISt17integral_constantIbLb1EES1C_EEDaS17_S18_EUlS17_E_NS1_11comp_targetILNS1_3genE10ELNS1_11target_archE1200ELNS1_3gpuE4ELNS1_3repE0EEENS1_30default_config_static_selectorELNS0_4arch9wavefront6targetE1EEEvT1_
    .private_segment_fixed_size: 0
    .sgpr_count:     6
    .sgpr_spill_count: 0
    .symbol:         _ZN7rocprim17ROCPRIM_400000_NS6detail17trampoline_kernelINS0_14default_configENS1_25partition_config_selectorILNS1_17partition_subalgoE8ElNS0_10empty_typeEbEEZZNS1_14partition_implILS5_8ELb0ES3_jPlPS6_PKS6_NS0_5tupleIJS9_S6_EEENSD_IJSA_SA_EEENS0_18inequality_wrapperIZN2at6native12_GLOBAL__N_124unique_dim_cuda_templateIfEESt5tupleIJNSH_6TensorESM_SM_EERKSM_lbbbEUlllE0_EEPmJS6_EEE10hipError_tPvRmT3_T4_T5_T6_T7_T9_mT8_P12ihipStream_tbDpT10_ENKUlT_T0_E_clISt17integral_constantIbLb1EES1C_EEDaS17_S18_EUlS17_E_NS1_11comp_targetILNS1_3genE10ELNS1_11target_archE1200ELNS1_3gpuE4ELNS1_3repE0EEENS1_30default_config_static_selectorELNS0_4arch9wavefront6targetE1EEEvT1_.kd
    .uniform_work_group_size: 1
    .uses_dynamic_stack: false
    .vgpr_count:     0
    .vgpr_spill_count: 0
    .wavefront_size: 64
  - .agpr_count:     0
    .args:
      - .offset:         0
        .size:           136
        .value_kind:     by_value
    .group_segment_fixed_size: 0
    .kernarg_segment_align: 8
    .kernarg_segment_size: 136
    .language:       OpenCL C
    .language_version:
      - 2
      - 0
    .max_flat_workgroup_size: 512
    .name:           _ZN7rocprim17ROCPRIM_400000_NS6detail17trampoline_kernelINS0_14default_configENS1_25partition_config_selectorILNS1_17partition_subalgoE8ElNS0_10empty_typeEbEEZZNS1_14partition_implILS5_8ELb0ES3_jPlPS6_PKS6_NS0_5tupleIJS9_S6_EEENSD_IJSA_SA_EEENS0_18inequality_wrapperIZN2at6native12_GLOBAL__N_124unique_dim_cuda_templateIfEESt5tupleIJNSH_6TensorESM_SM_EERKSM_lbbbEUlllE0_EEPmJS6_EEE10hipError_tPvRmT3_T4_T5_T6_T7_T9_mT8_P12ihipStream_tbDpT10_ENKUlT_T0_E_clISt17integral_constantIbLb1EES1C_EEDaS17_S18_EUlS17_E_NS1_11comp_targetILNS1_3genE9ELNS1_11target_archE1100ELNS1_3gpuE3ELNS1_3repE0EEENS1_30default_config_static_selectorELNS0_4arch9wavefront6targetE1EEEvT1_
    .private_segment_fixed_size: 0
    .sgpr_count:     6
    .sgpr_spill_count: 0
    .symbol:         _ZN7rocprim17ROCPRIM_400000_NS6detail17trampoline_kernelINS0_14default_configENS1_25partition_config_selectorILNS1_17partition_subalgoE8ElNS0_10empty_typeEbEEZZNS1_14partition_implILS5_8ELb0ES3_jPlPS6_PKS6_NS0_5tupleIJS9_S6_EEENSD_IJSA_SA_EEENS0_18inequality_wrapperIZN2at6native12_GLOBAL__N_124unique_dim_cuda_templateIfEESt5tupleIJNSH_6TensorESM_SM_EERKSM_lbbbEUlllE0_EEPmJS6_EEE10hipError_tPvRmT3_T4_T5_T6_T7_T9_mT8_P12ihipStream_tbDpT10_ENKUlT_T0_E_clISt17integral_constantIbLb1EES1C_EEDaS17_S18_EUlS17_E_NS1_11comp_targetILNS1_3genE9ELNS1_11target_archE1100ELNS1_3gpuE3ELNS1_3repE0EEENS1_30default_config_static_selectorELNS0_4arch9wavefront6targetE1EEEvT1_.kd
    .uniform_work_group_size: 1
    .uses_dynamic_stack: false
    .vgpr_count:     0
    .vgpr_spill_count: 0
    .wavefront_size: 64
  - .agpr_count:     0
    .args:
      - .offset:         0
        .size:           136
        .value_kind:     by_value
    .group_segment_fixed_size: 0
    .kernarg_segment_align: 8
    .kernarg_segment_size: 136
    .language:       OpenCL C
    .language_version:
      - 2
      - 0
    .max_flat_workgroup_size: 512
    .name:           _ZN7rocprim17ROCPRIM_400000_NS6detail17trampoline_kernelINS0_14default_configENS1_25partition_config_selectorILNS1_17partition_subalgoE8ElNS0_10empty_typeEbEEZZNS1_14partition_implILS5_8ELb0ES3_jPlPS6_PKS6_NS0_5tupleIJS9_S6_EEENSD_IJSA_SA_EEENS0_18inequality_wrapperIZN2at6native12_GLOBAL__N_124unique_dim_cuda_templateIfEESt5tupleIJNSH_6TensorESM_SM_EERKSM_lbbbEUlllE0_EEPmJS6_EEE10hipError_tPvRmT3_T4_T5_T6_T7_T9_mT8_P12ihipStream_tbDpT10_ENKUlT_T0_E_clISt17integral_constantIbLb1EES1C_EEDaS17_S18_EUlS17_E_NS1_11comp_targetILNS1_3genE8ELNS1_11target_archE1030ELNS1_3gpuE2ELNS1_3repE0EEENS1_30default_config_static_selectorELNS0_4arch9wavefront6targetE1EEEvT1_
    .private_segment_fixed_size: 0
    .sgpr_count:     6
    .sgpr_spill_count: 0
    .symbol:         _ZN7rocprim17ROCPRIM_400000_NS6detail17trampoline_kernelINS0_14default_configENS1_25partition_config_selectorILNS1_17partition_subalgoE8ElNS0_10empty_typeEbEEZZNS1_14partition_implILS5_8ELb0ES3_jPlPS6_PKS6_NS0_5tupleIJS9_S6_EEENSD_IJSA_SA_EEENS0_18inequality_wrapperIZN2at6native12_GLOBAL__N_124unique_dim_cuda_templateIfEESt5tupleIJNSH_6TensorESM_SM_EERKSM_lbbbEUlllE0_EEPmJS6_EEE10hipError_tPvRmT3_T4_T5_T6_T7_T9_mT8_P12ihipStream_tbDpT10_ENKUlT_T0_E_clISt17integral_constantIbLb1EES1C_EEDaS17_S18_EUlS17_E_NS1_11comp_targetILNS1_3genE8ELNS1_11target_archE1030ELNS1_3gpuE2ELNS1_3repE0EEENS1_30default_config_static_selectorELNS0_4arch9wavefront6targetE1EEEvT1_.kd
    .uniform_work_group_size: 1
    .uses_dynamic_stack: false
    .vgpr_count:     0
    .vgpr_spill_count: 0
    .wavefront_size: 64
  - .agpr_count:     0
    .args:
      - .offset:         0
        .size:           120
        .value_kind:     by_value
    .group_segment_fixed_size: 0
    .kernarg_segment_align: 8
    .kernarg_segment_size: 120
    .language:       OpenCL C
    .language_version:
      - 2
      - 0
    .max_flat_workgroup_size: 512
    .name:           _ZN7rocprim17ROCPRIM_400000_NS6detail17trampoline_kernelINS0_14default_configENS1_25partition_config_selectorILNS1_17partition_subalgoE8ElNS0_10empty_typeEbEEZZNS1_14partition_implILS5_8ELb0ES3_jPlPS6_PKS6_NS0_5tupleIJS9_S6_EEENSD_IJSA_SA_EEENS0_18inequality_wrapperIZN2at6native12_GLOBAL__N_124unique_dim_cuda_templateIfEESt5tupleIJNSH_6TensorESM_SM_EERKSM_lbbbEUlllE0_EEPmJS6_EEE10hipError_tPvRmT3_T4_T5_T6_T7_T9_mT8_P12ihipStream_tbDpT10_ENKUlT_T0_E_clISt17integral_constantIbLb1EES1B_IbLb0EEEEDaS17_S18_EUlS17_E_NS1_11comp_targetILNS1_3genE0ELNS1_11target_archE4294967295ELNS1_3gpuE0ELNS1_3repE0EEENS1_30default_config_static_selectorELNS0_4arch9wavefront6targetE1EEEvT1_
    .private_segment_fixed_size: 0
    .sgpr_count:     6
    .sgpr_spill_count: 0
    .symbol:         _ZN7rocprim17ROCPRIM_400000_NS6detail17trampoline_kernelINS0_14default_configENS1_25partition_config_selectorILNS1_17partition_subalgoE8ElNS0_10empty_typeEbEEZZNS1_14partition_implILS5_8ELb0ES3_jPlPS6_PKS6_NS0_5tupleIJS9_S6_EEENSD_IJSA_SA_EEENS0_18inequality_wrapperIZN2at6native12_GLOBAL__N_124unique_dim_cuda_templateIfEESt5tupleIJNSH_6TensorESM_SM_EERKSM_lbbbEUlllE0_EEPmJS6_EEE10hipError_tPvRmT3_T4_T5_T6_T7_T9_mT8_P12ihipStream_tbDpT10_ENKUlT_T0_E_clISt17integral_constantIbLb1EES1B_IbLb0EEEEDaS17_S18_EUlS17_E_NS1_11comp_targetILNS1_3genE0ELNS1_11target_archE4294967295ELNS1_3gpuE0ELNS1_3repE0EEENS1_30default_config_static_selectorELNS0_4arch9wavefront6targetE1EEEvT1_.kd
    .uniform_work_group_size: 1
    .uses_dynamic_stack: false
    .vgpr_count:     0
    .vgpr_spill_count: 0
    .wavefront_size: 64
  - .agpr_count:     0
    .args:
      - .offset:         0
        .size:           120
        .value_kind:     by_value
    .group_segment_fixed_size: 0
    .kernarg_segment_align: 8
    .kernarg_segment_size: 120
    .language:       OpenCL C
    .language_version:
      - 2
      - 0
    .max_flat_workgroup_size: 512
    .name:           _ZN7rocprim17ROCPRIM_400000_NS6detail17trampoline_kernelINS0_14default_configENS1_25partition_config_selectorILNS1_17partition_subalgoE8ElNS0_10empty_typeEbEEZZNS1_14partition_implILS5_8ELb0ES3_jPlPS6_PKS6_NS0_5tupleIJS9_S6_EEENSD_IJSA_SA_EEENS0_18inequality_wrapperIZN2at6native12_GLOBAL__N_124unique_dim_cuda_templateIfEESt5tupleIJNSH_6TensorESM_SM_EERKSM_lbbbEUlllE0_EEPmJS6_EEE10hipError_tPvRmT3_T4_T5_T6_T7_T9_mT8_P12ihipStream_tbDpT10_ENKUlT_T0_E_clISt17integral_constantIbLb1EES1B_IbLb0EEEEDaS17_S18_EUlS17_E_NS1_11comp_targetILNS1_3genE5ELNS1_11target_archE942ELNS1_3gpuE9ELNS1_3repE0EEENS1_30default_config_static_selectorELNS0_4arch9wavefront6targetE1EEEvT1_
    .private_segment_fixed_size: 0
    .sgpr_count:     6
    .sgpr_spill_count: 0
    .symbol:         _ZN7rocprim17ROCPRIM_400000_NS6detail17trampoline_kernelINS0_14default_configENS1_25partition_config_selectorILNS1_17partition_subalgoE8ElNS0_10empty_typeEbEEZZNS1_14partition_implILS5_8ELb0ES3_jPlPS6_PKS6_NS0_5tupleIJS9_S6_EEENSD_IJSA_SA_EEENS0_18inequality_wrapperIZN2at6native12_GLOBAL__N_124unique_dim_cuda_templateIfEESt5tupleIJNSH_6TensorESM_SM_EERKSM_lbbbEUlllE0_EEPmJS6_EEE10hipError_tPvRmT3_T4_T5_T6_T7_T9_mT8_P12ihipStream_tbDpT10_ENKUlT_T0_E_clISt17integral_constantIbLb1EES1B_IbLb0EEEEDaS17_S18_EUlS17_E_NS1_11comp_targetILNS1_3genE5ELNS1_11target_archE942ELNS1_3gpuE9ELNS1_3repE0EEENS1_30default_config_static_selectorELNS0_4arch9wavefront6targetE1EEEvT1_.kd
    .uniform_work_group_size: 1
    .uses_dynamic_stack: false
    .vgpr_count:     0
    .vgpr_spill_count: 0
    .wavefront_size: 64
  - .agpr_count:     0
    .args:
      - .offset:         0
        .size:           120
        .value_kind:     by_value
    .group_segment_fixed_size: 0
    .kernarg_segment_align: 8
    .kernarg_segment_size: 120
    .language:       OpenCL C
    .language_version:
      - 2
      - 0
    .max_flat_workgroup_size: 256
    .name:           _ZN7rocprim17ROCPRIM_400000_NS6detail17trampoline_kernelINS0_14default_configENS1_25partition_config_selectorILNS1_17partition_subalgoE8ElNS0_10empty_typeEbEEZZNS1_14partition_implILS5_8ELb0ES3_jPlPS6_PKS6_NS0_5tupleIJS9_S6_EEENSD_IJSA_SA_EEENS0_18inequality_wrapperIZN2at6native12_GLOBAL__N_124unique_dim_cuda_templateIfEESt5tupleIJNSH_6TensorESM_SM_EERKSM_lbbbEUlllE0_EEPmJS6_EEE10hipError_tPvRmT3_T4_T5_T6_T7_T9_mT8_P12ihipStream_tbDpT10_ENKUlT_T0_E_clISt17integral_constantIbLb1EES1B_IbLb0EEEEDaS17_S18_EUlS17_E_NS1_11comp_targetILNS1_3genE4ELNS1_11target_archE910ELNS1_3gpuE8ELNS1_3repE0EEENS1_30default_config_static_selectorELNS0_4arch9wavefront6targetE1EEEvT1_
    .private_segment_fixed_size: 0
    .sgpr_count:     6
    .sgpr_spill_count: 0
    .symbol:         _ZN7rocprim17ROCPRIM_400000_NS6detail17trampoline_kernelINS0_14default_configENS1_25partition_config_selectorILNS1_17partition_subalgoE8ElNS0_10empty_typeEbEEZZNS1_14partition_implILS5_8ELb0ES3_jPlPS6_PKS6_NS0_5tupleIJS9_S6_EEENSD_IJSA_SA_EEENS0_18inequality_wrapperIZN2at6native12_GLOBAL__N_124unique_dim_cuda_templateIfEESt5tupleIJNSH_6TensorESM_SM_EERKSM_lbbbEUlllE0_EEPmJS6_EEE10hipError_tPvRmT3_T4_T5_T6_T7_T9_mT8_P12ihipStream_tbDpT10_ENKUlT_T0_E_clISt17integral_constantIbLb1EES1B_IbLb0EEEEDaS17_S18_EUlS17_E_NS1_11comp_targetILNS1_3genE4ELNS1_11target_archE910ELNS1_3gpuE8ELNS1_3repE0EEENS1_30default_config_static_selectorELNS0_4arch9wavefront6targetE1EEEvT1_.kd
    .uniform_work_group_size: 1
    .uses_dynamic_stack: false
    .vgpr_count:     0
    .vgpr_spill_count: 0
    .wavefront_size: 64
  - .agpr_count:     0
    .args:
      - .offset:         0
        .size:           120
        .value_kind:     by_value
    .group_segment_fixed_size: 0
    .kernarg_segment_align: 8
    .kernarg_segment_size: 120
    .language:       OpenCL C
    .language_version:
      - 2
      - 0
    .max_flat_workgroup_size: 512
    .name:           _ZN7rocprim17ROCPRIM_400000_NS6detail17trampoline_kernelINS0_14default_configENS1_25partition_config_selectorILNS1_17partition_subalgoE8ElNS0_10empty_typeEbEEZZNS1_14partition_implILS5_8ELb0ES3_jPlPS6_PKS6_NS0_5tupleIJS9_S6_EEENSD_IJSA_SA_EEENS0_18inequality_wrapperIZN2at6native12_GLOBAL__N_124unique_dim_cuda_templateIfEESt5tupleIJNSH_6TensorESM_SM_EERKSM_lbbbEUlllE0_EEPmJS6_EEE10hipError_tPvRmT3_T4_T5_T6_T7_T9_mT8_P12ihipStream_tbDpT10_ENKUlT_T0_E_clISt17integral_constantIbLb1EES1B_IbLb0EEEEDaS17_S18_EUlS17_E_NS1_11comp_targetILNS1_3genE3ELNS1_11target_archE908ELNS1_3gpuE7ELNS1_3repE0EEENS1_30default_config_static_selectorELNS0_4arch9wavefront6targetE1EEEvT1_
    .private_segment_fixed_size: 0
    .sgpr_count:     6
    .sgpr_spill_count: 0
    .symbol:         _ZN7rocprim17ROCPRIM_400000_NS6detail17trampoline_kernelINS0_14default_configENS1_25partition_config_selectorILNS1_17partition_subalgoE8ElNS0_10empty_typeEbEEZZNS1_14partition_implILS5_8ELb0ES3_jPlPS6_PKS6_NS0_5tupleIJS9_S6_EEENSD_IJSA_SA_EEENS0_18inequality_wrapperIZN2at6native12_GLOBAL__N_124unique_dim_cuda_templateIfEESt5tupleIJNSH_6TensorESM_SM_EERKSM_lbbbEUlllE0_EEPmJS6_EEE10hipError_tPvRmT3_T4_T5_T6_T7_T9_mT8_P12ihipStream_tbDpT10_ENKUlT_T0_E_clISt17integral_constantIbLb1EES1B_IbLb0EEEEDaS17_S18_EUlS17_E_NS1_11comp_targetILNS1_3genE3ELNS1_11target_archE908ELNS1_3gpuE7ELNS1_3repE0EEENS1_30default_config_static_selectorELNS0_4arch9wavefront6targetE1EEEvT1_.kd
    .uniform_work_group_size: 1
    .uses_dynamic_stack: false
    .vgpr_count:     0
    .vgpr_spill_count: 0
    .wavefront_size: 64
  - .agpr_count:     0
    .args:
      - .offset:         0
        .size:           120
        .value_kind:     by_value
    .group_segment_fixed_size: 0
    .kernarg_segment_align: 8
    .kernarg_segment_size: 120
    .language:       OpenCL C
    .language_version:
      - 2
      - 0
    .max_flat_workgroup_size: 256
    .name:           _ZN7rocprim17ROCPRIM_400000_NS6detail17trampoline_kernelINS0_14default_configENS1_25partition_config_selectorILNS1_17partition_subalgoE8ElNS0_10empty_typeEbEEZZNS1_14partition_implILS5_8ELb0ES3_jPlPS6_PKS6_NS0_5tupleIJS9_S6_EEENSD_IJSA_SA_EEENS0_18inequality_wrapperIZN2at6native12_GLOBAL__N_124unique_dim_cuda_templateIfEESt5tupleIJNSH_6TensorESM_SM_EERKSM_lbbbEUlllE0_EEPmJS6_EEE10hipError_tPvRmT3_T4_T5_T6_T7_T9_mT8_P12ihipStream_tbDpT10_ENKUlT_T0_E_clISt17integral_constantIbLb1EES1B_IbLb0EEEEDaS17_S18_EUlS17_E_NS1_11comp_targetILNS1_3genE2ELNS1_11target_archE906ELNS1_3gpuE6ELNS1_3repE0EEENS1_30default_config_static_selectorELNS0_4arch9wavefront6targetE1EEEvT1_
    .private_segment_fixed_size: 0
    .sgpr_count:     6
    .sgpr_spill_count: 0
    .symbol:         _ZN7rocprim17ROCPRIM_400000_NS6detail17trampoline_kernelINS0_14default_configENS1_25partition_config_selectorILNS1_17partition_subalgoE8ElNS0_10empty_typeEbEEZZNS1_14partition_implILS5_8ELb0ES3_jPlPS6_PKS6_NS0_5tupleIJS9_S6_EEENSD_IJSA_SA_EEENS0_18inequality_wrapperIZN2at6native12_GLOBAL__N_124unique_dim_cuda_templateIfEESt5tupleIJNSH_6TensorESM_SM_EERKSM_lbbbEUlllE0_EEPmJS6_EEE10hipError_tPvRmT3_T4_T5_T6_T7_T9_mT8_P12ihipStream_tbDpT10_ENKUlT_T0_E_clISt17integral_constantIbLb1EES1B_IbLb0EEEEDaS17_S18_EUlS17_E_NS1_11comp_targetILNS1_3genE2ELNS1_11target_archE906ELNS1_3gpuE6ELNS1_3repE0EEENS1_30default_config_static_selectorELNS0_4arch9wavefront6targetE1EEEvT1_.kd
    .uniform_work_group_size: 1
    .uses_dynamic_stack: false
    .vgpr_count:     0
    .vgpr_spill_count: 0
    .wavefront_size: 64
  - .agpr_count:     0
    .args:
      - .offset:         0
        .size:           120
        .value_kind:     by_value
    .group_segment_fixed_size: 0
    .kernarg_segment_align: 8
    .kernarg_segment_size: 120
    .language:       OpenCL C
    .language_version:
      - 2
      - 0
    .max_flat_workgroup_size: 384
    .name:           _ZN7rocprim17ROCPRIM_400000_NS6detail17trampoline_kernelINS0_14default_configENS1_25partition_config_selectorILNS1_17partition_subalgoE8ElNS0_10empty_typeEbEEZZNS1_14partition_implILS5_8ELb0ES3_jPlPS6_PKS6_NS0_5tupleIJS9_S6_EEENSD_IJSA_SA_EEENS0_18inequality_wrapperIZN2at6native12_GLOBAL__N_124unique_dim_cuda_templateIfEESt5tupleIJNSH_6TensorESM_SM_EERKSM_lbbbEUlllE0_EEPmJS6_EEE10hipError_tPvRmT3_T4_T5_T6_T7_T9_mT8_P12ihipStream_tbDpT10_ENKUlT_T0_E_clISt17integral_constantIbLb1EES1B_IbLb0EEEEDaS17_S18_EUlS17_E_NS1_11comp_targetILNS1_3genE10ELNS1_11target_archE1200ELNS1_3gpuE4ELNS1_3repE0EEENS1_30default_config_static_selectorELNS0_4arch9wavefront6targetE1EEEvT1_
    .private_segment_fixed_size: 0
    .sgpr_count:     6
    .sgpr_spill_count: 0
    .symbol:         _ZN7rocprim17ROCPRIM_400000_NS6detail17trampoline_kernelINS0_14default_configENS1_25partition_config_selectorILNS1_17partition_subalgoE8ElNS0_10empty_typeEbEEZZNS1_14partition_implILS5_8ELb0ES3_jPlPS6_PKS6_NS0_5tupleIJS9_S6_EEENSD_IJSA_SA_EEENS0_18inequality_wrapperIZN2at6native12_GLOBAL__N_124unique_dim_cuda_templateIfEESt5tupleIJNSH_6TensorESM_SM_EERKSM_lbbbEUlllE0_EEPmJS6_EEE10hipError_tPvRmT3_T4_T5_T6_T7_T9_mT8_P12ihipStream_tbDpT10_ENKUlT_T0_E_clISt17integral_constantIbLb1EES1B_IbLb0EEEEDaS17_S18_EUlS17_E_NS1_11comp_targetILNS1_3genE10ELNS1_11target_archE1200ELNS1_3gpuE4ELNS1_3repE0EEENS1_30default_config_static_selectorELNS0_4arch9wavefront6targetE1EEEvT1_.kd
    .uniform_work_group_size: 1
    .uses_dynamic_stack: false
    .vgpr_count:     0
    .vgpr_spill_count: 0
    .wavefront_size: 64
  - .agpr_count:     0
    .args:
      - .offset:         0
        .size:           120
        .value_kind:     by_value
    .group_segment_fixed_size: 0
    .kernarg_segment_align: 8
    .kernarg_segment_size: 120
    .language:       OpenCL C
    .language_version:
      - 2
      - 0
    .max_flat_workgroup_size: 512
    .name:           _ZN7rocprim17ROCPRIM_400000_NS6detail17trampoline_kernelINS0_14default_configENS1_25partition_config_selectorILNS1_17partition_subalgoE8ElNS0_10empty_typeEbEEZZNS1_14partition_implILS5_8ELb0ES3_jPlPS6_PKS6_NS0_5tupleIJS9_S6_EEENSD_IJSA_SA_EEENS0_18inequality_wrapperIZN2at6native12_GLOBAL__N_124unique_dim_cuda_templateIfEESt5tupleIJNSH_6TensorESM_SM_EERKSM_lbbbEUlllE0_EEPmJS6_EEE10hipError_tPvRmT3_T4_T5_T6_T7_T9_mT8_P12ihipStream_tbDpT10_ENKUlT_T0_E_clISt17integral_constantIbLb1EES1B_IbLb0EEEEDaS17_S18_EUlS17_E_NS1_11comp_targetILNS1_3genE9ELNS1_11target_archE1100ELNS1_3gpuE3ELNS1_3repE0EEENS1_30default_config_static_selectorELNS0_4arch9wavefront6targetE1EEEvT1_
    .private_segment_fixed_size: 0
    .sgpr_count:     6
    .sgpr_spill_count: 0
    .symbol:         _ZN7rocprim17ROCPRIM_400000_NS6detail17trampoline_kernelINS0_14default_configENS1_25partition_config_selectorILNS1_17partition_subalgoE8ElNS0_10empty_typeEbEEZZNS1_14partition_implILS5_8ELb0ES3_jPlPS6_PKS6_NS0_5tupleIJS9_S6_EEENSD_IJSA_SA_EEENS0_18inequality_wrapperIZN2at6native12_GLOBAL__N_124unique_dim_cuda_templateIfEESt5tupleIJNSH_6TensorESM_SM_EERKSM_lbbbEUlllE0_EEPmJS6_EEE10hipError_tPvRmT3_T4_T5_T6_T7_T9_mT8_P12ihipStream_tbDpT10_ENKUlT_T0_E_clISt17integral_constantIbLb1EES1B_IbLb0EEEEDaS17_S18_EUlS17_E_NS1_11comp_targetILNS1_3genE9ELNS1_11target_archE1100ELNS1_3gpuE3ELNS1_3repE0EEENS1_30default_config_static_selectorELNS0_4arch9wavefront6targetE1EEEvT1_.kd
    .uniform_work_group_size: 1
    .uses_dynamic_stack: false
    .vgpr_count:     0
    .vgpr_spill_count: 0
    .wavefront_size: 64
  - .agpr_count:     0
    .args:
      - .offset:         0
        .size:           120
        .value_kind:     by_value
    .group_segment_fixed_size: 0
    .kernarg_segment_align: 8
    .kernarg_segment_size: 120
    .language:       OpenCL C
    .language_version:
      - 2
      - 0
    .max_flat_workgroup_size: 512
    .name:           _ZN7rocprim17ROCPRIM_400000_NS6detail17trampoline_kernelINS0_14default_configENS1_25partition_config_selectorILNS1_17partition_subalgoE8ElNS0_10empty_typeEbEEZZNS1_14partition_implILS5_8ELb0ES3_jPlPS6_PKS6_NS0_5tupleIJS9_S6_EEENSD_IJSA_SA_EEENS0_18inequality_wrapperIZN2at6native12_GLOBAL__N_124unique_dim_cuda_templateIfEESt5tupleIJNSH_6TensorESM_SM_EERKSM_lbbbEUlllE0_EEPmJS6_EEE10hipError_tPvRmT3_T4_T5_T6_T7_T9_mT8_P12ihipStream_tbDpT10_ENKUlT_T0_E_clISt17integral_constantIbLb1EES1B_IbLb0EEEEDaS17_S18_EUlS17_E_NS1_11comp_targetILNS1_3genE8ELNS1_11target_archE1030ELNS1_3gpuE2ELNS1_3repE0EEENS1_30default_config_static_selectorELNS0_4arch9wavefront6targetE1EEEvT1_
    .private_segment_fixed_size: 0
    .sgpr_count:     6
    .sgpr_spill_count: 0
    .symbol:         _ZN7rocprim17ROCPRIM_400000_NS6detail17trampoline_kernelINS0_14default_configENS1_25partition_config_selectorILNS1_17partition_subalgoE8ElNS0_10empty_typeEbEEZZNS1_14partition_implILS5_8ELb0ES3_jPlPS6_PKS6_NS0_5tupleIJS9_S6_EEENSD_IJSA_SA_EEENS0_18inequality_wrapperIZN2at6native12_GLOBAL__N_124unique_dim_cuda_templateIfEESt5tupleIJNSH_6TensorESM_SM_EERKSM_lbbbEUlllE0_EEPmJS6_EEE10hipError_tPvRmT3_T4_T5_T6_T7_T9_mT8_P12ihipStream_tbDpT10_ENKUlT_T0_E_clISt17integral_constantIbLb1EES1B_IbLb0EEEEDaS17_S18_EUlS17_E_NS1_11comp_targetILNS1_3genE8ELNS1_11target_archE1030ELNS1_3gpuE2ELNS1_3repE0EEENS1_30default_config_static_selectorELNS0_4arch9wavefront6targetE1EEEvT1_.kd
    .uniform_work_group_size: 1
    .uses_dynamic_stack: false
    .vgpr_count:     0
    .vgpr_spill_count: 0
    .wavefront_size: 64
  - .agpr_count:     0
    .args:
      - .offset:         0
        .size:           136
        .value_kind:     by_value
    .group_segment_fixed_size: 28680
    .kernarg_segment_align: 8
    .kernarg_segment_size: 136
    .language:       OpenCL C
    .language_version:
      - 2
      - 0
    .max_flat_workgroup_size: 512
    .name:           _ZN7rocprim17ROCPRIM_400000_NS6detail17trampoline_kernelINS0_14default_configENS1_25partition_config_selectorILNS1_17partition_subalgoE8ElNS0_10empty_typeEbEEZZNS1_14partition_implILS5_8ELb0ES3_jPlPS6_PKS6_NS0_5tupleIJS9_S6_EEENSD_IJSA_SA_EEENS0_18inequality_wrapperIZN2at6native12_GLOBAL__N_124unique_dim_cuda_templateIfEESt5tupleIJNSH_6TensorESM_SM_EERKSM_lbbbEUlllE0_EEPmJS6_EEE10hipError_tPvRmT3_T4_T5_T6_T7_T9_mT8_P12ihipStream_tbDpT10_ENKUlT_T0_E_clISt17integral_constantIbLb0EES1B_IbLb1EEEEDaS17_S18_EUlS17_E_NS1_11comp_targetILNS1_3genE0ELNS1_11target_archE4294967295ELNS1_3gpuE0ELNS1_3repE0EEENS1_30default_config_static_selectorELNS0_4arch9wavefront6targetE1EEEvT1_
    .private_segment_fixed_size: 0
    .sgpr_count:     60
    .sgpr_spill_count: 0
    .symbol:         _ZN7rocprim17ROCPRIM_400000_NS6detail17trampoline_kernelINS0_14default_configENS1_25partition_config_selectorILNS1_17partition_subalgoE8ElNS0_10empty_typeEbEEZZNS1_14partition_implILS5_8ELb0ES3_jPlPS6_PKS6_NS0_5tupleIJS9_S6_EEENSD_IJSA_SA_EEENS0_18inequality_wrapperIZN2at6native12_GLOBAL__N_124unique_dim_cuda_templateIfEESt5tupleIJNSH_6TensorESM_SM_EERKSM_lbbbEUlllE0_EEPmJS6_EEE10hipError_tPvRmT3_T4_T5_T6_T7_T9_mT8_P12ihipStream_tbDpT10_ENKUlT_T0_E_clISt17integral_constantIbLb0EES1B_IbLb1EEEEDaS17_S18_EUlS17_E_NS1_11comp_targetILNS1_3genE0ELNS1_11target_archE4294967295ELNS1_3gpuE0ELNS1_3repE0EEENS1_30default_config_static_selectorELNS0_4arch9wavefront6targetE1EEEvT1_.kd
    .uniform_work_group_size: 1
    .uses_dynamic_stack: false
    .vgpr_count:     58
    .vgpr_spill_count: 0
    .wavefront_size: 64
  - .agpr_count:     0
    .args:
      - .offset:         0
        .size:           136
        .value_kind:     by_value
    .group_segment_fixed_size: 0
    .kernarg_segment_align: 8
    .kernarg_segment_size: 136
    .language:       OpenCL C
    .language_version:
      - 2
      - 0
    .max_flat_workgroup_size: 512
    .name:           _ZN7rocprim17ROCPRIM_400000_NS6detail17trampoline_kernelINS0_14default_configENS1_25partition_config_selectorILNS1_17partition_subalgoE8ElNS0_10empty_typeEbEEZZNS1_14partition_implILS5_8ELb0ES3_jPlPS6_PKS6_NS0_5tupleIJS9_S6_EEENSD_IJSA_SA_EEENS0_18inequality_wrapperIZN2at6native12_GLOBAL__N_124unique_dim_cuda_templateIfEESt5tupleIJNSH_6TensorESM_SM_EERKSM_lbbbEUlllE0_EEPmJS6_EEE10hipError_tPvRmT3_T4_T5_T6_T7_T9_mT8_P12ihipStream_tbDpT10_ENKUlT_T0_E_clISt17integral_constantIbLb0EES1B_IbLb1EEEEDaS17_S18_EUlS17_E_NS1_11comp_targetILNS1_3genE5ELNS1_11target_archE942ELNS1_3gpuE9ELNS1_3repE0EEENS1_30default_config_static_selectorELNS0_4arch9wavefront6targetE1EEEvT1_
    .private_segment_fixed_size: 0
    .sgpr_count:     6
    .sgpr_spill_count: 0
    .symbol:         _ZN7rocprim17ROCPRIM_400000_NS6detail17trampoline_kernelINS0_14default_configENS1_25partition_config_selectorILNS1_17partition_subalgoE8ElNS0_10empty_typeEbEEZZNS1_14partition_implILS5_8ELb0ES3_jPlPS6_PKS6_NS0_5tupleIJS9_S6_EEENSD_IJSA_SA_EEENS0_18inequality_wrapperIZN2at6native12_GLOBAL__N_124unique_dim_cuda_templateIfEESt5tupleIJNSH_6TensorESM_SM_EERKSM_lbbbEUlllE0_EEPmJS6_EEE10hipError_tPvRmT3_T4_T5_T6_T7_T9_mT8_P12ihipStream_tbDpT10_ENKUlT_T0_E_clISt17integral_constantIbLb0EES1B_IbLb1EEEEDaS17_S18_EUlS17_E_NS1_11comp_targetILNS1_3genE5ELNS1_11target_archE942ELNS1_3gpuE9ELNS1_3repE0EEENS1_30default_config_static_selectorELNS0_4arch9wavefront6targetE1EEEvT1_.kd
    .uniform_work_group_size: 1
    .uses_dynamic_stack: false
    .vgpr_count:     0
    .vgpr_spill_count: 0
    .wavefront_size: 64
  - .agpr_count:     0
    .args:
      - .offset:         0
        .size:           136
        .value_kind:     by_value
    .group_segment_fixed_size: 0
    .kernarg_segment_align: 8
    .kernarg_segment_size: 136
    .language:       OpenCL C
    .language_version:
      - 2
      - 0
    .max_flat_workgroup_size: 256
    .name:           _ZN7rocprim17ROCPRIM_400000_NS6detail17trampoline_kernelINS0_14default_configENS1_25partition_config_selectorILNS1_17partition_subalgoE8ElNS0_10empty_typeEbEEZZNS1_14partition_implILS5_8ELb0ES3_jPlPS6_PKS6_NS0_5tupleIJS9_S6_EEENSD_IJSA_SA_EEENS0_18inequality_wrapperIZN2at6native12_GLOBAL__N_124unique_dim_cuda_templateIfEESt5tupleIJNSH_6TensorESM_SM_EERKSM_lbbbEUlllE0_EEPmJS6_EEE10hipError_tPvRmT3_T4_T5_T6_T7_T9_mT8_P12ihipStream_tbDpT10_ENKUlT_T0_E_clISt17integral_constantIbLb0EES1B_IbLb1EEEEDaS17_S18_EUlS17_E_NS1_11comp_targetILNS1_3genE4ELNS1_11target_archE910ELNS1_3gpuE8ELNS1_3repE0EEENS1_30default_config_static_selectorELNS0_4arch9wavefront6targetE1EEEvT1_
    .private_segment_fixed_size: 0
    .sgpr_count:     6
    .sgpr_spill_count: 0
    .symbol:         _ZN7rocprim17ROCPRIM_400000_NS6detail17trampoline_kernelINS0_14default_configENS1_25partition_config_selectorILNS1_17partition_subalgoE8ElNS0_10empty_typeEbEEZZNS1_14partition_implILS5_8ELb0ES3_jPlPS6_PKS6_NS0_5tupleIJS9_S6_EEENSD_IJSA_SA_EEENS0_18inequality_wrapperIZN2at6native12_GLOBAL__N_124unique_dim_cuda_templateIfEESt5tupleIJNSH_6TensorESM_SM_EERKSM_lbbbEUlllE0_EEPmJS6_EEE10hipError_tPvRmT3_T4_T5_T6_T7_T9_mT8_P12ihipStream_tbDpT10_ENKUlT_T0_E_clISt17integral_constantIbLb0EES1B_IbLb1EEEEDaS17_S18_EUlS17_E_NS1_11comp_targetILNS1_3genE4ELNS1_11target_archE910ELNS1_3gpuE8ELNS1_3repE0EEENS1_30default_config_static_selectorELNS0_4arch9wavefront6targetE1EEEvT1_.kd
    .uniform_work_group_size: 1
    .uses_dynamic_stack: false
    .vgpr_count:     0
    .vgpr_spill_count: 0
    .wavefront_size: 64
  - .agpr_count:     0
    .args:
      - .offset:         0
        .size:           136
        .value_kind:     by_value
    .group_segment_fixed_size: 0
    .kernarg_segment_align: 8
    .kernarg_segment_size: 136
    .language:       OpenCL C
    .language_version:
      - 2
      - 0
    .max_flat_workgroup_size: 512
    .name:           _ZN7rocprim17ROCPRIM_400000_NS6detail17trampoline_kernelINS0_14default_configENS1_25partition_config_selectorILNS1_17partition_subalgoE8ElNS0_10empty_typeEbEEZZNS1_14partition_implILS5_8ELb0ES3_jPlPS6_PKS6_NS0_5tupleIJS9_S6_EEENSD_IJSA_SA_EEENS0_18inequality_wrapperIZN2at6native12_GLOBAL__N_124unique_dim_cuda_templateIfEESt5tupleIJNSH_6TensorESM_SM_EERKSM_lbbbEUlllE0_EEPmJS6_EEE10hipError_tPvRmT3_T4_T5_T6_T7_T9_mT8_P12ihipStream_tbDpT10_ENKUlT_T0_E_clISt17integral_constantIbLb0EES1B_IbLb1EEEEDaS17_S18_EUlS17_E_NS1_11comp_targetILNS1_3genE3ELNS1_11target_archE908ELNS1_3gpuE7ELNS1_3repE0EEENS1_30default_config_static_selectorELNS0_4arch9wavefront6targetE1EEEvT1_
    .private_segment_fixed_size: 0
    .sgpr_count:     6
    .sgpr_spill_count: 0
    .symbol:         _ZN7rocprim17ROCPRIM_400000_NS6detail17trampoline_kernelINS0_14default_configENS1_25partition_config_selectorILNS1_17partition_subalgoE8ElNS0_10empty_typeEbEEZZNS1_14partition_implILS5_8ELb0ES3_jPlPS6_PKS6_NS0_5tupleIJS9_S6_EEENSD_IJSA_SA_EEENS0_18inequality_wrapperIZN2at6native12_GLOBAL__N_124unique_dim_cuda_templateIfEESt5tupleIJNSH_6TensorESM_SM_EERKSM_lbbbEUlllE0_EEPmJS6_EEE10hipError_tPvRmT3_T4_T5_T6_T7_T9_mT8_P12ihipStream_tbDpT10_ENKUlT_T0_E_clISt17integral_constantIbLb0EES1B_IbLb1EEEEDaS17_S18_EUlS17_E_NS1_11comp_targetILNS1_3genE3ELNS1_11target_archE908ELNS1_3gpuE7ELNS1_3repE0EEENS1_30default_config_static_selectorELNS0_4arch9wavefront6targetE1EEEvT1_.kd
    .uniform_work_group_size: 1
    .uses_dynamic_stack: false
    .vgpr_count:     0
    .vgpr_spill_count: 0
    .wavefront_size: 64
  - .agpr_count:     0
    .args:
      - .offset:         0
        .size:           136
        .value_kind:     by_value
    .group_segment_fixed_size: 0
    .kernarg_segment_align: 8
    .kernarg_segment_size: 136
    .language:       OpenCL C
    .language_version:
      - 2
      - 0
    .max_flat_workgroup_size: 256
    .name:           _ZN7rocprim17ROCPRIM_400000_NS6detail17trampoline_kernelINS0_14default_configENS1_25partition_config_selectorILNS1_17partition_subalgoE8ElNS0_10empty_typeEbEEZZNS1_14partition_implILS5_8ELb0ES3_jPlPS6_PKS6_NS0_5tupleIJS9_S6_EEENSD_IJSA_SA_EEENS0_18inequality_wrapperIZN2at6native12_GLOBAL__N_124unique_dim_cuda_templateIfEESt5tupleIJNSH_6TensorESM_SM_EERKSM_lbbbEUlllE0_EEPmJS6_EEE10hipError_tPvRmT3_T4_T5_T6_T7_T9_mT8_P12ihipStream_tbDpT10_ENKUlT_T0_E_clISt17integral_constantIbLb0EES1B_IbLb1EEEEDaS17_S18_EUlS17_E_NS1_11comp_targetILNS1_3genE2ELNS1_11target_archE906ELNS1_3gpuE6ELNS1_3repE0EEENS1_30default_config_static_selectorELNS0_4arch9wavefront6targetE1EEEvT1_
    .private_segment_fixed_size: 0
    .sgpr_count:     6
    .sgpr_spill_count: 0
    .symbol:         _ZN7rocprim17ROCPRIM_400000_NS6detail17trampoline_kernelINS0_14default_configENS1_25partition_config_selectorILNS1_17partition_subalgoE8ElNS0_10empty_typeEbEEZZNS1_14partition_implILS5_8ELb0ES3_jPlPS6_PKS6_NS0_5tupleIJS9_S6_EEENSD_IJSA_SA_EEENS0_18inequality_wrapperIZN2at6native12_GLOBAL__N_124unique_dim_cuda_templateIfEESt5tupleIJNSH_6TensorESM_SM_EERKSM_lbbbEUlllE0_EEPmJS6_EEE10hipError_tPvRmT3_T4_T5_T6_T7_T9_mT8_P12ihipStream_tbDpT10_ENKUlT_T0_E_clISt17integral_constantIbLb0EES1B_IbLb1EEEEDaS17_S18_EUlS17_E_NS1_11comp_targetILNS1_3genE2ELNS1_11target_archE906ELNS1_3gpuE6ELNS1_3repE0EEENS1_30default_config_static_selectorELNS0_4arch9wavefront6targetE1EEEvT1_.kd
    .uniform_work_group_size: 1
    .uses_dynamic_stack: false
    .vgpr_count:     0
    .vgpr_spill_count: 0
    .wavefront_size: 64
  - .agpr_count:     0
    .args:
      - .offset:         0
        .size:           136
        .value_kind:     by_value
    .group_segment_fixed_size: 0
    .kernarg_segment_align: 8
    .kernarg_segment_size: 136
    .language:       OpenCL C
    .language_version:
      - 2
      - 0
    .max_flat_workgroup_size: 384
    .name:           _ZN7rocprim17ROCPRIM_400000_NS6detail17trampoline_kernelINS0_14default_configENS1_25partition_config_selectorILNS1_17partition_subalgoE8ElNS0_10empty_typeEbEEZZNS1_14partition_implILS5_8ELb0ES3_jPlPS6_PKS6_NS0_5tupleIJS9_S6_EEENSD_IJSA_SA_EEENS0_18inequality_wrapperIZN2at6native12_GLOBAL__N_124unique_dim_cuda_templateIfEESt5tupleIJNSH_6TensorESM_SM_EERKSM_lbbbEUlllE0_EEPmJS6_EEE10hipError_tPvRmT3_T4_T5_T6_T7_T9_mT8_P12ihipStream_tbDpT10_ENKUlT_T0_E_clISt17integral_constantIbLb0EES1B_IbLb1EEEEDaS17_S18_EUlS17_E_NS1_11comp_targetILNS1_3genE10ELNS1_11target_archE1200ELNS1_3gpuE4ELNS1_3repE0EEENS1_30default_config_static_selectorELNS0_4arch9wavefront6targetE1EEEvT1_
    .private_segment_fixed_size: 0
    .sgpr_count:     6
    .sgpr_spill_count: 0
    .symbol:         _ZN7rocprim17ROCPRIM_400000_NS6detail17trampoline_kernelINS0_14default_configENS1_25partition_config_selectorILNS1_17partition_subalgoE8ElNS0_10empty_typeEbEEZZNS1_14partition_implILS5_8ELb0ES3_jPlPS6_PKS6_NS0_5tupleIJS9_S6_EEENSD_IJSA_SA_EEENS0_18inequality_wrapperIZN2at6native12_GLOBAL__N_124unique_dim_cuda_templateIfEESt5tupleIJNSH_6TensorESM_SM_EERKSM_lbbbEUlllE0_EEPmJS6_EEE10hipError_tPvRmT3_T4_T5_T6_T7_T9_mT8_P12ihipStream_tbDpT10_ENKUlT_T0_E_clISt17integral_constantIbLb0EES1B_IbLb1EEEEDaS17_S18_EUlS17_E_NS1_11comp_targetILNS1_3genE10ELNS1_11target_archE1200ELNS1_3gpuE4ELNS1_3repE0EEENS1_30default_config_static_selectorELNS0_4arch9wavefront6targetE1EEEvT1_.kd
    .uniform_work_group_size: 1
    .uses_dynamic_stack: false
    .vgpr_count:     0
    .vgpr_spill_count: 0
    .wavefront_size: 64
  - .agpr_count:     0
    .args:
      - .offset:         0
        .size:           136
        .value_kind:     by_value
    .group_segment_fixed_size: 0
    .kernarg_segment_align: 8
    .kernarg_segment_size: 136
    .language:       OpenCL C
    .language_version:
      - 2
      - 0
    .max_flat_workgroup_size: 512
    .name:           _ZN7rocprim17ROCPRIM_400000_NS6detail17trampoline_kernelINS0_14default_configENS1_25partition_config_selectorILNS1_17partition_subalgoE8ElNS0_10empty_typeEbEEZZNS1_14partition_implILS5_8ELb0ES3_jPlPS6_PKS6_NS0_5tupleIJS9_S6_EEENSD_IJSA_SA_EEENS0_18inequality_wrapperIZN2at6native12_GLOBAL__N_124unique_dim_cuda_templateIfEESt5tupleIJNSH_6TensorESM_SM_EERKSM_lbbbEUlllE0_EEPmJS6_EEE10hipError_tPvRmT3_T4_T5_T6_T7_T9_mT8_P12ihipStream_tbDpT10_ENKUlT_T0_E_clISt17integral_constantIbLb0EES1B_IbLb1EEEEDaS17_S18_EUlS17_E_NS1_11comp_targetILNS1_3genE9ELNS1_11target_archE1100ELNS1_3gpuE3ELNS1_3repE0EEENS1_30default_config_static_selectorELNS0_4arch9wavefront6targetE1EEEvT1_
    .private_segment_fixed_size: 0
    .sgpr_count:     6
    .sgpr_spill_count: 0
    .symbol:         _ZN7rocprim17ROCPRIM_400000_NS6detail17trampoline_kernelINS0_14default_configENS1_25partition_config_selectorILNS1_17partition_subalgoE8ElNS0_10empty_typeEbEEZZNS1_14partition_implILS5_8ELb0ES3_jPlPS6_PKS6_NS0_5tupleIJS9_S6_EEENSD_IJSA_SA_EEENS0_18inequality_wrapperIZN2at6native12_GLOBAL__N_124unique_dim_cuda_templateIfEESt5tupleIJNSH_6TensorESM_SM_EERKSM_lbbbEUlllE0_EEPmJS6_EEE10hipError_tPvRmT3_T4_T5_T6_T7_T9_mT8_P12ihipStream_tbDpT10_ENKUlT_T0_E_clISt17integral_constantIbLb0EES1B_IbLb1EEEEDaS17_S18_EUlS17_E_NS1_11comp_targetILNS1_3genE9ELNS1_11target_archE1100ELNS1_3gpuE3ELNS1_3repE0EEENS1_30default_config_static_selectorELNS0_4arch9wavefront6targetE1EEEvT1_.kd
    .uniform_work_group_size: 1
    .uses_dynamic_stack: false
    .vgpr_count:     0
    .vgpr_spill_count: 0
    .wavefront_size: 64
  - .agpr_count:     0
    .args:
      - .offset:         0
        .size:           136
        .value_kind:     by_value
    .group_segment_fixed_size: 0
    .kernarg_segment_align: 8
    .kernarg_segment_size: 136
    .language:       OpenCL C
    .language_version:
      - 2
      - 0
    .max_flat_workgroup_size: 512
    .name:           _ZN7rocprim17ROCPRIM_400000_NS6detail17trampoline_kernelINS0_14default_configENS1_25partition_config_selectorILNS1_17partition_subalgoE8ElNS0_10empty_typeEbEEZZNS1_14partition_implILS5_8ELb0ES3_jPlPS6_PKS6_NS0_5tupleIJS9_S6_EEENSD_IJSA_SA_EEENS0_18inequality_wrapperIZN2at6native12_GLOBAL__N_124unique_dim_cuda_templateIfEESt5tupleIJNSH_6TensorESM_SM_EERKSM_lbbbEUlllE0_EEPmJS6_EEE10hipError_tPvRmT3_T4_T5_T6_T7_T9_mT8_P12ihipStream_tbDpT10_ENKUlT_T0_E_clISt17integral_constantIbLb0EES1B_IbLb1EEEEDaS17_S18_EUlS17_E_NS1_11comp_targetILNS1_3genE8ELNS1_11target_archE1030ELNS1_3gpuE2ELNS1_3repE0EEENS1_30default_config_static_selectorELNS0_4arch9wavefront6targetE1EEEvT1_
    .private_segment_fixed_size: 0
    .sgpr_count:     6
    .sgpr_spill_count: 0
    .symbol:         _ZN7rocprim17ROCPRIM_400000_NS6detail17trampoline_kernelINS0_14default_configENS1_25partition_config_selectorILNS1_17partition_subalgoE8ElNS0_10empty_typeEbEEZZNS1_14partition_implILS5_8ELb0ES3_jPlPS6_PKS6_NS0_5tupleIJS9_S6_EEENSD_IJSA_SA_EEENS0_18inequality_wrapperIZN2at6native12_GLOBAL__N_124unique_dim_cuda_templateIfEESt5tupleIJNSH_6TensorESM_SM_EERKSM_lbbbEUlllE0_EEPmJS6_EEE10hipError_tPvRmT3_T4_T5_T6_T7_T9_mT8_P12ihipStream_tbDpT10_ENKUlT_T0_E_clISt17integral_constantIbLb0EES1B_IbLb1EEEEDaS17_S18_EUlS17_E_NS1_11comp_targetILNS1_3genE8ELNS1_11target_archE1030ELNS1_3gpuE2ELNS1_3repE0EEENS1_30default_config_static_selectorELNS0_4arch9wavefront6targetE1EEEvT1_.kd
    .uniform_work_group_size: 1
    .uses_dynamic_stack: false
    .vgpr_count:     0
    .vgpr_spill_count: 0
    .wavefront_size: 64
  - .agpr_count:     0
    .args:
      - .offset:         0
        .size:           120
        .value_kind:     by_value
    .group_segment_fixed_size: 5128
    .kernarg_segment_align: 8
    .kernarg_segment_size: 120
    .language:       OpenCL C
    .language_version:
      - 2
      - 0
    .max_flat_workgroup_size: 128
    .name:           _ZN7rocprim17ROCPRIM_400000_NS6detail17trampoline_kernelINS0_14default_configENS1_25partition_config_selectorILNS1_17partition_subalgoE9EllbEEZZNS1_14partition_implILS5_9ELb0ES3_jPlS8_PNS0_10empty_typeENS0_5tupleIJS8_S9_EEENSB_IJS8_SA_EEENS0_18inequality_wrapperIZN2at6native12_GLOBAL__N_124unique_dim_cuda_templateIfEESt5tupleIJNSF_6TensorESK_SK_EERKSK_lbbbEUlllE0_EEPmJS9_EEE10hipError_tPvRmT3_T4_T5_T6_T7_T9_mT8_P12ihipStream_tbDpT10_ENKUlT_T0_E_clISt17integral_constantIbLb0EES1A_EEDaS15_S16_EUlS15_E_NS1_11comp_targetILNS1_3genE0ELNS1_11target_archE4294967295ELNS1_3gpuE0ELNS1_3repE0EEENS1_30default_config_static_selectorELNS0_4arch9wavefront6targetE1EEEvT1_
    .private_segment_fixed_size: 0
    .sgpr_count:     52
    .sgpr_spill_count: 0
    .symbol:         _ZN7rocprim17ROCPRIM_400000_NS6detail17trampoline_kernelINS0_14default_configENS1_25partition_config_selectorILNS1_17partition_subalgoE9EllbEEZZNS1_14partition_implILS5_9ELb0ES3_jPlS8_PNS0_10empty_typeENS0_5tupleIJS8_S9_EEENSB_IJS8_SA_EEENS0_18inequality_wrapperIZN2at6native12_GLOBAL__N_124unique_dim_cuda_templateIfEESt5tupleIJNSF_6TensorESK_SK_EERKSK_lbbbEUlllE0_EEPmJS9_EEE10hipError_tPvRmT3_T4_T5_T6_T7_T9_mT8_P12ihipStream_tbDpT10_ENKUlT_T0_E_clISt17integral_constantIbLb0EES1A_EEDaS15_S16_EUlS15_E_NS1_11comp_targetILNS1_3genE0ELNS1_11target_archE4294967295ELNS1_3gpuE0ELNS1_3repE0EEENS1_30default_config_static_selectorELNS0_4arch9wavefront6targetE1EEEvT1_.kd
    .uniform_work_group_size: 1
    .uses_dynamic_stack: false
    .vgpr_count:     60
    .vgpr_spill_count: 0
    .wavefront_size: 64
  - .agpr_count:     0
    .args:
      - .offset:         0
        .size:           120
        .value_kind:     by_value
    .group_segment_fixed_size: 0
    .kernarg_segment_align: 8
    .kernarg_segment_size: 120
    .language:       OpenCL C
    .language_version:
      - 2
      - 0
    .max_flat_workgroup_size: 512
    .name:           _ZN7rocprim17ROCPRIM_400000_NS6detail17trampoline_kernelINS0_14default_configENS1_25partition_config_selectorILNS1_17partition_subalgoE9EllbEEZZNS1_14partition_implILS5_9ELb0ES3_jPlS8_PNS0_10empty_typeENS0_5tupleIJS8_S9_EEENSB_IJS8_SA_EEENS0_18inequality_wrapperIZN2at6native12_GLOBAL__N_124unique_dim_cuda_templateIfEESt5tupleIJNSF_6TensorESK_SK_EERKSK_lbbbEUlllE0_EEPmJS9_EEE10hipError_tPvRmT3_T4_T5_T6_T7_T9_mT8_P12ihipStream_tbDpT10_ENKUlT_T0_E_clISt17integral_constantIbLb0EES1A_EEDaS15_S16_EUlS15_E_NS1_11comp_targetILNS1_3genE5ELNS1_11target_archE942ELNS1_3gpuE9ELNS1_3repE0EEENS1_30default_config_static_selectorELNS0_4arch9wavefront6targetE1EEEvT1_
    .private_segment_fixed_size: 0
    .sgpr_count:     6
    .sgpr_spill_count: 0
    .symbol:         _ZN7rocprim17ROCPRIM_400000_NS6detail17trampoline_kernelINS0_14default_configENS1_25partition_config_selectorILNS1_17partition_subalgoE9EllbEEZZNS1_14partition_implILS5_9ELb0ES3_jPlS8_PNS0_10empty_typeENS0_5tupleIJS8_S9_EEENSB_IJS8_SA_EEENS0_18inequality_wrapperIZN2at6native12_GLOBAL__N_124unique_dim_cuda_templateIfEESt5tupleIJNSF_6TensorESK_SK_EERKSK_lbbbEUlllE0_EEPmJS9_EEE10hipError_tPvRmT3_T4_T5_T6_T7_T9_mT8_P12ihipStream_tbDpT10_ENKUlT_T0_E_clISt17integral_constantIbLb0EES1A_EEDaS15_S16_EUlS15_E_NS1_11comp_targetILNS1_3genE5ELNS1_11target_archE942ELNS1_3gpuE9ELNS1_3repE0EEENS1_30default_config_static_selectorELNS0_4arch9wavefront6targetE1EEEvT1_.kd
    .uniform_work_group_size: 1
    .uses_dynamic_stack: false
    .vgpr_count:     0
    .vgpr_spill_count: 0
    .wavefront_size: 64
  - .agpr_count:     0
    .args:
      - .offset:         0
        .size:           120
        .value_kind:     by_value
    .group_segment_fixed_size: 0
    .kernarg_segment_align: 8
    .kernarg_segment_size: 120
    .language:       OpenCL C
    .language_version:
      - 2
      - 0
    .max_flat_workgroup_size: 128
    .name:           _ZN7rocprim17ROCPRIM_400000_NS6detail17trampoline_kernelINS0_14default_configENS1_25partition_config_selectorILNS1_17partition_subalgoE9EllbEEZZNS1_14partition_implILS5_9ELb0ES3_jPlS8_PNS0_10empty_typeENS0_5tupleIJS8_S9_EEENSB_IJS8_SA_EEENS0_18inequality_wrapperIZN2at6native12_GLOBAL__N_124unique_dim_cuda_templateIfEESt5tupleIJNSF_6TensorESK_SK_EERKSK_lbbbEUlllE0_EEPmJS9_EEE10hipError_tPvRmT3_T4_T5_T6_T7_T9_mT8_P12ihipStream_tbDpT10_ENKUlT_T0_E_clISt17integral_constantIbLb0EES1A_EEDaS15_S16_EUlS15_E_NS1_11comp_targetILNS1_3genE4ELNS1_11target_archE910ELNS1_3gpuE8ELNS1_3repE0EEENS1_30default_config_static_selectorELNS0_4arch9wavefront6targetE1EEEvT1_
    .private_segment_fixed_size: 0
    .sgpr_count:     6
    .sgpr_spill_count: 0
    .symbol:         _ZN7rocprim17ROCPRIM_400000_NS6detail17trampoline_kernelINS0_14default_configENS1_25partition_config_selectorILNS1_17partition_subalgoE9EllbEEZZNS1_14partition_implILS5_9ELb0ES3_jPlS8_PNS0_10empty_typeENS0_5tupleIJS8_S9_EEENSB_IJS8_SA_EEENS0_18inequality_wrapperIZN2at6native12_GLOBAL__N_124unique_dim_cuda_templateIfEESt5tupleIJNSF_6TensorESK_SK_EERKSK_lbbbEUlllE0_EEPmJS9_EEE10hipError_tPvRmT3_T4_T5_T6_T7_T9_mT8_P12ihipStream_tbDpT10_ENKUlT_T0_E_clISt17integral_constantIbLb0EES1A_EEDaS15_S16_EUlS15_E_NS1_11comp_targetILNS1_3genE4ELNS1_11target_archE910ELNS1_3gpuE8ELNS1_3repE0EEENS1_30default_config_static_selectorELNS0_4arch9wavefront6targetE1EEEvT1_.kd
    .uniform_work_group_size: 1
    .uses_dynamic_stack: false
    .vgpr_count:     0
    .vgpr_spill_count: 0
    .wavefront_size: 64
  - .agpr_count:     0
    .args:
      - .offset:         0
        .size:           120
        .value_kind:     by_value
    .group_segment_fixed_size: 0
    .kernarg_segment_align: 8
    .kernarg_segment_size: 120
    .language:       OpenCL C
    .language_version:
      - 2
      - 0
    .max_flat_workgroup_size: 128
    .name:           _ZN7rocprim17ROCPRIM_400000_NS6detail17trampoline_kernelINS0_14default_configENS1_25partition_config_selectorILNS1_17partition_subalgoE9EllbEEZZNS1_14partition_implILS5_9ELb0ES3_jPlS8_PNS0_10empty_typeENS0_5tupleIJS8_S9_EEENSB_IJS8_SA_EEENS0_18inequality_wrapperIZN2at6native12_GLOBAL__N_124unique_dim_cuda_templateIfEESt5tupleIJNSF_6TensorESK_SK_EERKSK_lbbbEUlllE0_EEPmJS9_EEE10hipError_tPvRmT3_T4_T5_T6_T7_T9_mT8_P12ihipStream_tbDpT10_ENKUlT_T0_E_clISt17integral_constantIbLb0EES1A_EEDaS15_S16_EUlS15_E_NS1_11comp_targetILNS1_3genE3ELNS1_11target_archE908ELNS1_3gpuE7ELNS1_3repE0EEENS1_30default_config_static_selectorELNS0_4arch9wavefront6targetE1EEEvT1_
    .private_segment_fixed_size: 0
    .sgpr_count:     6
    .sgpr_spill_count: 0
    .symbol:         _ZN7rocprim17ROCPRIM_400000_NS6detail17trampoline_kernelINS0_14default_configENS1_25partition_config_selectorILNS1_17partition_subalgoE9EllbEEZZNS1_14partition_implILS5_9ELb0ES3_jPlS8_PNS0_10empty_typeENS0_5tupleIJS8_S9_EEENSB_IJS8_SA_EEENS0_18inequality_wrapperIZN2at6native12_GLOBAL__N_124unique_dim_cuda_templateIfEESt5tupleIJNSF_6TensorESK_SK_EERKSK_lbbbEUlllE0_EEPmJS9_EEE10hipError_tPvRmT3_T4_T5_T6_T7_T9_mT8_P12ihipStream_tbDpT10_ENKUlT_T0_E_clISt17integral_constantIbLb0EES1A_EEDaS15_S16_EUlS15_E_NS1_11comp_targetILNS1_3genE3ELNS1_11target_archE908ELNS1_3gpuE7ELNS1_3repE0EEENS1_30default_config_static_selectorELNS0_4arch9wavefront6targetE1EEEvT1_.kd
    .uniform_work_group_size: 1
    .uses_dynamic_stack: false
    .vgpr_count:     0
    .vgpr_spill_count: 0
    .wavefront_size: 64
  - .agpr_count:     0
    .args:
      - .offset:         0
        .size:           120
        .value_kind:     by_value
    .group_segment_fixed_size: 0
    .kernarg_segment_align: 8
    .kernarg_segment_size: 120
    .language:       OpenCL C
    .language_version:
      - 2
      - 0
    .max_flat_workgroup_size: 192
    .name:           _ZN7rocprim17ROCPRIM_400000_NS6detail17trampoline_kernelINS0_14default_configENS1_25partition_config_selectorILNS1_17partition_subalgoE9EllbEEZZNS1_14partition_implILS5_9ELb0ES3_jPlS8_PNS0_10empty_typeENS0_5tupleIJS8_S9_EEENSB_IJS8_SA_EEENS0_18inequality_wrapperIZN2at6native12_GLOBAL__N_124unique_dim_cuda_templateIfEESt5tupleIJNSF_6TensorESK_SK_EERKSK_lbbbEUlllE0_EEPmJS9_EEE10hipError_tPvRmT3_T4_T5_T6_T7_T9_mT8_P12ihipStream_tbDpT10_ENKUlT_T0_E_clISt17integral_constantIbLb0EES1A_EEDaS15_S16_EUlS15_E_NS1_11comp_targetILNS1_3genE2ELNS1_11target_archE906ELNS1_3gpuE6ELNS1_3repE0EEENS1_30default_config_static_selectorELNS0_4arch9wavefront6targetE1EEEvT1_
    .private_segment_fixed_size: 0
    .sgpr_count:     6
    .sgpr_spill_count: 0
    .symbol:         _ZN7rocprim17ROCPRIM_400000_NS6detail17trampoline_kernelINS0_14default_configENS1_25partition_config_selectorILNS1_17partition_subalgoE9EllbEEZZNS1_14partition_implILS5_9ELb0ES3_jPlS8_PNS0_10empty_typeENS0_5tupleIJS8_S9_EEENSB_IJS8_SA_EEENS0_18inequality_wrapperIZN2at6native12_GLOBAL__N_124unique_dim_cuda_templateIfEESt5tupleIJNSF_6TensorESK_SK_EERKSK_lbbbEUlllE0_EEPmJS9_EEE10hipError_tPvRmT3_T4_T5_T6_T7_T9_mT8_P12ihipStream_tbDpT10_ENKUlT_T0_E_clISt17integral_constantIbLb0EES1A_EEDaS15_S16_EUlS15_E_NS1_11comp_targetILNS1_3genE2ELNS1_11target_archE906ELNS1_3gpuE6ELNS1_3repE0EEENS1_30default_config_static_selectorELNS0_4arch9wavefront6targetE1EEEvT1_.kd
    .uniform_work_group_size: 1
    .uses_dynamic_stack: false
    .vgpr_count:     0
    .vgpr_spill_count: 0
    .wavefront_size: 64
  - .agpr_count:     0
    .args:
      - .offset:         0
        .size:           120
        .value_kind:     by_value
    .group_segment_fixed_size: 0
    .kernarg_segment_align: 8
    .kernarg_segment_size: 120
    .language:       OpenCL C
    .language_version:
      - 2
      - 0
    .max_flat_workgroup_size: 384
    .name:           _ZN7rocprim17ROCPRIM_400000_NS6detail17trampoline_kernelINS0_14default_configENS1_25partition_config_selectorILNS1_17partition_subalgoE9EllbEEZZNS1_14partition_implILS5_9ELb0ES3_jPlS8_PNS0_10empty_typeENS0_5tupleIJS8_S9_EEENSB_IJS8_SA_EEENS0_18inequality_wrapperIZN2at6native12_GLOBAL__N_124unique_dim_cuda_templateIfEESt5tupleIJNSF_6TensorESK_SK_EERKSK_lbbbEUlllE0_EEPmJS9_EEE10hipError_tPvRmT3_T4_T5_T6_T7_T9_mT8_P12ihipStream_tbDpT10_ENKUlT_T0_E_clISt17integral_constantIbLb0EES1A_EEDaS15_S16_EUlS15_E_NS1_11comp_targetILNS1_3genE10ELNS1_11target_archE1200ELNS1_3gpuE4ELNS1_3repE0EEENS1_30default_config_static_selectorELNS0_4arch9wavefront6targetE1EEEvT1_
    .private_segment_fixed_size: 0
    .sgpr_count:     6
    .sgpr_spill_count: 0
    .symbol:         _ZN7rocprim17ROCPRIM_400000_NS6detail17trampoline_kernelINS0_14default_configENS1_25partition_config_selectorILNS1_17partition_subalgoE9EllbEEZZNS1_14partition_implILS5_9ELb0ES3_jPlS8_PNS0_10empty_typeENS0_5tupleIJS8_S9_EEENSB_IJS8_SA_EEENS0_18inequality_wrapperIZN2at6native12_GLOBAL__N_124unique_dim_cuda_templateIfEESt5tupleIJNSF_6TensorESK_SK_EERKSK_lbbbEUlllE0_EEPmJS9_EEE10hipError_tPvRmT3_T4_T5_T6_T7_T9_mT8_P12ihipStream_tbDpT10_ENKUlT_T0_E_clISt17integral_constantIbLb0EES1A_EEDaS15_S16_EUlS15_E_NS1_11comp_targetILNS1_3genE10ELNS1_11target_archE1200ELNS1_3gpuE4ELNS1_3repE0EEENS1_30default_config_static_selectorELNS0_4arch9wavefront6targetE1EEEvT1_.kd
    .uniform_work_group_size: 1
    .uses_dynamic_stack: false
    .vgpr_count:     0
    .vgpr_spill_count: 0
    .wavefront_size: 64
  - .agpr_count:     0
    .args:
      - .offset:         0
        .size:           120
        .value_kind:     by_value
    .group_segment_fixed_size: 0
    .kernarg_segment_align: 8
    .kernarg_segment_size: 120
    .language:       OpenCL C
    .language_version:
      - 2
      - 0
    .max_flat_workgroup_size: 512
    .name:           _ZN7rocprim17ROCPRIM_400000_NS6detail17trampoline_kernelINS0_14default_configENS1_25partition_config_selectorILNS1_17partition_subalgoE9EllbEEZZNS1_14partition_implILS5_9ELb0ES3_jPlS8_PNS0_10empty_typeENS0_5tupleIJS8_S9_EEENSB_IJS8_SA_EEENS0_18inequality_wrapperIZN2at6native12_GLOBAL__N_124unique_dim_cuda_templateIfEESt5tupleIJNSF_6TensorESK_SK_EERKSK_lbbbEUlllE0_EEPmJS9_EEE10hipError_tPvRmT3_T4_T5_T6_T7_T9_mT8_P12ihipStream_tbDpT10_ENKUlT_T0_E_clISt17integral_constantIbLb0EES1A_EEDaS15_S16_EUlS15_E_NS1_11comp_targetILNS1_3genE9ELNS1_11target_archE1100ELNS1_3gpuE3ELNS1_3repE0EEENS1_30default_config_static_selectorELNS0_4arch9wavefront6targetE1EEEvT1_
    .private_segment_fixed_size: 0
    .sgpr_count:     6
    .sgpr_spill_count: 0
    .symbol:         _ZN7rocprim17ROCPRIM_400000_NS6detail17trampoline_kernelINS0_14default_configENS1_25partition_config_selectorILNS1_17partition_subalgoE9EllbEEZZNS1_14partition_implILS5_9ELb0ES3_jPlS8_PNS0_10empty_typeENS0_5tupleIJS8_S9_EEENSB_IJS8_SA_EEENS0_18inequality_wrapperIZN2at6native12_GLOBAL__N_124unique_dim_cuda_templateIfEESt5tupleIJNSF_6TensorESK_SK_EERKSK_lbbbEUlllE0_EEPmJS9_EEE10hipError_tPvRmT3_T4_T5_T6_T7_T9_mT8_P12ihipStream_tbDpT10_ENKUlT_T0_E_clISt17integral_constantIbLb0EES1A_EEDaS15_S16_EUlS15_E_NS1_11comp_targetILNS1_3genE9ELNS1_11target_archE1100ELNS1_3gpuE3ELNS1_3repE0EEENS1_30default_config_static_selectorELNS0_4arch9wavefront6targetE1EEEvT1_.kd
    .uniform_work_group_size: 1
    .uses_dynamic_stack: false
    .vgpr_count:     0
    .vgpr_spill_count: 0
    .wavefront_size: 64
  - .agpr_count:     0
    .args:
      - .offset:         0
        .size:           120
        .value_kind:     by_value
    .group_segment_fixed_size: 0
    .kernarg_segment_align: 8
    .kernarg_segment_size: 120
    .language:       OpenCL C
    .language_version:
      - 2
      - 0
    .max_flat_workgroup_size: 512
    .name:           _ZN7rocprim17ROCPRIM_400000_NS6detail17trampoline_kernelINS0_14default_configENS1_25partition_config_selectorILNS1_17partition_subalgoE9EllbEEZZNS1_14partition_implILS5_9ELb0ES3_jPlS8_PNS0_10empty_typeENS0_5tupleIJS8_S9_EEENSB_IJS8_SA_EEENS0_18inequality_wrapperIZN2at6native12_GLOBAL__N_124unique_dim_cuda_templateIfEESt5tupleIJNSF_6TensorESK_SK_EERKSK_lbbbEUlllE0_EEPmJS9_EEE10hipError_tPvRmT3_T4_T5_T6_T7_T9_mT8_P12ihipStream_tbDpT10_ENKUlT_T0_E_clISt17integral_constantIbLb0EES1A_EEDaS15_S16_EUlS15_E_NS1_11comp_targetILNS1_3genE8ELNS1_11target_archE1030ELNS1_3gpuE2ELNS1_3repE0EEENS1_30default_config_static_selectorELNS0_4arch9wavefront6targetE1EEEvT1_
    .private_segment_fixed_size: 0
    .sgpr_count:     6
    .sgpr_spill_count: 0
    .symbol:         _ZN7rocprim17ROCPRIM_400000_NS6detail17trampoline_kernelINS0_14default_configENS1_25partition_config_selectorILNS1_17partition_subalgoE9EllbEEZZNS1_14partition_implILS5_9ELb0ES3_jPlS8_PNS0_10empty_typeENS0_5tupleIJS8_S9_EEENSB_IJS8_SA_EEENS0_18inequality_wrapperIZN2at6native12_GLOBAL__N_124unique_dim_cuda_templateIfEESt5tupleIJNSF_6TensorESK_SK_EERKSK_lbbbEUlllE0_EEPmJS9_EEE10hipError_tPvRmT3_T4_T5_T6_T7_T9_mT8_P12ihipStream_tbDpT10_ENKUlT_T0_E_clISt17integral_constantIbLb0EES1A_EEDaS15_S16_EUlS15_E_NS1_11comp_targetILNS1_3genE8ELNS1_11target_archE1030ELNS1_3gpuE2ELNS1_3repE0EEENS1_30default_config_static_selectorELNS0_4arch9wavefront6targetE1EEEvT1_.kd
    .uniform_work_group_size: 1
    .uses_dynamic_stack: false
    .vgpr_count:     0
    .vgpr_spill_count: 0
    .wavefront_size: 64
  - .agpr_count:     0
    .args:
      - .offset:         0
        .size:           136
        .value_kind:     by_value
    .group_segment_fixed_size: 0
    .kernarg_segment_align: 8
    .kernarg_segment_size: 136
    .language:       OpenCL C
    .language_version:
      - 2
      - 0
    .max_flat_workgroup_size: 128
    .name:           _ZN7rocprim17ROCPRIM_400000_NS6detail17trampoline_kernelINS0_14default_configENS1_25partition_config_selectorILNS1_17partition_subalgoE9EllbEEZZNS1_14partition_implILS5_9ELb0ES3_jPlS8_PNS0_10empty_typeENS0_5tupleIJS8_S9_EEENSB_IJS8_SA_EEENS0_18inequality_wrapperIZN2at6native12_GLOBAL__N_124unique_dim_cuda_templateIfEESt5tupleIJNSF_6TensorESK_SK_EERKSK_lbbbEUlllE0_EEPmJS9_EEE10hipError_tPvRmT3_T4_T5_T6_T7_T9_mT8_P12ihipStream_tbDpT10_ENKUlT_T0_E_clISt17integral_constantIbLb1EES1A_EEDaS15_S16_EUlS15_E_NS1_11comp_targetILNS1_3genE0ELNS1_11target_archE4294967295ELNS1_3gpuE0ELNS1_3repE0EEENS1_30default_config_static_selectorELNS0_4arch9wavefront6targetE1EEEvT1_
    .private_segment_fixed_size: 0
    .sgpr_count:     6
    .sgpr_spill_count: 0
    .symbol:         _ZN7rocprim17ROCPRIM_400000_NS6detail17trampoline_kernelINS0_14default_configENS1_25partition_config_selectorILNS1_17partition_subalgoE9EllbEEZZNS1_14partition_implILS5_9ELb0ES3_jPlS8_PNS0_10empty_typeENS0_5tupleIJS8_S9_EEENSB_IJS8_SA_EEENS0_18inequality_wrapperIZN2at6native12_GLOBAL__N_124unique_dim_cuda_templateIfEESt5tupleIJNSF_6TensorESK_SK_EERKSK_lbbbEUlllE0_EEPmJS9_EEE10hipError_tPvRmT3_T4_T5_T6_T7_T9_mT8_P12ihipStream_tbDpT10_ENKUlT_T0_E_clISt17integral_constantIbLb1EES1A_EEDaS15_S16_EUlS15_E_NS1_11comp_targetILNS1_3genE0ELNS1_11target_archE4294967295ELNS1_3gpuE0ELNS1_3repE0EEENS1_30default_config_static_selectorELNS0_4arch9wavefront6targetE1EEEvT1_.kd
    .uniform_work_group_size: 1
    .uses_dynamic_stack: false
    .vgpr_count:     0
    .vgpr_spill_count: 0
    .wavefront_size: 64
  - .agpr_count:     0
    .args:
      - .offset:         0
        .size:           136
        .value_kind:     by_value
    .group_segment_fixed_size: 0
    .kernarg_segment_align: 8
    .kernarg_segment_size: 136
    .language:       OpenCL C
    .language_version:
      - 2
      - 0
    .max_flat_workgroup_size: 512
    .name:           _ZN7rocprim17ROCPRIM_400000_NS6detail17trampoline_kernelINS0_14default_configENS1_25partition_config_selectorILNS1_17partition_subalgoE9EllbEEZZNS1_14partition_implILS5_9ELb0ES3_jPlS8_PNS0_10empty_typeENS0_5tupleIJS8_S9_EEENSB_IJS8_SA_EEENS0_18inequality_wrapperIZN2at6native12_GLOBAL__N_124unique_dim_cuda_templateIfEESt5tupleIJNSF_6TensorESK_SK_EERKSK_lbbbEUlllE0_EEPmJS9_EEE10hipError_tPvRmT3_T4_T5_T6_T7_T9_mT8_P12ihipStream_tbDpT10_ENKUlT_T0_E_clISt17integral_constantIbLb1EES1A_EEDaS15_S16_EUlS15_E_NS1_11comp_targetILNS1_3genE5ELNS1_11target_archE942ELNS1_3gpuE9ELNS1_3repE0EEENS1_30default_config_static_selectorELNS0_4arch9wavefront6targetE1EEEvT1_
    .private_segment_fixed_size: 0
    .sgpr_count:     6
    .sgpr_spill_count: 0
    .symbol:         _ZN7rocprim17ROCPRIM_400000_NS6detail17trampoline_kernelINS0_14default_configENS1_25partition_config_selectorILNS1_17partition_subalgoE9EllbEEZZNS1_14partition_implILS5_9ELb0ES3_jPlS8_PNS0_10empty_typeENS0_5tupleIJS8_S9_EEENSB_IJS8_SA_EEENS0_18inequality_wrapperIZN2at6native12_GLOBAL__N_124unique_dim_cuda_templateIfEESt5tupleIJNSF_6TensorESK_SK_EERKSK_lbbbEUlllE0_EEPmJS9_EEE10hipError_tPvRmT3_T4_T5_T6_T7_T9_mT8_P12ihipStream_tbDpT10_ENKUlT_T0_E_clISt17integral_constantIbLb1EES1A_EEDaS15_S16_EUlS15_E_NS1_11comp_targetILNS1_3genE5ELNS1_11target_archE942ELNS1_3gpuE9ELNS1_3repE0EEENS1_30default_config_static_selectorELNS0_4arch9wavefront6targetE1EEEvT1_.kd
    .uniform_work_group_size: 1
    .uses_dynamic_stack: false
    .vgpr_count:     0
    .vgpr_spill_count: 0
    .wavefront_size: 64
  - .agpr_count:     0
    .args:
      - .offset:         0
        .size:           136
        .value_kind:     by_value
    .group_segment_fixed_size: 0
    .kernarg_segment_align: 8
    .kernarg_segment_size: 136
    .language:       OpenCL C
    .language_version:
      - 2
      - 0
    .max_flat_workgroup_size: 128
    .name:           _ZN7rocprim17ROCPRIM_400000_NS6detail17trampoline_kernelINS0_14default_configENS1_25partition_config_selectorILNS1_17partition_subalgoE9EllbEEZZNS1_14partition_implILS5_9ELb0ES3_jPlS8_PNS0_10empty_typeENS0_5tupleIJS8_S9_EEENSB_IJS8_SA_EEENS0_18inequality_wrapperIZN2at6native12_GLOBAL__N_124unique_dim_cuda_templateIfEESt5tupleIJNSF_6TensorESK_SK_EERKSK_lbbbEUlllE0_EEPmJS9_EEE10hipError_tPvRmT3_T4_T5_T6_T7_T9_mT8_P12ihipStream_tbDpT10_ENKUlT_T0_E_clISt17integral_constantIbLb1EES1A_EEDaS15_S16_EUlS15_E_NS1_11comp_targetILNS1_3genE4ELNS1_11target_archE910ELNS1_3gpuE8ELNS1_3repE0EEENS1_30default_config_static_selectorELNS0_4arch9wavefront6targetE1EEEvT1_
    .private_segment_fixed_size: 0
    .sgpr_count:     6
    .sgpr_spill_count: 0
    .symbol:         _ZN7rocprim17ROCPRIM_400000_NS6detail17trampoline_kernelINS0_14default_configENS1_25partition_config_selectorILNS1_17partition_subalgoE9EllbEEZZNS1_14partition_implILS5_9ELb0ES3_jPlS8_PNS0_10empty_typeENS0_5tupleIJS8_S9_EEENSB_IJS8_SA_EEENS0_18inequality_wrapperIZN2at6native12_GLOBAL__N_124unique_dim_cuda_templateIfEESt5tupleIJNSF_6TensorESK_SK_EERKSK_lbbbEUlllE0_EEPmJS9_EEE10hipError_tPvRmT3_T4_T5_T6_T7_T9_mT8_P12ihipStream_tbDpT10_ENKUlT_T0_E_clISt17integral_constantIbLb1EES1A_EEDaS15_S16_EUlS15_E_NS1_11comp_targetILNS1_3genE4ELNS1_11target_archE910ELNS1_3gpuE8ELNS1_3repE0EEENS1_30default_config_static_selectorELNS0_4arch9wavefront6targetE1EEEvT1_.kd
    .uniform_work_group_size: 1
    .uses_dynamic_stack: false
    .vgpr_count:     0
    .vgpr_spill_count: 0
    .wavefront_size: 64
  - .agpr_count:     0
    .args:
      - .offset:         0
        .size:           136
        .value_kind:     by_value
    .group_segment_fixed_size: 0
    .kernarg_segment_align: 8
    .kernarg_segment_size: 136
    .language:       OpenCL C
    .language_version:
      - 2
      - 0
    .max_flat_workgroup_size: 128
    .name:           _ZN7rocprim17ROCPRIM_400000_NS6detail17trampoline_kernelINS0_14default_configENS1_25partition_config_selectorILNS1_17partition_subalgoE9EllbEEZZNS1_14partition_implILS5_9ELb0ES3_jPlS8_PNS0_10empty_typeENS0_5tupleIJS8_S9_EEENSB_IJS8_SA_EEENS0_18inequality_wrapperIZN2at6native12_GLOBAL__N_124unique_dim_cuda_templateIfEESt5tupleIJNSF_6TensorESK_SK_EERKSK_lbbbEUlllE0_EEPmJS9_EEE10hipError_tPvRmT3_T4_T5_T6_T7_T9_mT8_P12ihipStream_tbDpT10_ENKUlT_T0_E_clISt17integral_constantIbLb1EES1A_EEDaS15_S16_EUlS15_E_NS1_11comp_targetILNS1_3genE3ELNS1_11target_archE908ELNS1_3gpuE7ELNS1_3repE0EEENS1_30default_config_static_selectorELNS0_4arch9wavefront6targetE1EEEvT1_
    .private_segment_fixed_size: 0
    .sgpr_count:     6
    .sgpr_spill_count: 0
    .symbol:         _ZN7rocprim17ROCPRIM_400000_NS6detail17trampoline_kernelINS0_14default_configENS1_25partition_config_selectorILNS1_17partition_subalgoE9EllbEEZZNS1_14partition_implILS5_9ELb0ES3_jPlS8_PNS0_10empty_typeENS0_5tupleIJS8_S9_EEENSB_IJS8_SA_EEENS0_18inequality_wrapperIZN2at6native12_GLOBAL__N_124unique_dim_cuda_templateIfEESt5tupleIJNSF_6TensorESK_SK_EERKSK_lbbbEUlllE0_EEPmJS9_EEE10hipError_tPvRmT3_T4_T5_T6_T7_T9_mT8_P12ihipStream_tbDpT10_ENKUlT_T0_E_clISt17integral_constantIbLb1EES1A_EEDaS15_S16_EUlS15_E_NS1_11comp_targetILNS1_3genE3ELNS1_11target_archE908ELNS1_3gpuE7ELNS1_3repE0EEENS1_30default_config_static_selectorELNS0_4arch9wavefront6targetE1EEEvT1_.kd
    .uniform_work_group_size: 1
    .uses_dynamic_stack: false
    .vgpr_count:     0
    .vgpr_spill_count: 0
    .wavefront_size: 64
  - .agpr_count:     0
    .args:
      - .offset:         0
        .size:           136
        .value_kind:     by_value
    .group_segment_fixed_size: 0
    .kernarg_segment_align: 8
    .kernarg_segment_size: 136
    .language:       OpenCL C
    .language_version:
      - 2
      - 0
    .max_flat_workgroup_size: 192
    .name:           _ZN7rocprim17ROCPRIM_400000_NS6detail17trampoline_kernelINS0_14default_configENS1_25partition_config_selectorILNS1_17partition_subalgoE9EllbEEZZNS1_14partition_implILS5_9ELb0ES3_jPlS8_PNS0_10empty_typeENS0_5tupleIJS8_S9_EEENSB_IJS8_SA_EEENS0_18inequality_wrapperIZN2at6native12_GLOBAL__N_124unique_dim_cuda_templateIfEESt5tupleIJNSF_6TensorESK_SK_EERKSK_lbbbEUlllE0_EEPmJS9_EEE10hipError_tPvRmT3_T4_T5_T6_T7_T9_mT8_P12ihipStream_tbDpT10_ENKUlT_T0_E_clISt17integral_constantIbLb1EES1A_EEDaS15_S16_EUlS15_E_NS1_11comp_targetILNS1_3genE2ELNS1_11target_archE906ELNS1_3gpuE6ELNS1_3repE0EEENS1_30default_config_static_selectorELNS0_4arch9wavefront6targetE1EEEvT1_
    .private_segment_fixed_size: 0
    .sgpr_count:     6
    .sgpr_spill_count: 0
    .symbol:         _ZN7rocprim17ROCPRIM_400000_NS6detail17trampoline_kernelINS0_14default_configENS1_25partition_config_selectorILNS1_17partition_subalgoE9EllbEEZZNS1_14partition_implILS5_9ELb0ES3_jPlS8_PNS0_10empty_typeENS0_5tupleIJS8_S9_EEENSB_IJS8_SA_EEENS0_18inequality_wrapperIZN2at6native12_GLOBAL__N_124unique_dim_cuda_templateIfEESt5tupleIJNSF_6TensorESK_SK_EERKSK_lbbbEUlllE0_EEPmJS9_EEE10hipError_tPvRmT3_T4_T5_T6_T7_T9_mT8_P12ihipStream_tbDpT10_ENKUlT_T0_E_clISt17integral_constantIbLb1EES1A_EEDaS15_S16_EUlS15_E_NS1_11comp_targetILNS1_3genE2ELNS1_11target_archE906ELNS1_3gpuE6ELNS1_3repE0EEENS1_30default_config_static_selectorELNS0_4arch9wavefront6targetE1EEEvT1_.kd
    .uniform_work_group_size: 1
    .uses_dynamic_stack: false
    .vgpr_count:     0
    .vgpr_spill_count: 0
    .wavefront_size: 64
  - .agpr_count:     0
    .args:
      - .offset:         0
        .size:           136
        .value_kind:     by_value
    .group_segment_fixed_size: 0
    .kernarg_segment_align: 8
    .kernarg_segment_size: 136
    .language:       OpenCL C
    .language_version:
      - 2
      - 0
    .max_flat_workgroup_size: 384
    .name:           _ZN7rocprim17ROCPRIM_400000_NS6detail17trampoline_kernelINS0_14default_configENS1_25partition_config_selectorILNS1_17partition_subalgoE9EllbEEZZNS1_14partition_implILS5_9ELb0ES3_jPlS8_PNS0_10empty_typeENS0_5tupleIJS8_S9_EEENSB_IJS8_SA_EEENS0_18inequality_wrapperIZN2at6native12_GLOBAL__N_124unique_dim_cuda_templateIfEESt5tupleIJNSF_6TensorESK_SK_EERKSK_lbbbEUlllE0_EEPmJS9_EEE10hipError_tPvRmT3_T4_T5_T6_T7_T9_mT8_P12ihipStream_tbDpT10_ENKUlT_T0_E_clISt17integral_constantIbLb1EES1A_EEDaS15_S16_EUlS15_E_NS1_11comp_targetILNS1_3genE10ELNS1_11target_archE1200ELNS1_3gpuE4ELNS1_3repE0EEENS1_30default_config_static_selectorELNS0_4arch9wavefront6targetE1EEEvT1_
    .private_segment_fixed_size: 0
    .sgpr_count:     6
    .sgpr_spill_count: 0
    .symbol:         _ZN7rocprim17ROCPRIM_400000_NS6detail17trampoline_kernelINS0_14default_configENS1_25partition_config_selectorILNS1_17partition_subalgoE9EllbEEZZNS1_14partition_implILS5_9ELb0ES3_jPlS8_PNS0_10empty_typeENS0_5tupleIJS8_S9_EEENSB_IJS8_SA_EEENS0_18inequality_wrapperIZN2at6native12_GLOBAL__N_124unique_dim_cuda_templateIfEESt5tupleIJNSF_6TensorESK_SK_EERKSK_lbbbEUlllE0_EEPmJS9_EEE10hipError_tPvRmT3_T4_T5_T6_T7_T9_mT8_P12ihipStream_tbDpT10_ENKUlT_T0_E_clISt17integral_constantIbLb1EES1A_EEDaS15_S16_EUlS15_E_NS1_11comp_targetILNS1_3genE10ELNS1_11target_archE1200ELNS1_3gpuE4ELNS1_3repE0EEENS1_30default_config_static_selectorELNS0_4arch9wavefront6targetE1EEEvT1_.kd
    .uniform_work_group_size: 1
    .uses_dynamic_stack: false
    .vgpr_count:     0
    .vgpr_spill_count: 0
    .wavefront_size: 64
  - .agpr_count:     0
    .args:
      - .offset:         0
        .size:           136
        .value_kind:     by_value
    .group_segment_fixed_size: 0
    .kernarg_segment_align: 8
    .kernarg_segment_size: 136
    .language:       OpenCL C
    .language_version:
      - 2
      - 0
    .max_flat_workgroup_size: 512
    .name:           _ZN7rocprim17ROCPRIM_400000_NS6detail17trampoline_kernelINS0_14default_configENS1_25partition_config_selectorILNS1_17partition_subalgoE9EllbEEZZNS1_14partition_implILS5_9ELb0ES3_jPlS8_PNS0_10empty_typeENS0_5tupleIJS8_S9_EEENSB_IJS8_SA_EEENS0_18inequality_wrapperIZN2at6native12_GLOBAL__N_124unique_dim_cuda_templateIfEESt5tupleIJNSF_6TensorESK_SK_EERKSK_lbbbEUlllE0_EEPmJS9_EEE10hipError_tPvRmT3_T4_T5_T6_T7_T9_mT8_P12ihipStream_tbDpT10_ENKUlT_T0_E_clISt17integral_constantIbLb1EES1A_EEDaS15_S16_EUlS15_E_NS1_11comp_targetILNS1_3genE9ELNS1_11target_archE1100ELNS1_3gpuE3ELNS1_3repE0EEENS1_30default_config_static_selectorELNS0_4arch9wavefront6targetE1EEEvT1_
    .private_segment_fixed_size: 0
    .sgpr_count:     6
    .sgpr_spill_count: 0
    .symbol:         _ZN7rocprim17ROCPRIM_400000_NS6detail17trampoline_kernelINS0_14default_configENS1_25partition_config_selectorILNS1_17partition_subalgoE9EllbEEZZNS1_14partition_implILS5_9ELb0ES3_jPlS8_PNS0_10empty_typeENS0_5tupleIJS8_S9_EEENSB_IJS8_SA_EEENS0_18inequality_wrapperIZN2at6native12_GLOBAL__N_124unique_dim_cuda_templateIfEESt5tupleIJNSF_6TensorESK_SK_EERKSK_lbbbEUlllE0_EEPmJS9_EEE10hipError_tPvRmT3_T4_T5_T6_T7_T9_mT8_P12ihipStream_tbDpT10_ENKUlT_T0_E_clISt17integral_constantIbLb1EES1A_EEDaS15_S16_EUlS15_E_NS1_11comp_targetILNS1_3genE9ELNS1_11target_archE1100ELNS1_3gpuE3ELNS1_3repE0EEENS1_30default_config_static_selectorELNS0_4arch9wavefront6targetE1EEEvT1_.kd
    .uniform_work_group_size: 1
    .uses_dynamic_stack: false
    .vgpr_count:     0
    .vgpr_spill_count: 0
    .wavefront_size: 64
  - .agpr_count:     0
    .args:
      - .offset:         0
        .size:           136
        .value_kind:     by_value
    .group_segment_fixed_size: 0
    .kernarg_segment_align: 8
    .kernarg_segment_size: 136
    .language:       OpenCL C
    .language_version:
      - 2
      - 0
    .max_flat_workgroup_size: 512
    .name:           _ZN7rocprim17ROCPRIM_400000_NS6detail17trampoline_kernelINS0_14default_configENS1_25partition_config_selectorILNS1_17partition_subalgoE9EllbEEZZNS1_14partition_implILS5_9ELb0ES3_jPlS8_PNS0_10empty_typeENS0_5tupleIJS8_S9_EEENSB_IJS8_SA_EEENS0_18inequality_wrapperIZN2at6native12_GLOBAL__N_124unique_dim_cuda_templateIfEESt5tupleIJNSF_6TensorESK_SK_EERKSK_lbbbEUlllE0_EEPmJS9_EEE10hipError_tPvRmT3_T4_T5_T6_T7_T9_mT8_P12ihipStream_tbDpT10_ENKUlT_T0_E_clISt17integral_constantIbLb1EES1A_EEDaS15_S16_EUlS15_E_NS1_11comp_targetILNS1_3genE8ELNS1_11target_archE1030ELNS1_3gpuE2ELNS1_3repE0EEENS1_30default_config_static_selectorELNS0_4arch9wavefront6targetE1EEEvT1_
    .private_segment_fixed_size: 0
    .sgpr_count:     6
    .sgpr_spill_count: 0
    .symbol:         _ZN7rocprim17ROCPRIM_400000_NS6detail17trampoline_kernelINS0_14default_configENS1_25partition_config_selectorILNS1_17partition_subalgoE9EllbEEZZNS1_14partition_implILS5_9ELb0ES3_jPlS8_PNS0_10empty_typeENS0_5tupleIJS8_S9_EEENSB_IJS8_SA_EEENS0_18inequality_wrapperIZN2at6native12_GLOBAL__N_124unique_dim_cuda_templateIfEESt5tupleIJNSF_6TensorESK_SK_EERKSK_lbbbEUlllE0_EEPmJS9_EEE10hipError_tPvRmT3_T4_T5_T6_T7_T9_mT8_P12ihipStream_tbDpT10_ENKUlT_T0_E_clISt17integral_constantIbLb1EES1A_EEDaS15_S16_EUlS15_E_NS1_11comp_targetILNS1_3genE8ELNS1_11target_archE1030ELNS1_3gpuE2ELNS1_3repE0EEENS1_30default_config_static_selectorELNS0_4arch9wavefront6targetE1EEEvT1_.kd
    .uniform_work_group_size: 1
    .uses_dynamic_stack: false
    .vgpr_count:     0
    .vgpr_spill_count: 0
    .wavefront_size: 64
  - .agpr_count:     0
    .args:
      - .offset:         0
        .size:           120
        .value_kind:     by_value
    .group_segment_fixed_size: 0
    .kernarg_segment_align: 8
    .kernarg_segment_size: 120
    .language:       OpenCL C
    .language_version:
      - 2
      - 0
    .max_flat_workgroup_size: 128
    .name:           _ZN7rocprim17ROCPRIM_400000_NS6detail17trampoline_kernelINS0_14default_configENS1_25partition_config_selectorILNS1_17partition_subalgoE9EllbEEZZNS1_14partition_implILS5_9ELb0ES3_jPlS8_PNS0_10empty_typeENS0_5tupleIJS8_S9_EEENSB_IJS8_SA_EEENS0_18inequality_wrapperIZN2at6native12_GLOBAL__N_124unique_dim_cuda_templateIfEESt5tupleIJNSF_6TensorESK_SK_EERKSK_lbbbEUlllE0_EEPmJS9_EEE10hipError_tPvRmT3_T4_T5_T6_T7_T9_mT8_P12ihipStream_tbDpT10_ENKUlT_T0_E_clISt17integral_constantIbLb1EES19_IbLb0EEEEDaS15_S16_EUlS15_E_NS1_11comp_targetILNS1_3genE0ELNS1_11target_archE4294967295ELNS1_3gpuE0ELNS1_3repE0EEENS1_30default_config_static_selectorELNS0_4arch9wavefront6targetE1EEEvT1_
    .private_segment_fixed_size: 0
    .sgpr_count:     6
    .sgpr_spill_count: 0
    .symbol:         _ZN7rocprim17ROCPRIM_400000_NS6detail17trampoline_kernelINS0_14default_configENS1_25partition_config_selectorILNS1_17partition_subalgoE9EllbEEZZNS1_14partition_implILS5_9ELb0ES3_jPlS8_PNS0_10empty_typeENS0_5tupleIJS8_S9_EEENSB_IJS8_SA_EEENS0_18inequality_wrapperIZN2at6native12_GLOBAL__N_124unique_dim_cuda_templateIfEESt5tupleIJNSF_6TensorESK_SK_EERKSK_lbbbEUlllE0_EEPmJS9_EEE10hipError_tPvRmT3_T4_T5_T6_T7_T9_mT8_P12ihipStream_tbDpT10_ENKUlT_T0_E_clISt17integral_constantIbLb1EES19_IbLb0EEEEDaS15_S16_EUlS15_E_NS1_11comp_targetILNS1_3genE0ELNS1_11target_archE4294967295ELNS1_3gpuE0ELNS1_3repE0EEENS1_30default_config_static_selectorELNS0_4arch9wavefront6targetE1EEEvT1_.kd
    .uniform_work_group_size: 1
    .uses_dynamic_stack: false
    .vgpr_count:     0
    .vgpr_spill_count: 0
    .wavefront_size: 64
  - .agpr_count:     0
    .args:
      - .offset:         0
        .size:           120
        .value_kind:     by_value
    .group_segment_fixed_size: 0
    .kernarg_segment_align: 8
    .kernarg_segment_size: 120
    .language:       OpenCL C
    .language_version:
      - 2
      - 0
    .max_flat_workgroup_size: 512
    .name:           _ZN7rocprim17ROCPRIM_400000_NS6detail17trampoline_kernelINS0_14default_configENS1_25partition_config_selectorILNS1_17partition_subalgoE9EllbEEZZNS1_14partition_implILS5_9ELb0ES3_jPlS8_PNS0_10empty_typeENS0_5tupleIJS8_S9_EEENSB_IJS8_SA_EEENS0_18inequality_wrapperIZN2at6native12_GLOBAL__N_124unique_dim_cuda_templateIfEESt5tupleIJNSF_6TensorESK_SK_EERKSK_lbbbEUlllE0_EEPmJS9_EEE10hipError_tPvRmT3_T4_T5_T6_T7_T9_mT8_P12ihipStream_tbDpT10_ENKUlT_T0_E_clISt17integral_constantIbLb1EES19_IbLb0EEEEDaS15_S16_EUlS15_E_NS1_11comp_targetILNS1_3genE5ELNS1_11target_archE942ELNS1_3gpuE9ELNS1_3repE0EEENS1_30default_config_static_selectorELNS0_4arch9wavefront6targetE1EEEvT1_
    .private_segment_fixed_size: 0
    .sgpr_count:     6
    .sgpr_spill_count: 0
    .symbol:         _ZN7rocprim17ROCPRIM_400000_NS6detail17trampoline_kernelINS0_14default_configENS1_25partition_config_selectorILNS1_17partition_subalgoE9EllbEEZZNS1_14partition_implILS5_9ELb0ES3_jPlS8_PNS0_10empty_typeENS0_5tupleIJS8_S9_EEENSB_IJS8_SA_EEENS0_18inequality_wrapperIZN2at6native12_GLOBAL__N_124unique_dim_cuda_templateIfEESt5tupleIJNSF_6TensorESK_SK_EERKSK_lbbbEUlllE0_EEPmJS9_EEE10hipError_tPvRmT3_T4_T5_T6_T7_T9_mT8_P12ihipStream_tbDpT10_ENKUlT_T0_E_clISt17integral_constantIbLb1EES19_IbLb0EEEEDaS15_S16_EUlS15_E_NS1_11comp_targetILNS1_3genE5ELNS1_11target_archE942ELNS1_3gpuE9ELNS1_3repE0EEENS1_30default_config_static_selectorELNS0_4arch9wavefront6targetE1EEEvT1_.kd
    .uniform_work_group_size: 1
    .uses_dynamic_stack: false
    .vgpr_count:     0
    .vgpr_spill_count: 0
    .wavefront_size: 64
  - .agpr_count:     0
    .args:
      - .offset:         0
        .size:           120
        .value_kind:     by_value
    .group_segment_fixed_size: 0
    .kernarg_segment_align: 8
    .kernarg_segment_size: 120
    .language:       OpenCL C
    .language_version:
      - 2
      - 0
    .max_flat_workgroup_size: 128
    .name:           _ZN7rocprim17ROCPRIM_400000_NS6detail17trampoline_kernelINS0_14default_configENS1_25partition_config_selectorILNS1_17partition_subalgoE9EllbEEZZNS1_14partition_implILS5_9ELb0ES3_jPlS8_PNS0_10empty_typeENS0_5tupleIJS8_S9_EEENSB_IJS8_SA_EEENS0_18inequality_wrapperIZN2at6native12_GLOBAL__N_124unique_dim_cuda_templateIfEESt5tupleIJNSF_6TensorESK_SK_EERKSK_lbbbEUlllE0_EEPmJS9_EEE10hipError_tPvRmT3_T4_T5_T6_T7_T9_mT8_P12ihipStream_tbDpT10_ENKUlT_T0_E_clISt17integral_constantIbLb1EES19_IbLb0EEEEDaS15_S16_EUlS15_E_NS1_11comp_targetILNS1_3genE4ELNS1_11target_archE910ELNS1_3gpuE8ELNS1_3repE0EEENS1_30default_config_static_selectorELNS0_4arch9wavefront6targetE1EEEvT1_
    .private_segment_fixed_size: 0
    .sgpr_count:     6
    .sgpr_spill_count: 0
    .symbol:         _ZN7rocprim17ROCPRIM_400000_NS6detail17trampoline_kernelINS0_14default_configENS1_25partition_config_selectorILNS1_17partition_subalgoE9EllbEEZZNS1_14partition_implILS5_9ELb0ES3_jPlS8_PNS0_10empty_typeENS0_5tupleIJS8_S9_EEENSB_IJS8_SA_EEENS0_18inequality_wrapperIZN2at6native12_GLOBAL__N_124unique_dim_cuda_templateIfEESt5tupleIJNSF_6TensorESK_SK_EERKSK_lbbbEUlllE0_EEPmJS9_EEE10hipError_tPvRmT3_T4_T5_T6_T7_T9_mT8_P12ihipStream_tbDpT10_ENKUlT_T0_E_clISt17integral_constantIbLb1EES19_IbLb0EEEEDaS15_S16_EUlS15_E_NS1_11comp_targetILNS1_3genE4ELNS1_11target_archE910ELNS1_3gpuE8ELNS1_3repE0EEENS1_30default_config_static_selectorELNS0_4arch9wavefront6targetE1EEEvT1_.kd
    .uniform_work_group_size: 1
    .uses_dynamic_stack: false
    .vgpr_count:     0
    .vgpr_spill_count: 0
    .wavefront_size: 64
  - .agpr_count:     0
    .args:
      - .offset:         0
        .size:           120
        .value_kind:     by_value
    .group_segment_fixed_size: 0
    .kernarg_segment_align: 8
    .kernarg_segment_size: 120
    .language:       OpenCL C
    .language_version:
      - 2
      - 0
    .max_flat_workgroup_size: 128
    .name:           _ZN7rocprim17ROCPRIM_400000_NS6detail17trampoline_kernelINS0_14default_configENS1_25partition_config_selectorILNS1_17partition_subalgoE9EllbEEZZNS1_14partition_implILS5_9ELb0ES3_jPlS8_PNS0_10empty_typeENS0_5tupleIJS8_S9_EEENSB_IJS8_SA_EEENS0_18inequality_wrapperIZN2at6native12_GLOBAL__N_124unique_dim_cuda_templateIfEESt5tupleIJNSF_6TensorESK_SK_EERKSK_lbbbEUlllE0_EEPmJS9_EEE10hipError_tPvRmT3_T4_T5_T6_T7_T9_mT8_P12ihipStream_tbDpT10_ENKUlT_T0_E_clISt17integral_constantIbLb1EES19_IbLb0EEEEDaS15_S16_EUlS15_E_NS1_11comp_targetILNS1_3genE3ELNS1_11target_archE908ELNS1_3gpuE7ELNS1_3repE0EEENS1_30default_config_static_selectorELNS0_4arch9wavefront6targetE1EEEvT1_
    .private_segment_fixed_size: 0
    .sgpr_count:     6
    .sgpr_spill_count: 0
    .symbol:         _ZN7rocprim17ROCPRIM_400000_NS6detail17trampoline_kernelINS0_14default_configENS1_25partition_config_selectorILNS1_17partition_subalgoE9EllbEEZZNS1_14partition_implILS5_9ELb0ES3_jPlS8_PNS0_10empty_typeENS0_5tupleIJS8_S9_EEENSB_IJS8_SA_EEENS0_18inequality_wrapperIZN2at6native12_GLOBAL__N_124unique_dim_cuda_templateIfEESt5tupleIJNSF_6TensorESK_SK_EERKSK_lbbbEUlllE0_EEPmJS9_EEE10hipError_tPvRmT3_T4_T5_T6_T7_T9_mT8_P12ihipStream_tbDpT10_ENKUlT_T0_E_clISt17integral_constantIbLb1EES19_IbLb0EEEEDaS15_S16_EUlS15_E_NS1_11comp_targetILNS1_3genE3ELNS1_11target_archE908ELNS1_3gpuE7ELNS1_3repE0EEENS1_30default_config_static_selectorELNS0_4arch9wavefront6targetE1EEEvT1_.kd
    .uniform_work_group_size: 1
    .uses_dynamic_stack: false
    .vgpr_count:     0
    .vgpr_spill_count: 0
    .wavefront_size: 64
  - .agpr_count:     0
    .args:
      - .offset:         0
        .size:           120
        .value_kind:     by_value
    .group_segment_fixed_size: 0
    .kernarg_segment_align: 8
    .kernarg_segment_size: 120
    .language:       OpenCL C
    .language_version:
      - 2
      - 0
    .max_flat_workgroup_size: 192
    .name:           _ZN7rocprim17ROCPRIM_400000_NS6detail17trampoline_kernelINS0_14default_configENS1_25partition_config_selectorILNS1_17partition_subalgoE9EllbEEZZNS1_14partition_implILS5_9ELb0ES3_jPlS8_PNS0_10empty_typeENS0_5tupleIJS8_S9_EEENSB_IJS8_SA_EEENS0_18inequality_wrapperIZN2at6native12_GLOBAL__N_124unique_dim_cuda_templateIfEESt5tupleIJNSF_6TensorESK_SK_EERKSK_lbbbEUlllE0_EEPmJS9_EEE10hipError_tPvRmT3_T4_T5_T6_T7_T9_mT8_P12ihipStream_tbDpT10_ENKUlT_T0_E_clISt17integral_constantIbLb1EES19_IbLb0EEEEDaS15_S16_EUlS15_E_NS1_11comp_targetILNS1_3genE2ELNS1_11target_archE906ELNS1_3gpuE6ELNS1_3repE0EEENS1_30default_config_static_selectorELNS0_4arch9wavefront6targetE1EEEvT1_
    .private_segment_fixed_size: 0
    .sgpr_count:     6
    .sgpr_spill_count: 0
    .symbol:         _ZN7rocprim17ROCPRIM_400000_NS6detail17trampoline_kernelINS0_14default_configENS1_25partition_config_selectorILNS1_17partition_subalgoE9EllbEEZZNS1_14partition_implILS5_9ELb0ES3_jPlS8_PNS0_10empty_typeENS0_5tupleIJS8_S9_EEENSB_IJS8_SA_EEENS0_18inequality_wrapperIZN2at6native12_GLOBAL__N_124unique_dim_cuda_templateIfEESt5tupleIJNSF_6TensorESK_SK_EERKSK_lbbbEUlllE0_EEPmJS9_EEE10hipError_tPvRmT3_T4_T5_T6_T7_T9_mT8_P12ihipStream_tbDpT10_ENKUlT_T0_E_clISt17integral_constantIbLb1EES19_IbLb0EEEEDaS15_S16_EUlS15_E_NS1_11comp_targetILNS1_3genE2ELNS1_11target_archE906ELNS1_3gpuE6ELNS1_3repE0EEENS1_30default_config_static_selectorELNS0_4arch9wavefront6targetE1EEEvT1_.kd
    .uniform_work_group_size: 1
    .uses_dynamic_stack: false
    .vgpr_count:     0
    .vgpr_spill_count: 0
    .wavefront_size: 64
  - .agpr_count:     0
    .args:
      - .offset:         0
        .size:           120
        .value_kind:     by_value
    .group_segment_fixed_size: 0
    .kernarg_segment_align: 8
    .kernarg_segment_size: 120
    .language:       OpenCL C
    .language_version:
      - 2
      - 0
    .max_flat_workgroup_size: 384
    .name:           _ZN7rocprim17ROCPRIM_400000_NS6detail17trampoline_kernelINS0_14default_configENS1_25partition_config_selectorILNS1_17partition_subalgoE9EllbEEZZNS1_14partition_implILS5_9ELb0ES3_jPlS8_PNS0_10empty_typeENS0_5tupleIJS8_S9_EEENSB_IJS8_SA_EEENS0_18inequality_wrapperIZN2at6native12_GLOBAL__N_124unique_dim_cuda_templateIfEESt5tupleIJNSF_6TensorESK_SK_EERKSK_lbbbEUlllE0_EEPmJS9_EEE10hipError_tPvRmT3_T4_T5_T6_T7_T9_mT8_P12ihipStream_tbDpT10_ENKUlT_T0_E_clISt17integral_constantIbLb1EES19_IbLb0EEEEDaS15_S16_EUlS15_E_NS1_11comp_targetILNS1_3genE10ELNS1_11target_archE1200ELNS1_3gpuE4ELNS1_3repE0EEENS1_30default_config_static_selectorELNS0_4arch9wavefront6targetE1EEEvT1_
    .private_segment_fixed_size: 0
    .sgpr_count:     6
    .sgpr_spill_count: 0
    .symbol:         _ZN7rocprim17ROCPRIM_400000_NS6detail17trampoline_kernelINS0_14default_configENS1_25partition_config_selectorILNS1_17partition_subalgoE9EllbEEZZNS1_14partition_implILS5_9ELb0ES3_jPlS8_PNS0_10empty_typeENS0_5tupleIJS8_S9_EEENSB_IJS8_SA_EEENS0_18inequality_wrapperIZN2at6native12_GLOBAL__N_124unique_dim_cuda_templateIfEESt5tupleIJNSF_6TensorESK_SK_EERKSK_lbbbEUlllE0_EEPmJS9_EEE10hipError_tPvRmT3_T4_T5_T6_T7_T9_mT8_P12ihipStream_tbDpT10_ENKUlT_T0_E_clISt17integral_constantIbLb1EES19_IbLb0EEEEDaS15_S16_EUlS15_E_NS1_11comp_targetILNS1_3genE10ELNS1_11target_archE1200ELNS1_3gpuE4ELNS1_3repE0EEENS1_30default_config_static_selectorELNS0_4arch9wavefront6targetE1EEEvT1_.kd
    .uniform_work_group_size: 1
    .uses_dynamic_stack: false
    .vgpr_count:     0
    .vgpr_spill_count: 0
    .wavefront_size: 64
  - .agpr_count:     0
    .args:
      - .offset:         0
        .size:           120
        .value_kind:     by_value
    .group_segment_fixed_size: 0
    .kernarg_segment_align: 8
    .kernarg_segment_size: 120
    .language:       OpenCL C
    .language_version:
      - 2
      - 0
    .max_flat_workgroup_size: 512
    .name:           _ZN7rocprim17ROCPRIM_400000_NS6detail17trampoline_kernelINS0_14default_configENS1_25partition_config_selectorILNS1_17partition_subalgoE9EllbEEZZNS1_14partition_implILS5_9ELb0ES3_jPlS8_PNS0_10empty_typeENS0_5tupleIJS8_S9_EEENSB_IJS8_SA_EEENS0_18inequality_wrapperIZN2at6native12_GLOBAL__N_124unique_dim_cuda_templateIfEESt5tupleIJNSF_6TensorESK_SK_EERKSK_lbbbEUlllE0_EEPmJS9_EEE10hipError_tPvRmT3_T4_T5_T6_T7_T9_mT8_P12ihipStream_tbDpT10_ENKUlT_T0_E_clISt17integral_constantIbLb1EES19_IbLb0EEEEDaS15_S16_EUlS15_E_NS1_11comp_targetILNS1_3genE9ELNS1_11target_archE1100ELNS1_3gpuE3ELNS1_3repE0EEENS1_30default_config_static_selectorELNS0_4arch9wavefront6targetE1EEEvT1_
    .private_segment_fixed_size: 0
    .sgpr_count:     6
    .sgpr_spill_count: 0
    .symbol:         _ZN7rocprim17ROCPRIM_400000_NS6detail17trampoline_kernelINS0_14default_configENS1_25partition_config_selectorILNS1_17partition_subalgoE9EllbEEZZNS1_14partition_implILS5_9ELb0ES3_jPlS8_PNS0_10empty_typeENS0_5tupleIJS8_S9_EEENSB_IJS8_SA_EEENS0_18inequality_wrapperIZN2at6native12_GLOBAL__N_124unique_dim_cuda_templateIfEESt5tupleIJNSF_6TensorESK_SK_EERKSK_lbbbEUlllE0_EEPmJS9_EEE10hipError_tPvRmT3_T4_T5_T6_T7_T9_mT8_P12ihipStream_tbDpT10_ENKUlT_T0_E_clISt17integral_constantIbLb1EES19_IbLb0EEEEDaS15_S16_EUlS15_E_NS1_11comp_targetILNS1_3genE9ELNS1_11target_archE1100ELNS1_3gpuE3ELNS1_3repE0EEENS1_30default_config_static_selectorELNS0_4arch9wavefront6targetE1EEEvT1_.kd
    .uniform_work_group_size: 1
    .uses_dynamic_stack: false
    .vgpr_count:     0
    .vgpr_spill_count: 0
    .wavefront_size: 64
  - .agpr_count:     0
    .args:
      - .offset:         0
        .size:           120
        .value_kind:     by_value
    .group_segment_fixed_size: 0
    .kernarg_segment_align: 8
    .kernarg_segment_size: 120
    .language:       OpenCL C
    .language_version:
      - 2
      - 0
    .max_flat_workgroup_size: 512
    .name:           _ZN7rocprim17ROCPRIM_400000_NS6detail17trampoline_kernelINS0_14default_configENS1_25partition_config_selectorILNS1_17partition_subalgoE9EllbEEZZNS1_14partition_implILS5_9ELb0ES3_jPlS8_PNS0_10empty_typeENS0_5tupleIJS8_S9_EEENSB_IJS8_SA_EEENS0_18inequality_wrapperIZN2at6native12_GLOBAL__N_124unique_dim_cuda_templateIfEESt5tupleIJNSF_6TensorESK_SK_EERKSK_lbbbEUlllE0_EEPmJS9_EEE10hipError_tPvRmT3_T4_T5_T6_T7_T9_mT8_P12ihipStream_tbDpT10_ENKUlT_T0_E_clISt17integral_constantIbLb1EES19_IbLb0EEEEDaS15_S16_EUlS15_E_NS1_11comp_targetILNS1_3genE8ELNS1_11target_archE1030ELNS1_3gpuE2ELNS1_3repE0EEENS1_30default_config_static_selectorELNS0_4arch9wavefront6targetE1EEEvT1_
    .private_segment_fixed_size: 0
    .sgpr_count:     6
    .sgpr_spill_count: 0
    .symbol:         _ZN7rocprim17ROCPRIM_400000_NS6detail17trampoline_kernelINS0_14default_configENS1_25partition_config_selectorILNS1_17partition_subalgoE9EllbEEZZNS1_14partition_implILS5_9ELb0ES3_jPlS8_PNS0_10empty_typeENS0_5tupleIJS8_S9_EEENSB_IJS8_SA_EEENS0_18inequality_wrapperIZN2at6native12_GLOBAL__N_124unique_dim_cuda_templateIfEESt5tupleIJNSF_6TensorESK_SK_EERKSK_lbbbEUlllE0_EEPmJS9_EEE10hipError_tPvRmT3_T4_T5_T6_T7_T9_mT8_P12ihipStream_tbDpT10_ENKUlT_T0_E_clISt17integral_constantIbLb1EES19_IbLb0EEEEDaS15_S16_EUlS15_E_NS1_11comp_targetILNS1_3genE8ELNS1_11target_archE1030ELNS1_3gpuE2ELNS1_3repE0EEENS1_30default_config_static_selectorELNS0_4arch9wavefront6targetE1EEEvT1_.kd
    .uniform_work_group_size: 1
    .uses_dynamic_stack: false
    .vgpr_count:     0
    .vgpr_spill_count: 0
    .wavefront_size: 64
  - .agpr_count:     0
    .args:
      - .offset:         0
        .size:           136
        .value_kind:     by_value
    .group_segment_fixed_size: 5128
    .kernarg_segment_align: 8
    .kernarg_segment_size: 136
    .language:       OpenCL C
    .language_version:
      - 2
      - 0
    .max_flat_workgroup_size: 128
    .name:           _ZN7rocprim17ROCPRIM_400000_NS6detail17trampoline_kernelINS0_14default_configENS1_25partition_config_selectorILNS1_17partition_subalgoE9EllbEEZZNS1_14partition_implILS5_9ELb0ES3_jPlS8_PNS0_10empty_typeENS0_5tupleIJS8_S9_EEENSB_IJS8_SA_EEENS0_18inequality_wrapperIZN2at6native12_GLOBAL__N_124unique_dim_cuda_templateIfEESt5tupleIJNSF_6TensorESK_SK_EERKSK_lbbbEUlllE0_EEPmJS9_EEE10hipError_tPvRmT3_T4_T5_T6_T7_T9_mT8_P12ihipStream_tbDpT10_ENKUlT_T0_E_clISt17integral_constantIbLb0EES19_IbLb1EEEEDaS15_S16_EUlS15_E_NS1_11comp_targetILNS1_3genE0ELNS1_11target_archE4294967295ELNS1_3gpuE0ELNS1_3repE0EEENS1_30default_config_static_selectorELNS0_4arch9wavefront6targetE1EEEvT1_
    .private_segment_fixed_size: 0
    .sgpr_count:     58
    .sgpr_spill_count: 0
    .symbol:         _ZN7rocprim17ROCPRIM_400000_NS6detail17trampoline_kernelINS0_14default_configENS1_25partition_config_selectorILNS1_17partition_subalgoE9EllbEEZZNS1_14partition_implILS5_9ELb0ES3_jPlS8_PNS0_10empty_typeENS0_5tupleIJS8_S9_EEENSB_IJS8_SA_EEENS0_18inequality_wrapperIZN2at6native12_GLOBAL__N_124unique_dim_cuda_templateIfEESt5tupleIJNSF_6TensorESK_SK_EERKSK_lbbbEUlllE0_EEPmJS9_EEE10hipError_tPvRmT3_T4_T5_T6_T7_T9_mT8_P12ihipStream_tbDpT10_ENKUlT_T0_E_clISt17integral_constantIbLb0EES19_IbLb1EEEEDaS15_S16_EUlS15_E_NS1_11comp_targetILNS1_3genE0ELNS1_11target_archE4294967295ELNS1_3gpuE0ELNS1_3repE0EEENS1_30default_config_static_selectorELNS0_4arch9wavefront6targetE1EEEvT1_.kd
    .uniform_work_group_size: 1
    .uses_dynamic_stack: false
    .vgpr_count:     60
    .vgpr_spill_count: 0
    .wavefront_size: 64
  - .agpr_count:     0
    .args:
      - .offset:         0
        .size:           136
        .value_kind:     by_value
    .group_segment_fixed_size: 0
    .kernarg_segment_align: 8
    .kernarg_segment_size: 136
    .language:       OpenCL C
    .language_version:
      - 2
      - 0
    .max_flat_workgroup_size: 512
    .name:           _ZN7rocprim17ROCPRIM_400000_NS6detail17trampoline_kernelINS0_14default_configENS1_25partition_config_selectorILNS1_17partition_subalgoE9EllbEEZZNS1_14partition_implILS5_9ELb0ES3_jPlS8_PNS0_10empty_typeENS0_5tupleIJS8_S9_EEENSB_IJS8_SA_EEENS0_18inequality_wrapperIZN2at6native12_GLOBAL__N_124unique_dim_cuda_templateIfEESt5tupleIJNSF_6TensorESK_SK_EERKSK_lbbbEUlllE0_EEPmJS9_EEE10hipError_tPvRmT3_T4_T5_T6_T7_T9_mT8_P12ihipStream_tbDpT10_ENKUlT_T0_E_clISt17integral_constantIbLb0EES19_IbLb1EEEEDaS15_S16_EUlS15_E_NS1_11comp_targetILNS1_3genE5ELNS1_11target_archE942ELNS1_3gpuE9ELNS1_3repE0EEENS1_30default_config_static_selectorELNS0_4arch9wavefront6targetE1EEEvT1_
    .private_segment_fixed_size: 0
    .sgpr_count:     6
    .sgpr_spill_count: 0
    .symbol:         _ZN7rocprim17ROCPRIM_400000_NS6detail17trampoline_kernelINS0_14default_configENS1_25partition_config_selectorILNS1_17partition_subalgoE9EllbEEZZNS1_14partition_implILS5_9ELb0ES3_jPlS8_PNS0_10empty_typeENS0_5tupleIJS8_S9_EEENSB_IJS8_SA_EEENS0_18inequality_wrapperIZN2at6native12_GLOBAL__N_124unique_dim_cuda_templateIfEESt5tupleIJNSF_6TensorESK_SK_EERKSK_lbbbEUlllE0_EEPmJS9_EEE10hipError_tPvRmT3_T4_T5_T6_T7_T9_mT8_P12ihipStream_tbDpT10_ENKUlT_T0_E_clISt17integral_constantIbLb0EES19_IbLb1EEEEDaS15_S16_EUlS15_E_NS1_11comp_targetILNS1_3genE5ELNS1_11target_archE942ELNS1_3gpuE9ELNS1_3repE0EEENS1_30default_config_static_selectorELNS0_4arch9wavefront6targetE1EEEvT1_.kd
    .uniform_work_group_size: 1
    .uses_dynamic_stack: false
    .vgpr_count:     0
    .vgpr_spill_count: 0
    .wavefront_size: 64
  - .agpr_count:     0
    .args:
      - .offset:         0
        .size:           136
        .value_kind:     by_value
    .group_segment_fixed_size: 0
    .kernarg_segment_align: 8
    .kernarg_segment_size: 136
    .language:       OpenCL C
    .language_version:
      - 2
      - 0
    .max_flat_workgroup_size: 128
    .name:           _ZN7rocprim17ROCPRIM_400000_NS6detail17trampoline_kernelINS0_14default_configENS1_25partition_config_selectorILNS1_17partition_subalgoE9EllbEEZZNS1_14partition_implILS5_9ELb0ES3_jPlS8_PNS0_10empty_typeENS0_5tupleIJS8_S9_EEENSB_IJS8_SA_EEENS0_18inequality_wrapperIZN2at6native12_GLOBAL__N_124unique_dim_cuda_templateIfEESt5tupleIJNSF_6TensorESK_SK_EERKSK_lbbbEUlllE0_EEPmJS9_EEE10hipError_tPvRmT3_T4_T5_T6_T7_T9_mT8_P12ihipStream_tbDpT10_ENKUlT_T0_E_clISt17integral_constantIbLb0EES19_IbLb1EEEEDaS15_S16_EUlS15_E_NS1_11comp_targetILNS1_3genE4ELNS1_11target_archE910ELNS1_3gpuE8ELNS1_3repE0EEENS1_30default_config_static_selectorELNS0_4arch9wavefront6targetE1EEEvT1_
    .private_segment_fixed_size: 0
    .sgpr_count:     6
    .sgpr_spill_count: 0
    .symbol:         _ZN7rocprim17ROCPRIM_400000_NS6detail17trampoline_kernelINS0_14default_configENS1_25partition_config_selectorILNS1_17partition_subalgoE9EllbEEZZNS1_14partition_implILS5_9ELb0ES3_jPlS8_PNS0_10empty_typeENS0_5tupleIJS8_S9_EEENSB_IJS8_SA_EEENS0_18inequality_wrapperIZN2at6native12_GLOBAL__N_124unique_dim_cuda_templateIfEESt5tupleIJNSF_6TensorESK_SK_EERKSK_lbbbEUlllE0_EEPmJS9_EEE10hipError_tPvRmT3_T4_T5_T6_T7_T9_mT8_P12ihipStream_tbDpT10_ENKUlT_T0_E_clISt17integral_constantIbLb0EES19_IbLb1EEEEDaS15_S16_EUlS15_E_NS1_11comp_targetILNS1_3genE4ELNS1_11target_archE910ELNS1_3gpuE8ELNS1_3repE0EEENS1_30default_config_static_selectorELNS0_4arch9wavefront6targetE1EEEvT1_.kd
    .uniform_work_group_size: 1
    .uses_dynamic_stack: false
    .vgpr_count:     0
    .vgpr_spill_count: 0
    .wavefront_size: 64
  - .agpr_count:     0
    .args:
      - .offset:         0
        .size:           136
        .value_kind:     by_value
    .group_segment_fixed_size: 0
    .kernarg_segment_align: 8
    .kernarg_segment_size: 136
    .language:       OpenCL C
    .language_version:
      - 2
      - 0
    .max_flat_workgroup_size: 128
    .name:           _ZN7rocprim17ROCPRIM_400000_NS6detail17trampoline_kernelINS0_14default_configENS1_25partition_config_selectorILNS1_17partition_subalgoE9EllbEEZZNS1_14partition_implILS5_9ELb0ES3_jPlS8_PNS0_10empty_typeENS0_5tupleIJS8_S9_EEENSB_IJS8_SA_EEENS0_18inequality_wrapperIZN2at6native12_GLOBAL__N_124unique_dim_cuda_templateIfEESt5tupleIJNSF_6TensorESK_SK_EERKSK_lbbbEUlllE0_EEPmJS9_EEE10hipError_tPvRmT3_T4_T5_T6_T7_T9_mT8_P12ihipStream_tbDpT10_ENKUlT_T0_E_clISt17integral_constantIbLb0EES19_IbLb1EEEEDaS15_S16_EUlS15_E_NS1_11comp_targetILNS1_3genE3ELNS1_11target_archE908ELNS1_3gpuE7ELNS1_3repE0EEENS1_30default_config_static_selectorELNS0_4arch9wavefront6targetE1EEEvT1_
    .private_segment_fixed_size: 0
    .sgpr_count:     6
    .sgpr_spill_count: 0
    .symbol:         _ZN7rocprim17ROCPRIM_400000_NS6detail17trampoline_kernelINS0_14default_configENS1_25partition_config_selectorILNS1_17partition_subalgoE9EllbEEZZNS1_14partition_implILS5_9ELb0ES3_jPlS8_PNS0_10empty_typeENS0_5tupleIJS8_S9_EEENSB_IJS8_SA_EEENS0_18inequality_wrapperIZN2at6native12_GLOBAL__N_124unique_dim_cuda_templateIfEESt5tupleIJNSF_6TensorESK_SK_EERKSK_lbbbEUlllE0_EEPmJS9_EEE10hipError_tPvRmT3_T4_T5_T6_T7_T9_mT8_P12ihipStream_tbDpT10_ENKUlT_T0_E_clISt17integral_constantIbLb0EES19_IbLb1EEEEDaS15_S16_EUlS15_E_NS1_11comp_targetILNS1_3genE3ELNS1_11target_archE908ELNS1_3gpuE7ELNS1_3repE0EEENS1_30default_config_static_selectorELNS0_4arch9wavefront6targetE1EEEvT1_.kd
    .uniform_work_group_size: 1
    .uses_dynamic_stack: false
    .vgpr_count:     0
    .vgpr_spill_count: 0
    .wavefront_size: 64
  - .agpr_count:     0
    .args:
      - .offset:         0
        .size:           136
        .value_kind:     by_value
    .group_segment_fixed_size: 0
    .kernarg_segment_align: 8
    .kernarg_segment_size: 136
    .language:       OpenCL C
    .language_version:
      - 2
      - 0
    .max_flat_workgroup_size: 192
    .name:           _ZN7rocprim17ROCPRIM_400000_NS6detail17trampoline_kernelINS0_14default_configENS1_25partition_config_selectorILNS1_17partition_subalgoE9EllbEEZZNS1_14partition_implILS5_9ELb0ES3_jPlS8_PNS0_10empty_typeENS0_5tupleIJS8_S9_EEENSB_IJS8_SA_EEENS0_18inequality_wrapperIZN2at6native12_GLOBAL__N_124unique_dim_cuda_templateIfEESt5tupleIJNSF_6TensorESK_SK_EERKSK_lbbbEUlllE0_EEPmJS9_EEE10hipError_tPvRmT3_T4_T5_T6_T7_T9_mT8_P12ihipStream_tbDpT10_ENKUlT_T0_E_clISt17integral_constantIbLb0EES19_IbLb1EEEEDaS15_S16_EUlS15_E_NS1_11comp_targetILNS1_3genE2ELNS1_11target_archE906ELNS1_3gpuE6ELNS1_3repE0EEENS1_30default_config_static_selectorELNS0_4arch9wavefront6targetE1EEEvT1_
    .private_segment_fixed_size: 0
    .sgpr_count:     6
    .sgpr_spill_count: 0
    .symbol:         _ZN7rocprim17ROCPRIM_400000_NS6detail17trampoline_kernelINS0_14default_configENS1_25partition_config_selectorILNS1_17partition_subalgoE9EllbEEZZNS1_14partition_implILS5_9ELb0ES3_jPlS8_PNS0_10empty_typeENS0_5tupleIJS8_S9_EEENSB_IJS8_SA_EEENS0_18inequality_wrapperIZN2at6native12_GLOBAL__N_124unique_dim_cuda_templateIfEESt5tupleIJNSF_6TensorESK_SK_EERKSK_lbbbEUlllE0_EEPmJS9_EEE10hipError_tPvRmT3_T4_T5_T6_T7_T9_mT8_P12ihipStream_tbDpT10_ENKUlT_T0_E_clISt17integral_constantIbLb0EES19_IbLb1EEEEDaS15_S16_EUlS15_E_NS1_11comp_targetILNS1_3genE2ELNS1_11target_archE906ELNS1_3gpuE6ELNS1_3repE0EEENS1_30default_config_static_selectorELNS0_4arch9wavefront6targetE1EEEvT1_.kd
    .uniform_work_group_size: 1
    .uses_dynamic_stack: false
    .vgpr_count:     0
    .vgpr_spill_count: 0
    .wavefront_size: 64
  - .agpr_count:     0
    .args:
      - .offset:         0
        .size:           136
        .value_kind:     by_value
    .group_segment_fixed_size: 0
    .kernarg_segment_align: 8
    .kernarg_segment_size: 136
    .language:       OpenCL C
    .language_version:
      - 2
      - 0
    .max_flat_workgroup_size: 384
    .name:           _ZN7rocprim17ROCPRIM_400000_NS6detail17trampoline_kernelINS0_14default_configENS1_25partition_config_selectorILNS1_17partition_subalgoE9EllbEEZZNS1_14partition_implILS5_9ELb0ES3_jPlS8_PNS0_10empty_typeENS0_5tupleIJS8_S9_EEENSB_IJS8_SA_EEENS0_18inequality_wrapperIZN2at6native12_GLOBAL__N_124unique_dim_cuda_templateIfEESt5tupleIJNSF_6TensorESK_SK_EERKSK_lbbbEUlllE0_EEPmJS9_EEE10hipError_tPvRmT3_T4_T5_T6_T7_T9_mT8_P12ihipStream_tbDpT10_ENKUlT_T0_E_clISt17integral_constantIbLb0EES19_IbLb1EEEEDaS15_S16_EUlS15_E_NS1_11comp_targetILNS1_3genE10ELNS1_11target_archE1200ELNS1_3gpuE4ELNS1_3repE0EEENS1_30default_config_static_selectorELNS0_4arch9wavefront6targetE1EEEvT1_
    .private_segment_fixed_size: 0
    .sgpr_count:     6
    .sgpr_spill_count: 0
    .symbol:         _ZN7rocprim17ROCPRIM_400000_NS6detail17trampoline_kernelINS0_14default_configENS1_25partition_config_selectorILNS1_17partition_subalgoE9EllbEEZZNS1_14partition_implILS5_9ELb0ES3_jPlS8_PNS0_10empty_typeENS0_5tupleIJS8_S9_EEENSB_IJS8_SA_EEENS0_18inequality_wrapperIZN2at6native12_GLOBAL__N_124unique_dim_cuda_templateIfEESt5tupleIJNSF_6TensorESK_SK_EERKSK_lbbbEUlllE0_EEPmJS9_EEE10hipError_tPvRmT3_T4_T5_T6_T7_T9_mT8_P12ihipStream_tbDpT10_ENKUlT_T0_E_clISt17integral_constantIbLb0EES19_IbLb1EEEEDaS15_S16_EUlS15_E_NS1_11comp_targetILNS1_3genE10ELNS1_11target_archE1200ELNS1_3gpuE4ELNS1_3repE0EEENS1_30default_config_static_selectorELNS0_4arch9wavefront6targetE1EEEvT1_.kd
    .uniform_work_group_size: 1
    .uses_dynamic_stack: false
    .vgpr_count:     0
    .vgpr_spill_count: 0
    .wavefront_size: 64
  - .agpr_count:     0
    .args:
      - .offset:         0
        .size:           136
        .value_kind:     by_value
    .group_segment_fixed_size: 0
    .kernarg_segment_align: 8
    .kernarg_segment_size: 136
    .language:       OpenCL C
    .language_version:
      - 2
      - 0
    .max_flat_workgroup_size: 512
    .name:           _ZN7rocprim17ROCPRIM_400000_NS6detail17trampoline_kernelINS0_14default_configENS1_25partition_config_selectorILNS1_17partition_subalgoE9EllbEEZZNS1_14partition_implILS5_9ELb0ES3_jPlS8_PNS0_10empty_typeENS0_5tupleIJS8_S9_EEENSB_IJS8_SA_EEENS0_18inequality_wrapperIZN2at6native12_GLOBAL__N_124unique_dim_cuda_templateIfEESt5tupleIJNSF_6TensorESK_SK_EERKSK_lbbbEUlllE0_EEPmJS9_EEE10hipError_tPvRmT3_T4_T5_T6_T7_T9_mT8_P12ihipStream_tbDpT10_ENKUlT_T0_E_clISt17integral_constantIbLb0EES19_IbLb1EEEEDaS15_S16_EUlS15_E_NS1_11comp_targetILNS1_3genE9ELNS1_11target_archE1100ELNS1_3gpuE3ELNS1_3repE0EEENS1_30default_config_static_selectorELNS0_4arch9wavefront6targetE1EEEvT1_
    .private_segment_fixed_size: 0
    .sgpr_count:     6
    .sgpr_spill_count: 0
    .symbol:         _ZN7rocprim17ROCPRIM_400000_NS6detail17trampoline_kernelINS0_14default_configENS1_25partition_config_selectorILNS1_17partition_subalgoE9EllbEEZZNS1_14partition_implILS5_9ELb0ES3_jPlS8_PNS0_10empty_typeENS0_5tupleIJS8_S9_EEENSB_IJS8_SA_EEENS0_18inequality_wrapperIZN2at6native12_GLOBAL__N_124unique_dim_cuda_templateIfEESt5tupleIJNSF_6TensorESK_SK_EERKSK_lbbbEUlllE0_EEPmJS9_EEE10hipError_tPvRmT3_T4_T5_T6_T7_T9_mT8_P12ihipStream_tbDpT10_ENKUlT_T0_E_clISt17integral_constantIbLb0EES19_IbLb1EEEEDaS15_S16_EUlS15_E_NS1_11comp_targetILNS1_3genE9ELNS1_11target_archE1100ELNS1_3gpuE3ELNS1_3repE0EEENS1_30default_config_static_selectorELNS0_4arch9wavefront6targetE1EEEvT1_.kd
    .uniform_work_group_size: 1
    .uses_dynamic_stack: false
    .vgpr_count:     0
    .vgpr_spill_count: 0
    .wavefront_size: 64
  - .agpr_count:     0
    .args:
      - .offset:         0
        .size:           136
        .value_kind:     by_value
    .group_segment_fixed_size: 0
    .kernarg_segment_align: 8
    .kernarg_segment_size: 136
    .language:       OpenCL C
    .language_version:
      - 2
      - 0
    .max_flat_workgroup_size: 512
    .name:           _ZN7rocprim17ROCPRIM_400000_NS6detail17trampoline_kernelINS0_14default_configENS1_25partition_config_selectorILNS1_17partition_subalgoE9EllbEEZZNS1_14partition_implILS5_9ELb0ES3_jPlS8_PNS0_10empty_typeENS0_5tupleIJS8_S9_EEENSB_IJS8_SA_EEENS0_18inequality_wrapperIZN2at6native12_GLOBAL__N_124unique_dim_cuda_templateIfEESt5tupleIJNSF_6TensorESK_SK_EERKSK_lbbbEUlllE0_EEPmJS9_EEE10hipError_tPvRmT3_T4_T5_T6_T7_T9_mT8_P12ihipStream_tbDpT10_ENKUlT_T0_E_clISt17integral_constantIbLb0EES19_IbLb1EEEEDaS15_S16_EUlS15_E_NS1_11comp_targetILNS1_3genE8ELNS1_11target_archE1030ELNS1_3gpuE2ELNS1_3repE0EEENS1_30default_config_static_selectorELNS0_4arch9wavefront6targetE1EEEvT1_
    .private_segment_fixed_size: 0
    .sgpr_count:     6
    .sgpr_spill_count: 0
    .symbol:         _ZN7rocprim17ROCPRIM_400000_NS6detail17trampoline_kernelINS0_14default_configENS1_25partition_config_selectorILNS1_17partition_subalgoE9EllbEEZZNS1_14partition_implILS5_9ELb0ES3_jPlS8_PNS0_10empty_typeENS0_5tupleIJS8_S9_EEENSB_IJS8_SA_EEENS0_18inequality_wrapperIZN2at6native12_GLOBAL__N_124unique_dim_cuda_templateIfEESt5tupleIJNSF_6TensorESK_SK_EERKSK_lbbbEUlllE0_EEPmJS9_EEE10hipError_tPvRmT3_T4_T5_T6_T7_T9_mT8_P12ihipStream_tbDpT10_ENKUlT_T0_E_clISt17integral_constantIbLb0EES19_IbLb1EEEEDaS15_S16_EUlS15_E_NS1_11comp_targetILNS1_3genE8ELNS1_11target_archE1030ELNS1_3gpuE2ELNS1_3repE0EEENS1_30default_config_static_selectorELNS0_4arch9wavefront6targetE1EEEvT1_.kd
    .uniform_work_group_size: 1
    .uses_dynamic_stack: false
    .vgpr_count:     0
    .vgpr_spill_count: 0
    .wavefront_size: 64
  - .agpr_count:     0
    .args:
      - .offset:         0
        .size:           72
        .value_kind:     by_value
      - .offset:         72
        .size:           4
        .value_kind:     hidden_block_count_x
      - .offset:         76
        .size:           4
        .value_kind:     hidden_block_count_y
      - .offset:         80
        .size:           4
        .value_kind:     hidden_block_count_z
      - .offset:         84
        .size:           2
        .value_kind:     hidden_group_size_x
      - .offset:         86
        .size:           2
        .value_kind:     hidden_group_size_y
      - .offset:         88
        .size:           2
        .value_kind:     hidden_group_size_z
      - .offset:         90
        .size:           2
        .value_kind:     hidden_remainder_x
      - .offset:         92
        .size:           2
        .value_kind:     hidden_remainder_y
      - .offset:         94
        .size:           2
        .value_kind:     hidden_remainder_z
      - .offset:         112
        .size:           8
        .value_kind:     hidden_global_offset_x
      - .offset:         120
        .size:           8
        .value_kind:     hidden_global_offset_y
      - .offset:         128
        .size:           8
        .value_kind:     hidden_global_offset_z
      - .offset:         136
        .size:           2
        .value_kind:     hidden_grid_dims
    .group_segment_fixed_size: 16896
    .kernarg_segment_align: 8
    .kernarg_segment_size: 328
    .language:       OpenCL C
    .language_version:
      - 2
      - 0
    .max_flat_workgroup_size: 256
    .name:           _ZN7rocprim17ROCPRIM_400000_NS6detail17trampoline_kernelINS0_14default_configENS1_37merge_sort_block_sort_config_selectorIlNS0_10empty_typeEEEZNS1_21merge_sort_block_sortIS3_PlS8_PS5_S9_ZN2at6native12_GLOBAL__N_124unique_dim_cuda_templateIbEESt5tupleIJNSA_6TensorESF_SF_EERKSF_lbbbEUlllE_EE10hipError_tT0_T1_T2_T3_mRjT4_P12ihipStream_tbNS1_7vsmem_tEEUlT_E_NS1_11comp_targetILNS1_3genE0ELNS1_11target_archE4294967295ELNS1_3gpuE0ELNS1_3repE0EEENS1_30default_config_static_selectorELNS0_4arch9wavefront6targetE1EEEvSM_
    .private_segment_fixed_size: 0
    .sgpr_count:     78
    .sgpr_spill_count: 0
    .symbol:         _ZN7rocprim17ROCPRIM_400000_NS6detail17trampoline_kernelINS0_14default_configENS1_37merge_sort_block_sort_config_selectorIlNS0_10empty_typeEEEZNS1_21merge_sort_block_sortIS3_PlS8_PS5_S9_ZN2at6native12_GLOBAL__N_124unique_dim_cuda_templateIbEESt5tupleIJNSA_6TensorESF_SF_EERKSF_lbbbEUlllE_EE10hipError_tT0_T1_T2_T3_mRjT4_P12ihipStream_tbNS1_7vsmem_tEEUlT_E_NS1_11comp_targetILNS1_3genE0ELNS1_11target_archE4294967295ELNS1_3gpuE0ELNS1_3repE0EEENS1_30default_config_static_selectorELNS0_4arch9wavefront6targetE1EEEvSM_.kd
    .uniform_work_group_size: 1
    .uses_dynamic_stack: false
    .vgpr_count:     55
    .vgpr_spill_count: 0
    .wavefront_size: 64
  - .agpr_count:     0
    .args:
      - .offset:         0
        .size:           72
        .value_kind:     by_value
    .group_segment_fixed_size: 0
    .kernarg_segment_align: 8
    .kernarg_segment_size: 72
    .language:       OpenCL C
    .language_version:
      - 2
      - 0
    .max_flat_workgroup_size: 256
    .name:           _ZN7rocprim17ROCPRIM_400000_NS6detail17trampoline_kernelINS0_14default_configENS1_37merge_sort_block_sort_config_selectorIlNS0_10empty_typeEEEZNS1_21merge_sort_block_sortIS3_PlS8_PS5_S9_ZN2at6native12_GLOBAL__N_124unique_dim_cuda_templateIbEESt5tupleIJNSA_6TensorESF_SF_EERKSF_lbbbEUlllE_EE10hipError_tT0_T1_T2_T3_mRjT4_P12ihipStream_tbNS1_7vsmem_tEEUlT_E_NS1_11comp_targetILNS1_3genE5ELNS1_11target_archE942ELNS1_3gpuE9ELNS1_3repE0EEENS1_30default_config_static_selectorELNS0_4arch9wavefront6targetE1EEEvSM_
    .private_segment_fixed_size: 0
    .sgpr_count:     6
    .sgpr_spill_count: 0
    .symbol:         _ZN7rocprim17ROCPRIM_400000_NS6detail17trampoline_kernelINS0_14default_configENS1_37merge_sort_block_sort_config_selectorIlNS0_10empty_typeEEEZNS1_21merge_sort_block_sortIS3_PlS8_PS5_S9_ZN2at6native12_GLOBAL__N_124unique_dim_cuda_templateIbEESt5tupleIJNSA_6TensorESF_SF_EERKSF_lbbbEUlllE_EE10hipError_tT0_T1_T2_T3_mRjT4_P12ihipStream_tbNS1_7vsmem_tEEUlT_E_NS1_11comp_targetILNS1_3genE5ELNS1_11target_archE942ELNS1_3gpuE9ELNS1_3repE0EEENS1_30default_config_static_selectorELNS0_4arch9wavefront6targetE1EEEvSM_.kd
    .uniform_work_group_size: 1
    .uses_dynamic_stack: false
    .vgpr_count:     0
    .vgpr_spill_count: 0
    .wavefront_size: 64
  - .agpr_count:     0
    .args:
      - .offset:         0
        .size:           72
        .value_kind:     by_value
    .group_segment_fixed_size: 0
    .kernarg_segment_align: 8
    .kernarg_segment_size: 72
    .language:       OpenCL C
    .language_version:
      - 2
      - 0
    .max_flat_workgroup_size: 256
    .name:           _ZN7rocprim17ROCPRIM_400000_NS6detail17trampoline_kernelINS0_14default_configENS1_37merge_sort_block_sort_config_selectorIlNS0_10empty_typeEEEZNS1_21merge_sort_block_sortIS3_PlS8_PS5_S9_ZN2at6native12_GLOBAL__N_124unique_dim_cuda_templateIbEESt5tupleIJNSA_6TensorESF_SF_EERKSF_lbbbEUlllE_EE10hipError_tT0_T1_T2_T3_mRjT4_P12ihipStream_tbNS1_7vsmem_tEEUlT_E_NS1_11comp_targetILNS1_3genE4ELNS1_11target_archE910ELNS1_3gpuE8ELNS1_3repE0EEENS1_30default_config_static_selectorELNS0_4arch9wavefront6targetE1EEEvSM_
    .private_segment_fixed_size: 0
    .sgpr_count:     6
    .sgpr_spill_count: 0
    .symbol:         _ZN7rocprim17ROCPRIM_400000_NS6detail17trampoline_kernelINS0_14default_configENS1_37merge_sort_block_sort_config_selectorIlNS0_10empty_typeEEEZNS1_21merge_sort_block_sortIS3_PlS8_PS5_S9_ZN2at6native12_GLOBAL__N_124unique_dim_cuda_templateIbEESt5tupleIJNSA_6TensorESF_SF_EERKSF_lbbbEUlllE_EE10hipError_tT0_T1_T2_T3_mRjT4_P12ihipStream_tbNS1_7vsmem_tEEUlT_E_NS1_11comp_targetILNS1_3genE4ELNS1_11target_archE910ELNS1_3gpuE8ELNS1_3repE0EEENS1_30default_config_static_selectorELNS0_4arch9wavefront6targetE1EEEvSM_.kd
    .uniform_work_group_size: 1
    .uses_dynamic_stack: false
    .vgpr_count:     0
    .vgpr_spill_count: 0
    .wavefront_size: 64
  - .agpr_count:     0
    .args:
      - .offset:         0
        .size:           72
        .value_kind:     by_value
    .group_segment_fixed_size: 0
    .kernarg_segment_align: 8
    .kernarg_segment_size: 72
    .language:       OpenCL C
    .language_version:
      - 2
      - 0
    .max_flat_workgroup_size: 256
    .name:           _ZN7rocprim17ROCPRIM_400000_NS6detail17trampoline_kernelINS0_14default_configENS1_37merge_sort_block_sort_config_selectorIlNS0_10empty_typeEEEZNS1_21merge_sort_block_sortIS3_PlS8_PS5_S9_ZN2at6native12_GLOBAL__N_124unique_dim_cuda_templateIbEESt5tupleIJNSA_6TensorESF_SF_EERKSF_lbbbEUlllE_EE10hipError_tT0_T1_T2_T3_mRjT4_P12ihipStream_tbNS1_7vsmem_tEEUlT_E_NS1_11comp_targetILNS1_3genE3ELNS1_11target_archE908ELNS1_3gpuE7ELNS1_3repE0EEENS1_30default_config_static_selectorELNS0_4arch9wavefront6targetE1EEEvSM_
    .private_segment_fixed_size: 0
    .sgpr_count:     6
    .sgpr_spill_count: 0
    .symbol:         _ZN7rocprim17ROCPRIM_400000_NS6detail17trampoline_kernelINS0_14default_configENS1_37merge_sort_block_sort_config_selectorIlNS0_10empty_typeEEEZNS1_21merge_sort_block_sortIS3_PlS8_PS5_S9_ZN2at6native12_GLOBAL__N_124unique_dim_cuda_templateIbEESt5tupleIJNSA_6TensorESF_SF_EERKSF_lbbbEUlllE_EE10hipError_tT0_T1_T2_T3_mRjT4_P12ihipStream_tbNS1_7vsmem_tEEUlT_E_NS1_11comp_targetILNS1_3genE3ELNS1_11target_archE908ELNS1_3gpuE7ELNS1_3repE0EEENS1_30default_config_static_selectorELNS0_4arch9wavefront6targetE1EEEvSM_.kd
    .uniform_work_group_size: 1
    .uses_dynamic_stack: false
    .vgpr_count:     0
    .vgpr_spill_count: 0
    .wavefront_size: 64
  - .agpr_count:     0
    .args:
      - .offset:         0
        .size:           72
        .value_kind:     by_value
    .group_segment_fixed_size: 0
    .kernarg_segment_align: 8
    .kernarg_segment_size: 72
    .language:       OpenCL C
    .language_version:
      - 2
      - 0
    .max_flat_workgroup_size: 256
    .name:           _ZN7rocprim17ROCPRIM_400000_NS6detail17trampoline_kernelINS0_14default_configENS1_37merge_sort_block_sort_config_selectorIlNS0_10empty_typeEEEZNS1_21merge_sort_block_sortIS3_PlS8_PS5_S9_ZN2at6native12_GLOBAL__N_124unique_dim_cuda_templateIbEESt5tupleIJNSA_6TensorESF_SF_EERKSF_lbbbEUlllE_EE10hipError_tT0_T1_T2_T3_mRjT4_P12ihipStream_tbNS1_7vsmem_tEEUlT_E_NS1_11comp_targetILNS1_3genE2ELNS1_11target_archE906ELNS1_3gpuE6ELNS1_3repE0EEENS1_30default_config_static_selectorELNS0_4arch9wavefront6targetE1EEEvSM_
    .private_segment_fixed_size: 0
    .sgpr_count:     6
    .sgpr_spill_count: 0
    .symbol:         _ZN7rocprim17ROCPRIM_400000_NS6detail17trampoline_kernelINS0_14default_configENS1_37merge_sort_block_sort_config_selectorIlNS0_10empty_typeEEEZNS1_21merge_sort_block_sortIS3_PlS8_PS5_S9_ZN2at6native12_GLOBAL__N_124unique_dim_cuda_templateIbEESt5tupleIJNSA_6TensorESF_SF_EERKSF_lbbbEUlllE_EE10hipError_tT0_T1_T2_T3_mRjT4_P12ihipStream_tbNS1_7vsmem_tEEUlT_E_NS1_11comp_targetILNS1_3genE2ELNS1_11target_archE906ELNS1_3gpuE6ELNS1_3repE0EEENS1_30default_config_static_selectorELNS0_4arch9wavefront6targetE1EEEvSM_.kd
    .uniform_work_group_size: 1
    .uses_dynamic_stack: false
    .vgpr_count:     0
    .vgpr_spill_count: 0
    .wavefront_size: 64
  - .agpr_count:     0
    .args:
      - .offset:         0
        .size:           72
        .value_kind:     by_value
    .group_segment_fixed_size: 0
    .kernarg_segment_align: 8
    .kernarg_segment_size: 72
    .language:       OpenCL C
    .language_version:
      - 2
      - 0
    .max_flat_workgroup_size: 256
    .name:           _ZN7rocprim17ROCPRIM_400000_NS6detail17trampoline_kernelINS0_14default_configENS1_37merge_sort_block_sort_config_selectorIlNS0_10empty_typeEEEZNS1_21merge_sort_block_sortIS3_PlS8_PS5_S9_ZN2at6native12_GLOBAL__N_124unique_dim_cuda_templateIbEESt5tupleIJNSA_6TensorESF_SF_EERKSF_lbbbEUlllE_EE10hipError_tT0_T1_T2_T3_mRjT4_P12ihipStream_tbNS1_7vsmem_tEEUlT_E_NS1_11comp_targetILNS1_3genE10ELNS1_11target_archE1201ELNS1_3gpuE5ELNS1_3repE0EEENS1_30default_config_static_selectorELNS0_4arch9wavefront6targetE1EEEvSM_
    .private_segment_fixed_size: 0
    .sgpr_count:     6
    .sgpr_spill_count: 0
    .symbol:         _ZN7rocprim17ROCPRIM_400000_NS6detail17trampoline_kernelINS0_14default_configENS1_37merge_sort_block_sort_config_selectorIlNS0_10empty_typeEEEZNS1_21merge_sort_block_sortIS3_PlS8_PS5_S9_ZN2at6native12_GLOBAL__N_124unique_dim_cuda_templateIbEESt5tupleIJNSA_6TensorESF_SF_EERKSF_lbbbEUlllE_EE10hipError_tT0_T1_T2_T3_mRjT4_P12ihipStream_tbNS1_7vsmem_tEEUlT_E_NS1_11comp_targetILNS1_3genE10ELNS1_11target_archE1201ELNS1_3gpuE5ELNS1_3repE0EEENS1_30default_config_static_selectorELNS0_4arch9wavefront6targetE1EEEvSM_.kd
    .uniform_work_group_size: 1
    .uses_dynamic_stack: false
    .vgpr_count:     0
    .vgpr_spill_count: 0
    .wavefront_size: 64
  - .agpr_count:     0
    .args:
      - .offset:         0
        .size:           72
        .value_kind:     by_value
    .group_segment_fixed_size: 0
    .kernarg_segment_align: 8
    .kernarg_segment_size: 72
    .language:       OpenCL C
    .language_version:
      - 2
      - 0
    .max_flat_workgroup_size: 512
    .name:           _ZN7rocprim17ROCPRIM_400000_NS6detail17trampoline_kernelINS0_14default_configENS1_37merge_sort_block_sort_config_selectorIlNS0_10empty_typeEEEZNS1_21merge_sort_block_sortIS3_PlS8_PS5_S9_ZN2at6native12_GLOBAL__N_124unique_dim_cuda_templateIbEESt5tupleIJNSA_6TensorESF_SF_EERKSF_lbbbEUlllE_EE10hipError_tT0_T1_T2_T3_mRjT4_P12ihipStream_tbNS1_7vsmem_tEEUlT_E_NS1_11comp_targetILNS1_3genE10ELNS1_11target_archE1200ELNS1_3gpuE4ELNS1_3repE0EEENS1_30default_config_static_selectorELNS0_4arch9wavefront6targetE1EEEvSM_
    .private_segment_fixed_size: 0
    .sgpr_count:     6
    .sgpr_spill_count: 0
    .symbol:         _ZN7rocprim17ROCPRIM_400000_NS6detail17trampoline_kernelINS0_14default_configENS1_37merge_sort_block_sort_config_selectorIlNS0_10empty_typeEEEZNS1_21merge_sort_block_sortIS3_PlS8_PS5_S9_ZN2at6native12_GLOBAL__N_124unique_dim_cuda_templateIbEESt5tupleIJNSA_6TensorESF_SF_EERKSF_lbbbEUlllE_EE10hipError_tT0_T1_T2_T3_mRjT4_P12ihipStream_tbNS1_7vsmem_tEEUlT_E_NS1_11comp_targetILNS1_3genE10ELNS1_11target_archE1200ELNS1_3gpuE4ELNS1_3repE0EEENS1_30default_config_static_selectorELNS0_4arch9wavefront6targetE1EEEvSM_.kd
    .uniform_work_group_size: 1
    .uses_dynamic_stack: false
    .vgpr_count:     0
    .vgpr_spill_count: 0
    .wavefront_size: 64
  - .agpr_count:     0
    .args:
      - .offset:         0
        .size:           72
        .value_kind:     by_value
    .group_segment_fixed_size: 0
    .kernarg_segment_align: 8
    .kernarg_segment_size: 72
    .language:       OpenCL C
    .language_version:
      - 2
      - 0
    .max_flat_workgroup_size: 256
    .name:           _ZN7rocprim17ROCPRIM_400000_NS6detail17trampoline_kernelINS0_14default_configENS1_37merge_sort_block_sort_config_selectorIlNS0_10empty_typeEEEZNS1_21merge_sort_block_sortIS3_PlS8_PS5_S9_ZN2at6native12_GLOBAL__N_124unique_dim_cuda_templateIbEESt5tupleIJNSA_6TensorESF_SF_EERKSF_lbbbEUlllE_EE10hipError_tT0_T1_T2_T3_mRjT4_P12ihipStream_tbNS1_7vsmem_tEEUlT_E_NS1_11comp_targetILNS1_3genE9ELNS1_11target_archE1100ELNS1_3gpuE3ELNS1_3repE0EEENS1_30default_config_static_selectorELNS0_4arch9wavefront6targetE1EEEvSM_
    .private_segment_fixed_size: 0
    .sgpr_count:     6
    .sgpr_spill_count: 0
    .symbol:         _ZN7rocprim17ROCPRIM_400000_NS6detail17trampoline_kernelINS0_14default_configENS1_37merge_sort_block_sort_config_selectorIlNS0_10empty_typeEEEZNS1_21merge_sort_block_sortIS3_PlS8_PS5_S9_ZN2at6native12_GLOBAL__N_124unique_dim_cuda_templateIbEESt5tupleIJNSA_6TensorESF_SF_EERKSF_lbbbEUlllE_EE10hipError_tT0_T1_T2_T3_mRjT4_P12ihipStream_tbNS1_7vsmem_tEEUlT_E_NS1_11comp_targetILNS1_3genE9ELNS1_11target_archE1100ELNS1_3gpuE3ELNS1_3repE0EEENS1_30default_config_static_selectorELNS0_4arch9wavefront6targetE1EEEvSM_.kd
    .uniform_work_group_size: 1
    .uses_dynamic_stack: false
    .vgpr_count:     0
    .vgpr_spill_count: 0
    .wavefront_size: 64
  - .agpr_count:     0
    .args:
      - .offset:         0
        .size:           72
        .value_kind:     by_value
    .group_segment_fixed_size: 0
    .kernarg_segment_align: 8
    .kernarg_segment_size: 72
    .language:       OpenCL C
    .language_version:
      - 2
      - 0
    .max_flat_workgroup_size: 256
    .name:           _ZN7rocprim17ROCPRIM_400000_NS6detail17trampoline_kernelINS0_14default_configENS1_37merge_sort_block_sort_config_selectorIlNS0_10empty_typeEEEZNS1_21merge_sort_block_sortIS3_PlS8_PS5_S9_ZN2at6native12_GLOBAL__N_124unique_dim_cuda_templateIbEESt5tupleIJNSA_6TensorESF_SF_EERKSF_lbbbEUlllE_EE10hipError_tT0_T1_T2_T3_mRjT4_P12ihipStream_tbNS1_7vsmem_tEEUlT_E_NS1_11comp_targetILNS1_3genE8ELNS1_11target_archE1030ELNS1_3gpuE2ELNS1_3repE0EEENS1_30default_config_static_selectorELNS0_4arch9wavefront6targetE1EEEvSM_
    .private_segment_fixed_size: 0
    .sgpr_count:     6
    .sgpr_spill_count: 0
    .symbol:         _ZN7rocprim17ROCPRIM_400000_NS6detail17trampoline_kernelINS0_14default_configENS1_37merge_sort_block_sort_config_selectorIlNS0_10empty_typeEEEZNS1_21merge_sort_block_sortIS3_PlS8_PS5_S9_ZN2at6native12_GLOBAL__N_124unique_dim_cuda_templateIbEESt5tupleIJNSA_6TensorESF_SF_EERKSF_lbbbEUlllE_EE10hipError_tT0_T1_T2_T3_mRjT4_P12ihipStream_tbNS1_7vsmem_tEEUlT_E_NS1_11comp_targetILNS1_3genE8ELNS1_11target_archE1030ELNS1_3gpuE2ELNS1_3repE0EEENS1_30default_config_static_selectorELNS0_4arch9wavefront6targetE1EEEvSM_.kd
    .uniform_work_group_size: 1
    .uses_dynamic_stack: false
    .vgpr_count:     0
    .vgpr_spill_count: 0
    .wavefront_size: 64
  - .agpr_count:     0
    .args:
      - .offset:         0
        .size:           56
        .value_kind:     by_value
    .group_segment_fixed_size: 0
    .kernarg_segment_align: 8
    .kernarg_segment_size: 56
    .language:       OpenCL C
    .language_version:
      - 2
      - 0
    .max_flat_workgroup_size: 128
    .name:           _ZN7rocprim17ROCPRIM_400000_NS6detail17trampoline_kernelINS0_14default_configENS1_38merge_sort_block_merge_config_selectorIlNS0_10empty_typeEEEZZNS1_27merge_sort_block_merge_implIS3_PlPS5_mZN2at6native12_GLOBAL__N_124unique_dim_cuda_templateIbEESt5tupleIJNSA_6TensorESF_SF_EERKSF_lbbbEUlllE_EE10hipError_tT0_T1_T2_jT3_P12ihipStream_tbPNSt15iterator_traitsISL_E10value_typeEPNSR_ISM_E10value_typeEPSN_NS1_7vsmem_tEENKUlT_SL_SM_SN_E_clIS8_S8_S9_S9_EESK_S10_SL_SM_SN_EUlS10_E_NS1_11comp_targetILNS1_3genE0ELNS1_11target_archE4294967295ELNS1_3gpuE0ELNS1_3repE0EEENS1_48merge_mergepath_partition_config_static_selectorELNS0_4arch9wavefront6targetE1EEEvSM_
    .private_segment_fixed_size: 0
    .sgpr_count:     38
    .sgpr_spill_count: 0
    .symbol:         _ZN7rocprim17ROCPRIM_400000_NS6detail17trampoline_kernelINS0_14default_configENS1_38merge_sort_block_merge_config_selectorIlNS0_10empty_typeEEEZZNS1_27merge_sort_block_merge_implIS3_PlPS5_mZN2at6native12_GLOBAL__N_124unique_dim_cuda_templateIbEESt5tupleIJNSA_6TensorESF_SF_EERKSF_lbbbEUlllE_EE10hipError_tT0_T1_T2_jT3_P12ihipStream_tbPNSt15iterator_traitsISL_E10value_typeEPNSR_ISM_E10value_typeEPSN_NS1_7vsmem_tEENKUlT_SL_SM_SN_E_clIS8_S8_S9_S9_EESK_S10_SL_SM_SN_EUlS10_E_NS1_11comp_targetILNS1_3genE0ELNS1_11target_archE4294967295ELNS1_3gpuE0ELNS1_3repE0EEENS1_48merge_mergepath_partition_config_static_selectorELNS0_4arch9wavefront6targetE1EEEvSM_.kd
    .uniform_work_group_size: 1
    .uses_dynamic_stack: false
    .vgpr_count:     23
    .vgpr_spill_count: 0
    .wavefront_size: 64
  - .agpr_count:     0
    .args:
      - .offset:         0
        .size:           56
        .value_kind:     by_value
    .group_segment_fixed_size: 0
    .kernarg_segment_align: 8
    .kernarg_segment_size: 56
    .language:       OpenCL C
    .language_version:
      - 2
      - 0
    .max_flat_workgroup_size: 128
    .name:           _ZN7rocprim17ROCPRIM_400000_NS6detail17trampoline_kernelINS0_14default_configENS1_38merge_sort_block_merge_config_selectorIlNS0_10empty_typeEEEZZNS1_27merge_sort_block_merge_implIS3_PlPS5_mZN2at6native12_GLOBAL__N_124unique_dim_cuda_templateIbEESt5tupleIJNSA_6TensorESF_SF_EERKSF_lbbbEUlllE_EE10hipError_tT0_T1_T2_jT3_P12ihipStream_tbPNSt15iterator_traitsISL_E10value_typeEPNSR_ISM_E10value_typeEPSN_NS1_7vsmem_tEENKUlT_SL_SM_SN_E_clIS8_S8_S9_S9_EESK_S10_SL_SM_SN_EUlS10_E_NS1_11comp_targetILNS1_3genE10ELNS1_11target_archE1201ELNS1_3gpuE5ELNS1_3repE0EEENS1_48merge_mergepath_partition_config_static_selectorELNS0_4arch9wavefront6targetE1EEEvSM_
    .private_segment_fixed_size: 0
    .sgpr_count:     6
    .sgpr_spill_count: 0
    .symbol:         _ZN7rocprim17ROCPRIM_400000_NS6detail17trampoline_kernelINS0_14default_configENS1_38merge_sort_block_merge_config_selectorIlNS0_10empty_typeEEEZZNS1_27merge_sort_block_merge_implIS3_PlPS5_mZN2at6native12_GLOBAL__N_124unique_dim_cuda_templateIbEESt5tupleIJNSA_6TensorESF_SF_EERKSF_lbbbEUlllE_EE10hipError_tT0_T1_T2_jT3_P12ihipStream_tbPNSt15iterator_traitsISL_E10value_typeEPNSR_ISM_E10value_typeEPSN_NS1_7vsmem_tEENKUlT_SL_SM_SN_E_clIS8_S8_S9_S9_EESK_S10_SL_SM_SN_EUlS10_E_NS1_11comp_targetILNS1_3genE10ELNS1_11target_archE1201ELNS1_3gpuE5ELNS1_3repE0EEENS1_48merge_mergepath_partition_config_static_selectorELNS0_4arch9wavefront6targetE1EEEvSM_.kd
    .uniform_work_group_size: 1
    .uses_dynamic_stack: false
    .vgpr_count:     0
    .vgpr_spill_count: 0
    .wavefront_size: 64
  - .agpr_count:     0
    .args:
      - .offset:         0
        .size:           56
        .value_kind:     by_value
    .group_segment_fixed_size: 0
    .kernarg_segment_align: 8
    .kernarg_segment_size: 56
    .language:       OpenCL C
    .language_version:
      - 2
      - 0
    .max_flat_workgroup_size: 128
    .name:           _ZN7rocprim17ROCPRIM_400000_NS6detail17trampoline_kernelINS0_14default_configENS1_38merge_sort_block_merge_config_selectorIlNS0_10empty_typeEEEZZNS1_27merge_sort_block_merge_implIS3_PlPS5_mZN2at6native12_GLOBAL__N_124unique_dim_cuda_templateIbEESt5tupleIJNSA_6TensorESF_SF_EERKSF_lbbbEUlllE_EE10hipError_tT0_T1_T2_jT3_P12ihipStream_tbPNSt15iterator_traitsISL_E10value_typeEPNSR_ISM_E10value_typeEPSN_NS1_7vsmem_tEENKUlT_SL_SM_SN_E_clIS8_S8_S9_S9_EESK_S10_SL_SM_SN_EUlS10_E_NS1_11comp_targetILNS1_3genE5ELNS1_11target_archE942ELNS1_3gpuE9ELNS1_3repE0EEENS1_48merge_mergepath_partition_config_static_selectorELNS0_4arch9wavefront6targetE1EEEvSM_
    .private_segment_fixed_size: 0
    .sgpr_count:     6
    .sgpr_spill_count: 0
    .symbol:         _ZN7rocprim17ROCPRIM_400000_NS6detail17trampoline_kernelINS0_14default_configENS1_38merge_sort_block_merge_config_selectorIlNS0_10empty_typeEEEZZNS1_27merge_sort_block_merge_implIS3_PlPS5_mZN2at6native12_GLOBAL__N_124unique_dim_cuda_templateIbEESt5tupleIJNSA_6TensorESF_SF_EERKSF_lbbbEUlllE_EE10hipError_tT0_T1_T2_jT3_P12ihipStream_tbPNSt15iterator_traitsISL_E10value_typeEPNSR_ISM_E10value_typeEPSN_NS1_7vsmem_tEENKUlT_SL_SM_SN_E_clIS8_S8_S9_S9_EESK_S10_SL_SM_SN_EUlS10_E_NS1_11comp_targetILNS1_3genE5ELNS1_11target_archE942ELNS1_3gpuE9ELNS1_3repE0EEENS1_48merge_mergepath_partition_config_static_selectorELNS0_4arch9wavefront6targetE1EEEvSM_.kd
    .uniform_work_group_size: 1
    .uses_dynamic_stack: false
    .vgpr_count:     0
    .vgpr_spill_count: 0
    .wavefront_size: 64
  - .agpr_count:     0
    .args:
      - .offset:         0
        .size:           56
        .value_kind:     by_value
    .group_segment_fixed_size: 0
    .kernarg_segment_align: 8
    .kernarg_segment_size: 56
    .language:       OpenCL C
    .language_version:
      - 2
      - 0
    .max_flat_workgroup_size: 128
    .name:           _ZN7rocprim17ROCPRIM_400000_NS6detail17trampoline_kernelINS0_14default_configENS1_38merge_sort_block_merge_config_selectorIlNS0_10empty_typeEEEZZNS1_27merge_sort_block_merge_implIS3_PlPS5_mZN2at6native12_GLOBAL__N_124unique_dim_cuda_templateIbEESt5tupleIJNSA_6TensorESF_SF_EERKSF_lbbbEUlllE_EE10hipError_tT0_T1_T2_jT3_P12ihipStream_tbPNSt15iterator_traitsISL_E10value_typeEPNSR_ISM_E10value_typeEPSN_NS1_7vsmem_tEENKUlT_SL_SM_SN_E_clIS8_S8_S9_S9_EESK_S10_SL_SM_SN_EUlS10_E_NS1_11comp_targetILNS1_3genE4ELNS1_11target_archE910ELNS1_3gpuE8ELNS1_3repE0EEENS1_48merge_mergepath_partition_config_static_selectorELNS0_4arch9wavefront6targetE1EEEvSM_
    .private_segment_fixed_size: 0
    .sgpr_count:     6
    .sgpr_spill_count: 0
    .symbol:         _ZN7rocprim17ROCPRIM_400000_NS6detail17trampoline_kernelINS0_14default_configENS1_38merge_sort_block_merge_config_selectorIlNS0_10empty_typeEEEZZNS1_27merge_sort_block_merge_implIS3_PlPS5_mZN2at6native12_GLOBAL__N_124unique_dim_cuda_templateIbEESt5tupleIJNSA_6TensorESF_SF_EERKSF_lbbbEUlllE_EE10hipError_tT0_T1_T2_jT3_P12ihipStream_tbPNSt15iterator_traitsISL_E10value_typeEPNSR_ISM_E10value_typeEPSN_NS1_7vsmem_tEENKUlT_SL_SM_SN_E_clIS8_S8_S9_S9_EESK_S10_SL_SM_SN_EUlS10_E_NS1_11comp_targetILNS1_3genE4ELNS1_11target_archE910ELNS1_3gpuE8ELNS1_3repE0EEENS1_48merge_mergepath_partition_config_static_selectorELNS0_4arch9wavefront6targetE1EEEvSM_.kd
    .uniform_work_group_size: 1
    .uses_dynamic_stack: false
    .vgpr_count:     0
    .vgpr_spill_count: 0
    .wavefront_size: 64
  - .agpr_count:     0
    .args:
      - .offset:         0
        .size:           56
        .value_kind:     by_value
    .group_segment_fixed_size: 0
    .kernarg_segment_align: 8
    .kernarg_segment_size: 56
    .language:       OpenCL C
    .language_version:
      - 2
      - 0
    .max_flat_workgroup_size: 128
    .name:           _ZN7rocprim17ROCPRIM_400000_NS6detail17trampoline_kernelINS0_14default_configENS1_38merge_sort_block_merge_config_selectorIlNS0_10empty_typeEEEZZNS1_27merge_sort_block_merge_implIS3_PlPS5_mZN2at6native12_GLOBAL__N_124unique_dim_cuda_templateIbEESt5tupleIJNSA_6TensorESF_SF_EERKSF_lbbbEUlllE_EE10hipError_tT0_T1_T2_jT3_P12ihipStream_tbPNSt15iterator_traitsISL_E10value_typeEPNSR_ISM_E10value_typeEPSN_NS1_7vsmem_tEENKUlT_SL_SM_SN_E_clIS8_S8_S9_S9_EESK_S10_SL_SM_SN_EUlS10_E_NS1_11comp_targetILNS1_3genE3ELNS1_11target_archE908ELNS1_3gpuE7ELNS1_3repE0EEENS1_48merge_mergepath_partition_config_static_selectorELNS0_4arch9wavefront6targetE1EEEvSM_
    .private_segment_fixed_size: 0
    .sgpr_count:     6
    .sgpr_spill_count: 0
    .symbol:         _ZN7rocprim17ROCPRIM_400000_NS6detail17trampoline_kernelINS0_14default_configENS1_38merge_sort_block_merge_config_selectorIlNS0_10empty_typeEEEZZNS1_27merge_sort_block_merge_implIS3_PlPS5_mZN2at6native12_GLOBAL__N_124unique_dim_cuda_templateIbEESt5tupleIJNSA_6TensorESF_SF_EERKSF_lbbbEUlllE_EE10hipError_tT0_T1_T2_jT3_P12ihipStream_tbPNSt15iterator_traitsISL_E10value_typeEPNSR_ISM_E10value_typeEPSN_NS1_7vsmem_tEENKUlT_SL_SM_SN_E_clIS8_S8_S9_S9_EESK_S10_SL_SM_SN_EUlS10_E_NS1_11comp_targetILNS1_3genE3ELNS1_11target_archE908ELNS1_3gpuE7ELNS1_3repE0EEENS1_48merge_mergepath_partition_config_static_selectorELNS0_4arch9wavefront6targetE1EEEvSM_.kd
    .uniform_work_group_size: 1
    .uses_dynamic_stack: false
    .vgpr_count:     0
    .vgpr_spill_count: 0
    .wavefront_size: 64
  - .agpr_count:     0
    .args:
      - .offset:         0
        .size:           56
        .value_kind:     by_value
    .group_segment_fixed_size: 0
    .kernarg_segment_align: 8
    .kernarg_segment_size: 56
    .language:       OpenCL C
    .language_version:
      - 2
      - 0
    .max_flat_workgroup_size: 128
    .name:           _ZN7rocprim17ROCPRIM_400000_NS6detail17trampoline_kernelINS0_14default_configENS1_38merge_sort_block_merge_config_selectorIlNS0_10empty_typeEEEZZNS1_27merge_sort_block_merge_implIS3_PlPS5_mZN2at6native12_GLOBAL__N_124unique_dim_cuda_templateIbEESt5tupleIJNSA_6TensorESF_SF_EERKSF_lbbbEUlllE_EE10hipError_tT0_T1_T2_jT3_P12ihipStream_tbPNSt15iterator_traitsISL_E10value_typeEPNSR_ISM_E10value_typeEPSN_NS1_7vsmem_tEENKUlT_SL_SM_SN_E_clIS8_S8_S9_S9_EESK_S10_SL_SM_SN_EUlS10_E_NS1_11comp_targetILNS1_3genE2ELNS1_11target_archE906ELNS1_3gpuE6ELNS1_3repE0EEENS1_48merge_mergepath_partition_config_static_selectorELNS0_4arch9wavefront6targetE1EEEvSM_
    .private_segment_fixed_size: 0
    .sgpr_count:     6
    .sgpr_spill_count: 0
    .symbol:         _ZN7rocprim17ROCPRIM_400000_NS6detail17trampoline_kernelINS0_14default_configENS1_38merge_sort_block_merge_config_selectorIlNS0_10empty_typeEEEZZNS1_27merge_sort_block_merge_implIS3_PlPS5_mZN2at6native12_GLOBAL__N_124unique_dim_cuda_templateIbEESt5tupleIJNSA_6TensorESF_SF_EERKSF_lbbbEUlllE_EE10hipError_tT0_T1_T2_jT3_P12ihipStream_tbPNSt15iterator_traitsISL_E10value_typeEPNSR_ISM_E10value_typeEPSN_NS1_7vsmem_tEENKUlT_SL_SM_SN_E_clIS8_S8_S9_S9_EESK_S10_SL_SM_SN_EUlS10_E_NS1_11comp_targetILNS1_3genE2ELNS1_11target_archE906ELNS1_3gpuE6ELNS1_3repE0EEENS1_48merge_mergepath_partition_config_static_selectorELNS0_4arch9wavefront6targetE1EEEvSM_.kd
    .uniform_work_group_size: 1
    .uses_dynamic_stack: false
    .vgpr_count:     0
    .vgpr_spill_count: 0
    .wavefront_size: 64
  - .agpr_count:     0
    .args:
      - .offset:         0
        .size:           56
        .value_kind:     by_value
    .group_segment_fixed_size: 0
    .kernarg_segment_align: 8
    .kernarg_segment_size: 56
    .language:       OpenCL C
    .language_version:
      - 2
      - 0
    .max_flat_workgroup_size: 128
    .name:           _ZN7rocprim17ROCPRIM_400000_NS6detail17trampoline_kernelINS0_14default_configENS1_38merge_sort_block_merge_config_selectorIlNS0_10empty_typeEEEZZNS1_27merge_sort_block_merge_implIS3_PlPS5_mZN2at6native12_GLOBAL__N_124unique_dim_cuda_templateIbEESt5tupleIJNSA_6TensorESF_SF_EERKSF_lbbbEUlllE_EE10hipError_tT0_T1_T2_jT3_P12ihipStream_tbPNSt15iterator_traitsISL_E10value_typeEPNSR_ISM_E10value_typeEPSN_NS1_7vsmem_tEENKUlT_SL_SM_SN_E_clIS8_S8_S9_S9_EESK_S10_SL_SM_SN_EUlS10_E_NS1_11comp_targetILNS1_3genE9ELNS1_11target_archE1100ELNS1_3gpuE3ELNS1_3repE0EEENS1_48merge_mergepath_partition_config_static_selectorELNS0_4arch9wavefront6targetE1EEEvSM_
    .private_segment_fixed_size: 0
    .sgpr_count:     6
    .sgpr_spill_count: 0
    .symbol:         _ZN7rocprim17ROCPRIM_400000_NS6detail17trampoline_kernelINS0_14default_configENS1_38merge_sort_block_merge_config_selectorIlNS0_10empty_typeEEEZZNS1_27merge_sort_block_merge_implIS3_PlPS5_mZN2at6native12_GLOBAL__N_124unique_dim_cuda_templateIbEESt5tupleIJNSA_6TensorESF_SF_EERKSF_lbbbEUlllE_EE10hipError_tT0_T1_T2_jT3_P12ihipStream_tbPNSt15iterator_traitsISL_E10value_typeEPNSR_ISM_E10value_typeEPSN_NS1_7vsmem_tEENKUlT_SL_SM_SN_E_clIS8_S8_S9_S9_EESK_S10_SL_SM_SN_EUlS10_E_NS1_11comp_targetILNS1_3genE9ELNS1_11target_archE1100ELNS1_3gpuE3ELNS1_3repE0EEENS1_48merge_mergepath_partition_config_static_selectorELNS0_4arch9wavefront6targetE1EEEvSM_.kd
    .uniform_work_group_size: 1
    .uses_dynamic_stack: false
    .vgpr_count:     0
    .vgpr_spill_count: 0
    .wavefront_size: 64
  - .agpr_count:     0
    .args:
      - .offset:         0
        .size:           56
        .value_kind:     by_value
    .group_segment_fixed_size: 0
    .kernarg_segment_align: 8
    .kernarg_segment_size: 56
    .language:       OpenCL C
    .language_version:
      - 2
      - 0
    .max_flat_workgroup_size: 128
    .name:           _ZN7rocprim17ROCPRIM_400000_NS6detail17trampoline_kernelINS0_14default_configENS1_38merge_sort_block_merge_config_selectorIlNS0_10empty_typeEEEZZNS1_27merge_sort_block_merge_implIS3_PlPS5_mZN2at6native12_GLOBAL__N_124unique_dim_cuda_templateIbEESt5tupleIJNSA_6TensorESF_SF_EERKSF_lbbbEUlllE_EE10hipError_tT0_T1_T2_jT3_P12ihipStream_tbPNSt15iterator_traitsISL_E10value_typeEPNSR_ISM_E10value_typeEPSN_NS1_7vsmem_tEENKUlT_SL_SM_SN_E_clIS8_S8_S9_S9_EESK_S10_SL_SM_SN_EUlS10_E_NS1_11comp_targetILNS1_3genE8ELNS1_11target_archE1030ELNS1_3gpuE2ELNS1_3repE0EEENS1_48merge_mergepath_partition_config_static_selectorELNS0_4arch9wavefront6targetE1EEEvSM_
    .private_segment_fixed_size: 0
    .sgpr_count:     6
    .sgpr_spill_count: 0
    .symbol:         _ZN7rocprim17ROCPRIM_400000_NS6detail17trampoline_kernelINS0_14default_configENS1_38merge_sort_block_merge_config_selectorIlNS0_10empty_typeEEEZZNS1_27merge_sort_block_merge_implIS3_PlPS5_mZN2at6native12_GLOBAL__N_124unique_dim_cuda_templateIbEESt5tupleIJNSA_6TensorESF_SF_EERKSF_lbbbEUlllE_EE10hipError_tT0_T1_T2_jT3_P12ihipStream_tbPNSt15iterator_traitsISL_E10value_typeEPNSR_ISM_E10value_typeEPSN_NS1_7vsmem_tEENKUlT_SL_SM_SN_E_clIS8_S8_S9_S9_EESK_S10_SL_SM_SN_EUlS10_E_NS1_11comp_targetILNS1_3genE8ELNS1_11target_archE1030ELNS1_3gpuE2ELNS1_3repE0EEENS1_48merge_mergepath_partition_config_static_selectorELNS0_4arch9wavefront6targetE1EEEvSM_.kd
    .uniform_work_group_size: 1
    .uses_dynamic_stack: false
    .vgpr_count:     0
    .vgpr_spill_count: 0
    .wavefront_size: 64
  - .agpr_count:     0
    .args:
      - .offset:         0
        .size:           88
        .value_kind:     by_value
      - .offset:         88
        .size:           4
        .value_kind:     hidden_block_count_x
      - .offset:         92
        .size:           4
        .value_kind:     hidden_block_count_y
      - .offset:         96
        .size:           4
        .value_kind:     hidden_block_count_z
      - .offset:         100
        .size:           2
        .value_kind:     hidden_group_size_x
      - .offset:         102
        .size:           2
        .value_kind:     hidden_group_size_y
      - .offset:         104
        .size:           2
        .value_kind:     hidden_group_size_z
      - .offset:         106
        .size:           2
        .value_kind:     hidden_remainder_x
      - .offset:         108
        .size:           2
        .value_kind:     hidden_remainder_y
      - .offset:         110
        .size:           2
        .value_kind:     hidden_remainder_z
      - .offset:         128
        .size:           8
        .value_kind:     hidden_global_offset_x
      - .offset:         136
        .size:           8
        .value_kind:     hidden_global_offset_y
      - .offset:         144
        .size:           8
        .value_kind:     hidden_global_offset_z
      - .offset:         152
        .size:           2
        .value_kind:     hidden_grid_dims
    .group_segment_fixed_size: 8448
    .kernarg_segment_align: 8
    .kernarg_segment_size: 344
    .language:       OpenCL C
    .language_version:
      - 2
      - 0
    .max_flat_workgroup_size: 128
    .name:           _ZN7rocprim17ROCPRIM_400000_NS6detail17trampoline_kernelINS0_14default_configENS1_38merge_sort_block_merge_config_selectorIlNS0_10empty_typeEEEZZNS1_27merge_sort_block_merge_implIS3_PlPS5_mZN2at6native12_GLOBAL__N_124unique_dim_cuda_templateIbEESt5tupleIJNSA_6TensorESF_SF_EERKSF_lbbbEUlllE_EE10hipError_tT0_T1_T2_jT3_P12ihipStream_tbPNSt15iterator_traitsISL_E10value_typeEPNSR_ISM_E10value_typeEPSN_NS1_7vsmem_tEENKUlT_SL_SM_SN_E_clIS8_S8_S9_S9_EESK_S10_SL_SM_SN_EUlS10_E0_NS1_11comp_targetILNS1_3genE0ELNS1_11target_archE4294967295ELNS1_3gpuE0ELNS1_3repE0EEENS1_38merge_mergepath_config_static_selectorELNS0_4arch9wavefront6targetE1EEEvSM_
    .private_segment_fixed_size: 0
    .sgpr_count:     62
    .sgpr_spill_count: 0
    .symbol:         _ZN7rocprim17ROCPRIM_400000_NS6detail17trampoline_kernelINS0_14default_configENS1_38merge_sort_block_merge_config_selectorIlNS0_10empty_typeEEEZZNS1_27merge_sort_block_merge_implIS3_PlPS5_mZN2at6native12_GLOBAL__N_124unique_dim_cuda_templateIbEESt5tupleIJNSA_6TensorESF_SF_EERKSF_lbbbEUlllE_EE10hipError_tT0_T1_T2_jT3_P12ihipStream_tbPNSt15iterator_traitsISL_E10value_typeEPNSR_ISM_E10value_typeEPSN_NS1_7vsmem_tEENKUlT_SL_SM_SN_E_clIS8_S8_S9_S9_EESK_S10_SL_SM_SN_EUlS10_E0_NS1_11comp_targetILNS1_3genE0ELNS1_11target_archE4294967295ELNS1_3gpuE0ELNS1_3repE0EEENS1_38merge_mergepath_config_static_selectorELNS0_4arch9wavefront6targetE1EEEvSM_.kd
    .uniform_work_group_size: 1
    .uses_dynamic_stack: false
    .vgpr_count:     40
    .vgpr_spill_count: 0
    .wavefront_size: 64
  - .agpr_count:     0
    .args:
      - .offset:         0
        .size:           88
        .value_kind:     by_value
    .group_segment_fixed_size: 0
    .kernarg_segment_align: 8
    .kernarg_segment_size: 88
    .language:       OpenCL C
    .language_version:
      - 2
      - 0
    .max_flat_workgroup_size: 512
    .name:           _ZN7rocprim17ROCPRIM_400000_NS6detail17trampoline_kernelINS0_14default_configENS1_38merge_sort_block_merge_config_selectorIlNS0_10empty_typeEEEZZNS1_27merge_sort_block_merge_implIS3_PlPS5_mZN2at6native12_GLOBAL__N_124unique_dim_cuda_templateIbEESt5tupleIJNSA_6TensorESF_SF_EERKSF_lbbbEUlllE_EE10hipError_tT0_T1_T2_jT3_P12ihipStream_tbPNSt15iterator_traitsISL_E10value_typeEPNSR_ISM_E10value_typeEPSN_NS1_7vsmem_tEENKUlT_SL_SM_SN_E_clIS8_S8_S9_S9_EESK_S10_SL_SM_SN_EUlS10_E0_NS1_11comp_targetILNS1_3genE10ELNS1_11target_archE1201ELNS1_3gpuE5ELNS1_3repE0EEENS1_38merge_mergepath_config_static_selectorELNS0_4arch9wavefront6targetE1EEEvSM_
    .private_segment_fixed_size: 0
    .sgpr_count:     6
    .sgpr_spill_count: 0
    .symbol:         _ZN7rocprim17ROCPRIM_400000_NS6detail17trampoline_kernelINS0_14default_configENS1_38merge_sort_block_merge_config_selectorIlNS0_10empty_typeEEEZZNS1_27merge_sort_block_merge_implIS3_PlPS5_mZN2at6native12_GLOBAL__N_124unique_dim_cuda_templateIbEESt5tupleIJNSA_6TensorESF_SF_EERKSF_lbbbEUlllE_EE10hipError_tT0_T1_T2_jT3_P12ihipStream_tbPNSt15iterator_traitsISL_E10value_typeEPNSR_ISM_E10value_typeEPSN_NS1_7vsmem_tEENKUlT_SL_SM_SN_E_clIS8_S8_S9_S9_EESK_S10_SL_SM_SN_EUlS10_E0_NS1_11comp_targetILNS1_3genE10ELNS1_11target_archE1201ELNS1_3gpuE5ELNS1_3repE0EEENS1_38merge_mergepath_config_static_selectorELNS0_4arch9wavefront6targetE1EEEvSM_.kd
    .uniform_work_group_size: 1
    .uses_dynamic_stack: false
    .vgpr_count:     0
    .vgpr_spill_count: 0
    .wavefront_size: 64
  - .agpr_count:     0
    .args:
      - .offset:         0
        .size:           88
        .value_kind:     by_value
    .group_segment_fixed_size: 0
    .kernarg_segment_align: 8
    .kernarg_segment_size: 88
    .language:       OpenCL C
    .language_version:
      - 2
      - 0
    .max_flat_workgroup_size: 128
    .name:           _ZN7rocprim17ROCPRIM_400000_NS6detail17trampoline_kernelINS0_14default_configENS1_38merge_sort_block_merge_config_selectorIlNS0_10empty_typeEEEZZNS1_27merge_sort_block_merge_implIS3_PlPS5_mZN2at6native12_GLOBAL__N_124unique_dim_cuda_templateIbEESt5tupleIJNSA_6TensorESF_SF_EERKSF_lbbbEUlllE_EE10hipError_tT0_T1_T2_jT3_P12ihipStream_tbPNSt15iterator_traitsISL_E10value_typeEPNSR_ISM_E10value_typeEPSN_NS1_7vsmem_tEENKUlT_SL_SM_SN_E_clIS8_S8_S9_S9_EESK_S10_SL_SM_SN_EUlS10_E0_NS1_11comp_targetILNS1_3genE5ELNS1_11target_archE942ELNS1_3gpuE9ELNS1_3repE0EEENS1_38merge_mergepath_config_static_selectorELNS0_4arch9wavefront6targetE1EEEvSM_
    .private_segment_fixed_size: 0
    .sgpr_count:     6
    .sgpr_spill_count: 0
    .symbol:         _ZN7rocprim17ROCPRIM_400000_NS6detail17trampoline_kernelINS0_14default_configENS1_38merge_sort_block_merge_config_selectorIlNS0_10empty_typeEEEZZNS1_27merge_sort_block_merge_implIS3_PlPS5_mZN2at6native12_GLOBAL__N_124unique_dim_cuda_templateIbEESt5tupleIJNSA_6TensorESF_SF_EERKSF_lbbbEUlllE_EE10hipError_tT0_T1_T2_jT3_P12ihipStream_tbPNSt15iterator_traitsISL_E10value_typeEPNSR_ISM_E10value_typeEPSN_NS1_7vsmem_tEENKUlT_SL_SM_SN_E_clIS8_S8_S9_S9_EESK_S10_SL_SM_SN_EUlS10_E0_NS1_11comp_targetILNS1_3genE5ELNS1_11target_archE942ELNS1_3gpuE9ELNS1_3repE0EEENS1_38merge_mergepath_config_static_selectorELNS0_4arch9wavefront6targetE1EEEvSM_.kd
    .uniform_work_group_size: 1
    .uses_dynamic_stack: false
    .vgpr_count:     0
    .vgpr_spill_count: 0
    .wavefront_size: 64
  - .agpr_count:     0
    .args:
      - .offset:         0
        .size:           88
        .value_kind:     by_value
    .group_segment_fixed_size: 0
    .kernarg_segment_align: 8
    .kernarg_segment_size: 88
    .language:       OpenCL C
    .language_version:
      - 2
      - 0
    .max_flat_workgroup_size: 256
    .name:           _ZN7rocprim17ROCPRIM_400000_NS6detail17trampoline_kernelINS0_14default_configENS1_38merge_sort_block_merge_config_selectorIlNS0_10empty_typeEEEZZNS1_27merge_sort_block_merge_implIS3_PlPS5_mZN2at6native12_GLOBAL__N_124unique_dim_cuda_templateIbEESt5tupleIJNSA_6TensorESF_SF_EERKSF_lbbbEUlllE_EE10hipError_tT0_T1_T2_jT3_P12ihipStream_tbPNSt15iterator_traitsISL_E10value_typeEPNSR_ISM_E10value_typeEPSN_NS1_7vsmem_tEENKUlT_SL_SM_SN_E_clIS8_S8_S9_S9_EESK_S10_SL_SM_SN_EUlS10_E0_NS1_11comp_targetILNS1_3genE4ELNS1_11target_archE910ELNS1_3gpuE8ELNS1_3repE0EEENS1_38merge_mergepath_config_static_selectorELNS0_4arch9wavefront6targetE1EEEvSM_
    .private_segment_fixed_size: 0
    .sgpr_count:     6
    .sgpr_spill_count: 0
    .symbol:         _ZN7rocprim17ROCPRIM_400000_NS6detail17trampoline_kernelINS0_14default_configENS1_38merge_sort_block_merge_config_selectorIlNS0_10empty_typeEEEZZNS1_27merge_sort_block_merge_implIS3_PlPS5_mZN2at6native12_GLOBAL__N_124unique_dim_cuda_templateIbEESt5tupleIJNSA_6TensorESF_SF_EERKSF_lbbbEUlllE_EE10hipError_tT0_T1_T2_jT3_P12ihipStream_tbPNSt15iterator_traitsISL_E10value_typeEPNSR_ISM_E10value_typeEPSN_NS1_7vsmem_tEENKUlT_SL_SM_SN_E_clIS8_S8_S9_S9_EESK_S10_SL_SM_SN_EUlS10_E0_NS1_11comp_targetILNS1_3genE4ELNS1_11target_archE910ELNS1_3gpuE8ELNS1_3repE0EEENS1_38merge_mergepath_config_static_selectorELNS0_4arch9wavefront6targetE1EEEvSM_.kd
    .uniform_work_group_size: 1
    .uses_dynamic_stack: false
    .vgpr_count:     0
    .vgpr_spill_count: 0
    .wavefront_size: 64
  - .agpr_count:     0
    .args:
      - .offset:         0
        .size:           88
        .value_kind:     by_value
    .group_segment_fixed_size: 0
    .kernarg_segment_align: 8
    .kernarg_segment_size: 88
    .language:       OpenCL C
    .language_version:
      - 2
      - 0
    .max_flat_workgroup_size: 128
    .name:           _ZN7rocprim17ROCPRIM_400000_NS6detail17trampoline_kernelINS0_14default_configENS1_38merge_sort_block_merge_config_selectorIlNS0_10empty_typeEEEZZNS1_27merge_sort_block_merge_implIS3_PlPS5_mZN2at6native12_GLOBAL__N_124unique_dim_cuda_templateIbEESt5tupleIJNSA_6TensorESF_SF_EERKSF_lbbbEUlllE_EE10hipError_tT0_T1_T2_jT3_P12ihipStream_tbPNSt15iterator_traitsISL_E10value_typeEPNSR_ISM_E10value_typeEPSN_NS1_7vsmem_tEENKUlT_SL_SM_SN_E_clIS8_S8_S9_S9_EESK_S10_SL_SM_SN_EUlS10_E0_NS1_11comp_targetILNS1_3genE3ELNS1_11target_archE908ELNS1_3gpuE7ELNS1_3repE0EEENS1_38merge_mergepath_config_static_selectorELNS0_4arch9wavefront6targetE1EEEvSM_
    .private_segment_fixed_size: 0
    .sgpr_count:     6
    .sgpr_spill_count: 0
    .symbol:         _ZN7rocprim17ROCPRIM_400000_NS6detail17trampoline_kernelINS0_14default_configENS1_38merge_sort_block_merge_config_selectorIlNS0_10empty_typeEEEZZNS1_27merge_sort_block_merge_implIS3_PlPS5_mZN2at6native12_GLOBAL__N_124unique_dim_cuda_templateIbEESt5tupleIJNSA_6TensorESF_SF_EERKSF_lbbbEUlllE_EE10hipError_tT0_T1_T2_jT3_P12ihipStream_tbPNSt15iterator_traitsISL_E10value_typeEPNSR_ISM_E10value_typeEPSN_NS1_7vsmem_tEENKUlT_SL_SM_SN_E_clIS8_S8_S9_S9_EESK_S10_SL_SM_SN_EUlS10_E0_NS1_11comp_targetILNS1_3genE3ELNS1_11target_archE908ELNS1_3gpuE7ELNS1_3repE0EEENS1_38merge_mergepath_config_static_selectorELNS0_4arch9wavefront6targetE1EEEvSM_.kd
    .uniform_work_group_size: 1
    .uses_dynamic_stack: false
    .vgpr_count:     0
    .vgpr_spill_count: 0
    .wavefront_size: 64
  - .agpr_count:     0
    .args:
      - .offset:         0
        .size:           88
        .value_kind:     by_value
    .group_segment_fixed_size: 0
    .kernarg_segment_align: 8
    .kernarg_segment_size: 88
    .language:       OpenCL C
    .language_version:
      - 2
      - 0
    .max_flat_workgroup_size: 256
    .name:           _ZN7rocprim17ROCPRIM_400000_NS6detail17trampoline_kernelINS0_14default_configENS1_38merge_sort_block_merge_config_selectorIlNS0_10empty_typeEEEZZNS1_27merge_sort_block_merge_implIS3_PlPS5_mZN2at6native12_GLOBAL__N_124unique_dim_cuda_templateIbEESt5tupleIJNSA_6TensorESF_SF_EERKSF_lbbbEUlllE_EE10hipError_tT0_T1_T2_jT3_P12ihipStream_tbPNSt15iterator_traitsISL_E10value_typeEPNSR_ISM_E10value_typeEPSN_NS1_7vsmem_tEENKUlT_SL_SM_SN_E_clIS8_S8_S9_S9_EESK_S10_SL_SM_SN_EUlS10_E0_NS1_11comp_targetILNS1_3genE2ELNS1_11target_archE906ELNS1_3gpuE6ELNS1_3repE0EEENS1_38merge_mergepath_config_static_selectorELNS0_4arch9wavefront6targetE1EEEvSM_
    .private_segment_fixed_size: 0
    .sgpr_count:     6
    .sgpr_spill_count: 0
    .symbol:         _ZN7rocprim17ROCPRIM_400000_NS6detail17trampoline_kernelINS0_14default_configENS1_38merge_sort_block_merge_config_selectorIlNS0_10empty_typeEEEZZNS1_27merge_sort_block_merge_implIS3_PlPS5_mZN2at6native12_GLOBAL__N_124unique_dim_cuda_templateIbEESt5tupleIJNSA_6TensorESF_SF_EERKSF_lbbbEUlllE_EE10hipError_tT0_T1_T2_jT3_P12ihipStream_tbPNSt15iterator_traitsISL_E10value_typeEPNSR_ISM_E10value_typeEPSN_NS1_7vsmem_tEENKUlT_SL_SM_SN_E_clIS8_S8_S9_S9_EESK_S10_SL_SM_SN_EUlS10_E0_NS1_11comp_targetILNS1_3genE2ELNS1_11target_archE906ELNS1_3gpuE6ELNS1_3repE0EEENS1_38merge_mergepath_config_static_selectorELNS0_4arch9wavefront6targetE1EEEvSM_.kd
    .uniform_work_group_size: 1
    .uses_dynamic_stack: false
    .vgpr_count:     0
    .vgpr_spill_count: 0
    .wavefront_size: 64
  - .agpr_count:     0
    .args:
      - .offset:         0
        .size:           88
        .value_kind:     by_value
    .group_segment_fixed_size: 0
    .kernarg_segment_align: 8
    .kernarg_segment_size: 88
    .language:       OpenCL C
    .language_version:
      - 2
      - 0
    .max_flat_workgroup_size: 512
    .name:           _ZN7rocprim17ROCPRIM_400000_NS6detail17trampoline_kernelINS0_14default_configENS1_38merge_sort_block_merge_config_selectorIlNS0_10empty_typeEEEZZNS1_27merge_sort_block_merge_implIS3_PlPS5_mZN2at6native12_GLOBAL__N_124unique_dim_cuda_templateIbEESt5tupleIJNSA_6TensorESF_SF_EERKSF_lbbbEUlllE_EE10hipError_tT0_T1_T2_jT3_P12ihipStream_tbPNSt15iterator_traitsISL_E10value_typeEPNSR_ISM_E10value_typeEPSN_NS1_7vsmem_tEENKUlT_SL_SM_SN_E_clIS8_S8_S9_S9_EESK_S10_SL_SM_SN_EUlS10_E0_NS1_11comp_targetILNS1_3genE9ELNS1_11target_archE1100ELNS1_3gpuE3ELNS1_3repE0EEENS1_38merge_mergepath_config_static_selectorELNS0_4arch9wavefront6targetE1EEEvSM_
    .private_segment_fixed_size: 0
    .sgpr_count:     6
    .sgpr_spill_count: 0
    .symbol:         _ZN7rocprim17ROCPRIM_400000_NS6detail17trampoline_kernelINS0_14default_configENS1_38merge_sort_block_merge_config_selectorIlNS0_10empty_typeEEEZZNS1_27merge_sort_block_merge_implIS3_PlPS5_mZN2at6native12_GLOBAL__N_124unique_dim_cuda_templateIbEESt5tupleIJNSA_6TensorESF_SF_EERKSF_lbbbEUlllE_EE10hipError_tT0_T1_T2_jT3_P12ihipStream_tbPNSt15iterator_traitsISL_E10value_typeEPNSR_ISM_E10value_typeEPSN_NS1_7vsmem_tEENKUlT_SL_SM_SN_E_clIS8_S8_S9_S9_EESK_S10_SL_SM_SN_EUlS10_E0_NS1_11comp_targetILNS1_3genE9ELNS1_11target_archE1100ELNS1_3gpuE3ELNS1_3repE0EEENS1_38merge_mergepath_config_static_selectorELNS0_4arch9wavefront6targetE1EEEvSM_.kd
    .uniform_work_group_size: 1
    .uses_dynamic_stack: false
    .vgpr_count:     0
    .vgpr_spill_count: 0
    .wavefront_size: 64
  - .agpr_count:     0
    .args:
      - .offset:         0
        .size:           88
        .value_kind:     by_value
    .group_segment_fixed_size: 0
    .kernarg_segment_align: 8
    .kernarg_segment_size: 88
    .language:       OpenCL C
    .language_version:
      - 2
      - 0
    .max_flat_workgroup_size: 1024
    .name:           _ZN7rocprim17ROCPRIM_400000_NS6detail17trampoline_kernelINS0_14default_configENS1_38merge_sort_block_merge_config_selectorIlNS0_10empty_typeEEEZZNS1_27merge_sort_block_merge_implIS3_PlPS5_mZN2at6native12_GLOBAL__N_124unique_dim_cuda_templateIbEESt5tupleIJNSA_6TensorESF_SF_EERKSF_lbbbEUlllE_EE10hipError_tT0_T1_T2_jT3_P12ihipStream_tbPNSt15iterator_traitsISL_E10value_typeEPNSR_ISM_E10value_typeEPSN_NS1_7vsmem_tEENKUlT_SL_SM_SN_E_clIS8_S8_S9_S9_EESK_S10_SL_SM_SN_EUlS10_E0_NS1_11comp_targetILNS1_3genE8ELNS1_11target_archE1030ELNS1_3gpuE2ELNS1_3repE0EEENS1_38merge_mergepath_config_static_selectorELNS0_4arch9wavefront6targetE1EEEvSM_
    .private_segment_fixed_size: 0
    .sgpr_count:     6
    .sgpr_spill_count: 0
    .symbol:         _ZN7rocprim17ROCPRIM_400000_NS6detail17trampoline_kernelINS0_14default_configENS1_38merge_sort_block_merge_config_selectorIlNS0_10empty_typeEEEZZNS1_27merge_sort_block_merge_implIS3_PlPS5_mZN2at6native12_GLOBAL__N_124unique_dim_cuda_templateIbEESt5tupleIJNSA_6TensorESF_SF_EERKSF_lbbbEUlllE_EE10hipError_tT0_T1_T2_jT3_P12ihipStream_tbPNSt15iterator_traitsISL_E10value_typeEPNSR_ISM_E10value_typeEPSN_NS1_7vsmem_tEENKUlT_SL_SM_SN_E_clIS8_S8_S9_S9_EESK_S10_SL_SM_SN_EUlS10_E0_NS1_11comp_targetILNS1_3genE8ELNS1_11target_archE1030ELNS1_3gpuE2ELNS1_3repE0EEENS1_38merge_mergepath_config_static_selectorELNS0_4arch9wavefront6targetE1EEEvSM_.kd
    .uniform_work_group_size: 1
    .uses_dynamic_stack: false
    .vgpr_count:     0
    .vgpr_spill_count: 0
    .wavefront_size: 64
  - .agpr_count:     0
    .args:
      - .offset:         0
        .size:           64
        .value_kind:     by_value
    .group_segment_fixed_size: 0
    .kernarg_segment_align: 8
    .kernarg_segment_size: 64
    .language:       OpenCL C
    .language_version:
      - 2
      - 0
    .max_flat_workgroup_size: 256
    .name:           _ZN7rocprim17ROCPRIM_400000_NS6detail17trampoline_kernelINS0_14default_configENS1_38merge_sort_block_merge_config_selectorIlNS0_10empty_typeEEEZZNS1_27merge_sort_block_merge_implIS3_PlPS5_mZN2at6native12_GLOBAL__N_124unique_dim_cuda_templateIbEESt5tupleIJNSA_6TensorESF_SF_EERKSF_lbbbEUlllE_EE10hipError_tT0_T1_T2_jT3_P12ihipStream_tbPNSt15iterator_traitsISL_E10value_typeEPNSR_ISM_E10value_typeEPSN_NS1_7vsmem_tEENKUlT_SL_SM_SN_E_clIS8_S8_S9_S9_EESK_S10_SL_SM_SN_EUlS10_E1_NS1_11comp_targetILNS1_3genE0ELNS1_11target_archE4294967295ELNS1_3gpuE0ELNS1_3repE0EEENS1_36merge_oddeven_config_static_selectorELNS0_4arch9wavefront6targetE1EEEvSM_
    .private_segment_fixed_size: 0
    .sgpr_count:     52
    .sgpr_spill_count: 0
    .symbol:         _ZN7rocprim17ROCPRIM_400000_NS6detail17trampoline_kernelINS0_14default_configENS1_38merge_sort_block_merge_config_selectorIlNS0_10empty_typeEEEZZNS1_27merge_sort_block_merge_implIS3_PlPS5_mZN2at6native12_GLOBAL__N_124unique_dim_cuda_templateIbEESt5tupleIJNSA_6TensorESF_SF_EERKSF_lbbbEUlllE_EE10hipError_tT0_T1_T2_jT3_P12ihipStream_tbPNSt15iterator_traitsISL_E10value_typeEPNSR_ISM_E10value_typeEPSN_NS1_7vsmem_tEENKUlT_SL_SM_SN_E_clIS8_S8_S9_S9_EESK_S10_SL_SM_SN_EUlS10_E1_NS1_11comp_targetILNS1_3genE0ELNS1_11target_archE4294967295ELNS1_3gpuE0ELNS1_3repE0EEENS1_36merge_oddeven_config_static_selectorELNS0_4arch9wavefront6targetE1EEEvSM_.kd
    .uniform_work_group_size: 1
    .uses_dynamic_stack: false
    .vgpr_count:     19
    .vgpr_spill_count: 0
    .wavefront_size: 64
  - .agpr_count:     0
    .args:
      - .offset:         0
        .size:           64
        .value_kind:     by_value
    .group_segment_fixed_size: 0
    .kernarg_segment_align: 8
    .kernarg_segment_size: 64
    .language:       OpenCL C
    .language_version:
      - 2
      - 0
    .max_flat_workgroup_size: 256
    .name:           _ZN7rocprim17ROCPRIM_400000_NS6detail17trampoline_kernelINS0_14default_configENS1_38merge_sort_block_merge_config_selectorIlNS0_10empty_typeEEEZZNS1_27merge_sort_block_merge_implIS3_PlPS5_mZN2at6native12_GLOBAL__N_124unique_dim_cuda_templateIbEESt5tupleIJNSA_6TensorESF_SF_EERKSF_lbbbEUlllE_EE10hipError_tT0_T1_T2_jT3_P12ihipStream_tbPNSt15iterator_traitsISL_E10value_typeEPNSR_ISM_E10value_typeEPSN_NS1_7vsmem_tEENKUlT_SL_SM_SN_E_clIS8_S8_S9_S9_EESK_S10_SL_SM_SN_EUlS10_E1_NS1_11comp_targetILNS1_3genE10ELNS1_11target_archE1201ELNS1_3gpuE5ELNS1_3repE0EEENS1_36merge_oddeven_config_static_selectorELNS0_4arch9wavefront6targetE1EEEvSM_
    .private_segment_fixed_size: 0
    .sgpr_count:     6
    .sgpr_spill_count: 0
    .symbol:         _ZN7rocprim17ROCPRIM_400000_NS6detail17trampoline_kernelINS0_14default_configENS1_38merge_sort_block_merge_config_selectorIlNS0_10empty_typeEEEZZNS1_27merge_sort_block_merge_implIS3_PlPS5_mZN2at6native12_GLOBAL__N_124unique_dim_cuda_templateIbEESt5tupleIJNSA_6TensorESF_SF_EERKSF_lbbbEUlllE_EE10hipError_tT0_T1_T2_jT3_P12ihipStream_tbPNSt15iterator_traitsISL_E10value_typeEPNSR_ISM_E10value_typeEPSN_NS1_7vsmem_tEENKUlT_SL_SM_SN_E_clIS8_S8_S9_S9_EESK_S10_SL_SM_SN_EUlS10_E1_NS1_11comp_targetILNS1_3genE10ELNS1_11target_archE1201ELNS1_3gpuE5ELNS1_3repE0EEENS1_36merge_oddeven_config_static_selectorELNS0_4arch9wavefront6targetE1EEEvSM_.kd
    .uniform_work_group_size: 1
    .uses_dynamic_stack: false
    .vgpr_count:     0
    .vgpr_spill_count: 0
    .wavefront_size: 64
  - .agpr_count:     0
    .args:
      - .offset:         0
        .size:           64
        .value_kind:     by_value
    .group_segment_fixed_size: 0
    .kernarg_segment_align: 8
    .kernarg_segment_size: 64
    .language:       OpenCL C
    .language_version:
      - 2
      - 0
    .max_flat_workgroup_size: 256
    .name:           _ZN7rocprim17ROCPRIM_400000_NS6detail17trampoline_kernelINS0_14default_configENS1_38merge_sort_block_merge_config_selectorIlNS0_10empty_typeEEEZZNS1_27merge_sort_block_merge_implIS3_PlPS5_mZN2at6native12_GLOBAL__N_124unique_dim_cuda_templateIbEESt5tupleIJNSA_6TensorESF_SF_EERKSF_lbbbEUlllE_EE10hipError_tT0_T1_T2_jT3_P12ihipStream_tbPNSt15iterator_traitsISL_E10value_typeEPNSR_ISM_E10value_typeEPSN_NS1_7vsmem_tEENKUlT_SL_SM_SN_E_clIS8_S8_S9_S9_EESK_S10_SL_SM_SN_EUlS10_E1_NS1_11comp_targetILNS1_3genE5ELNS1_11target_archE942ELNS1_3gpuE9ELNS1_3repE0EEENS1_36merge_oddeven_config_static_selectorELNS0_4arch9wavefront6targetE1EEEvSM_
    .private_segment_fixed_size: 0
    .sgpr_count:     6
    .sgpr_spill_count: 0
    .symbol:         _ZN7rocprim17ROCPRIM_400000_NS6detail17trampoline_kernelINS0_14default_configENS1_38merge_sort_block_merge_config_selectorIlNS0_10empty_typeEEEZZNS1_27merge_sort_block_merge_implIS3_PlPS5_mZN2at6native12_GLOBAL__N_124unique_dim_cuda_templateIbEESt5tupleIJNSA_6TensorESF_SF_EERKSF_lbbbEUlllE_EE10hipError_tT0_T1_T2_jT3_P12ihipStream_tbPNSt15iterator_traitsISL_E10value_typeEPNSR_ISM_E10value_typeEPSN_NS1_7vsmem_tEENKUlT_SL_SM_SN_E_clIS8_S8_S9_S9_EESK_S10_SL_SM_SN_EUlS10_E1_NS1_11comp_targetILNS1_3genE5ELNS1_11target_archE942ELNS1_3gpuE9ELNS1_3repE0EEENS1_36merge_oddeven_config_static_selectorELNS0_4arch9wavefront6targetE1EEEvSM_.kd
    .uniform_work_group_size: 1
    .uses_dynamic_stack: false
    .vgpr_count:     0
    .vgpr_spill_count: 0
    .wavefront_size: 64
  - .agpr_count:     0
    .args:
      - .offset:         0
        .size:           64
        .value_kind:     by_value
    .group_segment_fixed_size: 0
    .kernarg_segment_align: 8
    .kernarg_segment_size: 64
    .language:       OpenCL C
    .language_version:
      - 2
      - 0
    .max_flat_workgroup_size: 256
    .name:           _ZN7rocprim17ROCPRIM_400000_NS6detail17trampoline_kernelINS0_14default_configENS1_38merge_sort_block_merge_config_selectorIlNS0_10empty_typeEEEZZNS1_27merge_sort_block_merge_implIS3_PlPS5_mZN2at6native12_GLOBAL__N_124unique_dim_cuda_templateIbEESt5tupleIJNSA_6TensorESF_SF_EERKSF_lbbbEUlllE_EE10hipError_tT0_T1_T2_jT3_P12ihipStream_tbPNSt15iterator_traitsISL_E10value_typeEPNSR_ISM_E10value_typeEPSN_NS1_7vsmem_tEENKUlT_SL_SM_SN_E_clIS8_S8_S9_S9_EESK_S10_SL_SM_SN_EUlS10_E1_NS1_11comp_targetILNS1_3genE4ELNS1_11target_archE910ELNS1_3gpuE8ELNS1_3repE0EEENS1_36merge_oddeven_config_static_selectorELNS0_4arch9wavefront6targetE1EEEvSM_
    .private_segment_fixed_size: 0
    .sgpr_count:     6
    .sgpr_spill_count: 0
    .symbol:         _ZN7rocprim17ROCPRIM_400000_NS6detail17trampoline_kernelINS0_14default_configENS1_38merge_sort_block_merge_config_selectorIlNS0_10empty_typeEEEZZNS1_27merge_sort_block_merge_implIS3_PlPS5_mZN2at6native12_GLOBAL__N_124unique_dim_cuda_templateIbEESt5tupleIJNSA_6TensorESF_SF_EERKSF_lbbbEUlllE_EE10hipError_tT0_T1_T2_jT3_P12ihipStream_tbPNSt15iterator_traitsISL_E10value_typeEPNSR_ISM_E10value_typeEPSN_NS1_7vsmem_tEENKUlT_SL_SM_SN_E_clIS8_S8_S9_S9_EESK_S10_SL_SM_SN_EUlS10_E1_NS1_11comp_targetILNS1_3genE4ELNS1_11target_archE910ELNS1_3gpuE8ELNS1_3repE0EEENS1_36merge_oddeven_config_static_selectorELNS0_4arch9wavefront6targetE1EEEvSM_.kd
    .uniform_work_group_size: 1
    .uses_dynamic_stack: false
    .vgpr_count:     0
    .vgpr_spill_count: 0
    .wavefront_size: 64
  - .agpr_count:     0
    .args:
      - .offset:         0
        .size:           64
        .value_kind:     by_value
    .group_segment_fixed_size: 0
    .kernarg_segment_align: 8
    .kernarg_segment_size: 64
    .language:       OpenCL C
    .language_version:
      - 2
      - 0
    .max_flat_workgroup_size: 256
    .name:           _ZN7rocprim17ROCPRIM_400000_NS6detail17trampoline_kernelINS0_14default_configENS1_38merge_sort_block_merge_config_selectorIlNS0_10empty_typeEEEZZNS1_27merge_sort_block_merge_implIS3_PlPS5_mZN2at6native12_GLOBAL__N_124unique_dim_cuda_templateIbEESt5tupleIJNSA_6TensorESF_SF_EERKSF_lbbbEUlllE_EE10hipError_tT0_T1_T2_jT3_P12ihipStream_tbPNSt15iterator_traitsISL_E10value_typeEPNSR_ISM_E10value_typeEPSN_NS1_7vsmem_tEENKUlT_SL_SM_SN_E_clIS8_S8_S9_S9_EESK_S10_SL_SM_SN_EUlS10_E1_NS1_11comp_targetILNS1_3genE3ELNS1_11target_archE908ELNS1_3gpuE7ELNS1_3repE0EEENS1_36merge_oddeven_config_static_selectorELNS0_4arch9wavefront6targetE1EEEvSM_
    .private_segment_fixed_size: 0
    .sgpr_count:     6
    .sgpr_spill_count: 0
    .symbol:         _ZN7rocprim17ROCPRIM_400000_NS6detail17trampoline_kernelINS0_14default_configENS1_38merge_sort_block_merge_config_selectorIlNS0_10empty_typeEEEZZNS1_27merge_sort_block_merge_implIS3_PlPS5_mZN2at6native12_GLOBAL__N_124unique_dim_cuda_templateIbEESt5tupleIJNSA_6TensorESF_SF_EERKSF_lbbbEUlllE_EE10hipError_tT0_T1_T2_jT3_P12ihipStream_tbPNSt15iterator_traitsISL_E10value_typeEPNSR_ISM_E10value_typeEPSN_NS1_7vsmem_tEENKUlT_SL_SM_SN_E_clIS8_S8_S9_S9_EESK_S10_SL_SM_SN_EUlS10_E1_NS1_11comp_targetILNS1_3genE3ELNS1_11target_archE908ELNS1_3gpuE7ELNS1_3repE0EEENS1_36merge_oddeven_config_static_selectorELNS0_4arch9wavefront6targetE1EEEvSM_.kd
    .uniform_work_group_size: 1
    .uses_dynamic_stack: false
    .vgpr_count:     0
    .vgpr_spill_count: 0
    .wavefront_size: 64
  - .agpr_count:     0
    .args:
      - .offset:         0
        .size:           64
        .value_kind:     by_value
    .group_segment_fixed_size: 0
    .kernarg_segment_align: 8
    .kernarg_segment_size: 64
    .language:       OpenCL C
    .language_version:
      - 2
      - 0
    .max_flat_workgroup_size: 256
    .name:           _ZN7rocprim17ROCPRIM_400000_NS6detail17trampoline_kernelINS0_14default_configENS1_38merge_sort_block_merge_config_selectorIlNS0_10empty_typeEEEZZNS1_27merge_sort_block_merge_implIS3_PlPS5_mZN2at6native12_GLOBAL__N_124unique_dim_cuda_templateIbEESt5tupleIJNSA_6TensorESF_SF_EERKSF_lbbbEUlllE_EE10hipError_tT0_T1_T2_jT3_P12ihipStream_tbPNSt15iterator_traitsISL_E10value_typeEPNSR_ISM_E10value_typeEPSN_NS1_7vsmem_tEENKUlT_SL_SM_SN_E_clIS8_S8_S9_S9_EESK_S10_SL_SM_SN_EUlS10_E1_NS1_11comp_targetILNS1_3genE2ELNS1_11target_archE906ELNS1_3gpuE6ELNS1_3repE0EEENS1_36merge_oddeven_config_static_selectorELNS0_4arch9wavefront6targetE1EEEvSM_
    .private_segment_fixed_size: 0
    .sgpr_count:     6
    .sgpr_spill_count: 0
    .symbol:         _ZN7rocprim17ROCPRIM_400000_NS6detail17trampoline_kernelINS0_14default_configENS1_38merge_sort_block_merge_config_selectorIlNS0_10empty_typeEEEZZNS1_27merge_sort_block_merge_implIS3_PlPS5_mZN2at6native12_GLOBAL__N_124unique_dim_cuda_templateIbEESt5tupleIJNSA_6TensorESF_SF_EERKSF_lbbbEUlllE_EE10hipError_tT0_T1_T2_jT3_P12ihipStream_tbPNSt15iterator_traitsISL_E10value_typeEPNSR_ISM_E10value_typeEPSN_NS1_7vsmem_tEENKUlT_SL_SM_SN_E_clIS8_S8_S9_S9_EESK_S10_SL_SM_SN_EUlS10_E1_NS1_11comp_targetILNS1_3genE2ELNS1_11target_archE906ELNS1_3gpuE6ELNS1_3repE0EEENS1_36merge_oddeven_config_static_selectorELNS0_4arch9wavefront6targetE1EEEvSM_.kd
    .uniform_work_group_size: 1
    .uses_dynamic_stack: false
    .vgpr_count:     0
    .vgpr_spill_count: 0
    .wavefront_size: 64
  - .agpr_count:     0
    .args:
      - .offset:         0
        .size:           64
        .value_kind:     by_value
    .group_segment_fixed_size: 0
    .kernarg_segment_align: 8
    .kernarg_segment_size: 64
    .language:       OpenCL C
    .language_version:
      - 2
      - 0
    .max_flat_workgroup_size: 256
    .name:           _ZN7rocprim17ROCPRIM_400000_NS6detail17trampoline_kernelINS0_14default_configENS1_38merge_sort_block_merge_config_selectorIlNS0_10empty_typeEEEZZNS1_27merge_sort_block_merge_implIS3_PlPS5_mZN2at6native12_GLOBAL__N_124unique_dim_cuda_templateIbEESt5tupleIJNSA_6TensorESF_SF_EERKSF_lbbbEUlllE_EE10hipError_tT0_T1_T2_jT3_P12ihipStream_tbPNSt15iterator_traitsISL_E10value_typeEPNSR_ISM_E10value_typeEPSN_NS1_7vsmem_tEENKUlT_SL_SM_SN_E_clIS8_S8_S9_S9_EESK_S10_SL_SM_SN_EUlS10_E1_NS1_11comp_targetILNS1_3genE9ELNS1_11target_archE1100ELNS1_3gpuE3ELNS1_3repE0EEENS1_36merge_oddeven_config_static_selectorELNS0_4arch9wavefront6targetE1EEEvSM_
    .private_segment_fixed_size: 0
    .sgpr_count:     6
    .sgpr_spill_count: 0
    .symbol:         _ZN7rocprim17ROCPRIM_400000_NS6detail17trampoline_kernelINS0_14default_configENS1_38merge_sort_block_merge_config_selectorIlNS0_10empty_typeEEEZZNS1_27merge_sort_block_merge_implIS3_PlPS5_mZN2at6native12_GLOBAL__N_124unique_dim_cuda_templateIbEESt5tupleIJNSA_6TensorESF_SF_EERKSF_lbbbEUlllE_EE10hipError_tT0_T1_T2_jT3_P12ihipStream_tbPNSt15iterator_traitsISL_E10value_typeEPNSR_ISM_E10value_typeEPSN_NS1_7vsmem_tEENKUlT_SL_SM_SN_E_clIS8_S8_S9_S9_EESK_S10_SL_SM_SN_EUlS10_E1_NS1_11comp_targetILNS1_3genE9ELNS1_11target_archE1100ELNS1_3gpuE3ELNS1_3repE0EEENS1_36merge_oddeven_config_static_selectorELNS0_4arch9wavefront6targetE1EEEvSM_.kd
    .uniform_work_group_size: 1
    .uses_dynamic_stack: false
    .vgpr_count:     0
    .vgpr_spill_count: 0
    .wavefront_size: 64
  - .agpr_count:     0
    .args:
      - .offset:         0
        .size:           64
        .value_kind:     by_value
    .group_segment_fixed_size: 0
    .kernarg_segment_align: 8
    .kernarg_segment_size: 64
    .language:       OpenCL C
    .language_version:
      - 2
      - 0
    .max_flat_workgroup_size: 256
    .name:           _ZN7rocprim17ROCPRIM_400000_NS6detail17trampoline_kernelINS0_14default_configENS1_38merge_sort_block_merge_config_selectorIlNS0_10empty_typeEEEZZNS1_27merge_sort_block_merge_implIS3_PlPS5_mZN2at6native12_GLOBAL__N_124unique_dim_cuda_templateIbEESt5tupleIJNSA_6TensorESF_SF_EERKSF_lbbbEUlllE_EE10hipError_tT0_T1_T2_jT3_P12ihipStream_tbPNSt15iterator_traitsISL_E10value_typeEPNSR_ISM_E10value_typeEPSN_NS1_7vsmem_tEENKUlT_SL_SM_SN_E_clIS8_S8_S9_S9_EESK_S10_SL_SM_SN_EUlS10_E1_NS1_11comp_targetILNS1_3genE8ELNS1_11target_archE1030ELNS1_3gpuE2ELNS1_3repE0EEENS1_36merge_oddeven_config_static_selectorELNS0_4arch9wavefront6targetE1EEEvSM_
    .private_segment_fixed_size: 0
    .sgpr_count:     6
    .sgpr_spill_count: 0
    .symbol:         _ZN7rocprim17ROCPRIM_400000_NS6detail17trampoline_kernelINS0_14default_configENS1_38merge_sort_block_merge_config_selectorIlNS0_10empty_typeEEEZZNS1_27merge_sort_block_merge_implIS3_PlPS5_mZN2at6native12_GLOBAL__N_124unique_dim_cuda_templateIbEESt5tupleIJNSA_6TensorESF_SF_EERKSF_lbbbEUlllE_EE10hipError_tT0_T1_T2_jT3_P12ihipStream_tbPNSt15iterator_traitsISL_E10value_typeEPNSR_ISM_E10value_typeEPSN_NS1_7vsmem_tEENKUlT_SL_SM_SN_E_clIS8_S8_S9_S9_EESK_S10_SL_SM_SN_EUlS10_E1_NS1_11comp_targetILNS1_3genE8ELNS1_11target_archE1030ELNS1_3gpuE2ELNS1_3repE0EEENS1_36merge_oddeven_config_static_selectorELNS0_4arch9wavefront6targetE1EEEvSM_.kd
    .uniform_work_group_size: 1
    .uses_dynamic_stack: false
    .vgpr_count:     0
    .vgpr_spill_count: 0
    .wavefront_size: 64
  - .agpr_count:     0
    .args:
      - .offset:         0
        .size:           64
        .value_kind:     by_value
    .group_segment_fixed_size: 2048
    .kernarg_segment_align: 8
    .kernarg_segment_size: 64
    .language:       OpenCL C
    .language_version:
      - 2
      - 0
    .max_flat_workgroup_size: 128
    .name:           _ZN7rocprim17ROCPRIM_400000_NS6detail17trampoline_kernelINS0_14default_configENS1_35adjacent_difference_config_selectorILb0ElEEZNS1_24adjacent_difference_implIS3_Lb0ELb0EPlS7_ZN2at6native12_GLOBAL__N_124unique_dim_cuda_templateIbEESt5tupleIJNS8_6TensorESD_SD_EERKSD_lbbbEUlllE1_EE10hipError_tPvRmT2_T3_mT4_P12ihipStream_tbEUlT_E_NS1_11comp_targetILNS1_3genE0ELNS1_11target_archE4294967295ELNS1_3gpuE0ELNS1_3repE0EEENS1_30default_config_static_selectorELNS0_4arch9wavefront6targetE1EEEvT1_
    .private_segment_fixed_size: 0
    .sgpr_count:     38
    .sgpr_spill_count: 0
    .symbol:         _ZN7rocprim17ROCPRIM_400000_NS6detail17trampoline_kernelINS0_14default_configENS1_35adjacent_difference_config_selectorILb0ElEEZNS1_24adjacent_difference_implIS3_Lb0ELb0EPlS7_ZN2at6native12_GLOBAL__N_124unique_dim_cuda_templateIbEESt5tupleIJNS8_6TensorESD_SD_EERKSD_lbbbEUlllE1_EE10hipError_tPvRmT2_T3_mT4_P12ihipStream_tbEUlT_E_NS1_11comp_targetILNS1_3genE0ELNS1_11target_archE4294967295ELNS1_3gpuE0ELNS1_3repE0EEENS1_30default_config_static_selectorELNS0_4arch9wavefront6targetE1EEEvT1_.kd
    .uniform_work_group_size: 1
    .uses_dynamic_stack: false
    .vgpr_count:     12
    .vgpr_spill_count: 0
    .wavefront_size: 64
  - .agpr_count:     0
    .args:
      - .offset:         0
        .size:           64
        .value_kind:     by_value
    .group_segment_fixed_size: 0
    .kernarg_segment_align: 8
    .kernarg_segment_size: 64
    .language:       OpenCL C
    .language_version:
      - 2
      - 0
    .max_flat_workgroup_size: 128
    .name:           _ZN7rocprim17ROCPRIM_400000_NS6detail17trampoline_kernelINS0_14default_configENS1_35adjacent_difference_config_selectorILb0ElEEZNS1_24adjacent_difference_implIS3_Lb0ELb0EPlS7_ZN2at6native12_GLOBAL__N_124unique_dim_cuda_templateIbEESt5tupleIJNS8_6TensorESD_SD_EERKSD_lbbbEUlllE1_EE10hipError_tPvRmT2_T3_mT4_P12ihipStream_tbEUlT_E_NS1_11comp_targetILNS1_3genE10ELNS1_11target_archE1201ELNS1_3gpuE5ELNS1_3repE0EEENS1_30default_config_static_selectorELNS0_4arch9wavefront6targetE1EEEvT1_
    .private_segment_fixed_size: 0
    .sgpr_count:     6
    .sgpr_spill_count: 0
    .symbol:         _ZN7rocprim17ROCPRIM_400000_NS6detail17trampoline_kernelINS0_14default_configENS1_35adjacent_difference_config_selectorILb0ElEEZNS1_24adjacent_difference_implIS3_Lb0ELb0EPlS7_ZN2at6native12_GLOBAL__N_124unique_dim_cuda_templateIbEESt5tupleIJNS8_6TensorESD_SD_EERKSD_lbbbEUlllE1_EE10hipError_tPvRmT2_T3_mT4_P12ihipStream_tbEUlT_E_NS1_11comp_targetILNS1_3genE10ELNS1_11target_archE1201ELNS1_3gpuE5ELNS1_3repE0EEENS1_30default_config_static_selectorELNS0_4arch9wavefront6targetE1EEEvT1_.kd
    .uniform_work_group_size: 1
    .uses_dynamic_stack: false
    .vgpr_count:     0
    .vgpr_spill_count: 0
    .wavefront_size: 64
  - .agpr_count:     0
    .args:
      - .offset:         0
        .size:           64
        .value_kind:     by_value
    .group_segment_fixed_size: 0
    .kernarg_segment_align: 8
    .kernarg_segment_size: 64
    .language:       OpenCL C
    .language_version:
      - 2
      - 0
    .max_flat_workgroup_size: 64
    .name:           _ZN7rocprim17ROCPRIM_400000_NS6detail17trampoline_kernelINS0_14default_configENS1_35adjacent_difference_config_selectorILb0ElEEZNS1_24adjacent_difference_implIS3_Lb0ELb0EPlS7_ZN2at6native12_GLOBAL__N_124unique_dim_cuda_templateIbEESt5tupleIJNS8_6TensorESD_SD_EERKSD_lbbbEUlllE1_EE10hipError_tPvRmT2_T3_mT4_P12ihipStream_tbEUlT_E_NS1_11comp_targetILNS1_3genE5ELNS1_11target_archE942ELNS1_3gpuE9ELNS1_3repE0EEENS1_30default_config_static_selectorELNS0_4arch9wavefront6targetE1EEEvT1_
    .private_segment_fixed_size: 0
    .sgpr_count:     6
    .sgpr_spill_count: 0
    .symbol:         _ZN7rocprim17ROCPRIM_400000_NS6detail17trampoline_kernelINS0_14default_configENS1_35adjacent_difference_config_selectorILb0ElEEZNS1_24adjacent_difference_implIS3_Lb0ELb0EPlS7_ZN2at6native12_GLOBAL__N_124unique_dim_cuda_templateIbEESt5tupleIJNS8_6TensorESD_SD_EERKSD_lbbbEUlllE1_EE10hipError_tPvRmT2_T3_mT4_P12ihipStream_tbEUlT_E_NS1_11comp_targetILNS1_3genE5ELNS1_11target_archE942ELNS1_3gpuE9ELNS1_3repE0EEENS1_30default_config_static_selectorELNS0_4arch9wavefront6targetE1EEEvT1_.kd
    .uniform_work_group_size: 1
    .uses_dynamic_stack: false
    .vgpr_count:     0
    .vgpr_spill_count: 0
    .wavefront_size: 64
  - .agpr_count:     0
    .args:
      - .offset:         0
        .size:           64
        .value_kind:     by_value
    .group_segment_fixed_size: 0
    .kernarg_segment_align: 8
    .kernarg_segment_size: 64
    .language:       OpenCL C
    .language_version:
      - 2
      - 0
    .max_flat_workgroup_size: 256
    .name:           _ZN7rocprim17ROCPRIM_400000_NS6detail17trampoline_kernelINS0_14default_configENS1_35adjacent_difference_config_selectorILb0ElEEZNS1_24adjacent_difference_implIS3_Lb0ELb0EPlS7_ZN2at6native12_GLOBAL__N_124unique_dim_cuda_templateIbEESt5tupleIJNS8_6TensorESD_SD_EERKSD_lbbbEUlllE1_EE10hipError_tPvRmT2_T3_mT4_P12ihipStream_tbEUlT_E_NS1_11comp_targetILNS1_3genE4ELNS1_11target_archE910ELNS1_3gpuE8ELNS1_3repE0EEENS1_30default_config_static_selectorELNS0_4arch9wavefront6targetE1EEEvT1_
    .private_segment_fixed_size: 0
    .sgpr_count:     6
    .sgpr_spill_count: 0
    .symbol:         _ZN7rocprim17ROCPRIM_400000_NS6detail17trampoline_kernelINS0_14default_configENS1_35adjacent_difference_config_selectorILb0ElEEZNS1_24adjacent_difference_implIS3_Lb0ELb0EPlS7_ZN2at6native12_GLOBAL__N_124unique_dim_cuda_templateIbEESt5tupleIJNS8_6TensorESD_SD_EERKSD_lbbbEUlllE1_EE10hipError_tPvRmT2_T3_mT4_P12ihipStream_tbEUlT_E_NS1_11comp_targetILNS1_3genE4ELNS1_11target_archE910ELNS1_3gpuE8ELNS1_3repE0EEENS1_30default_config_static_selectorELNS0_4arch9wavefront6targetE1EEEvT1_.kd
    .uniform_work_group_size: 1
    .uses_dynamic_stack: false
    .vgpr_count:     0
    .vgpr_spill_count: 0
    .wavefront_size: 64
  - .agpr_count:     0
    .args:
      - .offset:         0
        .size:           64
        .value_kind:     by_value
    .group_segment_fixed_size: 0
    .kernarg_segment_align: 8
    .kernarg_segment_size: 64
    .language:       OpenCL C
    .language_version:
      - 2
      - 0
    .max_flat_workgroup_size: 128
    .name:           _ZN7rocprim17ROCPRIM_400000_NS6detail17trampoline_kernelINS0_14default_configENS1_35adjacent_difference_config_selectorILb0ElEEZNS1_24adjacent_difference_implIS3_Lb0ELb0EPlS7_ZN2at6native12_GLOBAL__N_124unique_dim_cuda_templateIbEESt5tupleIJNS8_6TensorESD_SD_EERKSD_lbbbEUlllE1_EE10hipError_tPvRmT2_T3_mT4_P12ihipStream_tbEUlT_E_NS1_11comp_targetILNS1_3genE3ELNS1_11target_archE908ELNS1_3gpuE7ELNS1_3repE0EEENS1_30default_config_static_selectorELNS0_4arch9wavefront6targetE1EEEvT1_
    .private_segment_fixed_size: 0
    .sgpr_count:     6
    .sgpr_spill_count: 0
    .symbol:         _ZN7rocprim17ROCPRIM_400000_NS6detail17trampoline_kernelINS0_14default_configENS1_35adjacent_difference_config_selectorILb0ElEEZNS1_24adjacent_difference_implIS3_Lb0ELb0EPlS7_ZN2at6native12_GLOBAL__N_124unique_dim_cuda_templateIbEESt5tupleIJNS8_6TensorESD_SD_EERKSD_lbbbEUlllE1_EE10hipError_tPvRmT2_T3_mT4_P12ihipStream_tbEUlT_E_NS1_11comp_targetILNS1_3genE3ELNS1_11target_archE908ELNS1_3gpuE7ELNS1_3repE0EEENS1_30default_config_static_selectorELNS0_4arch9wavefront6targetE1EEEvT1_.kd
    .uniform_work_group_size: 1
    .uses_dynamic_stack: false
    .vgpr_count:     0
    .vgpr_spill_count: 0
    .wavefront_size: 64
  - .agpr_count:     0
    .args:
      - .offset:         0
        .size:           64
        .value_kind:     by_value
    .group_segment_fixed_size: 0
    .kernarg_segment_align: 8
    .kernarg_segment_size: 64
    .language:       OpenCL C
    .language_version:
      - 2
      - 0
    .max_flat_workgroup_size: 128
    .name:           _ZN7rocprim17ROCPRIM_400000_NS6detail17trampoline_kernelINS0_14default_configENS1_35adjacent_difference_config_selectorILb0ElEEZNS1_24adjacent_difference_implIS3_Lb0ELb0EPlS7_ZN2at6native12_GLOBAL__N_124unique_dim_cuda_templateIbEESt5tupleIJNS8_6TensorESD_SD_EERKSD_lbbbEUlllE1_EE10hipError_tPvRmT2_T3_mT4_P12ihipStream_tbEUlT_E_NS1_11comp_targetILNS1_3genE2ELNS1_11target_archE906ELNS1_3gpuE6ELNS1_3repE0EEENS1_30default_config_static_selectorELNS0_4arch9wavefront6targetE1EEEvT1_
    .private_segment_fixed_size: 0
    .sgpr_count:     6
    .sgpr_spill_count: 0
    .symbol:         _ZN7rocprim17ROCPRIM_400000_NS6detail17trampoline_kernelINS0_14default_configENS1_35adjacent_difference_config_selectorILb0ElEEZNS1_24adjacent_difference_implIS3_Lb0ELb0EPlS7_ZN2at6native12_GLOBAL__N_124unique_dim_cuda_templateIbEESt5tupleIJNS8_6TensorESD_SD_EERKSD_lbbbEUlllE1_EE10hipError_tPvRmT2_T3_mT4_P12ihipStream_tbEUlT_E_NS1_11comp_targetILNS1_3genE2ELNS1_11target_archE906ELNS1_3gpuE6ELNS1_3repE0EEENS1_30default_config_static_selectorELNS0_4arch9wavefront6targetE1EEEvT1_.kd
    .uniform_work_group_size: 1
    .uses_dynamic_stack: false
    .vgpr_count:     0
    .vgpr_spill_count: 0
    .wavefront_size: 64
  - .agpr_count:     0
    .args:
      - .offset:         0
        .size:           64
        .value_kind:     by_value
    .group_segment_fixed_size: 0
    .kernarg_segment_align: 8
    .kernarg_segment_size: 64
    .language:       OpenCL C
    .language_version:
      - 2
      - 0
    .max_flat_workgroup_size: 512
    .name:           _ZN7rocprim17ROCPRIM_400000_NS6detail17trampoline_kernelINS0_14default_configENS1_35adjacent_difference_config_selectorILb0ElEEZNS1_24adjacent_difference_implIS3_Lb0ELb0EPlS7_ZN2at6native12_GLOBAL__N_124unique_dim_cuda_templateIbEESt5tupleIJNS8_6TensorESD_SD_EERKSD_lbbbEUlllE1_EE10hipError_tPvRmT2_T3_mT4_P12ihipStream_tbEUlT_E_NS1_11comp_targetILNS1_3genE9ELNS1_11target_archE1100ELNS1_3gpuE3ELNS1_3repE0EEENS1_30default_config_static_selectorELNS0_4arch9wavefront6targetE1EEEvT1_
    .private_segment_fixed_size: 0
    .sgpr_count:     6
    .sgpr_spill_count: 0
    .symbol:         _ZN7rocprim17ROCPRIM_400000_NS6detail17trampoline_kernelINS0_14default_configENS1_35adjacent_difference_config_selectorILb0ElEEZNS1_24adjacent_difference_implIS3_Lb0ELb0EPlS7_ZN2at6native12_GLOBAL__N_124unique_dim_cuda_templateIbEESt5tupleIJNS8_6TensorESD_SD_EERKSD_lbbbEUlllE1_EE10hipError_tPvRmT2_T3_mT4_P12ihipStream_tbEUlT_E_NS1_11comp_targetILNS1_3genE9ELNS1_11target_archE1100ELNS1_3gpuE3ELNS1_3repE0EEENS1_30default_config_static_selectorELNS0_4arch9wavefront6targetE1EEEvT1_.kd
    .uniform_work_group_size: 1
    .uses_dynamic_stack: false
    .vgpr_count:     0
    .vgpr_spill_count: 0
    .wavefront_size: 64
  - .agpr_count:     0
    .args:
      - .offset:         0
        .size:           64
        .value_kind:     by_value
    .group_segment_fixed_size: 0
    .kernarg_segment_align: 8
    .kernarg_segment_size: 64
    .language:       OpenCL C
    .language_version:
      - 2
      - 0
    .max_flat_workgroup_size: 1024
    .name:           _ZN7rocprim17ROCPRIM_400000_NS6detail17trampoline_kernelINS0_14default_configENS1_35adjacent_difference_config_selectorILb0ElEEZNS1_24adjacent_difference_implIS3_Lb0ELb0EPlS7_ZN2at6native12_GLOBAL__N_124unique_dim_cuda_templateIbEESt5tupleIJNS8_6TensorESD_SD_EERKSD_lbbbEUlllE1_EE10hipError_tPvRmT2_T3_mT4_P12ihipStream_tbEUlT_E_NS1_11comp_targetILNS1_3genE8ELNS1_11target_archE1030ELNS1_3gpuE2ELNS1_3repE0EEENS1_30default_config_static_selectorELNS0_4arch9wavefront6targetE1EEEvT1_
    .private_segment_fixed_size: 0
    .sgpr_count:     6
    .sgpr_spill_count: 0
    .symbol:         _ZN7rocprim17ROCPRIM_400000_NS6detail17trampoline_kernelINS0_14default_configENS1_35adjacent_difference_config_selectorILb0ElEEZNS1_24adjacent_difference_implIS3_Lb0ELb0EPlS7_ZN2at6native12_GLOBAL__N_124unique_dim_cuda_templateIbEESt5tupleIJNS8_6TensorESD_SD_EERKSD_lbbbEUlllE1_EE10hipError_tPvRmT2_T3_mT4_P12ihipStream_tbEUlT_E_NS1_11comp_targetILNS1_3genE8ELNS1_11target_archE1030ELNS1_3gpuE2ELNS1_3repE0EEENS1_30default_config_static_selectorELNS0_4arch9wavefront6targetE1EEEvT1_.kd
    .uniform_work_group_size: 1
    .uses_dynamic_stack: false
    .vgpr_count:     0
    .vgpr_spill_count: 0
    .wavefront_size: 64
  - .agpr_count:     0
    .args:
      - .offset:         0
        .size:           56
        .value_kind:     by_value
      - .offset:         56
        .size:           4
        .value_kind:     hidden_block_count_x
      - .offset:         60
        .size:           4
        .value_kind:     hidden_block_count_y
      - .offset:         64
        .size:           4
        .value_kind:     hidden_block_count_z
      - .offset:         68
        .size:           2
        .value_kind:     hidden_group_size_x
      - .offset:         70
        .size:           2
        .value_kind:     hidden_group_size_y
      - .offset:         72
        .size:           2
        .value_kind:     hidden_group_size_z
      - .offset:         74
        .size:           2
        .value_kind:     hidden_remainder_x
      - .offset:         76
        .size:           2
        .value_kind:     hidden_remainder_y
      - .offset:         78
        .size:           2
        .value_kind:     hidden_remainder_z
      - .offset:         96
        .size:           8
        .value_kind:     hidden_global_offset_x
      - .offset:         104
        .size:           8
        .value_kind:     hidden_global_offset_y
      - .offset:         112
        .size:           8
        .value_kind:     hidden_global_offset_z
      - .offset:         120
        .size:           2
        .value_kind:     hidden_grid_dims
    .group_segment_fixed_size: 0
    .kernarg_segment_align: 8
    .kernarg_segment_size: 312
    .language:       OpenCL C
    .language_version:
      - 2
      - 0
    .max_flat_workgroup_size: 128
    .name:           _ZN7rocprim17ROCPRIM_400000_NS6detail17trampoline_kernelINS0_14default_configENS1_25transform_config_selectorIlLb0EEEZNS1_14transform_implILb0ES3_S5_NS0_18transform_iteratorINS0_17counting_iteratorImlEEZNS1_24adjacent_difference_implIS3_Lb1ELb0EPlSB_ZN2at6native12_GLOBAL__N_124unique_dim_cuda_templateIbEESt5tupleIJNSC_6TensorESH_SH_EERKSH_lbbbEUlllE1_EE10hipError_tPvRmT2_T3_mT4_P12ihipStream_tbEUlmE_lEESB_NS0_8identityIvEEEESM_SP_SQ_mSR_ST_bEUlT_E_NS1_11comp_targetILNS1_3genE0ELNS1_11target_archE4294967295ELNS1_3gpuE0ELNS1_3repE0EEENS1_30default_config_static_selectorELNS0_4arch9wavefront6targetE1EEEvT1_
    .private_segment_fixed_size: 0
    .sgpr_count:     18
    .sgpr_spill_count: 0
    .symbol:         _ZN7rocprim17ROCPRIM_400000_NS6detail17trampoline_kernelINS0_14default_configENS1_25transform_config_selectorIlLb0EEEZNS1_14transform_implILb0ES3_S5_NS0_18transform_iteratorINS0_17counting_iteratorImlEEZNS1_24adjacent_difference_implIS3_Lb1ELb0EPlSB_ZN2at6native12_GLOBAL__N_124unique_dim_cuda_templateIbEESt5tupleIJNSC_6TensorESH_SH_EERKSH_lbbbEUlllE1_EE10hipError_tPvRmT2_T3_mT4_P12ihipStream_tbEUlmE_lEESB_NS0_8identityIvEEEESM_SP_SQ_mSR_ST_bEUlT_E_NS1_11comp_targetILNS1_3genE0ELNS1_11target_archE4294967295ELNS1_3gpuE0ELNS1_3repE0EEENS1_30default_config_static_selectorELNS0_4arch9wavefront6targetE1EEEvT1_.kd
    .uniform_work_group_size: 1
    .uses_dynamic_stack: false
    .vgpr_count:     8
    .vgpr_spill_count: 0
    .wavefront_size: 64
  - .agpr_count:     0
    .args:
      - .offset:         0
        .size:           56
        .value_kind:     by_value
    .group_segment_fixed_size: 0
    .kernarg_segment_align: 8
    .kernarg_segment_size: 56
    .language:       OpenCL C
    .language_version:
      - 2
      - 0
    .max_flat_workgroup_size: 512
    .name:           _ZN7rocprim17ROCPRIM_400000_NS6detail17trampoline_kernelINS0_14default_configENS1_25transform_config_selectorIlLb0EEEZNS1_14transform_implILb0ES3_S5_NS0_18transform_iteratorINS0_17counting_iteratorImlEEZNS1_24adjacent_difference_implIS3_Lb1ELb0EPlSB_ZN2at6native12_GLOBAL__N_124unique_dim_cuda_templateIbEESt5tupleIJNSC_6TensorESH_SH_EERKSH_lbbbEUlllE1_EE10hipError_tPvRmT2_T3_mT4_P12ihipStream_tbEUlmE_lEESB_NS0_8identityIvEEEESM_SP_SQ_mSR_ST_bEUlT_E_NS1_11comp_targetILNS1_3genE5ELNS1_11target_archE942ELNS1_3gpuE9ELNS1_3repE0EEENS1_30default_config_static_selectorELNS0_4arch9wavefront6targetE1EEEvT1_
    .private_segment_fixed_size: 0
    .sgpr_count:     6
    .sgpr_spill_count: 0
    .symbol:         _ZN7rocprim17ROCPRIM_400000_NS6detail17trampoline_kernelINS0_14default_configENS1_25transform_config_selectorIlLb0EEEZNS1_14transform_implILb0ES3_S5_NS0_18transform_iteratorINS0_17counting_iteratorImlEEZNS1_24adjacent_difference_implIS3_Lb1ELb0EPlSB_ZN2at6native12_GLOBAL__N_124unique_dim_cuda_templateIbEESt5tupleIJNSC_6TensorESH_SH_EERKSH_lbbbEUlllE1_EE10hipError_tPvRmT2_T3_mT4_P12ihipStream_tbEUlmE_lEESB_NS0_8identityIvEEEESM_SP_SQ_mSR_ST_bEUlT_E_NS1_11comp_targetILNS1_3genE5ELNS1_11target_archE942ELNS1_3gpuE9ELNS1_3repE0EEENS1_30default_config_static_selectorELNS0_4arch9wavefront6targetE1EEEvT1_.kd
    .uniform_work_group_size: 1
    .uses_dynamic_stack: false
    .vgpr_count:     0
    .vgpr_spill_count: 0
    .wavefront_size: 64
  - .agpr_count:     0
    .args:
      - .offset:         0
        .size:           56
        .value_kind:     by_value
    .group_segment_fixed_size: 0
    .kernarg_segment_align: 8
    .kernarg_segment_size: 56
    .language:       OpenCL C
    .language_version:
      - 2
      - 0
    .max_flat_workgroup_size: 256
    .name:           _ZN7rocprim17ROCPRIM_400000_NS6detail17trampoline_kernelINS0_14default_configENS1_25transform_config_selectorIlLb0EEEZNS1_14transform_implILb0ES3_S5_NS0_18transform_iteratorINS0_17counting_iteratorImlEEZNS1_24adjacent_difference_implIS3_Lb1ELb0EPlSB_ZN2at6native12_GLOBAL__N_124unique_dim_cuda_templateIbEESt5tupleIJNSC_6TensorESH_SH_EERKSH_lbbbEUlllE1_EE10hipError_tPvRmT2_T3_mT4_P12ihipStream_tbEUlmE_lEESB_NS0_8identityIvEEEESM_SP_SQ_mSR_ST_bEUlT_E_NS1_11comp_targetILNS1_3genE4ELNS1_11target_archE910ELNS1_3gpuE8ELNS1_3repE0EEENS1_30default_config_static_selectorELNS0_4arch9wavefront6targetE1EEEvT1_
    .private_segment_fixed_size: 0
    .sgpr_count:     6
    .sgpr_spill_count: 0
    .symbol:         _ZN7rocprim17ROCPRIM_400000_NS6detail17trampoline_kernelINS0_14default_configENS1_25transform_config_selectorIlLb0EEEZNS1_14transform_implILb0ES3_S5_NS0_18transform_iteratorINS0_17counting_iteratorImlEEZNS1_24adjacent_difference_implIS3_Lb1ELb0EPlSB_ZN2at6native12_GLOBAL__N_124unique_dim_cuda_templateIbEESt5tupleIJNSC_6TensorESH_SH_EERKSH_lbbbEUlllE1_EE10hipError_tPvRmT2_T3_mT4_P12ihipStream_tbEUlmE_lEESB_NS0_8identityIvEEEESM_SP_SQ_mSR_ST_bEUlT_E_NS1_11comp_targetILNS1_3genE4ELNS1_11target_archE910ELNS1_3gpuE8ELNS1_3repE0EEENS1_30default_config_static_selectorELNS0_4arch9wavefront6targetE1EEEvT1_.kd
    .uniform_work_group_size: 1
    .uses_dynamic_stack: false
    .vgpr_count:     0
    .vgpr_spill_count: 0
    .wavefront_size: 64
  - .agpr_count:     0
    .args:
      - .offset:         0
        .size:           56
        .value_kind:     by_value
    .group_segment_fixed_size: 0
    .kernarg_segment_align: 8
    .kernarg_segment_size: 56
    .language:       OpenCL C
    .language_version:
      - 2
      - 0
    .max_flat_workgroup_size: 128
    .name:           _ZN7rocprim17ROCPRIM_400000_NS6detail17trampoline_kernelINS0_14default_configENS1_25transform_config_selectorIlLb0EEEZNS1_14transform_implILb0ES3_S5_NS0_18transform_iteratorINS0_17counting_iteratorImlEEZNS1_24adjacent_difference_implIS3_Lb1ELb0EPlSB_ZN2at6native12_GLOBAL__N_124unique_dim_cuda_templateIbEESt5tupleIJNSC_6TensorESH_SH_EERKSH_lbbbEUlllE1_EE10hipError_tPvRmT2_T3_mT4_P12ihipStream_tbEUlmE_lEESB_NS0_8identityIvEEEESM_SP_SQ_mSR_ST_bEUlT_E_NS1_11comp_targetILNS1_3genE3ELNS1_11target_archE908ELNS1_3gpuE7ELNS1_3repE0EEENS1_30default_config_static_selectorELNS0_4arch9wavefront6targetE1EEEvT1_
    .private_segment_fixed_size: 0
    .sgpr_count:     6
    .sgpr_spill_count: 0
    .symbol:         _ZN7rocprim17ROCPRIM_400000_NS6detail17trampoline_kernelINS0_14default_configENS1_25transform_config_selectorIlLb0EEEZNS1_14transform_implILb0ES3_S5_NS0_18transform_iteratorINS0_17counting_iteratorImlEEZNS1_24adjacent_difference_implIS3_Lb1ELb0EPlSB_ZN2at6native12_GLOBAL__N_124unique_dim_cuda_templateIbEESt5tupleIJNSC_6TensorESH_SH_EERKSH_lbbbEUlllE1_EE10hipError_tPvRmT2_T3_mT4_P12ihipStream_tbEUlmE_lEESB_NS0_8identityIvEEEESM_SP_SQ_mSR_ST_bEUlT_E_NS1_11comp_targetILNS1_3genE3ELNS1_11target_archE908ELNS1_3gpuE7ELNS1_3repE0EEENS1_30default_config_static_selectorELNS0_4arch9wavefront6targetE1EEEvT1_.kd
    .uniform_work_group_size: 1
    .uses_dynamic_stack: false
    .vgpr_count:     0
    .vgpr_spill_count: 0
    .wavefront_size: 64
  - .agpr_count:     0
    .args:
      - .offset:         0
        .size:           56
        .value_kind:     by_value
    .group_segment_fixed_size: 0
    .kernarg_segment_align: 8
    .kernarg_segment_size: 56
    .language:       OpenCL C
    .language_version:
      - 2
      - 0
    .max_flat_workgroup_size: 512
    .name:           _ZN7rocprim17ROCPRIM_400000_NS6detail17trampoline_kernelINS0_14default_configENS1_25transform_config_selectorIlLb0EEEZNS1_14transform_implILb0ES3_S5_NS0_18transform_iteratorINS0_17counting_iteratorImlEEZNS1_24adjacent_difference_implIS3_Lb1ELb0EPlSB_ZN2at6native12_GLOBAL__N_124unique_dim_cuda_templateIbEESt5tupleIJNSC_6TensorESH_SH_EERKSH_lbbbEUlllE1_EE10hipError_tPvRmT2_T3_mT4_P12ihipStream_tbEUlmE_lEESB_NS0_8identityIvEEEESM_SP_SQ_mSR_ST_bEUlT_E_NS1_11comp_targetILNS1_3genE2ELNS1_11target_archE906ELNS1_3gpuE6ELNS1_3repE0EEENS1_30default_config_static_selectorELNS0_4arch9wavefront6targetE1EEEvT1_
    .private_segment_fixed_size: 0
    .sgpr_count:     6
    .sgpr_spill_count: 0
    .symbol:         _ZN7rocprim17ROCPRIM_400000_NS6detail17trampoline_kernelINS0_14default_configENS1_25transform_config_selectorIlLb0EEEZNS1_14transform_implILb0ES3_S5_NS0_18transform_iteratorINS0_17counting_iteratorImlEEZNS1_24adjacent_difference_implIS3_Lb1ELb0EPlSB_ZN2at6native12_GLOBAL__N_124unique_dim_cuda_templateIbEESt5tupleIJNSC_6TensorESH_SH_EERKSH_lbbbEUlllE1_EE10hipError_tPvRmT2_T3_mT4_P12ihipStream_tbEUlmE_lEESB_NS0_8identityIvEEEESM_SP_SQ_mSR_ST_bEUlT_E_NS1_11comp_targetILNS1_3genE2ELNS1_11target_archE906ELNS1_3gpuE6ELNS1_3repE0EEENS1_30default_config_static_selectorELNS0_4arch9wavefront6targetE1EEEvT1_.kd
    .uniform_work_group_size: 1
    .uses_dynamic_stack: false
    .vgpr_count:     0
    .vgpr_spill_count: 0
    .wavefront_size: 64
  - .agpr_count:     0
    .args:
      - .offset:         0
        .size:           56
        .value_kind:     by_value
    .group_segment_fixed_size: 0
    .kernarg_segment_align: 8
    .kernarg_segment_size: 56
    .language:       OpenCL C
    .language_version:
      - 2
      - 0
    .max_flat_workgroup_size: 1024
    .name:           _ZN7rocprim17ROCPRIM_400000_NS6detail17trampoline_kernelINS0_14default_configENS1_25transform_config_selectorIlLb0EEEZNS1_14transform_implILb0ES3_S5_NS0_18transform_iteratorINS0_17counting_iteratorImlEEZNS1_24adjacent_difference_implIS3_Lb1ELb0EPlSB_ZN2at6native12_GLOBAL__N_124unique_dim_cuda_templateIbEESt5tupleIJNSC_6TensorESH_SH_EERKSH_lbbbEUlllE1_EE10hipError_tPvRmT2_T3_mT4_P12ihipStream_tbEUlmE_lEESB_NS0_8identityIvEEEESM_SP_SQ_mSR_ST_bEUlT_E_NS1_11comp_targetILNS1_3genE10ELNS1_11target_archE1201ELNS1_3gpuE5ELNS1_3repE0EEENS1_30default_config_static_selectorELNS0_4arch9wavefront6targetE1EEEvT1_
    .private_segment_fixed_size: 0
    .sgpr_count:     6
    .sgpr_spill_count: 0
    .symbol:         _ZN7rocprim17ROCPRIM_400000_NS6detail17trampoline_kernelINS0_14default_configENS1_25transform_config_selectorIlLb0EEEZNS1_14transform_implILb0ES3_S5_NS0_18transform_iteratorINS0_17counting_iteratorImlEEZNS1_24adjacent_difference_implIS3_Lb1ELb0EPlSB_ZN2at6native12_GLOBAL__N_124unique_dim_cuda_templateIbEESt5tupleIJNSC_6TensorESH_SH_EERKSH_lbbbEUlllE1_EE10hipError_tPvRmT2_T3_mT4_P12ihipStream_tbEUlmE_lEESB_NS0_8identityIvEEEESM_SP_SQ_mSR_ST_bEUlT_E_NS1_11comp_targetILNS1_3genE10ELNS1_11target_archE1201ELNS1_3gpuE5ELNS1_3repE0EEENS1_30default_config_static_selectorELNS0_4arch9wavefront6targetE1EEEvT1_.kd
    .uniform_work_group_size: 1
    .uses_dynamic_stack: false
    .vgpr_count:     0
    .vgpr_spill_count: 0
    .wavefront_size: 64
  - .agpr_count:     0
    .args:
      - .offset:         0
        .size:           56
        .value_kind:     by_value
    .group_segment_fixed_size: 0
    .kernarg_segment_align: 8
    .kernarg_segment_size: 56
    .language:       OpenCL C
    .language_version:
      - 2
      - 0
    .max_flat_workgroup_size: 512
    .name:           _ZN7rocprim17ROCPRIM_400000_NS6detail17trampoline_kernelINS0_14default_configENS1_25transform_config_selectorIlLb0EEEZNS1_14transform_implILb0ES3_S5_NS0_18transform_iteratorINS0_17counting_iteratorImlEEZNS1_24adjacent_difference_implIS3_Lb1ELb0EPlSB_ZN2at6native12_GLOBAL__N_124unique_dim_cuda_templateIbEESt5tupleIJNSC_6TensorESH_SH_EERKSH_lbbbEUlllE1_EE10hipError_tPvRmT2_T3_mT4_P12ihipStream_tbEUlmE_lEESB_NS0_8identityIvEEEESM_SP_SQ_mSR_ST_bEUlT_E_NS1_11comp_targetILNS1_3genE10ELNS1_11target_archE1200ELNS1_3gpuE4ELNS1_3repE0EEENS1_30default_config_static_selectorELNS0_4arch9wavefront6targetE1EEEvT1_
    .private_segment_fixed_size: 0
    .sgpr_count:     6
    .sgpr_spill_count: 0
    .symbol:         _ZN7rocprim17ROCPRIM_400000_NS6detail17trampoline_kernelINS0_14default_configENS1_25transform_config_selectorIlLb0EEEZNS1_14transform_implILb0ES3_S5_NS0_18transform_iteratorINS0_17counting_iteratorImlEEZNS1_24adjacent_difference_implIS3_Lb1ELb0EPlSB_ZN2at6native12_GLOBAL__N_124unique_dim_cuda_templateIbEESt5tupleIJNSC_6TensorESH_SH_EERKSH_lbbbEUlllE1_EE10hipError_tPvRmT2_T3_mT4_P12ihipStream_tbEUlmE_lEESB_NS0_8identityIvEEEESM_SP_SQ_mSR_ST_bEUlT_E_NS1_11comp_targetILNS1_3genE10ELNS1_11target_archE1200ELNS1_3gpuE4ELNS1_3repE0EEENS1_30default_config_static_selectorELNS0_4arch9wavefront6targetE1EEEvT1_.kd
    .uniform_work_group_size: 1
    .uses_dynamic_stack: false
    .vgpr_count:     0
    .vgpr_spill_count: 0
    .wavefront_size: 64
  - .agpr_count:     0
    .args:
      - .offset:         0
        .size:           56
        .value_kind:     by_value
    .group_segment_fixed_size: 0
    .kernarg_segment_align: 8
    .kernarg_segment_size: 56
    .language:       OpenCL C
    .language_version:
      - 2
      - 0
    .max_flat_workgroup_size: 512
    .name:           _ZN7rocprim17ROCPRIM_400000_NS6detail17trampoline_kernelINS0_14default_configENS1_25transform_config_selectorIlLb0EEEZNS1_14transform_implILb0ES3_S5_NS0_18transform_iteratorINS0_17counting_iteratorImlEEZNS1_24adjacent_difference_implIS3_Lb1ELb0EPlSB_ZN2at6native12_GLOBAL__N_124unique_dim_cuda_templateIbEESt5tupleIJNSC_6TensorESH_SH_EERKSH_lbbbEUlllE1_EE10hipError_tPvRmT2_T3_mT4_P12ihipStream_tbEUlmE_lEESB_NS0_8identityIvEEEESM_SP_SQ_mSR_ST_bEUlT_E_NS1_11comp_targetILNS1_3genE9ELNS1_11target_archE1100ELNS1_3gpuE3ELNS1_3repE0EEENS1_30default_config_static_selectorELNS0_4arch9wavefront6targetE1EEEvT1_
    .private_segment_fixed_size: 0
    .sgpr_count:     6
    .sgpr_spill_count: 0
    .symbol:         _ZN7rocprim17ROCPRIM_400000_NS6detail17trampoline_kernelINS0_14default_configENS1_25transform_config_selectorIlLb0EEEZNS1_14transform_implILb0ES3_S5_NS0_18transform_iteratorINS0_17counting_iteratorImlEEZNS1_24adjacent_difference_implIS3_Lb1ELb0EPlSB_ZN2at6native12_GLOBAL__N_124unique_dim_cuda_templateIbEESt5tupleIJNSC_6TensorESH_SH_EERKSH_lbbbEUlllE1_EE10hipError_tPvRmT2_T3_mT4_P12ihipStream_tbEUlmE_lEESB_NS0_8identityIvEEEESM_SP_SQ_mSR_ST_bEUlT_E_NS1_11comp_targetILNS1_3genE9ELNS1_11target_archE1100ELNS1_3gpuE3ELNS1_3repE0EEENS1_30default_config_static_selectorELNS0_4arch9wavefront6targetE1EEEvT1_.kd
    .uniform_work_group_size: 1
    .uses_dynamic_stack: false
    .vgpr_count:     0
    .vgpr_spill_count: 0
    .wavefront_size: 64
  - .agpr_count:     0
    .args:
      - .offset:         0
        .size:           56
        .value_kind:     by_value
    .group_segment_fixed_size: 0
    .kernarg_segment_align: 8
    .kernarg_segment_size: 56
    .language:       OpenCL C
    .language_version:
      - 2
      - 0
    .max_flat_workgroup_size: 512
    .name:           _ZN7rocprim17ROCPRIM_400000_NS6detail17trampoline_kernelINS0_14default_configENS1_25transform_config_selectorIlLb0EEEZNS1_14transform_implILb0ES3_S5_NS0_18transform_iteratorINS0_17counting_iteratorImlEEZNS1_24adjacent_difference_implIS3_Lb1ELb0EPlSB_ZN2at6native12_GLOBAL__N_124unique_dim_cuda_templateIbEESt5tupleIJNSC_6TensorESH_SH_EERKSH_lbbbEUlllE1_EE10hipError_tPvRmT2_T3_mT4_P12ihipStream_tbEUlmE_lEESB_NS0_8identityIvEEEESM_SP_SQ_mSR_ST_bEUlT_E_NS1_11comp_targetILNS1_3genE8ELNS1_11target_archE1030ELNS1_3gpuE2ELNS1_3repE0EEENS1_30default_config_static_selectorELNS0_4arch9wavefront6targetE1EEEvT1_
    .private_segment_fixed_size: 0
    .sgpr_count:     6
    .sgpr_spill_count: 0
    .symbol:         _ZN7rocprim17ROCPRIM_400000_NS6detail17trampoline_kernelINS0_14default_configENS1_25transform_config_selectorIlLb0EEEZNS1_14transform_implILb0ES3_S5_NS0_18transform_iteratorINS0_17counting_iteratorImlEEZNS1_24adjacent_difference_implIS3_Lb1ELb0EPlSB_ZN2at6native12_GLOBAL__N_124unique_dim_cuda_templateIbEESt5tupleIJNSC_6TensorESH_SH_EERKSH_lbbbEUlllE1_EE10hipError_tPvRmT2_T3_mT4_P12ihipStream_tbEUlmE_lEESB_NS0_8identityIvEEEESM_SP_SQ_mSR_ST_bEUlT_E_NS1_11comp_targetILNS1_3genE8ELNS1_11target_archE1030ELNS1_3gpuE2ELNS1_3repE0EEENS1_30default_config_static_selectorELNS0_4arch9wavefront6targetE1EEEvT1_.kd
    .uniform_work_group_size: 1
    .uses_dynamic_stack: false
    .vgpr_count:     0
    .vgpr_spill_count: 0
    .wavefront_size: 64
  - .agpr_count:     0
    .args:
      - .offset:         0
        .size:           64
        .value_kind:     by_value
    .group_segment_fixed_size: 8448
    .kernarg_segment_align: 8
    .kernarg_segment_size: 64
    .language:       OpenCL C
    .language_version:
      - 2
      - 0
    .max_flat_workgroup_size: 512
    .name:           _ZN7rocprim17ROCPRIM_400000_NS6detail17trampoline_kernelINS0_14default_configENS1_35adjacent_difference_config_selectorILb1ElEEZNS1_24adjacent_difference_implIS3_Lb1ELb0EPlS7_ZN2at6native12_GLOBAL__N_124unique_dim_cuda_templateIbEESt5tupleIJNS8_6TensorESD_SD_EERKSD_lbbbEUlllE1_EE10hipError_tPvRmT2_T3_mT4_P12ihipStream_tbEUlT_E_NS1_11comp_targetILNS1_3genE0ELNS1_11target_archE4294967295ELNS1_3gpuE0ELNS1_3repE0EEENS1_30default_config_static_selectorELNS0_4arch9wavefront6targetE1EEEvT1_
    .private_segment_fixed_size: 0
    .sgpr_count:     42
    .sgpr_spill_count: 0
    .symbol:         _ZN7rocprim17ROCPRIM_400000_NS6detail17trampoline_kernelINS0_14default_configENS1_35adjacent_difference_config_selectorILb1ElEEZNS1_24adjacent_difference_implIS3_Lb1ELb0EPlS7_ZN2at6native12_GLOBAL__N_124unique_dim_cuda_templateIbEESt5tupleIJNS8_6TensorESD_SD_EERKSD_lbbbEUlllE1_EE10hipError_tPvRmT2_T3_mT4_P12ihipStream_tbEUlT_E_NS1_11comp_targetILNS1_3genE0ELNS1_11target_archE4294967295ELNS1_3gpuE0ELNS1_3repE0EEENS1_30default_config_static_selectorELNS0_4arch9wavefront6targetE1EEEvT1_.kd
    .uniform_work_group_size: 1
    .uses_dynamic_stack: false
    .vgpr_count:     16
    .vgpr_spill_count: 0
    .wavefront_size: 64
  - .agpr_count:     0
    .args:
      - .offset:         0
        .size:           64
        .value_kind:     by_value
    .group_segment_fixed_size: 0
    .kernarg_segment_align: 8
    .kernarg_segment_size: 64
    .language:       OpenCL C
    .language_version:
      - 2
      - 0
    .max_flat_workgroup_size: 32
    .name:           _ZN7rocprim17ROCPRIM_400000_NS6detail17trampoline_kernelINS0_14default_configENS1_35adjacent_difference_config_selectorILb1ElEEZNS1_24adjacent_difference_implIS3_Lb1ELb0EPlS7_ZN2at6native12_GLOBAL__N_124unique_dim_cuda_templateIbEESt5tupleIJNS8_6TensorESD_SD_EERKSD_lbbbEUlllE1_EE10hipError_tPvRmT2_T3_mT4_P12ihipStream_tbEUlT_E_NS1_11comp_targetILNS1_3genE10ELNS1_11target_archE1201ELNS1_3gpuE5ELNS1_3repE0EEENS1_30default_config_static_selectorELNS0_4arch9wavefront6targetE1EEEvT1_
    .private_segment_fixed_size: 0
    .sgpr_count:     6
    .sgpr_spill_count: 0
    .symbol:         _ZN7rocprim17ROCPRIM_400000_NS6detail17trampoline_kernelINS0_14default_configENS1_35adjacent_difference_config_selectorILb1ElEEZNS1_24adjacent_difference_implIS3_Lb1ELb0EPlS7_ZN2at6native12_GLOBAL__N_124unique_dim_cuda_templateIbEESt5tupleIJNS8_6TensorESD_SD_EERKSD_lbbbEUlllE1_EE10hipError_tPvRmT2_T3_mT4_P12ihipStream_tbEUlT_E_NS1_11comp_targetILNS1_3genE10ELNS1_11target_archE1201ELNS1_3gpuE5ELNS1_3repE0EEENS1_30default_config_static_selectorELNS0_4arch9wavefront6targetE1EEEvT1_.kd
    .uniform_work_group_size: 1
    .uses_dynamic_stack: false
    .vgpr_count:     0
    .vgpr_spill_count: 0
    .wavefront_size: 64
  - .agpr_count:     0
    .args:
      - .offset:         0
        .size:           64
        .value_kind:     by_value
    .group_segment_fixed_size: 0
    .kernarg_segment_align: 8
    .kernarg_segment_size: 64
    .language:       OpenCL C
    .language_version:
      - 2
      - 0
    .max_flat_workgroup_size: 256
    .name:           _ZN7rocprim17ROCPRIM_400000_NS6detail17trampoline_kernelINS0_14default_configENS1_35adjacent_difference_config_selectorILb1ElEEZNS1_24adjacent_difference_implIS3_Lb1ELb0EPlS7_ZN2at6native12_GLOBAL__N_124unique_dim_cuda_templateIbEESt5tupleIJNS8_6TensorESD_SD_EERKSD_lbbbEUlllE1_EE10hipError_tPvRmT2_T3_mT4_P12ihipStream_tbEUlT_E_NS1_11comp_targetILNS1_3genE5ELNS1_11target_archE942ELNS1_3gpuE9ELNS1_3repE0EEENS1_30default_config_static_selectorELNS0_4arch9wavefront6targetE1EEEvT1_
    .private_segment_fixed_size: 0
    .sgpr_count:     6
    .sgpr_spill_count: 0
    .symbol:         _ZN7rocprim17ROCPRIM_400000_NS6detail17trampoline_kernelINS0_14default_configENS1_35adjacent_difference_config_selectorILb1ElEEZNS1_24adjacent_difference_implIS3_Lb1ELb0EPlS7_ZN2at6native12_GLOBAL__N_124unique_dim_cuda_templateIbEESt5tupleIJNS8_6TensorESD_SD_EERKSD_lbbbEUlllE1_EE10hipError_tPvRmT2_T3_mT4_P12ihipStream_tbEUlT_E_NS1_11comp_targetILNS1_3genE5ELNS1_11target_archE942ELNS1_3gpuE9ELNS1_3repE0EEENS1_30default_config_static_selectorELNS0_4arch9wavefront6targetE1EEEvT1_.kd
    .uniform_work_group_size: 1
    .uses_dynamic_stack: false
    .vgpr_count:     0
    .vgpr_spill_count: 0
    .wavefront_size: 64
  - .agpr_count:     0
    .args:
      - .offset:         0
        .size:           64
        .value_kind:     by_value
    .group_segment_fixed_size: 0
    .kernarg_segment_align: 8
    .kernarg_segment_size: 64
    .language:       OpenCL C
    .language_version:
      - 2
      - 0
    .max_flat_workgroup_size: 512
    .name:           _ZN7rocprim17ROCPRIM_400000_NS6detail17trampoline_kernelINS0_14default_configENS1_35adjacent_difference_config_selectorILb1ElEEZNS1_24adjacent_difference_implIS3_Lb1ELb0EPlS7_ZN2at6native12_GLOBAL__N_124unique_dim_cuda_templateIbEESt5tupleIJNS8_6TensorESD_SD_EERKSD_lbbbEUlllE1_EE10hipError_tPvRmT2_T3_mT4_P12ihipStream_tbEUlT_E_NS1_11comp_targetILNS1_3genE4ELNS1_11target_archE910ELNS1_3gpuE8ELNS1_3repE0EEENS1_30default_config_static_selectorELNS0_4arch9wavefront6targetE1EEEvT1_
    .private_segment_fixed_size: 0
    .sgpr_count:     6
    .sgpr_spill_count: 0
    .symbol:         _ZN7rocprim17ROCPRIM_400000_NS6detail17trampoline_kernelINS0_14default_configENS1_35adjacent_difference_config_selectorILb1ElEEZNS1_24adjacent_difference_implIS3_Lb1ELb0EPlS7_ZN2at6native12_GLOBAL__N_124unique_dim_cuda_templateIbEESt5tupleIJNS8_6TensorESD_SD_EERKSD_lbbbEUlllE1_EE10hipError_tPvRmT2_T3_mT4_P12ihipStream_tbEUlT_E_NS1_11comp_targetILNS1_3genE4ELNS1_11target_archE910ELNS1_3gpuE8ELNS1_3repE0EEENS1_30default_config_static_selectorELNS0_4arch9wavefront6targetE1EEEvT1_.kd
    .uniform_work_group_size: 1
    .uses_dynamic_stack: false
    .vgpr_count:     0
    .vgpr_spill_count: 0
    .wavefront_size: 64
  - .agpr_count:     0
    .args:
      - .offset:         0
        .size:           64
        .value_kind:     by_value
    .group_segment_fixed_size: 0
    .kernarg_segment_align: 8
    .kernarg_segment_size: 64
    .language:       OpenCL C
    .language_version:
      - 2
      - 0
    .max_flat_workgroup_size: 512
    .name:           _ZN7rocprim17ROCPRIM_400000_NS6detail17trampoline_kernelINS0_14default_configENS1_35adjacent_difference_config_selectorILb1ElEEZNS1_24adjacent_difference_implIS3_Lb1ELb0EPlS7_ZN2at6native12_GLOBAL__N_124unique_dim_cuda_templateIbEESt5tupleIJNS8_6TensorESD_SD_EERKSD_lbbbEUlllE1_EE10hipError_tPvRmT2_T3_mT4_P12ihipStream_tbEUlT_E_NS1_11comp_targetILNS1_3genE3ELNS1_11target_archE908ELNS1_3gpuE7ELNS1_3repE0EEENS1_30default_config_static_selectorELNS0_4arch9wavefront6targetE1EEEvT1_
    .private_segment_fixed_size: 0
    .sgpr_count:     6
    .sgpr_spill_count: 0
    .symbol:         _ZN7rocprim17ROCPRIM_400000_NS6detail17trampoline_kernelINS0_14default_configENS1_35adjacent_difference_config_selectorILb1ElEEZNS1_24adjacent_difference_implIS3_Lb1ELb0EPlS7_ZN2at6native12_GLOBAL__N_124unique_dim_cuda_templateIbEESt5tupleIJNS8_6TensorESD_SD_EERKSD_lbbbEUlllE1_EE10hipError_tPvRmT2_T3_mT4_P12ihipStream_tbEUlT_E_NS1_11comp_targetILNS1_3genE3ELNS1_11target_archE908ELNS1_3gpuE7ELNS1_3repE0EEENS1_30default_config_static_selectorELNS0_4arch9wavefront6targetE1EEEvT1_.kd
    .uniform_work_group_size: 1
    .uses_dynamic_stack: false
    .vgpr_count:     0
    .vgpr_spill_count: 0
    .wavefront_size: 64
  - .agpr_count:     0
    .args:
      - .offset:         0
        .size:           64
        .value_kind:     by_value
    .group_segment_fixed_size: 0
    .kernarg_segment_align: 8
    .kernarg_segment_size: 64
    .language:       OpenCL C
    .language_version:
      - 2
      - 0
    .max_flat_workgroup_size: 128
    .name:           _ZN7rocprim17ROCPRIM_400000_NS6detail17trampoline_kernelINS0_14default_configENS1_35adjacent_difference_config_selectorILb1ElEEZNS1_24adjacent_difference_implIS3_Lb1ELb0EPlS7_ZN2at6native12_GLOBAL__N_124unique_dim_cuda_templateIbEESt5tupleIJNS8_6TensorESD_SD_EERKSD_lbbbEUlllE1_EE10hipError_tPvRmT2_T3_mT4_P12ihipStream_tbEUlT_E_NS1_11comp_targetILNS1_3genE2ELNS1_11target_archE906ELNS1_3gpuE6ELNS1_3repE0EEENS1_30default_config_static_selectorELNS0_4arch9wavefront6targetE1EEEvT1_
    .private_segment_fixed_size: 0
    .sgpr_count:     6
    .sgpr_spill_count: 0
    .symbol:         _ZN7rocprim17ROCPRIM_400000_NS6detail17trampoline_kernelINS0_14default_configENS1_35adjacent_difference_config_selectorILb1ElEEZNS1_24adjacent_difference_implIS3_Lb1ELb0EPlS7_ZN2at6native12_GLOBAL__N_124unique_dim_cuda_templateIbEESt5tupleIJNS8_6TensorESD_SD_EERKSD_lbbbEUlllE1_EE10hipError_tPvRmT2_T3_mT4_P12ihipStream_tbEUlT_E_NS1_11comp_targetILNS1_3genE2ELNS1_11target_archE906ELNS1_3gpuE6ELNS1_3repE0EEENS1_30default_config_static_selectorELNS0_4arch9wavefront6targetE1EEEvT1_.kd
    .uniform_work_group_size: 1
    .uses_dynamic_stack: false
    .vgpr_count:     0
    .vgpr_spill_count: 0
    .wavefront_size: 64
  - .agpr_count:     0
    .args:
      - .offset:         0
        .size:           64
        .value_kind:     by_value
    .group_segment_fixed_size: 0
    .kernarg_segment_align: 8
    .kernarg_segment_size: 64
    .language:       OpenCL C
    .language_version:
      - 2
      - 0
    .max_flat_workgroup_size: 128
    .name:           _ZN7rocprim17ROCPRIM_400000_NS6detail17trampoline_kernelINS0_14default_configENS1_35adjacent_difference_config_selectorILb1ElEEZNS1_24adjacent_difference_implIS3_Lb1ELb0EPlS7_ZN2at6native12_GLOBAL__N_124unique_dim_cuda_templateIbEESt5tupleIJNS8_6TensorESD_SD_EERKSD_lbbbEUlllE1_EE10hipError_tPvRmT2_T3_mT4_P12ihipStream_tbEUlT_E_NS1_11comp_targetILNS1_3genE9ELNS1_11target_archE1100ELNS1_3gpuE3ELNS1_3repE0EEENS1_30default_config_static_selectorELNS0_4arch9wavefront6targetE1EEEvT1_
    .private_segment_fixed_size: 0
    .sgpr_count:     6
    .sgpr_spill_count: 0
    .symbol:         _ZN7rocprim17ROCPRIM_400000_NS6detail17trampoline_kernelINS0_14default_configENS1_35adjacent_difference_config_selectorILb1ElEEZNS1_24adjacent_difference_implIS3_Lb1ELb0EPlS7_ZN2at6native12_GLOBAL__N_124unique_dim_cuda_templateIbEESt5tupleIJNS8_6TensorESD_SD_EERKSD_lbbbEUlllE1_EE10hipError_tPvRmT2_T3_mT4_P12ihipStream_tbEUlT_E_NS1_11comp_targetILNS1_3genE9ELNS1_11target_archE1100ELNS1_3gpuE3ELNS1_3repE0EEENS1_30default_config_static_selectorELNS0_4arch9wavefront6targetE1EEEvT1_.kd
    .uniform_work_group_size: 1
    .uses_dynamic_stack: false
    .vgpr_count:     0
    .vgpr_spill_count: 0
    .wavefront_size: 64
  - .agpr_count:     0
    .args:
      - .offset:         0
        .size:           64
        .value_kind:     by_value
    .group_segment_fixed_size: 0
    .kernarg_segment_align: 8
    .kernarg_segment_size: 64
    .language:       OpenCL C
    .language_version:
      - 2
      - 0
    .max_flat_workgroup_size: 32
    .name:           _ZN7rocprim17ROCPRIM_400000_NS6detail17trampoline_kernelINS0_14default_configENS1_35adjacent_difference_config_selectorILb1ElEEZNS1_24adjacent_difference_implIS3_Lb1ELb0EPlS7_ZN2at6native12_GLOBAL__N_124unique_dim_cuda_templateIbEESt5tupleIJNS8_6TensorESD_SD_EERKSD_lbbbEUlllE1_EE10hipError_tPvRmT2_T3_mT4_P12ihipStream_tbEUlT_E_NS1_11comp_targetILNS1_3genE8ELNS1_11target_archE1030ELNS1_3gpuE2ELNS1_3repE0EEENS1_30default_config_static_selectorELNS0_4arch9wavefront6targetE1EEEvT1_
    .private_segment_fixed_size: 0
    .sgpr_count:     6
    .sgpr_spill_count: 0
    .symbol:         _ZN7rocprim17ROCPRIM_400000_NS6detail17trampoline_kernelINS0_14default_configENS1_35adjacent_difference_config_selectorILb1ElEEZNS1_24adjacent_difference_implIS3_Lb1ELb0EPlS7_ZN2at6native12_GLOBAL__N_124unique_dim_cuda_templateIbEESt5tupleIJNS8_6TensorESD_SD_EERKSD_lbbbEUlllE1_EE10hipError_tPvRmT2_T3_mT4_P12ihipStream_tbEUlT_E_NS1_11comp_targetILNS1_3genE8ELNS1_11target_archE1030ELNS1_3gpuE2ELNS1_3repE0EEENS1_30default_config_static_selectorELNS0_4arch9wavefront6targetE1EEEvT1_.kd
    .uniform_work_group_size: 1
    .uses_dynamic_stack: false
    .vgpr_count:     0
    .vgpr_spill_count: 0
    .wavefront_size: 64
  - .agpr_count:     0
    .args:
      - .offset:         0
        .size:           120
        .value_kind:     by_value
    .group_segment_fixed_size: 28680
    .kernarg_segment_align: 8
    .kernarg_segment_size: 120
    .language:       OpenCL C
    .language_version:
      - 2
      - 0
    .max_flat_workgroup_size: 512
    .name:           _ZN7rocprim17ROCPRIM_400000_NS6detail17trampoline_kernelINS0_14default_configENS1_25partition_config_selectorILNS1_17partition_subalgoE8ElNS0_10empty_typeEbEEZZNS1_14partition_implILS5_8ELb0ES3_jPlPS6_PKS6_NS0_5tupleIJS9_S6_EEENSD_IJSA_SA_EEENS0_18inequality_wrapperIZN2at6native12_GLOBAL__N_124unique_dim_cuda_templateIbEESt5tupleIJNSH_6TensorESM_SM_EERKSM_lbbbEUlllE0_EEPmJS6_EEE10hipError_tPvRmT3_T4_T5_T6_T7_T9_mT8_P12ihipStream_tbDpT10_ENKUlT_T0_E_clISt17integral_constantIbLb0EES1C_EEDaS17_S18_EUlS17_E_NS1_11comp_targetILNS1_3genE0ELNS1_11target_archE4294967295ELNS1_3gpuE0ELNS1_3repE0EEENS1_30default_config_static_selectorELNS0_4arch9wavefront6targetE1EEEvT1_
    .private_segment_fixed_size: 0
    .sgpr_count:     56
    .sgpr_spill_count: 0
    .symbol:         _ZN7rocprim17ROCPRIM_400000_NS6detail17trampoline_kernelINS0_14default_configENS1_25partition_config_selectorILNS1_17partition_subalgoE8ElNS0_10empty_typeEbEEZZNS1_14partition_implILS5_8ELb0ES3_jPlPS6_PKS6_NS0_5tupleIJS9_S6_EEENSD_IJSA_SA_EEENS0_18inequality_wrapperIZN2at6native12_GLOBAL__N_124unique_dim_cuda_templateIbEESt5tupleIJNSH_6TensorESM_SM_EERKSM_lbbbEUlllE0_EEPmJS6_EEE10hipError_tPvRmT3_T4_T5_T6_T7_T9_mT8_P12ihipStream_tbDpT10_ENKUlT_T0_E_clISt17integral_constantIbLb0EES1C_EEDaS17_S18_EUlS17_E_NS1_11comp_targetILNS1_3genE0ELNS1_11target_archE4294967295ELNS1_3gpuE0ELNS1_3repE0EEENS1_30default_config_static_selectorELNS0_4arch9wavefront6targetE1EEEvT1_.kd
    .uniform_work_group_size: 1
    .uses_dynamic_stack: false
    .vgpr_count:     58
    .vgpr_spill_count: 0
    .wavefront_size: 64
  - .agpr_count:     0
    .args:
      - .offset:         0
        .size:           120
        .value_kind:     by_value
    .group_segment_fixed_size: 0
    .kernarg_segment_align: 8
    .kernarg_segment_size: 120
    .language:       OpenCL C
    .language_version:
      - 2
      - 0
    .max_flat_workgroup_size: 512
    .name:           _ZN7rocprim17ROCPRIM_400000_NS6detail17trampoline_kernelINS0_14default_configENS1_25partition_config_selectorILNS1_17partition_subalgoE8ElNS0_10empty_typeEbEEZZNS1_14partition_implILS5_8ELb0ES3_jPlPS6_PKS6_NS0_5tupleIJS9_S6_EEENSD_IJSA_SA_EEENS0_18inequality_wrapperIZN2at6native12_GLOBAL__N_124unique_dim_cuda_templateIbEESt5tupleIJNSH_6TensorESM_SM_EERKSM_lbbbEUlllE0_EEPmJS6_EEE10hipError_tPvRmT3_T4_T5_T6_T7_T9_mT8_P12ihipStream_tbDpT10_ENKUlT_T0_E_clISt17integral_constantIbLb0EES1C_EEDaS17_S18_EUlS17_E_NS1_11comp_targetILNS1_3genE5ELNS1_11target_archE942ELNS1_3gpuE9ELNS1_3repE0EEENS1_30default_config_static_selectorELNS0_4arch9wavefront6targetE1EEEvT1_
    .private_segment_fixed_size: 0
    .sgpr_count:     6
    .sgpr_spill_count: 0
    .symbol:         _ZN7rocprim17ROCPRIM_400000_NS6detail17trampoline_kernelINS0_14default_configENS1_25partition_config_selectorILNS1_17partition_subalgoE8ElNS0_10empty_typeEbEEZZNS1_14partition_implILS5_8ELb0ES3_jPlPS6_PKS6_NS0_5tupleIJS9_S6_EEENSD_IJSA_SA_EEENS0_18inequality_wrapperIZN2at6native12_GLOBAL__N_124unique_dim_cuda_templateIbEESt5tupleIJNSH_6TensorESM_SM_EERKSM_lbbbEUlllE0_EEPmJS6_EEE10hipError_tPvRmT3_T4_T5_T6_T7_T9_mT8_P12ihipStream_tbDpT10_ENKUlT_T0_E_clISt17integral_constantIbLb0EES1C_EEDaS17_S18_EUlS17_E_NS1_11comp_targetILNS1_3genE5ELNS1_11target_archE942ELNS1_3gpuE9ELNS1_3repE0EEENS1_30default_config_static_selectorELNS0_4arch9wavefront6targetE1EEEvT1_.kd
    .uniform_work_group_size: 1
    .uses_dynamic_stack: false
    .vgpr_count:     0
    .vgpr_spill_count: 0
    .wavefront_size: 64
  - .agpr_count:     0
    .args:
      - .offset:         0
        .size:           120
        .value_kind:     by_value
    .group_segment_fixed_size: 0
    .kernarg_segment_align: 8
    .kernarg_segment_size: 120
    .language:       OpenCL C
    .language_version:
      - 2
      - 0
    .max_flat_workgroup_size: 256
    .name:           _ZN7rocprim17ROCPRIM_400000_NS6detail17trampoline_kernelINS0_14default_configENS1_25partition_config_selectorILNS1_17partition_subalgoE8ElNS0_10empty_typeEbEEZZNS1_14partition_implILS5_8ELb0ES3_jPlPS6_PKS6_NS0_5tupleIJS9_S6_EEENSD_IJSA_SA_EEENS0_18inequality_wrapperIZN2at6native12_GLOBAL__N_124unique_dim_cuda_templateIbEESt5tupleIJNSH_6TensorESM_SM_EERKSM_lbbbEUlllE0_EEPmJS6_EEE10hipError_tPvRmT3_T4_T5_T6_T7_T9_mT8_P12ihipStream_tbDpT10_ENKUlT_T0_E_clISt17integral_constantIbLb0EES1C_EEDaS17_S18_EUlS17_E_NS1_11comp_targetILNS1_3genE4ELNS1_11target_archE910ELNS1_3gpuE8ELNS1_3repE0EEENS1_30default_config_static_selectorELNS0_4arch9wavefront6targetE1EEEvT1_
    .private_segment_fixed_size: 0
    .sgpr_count:     6
    .sgpr_spill_count: 0
    .symbol:         _ZN7rocprim17ROCPRIM_400000_NS6detail17trampoline_kernelINS0_14default_configENS1_25partition_config_selectorILNS1_17partition_subalgoE8ElNS0_10empty_typeEbEEZZNS1_14partition_implILS5_8ELb0ES3_jPlPS6_PKS6_NS0_5tupleIJS9_S6_EEENSD_IJSA_SA_EEENS0_18inequality_wrapperIZN2at6native12_GLOBAL__N_124unique_dim_cuda_templateIbEESt5tupleIJNSH_6TensorESM_SM_EERKSM_lbbbEUlllE0_EEPmJS6_EEE10hipError_tPvRmT3_T4_T5_T6_T7_T9_mT8_P12ihipStream_tbDpT10_ENKUlT_T0_E_clISt17integral_constantIbLb0EES1C_EEDaS17_S18_EUlS17_E_NS1_11comp_targetILNS1_3genE4ELNS1_11target_archE910ELNS1_3gpuE8ELNS1_3repE0EEENS1_30default_config_static_selectorELNS0_4arch9wavefront6targetE1EEEvT1_.kd
    .uniform_work_group_size: 1
    .uses_dynamic_stack: false
    .vgpr_count:     0
    .vgpr_spill_count: 0
    .wavefront_size: 64
  - .agpr_count:     0
    .args:
      - .offset:         0
        .size:           120
        .value_kind:     by_value
    .group_segment_fixed_size: 0
    .kernarg_segment_align: 8
    .kernarg_segment_size: 120
    .language:       OpenCL C
    .language_version:
      - 2
      - 0
    .max_flat_workgroup_size: 512
    .name:           _ZN7rocprim17ROCPRIM_400000_NS6detail17trampoline_kernelINS0_14default_configENS1_25partition_config_selectorILNS1_17partition_subalgoE8ElNS0_10empty_typeEbEEZZNS1_14partition_implILS5_8ELb0ES3_jPlPS6_PKS6_NS0_5tupleIJS9_S6_EEENSD_IJSA_SA_EEENS0_18inequality_wrapperIZN2at6native12_GLOBAL__N_124unique_dim_cuda_templateIbEESt5tupleIJNSH_6TensorESM_SM_EERKSM_lbbbEUlllE0_EEPmJS6_EEE10hipError_tPvRmT3_T4_T5_T6_T7_T9_mT8_P12ihipStream_tbDpT10_ENKUlT_T0_E_clISt17integral_constantIbLb0EES1C_EEDaS17_S18_EUlS17_E_NS1_11comp_targetILNS1_3genE3ELNS1_11target_archE908ELNS1_3gpuE7ELNS1_3repE0EEENS1_30default_config_static_selectorELNS0_4arch9wavefront6targetE1EEEvT1_
    .private_segment_fixed_size: 0
    .sgpr_count:     6
    .sgpr_spill_count: 0
    .symbol:         _ZN7rocprim17ROCPRIM_400000_NS6detail17trampoline_kernelINS0_14default_configENS1_25partition_config_selectorILNS1_17partition_subalgoE8ElNS0_10empty_typeEbEEZZNS1_14partition_implILS5_8ELb0ES3_jPlPS6_PKS6_NS0_5tupleIJS9_S6_EEENSD_IJSA_SA_EEENS0_18inequality_wrapperIZN2at6native12_GLOBAL__N_124unique_dim_cuda_templateIbEESt5tupleIJNSH_6TensorESM_SM_EERKSM_lbbbEUlllE0_EEPmJS6_EEE10hipError_tPvRmT3_T4_T5_T6_T7_T9_mT8_P12ihipStream_tbDpT10_ENKUlT_T0_E_clISt17integral_constantIbLb0EES1C_EEDaS17_S18_EUlS17_E_NS1_11comp_targetILNS1_3genE3ELNS1_11target_archE908ELNS1_3gpuE7ELNS1_3repE0EEENS1_30default_config_static_selectorELNS0_4arch9wavefront6targetE1EEEvT1_.kd
    .uniform_work_group_size: 1
    .uses_dynamic_stack: false
    .vgpr_count:     0
    .vgpr_spill_count: 0
    .wavefront_size: 64
  - .agpr_count:     0
    .args:
      - .offset:         0
        .size:           120
        .value_kind:     by_value
    .group_segment_fixed_size: 0
    .kernarg_segment_align: 8
    .kernarg_segment_size: 120
    .language:       OpenCL C
    .language_version:
      - 2
      - 0
    .max_flat_workgroup_size: 256
    .name:           _ZN7rocprim17ROCPRIM_400000_NS6detail17trampoline_kernelINS0_14default_configENS1_25partition_config_selectorILNS1_17partition_subalgoE8ElNS0_10empty_typeEbEEZZNS1_14partition_implILS5_8ELb0ES3_jPlPS6_PKS6_NS0_5tupleIJS9_S6_EEENSD_IJSA_SA_EEENS0_18inequality_wrapperIZN2at6native12_GLOBAL__N_124unique_dim_cuda_templateIbEESt5tupleIJNSH_6TensorESM_SM_EERKSM_lbbbEUlllE0_EEPmJS6_EEE10hipError_tPvRmT3_T4_T5_T6_T7_T9_mT8_P12ihipStream_tbDpT10_ENKUlT_T0_E_clISt17integral_constantIbLb0EES1C_EEDaS17_S18_EUlS17_E_NS1_11comp_targetILNS1_3genE2ELNS1_11target_archE906ELNS1_3gpuE6ELNS1_3repE0EEENS1_30default_config_static_selectorELNS0_4arch9wavefront6targetE1EEEvT1_
    .private_segment_fixed_size: 0
    .sgpr_count:     6
    .sgpr_spill_count: 0
    .symbol:         _ZN7rocprim17ROCPRIM_400000_NS6detail17trampoline_kernelINS0_14default_configENS1_25partition_config_selectorILNS1_17partition_subalgoE8ElNS0_10empty_typeEbEEZZNS1_14partition_implILS5_8ELb0ES3_jPlPS6_PKS6_NS0_5tupleIJS9_S6_EEENSD_IJSA_SA_EEENS0_18inequality_wrapperIZN2at6native12_GLOBAL__N_124unique_dim_cuda_templateIbEESt5tupleIJNSH_6TensorESM_SM_EERKSM_lbbbEUlllE0_EEPmJS6_EEE10hipError_tPvRmT3_T4_T5_T6_T7_T9_mT8_P12ihipStream_tbDpT10_ENKUlT_T0_E_clISt17integral_constantIbLb0EES1C_EEDaS17_S18_EUlS17_E_NS1_11comp_targetILNS1_3genE2ELNS1_11target_archE906ELNS1_3gpuE6ELNS1_3repE0EEENS1_30default_config_static_selectorELNS0_4arch9wavefront6targetE1EEEvT1_.kd
    .uniform_work_group_size: 1
    .uses_dynamic_stack: false
    .vgpr_count:     0
    .vgpr_spill_count: 0
    .wavefront_size: 64
  - .agpr_count:     0
    .args:
      - .offset:         0
        .size:           120
        .value_kind:     by_value
    .group_segment_fixed_size: 0
    .kernarg_segment_align: 8
    .kernarg_segment_size: 120
    .language:       OpenCL C
    .language_version:
      - 2
      - 0
    .max_flat_workgroup_size: 384
    .name:           _ZN7rocprim17ROCPRIM_400000_NS6detail17trampoline_kernelINS0_14default_configENS1_25partition_config_selectorILNS1_17partition_subalgoE8ElNS0_10empty_typeEbEEZZNS1_14partition_implILS5_8ELb0ES3_jPlPS6_PKS6_NS0_5tupleIJS9_S6_EEENSD_IJSA_SA_EEENS0_18inequality_wrapperIZN2at6native12_GLOBAL__N_124unique_dim_cuda_templateIbEESt5tupleIJNSH_6TensorESM_SM_EERKSM_lbbbEUlllE0_EEPmJS6_EEE10hipError_tPvRmT3_T4_T5_T6_T7_T9_mT8_P12ihipStream_tbDpT10_ENKUlT_T0_E_clISt17integral_constantIbLb0EES1C_EEDaS17_S18_EUlS17_E_NS1_11comp_targetILNS1_3genE10ELNS1_11target_archE1200ELNS1_3gpuE4ELNS1_3repE0EEENS1_30default_config_static_selectorELNS0_4arch9wavefront6targetE1EEEvT1_
    .private_segment_fixed_size: 0
    .sgpr_count:     6
    .sgpr_spill_count: 0
    .symbol:         _ZN7rocprim17ROCPRIM_400000_NS6detail17trampoline_kernelINS0_14default_configENS1_25partition_config_selectorILNS1_17partition_subalgoE8ElNS0_10empty_typeEbEEZZNS1_14partition_implILS5_8ELb0ES3_jPlPS6_PKS6_NS0_5tupleIJS9_S6_EEENSD_IJSA_SA_EEENS0_18inequality_wrapperIZN2at6native12_GLOBAL__N_124unique_dim_cuda_templateIbEESt5tupleIJNSH_6TensorESM_SM_EERKSM_lbbbEUlllE0_EEPmJS6_EEE10hipError_tPvRmT3_T4_T5_T6_T7_T9_mT8_P12ihipStream_tbDpT10_ENKUlT_T0_E_clISt17integral_constantIbLb0EES1C_EEDaS17_S18_EUlS17_E_NS1_11comp_targetILNS1_3genE10ELNS1_11target_archE1200ELNS1_3gpuE4ELNS1_3repE0EEENS1_30default_config_static_selectorELNS0_4arch9wavefront6targetE1EEEvT1_.kd
    .uniform_work_group_size: 1
    .uses_dynamic_stack: false
    .vgpr_count:     0
    .vgpr_spill_count: 0
    .wavefront_size: 64
  - .agpr_count:     0
    .args:
      - .offset:         0
        .size:           120
        .value_kind:     by_value
    .group_segment_fixed_size: 0
    .kernarg_segment_align: 8
    .kernarg_segment_size: 120
    .language:       OpenCL C
    .language_version:
      - 2
      - 0
    .max_flat_workgroup_size: 512
    .name:           _ZN7rocprim17ROCPRIM_400000_NS6detail17trampoline_kernelINS0_14default_configENS1_25partition_config_selectorILNS1_17partition_subalgoE8ElNS0_10empty_typeEbEEZZNS1_14partition_implILS5_8ELb0ES3_jPlPS6_PKS6_NS0_5tupleIJS9_S6_EEENSD_IJSA_SA_EEENS0_18inequality_wrapperIZN2at6native12_GLOBAL__N_124unique_dim_cuda_templateIbEESt5tupleIJNSH_6TensorESM_SM_EERKSM_lbbbEUlllE0_EEPmJS6_EEE10hipError_tPvRmT3_T4_T5_T6_T7_T9_mT8_P12ihipStream_tbDpT10_ENKUlT_T0_E_clISt17integral_constantIbLb0EES1C_EEDaS17_S18_EUlS17_E_NS1_11comp_targetILNS1_3genE9ELNS1_11target_archE1100ELNS1_3gpuE3ELNS1_3repE0EEENS1_30default_config_static_selectorELNS0_4arch9wavefront6targetE1EEEvT1_
    .private_segment_fixed_size: 0
    .sgpr_count:     6
    .sgpr_spill_count: 0
    .symbol:         _ZN7rocprim17ROCPRIM_400000_NS6detail17trampoline_kernelINS0_14default_configENS1_25partition_config_selectorILNS1_17partition_subalgoE8ElNS0_10empty_typeEbEEZZNS1_14partition_implILS5_8ELb0ES3_jPlPS6_PKS6_NS0_5tupleIJS9_S6_EEENSD_IJSA_SA_EEENS0_18inequality_wrapperIZN2at6native12_GLOBAL__N_124unique_dim_cuda_templateIbEESt5tupleIJNSH_6TensorESM_SM_EERKSM_lbbbEUlllE0_EEPmJS6_EEE10hipError_tPvRmT3_T4_T5_T6_T7_T9_mT8_P12ihipStream_tbDpT10_ENKUlT_T0_E_clISt17integral_constantIbLb0EES1C_EEDaS17_S18_EUlS17_E_NS1_11comp_targetILNS1_3genE9ELNS1_11target_archE1100ELNS1_3gpuE3ELNS1_3repE0EEENS1_30default_config_static_selectorELNS0_4arch9wavefront6targetE1EEEvT1_.kd
    .uniform_work_group_size: 1
    .uses_dynamic_stack: false
    .vgpr_count:     0
    .vgpr_spill_count: 0
    .wavefront_size: 64
  - .agpr_count:     0
    .args:
      - .offset:         0
        .size:           120
        .value_kind:     by_value
    .group_segment_fixed_size: 0
    .kernarg_segment_align: 8
    .kernarg_segment_size: 120
    .language:       OpenCL C
    .language_version:
      - 2
      - 0
    .max_flat_workgroup_size: 512
    .name:           _ZN7rocprim17ROCPRIM_400000_NS6detail17trampoline_kernelINS0_14default_configENS1_25partition_config_selectorILNS1_17partition_subalgoE8ElNS0_10empty_typeEbEEZZNS1_14partition_implILS5_8ELb0ES3_jPlPS6_PKS6_NS0_5tupleIJS9_S6_EEENSD_IJSA_SA_EEENS0_18inequality_wrapperIZN2at6native12_GLOBAL__N_124unique_dim_cuda_templateIbEESt5tupleIJNSH_6TensorESM_SM_EERKSM_lbbbEUlllE0_EEPmJS6_EEE10hipError_tPvRmT3_T4_T5_T6_T7_T9_mT8_P12ihipStream_tbDpT10_ENKUlT_T0_E_clISt17integral_constantIbLb0EES1C_EEDaS17_S18_EUlS17_E_NS1_11comp_targetILNS1_3genE8ELNS1_11target_archE1030ELNS1_3gpuE2ELNS1_3repE0EEENS1_30default_config_static_selectorELNS0_4arch9wavefront6targetE1EEEvT1_
    .private_segment_fixed_size: 0
    .sgpr_count:     6
    .sgpr_spill_count: 0
    .symbol:         _ZN7rocprim17ROCPRIM_400000_NS6detail17trampoline_kernelINS0_14default_configENS1_25partition_config_selectorILNS1_17partition_subalgoE8ElNS0_10empty_typeEbEEZZNS1_14partition_implILS5_8ELb0ES3_jPlPS6_PKS6_NS0_5tupleIJS9_S6_EEENSD_IJSA_SA_EEENS0_18inequality_wrapperIZN2at6native12_GLOBAL__N_124unique_dim_cuda_templateIbEESt5tupleIJNSH_6TensorESM_SM_EERKSM_lbbbEUlllE0_EEPmJS6_EEE10hipError_tPvRmT3_T4_T5_T6_T7_T9_mT8_P12ihipStream_tbDpT10_ENKUlT_T0_E_clISt17integral_constantIbLb0EES1C_EEDaS17_S18_EUlS17_E_NS1_11comp_targetILNS1_3genE8ELNS1_11target_archE1030ELNS1_3gpuE2ELNS1_3repE0EEENS1_30default_config_static_selectorELNS0_4arch9wavefront6targetE1EEEvT1_.kd
    .uniform_work_group_size: 1
    .uses_dynamic_stack: false
    .vgpr_count:     0
    .vgpr_spill_count: 0
    .wavefront_size: 64
  - .agpr_count:     0
    .args:
      - .offset:         0
        .size:           136
        .value_kind:     by_value
    .group_segment_fixed_size: 0
    .kernarg_segment_align: 8
    .kernarg_segment_size: 136
    .language:       OpenCL C
    .language_version:
      - 2
      - 0
    .max_flat_workgroup_size: 512
    .name:           _ZN7rocprim17ROCPRIM_400000_NS6detail17trampoline_kernelINS0_14default_configENS1_25partition_config_selectorILNS1_17partition_subalgoE8ElNS0_10empty_typeEbEEZZNS1_14partition_implILS5_8ELb0ES3_jPlPS6_PKS6_NS0_5tupleIJS9_S6_EEENSD_IJSA_SA_EEENS0_18inequality_wrapperIZN2at6native12_GLOBAL__N_124unique_dim_cuda_templateIbEESt5tupleIJNSH_6TensorESM_SM_EERKSM_lbbbEUlllE0_EEPmJS6_EEE10hipError_tPvRmT3_T4_T5_T6_T7_T9_mT8_P12ihipStream_tbDpT10_ENKUlT_T0_E_clISt17integral_constantIbLb1EES1C_EEDaS17_S18_EUlS17_E_NS1_11comp_targetILNS1_3genE0ELNS1_11target_archE4294967295ELNS1_3gpuE0ELNS1_3repE0EEENS1_30default_config_static_selectorELNS0_4arch9wavefront6targetE1EEEvT1_
    .private_segment_fixed_size: 0
    .sgpr_count:     6
    .sgpr_spill_count: 0
    .symbol:         _ZN7rocprim17ROCPRIM_400000_NS6detail17trampoline_kernelINS0_14default_configENS1_25partition_config_selectorILNS1_17partition_subalgoE8ElNS0_10empty_typeEbEEZZNS1_14partition_implILS5_8ELb0ES3_jPlPS6_PKS6_NS0_5tupleIJS9_S6_EEENSD_IJSA_SA_EEENS0_18inequality_wrapperIZN2at6native12_GLOBAL__N_124unique_dim_cuda_templateIbEESt5tupleIJNSH_6TensorESM_SM_EERKSM_lbbbEUlllE0_EEPmJS6_EEE10hipError_tPvRmT3_T4_T5_T6_T7_T9_mT8_P12ihipStream_tbDpT10_ENKUlT_T0_E_clISt17integral_constantIbLb1EES1C_EEDaS17_S18_EUlS17_E_NS1_11comp_targetILNS1_3genE0ELNS1_11target_archE4294967295ELNS1_3gpuE0ELNS1_3repE0EEENS1_30default_config_static_selectorELNS0_4arch9wavefront6targetE1EEEvT1_.kd
    .uniform_work_group_size: 1
    .uses_dynamic_stack: false
    .vgpr_count:     0
    .vgpr_spill_count: 0
    .wavefront_size: 64
  - .agpr_count:     0
    .args:
      - .offset:         0
        .size:           136
        .value_kind:     by_value
    .group_segment_fixed_size: 0
    .kernarg_segment_align: 8
    .kernarg_segment_size: 136
    .language:       OpenCL C
    .language_version:
      - 2
      - 0
    .max_flat_workgroup_size: 512
    .name:           _ZN7rocprim17ROCPRIM_400000_NS6detail17trampoline_kernelINS0_14default_configENS1_25partition_config_selectorILNS1_17partition_subalgoE8ElNS0_10empty_typeEbEEZZNS1_14partition_implILS5_8ELb0ES3_jPlPS6_PKS6_NS0_5tupleIJS9_S6_EEENSD_IJSA_SA_EEENS0_18inequality_wrapperIZN2at6native12_GLOBAL__N_124unique_dim_cuda_templateIbEESt5tupleIJNSH_6TensorESM_SM_EERKSM_lbbbEUlllE0_EEPmJS6_EEE10hipError_tPvRmT3_T4_T5_T6_T7_T9_mT8_P12ihipStream_tbDpT10_ENKUlT_T0_E_clISt17integral_constantIbLb1EES1C_EEDaS17_S18_EUlS17_E_NS1_11comp_targetILNS1_3genE5ELNS1_11target_archE942ELNS1_3gpuE9ELNS1_3repE0EEENS1_30default_config_static_selectorELNS0_4arch9wavefront6targetE1EEEvT1_
    .private_segment_fixed_size: 0
    .sgpr_count:     6
    .sgpr_spill_count: 0
    .symbol:         _ZN7rocprim17ROCPRIM_400000_NS6detail17trampoline_kernelINS0_14default_configENS1_25partition_config_selectorILNS1_17partition_subalgoE8ElNS0_10empty_typeEbEEZZNS1_14partition_implILS5_8ELb0ES3_jPlPS6_PKS6_NS0_5tupleIJS9_S6_EEENSD_IJSA_SA_EEENS0_18inequality_wrapperIZN2at6native12_GLOBAL__N_124unique_dim_cuda_templateIbEESt5tupleIJNSH_6TensorESM_SM_EERKSM_lbbbEUlllE0_EEPmJS6_EEE10hipError_tPvRmT3_T4_T5_T6_T7_T9_mT8_P12ihipStream_tbDpT10_ENKUlT_T0_E_clISt17integral_constantIbLb1EES1C_EEDaS17_S18_EUlS17_E_NS1_11comp_targetILNS1_3genE5ELNS1_11target_archE942ELNS1_3gpuE9ELNS1_3repE0EEENS1_30default_config_static_selectorELNS0_4arch9wavefront6targetE1EEEvT1_.kd
    .uniform_work_group_size: 1
    .uses_dynamic_stack: false
    .vgpr_count:     0
    .vgpr_spill_count: 0
    .wavefront_size: 64
  - .agpr_count:     0
    .args:
      - .offset:         0
        .size:           136
        .value_kind:     by_value
    .group_segment_fixed_size: 0
    .kernarg_segment_align: 8
    .kernarg_segment_size: 136
    .language:       OpenCL C
    .language_version:
      - 2
      - 0
    .max_flat_workgroup_size: 256
    .name:           _ZN7rocprim17ROCPRIM_400000_NS6detail17trampoline_kernelINS0_14default_configENS1_25partition_config_selectorILNS1_17partition_subalgoE8ElNS0_10empty_typeEbEEZZNS1_14partition_implILS5_8ELb0ES3_jPlPS6_PKS6_NS0_5tupleIJS9_S6_EEENSD_IJSA_SA_EEENS0_18inequality_wrapperIZN2at6native12_GLOBAL__N_124unique_dim_cuda_templateIbEESt5tupleIJNSH_6TensorESM_SM_EERKSM_lbbbEUlllE0_EEPmJS6_EEE10hipError_tPvRmT3_T4_T5_T6_T7_T9_mT8_P12ihipStream_tbDpT10_ENKUlT_T0_E_clISt17integral_constantIbLb1EES1C_EEDaS17_S18_EUlS17_E_NS1_11comp_targetILNS1_3genE4ELNS1_11target_archE910ELNS1_3gpuE8ELNS1_3repE0EEENS1_30default_config_static_selectorELNS0_4arch9wavefront6targetE1EEEvT1_
    .private_segment_fixed_size: 0
    .sgpr_count:     6
    .sgpr_spill_count: 0
    .symbol:         _ZN7rocprim17ROCPRIM_400000_NS6detail17trampoline_kernelINS0_14default_configENS1_25partition_config_selectorILNS1_17partition_subalgoE8ElNS0_10empty_typeEbEEZZNS1_14partition_implILS5_8ELb0ES3_jPlPS6_PKS6_NS0_5tupleIJS9_S6_EEENSD_IJSA_SA_EEENS0_18inequality_wrapperIZN2at6native12_GLOBAL__N_124unique_dim_cuda_templateIbEESt5tupleIJNSH_6TensorESM_SM_EERKSM_lbbbEUlllE0_EEPmJS6_EEE10hipError_tPvRmT3_T4_T5_T6_T7_T9_mT8_P12ihipStream_tbDpT10_ENKUlT_T0_E_clISt17integral_constantIbLb1EES1C_EEDaS17_S18_EUlS17_E_NS1_11comp_targetILNS1_3genE4ELNS1_11target_archE910ELNS1_3gpuE8ELNS1_3repE0EEENS1_30default_config_static_selectorELNS0_4arch9wavefront6targetE1EEEvT1_.kd
    .uniform_work_group_size: 1
    .uses_dynamic_stack: false
    .vgpr_count:     0
    .vgpr_spill_count: 0
    .wavefront_size: 64
  - .agpr_count:     0
    .args:
      - .offset:         0
        .size:           136
        .value_kind:     by_value
    .group_segment_fixed_size: 0
    .kernarg_segment_align: 8
    .kernarg_segment_size: 136
    .language:       OpenCL C
    .language_version:
      - 2
      - 0
    .max_flat_workgroup_size: 512
    .name:           _ZN7rocprim17ROCPRIM_400000_NS6detail17trampoline_kernelINS0_14default_configENS1_25partition_config_selectorILNS1_17partition_subalgoE8ElNS0_10empty_typeEbEEZZNS1_14partition_implILS5_8ELb0ES3_jPlPS6_PKS6_NS0_5tupleIJS9_S6_EEENSD_IJSA_SA_EEENS0_18inequality_wrapperIZN2at6native12_GLOBAL__N_124unique_dim_cuda_templateIbEESt5tupleIJNSH_6TensorESM_SM_EERKSM_lbbbEUlllE0_EEPmJS6_EEE10hipError_tPvRmT3_T4_T5_T6_T7_T9_mT8_P12ihipStream_tbDpT10_ENKUlT_T0_E_clISt17integral_constantIbLb1EES1C_EEDaS17_S18_EUlS17_E_NS1_11comp_targetILNS1_3genE3ELNS1_11target_archE908ELNS1_3gpuE7ELNS1_3repE0EEENS1_30default_config_static_selectorELNS0_4arch9wavefront6targetE1EEEvT1_
    .private_segment_fixed_size: 0
    .sgpr_count:     6
    .sgpr_spill_count: 0
    .symbol:         _ZN7rocprim17ROCPRIM_400000_NS6detail17trampoline_kernelINS0_14default_configENS1_25partition_config_selectorILNS1_17partition_subalgoE8ElNS0_10empty_typeEbEEZZNS1_14partition_implILS5_8ELb0ES3_jPlPS6_PKS6_NS0_5tupleIJS9_S6_EEENSD_IJSA_SA_EEENS0_18inequality_wrapperIZN2at6native12_GLOBAL__N_124unique_dim_cuda_templateIbEESt5tupleIJNSH_6TensorESM_SM_EERKSM_lbbbEUlllE0_EEPmJS6_EEE10hipError_tPvRmT3_T4_T5_T6_T7_T9_mT8_P12ihipStream_tbDpT10_ENKUlT_T0_E_clISt17integral_constantIbLb1EES1C_EEDaS17_S18_EUlS17_E_NS1_11comp_targetILNS1_3genE3ELNS1_11target_archE908ELNS1_3gpuE7ELNS1_3repE0EEENS1_30default_config_static_selectorELNS0_4arch9wavefront6targetE1EEEvT1_.kd
    .uniform_work_group_size: 1
    .uses_dynamic_stack: false
    .vgpr_count:     0
    .vgpr_spill_count: 0
    .wavefront_size: 64
  - .agpr_count:     0
    .args:
      - .offset:         0
        .size:           136
        .value_kind:     by_value
    .group_segment_fixed_size: 0
    .kernarg_segment_align: 8
    .kernarg_segment_size: 136
    .language:       OpenCL C
    .language_version:
      - 2
      - 0
    .max_flat_workgroup_size: 256
    .name:           _ZN7rocprim17ROCPRIM_400000_NS6detail17trampoline_kernelINS0_14default_configENS1_25partition_config_selectorILNS1_17partition_subalgoE8ElNS0_10empty_typeEbEEZZNS1_14partition_implILS5_8ELb0ES3_jPlPS6_PKS6_NS0_5tupleIJS9_S6_EEENSD_IJSA_SA_EEENS0_18inequality_wrapperIZN2at6native12_GLOBAL__N_124unique_dim_cuda_templateIbEESt5tupleIJNSH_6TensorESM_SM_EERKSM_lbbbEUlllE0_EEPmJS6_EEE10hipError_tPvRmT3_T4_T5_T6_T7_T9_mT8_P12ihipStream_tbDpT10_ENKUlT_T0_E_clISt17integral_constantIbLb1EES1C_EEDaS17_S18_EUlS17_E_NS1_11comp_targetILNS1_3genE2ELNS1_11target_archE906ELNS1_3gpuE6ELNS1_3repE0EEENS1_30default_config_static_selectorELNS0_4arch9wavefront6targetE1EEEvT1_
    .private_segment_fixed_size: 0
    .sgpr_count:     6
    .sgpr_spill_count: 0
    .symbol:         _ZN7rocprim17ROCPRIM_400000_NS6detail17trampoline_kernelINS0_14default_configENS1_25partition_config_selectorILNS1_17partition_subalgoE8ElNS0_10empty_typeEbEEZZNS1_14partition_implILS5_8ELb0ES3_jPlPS6_PKS6_NS0_5tupleIJS9_S6_EEENSD_IJSA_SA_EEENS0_18inequality_wrapperIZN2at6native12_GLOBAL__N_124unique_dim_cuda_templateIbEESt5tupleIJNSH_6TensorESM_SM_EERKSM_lbbbEUlllE0_EEPmJS6_EEE10hipError_tPvRmT3_T4_T5_T6_T7_T9_mT8_P12ihipStream_tbDpT10_ENKUlT_T0_E_clISt17integral_constantIbLb1EES1C_EEDaS17_S18_EUlS17_E_NS1_11comp_targetILNS1_3genE2ELNS1_11target_archE906ELNS1_3gpuE6ELNS1_3repE0EEENS1_30default_config_static_selectorELNS0_4arch9wavefront6targetE1EEEvT1_.kd
    .uniform_work_group_size: 1
    .uses_dynamic_stack: false
    .vgpr_count:     0
    .vgpr_spill_count: 0
    .wavefront_size: 64
  - .agpr_count:     0
    .args:
      - .offset:         0
        .size:           136
        .value_kind:     by_value
    .group_segment_fixed_size: 0
    .kernarg_segment_align: 8
    .kernarg_segment_size: 136
    .language:       OpenCL C
    .language_version:
      - 2
      - 0
    .max_flat_workgroup_size: 384
    .name:           _ZN7rocprim17ROCPRIM_400000_NS6detail17trampoline_kernelINS0_14default_configENS1_25partition_config_selectorILNS1_17partition_subalgoE8ElNS0_10empty_typeEbEEZZNS1_14partition_implILS5_8ELb0ES3_jPlPS6_PKS6_NS0_5tupleIJS9_S6_EEENSD_IJSA_SA_EEENS0_18inequality_wrapperIZN2at6native12_GLOBAL__N_124unique_dim_cuda_templateIbEESt5tupleIJNSH_6TensorESM_SM_EERKSM_lbbbEUlllE0_EEPmJS6_EEE10hipError_tPvRmT3_T4_T5_T6_T7_T9_mT8_P12ihipStream_tbDpT10_ENKUlT_T0_E_clISt17integral_constantIbLb1EES1C_EEDaS17_S18_EUlS17_E_NS1_11comp_targetILNS1_3genE10ELNS1_11target_archE1200ELNS1_3gpuE4ELNS1_3repE0EEENS1_30default_config_static_selectorELNS0_4arch9wavefront6targetE1EEEvT1_
    .private_segment_fixed_size: 0
    .sgpr_count:     6
    .sgpr_spill_count: 0
    .symbol:         _ZN7rocprim17ROCPRIM_400000_NS6detail17trampoline_kernelINS0_14default_configENS1_25partition_config_selectorILNS1_17partition_subalgoE8ElNS0_10empty_typeEbEEZZNS1_14partition_implILS5_8ELb0ES3_jPlPS6_PKS6_NS0_5tupleIJS9_S6_EEENSD_IJSA_SA_EEENS0_18inequality_wrapperIZN2at6native12_GLOBAL__N_124unique_dim_cuda_templateIbEESt5tupleIJNSH_6TensorESM_SM_EERKSM_lbbbEUlllE0_EEPmJS6_EEE10hipError_tPvRmT3_T4_T5_T6_T7_T9_mT8_P12ihipStream_tbDpT10_ENKUlT_T0_E_clISt17integral_constantIbLb1EES1C_EEDaS17_S18_EUlS17_E_NS1_11comp_targetILNS1_3genE10ELNS1_11target_archE1200ELNS1_3gpuE4ELNS1_3repE0EEENS1_30default_config_static_selectorELNS0_4arch9wavefront6targetE1EEEvT1_.kd
    .uniform_work_group_size: 1
    .uses_dynamic_stack: false
    .vgpr_count:     0
    .vgpr_spill_count: 0
    .wavefront_size: 64
  - .agpr_count:     0
    .args:
      - .offset:         0
        .size:           136
        .value_kind:     by_value
    .group_segment_fixed_size: 0
    .kernarg_segment_align: 8
    .kernarg_segment_size: 136
    .language:       OpenCL C
    .language_version:
      - 2
      - 0
    .max_flat_workgroup_size: 512
    .name:           _ZN7rocprim17ROCPRIM_400000_NS6detail17trampoline_kernelINS0_14default_configENS1_25partition_config_selectorILNS1_17partition_subalgoE8ElNS0_10empty_typeEbEEZZNS1_14partition_implILS5_8ELb0ES3_jPlPS6_PKS6_NS0_5tupleIJS9_S6_EEENSD_IJSA_SA_EEENS0_18inequality_wrapperIZN2at6native12_GLOBAL__N_124unique_dim_cuda_templateIbEESt5tupleIJNSH_6TensorESM_SM_EERKSM_lbbbEUlllE0_EEPmJS6_EEE10hipError_tPvRmT3_T4_T5_T6_T7_T9_mT8_P12ihipStream_tbDpT10_ENKUlT_T0_E_clISt17integral_constantIbLb1EES1C_EEDaS17_S18_EUlS17_E_NS1_11comp_targetILNS1_3genE9ELNS1_11target_archE1100ELNS1_3gpuE3ELNS1_3repE0EEENS1_30default_config_static_selectorELNS0_4arch9wavefront6targetE1EEEvT1_
    .private_segment_fixed_size: 0
    .sgpr_count:     6
    .sgpr_spill_count: 0
    .symbol:         _ZN7rocprim17ROCPRIM_400000_NS6detail17trampoline_kernelINS0_14default_configENS1_25partition_config_selectorILNS1_17partition_subalgoE8ElNS0_10empty_typeEbEEZZNS1_14partition_implILS5_8ELb0ES3_jPlPS6_PKS6_NS0_5tupleIJS9_S6_EEENSD_IJSA_SA_EEENS0_18inequality_wrapperIZN2at6native12_GLOBAL__N_124unique_dim_cuda_templateIbEESt5tupleIJNSH_6TensorESM_SM_EERKSM_lbbbEUlllE0_EEPmJS6_EEE10hipError_tPvRmT3_T4_T5_T6_T7_T9_mT8_P12ihipStream_tbDpT10_ENKUlT_T0_E_clISt17integral_constantIbLb1EES1C_EEDaS17_S18_EUlS17_E_NS1_11comp_targetILNS1_3genE9ELNS1_11target_archE1100ELNS1_3gpuE3ELNS1_3repE0EEENS1_30default_config_static_selectorELNS0_4arch9wavefront6targetE1EEEvT1_.kd
    .uniform_work_group_size: 1
    .uses_dynamic_stack: false
    .vgpr_count:     0
    .vgpr_spill_count: 0
    .wavefront_size: 64
  - .agpr_count:     0
    .args:
      - .offset:         0
        .size:           136
        .value_kind:     by_value
    .group_segment_fixed_size: 0
    .kernarg_segment_align: 8
    .kernarg_segment_size: 136
    .language:       OpenCL C
    .language_version:
      - 2
      - 0
    .max_flat_workgroup_size: 512
    .name:           _ZN7rocprim17ROCPRIM_400000_NS6detail17trampoline_kernelINS0_14default_configENS1_25partition_config_selectorILNS1_17partition_subalgoE8ElNS0_10empty_typeEbEEZZNS1_14partition_implILS5_8ELb0ES3_jPlPS6_PKS6_NS0_5tupleIJS9_S6_EEENSD_IJSA_SA_EEENS0_18inequality_wrapperIZN2at6native12_GLOBAL__N_124unique_dim_cuda_templateIbEESt5tupleIJNSH_6TensorESM_SM_EERKSM_lbbbEUlllE0_EEPmJS6_EEE10hipError_tPvRmT3_T4_T5_T6_T7_T9_mT8_P12ihipStream_tbDpT10_ENKUlT_T0_E_clISt17integral_constantIbLb1EES1C_EEDaS17_S18_EUlS17_E_NS1_11comp_targetILNS1_3genE8ELNS1_11target_archE1030ELNS1_3gpuE2ELNS1_3repE0EEENS1_30default_config_static_selectorELNS0_4arch9wavefront6targetE1EEEvT1_
    .private_segment_fixed_size: 0
    .sgpr_count:     6
    .sgpr_spill_count: 0
    .symbol:         _ZN7rocprim17ROCPRIM_400000_NS6detail17trampoline_kernelINS0_14default_configENS1_25partition_config_selectorILNS1_17partition_subalgoE8ElNS0_10empty_typeEbEEZZNS1_14partition_implILS5_8ELb0ES3_jPlPS6_PKS6_NS0_5tupleIJS9_S6_EEENSD_IJSA_SA_EEENS0_18inequality_wrapperIZN2at6native12_GLOBAL__N_124unique_dim_cuda_templateIbEESt5tupleIJNSH_6TensorESM_SM_EERKSM_lbbbEUlllE0_EEPmJS6_EEE10hipError_tPvRmT3_T4_T5_T6_T7_T9_mT8_P12ihipStream_tbDpT10_ENKUlT_T0_E_clISt17integral_constantIbLb1EES1C_EEDaS17_S18_EUlS17_E_NS1_11comp_targetILNS1_3genE8ELNS1_11target_archE1030ELNS1_3gpuE2ELNS1_3repE0EEENS1_30default_config_static_selectorELNS0_4arch9wavefront6targetE1EEEvT1_.kd
    .uniform_work_group_size: 1
    .uses_dynamic_stack: false
    .vgpr_count:     0
    .vgpr_spill_count: 0
    .wavefront_size: 64
  - .agpr_count:     0
    .args:
      - .offset:         0
        .size:           120
        .value_kind:     by_value
    .group_segment_fixed_size: 0
    .kernarg_segment_align: 8
    .kernarg_segment_size: 120
    .language:       OpenCL C
    .language_version:
      - 2
      - 0
    .max_flat_workgroup_size: 512
    .name:           _ZN7rocprim17ROCPRIM_400000_NS6detail17trampoline_kernelINS0_14default_configENS1_25partition_config_selectorILNS1_17partition_subalgoE8ElNS0_10empty_typeEbEEZZNS1_14partition_implILS5_8ELb0ES3_jPlPS6_PKS6_NS0_5tupleIJS9_S6_EEENSD_IJSA_SA_EEENS0_18inequality_wrapperIZN2at6native12_GLOBAL__N_124unique_dim_cuda_templateIbEESt5tupleIJNSH_6TensorESM_SM_EERKSM_lbbbEUlllE0_EEPmJS6_EEE10hipError_tPvRmT3_T4_T5_T6_T7_T9_mT8_P12ihipStream_tbDpT10_ENKUlT_T0_E_clISt17integral_constantIbLb1EES1B_IbLb0EEEEDaS17_S18_EUlS17_E_NS1_11comp_targetILNS1_3genE0ELNS1_11target_archE4294967295ELNS1_3gpuE0ELNS1_3repE0EEENS1_30default_config_static_selectorELNS0_4arch9wavefront6targetE1EEEvT1_
    .private_segment_fixed_size: 0
    .sgpr_count:     6
    .sgpr_spill_count: 0
    .symbol:         _ZN7rocprim17ROCPRIM_400000_NS6detail17trampoline_kernelINS0_14default_configENS1_25partition_config_selectorILNS1_17partition_subalgoE8ElNS0_10empty_typeEbEEZZNS1_14partition_implILS5_8ELb0ES3_jPlPS6_PKS6_NS0_5tupleIJS9_S6_EEENSD_IJSA_SA_EEENS0_18inequality_wrapperIZN2at6native12_GLOBAL__N_124unique_dim_cuda_templateIbEESt5tupleIJNSH_6TensorESM_SM_EERKSM_lbbbEUlllE0_EEPmJS6_EEE10hipError_tPvRmT3_T4_T5_T6_T7_T9_mT8_P12ihipStream_tbDpT10_ENKUlT_T0_E_clISt17integral_constantIbLb1EES1B_IbLb0EEEEDaS17_S18_EUlS17_E_NS1_11comp_targetILNS1_3genE0ELNS1_11target_archE4294967295ELNS1_3gpuE0ELNS1_3repE0EEENS1_30default_config_static_selectorELNS0_4arch9wavefront6targetE1EEEvT1_.kd
    .uniform_work_group_size: 1
    .uses_dynamic_stack: false
    .vgpr_count:     0
    .vgpr_spill_count: 0
    .wavefront_size: 64
  - .agpr_count:     0
    .args:
      - .offset:         0
        .size:           120
        .value_kind:     by_value
    .group_segment_fixed_size: 0
    .kernarg_segment_align: 8
    .kernarg_segment_size: 120
    .language:       OpenCL C
    .language_version:
      - 2
      - 0
    .max_flat_workgroup_size: 512
    .name:           _ZN7rocprim17ROCPRIM_400000_NS6detail17trampoline_kernelINS0_14default_configENS1_25partition_config_selectorILNS1_17partition_subalgoE8ElNS0_10empty_typeEbEEZZNS1_14partition_implILS5_8ELb0ES3_jPlPS6_PKS6_NS0_5tupleIJS9_S6_EEENSD_IJSA_SA_EEENS0_18inequality_wrapperIZN2at6native12_GLOBAL__N_124unique_dim_cuda_templateIbEESt5tupleIJNSH_6TensorESM_SM_EERKSM_lbbbEUlllE0_EEPmJS6_EEE10hipError_tPvRmT3_T4_T5_T6_T7_T9_mT8_P12ihipStream_tbDpT10_ENKUlT_T0_E_clISt17integral_constantIbLb1EES1B_IbLb0EEEEDaS17_S18_EUlS17_E_NS1_11comp_targetILNS1_3genE5ELNS1_11target_archE942ELNS1_3gpuE9ELNS1_3repE0EEENS1_30default_config_static_selectorELNS0_4arch9wavefront6targetE1EEEvT1_
    .private_segment_fixed_size: 0
    .sgpr_count:     6
    .sgpr_spill_count: 0
    .symbol:         _ZN7rocprim17ROCPRIM_400000_NS6detail17trampoline_kernelINS0_14default_configENS1_25partition_config_selectorILNS1_17partition_subalgoE8ElNS0_10empty_typeEbEEZZNS1_14partition_implILS5_8ELb0ES3_jPlPS6_PKS6_NS0_5tupleIJS9_S6_EEENSD_IJSA_SA_EEENS0_18inequality_wrapperIZN2at6native12_GLOBAL__N_124unique_dim_cuda_templateIbEESt5tupleIJNSH_6TensorESM_SM_EERKSM_lbbbEUlllE0_EEPmJS6_EEE10hipError_tPvRmT3_T4_T5_T6_T7_T9_mT8_P12ihipStream_tbDpT10_ENKUlT_T0_E_clISt17integral_constantIbLb1EES1B_IbLb0EEEEDaS17_S18_EUlS17_E_NS1_11comp_targetILNS1_3genE5ELNS1_11target_archE942ELNS1_3gpuE9ELNS1_3repE0EEENS1_30default_config_static_selectorELNS0_4arch9wavefront6targetE1EEEvT1_.kd
    .uniform_work_group_size: 1
    .uses_dynamic_stack: false
    .vgpr_count:     0
    .vgpr_spill_count: 0
    .wavefront_size: 64
  - .agpr_count:     0
    .args:
      - .offset:         0
        .size:           120
        .value_kind:     by_value
    .group_segment_fixed_size: 0
    .kernarg_segment_align: 8
    .kernarg_segment_size: 120
    .language:       OpenCL C
    .language_version:
      - 2
      - 0
    .max_flat_workgroup_size: 256
    .name:           _ZN7rocprim17ROCPRIM_400000_NS6detail17trampoline_kernelINS0_14default_configENS1_25partition_config_selectorILNS1_17partition_subalgoE8ElNS0_10empty_typeEbEEZZNS1_14partition_implILS5_8ELb0ES3_jPlPS6_PKS6_NS0_5tupleIJS9_S6_EEENSD_IJSA_SA_EEENS0_18inequality_wrapperIZN2at6native12_GLOBAL__N_124unique_dim_cuda_templateIbEESt5tupleIJNSH_6TensorESM_SM_EERKSM_lbbbEUlllE0_EEPmJS6_EEE10hipError_tPvRmT3_T4_T5_T6_T7_T9_mT8_P12ihipStream_tbDpT10_ENKUlT_T0_E_clISt17integral_constantIbLb1EES1B_IbLb0EEEEDaS17_S18_EUlS17_E_NS1_11comp_targetILNS1_3genE4ELNS1_11target_archE910ELNS1_3gpuE8ELNS1_3repE0EEENS1_30default_config_static_selectorELNS0_4arch9wavefront6targetE1EEEvT1_
    .private_segment_fixed_size: 0
    .sgpr_count:     6
    .sgpr_spill_count: 0
    .symbol:         _ZN7rocprim17ROCPRIM_400000_NS6detail17trampoline_kernelINS0_14default_configENS1_25partition_config_selectorILNS1_17partition_subalgoE8ElNS0_10empty_typeEbEEZZNS1_14partition_implILS5_8ELb0ES3_jPlPS6_PKS6_NS0_5tupleIJS9_S6_EEENSD_IJSA_SA_EEENS0_18inequality_wrapperIZN2at6native12_GLOBAL__N_124unique_dim_cuda_templateIbEESt5tupleIJNSH_6TensorESM_SM_EERKSM_lbbbEUlllE0_EEPmJS6_EEE10hipError_tPvRmT3_T4_T5_T6_T7_T9_mT8_P12ihipStream_tbDpT10_ENKUlT_T0_E_clISt17integral_constantIbLb1EES1B_IbLb0EEEEDaS17_S18_EUlS17_E_NS1_11comp_targetILNS1_3genE4ELNS1_11target_archE910ELNS1_3gpuE8ELNS1_3repE0EEENS1_30default_config_static_selectorELNS0_4arch9wavefront6targetE1EEEvT1_.kd
    .uniform_work_group_size: 1
    .uses_dynamic_stack: false
    .vgpr_count:     0
    .vgpr_spill_count: 0
    .wavefront_size: 64
  - .agpr_count:     0
    .args:
      - .offset:         0
        .size:           120
        .value_kind:     by_value
    .group_segment_fixed_size: 0
    .kernarg_segment_align: 8
    .kernarg_segment_size: 120
    .language:       OpenCL C
    .language_version:
      - 2
      - 0
    .max_flat_workgroup_size: 512
    .name:           _ZN7rocprim17ROCPRIM_400000_NS6detail17trampoline_kernelINS0_14default_configENS1_25partition_config_selectorILNS1_17partition_subalgoE8ElNS0_10empty_typeEbEEZZNS1_14partition_implILS5_8ELb0ES3_jPlPS6_PKS6_NS0_5tupleIJS9_S6_EEENSD_IJSA_SA_EEENS0_18inequality_wrapperIZN2at6native12_GLOBAL__N_124unique_dim_cuda_templateIbEESt5tupleIJNSH_6TensorESM_SM_EERKSM_lbbbEUlllE0_EEPmJS6_EEE10hipError_tPvRmT3_T4_T5_T6_T7_T9_mT8_P12ihipStream_tbDpT10_ENKUlT_T0_E_clISt17integral_constantIbLb1EES1B_IbLb0EEEEDaS17_S18_EUlS17_E_NS1_11comp_targetILNS1_3genE3ELNS1_11target_archE908ELNS1_3gpuE7ELNS1_3repE0EEENS1_30default_config_static_selectorELNS0_4arch9wavefront6targetE1EEEvT1_
    .private_segment_fixed_size: 0
    .sgpr_count:     6
    .sgpr_spill_count: 0
    .symbol:         _ZN7rocprim17ROCPRIM_400000_NS6detail17trampoline_kernelINS0_14default_configENS1_25partition_config_selectorILNS1_17partition_subalgoE8ElNS0_10empty_typeEbEEZZNS1_14partition_implILS5_8ELb0ES3_jPlPS6_PKS6_NS0_5tupleIJS9_S6_EEENSD_IJSA_SA_EEENS0_18inequality_wrapperIZN2at6native12_GLOBAL__N_124unique_dim_cuda_templateIbEESt5tupleIJNSH_6TensorESM_SM_EERKSM_lbbbEUlllE0_EEPmJS6_EEE10hipError_tPvRmT3_T4_T5_T6_T7_T9_mT8_P12ihipStream_tbDpT10_ENKUlT_T0_E_clISt17integral_constantIbLb1EES1B_IbLb0EEEEDaS17_S18_EUlS17_E_NS1_11comp_targetILNS1_3genE3ELNS1_11target_archE908ELNS1_3gpuE7ELNS1_3repE0EEENS1_30default_config_static_selectorELNS0_4arch9wavefront6targetE1EEEvT1_.kd
    .uniform_work_group_size: 1
    .uses_dynamic_stack: false
    .vgpr_count:     0
    .vgpr_spill_count: 0
    .wavefront_size: 64
  - .agpr_count:     0
    .args:
      - .offset:         0
        .size:           120
        .value_kind:     by_value
    .group_segment_fixed_size: 0
    .kernarg_segment_align: 8
    .kernarg_segment_size: 120
    .language:       OpenCL C
    .language_version:
      - 2
      - 0
    .max_flat_workgroup_size: 256
    .name:           _ZN7rocprim17ROCPRIM_400000_NS6detail17trampoline_kernelINS0_14default_configENS1_25partition_config_selectorILNS1_17partition_subalgoE8ElNS0_10empty_typeEbEEZZNS1_14partition_implILS5_8ELb0ES3_jPlPS6_PKS6_NS0_5tupleIJS9_S6_EEENSD_IJSA_SA_EEENS0_18inequality_wrapperIZN2at6native12_GLOBAL__N_124unique_dim_cuda_templateIbEESt5tupleIJNSH_6TensorESM_SM_EERKSM_lbbbEUlllE0_EEPmJS6_EEE10hipError_tPvRmT3_T4_T5_T6_T7_T9_mT8_P12ihipStream_tbDpT10_ENKUlT_T0_E_clISt17integral_constantIbLb1EES1B_IbLb0EEEEDaS17_S18_EUlS17_E_NS1_11comp_targetILNS1_3genE2ELNS1_11target_archE906ELNS1_3gpuE6ELNS1_3repE0EEENS1_30default_config_static_selectorELNS0_4arch9wavefront6targetE1EEEvT1_
    .private_segment_fixed_size: 0
    .sgpr_count:     6
    .sgpr_spill_count: 0
    .symbol:         _ZN7rocprim17ROCPRIM_400000_NS6detail17trampoline_kernelINS0_14default_configENS1_25partition_config_selectorILNS1_17partition_subalgoE8ElNS0_10empty_typeEbEEZZNS1_14partition_implILS5_8ELb0ES3_jPlPS6_PKS6_NS0_5tupleIJS9_S6_EEENSD_IJSA_SA_EEENS0_18inequality_wrapperIZN2at6native12_GLOBAL__N_124unique_dim_cuda_templateIbEESt5tupleIJNSH_6TensorESM_SM_EERKSM_lbbbEUlllE0_EEPmJS6_EEE10hipError_tPvRmT3_T4_T5_T6_T7_T9_mT8_P12ihipStream_tbDpT10_ENKUlT_T0_E_clISt17integral_constantIbLb1EES1B_IbLb0EEEEDaS17_S18_EUlS17_E_NS1_11comp_targetILNS1_3genE2ELNS1_11target_archE906ELNS1_3gpuE6ELNS1_3repE0EEENS1_30default_config_static_selectorELNS0_4arch9wavefront6targetE1EEEvT1_.kd
    .uniform_work_group_size: 1
    .uses_dynamic_stack: false
    .vgpr_count:     0
    .vgpr_spill_count: 0
    .wavefront_size: 64
  - .agpr_count:     0
    .args:
      - .offset:         0
        .size:           120
        .value_kind:     by_value
    .group_segment_fixed_size: 0
    .kernarg_segment_align: 8
    .kernarg_segment_size: 120
    .language:       OpenCL C
    .language_version:
      - 2
      - 0
    .max_flat_workgroup_size: 384
    .name:           _ZN7rocprim17ROCPRIM_400000_NS6detail17trampoline_kernelINS0_14default_configENS1_25partition_config_selectorILNS1_17partition_subalgoE8ElNS0_10empty_typeEbEEZZNS1_14partition_implILS5_8ELb0ES3_jPlPS6_PKS6_NS0_5tupleIJS9_S6_EEENSD_IJSA_SA_EEENS0_18inequality_wrapperIZN2at6native12_GLOBAL__N_124unique_dim_cuda_templateIbEESt5tupleIJNSH_6TensorESM_SM_EERKSM_lbbbEUlllE0_EEPmJS6_EEE10hipError_tPvRmT3_T4_T5_T6_T7_T9_mT8_P12ihipStream_tbDpT10_ENKUlT_T0_E_clISt17integral_constantIbLb1EES1B_IbLb0EEEEDaS17_S18_EUlS17_E_NS1_11comp_targetILNS1_3genE10ELNS1_11target_archE1200ELNS1_3gpuE4ELNS1_3repE0EEENS1_30default_config_static_selectorELNS0_4arch9wavefront6targetE1EEEvT1_
    .private_segment_fixed_size: 0
    .sgpr_count:     6
    .sgpr_spill_count: 0
    .symbol:         _ZN7rocprim17ROCPRIM_400000_NS6detail17trampoline_kernelINS0_14default_configENS1_25partition_config_selectorILNS1_17partition_subalgoE8ElNS0_10empty_typeEbEEZZNS1_14partition_implILS5_8ELb0ES3_jPlPS6_PKS6_NS0_5tupleIJS9_S6_EEENSD_IJSA_SA_EEENS0_18inequality_wrapperIZN2at6native12_GLOBAL__N_124unique_dim_cuda_templateIbEESt5tupleIJNSH_6TensorESM_SM_EERKSM_lbbbEUlllE0_EEPmJS6_EEE10hipError_tPvRmT3_T4_T5_T6_T7_T9_mT8_P12ihipStream_tbDpT10_ENKUlT_T0_E_clISt17integral_constantIbLb1EES1B_IbLb0EEEEDaS17_S18_EUlS17_E_NS1_11comp_targetILNS1_3genE10ELNS1_11target_archE1200ELNS1_3gpuE4ELNS1_3repE0EEENS1_30default_config_static_selectorELNS0_4arch9wavefront6targetE1EEEvT1_.kd
    .uniform_work_group_size: 1
    .uses_dynamic_stack: false
    .vgpr_count:     0
    .vgpr_spill_count: 0
    .wavefront_size: 64
  - .agpr_count:     0
    .args:
      - .offset:         0
        .size:           120
        .value_kind:     by_value
    .group_segment_fixed_size: 0
    .kernarg_segment_align: 8
    .kernarg_segment_size: 120
    .language:       OpenCL C
    .language_version:
      - 2
      - 0
    .max_flat_workgroup_size: 512
    .name:           _ZN7rocprim17ROCPRIM_400000_NS6detail17trampoline_kernelINS0_14default_configENS1_25partition_config_selectorILNS1_17partition_subalgoE8ElNS0_10empty_typeEbEEZZNS1_14partition_implILS5_8ELb0ES3_jPlPS6_PKS6_NS0_5tupleIJS9_S6_EEENSD_IJSA_SA_EEENS0_18inequality_wrapperIZN2at6native12_GLOBAL__N_124unique_dim_cuda_templateIbEESt5tupleIJNSH_6TensorESM_SM_EERKSM_lbbbEUlllE0_EEPmJS6_EEE10hipError_tPvRmT3_T4_T5_T6_T7_T9_mT8_P12ihipStream_tbDpT10_ENKUlT_T0_E_clISt17integral_constantIbLb1EES1B_IbLb0EEEEDaS17_S18_EUlS17_E_NS1_11comp_targetILNS1_3genE9ELNS1_11target_archE1100ELNS1_3gpuE3ELNS1_3repE0EEENS1_30default_config_static_selectorELNS0_4arch9wavefront6targetE1EEEvT1_
    .private_segment_fixed_size: 0
    .sgpr_count:     6
    .sgpr_spill_count: 0
    .symbol:         _ZN7rocprim17ROCPRIM_400000_NS6detail17trampoline_kernelINS0_14default_configENS1_25partition_config_selectorILNS1_17partition_subalgoE8ElNS0_10empty_typeEbEEZZNS1_14partition_implILS5_8ELb0ES3_jPlPS6_PKS6_NS0_5tupleIJS9_S6_EEENSD_IJSA_SA_EEENS0_18inequality_wrapperIZN2at6native12_GLOBAL__N_124unique_dim_cuda_templateIbEESt5tupleIJNSH_6TensorESM_SM_EERKSM_lbbbEUlllE0_EEPmJS6_EEE10hipError_tPvRmT3_T4_T5_T6_T7_T9_mT8_P12ihipStream_tbDpT10_ENKUlT_T0_E_clISt17integral_constantIbLb1EES1B_IbLb0EEEEDaS17_S18_EUlS17_E_NS1_11comp_targetILNS1_3genE9ELNS1_11target_archE1100ELNS1_3gpuE3ELNS1_3repE0EEENS1_30default_config_static_selectorELNS0_4arch9wavefront6targetE1EEEvT1_.kd
    .uniform_work_group_size: 1
    .uses_dynamic_stack: false
    .vgpr_count:     0
    .vgpr_spill_count: 0
    .wavefront_size: 64
  - .agpr_count:     0
    .args:
      - .offset:         0
        .size:           120
        .value_kind:     by_value
    .group_segment_fixed_size: 0
    .kernarg_segment_align: 8
    .kernarg_segment_size: 120
    .language:       OpenCL C
    .language_version:
      - 2
      - 0
    .max_flat_workgroup_size: 512
    .name:           _ZN7rocprim17ROCPRIM_400000_NS6detail17trampoline_kernelINS0_14default_configENS1_25partition_config_selectorILNS1_17partition_subalgoE8ElNS0_10empty_typeEbEEZZNS1_14partition_implILS5_8ELb0ES3_jPlPS6_PKS6_NS0_5tupleIJS9_S6_EEENSD_IJSA_SA_EEENS0_18inequality_wrapperIZN2at6native12_GLOBAL__N_124unique_dim_cuda_templateIbEESt5tupleIJNSH_6TensorESM_SM_EERKSM_lbbbEUlllE0_EEPmJS6_EEE10hipError_tPvRmT3_T4_T5_T6_T7_T9_mT8_P12ihipStream_tbDpT10_ENKUlT_T0_E_clISt17integral_constantIbLb1EES1B_IbLb0EEEEDaS17_S18_EUlS17_E_NS1_11comp_targetILNS1_3genE8ELNS1_11target_archE1030ELNS1_3gpuE2ELNS1_3repE0EEENS1_30default_config_static_selectorELNS0_4arch9wavefront6targetE1EEEvT1_
    .private_segment_fixed_size: 0
    .sgpr_count:     6
    .sgpr_spill_count: 0
    .symbol:         _ZN7rocprim17ROCPRIM_400000_NS6detail17trampoline_kernelINS0_14default_configENS1_25partition_config_selectorILNS1_17partition_subalgoE8ElNS0_10empty_typeEbEEZZNS1_14partition_implILS5_8ELb0ES3_jPlPS6_PKS6_NS0_5tupleIJS9_S6_EEENSD_IJSA_SA_EEENS0_18inequality_wrapperIZN2at6native12_GLOBAL__N_124unique_dim_cuda_templateIbEESt5tupleIJNSH_6TensorESM_SM_EERKSM_lbbbEUlllE0_EEPmJS6_EEE10hipError_tPvRmT3_T4_T5_T6_T7_T9_mT8_P12ihipStream_tbDpT10_ENKUlT_T0_E_clISt17integral_constantIbLb1EES1B_IbLb0EEEEDaS17_S18_EUlS17_E_NS1_11comp_targetILNS1_3genE8ELNS1_11target_archE1030ELNS1_3gpuE2ELNS1_3repE0EEENS1_30default_config_static_selectorELNS0_4arch9wavefront6targetE1EEEvT1_.kd
    .uniform_work_group_size: 1
    .uses_dynamic_stack: false
    .vgpr_count:     0
    .vgpr_spill_count: 0
    .wavefront_size: 64
  - .agpr_count:     0
    .args:
      - .offset:         0
        .size:           136
        .value_kind:     by_value
    .group_segment_fixed_size: 28680
    .kernarg_segment_align: 8
    .kernarg_segment_size: 136
    .language:       OpenCL C
    .language_version:
      - 2
      - 0
    .max_flat_workgroup_size: 512
    .name:           _ZN7rocprim17ROCPRIM_400000_NS6detail17trampoline_kernelINS0_14default_configENS1_25partition_config_selectorILNS1_17partition_subalgoE8ElNS0_10empty_typeEbEEZZNS1_14partition_implILS5_8ELb0ES3_jPlPS6_PKS6_NS0_5tupleIJS9_S6_EEENSD_IJSA_SA_EEENS0_18inequality_wrapperIZN2at6native12_GLOBAL__N_124unique_dim_cuda_templateIbEESt5tupleIJNSH_6TensorESM_SM_EERKSM_lbbbEUlllE0_EEPmJS6_EEE10hipError_tPvRmT3_T4_T5_T6_T7_T9_mT8_P12ihipStream_tbDpT10_ENKUlT_T0_E_clISt17integral_constantIbLb0EES1B_IbLb1EEEEDaS17_S18_EUlS17_E_NS1_11comp_targetILNS1_3genE0ELNS1_11target_archE4294967295ELNS1_3gpuE0ELNS1_3repE0EEENS1_30default_config_static_selectorELNS0_4arch9wavefront6targetE1EEEvT1_
    .private_segment_fixed_size: 0
    .sgpr_count:     60
    .sgpr_spill_count: 0
    .symbol:         _ZN7rocprim17ROCPRIM_400000_NS6detail17trampoline_kernelINS0_14default_configENS1_25partition_config_selectorILNS1_17partition_subalgoE8ElNS0_10empty_typeEbEEZZNS1_14partition_implILS5_8ELb0ES3_jPlPS6_PKS6_NS0_5tupleIJS9_S6_EEENSD_IJSA_SA_EEENS0_18inequality_wrapperIZN2at6native12_GLOBAL__N_124unique_dim_cuda_templateIbEESt5tupleIJNSH_6TensorESM_SM_EERKSM_lbbbEUlllE0_EEPmJS6_EEE10hipError_tPvRmT3_T4_T5_T6_T7_T9_mT8_P12ihipStream_tbDpT10_ENKUlT_T0_E_clISt17integral_constantIbLb0EES1B_IbLb1EEEEDaS17_S18_EUlS17_E_NS1_11comp_targetILNS1_3genE0ELNS1_11target_archE4294967295ELNS1_3gpuE0ELNS1_3repE0EEENS1_30default_config_static_selectorELNS0_4arch9wavefront6targetE1EEEvT1_.kd
    .uniform_work_group_size: 1
    .uses_dynamic_stack: false
    .vgpr_count:     58
    .vgpr_spill_count: 0
    .wavefront_size: 64
  - .agpr_count:     0
    .args:
      - .offset:         0
        .size:           136
        .value_kind:     by_value
    .group_segment_fixed_size: 0
    .kernarg_segment_align: 8
    .kernarg_segment_size: 136
    .language:       OpenCL C
    .language_version:
      - 2
      - 0
    .max_flat_workgroup_size: 512
    .name:           _ZN7rocprim17ROCPRIM_400000_NS6detail17trampoline_kernelINS0_14default_configENS1_25partition_config_selectorILNS1_17partition_subalgoE8ElNS0_10empty_typeEbEEZZNS1_14partition_implILS5_8ELb0ES3_jPlPS6_PKS6_NS0_5tupleIJS9_S6_EEENSD_IJSA_SA_EEENS0_18inequality_wrapperIZN2at6native12_GLOBAL__N_124unique_dim_cuda_templateIbEESt5tupleIJNSH_6TensorESM_SM_EERKSM_lbbbEUlllE0_EEPmJS6_EEE10hipError_tPvRmT3_T4_T5_T6_T7_T9_mT8_P12ihipStream_tbDpT10_ENKUlT_T0_E_clISt17integral_constantIbLb0EES1B_IbLb1EEEEDaS17_S18_EUlS17_E_NS1_11comp_targetILNS1_3genE5ELNS1_11target_archE942ELNS1_3gpuE9ELNS1_3repE0EEENS1_30default_config_static_selectorELNS0_4arch9wavefront6targetE1EEEvT1_
    .private_segment_fixed_size: 0
    .sgpr_count:     6
    .sgpr_spill_count: 0
    .symbol:         _ZN7rocprim17ROCPRIM_400000_NS6detail17trampoline_kernelINS0_14default_configENS1_25partition_config_selectorILNS1_17partition_subalgoE8ElNS0_10empty_typeEbEEZZNS1_14partition_implILS5_8ELb0ES3_jPlPS6_PKS6_NS0_5tupleIJS9_S6_EEENSD_IJSA_SA_EEENS0_18inequality_wrapperIZN2at6native12_GLOBAL__N_124unique_dim_cuda_templateIbEESt5tupleIJNSH_6TensorESM_SM_EERKSM_lbbbEUlllE0_EEPmJS6_EEE10hipError_tPvRmT3_T4_T5_T6_T7_T9_mT8_P12ihipStream_tbDpT10_ENKUlT_T0_E_clISt17integral_constantIbLb0EES1B_IbLb1EEEEDaS17_S18_EUlS17_E_NS1_11comp_targetILNS1_3genE5ELNS1_11target_archE942ELNS1_3gpuE9ELNS1_3repE0EEENS1_30default_config_static_selectorELNS0_4arch9wavefront6targetE1EEEvT1_.kd
    .uniform_work_group_size: 1
    .uses_dynamic_stack: false
    .vgpr_count:     0
    .vgpr_spill_count: 0
    .wavefront_size: 64
  - .agpr_count:     0
    .args:
      - .offset:         0
        .size:           136
        .value_kind:     by_value
    .group_segment_fixed_size: 0
    .kernarg_segment_align: 8
    .kernarg_segment_size: 136
    .language:       OpenCL C
    .language_version:
      - 2
      - 0
    .max_flat_workgroup_size: 256
    .name:           _ZN7rocprim17ROCPRIM_400000_NS6detail17trampoline_kernelINS0_14default_configENS1_25partition_config_selectorILNS1_17partition_subalgoE8ElNS0_10empty_typeEbEEZZNS1_14partition_implILS5_8ELb0ES3_jPlPS6_PKS6_NS0_5tupleIJS9_S6_EEENSD_IJSA_SA_EEENS0_18inequality_wrapperIZN2at6native12_GLOBAL__N_124unique_dim_cuda_templateIbEESt5tupleIJNSH_6TensorESM_SM_EERKSM_lbbbEUlllE0_EEPmJS6_EEE10hipError_tPvRmT3_T4_T5_T6_T7_T9_mT8_P12ihipStream_tbDpT10_ENKUlT_T0_E_clISt17integral_constantIbLb0EES1B_IbLb1EEEEDaS17_S18_EUlS17_E_NS1_11comp_targetILNS1_3genE4ELNS1_11target_archE910ELNS1_3gpuE8ELNS1_3repE0EEENS1_30default_config_static_selectorELNS0_4arch9wavefront6targetE1EEEvT1_
    .private_segment_fixed_size: 0
    .sgpr_count:     6
    .sgpr_spill_count: 0
    .symbol:         _ZN7rocprim17ROCPRIM_400000_NS6detail17trampoline_kernelINS0_14default_configENS1_25partition_config_selectorILNS1_17partition_subalgoE8ElNS0_10empty_typeEbEEZZNS1_14partition_implILS5_8ELb0ES3_jPlPS6_PKS6_NS0_5tupleIJS9_S6_EEENSD_IJSA_SA_EEENS0_18inequality_wrapperIZN2at6native12_GLOBAL__N_124unique_dim_cuda_templateIbEESt5tupleIJNSH_6TensorESM_SM_EERKSM_lbbbEUlllE0_EEPmJS6_EEE10hipError_tPvRmT3_T4_T5_T6_T7_T9_mT8_P12ihipStream_tbDpT10_ENKUlT_T0_E_clISt17integral_constantIbLb0EES1B_IbLb1EEEEDaS17_S18_EUlS17_E_NS1_11comp_targetILNS1_3genE4ELNS1_11target_archE910ELNS1_3gpuE8ELNS1_3repE0EEENS1_30default_config_static_selectorELNS0_4arch9wavefront6targetE1EEEvT1_.kd
    .uniform_work_group_size: 1
    .uses_dynamic_stack: false
    .vgpr_count:     0
    .vgpr_spill_count: 0
    .wavefront_size: 64
  - .agpr_count:     0
    .args:
      - .offset:         0
        .size:           136
        .value_kind:     by_value
    .group_segment_fixed_size: 0
    .kernarg_segment_align: 8
    .kernarg_segment_size: 136
    .language:       OpenCL C
    .language_version:
      - 2
      - 0
    .max_flat_workgroup_size: 512
    .name:           _ZN7rocprim17ROCPRIM_400000_NS6detail17trampoline_kernelINS0_14default_configENS1_25partition_config_selectorILNS1_17partition_subalgoE8ElNS0_10empty_typeEbEEZZNS1_14partition_implILS5_8ELb0ES3_jPlPS6_PKS6_NS0_5tupleIJS9_S6_EEENSD_IJSA_SA_EEENS0_18inequality_wrapperIZN2at6native12_GLOBAL__N_124unique_dim_cuda_templateIbEESt5tupleIJNSH_6TensorESM_SM_EERKSM_lbbbEUlllE0_EEPmJS6_EEE10hipError_tPvRmT3_T4_T5_T6_T7_T9_mT8_P12ihipStream_tbDpT10_ENKUlT_T0_E_clISt17integral_constantIbLb0EES1B_IbLb1EEEEDaS17_S18_EUlS17_E_NS1_11comp_targetILNS1_3genE3ELNS1_11target_archE908ELNS1_3gpuE7ELNS1_3repE0EEENS1_30default_config_static_selectorELNS0_4arch9wavefront6targetE1EEEvT1_
    .private_segment_fixed_size: 0
    .sgpr_count:     6
    .sgpr_spill_count: 0
    .symbol:         _ZN7rocprim17ROCPRIM_400000_NS6detail17trampoline_kernelINS0_14default_configENS1_25partition_config_selectorILNS1_17partition_subalgoE8ElNS0_10empty_typeEbEEZZNS1_14partition_implILS5_8ELb0ES3_jPlPS6_PKS6_NS0_5tupleIJS9_S6_EEENSD_IJSA_SA_EEENS0_18inequality_wrapperIZN2at6native12_GLOBAL__N_124unique_dim_cuda_templateIbEESt5tupleIJNSH_6TensorESM_SM_EERKSM_lbbbEUlllE0_EEPmJS6_EEE10hipError_tPvRmT3_T4_T5_T6_T7_T9_mT8_P12ihipStream_tbDpT10_ENKUlT_T0_E_clISt17integral_constantIbLb0EES1B_IbLb1EEEEDaS17_S18_EUlS17_E_NS1_11comp_targetILNS1_3genE3ELNS1_11target_archE908ELNS1_3gpuE7ELNS1_3repE0EEENS1_30default_config_static_selectorELNS0_4arch9wavefront6targetE1EEEvT1_.kd
    .uniform_work_group_size: 1
    .uses_dynamic_stack: false
    .vgpr_count:     0
    .vgpr_spill_count: 0
    .wavefront_size: 64
  - .agpr_count:     0
    .args:
      - .offset:         0
        .size:           136
        .value_kind:     by_value
    .group_segment_fixed_size: 0
    .kernarg_segment_align: 8
    .kernarg_segment_size: 136
    .language:       OpenCL C
    .language_version:
      - 2
      - 0
    .max_flat_workgroup_size: 256
    .name:           _ZN7rocprim17ROCPRIM_400000_NS6detail17trampoline_kernelINS0_14default_configENS1_25partition_config_selectorILNS1_17partition_subalgoE8ElNS0_10empty_typeEbEEZZNS1_14partition_implILS5_8ELb0ES3_jPlPS6_PKS6_NS0_5tupleIJS9_S6_EEENSD_IJSA_SA_EEENS0_18inequality_wrapperIZN2at6native12_GLOBAL__N_124unique_dim_cuda_templateIbEESt5tupleIJNSH_6TensorESM_SM_EERKSM_lbbbEUlllE0_EEPmJS6_EEE10hipError_tPvRmT3_T4_T5_T6_T7_T9_mT8_P12ihipStream_tbDpT10_ENKUlT_T0_E_clISt17integral_constantIbLb0EES1B_IbLb1EEEEDaS17_S18_EUlS17_E_NS1_11comp_targetILNS1_3genE2ELNS1_11target_archE906ELNS1_3gpuE6ELNS1_3repE0EEENS1_30default_config_static_selectorELNS0_4arch9wavefront6targetE1EEEvT1_
    .private_segment_fixed_size: 0
    .sgpr_count:     6
    .sgpr_spill_count: 0
    .symbol:         _ZN7rocprim17ROCPRIM_400000_NS6detail17trampoline_kernelINS0_14default_configENS1_25partition_config_selectorILNS1_17partition_subalgoE8ElNS0_10empty_typeEbEEZZNS1_14partition_implILS5_8ELb0ES3_jPlPS6_PKS6_NS0_5tupleIJS9_S6_EEENSD_IJSA_SA_EEENS0_18inequality_wrapperIZN2at6native12_GLOBAL__N_124unique_dim_cuda_templateIbEESt5tupleIJNSH_6TensorESM_SM_EERKSM_lbbbEUlllE0_EEPmJS6_EEE10hipError_tPvRmT3_T4_T5_T6_T7_T9_mT8_P12ihipStream_tbDpT10_ENKUlT_T0_E_clISt17integral_constantIbLb0EES1B_IbLb1EEEEDaS17_S18_EUlS17_E_NS1_11comp_targetILNS1_3genE2ELNS1_11target_archE906ELNS1_3gpuE6ELNS1_3repE0EEENS1_30default_config_static_selectorELNS0_4arch9wavefront6targetE1EEEvT1_.kd
    .uniform_work_group_size: 1
    .uses_dynamic_stack: false
    .vgpr_count:     0
    .vgpr_spill_count: 0
    .wavefront_size: 64
  - .agpr_count:     0
    .args:
      - .offset:         0
        .size:           136
        .value_kind:     by_value
    .group_segment_fixed_size: 0
    .kernarg_segment_align: 8
    .kernarg_segment_size: 136
    .language:       OpenCL C
    .language_version:
      - 2
      - 0
    .max_flat_workgroup_size: 384
    .name:           _ZN7rocprim17ROCPRIM_400000_NS6detail17trampoline_kernelINS0_14default_configENS1_25partition_config_selectorILNS1_17partition_subalgoE8ElNS0_10empty_typeEbEEZZNS1_14partition_implILS5_8ELb0ES3_jPlPS6_PKS6_NS0_5tupleIJS9_S6_EEENSD_IJSA_SA_EEENS0_18inequality_wrapperIZN2at6native12_GLOBAL__N_124unique_dim_cuda_templateIbEESt5tupleIJNSH_6TensorESM_SM_EERKSM_lbbbEUlllE0_EEPmJS6_EEE10hipError_tPvRmT3_T4_T5_T6_T7_T9_mT8_P12ihipStream_tbDpT10_ENKUlT_T0_E_clISt17integral_constantIbLb0EES1B_IbLb1EEEEDaS17_S18_EUlS17_E_NS1_11comp_targetILNS1_3genE10ELNS1_11target_archE1200ELNS1_3gpuE4ELNS1_3repE0EEENS1_30default_config_static_selectorELNS0_4arch9wavefront6targetE1EEEvT1_
    .private_segment_fixed_size: 0
    .sgpr_count:     6
    .sgpr_spill_count: 0
    .symbol:         _ZN7rocprim17ROCPRIM_400000_NS6detail17trampoline_kernelINS0_14default_configENS1_25partition_config_selectorILNS1_17partition_subalgoE8ElNS0_10empty_typeEbEEZZNS1_14partition_implILS5_8ELb0ES3_jPlPS6_PKS6_NS0_5tupleIJS9_S6_EEENSD_IJSA_SA_EEENS0_18inequality_wrapperIZN2at6native12_GLOBAL__N_124unique_dim_cuda_templateIbEESt5tupleIJNSH_6TensorESM_SM_EERKSM_lbbbEUlllE0_EEPmJS6_EEE10hipError_tPvRmT3_T4_T5_T6_T7_T9_mT8_P12ihipStream_tbDpT10_ENKUlT_T0_E_clISt17integral_constantIbLb0EES1B_IbLb1EEEEDaS17_S18_EUlS17_E_NS1_11comp_targetILNS1_3genE10ELNS1_11target_archE1200ELNS1_3gpuE4ELNS1_3repE0EEENS1_30default_config_static_selectorELNS0_4arch9wavefront6targetE1EEEvT1_.kd
    .uniform_work_group_size: 1
    .uses_dynamic_stack: false
    .vgpr_count:     0
    .vgpr_spill_count: 0
    .wavefront_size: 64
  - .agpr_count:     0
    .args:
      - .offset:         0
        .size:           136
        .value_kind:     by_value
    .group_segment_fixed_size: 0
    .kernarg_segment_align: 8
    .kernarg_segment_size: 136
    .language:       OpenCL C
    .language_version:
      - 2
      - 0
    .max_flat_workgroup_size: 512
    .name:           _ZN7rocprim17ROCPRIM_400000_NS6detail17trampoline_kernelINS0_14default_configENS1_25partition_config_selectorILNS1_17partition_subalgoE8ElNS0_10empty_typeEbEEZZNS1_14partition_implILS5_8ELb0ES3_jPlPS6_PKS6_NS0_5tupleIJS9_S6_EEENSD_IJSA_SA_EEENS0_18inequality_wrapperIZN2at6native12_GLOBAL__N_124unique_dim_cuda_templateIbEESt5tupleIJNSH_6TensorESM_SM_EERKSM_lbbbEUlllE0_EEPmJS6_EEE10hipError_tPvRmT3_T4_T5_T6_T7_T9_mT8_P12ihipStream_tbDpT10_ENKUlT_T0_E_clISt17integral_constantIbLb0EES1B_IbLb1EEEEDaS17_S18_EUlS17_E_NS1_11comp_targetILNS1_3genE9ELNS1_11target_archE1100ELNS1_3gpuE3ELNS1_3repE0EEENS1_30default_config_static_selectorELNS0_4arch9wavefront6targetE1EEEvT1_
    .private_segment_fixed_size: 0
    .sgpr_count:     6
    .sgpr_spill_count: 0
    .symbol:         _ZN7rocprim17ROCPRIM_400000_NS6detail17trampoline_kernelINS0_14default_configENS1_25partition_config_selectorILNS1_17partition_subalgoE8ElNS0_10empty_typeEbEEZZNS1_14partition_implILS5_8ELb0ES3_jPlPS6_PKS6_NS0_5tupleIJS9_S6_EEENSD_IJSA_SA_EEENS0_18inequality_wrapperIZN2at6native12_GLOBAL__N_124unique_dim_cuda_templateIbEESt5tupleIJNSH_6TensorESM_SM_EERKSM_lbbbEUlllE0_EEPmJS6_EEE10hipError_tPvRmT3_T4_T5_T6_T7_T9_mT8_P12ihipStream_tbDpT10_ENKUlT_T0_E_clISt17integral_constantIbLb0EES1B_IbLb1EEEEDaS17_S18_EUlS17_E_NS1_11comp_targetILNS1_3genE9ELNS1_11target_archE1100ELNS1_3gpuE3ELNS1_3repE0EEENS1_30default_config_static_selectorELNS0_4arch9wavefront6targetE1EEEvT1_.kd
    .uniform_work_group_size: 1
    .uses_dynamic_stack: false
    .vgpr_count:     0
    .vgpr_spill_count: 0
    .wavefront_size: 64
  - .agpr_count:     0
    .args:
      - .offset:         0
        .size:           136
        .value_kind:     by_value
    .group_segment_fixed_size: 0
    .kernarg_segment_align: 8
    .kernarg_segment_size: 136
    .language:       OpenCL C
    .language_version:
      - 2
      - 0
    .max_flat_workgroup_size: 512
    .name:           _ZN7rocprim17ROCPRIM_400000_NS6detail17trampoline_kernelINS0_14default_configENS1_25partition_config_selectorILNS1_17partition_subalgoE8ElNS0_10empty_typeEbEEZZNS1_14partition_implILS5_8ELb0ES3_jPlPS6_PKS6_NS0_5tupleIJS9_S6_EEENSD_IJSA_SA_EEENS0_18inequality_wrapperIZN2at6native12_GLOBAL__N_124unique_dim_cuda_templateIbEESt5tupleIJNSH_6TensorESM_SM_EERKSM_lbbbEUlllE0_EEPmJS6_EEE10hipError_tPvRmT3_T4_T5_T6_T7_T9_mT8_P12ihipStream_tbDpT10_ENKUlT_T0_E_clISt17integral_constantIbLb0EES1B_IbLb1EEEEDaS17_S18_EUlS17_E_NS1_11comp_targetILNS1_3genE8ELNS1_11target_archE1030ELNS1_3gpuE2ELNS1_3repE0EEENS1_30default_config_static_selectorELNS0_4arch9wavefront6targetE1EEEvT1_
    .private_segment_fixed_size: 0
    .sgpr_count:     6
    .sgpr_spill_count: 0
    .symbol:         _ZN7rocprim17ROCPRIM_400000_NS6detail17trampoline_kernelINS0_14default_configENS1_25partition_config_selectorILNS1_17partition_subalgoE8ElNS0_10empty_typeEbEEZZNS1_14partition_implILS5_8ELb0ES3_jPlPS6_PKS6_NS0_5tupleIJS9_S6_EEENSD_IJSA_SA_EEENS0_18inequality_wrapperIZN2at6native12_GLOBAL__N_124unique_dim_cuda_templateIbEESt5tupleIJNSH_6TensorESM_SM_EERKSM_lbbbEUlllE0_EEPmJS6_EEE10hipError_tPvRmT3_T4_T5_T6_T7_T9_mT8_P12ihipStream_tbDpT10_ENKUlT_T0_E_clISt17integral_constantIbLb0EES1B_IbLb1EEEEDaS17_S18_EUlS17_E_NS1_11comp_targetILNS1_3genE8ELNS1_11target_archE1030ELNS1_3gpuE2ELNS1_3repE0EEENS1_30default_config_static_selectorELNS0_4arch9wavefront6targetE1EEEvT1_.kd
    .uniform_work_group_size: 1
    .uses_dynamic_stack: false
    .vgpr_count:     0
    .vgpr_spill_count: 0
    .wavefront_size: 64
  - .agpr_count:     0
    .args:
      - .offset:         0
        .size:           120
        .value_kind:     by_value
    .group_segment_fixed_size: 5128
    .kernarg_segment_align: 8
    .kernarg_segment_size: 120
    .language:       OpenCL C
    .language_version:
      - 2
      - 0
    .max_flat_workgroup_size: 128
    .name:           _ZN7rocprim17ROCPRIM_400000_NS6detail17trampoline_kernelINS0_14default_configENS1_25partition_config_selectorILNS1_17partition_subalgoE9EllbEEZZNS1_14partition_implILS5_9ELb0ES3_jPlS8_PNS0_10empty_typeENS0_5tupleIJS8_S9_EEENSB_IJS8_SA_EEENS0_18inequality_wrapperIZN2at6native12_GLOBAL__N_124unique_dim_cuda_templateIbEESt5tupleIJNSF_6TensorESK_SK_EERKSK_lbbbEUlllE0_EEPmJS9_EEE10hipError_tPvRmT3_T4_T5_T6_T7_T9_mT8_P12ihipStream_tbDpT10_ENKUlT_T0_E_clISt17integral_constantIbLb0EES1A_EEDaS15_S16_EUlS15_E_NS1_11comp_targetILNS1_3genE0ELNS1_11target_archE4294967295ELNS1_3gpuE0ELNS1_3repE0EEENS1_30default_config_static_selectorELNS0_4arch9wavefront6targetE1EEEvT1_
    .private_segment_fixed_size: 0
    .sgpr_count:     52
    .sgpr_spill_count: 0
    .symbol:         _ZN7rocprim17ROCPRIM_400000_NS6detail17trampoline_kernelINS0_14default_configENS1_25partition_config_selectorILNS1_17partition_subalgoE9EllbEEZZNS1_14partition_implILS5_9ELb0ES3_jPlS8_PNS0_10empty_typeENS0_5tupleIJS8_S9_EEENSB_IJS8_SA_EEENS0_18inequality_wrapperIZN2at6native12_GLOBAL__N_124unique_dim_cuda_templateIbEESt5tupleIJNSF_6TensorESK_SK_EERKSK_lbbbEUlllE0_EEPmJS9_EEE10hipError_tPvRmT3_T4_T5_T6_T7_T9_mT8_P12ihipStream_tbDpT10_ENKUlT_T0_E_clISt17integral_constantIbLb0EES1A_EEDaS15_S16_EUlS15_E_NS1_11comp_targetILNS1_3genE0ELNS1_11target_archE4294967295ELNS1_3gpuE0ELNS1_3repE0EEENS1_30default_config_static_selectorELNS0_4arch9wavefront6targetE1EEEvT1_.kd
    .uniform_work_group_size: 1
    .uses_dynamic_stack: false
    .vgpr_count:     60
    .vgpr_spill_count: 0
    .wavefront_size: 64
  - .agpr_count:     0
    .args:
      - .offset:         0
        .size:           120
        .value_kind:     by_value
    .group_segment_fixed_size: 0
    .kernarg_segment_align: 8
    .kernarg_segment_size: 120
    .language:       OpenCL C
    .language_version:
      - 2
      - 0
    .max_flat_workgroup_size: 512
    .name:           _ZN7rocprim17ROCPRIM_400000_NS6detail17trampoline_kernelINS0_14default_configENS1_25partition_config_selectorILNS1_17partition_subalgoE9EllbEEZZNS1_14partition_implILS5_9ELb0ES3_jPlS8_PNS0_10empty_typeENS0_5tupleIJS8_S9_EEENSB_IJS8_SA_EEENS0_18inequality_wrapperIZN2at6native12_GLOBAL__N_124unique_dim_cuda_templateIbEESt5tupleIJNSF_6TensorESK_SK_EERKSK_lbbbEUlllE0_EEPmJS9_EEE10hipError_tPvRmT3_T4_T5_T6_T7_T9_mT8_P12ihipStream_tbDpT10_ENKUlT_T0_E_clISt17integral_constantIbLb0EES1A_EEDaS15_S16_EUlS15_E_NS1_11comp_targetILNS1_3genE5ELNS1_11target_archE942ELNS1_3gpuE9ELNS1_3repE0EEENS1_30default_config_static_selectorELNS0_4arch9wavefront6targetE1EEEvT1_
    .private_segment_fixed_size: 0
    .sgpr_count:     6
    .sgpr_spill_count: 0
    .symbol:         _ZN7rocprim17ROCPRIM_400000_NS6detail17trampoline_kernelINS0_14default_configENS1_25partition_config_selectorILNS1_17partition_subalgoE9EllbEEZZNS1_14partition_implILS5_9ELb0ES3_jPlS8_PNS0_10empty_typeENS0_5tupleIJS8_S9_EEENSB_IJS8_SA_EEENS0_18inequality_wrapperIZN2at6native12_GLOBAL__N_124unique_dim_cuda_templateIbEESt5tupleIJNSF_6TensorESK_SK_EERKSK_lbbbEUlllE0_EEPmJS9_EEE10hipError_tPvRmT3_T4_T5_T6_T7_T9_mT8_P12ihipStream_tbDpT10_ENKUlT_T0_E_clISt17integral_constantIbLb0EES1A_EEDaS15_S16_EUlS15_E_NS1_11comp_targetILNS1_3genE5ELNS1_11target_archE942ELNS1_3gpuE9ELNS1_3repE0EEENS1_30default_config_static_selectorELNS0_4arch9wavefront6targetE1EEEvT1_.kd
    .uniform_work_group_size: 1
    .uses_dynamic_stack: false
    .vgpr_count:     0
    .vgpr_spill_count: 0
    .wavefront_size: 64
  - .agpr_count:     0
    .args:
      - .offset:         0
        .size:           120
        .value_kind:     by_value
    .group_segment_fixed_size: 0
    .kernarg_segment_align: 8
    .kernarg_segment_size: 120
    .language:       OpenCL C
    .language_version:
      - 2
      - 0
    .max_flat_workgroup_size: 128
    .name:           _ZN7rocprim17ROCPRIM_400000_NS6detail17trampoline_kernelINS0_14default_configENS1_25partition_config_selectorILNS1_17partition_subalgoE9EllbEEZZNS1_14partition_implILS5_9ELb0ES3_jPlS8_PNS0_10empty_typeENS0_5tupleIJS8_S9_EEENSB_IJS8_SA_EEENS0_18inequality_wrapperIZN2at6native12_GLOBAL__N_124unique_dim_cuda_templateIbEESt5tupleIJNSF_6TensorESK_SK_EERKSK_lbbbEUlllE0_EEPmJS9_EEE10hipError_tPvRmT3_T4_T5_T6_T7_T9_mT8_P12ihipStream_tbDpT10_ENKUlT_T0_E_clISt17integral_constantIbLb0EES1A_EEDaS15_S16_EUlS15_E_NS1_11comp_targetILNS1_3genE4ELNS1_11target_archE910ELNS1_3gpuE8ELNS1_3repE0EEENS1_30default_config_static_selectorELNS0_4arch9wavefront6targetE1EEEvT1_
    .private_segment_fixed_size: 0
    .sgpr_count:     6
    .sgpr_spill_count: 0
    .symbol:         _ZN7rocprim17ROCPRIM_400000_NS6detail17trampoline_kernelINS0_14default_configENS1_25partition_config_selectorILNS1_17partition_subalgoE9EllbEEZZNS1_14partition_implILS5_9ELb0ES3_jPlS8_PNS0_10empty_typeENS0_5tupleIJS8_S9_EEENSB_IJS8_SA_EEENS0_18inequality_wrapperIZN2at6native12_GLOBAL__N_124unique_dim_cuda_templateIbEESt5tupleIJNSF_6TensorESK_SK_EERKSK_lbbbEUlllE0_EEPmJS9_EEE10hipError_tPvRmT3_T4_T5_T6_T7_T9_mT8_P12ihipStream_tbDpT10_ENKUlT_T0_E_clISt17integral_constantIbLb0EES1A_EEDaS15_S16_EUlS15_E_NS1_11comp_targetILNS1_3genE4ELNS1_11target_archE910ELNS1_3gpuE8ELNS1_3repE0EEENS1_30default_config_static_selectorELNS0_4arch9wavefront6targetE1EEEvT1_.kd
    .uniform_work_group_size: 1
    .uses_dynamic_stack: false
    .vgpr_count:     0
    .vgpr_spill_count: 0
    .wavefront_size: 64
  - .agpr_count:     0
    .args:
      - .offset:         0
        .size:           120
        .value_kind:     by_value
    .group_segment_fixed_size: 0
    .kernarg_segment_align: 8
    .kernarg_segment_size: 120
    .language:       OpenCL C
    .language_version:
      - 2
      - 0
    .max_flat_workgroup_size: 128
    .name:           _ZN7rocprim17ROCPRIM_400000_NS6detail17trampoline_kernelINS0_14default_configENS1_25partition_config_selectorILNS1_17partition_subalgoE9EllbEEZZNS1_14partition_implILS5_9ELb0ES3_jPlS8_PNS0_10empty_typeENS0_5tupleIJS8_S9_EEENSB_IJS8_SA_EEENS0_18inequality_wrapperIZN2at6native12_GLOBAL__N_124unique_dim_cuda_templateIbEESt5tupleIJNSF_6TensorESK_SK_EERKSK_lbbbEUlllE0_EEPmJS9_EEE10hipError_tPvRmT3_T4_T5_T6_T7_T9_mT8_P12ihipStream_tbDpT10_ENKUlT_T0_E_clISt17integral_constantIbLb0EES1A_EEDaS15_S16_EUlS15_E_NS1_11comp_targetILNS1_3genE3ELNS1_11target_archE908ELNS1_3gpuE7ELNS1_3repE0EEENS1_30default_config_static_selectorELNS0_4arch9wavefront6targetE1EEEvT1_
    .private_segment_fixed_size: 0
    .sgpr_count:     6
    .sgpr_spill_count: 0
    .symbol:         _ZN7rocprim17ROCPRIM_400000_NS6detail17trampoline_kernelINS0_14default_configENS1_25partition_config_selectorILNS1_17partition_subalgoE9EllbEEZZNS1_14partition_implILS5_9ELb0ES3_jPlS8_PNS0_10empty_typeENS0_5tupleIJS8_S9_EEENSB_IJS8_SA_EEENS0_18inequality_wrapperIZN2at6native12_GLOBAL__N_124unique_dim_cuda_templateIbEESt5tupleIJNSF_6TensorESK_SK_EERKSK_lbbbEUlllE0_EEPmJS9_EEE10hipError_tPvRmT3_T4_T5_T6_T7_T9_mT8_P12ihipStream_tbDpT10_ENKUlT_T0_E_clISt17integral_constantIbLb0EES1A_EEDaS15_S16_EUlS15_E_NS1_11comp_targetILNS1_3genE3ELNS1_11target_archE908ELNS1_3gpuE7ELNS1_3repE0EEENS1_30default_config_static_selectorELNS0_4arch9wavefront6targetE1EEEvT1_.kd
    .uniform_work_group_size: 1
    .uses_dynamic_stack: false
    .vgpr_count:     0
    .vgpr_spill_count: 0
    .wavefront_size: 64
  - .agpr_count:     0
    .args:
      - .offset:         0
        .size:           120
        .value_kind:     by_value
    .group_segment_fixed_size: 0
    .kernarg_segment_align: 8
    .kernarg_segment_size: 120
    .language:       OpenCL C
    .language_version:
      - 2
      - 0
    .max_flat_workgroup_size: 192
    .name:           _ZN7rocprim17ROCPRIM_400000_NS6detail17trampoline_kernelINS0_14default_configENS1_25partition_config_selectorILNS1_17partition_subalgoE9EllbEEZZNS1_14partition_implILS5_9ELb0ES3_jPlS8_PNS0_10empty_typeENS0_5tupleIJS8_S9_EEENSB_IJS8_SA_EEENS0_18inequality_wrapperIZN2at6native12_GLOBAL__N_124unique_dim_cuda_templateIbEESt5tupleIJNSF_6TensorESK_SK_EERKSK_lbbbEUlllE0_EEPmJS9_EEE10hipError_tPvRmT3_T4_T5_T6_T7_T9_mT8_P12ihipStream_tbDpT10_ENKUlT_T0_E_clISt17integral_constantIbLb0EES1A_EEDaS15_S16_EUlS15_E_NS1_11comp_targetILNS1_3genE2ELNS1_11target_archE906ELNS1_3gpuE6ELNS1_3repE0EEENS1_30default_config_static_selectorELNS0_4arch9wavefront6targetE1EEEvT1_
    .private_segment_fixed_size: 0
    .sgpr_count:     6
    .sgpr_spill_count: 0
    .symbol:         _ZN7rocprim17ROCPRIM_400000_NS6detail17trampoline_kernelINS0_14default_configENS1_25partition_config_selectorILNS1_17partition_subalgoE9EllbEEZZNS1_14partition_implILS5_9ELb0ES3_jPlS8_PNS0_10empty_typeENS0_5tupleIJS8_S9_EEENSB_IJS8_SA_EEENS0_18inequality_wrapperIZN2at6native12_GLOBAL__N_124unique_dim_cuda_templateIbEESt5tupleIJNSF_6TensorESK_SK_EERKSK_lbbbEUlllE0_EEPmJS9_EEE10hipError_tPvRmT3_T4_T5_T6_T7_T9_mT8_P12ihipStream_tbDpT10_ENKUlT_T0_E_clISt17integral_constantIbLb0EES1A_EEDaS15_S16_EUlS15_E_NS1_11comp_targetILNS1_3genE2ELNS1_11target_archE906ELNS1_3gpuE6ELNS1_3repE0EEENS1_30default_config_static_selectorELNS0_4arch9wavefront6targetE1EEEvT1_.kd
    .uniform_work_group_size: 1
    .uses_dynamic_stack: false
    .vgpr_count:     0
    .vgpr_spill_count: 0
    .wavefront_size: 64
  - .agpr_count:     0
    .args:
      - .offset:         0
        .size:           120
        .value_kind:     by_value
    .group_segment_fixed_size: 0
    .kernarg_segment_align: 8
    .kernarg_segment_size: 120
    .language:       OpenCL C
    .language_version:
      - 2
      - 0
    .max_flat_workgroup_size: 384
    .name:           _ZN7rocprim17ROCPRIM_400000_NS6detail17trampoline_kernelINS0_14default_configENS1_25partition_config_selectorILNS1_17partition_subalgoE9EllbEEZZNS1_14partition_implILS5_9ELb0ES3_jPlS8_PNS0_10empty_typeENS0_5tupleIJS8_S9_EEENSB_IJS8_SA_EEENS0_18inequality_wrapperIZN2at6native12_GLOBAL__N_124unique_dim_cuda_templateIbEESt5tupleIJNSF_6TensorESK_SK_EERKSK_lbbbEUlllE0_EEPmJS9_EEE10hipError_tPvRmT3_T4_T5_T6_T7_T9_mT8_P12ihipStream_tbDpT10_ENKUlT_T0_E_clISt17integral_constantIbLb0EES1A_EEDaS15_S16_EUlS15_E_NS1_11comp_targetILNS1_3genE10ELNS1_11target_archE1200ELNS1_3gpuE4ELNS1_3repE0EEENS1_30default_config_static_selectorELNS0_4arch9wavefront6targetE1EEEvT1_
    .private_segment_fixed_size: 0
    .sgpr_count:     6
    .sgpr_spill_count: 0
    .symbol:         _ZN7rocprim17ROCPRIM_400000_NS6detail17trampoline_kernelINS0_14default_configENS1_25partition_config_selectorILNS1_17partition_subalgoE9EllbEEZZNS1_14partition_implILS5_9ELb0ES3_jPlS8_PNS0_10empty_typeENS0_5tupleIJS8_S9_EEENSB_IJS8_SA_EEENS0_18inequality_wrapperIZN2at6native12_GLOBAL__N_124unique_dim_cuda_templateIbEESt5tupleIJNSF_6TensorESK_SK_EERKSK_lbbbEUlllE0_EEPmJS9_EEE10hipError_tPvRmT3_T4_T5_T6_T7_T9_mT8_P12ihipStream_tbDpT10_ENKUlT_T0_E_clISt17integral_constantIbLb0EES1A_EEDaS15_S16_EUlS15_E_NS1_11comp_targetILNS1_3genE10ELNS1_11target_archE1200ELNS1_3gpuE4ELNS1_3repE0EEENS1_30default_config_static_selectorELNS0_4arch9wavefront6targetE1EEEvT1_.kd
    .uniform_work_group_size: 1
    .uses_dynamic_stack: false
    .vgpr_count:     0
    .vgpr_spill_count: 0
    .wavefront_size: 64
  - .agpr_count:     0
    .args:
      - .offset:         0
        .size:           120
        .value_kind:     by_value
    .group_segment_fixed_size: 0
    .kernarg_segment_align: 8
    .kernarg_segment_size: 120
    .language:       OpenCL C
    .language_version:
      - 2
      - 0
    .max_flat_workgroup_size: 512
    .name:           _ZN7rocprim17ROCPRIM_400000_NS6detail17trampoline_kernelINS0_14default_configENS1_25partition_config_selectorILNS1_17partition_subalgoE9EllbEEZZNS1_14partition_implILS5_9ELb0ES3_jPlS8_PNS0_10empty_typeENS0_5tupleIJS8_S9_EEENSB_IJS8_SA_EEENS0_18inequality_wrapperIZN2at6native12_GLOBAL__N_124unique_dim_cuda_templateIbEESt5tupleIJNSF_6TensorESK_SK_EERKSK_lbbbEUlllE0_EEPmJS9_EEE10hipError_tPvRmT3_T4_T5_T6_T7_T9_mT8_P12ihipStream_tbDpT10_ENKUlT_T0_E_clISt17integral_constantIbLb0EES1A_EEDaS15_S16_EUlS15_E_NS1_11comp_targetILNS1_3genE9ELNS1_11target_archE1100ELNS1_3gpuE3ELNS1_3repE0EEENS1_30default_config_static_selectorELNS0_4arch9wavefront6targetE1EEEvT1_
    .private_segment_fixed_size: 0
    .sgpr_count:     6
    .sgpr_spill_count: 0
    .symbol:         _ZN7rocprim17ROCPRIM_400000_NS6detail17trampoline_kernelINS0_14default_configENS1_25partition_config_selectorILNS1_17partition_subalgoE9EllbEEZZNS1_14partition_implILS5_9ELb0ES3_jPlS8_PNS0_10empty_typeENS0_5tupleIJS8_S9_EEENSB_IJS8_SA_EEENS0_18inequality_wrapperIZN2at6native12_GLOBAL__N_124unique_dim_cuda_templateIbEESt5tupleIJNSF_6TensorESK_SK_EERKSK_lbbbEUlllE0_EEPmJS9_EEE10hipError_tPvRmT3_T4_T5_T6_T7_T9_mT8_P12ihipStream_tbDpT10_ENKUlT_T0_E_clISt17integral_constantIbLb0EES1A_EEDaS15_S16_EUlS15_E_NS1_11comp_targetILNS1_3genE9ELNS1_11target_archE1100ELNS1_3gpuE3ELNS1_3repE0EEENS1_30default_config_static_selectorELNS0_4arch9wavefront6targetE1EEEvT1_.kd
    .uniform_work_group_size: 1
    .uses_dynamic_stack: false
    .vgpr_count:     0
    .vgpr_spill_count: 0
    .wavefront_size: 64
  - .agpr_count:     0
    .args:
      - .offset:         0
        .size:           120
        .value_kind:     by_value
    .group_segment_fixed_size: 0
    .kernarg_segment_align: 8
    .kernarg_segment_size: 120
    .language:       OpenCL C
    .language_version:
      - 2
      - 0
    .max_flat_workgroup_size: 512
    .name:           _ZN7rocprim17ROCPRIM_400000_NS6detail17trampoline_kernelINS0_14default_configENS1_25partition_config_selectorILNS1_17partition_subalgoE9EllbEEZZNS1_14partition_implILS5_9ELb0ES3_jPlS8_PNS0_10empty_typeENS0_5tupleIJS8_S9_EEENSB_IJS8_SA_EEENS0_18inequality_wrapperIZN2at6native12_GLOBAL__N_124unique_dim_cuda_templateIbEESt5tupleIJNSF_6TensorESK_SK_EERKSK_lbbbEUlllE0_EEPmJS9_EEE10hipError_tPvRmT3_T4_T5_T6_T7_T9_mT8_P12ihipStream_tbDpT10_ENKUlT_T0_E_clISt17integral_constantIbLb0EES1A_EEDaS15_S16_EUlS15_E_NS1_11comp_targetILNS1_3genE8ELNS1_11target_archE1030ELNS1_3gpuE2ELNS1_3repE0EEENS1_30default_config_static_selectorELNS0_4arch9wavefront6targetE1EEEvT1_
    .private_segment_fixed_size: 0
    .sgpr_count:     6
    .sgpr_spill_count: 0
    .symbol:         _ZN7rocprim17ROCPRIM_400000_NS6detail17trampoline_kernelINS0_14default_configENS1_25partition_config_selectorILNS1_17partition_subalgoE9EllbEEZZNS1_14partition_implILS5_9ELb0ES3_jPlS8_PNS0_10empty_typeENS0_5tupleIJS8_S9_EEENSB_IJS8_SA_EEENS0_18inequality_wrapperIZN2at6native12_GLOBAL__N_124unique_dim_cuda_templateIbEESt5tupleIJNSF_6TensorESK_SK_EERKSK_lbbbEUlllE0_EEPmJS9_EEE10hipError_tPvRmT3_T4_T5_T6_T7_T9_mT8_P12ihipStream_tbDpT10_ENKUlT_T0_E_clISt17integral_constantIbLb0EES1A_EEDaS15_S16_EUlS15_E_NS1_11comp_targetILNS1_3genE8ELNS1_11target_archE1030ELNS1_3gpuE2ELNS1_3repE0EEENS1_30default_config_static_selectorELNS0_4arch9wavefront6targetE1EEEvT1_.kd
    .uniform_work_group_size: 1
    .uses_dynamic_stack: false
    .vgpr_count:     0
    .vgpr_spill_count: 0
    .wavefront_size: 64
  - .agpr_count:     0
    .args:
      - .offset:         0
        .size:           136
        .value_kind:     by_value
    .group_segment_fixed_size: 0
    .kernarg_segment_align: 8
    .kernarg_segment_size: 136
    .language:       OpenCL C
    .language_version:
      - 2
      - 0
    .max_flat_workgroup_size: 128
    .name:           _ZN7rocprim17ROCPRIM_400000_NS6detail17trampoline_kernelINS0_14default_configENS1_25partition_config_selectorILNS1_17partition_subalgoE9EllbEEZZNS1_14partition_implILS5_9ELb0ES3_jPlS8_PNS0_10empty_typeENS0_5tupleIJS8_S9_EEENSB_IJS8_SA_EEENS0_18inequality_wrapperIZN2at6native12_GLOBAL__N_124unique_dim_cuda_templateIbEESt5tupleIJNSF_6TensorESK_SK_EERKSK_lbbbEUlllE0_EEPmJS9_EEE10hipError_tPvRmT3_T4_T5_T6_T7_T9_mT8_P12ihipStream_tbDpT10_ENKUlT_T0_E_clISt17integral_constantIbLb1EES1A_EEDaS15_S16_EUlS15_E_NS1_11comp_targetILNS1_3genE0ELNS1_11target_archE4294967295ELNS1_3gpuE0ELNS1_3repE0EEENS1_30default_config_static_selectorELNS0_4arch9wavefront6targetE1EEEvT1_
    .private_segment_fixed_size: 0
    .sgpr_count:     6
    .sgpr_spill_count: 0
    .symbol:         _ZN7rocprim17ROCPRIM_400000_NS6detail17trampoline_kernelINS0_14default_configENS1_25partition_config_selectorILNS1_17partition_subalgoE9EllbEEZZNS1_14partition_implILS5_9ELb0ES3_jPlS8_PNS0_10empty_typeENS0_5tupleIJS8_S9_EEENSB_IJS8_SA_EEENS0_18inequality_wrapperIZN2at6native12_GLOBAL__N_124unique_dim_cuda_templateIbEESt5tupleIJNSF_6TensorESK_SK_EERKSK_lbbbEUlllE0_EEPmJS9_EEE10hipError_tPvRmT3_T4_T5_T6_T7_T9_mT8_P12ihipStream_tbDpT10_ENKUlT_T0_E_clISt17integral_constantIbLb1EES1A_EEDaS15_S16_EUlS15_E_NS1_11comp_targetILNS1_3genE0ELNS1_11target_archE4294967295ELNS1_3gpuE0ELNS1_3repE0EEENS1_30default_config_static_selectorELNS0_4arch9wavefront6targetE1EEEvT1_.kd
    .uniform_work_group_size: 1
    .uses_dynamic_stack: false
    .vgpr_count:     0
    .vgpr_spill_count: 0
    .wavefront_size: 64
  - .agpr_count:     0
    .args:
      - .offset:         0
        .size:           136
        .value_kind:     by_value
    .group_segment_fixed_size: 0
    .kernarg_segment_align: 8
    .kernarg_segment_size: 136
    .language:       OpenCL C
    .language_version:
      - 2
      - 0
    .max_flat_workgroup_size: 512
    .name:           _ZN7rocprim17ROCPRIM_400000_NS6detail17trampoline_kernelINS0_14default_configENS1_25partition_config_selectorILNS1_17partition_subalgoE9EllbEEZZNS1_14partition_implILS5_9ELb0ES3_jPlS8_PNS0_10empty_typeENS0_5tupleIJS8_S9_EEENSB_IJS8_SA_EEENS0_18inequality_wrapperIZN2at6native12_GLOBAL__N_124unique_dim_cuda_templateIbEESt5tupleIJNSF_6TensorESK_SK_EERKSK_lbbbEUlllE0_EEPmJS9_EEE10hipError_tPvRmT3_T4_T5_T6_T7_T9_mT8_P12ihipStream_tbDpT10_ENKUlT_T0_E_clISt17integral_constantIbLb1EES1A_EEDaS15_S16_EUlS15_E_NS1_11comp_targetILNS1_3genE5ELNS1_11target_archE942ELNS1_3gpuE9ELNS1_3repE0EEENS1_30default_config_static_selectorELNS0_4arch9wavefront6targetE1EEEvT1_
    .private_segment_fixed_size: 0
    .sgpr_count:     6
    .sgpr_spill_count: 0
    .symbol:         _ZN7rocprim17ROCPRIM_400000_NS6detail17trampoline_kernelINS0_14default_configENS1_25partition_config_selectorILNS1_17partition_subalgoE9EllbEEZZNS1_14partition_implILS5_9ELb0ES3_jPlS8_PNS0_10empty_typeENS0_5tupleIJS8_S9_EEENSB_IJS8_SA_EEENS0_18inequality_wrapperIZN2at6native12_GLOBAL__N_124unique_dim_cuda_templateIbEESt5tupleIJNSF_6TensorESK_SK_EERKSK_lbbbEUlllE0_EEPmJS9_EEE10hipError_tPvRmT3_T4_T5_T6_T7_T9_mT8_P12ihipStream_tbDpT10_ENKUlT_T0_E_clISt17integral_constantIbLb1EES1A_EEDaS15_S16_EUlS15_E_NS1_11comp_targetILNS1_3genE5ELNS1_11target_archE942ELNS1_3gpuE9ELNS1_3repE0EEENS1_30default_config_static_selectorELNS0_4arch9wavefront6targetE1EEEvT1_.kd
    .uniform_work_group_size: 1
    .uses_dynamic_stack: false
    .vgpr_count:     0
    .vgpr_spill_count: 0
    .wavefront_size: 64
  - .agpr_count:     0
    .args:
      - .offset:         0
        .size:           136
        .value_kind:     by_value
    .group_segment_fixed_size: 0
    .kernarg_segment_align: 8
    .kernarg_segment_size: 136
    .language:       OpenCL C
    .language_version:
      - 2
      - 0
    .max_flat_workgroup_size: 128
    .name:           _ZN7rocprim17ROCPRIM_400000_NS6detail17trampoline_kernelINS0_14default_configENS1_25partition_config_selectorILNS1_17partition_subalgoE9EllbEEZZNS1_14partition_implILS5_9ELb0ES3_jPlS8_PNS0_10empty_typeENS0_5tupleIJS8_S9_EEENSB_IJS8_SA_EEENS0_18inequality_wrapperIZN2at6native12_GLOBAL__N_124unique_dim_cuda_templateIbEESt5tupleIJNSF_6TensorESK_SK_EERKSK_lbbbEUlllE0_EEPmJS9_EEE10hipError_tPvRmT3_T4_T5_T6_T7_T9_mT8_P12ihipStream_tbDpT10_ENKUlT_T0_E_clISt17integral_constantIbLb1EES1A_EEDaS15_S16_EUlS15_E_NS1_11comp_targetILNS1_3genE4ELNS1_11target_archE910ELNS1_3gpuE8ELNS1_3repE0EEENS1_30default_config_static_selectorELNS0_4arch9wavefront6targetE1EEEvT1_
    .private_segment_fixed_size: 0
    .sgpr_count:     6
    .sgpr_spill_count: 0
    .symbol:         _ZN7rocprim17ROCPRIM_400000_NS6detail17trampoline_kernelINS0_14default_configENS1_25partition_config_selectorILNS1_17partition_subalgoE9EllbEEZZNS1_14partition_implILS5_9ELb0ES3_jPlS8_PNS0_10empty_typeENS0_5tupleIJS8_S9_EEENSB_IJS8_SA_EEENS0_18inequality_wrapperIZN2at6native12_GLOBAL__N_124unique_dim_cuda_templateIbEESt5tupleIJNSF_6TensorESK_SK_EERKSK_lbbbEUlllE0_EEPmJS9_EEE10hipError_tPvRmT3_T4_T5_T6_T7_T9_mT8_P12ihipStream_tbDpT10_ENKUlT_T0_E_clISt17integral_constantIbLb1EES1A_EEDaS15_S16_EUlS15_E_NS1_11comp_targetILNS1_3genE4ELNS1_11target_archE910ELNS1_3gpuE8ELNS1_3repE0EEENS1_30default_config_static_selectorELNS0_4arch9wavefront6targetE1EEEvT1_.kd
    .uniform_work_group_size: 1
    .uses_dynamic_stack: false
    .vgpr_count:     0
    .vgpr_spill_count: 0
    .wavefront_size: 64
  - .agpr_count:     0
    .args:
      - .offset:         0
        .size:           136
        .value_kind:     by_value
    .group_segment_fixed_size: 0
    .kernarg_segment_align: 8
    .kernarg_segment_size: 136
    .language:       OpenCL C
    .language_version:
      - 2
      - 0
    .max_flat_workgroup_size: 128
    .name:           _ZN7rocprim17ROCPRIM_400000_NS6detail17trampoline_kernelINS0_14default_configENS1_25partition_config_selectorILNS1_17partition_subalgoE9EllbEEZZNS1_14partition_implILS5_9ELb0ES3_jPlS8_PNS0_10empty_typeENS0_5tupleIJS8_S9_EEENSB_IJS8_SA_EEENS0_18inequality_wrapperIZN2at6native12_GLOBAL__N_124unique_dim_cuda_templateIbEESt5tupleIJNSF_6TensorESK_SK_EERKSK_lbbbEUlllE0_EEPmJS9_EEE10hipError_tPvRmT3_T4_T5_T6_T7_T9_mT8_P12ihipStream_tbDpT10_ENKUlT_T0_E_clISt17integral_constantIbLb1EES1A_EEDaS15_S16_EUlS15_E_NS1_11comp_targetILNS1_3genE3ELNS1_11target_archE908ELNS1_3gpuE7ELNS1_3repE0EEENS1_30default_config_static_selectorELNS0_4arch9wavefront6targetE1EEEvT1_
    .private_segment_fixed_size: 0
    .sgpr_count:     6
    .sgpr_spill_count: 0
    .symbol:         _ZN7rocprim17ROCPRIM_400000_NS6detail17trampoline_kernelINS0_14default_configENS1_25partition_config_selectorILNS1_17partition_subalgoE9EllbEEZZNS1_14partition_implILS5_9ELb0ES3_jPlS8_PNS0_10empty_typeENS0_5tupleIJS8_S9_EEENSB_IJS8_SA_EEENS0_18inequality_wrapperIZN2at6native12_GLOBAL__N_124unique_dim_cuda_templateIbEESt5tupleIJNSF_6TensorESK_SK_EERKSK_lbbbEUlllE0_EEPmJS9_EEE10hipError_tPvRmT3_T4_T5_T6_T7_T9_mT8_P12ihipStream_tbDpT10_ENKUlT_T0_E_clISt17integral_constantIbLb1EES1A_EEDaS15_S16_EUlS15_E_NS1_11comp_targetILNS1_3genE3ELNS1_11target_archE908ELNS1_3gpuE7ELNS1_3repE0EEENS1_30default_config_static_selectorELNS0_4arch9wavefront6targetE1EEEvT1_.kd
    .uniform_work_group_size: 1
    .uses_dynamic_stack: false
    .vgpr_count:     0
    .vgpr_spill_count: 0
    .wavefront_size: 64
  - .agpr_count:     0
    .args:
      - .offset:         0
        .size:           136
        .value_kind:     by_value
    .group_segment_fixed_size: 0
    .kernarg_segment_align: 8
    .kernarg_segment_size: 136
    .language:       OpenCL C
    .language_version:
      - 2
      - 0
    .max_flat_workgroup_size: 192
    .name:           _ZN7rocprim17ROCPRIM_400000_NS6detail17trampoline_kernelINS0_14default_configENS1_25partition_config_selectorILNS1_17partition_subalgoE9EllbEEZZNS1_14partition_implILS5_9ELb0ES3_jPlS8_PNS0_10empty_typeENS0_5tupleIJS8_S9_EEENSB_IJS8_SA_EEENS0_18inequality_wrapperIZN2at6native12_GLOBAL__N_124unique_dim_cuda_templateIbEESt5tupleIJNSF_6TensorESK_SK_EERKSK_lbbbEUlllE0_EEPmJS9_EEE10hipError_tPvRmT3_T4_T5_T6_T7_T9_mT8_P12ihipStream_tbDpT10_ENKUlT_T0_E_clISt17integral_constantIbLb1EES1A_EEDaS15_S16_EUlS15_E_NS1_11comp_targetILNS1_3genE2ELNS1_11target_archE906ELNS1_3gpuE6ELNS1_3repE0EEENS1_30default_config_static_selectorELNS0_4arch9wavefront6targetE1EEEvT1_
    .private_segment_fixed_size: 0
    .sgpr_count:     6
    .sgpr_spill_count: 0
    .symbol:         _ZN7rocprim17ROCPRIM_400000_NS6detail17trampoline_kernelINS0_14default_configENS1_25partition_config_selectorILNS1_17partition_subalgoE9EllbEEZZNS1_14partition_implILS5_9ELb0ES3_jPlS8_PNS0_10empty_typeENS0_5tupleIJS8_S9_EEENSB_IJS8_SA_EEENS0_18inequality_wrapperIZN2at6native12_GLOBAL__N_124unique_dim_cuda_templateIbEESt5tupleIJNSF_6TensorESK_SK_EERKSK_lbbbEUlllE0_EEPmJS9_EEE10hipError_tPvRmT3_T4_T5_T6_T7_T9_mT8_P12ihipStream_tbDpT10_ENKUlT_T0_E_clISt17integral_constantIbLb1EES1A_EEDaS15_S16_EUlS15_E_NS1_11comp_targetILNS1_3genE2ELNS1_11target_archE906ELNS1_3gpuE6ELNS1_3repE0EEENS1_30default_config_static_selectorELNS0_4arch9wavefront6targetE1EEEvT1_.kd
    .uniform_work_group_size: 1
    .uses_dynamic_stack: false
    .vgpr_count:     0
    .vgpr_spill_count: 0
    .wavefront_size: 64
  - .agpr_count:     0
    .args:
      - .offset:         0
        .size:           136
        .value_kind:     by_value
    .group_segment_fixed_size: 0
    .kernarg_segment_align: 8
    .kernarg_segment_size: 136
    .language:       OpenCL C
    .language_version:
      - 2
      - 0
    .max_flat_workgroup_size: 384
    .name:           _ZN7rocprim17ROCPRIM_400000_NS6detail17trampoline_kernelINS0_14default_configENS1_25partition_config_selectorILNS1_17partition_subalgoE9EllbEEZZNS1_14partition_implILS5_9ELb0ES3_jPlS8_PNS0_10empty_typeENS0_5tupleIJS8_S9_EEENSB_IJS8_SA_EEENS0_18inequality_wrapperIZN2at6native12_GLOBAL__N_124unique_dim_cuda_templateIbEESt5tupleIJNSF_6TensorESK_SK_EERKSK_lbbbEUlllE0_EEPmJS9_EEE10hipError_tPvRmT3_T4_T5_T6_T7_T9_mT8_P12ihipStream_tbDpT10_ENKUlT_T0_E_clISt17integral_constantIbLb1EES1A_EEDaS15_S16_EUlS15_E_NS1_11comp_targetILNS1_3genE10ELNS1_11target_archE1200ELNS1_3gpuE4ELNS1_3repE0EEENS1_30default_config_static_selectorELNS0_4arch9wavefront6targetE1EEEvT1_
    .private_segment_fixed_size: 0
    .sgpr_count:     6
    .sgpr_spill_count: 0
    .symbol:         _ZN7rocprim17ROCPRIM_400000_NS6detail17trampoline_kernelINS0_14default_configENS1_25partition_config_selectorILNS1_17partition_subalgoE9EllbEEZZNS1_14partition_implILS5_9ELb0ES3_jPlS8_PNS0_10empty_typeENS0_5tupleIJS8_S9_EEENSB_IJS8_SA_EEENS0_18inequality_wrapperIZN2at6native12_GLOBAL__N_124unique_dim_cuda_templateIbEESt5tupleIJNSF_6TensorESK_SK_EERKSK_lbbbEUlllE0_EEPmJS9_EEE10hipError_tPvRmT3_T4_T5_T6_T7_T9_mT8_P12ihipStream_tbDpT10_ENKUlT_T0_E_clISt17integral_constantIbLb1EES1A_EEDaS15_S16_EUlS15_E_NS1_11comp_targetILNS1_3genE10ELNS1_11target_archE1200ELNS1_3gpuE4ELNS1_3repE0EEENS1_30default_config_static_selectorELNS0_4arch9wavefront6targetE1EEEvT1_.kd
    .uniform_work_group_size: 1
    .uses_dynamic_stack: false
    .vgpr_count:     0
    .vgpr_spill_count: 0
    .wavefront_size: 64
  - .agpr_count:     0
    .args:
      - .offset:         0
        .size:           136
        .value_kind:     by_value
    .group_segment_fixed_size: 0
    .kernarg_segment_align: 8
    .kernarg_segment_size: 136
    .language:       OpenCL C
    .language_version:
      - 2
      - 0
    .max_flat_workgroup_size: 512
    .name:           _ZN7rocprim17ROCPRIM_400000_NS6detail17trampoline_kernelINS0_14default_configENS1_25partition_config_selectorILNS1_17partition_subalgoE9EllbEEZZNS1_14partition_implILS5_9ELb0ES3_jPlS8_PNS0_10empty_typeENS0_5tupleIJS8_S9_EEENSB_IJS8_SA_EEENS0_18inequality_wrapperIZN2at6native12_GLOBAL__N_124unique_dim_cuda_templateIbEESt5tupleIJNSF_6TensorESK_SK_EERKSK_lbbbEUlllE0_EEPmJS9_EEE10hipError_tPvRmT3_T4_T5_T6_T7_T9_mT8_P12ihipStream_tbDpT10_ENKUlT_T0_E_clISt17integral_constantIbLb1EES1A_EEDaS15_S16_EUlS15_E_NS1_11comp_targetILNS1_3genE9ELNS1_11target_archE1100ELNS1_3gpuE3ELNS1_3repE0EEENS1_30default_config_static_selectorELNS0_4arch9wavefront6targetE1EEEvT1_
    .private_segment_fixed_size: 0
    .sgpr_count:     6
    .sgpr_spill_count: 0
    .symbol:         _ZN7rocprim17ROCPRIM_400000_NS6detail17trampoline_kernelINS0_14default_configENS1_25partition_config_selectorILNS1_17partition_subalgoE9EllbEEZZNS1_14partition_implILS5_9ELb0ES3_jPlS8_PNS0_10empty_typeENS0_5tupleIJS8_S9_EEENSB_IJS8_SA_EEENS0_18inequality_wrapperIZN2at6native12_GLOBAL__N_124unique_dim_cuda_templateIbEESt5tupleIJNSF_6TensorESK_SK_EERKSK_lbbbEUlllE0_EEPmJS9_EEE10hipError_tPvRmT3_T4_T5_T6_T7_T9_mT8_P12ihipStream_tbDpT10_ENKUlT_T0_E_clISt17integral_constantIbLb1EES1A_EEDaS15_S16_EUlS15_E_NS1_11comp_targetILNS1_3genE9ELNS1_11target_archE1100ELNS1_3gpuE3ELNS1_3repE0EEENS1_30default_config_static_selectorELNS0_4arch9wavefront6targetE1EEEvT1_.kd
    .uniform_work_group_size: 1
    .uses_dynamic_stack: false
    .vgpr_count:     0
    .vgpr_spill_count: 0
    .wavefront_size: 64
  - .agpr_count:     0
    .args:
      - .offset:         0
        .size:           136
        .value_kind:     by_value
    .group_segment_fixed_size: 0
    .kernarg_segment_align: 8
    .kernarg_segment_size: 136
    .language:       OpenCL C
    .language_version:
      - 2
      - 0
    .max_flat_workgroup_size: 512
    .name:           _ZN7rocprim17ROCPRIM_400000_NS6detail17trampoline_kernelINS0_14default_configENS1_25partition_config_selectorILNS1_17partition_subalgoE9EllbEEZZNS1_14partition_implILS5_9ELb0ES3_jPlS8_PNS0_10empty_typeENS0_5tupleIJS8_S9_EEENSB_IJS8_SA_EEENS0_18inequality_wrapperIZN2at6native12_GLOBAL__N_124unique_dim_cuda_templateIbEESt5tupleIJNSF_6TensorESK_SK_EERKSK_lbbbEUlllE0_EEPmJS9_EEE10hipError_tPvRmT3_T4_T5_T6_T7_T9_mT8_P12ihipStream_tbDpT10_ENKUlT_T0_E_clISt17integral_constantIbLb1EES1A_EEDaS15_S16_EUlS15_E_NS1_11comp_targetILNS1_3genE8ELNS1_11target_archE1030ELNS1_3gpuE2ELNS1_3repE0EEENS1_30default_config_static_selectorELNS0_4arch9wavefront6targetE1EEEvT1_
    .private_segment_fixed_size: 0
    .sgpr_count:     6
    .sgpr_spill_count: 0
    .symbol:         _ZN7rocprim17ROCPRIM_400000_NS6detail17trampoline_kernelINS0_14default_configENS1_25partition_config_selectorILNS1_17partition_subalgoE9EllbEEZZNS1_14partition_implILS5_9ELb0ES3_jPlS8_PNS0_10empty_typeENS0_5tupleIJS8_S9_EEENSB_IJS8_SA_EEENS0_18inequality_wrapperIZN2at6native12_GLOBAL__N_124unique_dim_cuda_templateIbEESt5tupleIJNSF_6TensorESK_SK_EERKSK_lbbbEUlllE0_EEPmJS9_EEE10hipError_tPvRmT3_T4_T5_T6_T7_T9_mT8_P12ihipStream_tbDpT10_ENKUlT_T0_E_clISt17integral_constantIbLb1EES1A_EEDaS15_S16_EUlS15_E_NS1_11comp_targetILNS1_3genE8ELNS1_11target_archE1030ELNS1_3gpuE2ELNS1_3repE0EEENS1_30default_config_static_selectorELNS0_4arch9wavefront6targetE1EEEvT1_.kd
    .uniform_work_group_size: 1
    .uses_dynamic_stack: false
    .vgpr_count:     0
    .vgpr_spill_count: 0
    .wavefront_size: 64
  - .agpr_count:     0
    .args:
      - .offset:         0
        .size:           120
        .value_kind:     by_value
    .group_segment_fixed_size: 0
    .kernarg_segment_align: 8
    .kernarg_segment_size: 120
    .language:       OpenCL C
    .language_version:
      - 2
      - 0
    .max_flat_workgroup_size: 128
    .name:           _ZN7rocprim17ROCPRIM_400000_NS6detail17trampoline_kernelINS0_14default_configENS1_25partition_config_selectorILNS1_17partition_subalgoE9EllbEEZZNS1_14partition_implILS5_9ELb0ES3_jPlS8_PNS0_10empty_typeENS0_5tupleIJS8_S9_EEENSB_IJS8_SA_EEENS0_18inequality_wrapperIZN2at6native12_GLOBAL__N_124unique_dim_cuda_templateIbEESt5tupleIJNSF_6TensorESK_SK_EERKSK_lbbbEUlllE0_EEPmJS9_EEE10hipError_tPvRmT3_T4_T5_T6_T7_T9_mT8_P12ihipStream_tbDpT10_ENKUlT_T0_E_clISt17integral_constantIbLb1EES19_IbLb0EEEEDaS15_S16_EUlS15_E_NS1_11comp_targetILNS1_3genE0ELNS1_11target_archE4294967295ELNS1_3gpuE0ELNS1_3repE0EEENS1_30default_config_static_selectorELNS0_4arch9wavefront6targetE1EEEvT1_
    .private_segment_fixed_size: 0
    .sgpr_count:     6
    .sgpr_spill_count: 0
    .symbol:         _ZN7rocprim17ROCPRIM_400000_NS6detail17trampoline_kernelINS0_14default_configENS1_25partition_config_selectorILNS1_17partition_subalgoE9EllbEEZZNS1_14partition_implILS5_9ELb0ES3_jPlS8_PNS0_10empty_typeENS0_5tupleIJS8_S9_EEENSB_IJS8_SA_EEENS0_18inequality_wrapperIZN2at6native12_GLOBAL__N_124unique_dim_cuda_templateIbEESt5tupleIJNSF_6TensorESK_SK_EERKSK_lbbbEUlllE0_EEPmJS9_EEE10hipError_tPvRmT3_T4_T5_T6_T7_T9_mT8_P12ihipStream_tbDpT10_ENKUlT_T0_E_clISt17integral_constantIbLb1EES19_IbLb0EEEEDaS15_S16_EUlS15_E_NS1_11comp_targetILNS1_3genE0ELNS1_11target_archE4294967295ELNS1_3gpuE0ELNS1_3repE0EEENS1_30default_config_static_selectorELNS0_4arch9wavefront6targetE1EEEvT1_.kd
    .uniform_work_group_size: 1
    .uses_dynamic_stack: false
    .vgpr_count:     0
    .vgpr_spill_count: 0
    .wavefront_size: 64
  - .agpr_count:     0
    .args:
      - .offset:         0
        .size:           120
        .value_kind:     by_value
    .group_segment_fixed_size: 0
    .kernarg_segment_align: 8
    .kernarg_segment_size: 120
    .language:       OpenCL C
    .language_version:
      - 2
      - 0
    .max_flat_workgroup_size: 512
    .name:           _ZN7rocprim17ROCPRIM_400000_NS6detail17trampoline_kernelINS0_14default_configENS1_25partition_config_selectorILNS1_17partition_subalgoE9EllbEEZZNS1_14partition_implILS5_9ELb0ES3_jPlS8_PNS0_10empty_typeENS0_5tupleIJS8_S9_EEENSB_IJS8_SA_EEENS0_18inequality_wrapperIZN2at6native12_GLOBAL__N_124unique_dim_cuda_templateIbEESt5tupleIJNSF_6TensorESK_SK_EERKSK_lbbbEUlllE0_EEPmJS9_EEE10hipError_tPvRmT3_T4_T5_T6_T7_T9_mT8_P12ihipStream_tbDpT10_ENKUlT_T0_E_clISt17integral_constantIbLb1EES19_IbLb0EEEEDaS15_S16_EUlS15_E_NS1_11comp_targetILNS1_3genE5ELNS1_11target_archE942ELNS1_3gpuE9ELNS1_3repE0EEENS1_30default_config_static_selectorELNS0_4arch9wavefront6targetE1EEEvT1_
    .private_segment_fixed_size: 0
    .sgpr_count:     6
    .sgpr_spill_count: 0
    .symbol:         _ZN7rocprim17ROCPRIM_400000_NS6detail17trampoline_kernelINS0_14default_configENS1_25partition_config_selectorILNS1_17partition_subalgoE9EllbEEZZNS1_14partition_implILS5_9ELb0ES3_jPlS8_PNS0_10empty_typeENS0_5tupleIJS8_S9_EEENSB_IJS8_SA_EEENS0_18inequality_wrapperIZN2at6native12_GLOBAL__N_124unique_dim_cuda_templateIbEESt5tupleIJNSF_6TensorESK_SK_EERKSK_lbbbEUlllE0_EEPmJS9_EEE10hipError_tPvRmT3_T4_T5_T6_T7_T9_mT8_P12ihipStream_tbDpT10_ENKUlT_T0_E_clISt17integral_constantIbLb1EES19_IbLb0EEEEDaS15_S16_EUlS15_E_NS1_11comp_targetILNS1_3genE5ELNS1_11target_archE942ELNS1_3gpuE9ELNS1_3repE0EEENS1_30default_config_static_selectorELNS0_4arch9wavefront6targetE1EEEvT1_.kd
    .uniform_work_group_size: 1
    .uses_dynamic_stack: false
    .vgpr_count:     0
    .vgpr_spill_count: 0
    .wavefront_size: 64
  - .agpr_count:     0
    .args:
      - .offset:         0
        .size:           120
        .value_kind:     by_value
    .group_segment_fixed_size: 0
    .kernarg_segment_align: 8
    .kernarg_segment_size: 120
    .language:       OpenCL C
    .language_version:
      - 2
      - 0
    .max_flat_workgroup_size: 128
    .name:           _ZN7rocprim17ROCPRIM_400000_NS6detail17trampoline_kernelINS0_14default_configENS1_25partition_config_selectorILNS1_17partition_subalgoE9EllbEEZZNS1_14partition_implILS5_9ELb0ES3_jPlS8_PNS0_10empty_typeENS0_5tupleIJS8_S9_EEENSB_IJS8_SA_EEENS0_18inequality_wrapperIZN2at6native12_GLOBAL__N_124unique_dim_cuda_templateIbEESt5tupleIJNSF_6TensorESK_SK_EERKSK_lbbbEUlllE0_EEPmJS9_EEE10hipError_tPvRmT3_T4_T5_T6_T7_T9_mT8_P12ihipStream_tbDpT10_ENKUlT_T0_E_clISt17integral_constantIbLb1EES19_IbLb0EEEEDaS15_S16_EUlS15_E_NS1_11comp_targetILNS1_3genE4ELNS1_11target_archE910ELNS1_3gpuE8ELNS1_3repE0EEENS1_30default_config_static_selectorELNS0_4arch9wavefront6targetE1EEEvT1_
    .private_segment_fixed_size: 0
    .sgpr_count:     6
    .sgpr_spill_count: 0
    .symbol:         _ZN7rocprim17ROCPRIM_400000_NS6detail17trampoline_kernelINS0_14default_configENS1_25partition_config_selectorILNS1_17partition_subalgoE9EllbEEZZNS1_14partition_implILS5_9ELb0ES3_jPlS8_PNS0_10empty_typeENS0_5tupleIJS8_S9_EEENSB_IJS8_SA_EEENS0_18inequality_wrapperIZN2at6native12_GLOBAL__N_124unique_dim_cuda_templateIbEESt5tupleIJNSF_6TensorESK_SK_EERKSK_lbbbEUlllE0_EEPmJS9_EEE10hipError_tPvRmT3_T4_T5_T6_T7_T9_mT8_P12ihipStream_tbDpT10_ENKUlT_T0_E_clISt17integral_constantIbLb1EES19_IbLb0EEEEDaS15_S16_EUlS15_E_NS1_11comp_targetILNS1_3genE4ELNS1_11target_archE910ELNS1_3gpuE8ELNS1_3repE0EEENS1_30default_config_static_selectorELNS0_4arch9wavefront6targetE1EEEvT1_.kd
    .uniform_work_group_size: 1
    .uses_dynamic_stack: false
    .vgpr_count:     0
    .vgpr_spill_count: 0
    .wavefront_size: 64
  - .agpr_count:     0
    .args:
      - .offset:         0
        .size:           120
        .value_kind:     by_value
    .group_segment_fixed_size: 0
    .kernarg_segment_align: 8
    .kernarg_segment_size: 120
    .language:       OpenCL C
    .language_version:
      - 2
      - 0
    .max_flat_workgroup_size: 128
    .name:           _ZN7rocprim17ROCPRIM_400000_NS6detail17trampoline_kernelINS0_14default_configENS1_25partition_config_selectorILNS1_17partition_subalgoE9EllbEEZZNS1_14partition_implILS5_9ELb0ES3_jPlS8_PNS0_10empty_typeENS0_5tupleIJS8_S9_EEENSB_IJS8_SA_EEENS0_18inequality_wrapperIZN2at6native12_GLOBAL__N_124unique_dim_cuda_templateIbEESt5tupleIJNSF_6TensorESK_SK_EERKSK_lbbbEUlllE0_EEPmJS9_EEE10hipError_tPvRmT3_T4_T5_T6_T7_T9_mT8_P12ihipStream_tbDpT10_ENKUlT_T0_E_clISt17integral_constantIbLb1EES19_IbLb0EEEEDaS15_S16_EUlS15_E_NS1_11comp_targetILNS1_3genE3ELNS1_11target_archE908ELNS1_3gpuE7ELNS1_3repE0EEENS1_30default_config_static_selectorELNS0_4arch9wavefront6targetE1EEEvT1_
    .private_segment_fixed_size: 0
    .sgpr_count:     6
    .sgpr_spill_count: 0
    .symbol:         _ZN7rocprim17ROCPRIM_400000_NS6detail17trampoline_kernelINS0_14default_configENS1_25partition_config_selectorILNS1_17partition_subalgoE9EllbEEZZNS1_14partition_implILS5_9ELb0ES3_jPlS8_PNS0_10empty_typeENS0_5tupleIJS8_S9_EEENSB_IJS8_SA_EEENS0_18inequality_wrapperIZN2at6native12_GLOBAL__N_124unique_dim_cuda_templateIbEESt5tupleIJNSF_6TensorESK_SK_EERKSK_lbbbEUlllE0_EEPmJS9_EEE10hipError_tPvRmT3_T4_T5_T6_T7_T9_mT8_P12ihipStream_tbDpT10_ENKUlT_T0_E_clISt17integral_constantIbLb1EES19_IbLb0EEEEDaS15_S16_EUlS15_E_NS1_11comp_targetILNS1_3genE3ELNS1_11target_archE908ELNS1_3gpuE7ELNS1_3repE0EEENS1_30default_config_static_selectorELNS0_4arch9wavefront6targetE1EEEvT1_.kd
    .uniform_work_group_size: 1
    .uses_dynamic_stack: false
    .vgpr_count:     0
    .vgpr_spill_count: 0
    .wavefront_size: 64
  - .agpr_count:     0
    .args:
      - .offset:         0
        .size:           120
        .value_kind:     by_value
    .group_segment_fixed_size: 0
    .kernarg_segment_align: 8
    .kernarg_segment_size: 120
    .language:       OpenCL C
    .language_version:
      - 2
      - 0
    .max_flat_workgroup_size: 192
    .name:           _ZN7rocprim17ROCPRIM_400000_NS6detail17trampoline_kernelINS0_14default_configENS1_25partition_config_selectorILNS1_17partition_subalgoE9EllbEEZZNS1_14partition_implILS5_9ELb0ES3_jPlS8_PNS0_10empty_typeENS0_5tupleIJS8_S9_EEENSB_IJS8_SA_EEENS0_18inequality_wrapperIZN2at6native12_GLOBAL__N_124unique_dim_cuda_templateIbEESt5tupleIJNSF_6TensorESK_SK_EERKSK_lbbbEUlllE0_EEPmJS9_EEE10hipError_tPvRmT3_T4_T5_T6_T7_T9_mT8_P12ihipStream_tbDpT10_ENKUlT_T0_E_clISt17integral_constantIbLb1EES19_IbLb0EEEEDaS15_S16_EUlS15_E_NS1_11comp_targetILNS1_3genE2ELNS1_11target_archE906ELNS1_3gpuE6ELNS1_3repE0EEENS1_30default_config_static_selectorELNS0_4arch9wavefront6targetE1EEEvT1_
    .private_segment_fixed_size: 0
    .sgpr_count:     6
    .sgpr_spill_count: 0
    .symbol:         _ZN7rocprim17ROCPRIM_400000_NS6detail17trampoline_kernelINS0_14default_configENS1_25partition_config_selectorILNS1_17partition_subalgoE9EllbEEZZNS1_14partition_implILS5_9ELb0ES3_jPlS8_PNS0_10empty_typeENS0_5tupleIJS8_S9_EEENSB_IJS8_SA_EEENS0_18inequality_wrapperIZN2at6native12_GLOBAL__N_124unique_dim_cuda_templateIbEESt5tupleIJNSF_6TensorESK_SK_EERKSK_lbbbEUlllE0_EEPmJS9_EEE10hipError_tPvRmT3_T4_T5_T6_T7_T9_mT8_P12ihipStream_tbDpT10_ENKUlT_T0_E_clISt17integral_constantIbLb1EES19_IbLb0EEEEDaS15_S16_EUlS15_E_NS1_11comp_targetILNS1_3genE2ELNS1_11target_archE906ELNS1_3gpuE6ELNS1_3repE0EEENS1_30default_config_static_selectorELNS0_4arch9wavefront6targetE1EEEvT1_.kd
    .uniform_work_group_size: 1
    .uses_dynamic_stack: false
    .vgpr_count:     0
    .vgpr_spill_count: 0
    .wavefront_size: 64
  - .agpr_count:     0
    .args:
      - .offset:         0
        .size:           120
        .value_kind:     by_value
    .group_segment_fixed_size: 0
    .kernarg_segment_align: 8
    .kernarg_segment_size: 120
    .language:       OpenCL C
    .language_version:
      - 2
      - 0
    .max_flat_workgroup_size: 384
    .name:           _ZN7rocprim17ROCPRIM_400000_NS6detail17trampoline_kernelINS0_14default_configENS1_25partition_config_selectorILNS1_17partition_subalgoE9EllbEEZZNS1_14partition_implILS5_9ELb0ES3_jPlS8_PNS0_10empty_typeENS0_5tupleIJS8_S9_EEENSB_IJS8_SA_EEENS0_18inequality_wrapperIZN2at6native12_GLOBAL__N_124unique_dim_cuda_templateIbEESt5tupleIJNSF_6TensorESK_SK_EERKSK_lbbbEUlllE0_EEPmJS9_EEE10hipError_tPvRmT3_T4_T5_T6_T7_T9_mT8_P12ihipStream_tbDpT10_ENKUlT_T0_E_clISt17integral_constantIbLb1EES19_IbLb0EEEEDaS15_S16_EUlS15_E_NS1_11comp_targetILNS1_3genE10ELNS1_11target_archE1200ELNS1_3gpuE4ELNS1_3repE0EEENS1_30default_config_static_selectorELNS0_4arch9wavefront6targetE1EEEvT1_
    .private_segment_fixed_size: 0
    .sgpr_count:     6
    .sgpr_spill_count: 0
    .symbol:         _ZN7rocprim17ROCPRIM_400000_NS6detail17trampoline_kernelINS0_14default_configENS1_25partition_config_selectorILNS1_17partition_subalgoE9EllbEEZZNS1_14partition_implILS5_9ELb0ES3_jPlS8_PNS0_10empty_typeENS0_5tupleIJS8_S9_EEENSB_IJS8_SA_EEENS0_18inequality_wrapperIZN2at6native12_GLOBAL__N_124unique_dim_cuda_templateIbEESt5tupleIJNSF_6TensorESK_SK_EERKSK_lbbbEUlllE0_EEPmJS9_EEE10hipError_tPvRmT3_T4_T5_T6_T7_T9_mT8_P12ihipStream_tbDpT10_ENKUlT_T0_E_clISt17integral_constantIbLb1EES19_IbLb0EEEEDaS15_S16_EUlS15_E_NS1_11comp_targetILNS1_3genE10ELNS1_11target_archE1200ELNS1_3gpuE4ELNS1_3repE0EEENS1_30default_config_static_selectorELNS0_4arch9wavefront6targetE1EEEvT1_.kd
    .uniform_work_group_size: 1
    .uses_dynamic_stack: false
    .vgpr_count:     0
    .vgpr_spill_count: 0
    .wavefront_size: 64
  - .agpr_count:     0
    .args:
      - .offset:         0
        .size:           120
        .value_kind:     by_value
    .group_segment_fixed_size: 0
    .kernarg_segment_align: 8
    .kernarg_segment_size: 120
    .language:       OpenCL C
    .language_version:
      - 2
      - 0
    .max_flat_workgroup_size: 512
    .name:           _ZN7rocprim17ROCPRIM_400000_NS6detail17trampoline_kernelINS0_14default_configENS1_25partition_config_selectorILNS1_17partition_subalgoE9EllbEEZZNS1_14partition_implILS5_9ELb0ES3_jPlS8_PNS0_10empty_typeENS0_5tupleIJS8_S9_EEENSB_IJS8_SA_EEENS0_18inequality_wrapperIZN2at6native12_GLOBAL__N_124unique_dim_cuda_templateIbEESt5tupleIJNSF_6TensorESK_SK_EERKSK_lbbbEUlllE0_EEPmJS9_EEE10hipError_tPvRmT3_T4_T5_T6_T7_T9_mT8_P12ihipStream_tbDpT10_ENKUlT_T0_E_clISt17integral_constantIbLb1EES19_IbLb0EEEEDaS15_S16_EUlS15_E_NS1_11comp_targetILNS1_3genE9ELNS1_11target_archE1100ELNS1_3gpuE3ELNS1_3repE0EEENS1_30default_config_static_selectorELNS0_4arch9wavefront6targetE1EEEvT1_
    .private_segment_fixed_size: 0
    .sgpr_count:     6
    .sgpr_spill_count: 0
    .symbol:         _ZN7rocprim17ROCPRIM_400000_NS6detail17trampoline_kernelINS0_14default_configENS1_25partition_config_selectorILNS1_17partition_subalgoE9EllbEEZZNS1_14partition_implILS5_9ELb0ES3_jPlS8_PNS0_10empty_typeENS0_5tupleIJS8_S9_EEENSB_IJS8_SA_EEENS0_18inequality_wrapperIZN2at6native12_GLOBAL__N_124unique_dim_cuda_templateIbEESt5tupleIJNSF_6TensorESK_SK_EERKSK_lbbbEUlllE0_EEPmJS9_EEE10hipError_tPvRmT3_T4_T5_T6_T7_T9_mT8_P12ihipStream_tbDpT10_ENKUlT_T0_E_clISt17integral_constantIbLb1EES19_IbLb0EEEEDaS15_S16_EUlS15_E_NS1_11comp_targetILNS1_3genE9ELNS1_11target_archE1100ELNS1_3gpuE3ELNS1_3repE0EEENS1_30default_config_static_selectorELNS0_4arch9wavefront6targetE1EEEvT1_.kd
    .uniform_work_group_size: 1
    .uses_dynamic_stack: false
    .vgpr_count:     0
    .vgpr_spill_count: 0
    .wavefront_size: 64
  - .agpr_count:     0
    .args:
      - .offset:         0
        .size:           120
        .value_kind:     by_value
    .group_segment_fixed_size: 0
    .kernarg_segment_align: 8
    .kernarg_segment_size: 120
    .language:       OpenCL C
    .language_version:
      - 2
      - 0
    .max_flat_workgroup_size: 512
    .name:           _ZN7rocprim17ROCPRIM_400000_NS6detail17trampoline_kernelINS0_14default_configENS1_25partition_config_selectorILNS1_17partition_subalgoE9EllbEEZZNS1_14partition_implILS5_9ELb0ES3_jPlS8_PNS0_10empty_typeENS0_5tupleIJS8_S9_EEENSB_IJS8_SA_EEENS0_18inequality_wrapperIZN2at6native12_GLOBAL__N_124unique_dim_cuda_templateIbEESt5tupleIJNSF_6TensorESK_SK_EERKSK_lbbbEUlllE0_EEPmJS9_EEE10hipError_tPvRmT3_T4_T5_T6_T7_T9_mT8_P12ihipStream_tbDpT10_ENKUlT_T0_E_clISt17integral_constantIbLb1EES19_IbLb0EEEEDaS15_S16_EUlS15_E_NS1_11comp_targetILNS1_3genE8ELNS1_11target_archE1030ELNS1_3gpuE2ELNS1_3repE0EEENS1_30default_config_static_selectorELNS0_4arch9wavefront6targetE1EEEvT1_
    .private_segment_fixed_size: 0
    .sgpr_count:     6
    .sgpr_spill_count: 0
    .symbol:         _ZN7rocprim17ROCPRIM_400000_NS6detail17trampoline_kernelINS0_14default_configENS1_25partition_config_selectorILNS1_17partition_subalgoE9EllbEEZZNS1_14partition_implILS5_9ELb0ES3_jPlS8_PNS0_10empty_typeENS0_5tupleIJS8_S9_EEENSB_IJS8_SA_EEENS0_18inequality_wrapperIZN2at6native12_GLOBAL__N_124unique_dim_cuda_templateIbEESt5tupleIJNSF_6TensorESK_SK_EERKSK_lbbbEUlllE0_EEPmJS9_EEE10hipError_tPvRmT3_T4_T5_T6_T7_T9_mT8_P12ihipStream_tbDpT10_ENKUlT_T0_E_clISt17integral_constantIbLb1EES19_IbLb0EEEEDaS15_S16_EUlS15_E_NS1_11comp_targetILNS1_3genE8ELNS1_11target_archE1030ELNS1_3gpuE2ELNS1_3repE0EEENS1_30default_config_static_selectorELNS0_4arch9wavefront6targetE1EEEvT1_.kd
    .uniform_work_group_size: 1
    .uses_dynamic_stack: false
    .vgpr_count:     0
    .vgpr_spill_count: 0
    .wavefront_size: 64
  - .agpr_count:     0
    .args:
      - .offset:         0
        .size:           136
        .value_kind:     by_value
    .group_segment_fixed_size: 5128
    .kernarg_segment_align: 8
    .kernarg_segment_size: 136
    .language:       OpenCL C
    .language_version:
      - 2
      - 0
    .max_flat_workgroup_size: 128
    .name:           _ZN7rocprim17ROCPRIM_400000_NS6detail17trampoline_kernelINS0_14default_configENS1_25partition_config_selectorILNS1_17partition_subalgoE9EllbEEZZNS1_14partition_implILS5_9ELb0ES3_jPlS8_PNS0_10empty_typeENS0_5tupleIJS8_S9_EEENSB_IJS8_SA_EEENS0_18inequality_wrapperIZN2at6native12_GLOBAL__N_124unique_dim_cuda_templateIbEESt5tupleIJNSF_6TensorESK_SK_EERKSK_lbbbEUlllE0_EEPmJS9_EEE10hipError_tPvRmT3_T4_T5_T6_T7_T9_mT8_P12ihipStream_tbDpT10_ENKUlT_T0_E_clISt17integral_constantIbLb0EES19_IbLb1EEEEDaS15_S16_EUlS15_E_NS1_11comp_targetILNS1_3genE0ELNS1_11target_archE4294967295ELNS1_3gpuE0ELNS1_3repE0EEENS1_30default_config_static_selectorELNS0_4arch9wavefront6targetE1EEEvT1_
    .private_segment_fixed_size: 0
    .sgpr_count:     58
    .sgpr_spill_count: 0
    .symbol:         _ZN7rocprim17ROCPRIM_400000_NS6detail17trampoline_kernelINS0_14default_configENS1_25partition_config_selectorILNS1_17partition_subalgoE9EllbEEZZNS1_14partition_implILS5_9ELb0ES3_jPlS8_PNS0_10empty_typeENS0_5tupleIJS8_S9_EEENSB_IJS8_SA_EEENS0_18inequality_wrapperIZN2at6native12_GLOBAL__N_124unique_dim_cuda_templateIbEESt5tupleIJNSF_6TensorESK_SK_EERKSK_lbbbEUlllE0_EEPmJS9_EEE10hipError_tPvRmT3_T4_T5_T6_T7_T9_mT8_P12ihipStream_tbDpT10_ENKUlT_T0_E_clISt17integral_constantIbLb0EES19_IbLb1EEEEDaS15_S16_EUlS15_E_NS1_11comp_targetILNS1_3genE0ELNS1_11target_archE4294967295ELNS1_3gpuE0ELNS1_3repE0EEENS1_30default_config_static_selectorELNS0_4arch9wavefront6targetE1EEEvT1_.kd
    .uniform_work_group_size: 1
    .uses_dynamic_stack: false
    .vgpr_count:     60
    .vgpr_spill_count: 0
    .wavefront_size: 64
  - .agpr_count:     0
    .args:
      - .offset:         0
        .size:           136
        .value_kind:     by_value
    .group_segment_fixed_size: 0
    .kernarg_segment_align: 8
    .kernarg_segment_size: 136
    .language:       OpenCL C
    .language_version:
      - 2
      - 0
    .max_flat_workgroup_size: 512
    .name:           _ZN7rocprim17ROCPRIM_400000_NS6detail17trampoline_kernelINS0_14default_configENS1_25partition_config_selectorILNS1_17partition_subalgoE9EllbEEZZNS1_14partition_implILS5_9ELb0ES3_jPlS8_PNS0_10empty_typeENS0_5tupleIJS8_S9_EEENSB_IJS8_SA_EEENS0_18inequality_wrapperIZN2at6native12_GLOBAL__N_124unique_dim_cuda_templateIbEESt5tupleIJNSF_6TensorESK_SK_EERKSK_lbbbEUlllE0_EEPmJS9_EEE10hipError_tPvRmT3_T4_T5_T6_T7_T9_mT8_P12ihipStream_tbDpT10_ENKUlT_T0_E_clISt17integral_constantIbLb0EES19_IbLb1EEEEDaS15_S16_EUlS15_E_NS1_11comp_targetILNS1_3genE5ELNS1_11target_archE942ELNS1_3gpuE9ELNS1_3repE0EEENS1_30default_config_static_selectorELNS0_4arch9wavefront6targetE1EEEvT1_
    .private_segment_fixed_size: 0
    .sgpr_count:     6
    .sgpr_spill_count: 0
    .symbol:         _ZN7rocprim17ROCPRIM_400000_NS6detail17trampoline_kernelINS0_14default_configENS1_25partition_config_selectorILNS1_17partition_subalgoE9EllbEEZZNS1_14partition_implILS5_9ELb0ES3_jPlS8_PNS0_10empty_typeENS0_5tupleIJS8_S9_EEENSB_IJS8_SA_EEENS0_18inequality_wrapperIZN2at6native12_GLOBAL__N_124unique_dim_cuda_templateIbEESt5tupleIJNSF_6TensorESK_SK_EERKSK_lbbbEUlllE0_EEPmJS9_EEE10hipError_tPvRmT3_T4_T5_T6_T7_T9_mT8_P12ihipStream_tbDpT10_ENKUlT_T0_E_clISt17integral_constantIbLb0EES19_IbLb1EEEEDaS15_S16_EUlS15_E_NS1_11comp_targetILNS1_3genE5ELNS1_11target_archE942ELNS1_3gpuE9ELNS1_3repE0EEENS1_30default_config_static_selectorELNS0_4arch9wavefront6targetE1EEEvT1_.kd
    .uniform_work_group_size: 1
    .uses_dynamic_stack: false
    .vgpr_count:     0
    .vgpr_spill_count: 0
    .wavefront_size: 64
  - .agpr_count:     0
    .args:
      - .offset:         0
        .size:           136
        .value_kind:     by_value
    .group_segment_fixed_size: 0
    .kernarg_segment_align: 8
    .kernarg_segment_size: 136
    .language:       OpenCL C
    .language_version:
      - 2
      - 0
    .max_flat_workgroup_size: 128
    .name:           _ZN7rocprim17ROCPRIM_400000_NS6detail17trampoline_kernelINS0_14default_configENS1_25partition_config_selectorILNS1_17partition_subalgoE9EllbEEZZNS1_14partition_implILS5_9ELb0ES3_jPlS8_PNS0_10empty_typeENS0_5tupleIJS8_S9_EEENSB_IJS8_SA_EEENS0_18inequality_wrapperIZN2at6native12_GLOBAL__N_124unique_dim_cuda_templateIbEESt5tupleIJNSF_6TensorESK_SK_EERKSK_lbbbEUlllE0_EEPmJS9_EEE10hipError_tPvRmT3_T4_T5_T6_T7_T9_mT8_P12ihipStream_tbDpT10_ENKUlT_T0_E_clISt17integral_constantIbLb0EES19_IbLb1EEEEDaS15_S16_EUlS15_E_NS1_11comp_targetILNS1_3genE4ELNS1_11target_archE910ELNS1_3gpuE8ELNS1_3repE0EEENS1_30default_config_static_selectorELNS0_4arch9wavefront6targetE1EEEvT1_
    .private_segment_fixed_size: 0
    .sgpr_count:     6
    .sgpr_spill_count: 0
    .symbol:         _ZN7rocprim17ROCPRIM_400000_NS6detail17trampoline_kernelINS0_14default_configENS1_25partition_config_selectorILNS1_17partition_subalgoE9EllbEEZZNS1_14partition_implILS5_9ELb0ES3_jPlS8_PNS0_10empty_typeENS0_5tupleIJS8_S9_EEENSB_IJS8_SA_EEENS0_18inequality_wrapperIZN2at6native12_GLOBAL__N_124unique_dim_cuda_templateIbEESt5tupleIJNSF_6TensorESK_SK_EERKSK_lbbbEUlllE0_EEPmJS9_EEE10hipError_tPvRmT3_T4_T5_T6_T7_T9_mT8_P12ihipStream_tbDpT10_ENKUlT_T0_E_clISt17integral_constantIbLb0EES19_IbLb1EEEEDaS15_S16_EUlS15_E_NS1_11comp_targetILNS1_3genE4ELNS1_11target_archE910ELNS1_3gpuE8ELNS1_3repE0EEENS1_30default_config_static_selectorELNS0_4arch9wavefront6targetE1EEEvT1_.kd
    .uniform_work_group_size: 1
    .uses_dynamic_stack: false
    .vgpr_count:     0
    .vgpr_spill_count: 0
    .wavefront_size: 64
  - .agpr_count:     0
    .args:
      - .offset:         0
        .size:           136
        .value_kind:     by_value
    .group_segment_fixed_size: 0
    .kernarg_segment_align: 8
    .kernarg_segment_size: 136
    .language:       OpenCL C
    .language_version:
      - 2
      - 0
    .max_flat_workgroup_size: 128
    .name:           _ZN7rocprim17ROCPRIM_400000_NS6detail17trampoline_kernelINS0_14default_configENS1_25partition_config_selectorILNS1_17partition_subalgoE9EllbEEZZNS1_14partition_implILS5_9ELb0ES3_jPlS8_PNS0_10empty_typeENS0_5tupleIJS8_S9_EEENSB_IJS8_SA_EEENS0_18inequality_wrapperIZN2at6native12_GLOBAL__N_124unique_dim_cuda_templateIbEESt5tupleIJNSF_6TensorESK_SK_EERKSK_lbbbEUlllE0_EEPmJS9_EEE10hipError_tPvRmT3_T4_T5_T6_T7_T9_mT8_P12ihipStream_tbDpT10_ENKUlT_T0_E_clISt17integral_constantIbLb0EES19_IbLb1EEEEDaS15_S16_EUlS15_E_NS1_11comp_targetILNS1_3genE3ELNS1_11target_archE908ELNS1_3gpuE7ELNS1_3repE0EEENS1_30default_config_static_selectorELNS0_4arch9wavefront6targetE1EEEvT1_
    .private_segment_fixed_size: 0
    .sgpr_count:     6
    .sgpr_spill_count: 0
    .symbol:         _ZN7rocprim17ROCPRIM_400000_NS6detail17trampoline_kernelINS0_14default_configENS1_25partition_config_selectorILNS1_17partition_subalgoE9EllbEEZZNS1_14partition_implILS5_9ELb0ES3_jPlS8_PNS0_10empty_typeENS0_5tupleIJS8_S9_EEENSB_IJS8_SA_EEENS0_18inequality_wrapperIZN2at6native12_GLOBAL__N_124unique_dim_cuda_templateIbEESt5tupleIJNSF_6TensorESK_SK_EERKSK_lbbbEUlllE0_EEPmJS9_EEE10hipError_tPvRmT3_T4_T5_T6_T7_T9_mT8_P12ihipStream_tbDpT10_ENKUlT_T0_E_clISt17integral_constantIbLb0EES19_IbLb1EEEEDaS15_S16_EUlS15_E_NS1_11comp_targetILNS1_3genE3ELNS1_11target_archE908ELNS1_3gpuE7ELNS1_3repE0EEENS1_30default_config_static_selectorELNS0_4arch9wavefront6targetE1EEEvT1_.kd
    .uniform_work_group_size: 1
    .uses_dynamic_stack: false
    .vgpr_count:     0
    .vgpr_spill_count: 0
    .wavefront_size: 64
  - .agpr_count:     0
    .args:
      - .offset:         0
        .size:           136
        .value_kind:     by_value
    .group_segment_fixed_size: 0
    .kernarg_segment_align: 8
    .kernarg_segment_size: 136
    .language:       OpenCL C
    .language_version:
      - 2
      - 0
    .max_flat_workgroup_size: 192
    .name:           _ZN7rocprim17ROCPRIM_400000_NS6detail17trampoline_kernelINS0_14default_configENS1_25partition_config_selectorILNS1_17partition_subalgoE9EllbEEZZNS1_14partition_implILS5_9ELb0ES3_jPlS8_PNS0_10empty_typeENS0_5tupleIJS8_S9_EEENSB_IJS8_SA_EEENS0_18inequality_wrapperIZN2at6native12_GLOBAL__N_124unique_dim_cuda_templateIbEESt5tupleIJNSF_6TensorESK_SK_EERKSK_lbbbEUlllE0_EEPmJS9_EEE10hipError_tPvRmT3_T4_T5_T6_T7_T9_mT8_P12ihipStream_tbDpT10_ENKUlT_T0_E_clISt17integral_constantIbLb0EES19_IbLb1EEEEDaS15_S16_EUlS15_E_NS1_11comp_targetILNS1_3genE2ELNS1_11target_archE906ELNS1_3gpuE6ELNS1_3repE0EEENS1_30default_config_static_selectorELNS0_4arch9wavefront6targetE1EEEvT1_
    .private_segment_fixed_size: 0
    .sgpr_count:     6
    .sgpr_spill_count: 0
    .symbol:         _ZN7rocprim17ROCPRIM_400000_NS6detail17trampoline_kernelINS0_14default_configENS1_25partition_config_selectorILNS1_17partition_subalgoE9EllbEEZZNS1_14partition_implILS5_9ELb0ES3_jPlS8_PNS0_10empty_typeENS0_5tupleIJS8_S9_EEENSB_IJS8_SA_EEENS0_18inequality_wrapperIZN2at6native12_GLOBAL__N_124unique_dim_cuda_templateIbEESt5tupleIJNSF_6TensorESK_SK_EERKSK_lbbbEUlllE0_EEPmJS9_EEE10hipError_tPvRmT3_T4_T5_T6_T7_T9_mT8_P12ihipStream_tbDpT10_ENKUlT_T0_E_clISt17integral_constantIbLb0EES19_IbLb1EEEEDaS15_S16_EUlS15_E_NS1_11comp_targetILNS1_3genE2ELNS1_11target_archE906ELNS1_3gpuE6ELNS1_3repE0EEENS1_30default_config_static_selectorELNS0_4arch9wavefront6targetE1EEEvT1_.kd
    .uniform_work_group_size: 1
    .uses_dynamic_stack: false
    .vgpr_count:     0
    .vgpr_spill_count: 0
    .wavefront_size: 64
  - .agpr_count:     0
    .args:
      - .offset:         0
        .size:           136
        .value_kind:     by_value
    .group_segment_fixed_size: 0
    .kernarg_segment_align: 8
    .kernarg_segment_size: 136
    .language:       OpenCL C
    .language_version:
      - 2
      - 0
    .max_flat_workgroup_size: 384
    .name:           _ZN7rocprim17ROCPRIM_400000_NS6detail17trampoline_kernelINS0_14default_configENS1_25partition_config_selectorILNS1_17partition_subalgoE9EllbEEZZNS1_14partition_implILS5_9ELb0ES3_jPlS8_PNS0_10empty_typeENS0_5tupleIJS8_S9_EEENSB_IJS8_SA_EEENS0_18inequality_wrapperIZN2at6native12_GLOBAL__N_124unique_dim_cuda_templateIbEESt5tupleIJNSF_6TensorESK_SK_EERKSK_lbbbEUlllE0_EEPmJS9_EEE10hipError_tPvRmT3_T4_T5_T6_T7_T9_mT8_P12ihipStream_tbDpT10_ENKUlT_T0_E_clISt17integral_constantIbLb0EES19_IbLb1EEEEDaS15_S16_EUlS15_E_NS1_11comp_targetILNS1_3genE10ELNS1_11target_archE1200ELNS1_3gpuE4ELNS1_3repE0EEENS1_30default_config_static_selectorELNS0_4arch9wavefront6targetE1EEEvT1_
    .private_segment_fixed_size: 0
    .sgpr_count:     6
    .sgpr_spill_count: 0
    .symbol:         _ZN7rocprim17ROCPRIM_400000_NS6detail17trampoline_kernelINS0_14default_configENS1_25partition_config_selectorILNS1_17partition_subalgoE9EllbEEZZNS1_14partition_implILS5_9ELb0ES3_jPlS8_PNS0_10empty_typeENS0_5tupleIJS8_S9_EEENSB_IJS8_SA_EEENS0_18inequality_wrapperIZN2at6native12_GLOBAL__N_124unique_dim_cuda_templateIbEESt5tupleIJNSF_6TensorESK_SK_EERKSK_lbbbEUlllE0_EEPmJS9_EEE10hipError_tPvRmT3_T4_T5_T6_T7_T9_mT8_P12ihipStream_tbDpT10_ENKUlT_T0_E_clISt17integral_constantIbLb0EES19_IbLb1EEEEDaS15_S16_EUlS15_E_NS1_11comp_targetILNS1_3genE10ELNS1_11target_archE1200ELNS1_3gpuE4ELNS1_3repE0EEENS1_30default_config_static_selectorELNS0_4arch9wavefront6targetE1EEEvT1_.kd
    .uniform_work_group_size: 1
    .uses_dynamic_stack: false
    .vgpr_count:     0
    .vgpr_spill_count: 0
    .wavefront_size: 64
  - .agpr_count:     0
    .args:
      - .offset:         0
        .size:           136
        .value_kind:     by_value
    .group_segment_fixed_size: 0
    .kernarg_segment_align: 8
    .kernarg_segment_size: 136
    .language:       OpenCL C
    .language_version:
      - 2
      - 0
    .max_flat_workgroup_size: 512
    .name:           _ZN7rocprim17ROCPRIM_400000_NS6detail17trampoline_kernelINS0_14default_configENS1_25partition_config_selectorILNS1_17partition_subalgoE9EllbEEZZNS1_14partition_implILS5_9ELb0ES3_jPlS8_PNS0_10empty_typeENS0_5tupleIJS8_S9_EEENSB_IJS8_SA_EEENS0_18inequality_wrapperIZN2at6native12_GLOBAL__N_124unique_dim_cuda_templateIbEESt5tupleIJNSF_6TensorESK_SK_EERKSK_lbbbEUlllE0_EEPmJS9_EEE10hipError_tPvRmT3_T4_T5_T6_T7_T9_mT8_P12ihipStream_tbDpT10_ENKUlT_T0_E_clISt17integral_constantIbLb0EES19_IbLb1EEEEDaS15_S16_EUlS15_E_NS1_11comp_targetILNS1_3genE9ELNS1_11target_archE1100ELNS1_3gpuE3ELNS1_3repE0EEENS1_30default_config_static_selectorELNS0_4arch9wavefront6targetE1EEEvT1_
    .private_segment_fixed_size: 0
    .sgpr_count:     6
    .sgpr_spill_count: 0
    .symbol:         _ZN7rocprim17ROCPRIM_400000_NS6detail17trampoline_kernelINS0_14default_configENS1_25partition_config_selectorILNS1_17partition_subalgoE9EllbEEZZNS1_14partition_implILS5_9ELb0ES3_jPlS8_PNS0_10empty_typeENS0_5tupleIJS8_S9_EEENSB_IJS8_SA_EEENS0_18inequality_wrapperIZN2at6native12_GLOBAL__N_124unique_dim_cuda_templateIbEESt5tupleIJNSF_6TensorESK_SK_EERKSK_lbbbEUlllE0_EEPmJS9_EEE10hipError_tPvRmT3_T4_T5_T6_T7_T9_mT8_P12ihipStream_tbDpT10_ENKUlT_T0_E_clISt17integral_constantIbLb0EES19_IbLb1EEEEDaS15_S16_EUlS15_E_NS1_11comp_targetILNS1_3genE9ELNS1_11target_archE1100ELNS1_3gpuE3ELNS1_3repE0EEENS1_30default_config_static_selectorELNS0_4arch9wavefront6targetE1EEEvT1_.kd
    .uniform_work_group_size: 1
    .uses_dynamic_stack: false
    .vgpr_count:     0
    .vgpr_spill_count: 0
    .wavefront_size: 64
  - .agpr_count:     0
    .args:
      - .offset:         0
        .size:           136
        .value_kind:     by_value
    .group_segment_fixed_size: 0
    .kernarg_segment_align: 8
    .kernarg_segment_size: 136
    .language:       OpenCL C
    .language_version:
      - 2
      - 0
    .max_flat_workgroup_size: 512
    .name:           _ZN7rocprim17ROCPRIM_400000_NS6detail17trampoline_kernelINS0_14default_configENS1_25partition_config_selectorILNS1_17partition_subalgoE9EllbEEZZNS1_14partition_implILS5_9ELb0ES3_jPlS8_PNS0_10empty_typeENS0_5tupleIJS8_S9_EEENSB_IJS8_SA_EEENS0_18inequality_wrapperIZN2at6native12_GLOBAL__N_124unique_dim_cuda_templateIbEESt5tupleIJNSF_6TensorESK_SK_EERKSK_lbbbEUlllE0_EEPmJS9_EEE10hipError_tPvRmT3_T4_T5_T6_T7_T9_mT8_P12ihipStream_tbDpT10_ENKUlT_T0_E_clISt17integral_constantIbLb0EES19_IbLb1EEEEDaS15_S16_EUlS15_E_NS1_11comp_targetILNS1_3genE8ELNS1_11target_archE1030ELNS1_3gpuE2ELNS1_3repE0EEENS1_30default_config_static_selectorELNS0_4arch9wavefront6targetE1EEEvT1_
    .private_segment_fixed_size: 0
    .sgpr_count:     6
    .sgpr_spill_count: 0
    .symbol:         _ZN7rocprim17ROCPRIM_400000_NS6detail17trampoline_kernelINS0_14default_configENS1_25partition_config_selectorILNS1_17partition_subalgoE9EllbEEZZNS1_14partition_implILS5_9ELb0ES3_jPlS8_PNS0_10empty_typeENS0_5tupleIJS8_S9_EEENSB_IJS8_SA_EEENS0_18inequality_wrapperIZN2at6native12_GLOBAL__N_124unique_dim_cuda_templateIbEESt5tupleIJNSF_6TensorESK_SK_EERKSK_lbbbEUlllE0_EEPmJS9_EEE10hipError_tPvRmT3_T4_T5_T6_T7_T9_mT8_P12ihipStream_tbDpT10_ENKUlT_T0_E_clISt17integral_constantIbLb0EES19_IbLb1EEEEDaS15_S16_EUlS15_E_NS1_11comp_targetILNS1_3genE8ELNS1_11target_archE1030ELNS1_3gpuE2ELNS1_3repE0EEENS1_30default_config_static_selectorELNS0_4arch9wavefront6targetE1EEEvT1_.kd
    .uniform_work_group_size: 1
    .uses_dynamic_stack: false
    .vgpr_count:     0
    .vgpr_spill_count: 0
    .wavefront_size: 64
  - .agpr_count:     0
    .args:
      - .offset:         0
        .size:           72
        .value_kind:     by_value
      - .offset:         72
        .size:           4
        .value_kind:     hidden_block_count_x
      - .offset:         76
        .size:           4
        .value_kind:     hidden_block_count_y
      - .offset:         80
        .size:           4
        .value_kind:     hidden_block_count_z
      - .offset:         84
        .size:           2
        .value_kind:     hidden_group_size_x
      - .offset:         86
        .size:           2
        .value_kind:     hidden_group_size_y
      - .offset:         88
        .size:           2
        .value_kind:     hidden_group_size_z
      - .offset:         90
        .size:           2
        .value_kind:     hidden_remainder_x
      - .offset:         92
        .size:           2
        .value_kind:     hidden_remainder_y
      - .offset:         94
        .size:           2
        .value_kind:     hidden_remainder_z
      - .offset:         112
        .size:           8
        .value_kind:     hidden_global_offset_x
      - .offset:         120
        .size:           8
        .value_kind:     hidden_global_offset_y
      - .offset:         128
        .size:           8
        .value_kind:     hidden_global_offset_z
      - .offset:         136
        .size:           2
        .value_kind:     hidden_grid_dims
      - .offset:         152
        .size:           8
        .value_kind:     hidden_hostcall_buffer
      - .offset:         160
        .size:           8
        .value_kind:     hidden_multigrid_sync_arg
      - .offset:         168
        .size:           8
        .value_kind:     hidden_heap_v1
      - .offset:         176
        .size:           8
        .value_kind:     hidden_default_queue
      - .offset:         184
        .size:           8
        .value_kind:     hidden_completion_action
      - .offset:         272
        .size:           8
        .value_kind:     hidden_queue_ptr
    .group_segment_fixed_size: 16896
    .kernarg_segment_align: 8
    .kernarg_segment_size: 328
    .language:       OpenCL C
    .language_version:
      - 2
      - 0
    .max_flat_workgroup_size: 256
    .name:           _ZN7rocprim17ROCPRIM_400000_NS6detail17trampoline_kernelINS0_14default_configENS1_37merge_sort_block_sort_config_selectorIlNS0_10empty_typeEEEZNS1_21merge_sort_block_sortIS3_PlS8_PS5_S9_ZN2at6native12_GLOBAL__N_124unique_dim_cuda_templateIN3c108BFloat16EEESt5tupleIJNSA_6TensorESH_SH_EERKSH_lbbbEUlllE_EE10hipError_tT0_T1_T2_T3_mRjT4_P12ihipStream_tbNS1_7vsmem_tEEUlT_E_NS1_11comp_targetILNS1_3genE0ELNS1_11target_archE4294967295ELNS1_3gpuE0ELNS1_3repE0EEENS1_30default_config_static_selectorELNS0_4arch9wavefront6targetE1EEEvSO_
    .private_segment_fixed_size: 8
    .sgpr_count:     102
    .sgpr_spill_count: 0
    .symbol:         _ZN7rocprim17ROCPRIM_400000_NS6detail17trampoline_kernelINS0_14default_configENS1_37merge_sort_block_sort_config_selectorIlNS0_10empty_typeEEEZNS1_21merge_sort_block_sortIS3_PlS8_PS5_S9_ZN2at6native12_GLOBAL__N_124unique_dim_cuda_templateIN3c108BFloat16EEESt5tupleIJNSA_6TensorESH_SH_EERKSH_lbbbEUlllE_EE10hipError_tT0_T1_T2_T3_mRjT4_P12ihipStream_tbNS1_7vsmem_tEEUlT_E_NS1_11comp_targetILNS1_3genE0ELNS1_11target_archE4294967295ELNS1_3gpuE0ELNS1_3repE0EEENS1_30default_config_static_selectorELNS0_4arch9wavefront6targetE1EEEvSO_.kd
    .uniform_work_group_size: 1
    .uses_dynamic_stack: false
    .vgpr_count:     119
    .vgpr_spill_count: 0
    .wavefront_size: 64
  - .agpr_count:     0
    .args:
      - .offset:         0
        .size:           72
        .value_kind:     by_value
    .group_segment_fixed_size: 0
    .kernarg_segment_align: 8
    .kernarg_segment_size: 72
    .language:       OpenCL C
    .language_version:
      - 2
      - 0
    .max_flat_workgroup_size: 256
    .name:           _ZN7rocprim17ROCPRIM_400000_NS6detail17trampoline_kernelINS0_14default_configENS1_37merge_sort_block_sort_config_selectorIlNS0_10empty_typeEEEZNS1_21merge_sort_block_sortIS3_PlS8_PS5_S9_ZN2at6native12_GLOBAL__N_124unique_dim_cuda_templateIN3c108BFloat16EEESt5tupleIJNSA_6TensorESH_SH_EERKSH_lbbbEUlllE_EE10hipError_tT0_T1_T2_T3_mRjT4_P12ihipStream_tbNS1_7vsmem_tEEUlT_E_NS1_11comp_targetILNS1_3genE5ELNS1_11target_archE942ELNS1_3gpuE9ELNS1_3repE0EEENS1_30default_config_static_selectorELNS0_4arch9wavefront6targetE1EEEvSO_
    .private_segment_fixed_size: 0
    .sgpr_count:     6
    .sgpr_spill_count: 0
    .symbol:         _ZN7rocprim17ROCPRIM_400000_NS6detail17trampoline_kernelINS0_14default_configENS1_37merge_sort_block_sort_config_selectorIlNS0_10empty_typeEEEZNS1_21merge_sort_block_sortIS3_PlS8_PS5_S9_ZN2at6native12_GLOBAL__N_124unique_dim_cuda_templateIN3c108BFloat16EEESt5tupleIJNSA_6TensorESH_SH_EERKSH_lbbbEUlllE_EE10hipError_tT0_T1_T2_T3_mRjT4_P12ihipStream_tbNS1_7vsmem_tEEUlT_E_NS1_11comp_targetILNS1_3genE5ELNS1_11target_archE942ELNS1_3gpuE9ELNS1_3repE0EEENS1_30default_config_static_selectorELNS0_4arch9wavefront6targetE1EEEvSO_.kd
    .uniform_work_group_size: 1
    .uses_dynamic_stack: false
    .vgpr_count:     0
    .vgpr_spill_count: 0
    .wavefront_size: 64
  - .agpr_count:     0
    .args:
      - .offset:         0
        .size:           72
        .value_kind:     by_value
    .group_segment_fixed_size: 0
    .kernarg_segment_align: 8
    .kernarg_segment_size: 72
    .language:       OpenCL C
    .language_version:
      - 2
      - 0
    .max_flat_workgroup_size: 256
    .name:           _ZN7rocprim17ROCPRIM_400000_NS6detail17trampoline_kernelINS0_14default_configENS1_37merge_sort_block_sort_config_selectorIlNS0_10empty_typeEEEZNS1_21merge_sort_block_sortIS3_PlS8_PS5_S9_ZN2at6native12_GLOBAL__N_124unique_dim_cuda_templateIN3c108BFloat16EEESt5tupleIJNSA_6TensorESH_SH_EERKSH_lbbbEUlllE_EE10hipError_tT0_T1_T2_T3_mRjT4_P12ihipStream_tbNS1_7vsmem_tEEUlT_E_NS1_11comp_targetILNS1_3genE4ELNS1_11target_archE910ELNS1_3gpuE8ELNS1_3repE0EEENS1_30default_config_static_selectorELNS0_4arch9wavefront6targetE1EEEvSO_
    .private_segment_fixed_size: 0
    .sgpr_count:     6
    .sgpr_spill_count: 0
    .symbol:         _ZN7rocprim17ROCPRIM_400000_NS6detail17trampoline_kernelINS0_14default_configENS1_37merge_sort_block_sort_config_selectorIlNS0_10empty_typeEEEZNS1_21merge_sort_block_sortIS3_PlS8_PS5_S9_ZN2at6native12_GLOBAL__N_124unique_dim_cuda_templateIN3c108BFloat16EEESt5tupleIJNSA_6TensorESH_SH_EERKSH_lbbbEUlllE_EE10hipError_tT0_T1_T2_T3_mRjT4_P12ihipStream_tbNS1_7vsmem_tEEUlT_E_NS1_11comp_targetILNS1_3genE4ELNS1_11target_archE910ELNS1_3gpuE8ELNS1_3repE0EEENS1_30default_config_static_selectorELNS0_4arch9wavefront6targetE1EEEvSO_.kd
    .uniform_work_group_size: 1
    .uses_dynamic_stack: false
    .vgpr_count:     0
    .vgpr_spill_count: 0
    .wavefront_size: 64
  - .agpr_count:     0
    .args:
      - .offset:         0
        .size:           72
        .value_kind:     by_value
    .group_segment_fixed_size: 0
    .kernarg_segment_align: 8
    .kernarg_segment_size: 72
    .language:       OpenCL C
    .language_version:
      - 2
      - 0
    .max_flat_workgroup_size: 256
    .name:           _ZN7rocprim17ROCPRIM_400000_NS6detail17trampoline_kernelINS0_14default_configENS1_37merge_sort_block_sort_config_selectorIlNS0_10empty_typeEEEZNS1_21merge_sort_block_sortIS3_PlS8_PS5_S9_ZN2at6native12_GLOBAL__N_124unique_dim_cuda_templateIN3c108BFloat16EEESt5tupleIJNSA_6TensorESH_SH_EERKSH_lbbbEUlllE_EE10hipError_tT0_T1_T2_T3_mRjT4_P12ihipStream_tbNS1_7vsmem_tEEUlT_E_NS1_11comp_targetILNS1_3genE3ELNS1_11target_archE908ELNS1_3gpuE7ELNS1_3repE0EEENS1_30default_config_static_selectorELNS0_4arch9wavefront6targetE1EEEvSO_
    .private_segment_fixed_size: 0
    .sgpr_count:     6
    .sgpr_spill_count: 0
    .symbol:         _ZN7rocprim17ROCPRIM_400000_NS6detail17trampoline_kernelINS0_14default_configENS1_37merge_sort_block_sort_config_selectorIlNS0_10empty_typeEEEZNS1_21merge_sort_block_sortIS3_PlS8_PS5_S9_ZN2at6native12_GLOBAL__N_124unique_dim_cuda_templateIN3c108BFloat16EEESt5tupleIJNSA_6TensorESH_SH_EERKSH_lbbbEUlllE_EE10hipError_tT0_T1_T2_T3_mRjT4_P12ihipStream_tbNS1_7vsmem_tEEUlT_E_NS1_11comp_targetILNS1_3genE3ELNS1_11target_archE908ELNS1_3gpuE7ELNS1_3repE0EEENS1_30default_config_static_selectorELNS0_4arch9wavefront6targetE1EEEvSO_.kd
    .uniform_work_group_size: 1
    .uses_dynamic_stack: false
    .vgpr_count:     0
    .vgpr_spill_count: 0
    .wavefront_size: 64
  - .agpr_count:     0
    .args:
      - .offset:         0
        .size:           72
        .value_kind:     by_value
    .group_segment_fixed_size: 0
    .kernarg_segment_align: 8
    .kernarg_segment_size: 72
    .language:       OpenCL C
    .language_version:
      - 2
      - 0
    .max_flat_workgroup_size: 256
    .name:           _ZN7rocprim17ROCPRIM_400000_NS6detail17trampoline_kernelINS0_14default_configENS1_37merge_sort_block_sort_config_selectorIlNS0_10empty_typeEEEZNS1_21merge_sort_block_sortIS3_PlS8_PS5_S9_ZN2at6native12_GLOBAL__N_124unique_dim_cuda_templateIN3c108BFloat16EEESt5tupleIJNSA_6TensorESH_SH_EERKSH_lbbbEUlllE_EE10hipError_tT0_T1_T2_T3_mRjT4_P12ihipStream_tbNS1_7vsmem_tEEUlT_E_NS1_11comp_targetILNS1_3genE2ELNS1_11target_archE906ELNS1_3gpuE6ELNS1_3repE0EEENS1_30default_config_static_selectorELNS0_4arch9wavefront6targetE1EEEvSO_
    .private_segment_fixed_size: 0
    .sgpr_count:     6
    .sgpr_spill_count: 0
    .symbol:         _ZN7rocprim17ROCPRIM_400000_NS6detail17trampoline_kernelINS0_14default_configENS1_37merge_sort_block_sort_config_selectorIlNS0_10empty_typeEEEZNS1_21merge_sort_block_sortIS3_PlS8_PS5_S9_ZN2at6native12_GLOBAL__N_124unique_dim_cuda_templateIN3c108BFloat16EEESt5tupleIJNSA_6TensorESH_SH_EERKSH_lbbbEUlllE_EE10hipError_tT0_T1_T2_T3_mRjT4_P12ihipStream_tbNS1_7vsmem_tEEUlT_E_NS1_11comp_targetILNS1_3genE2ELNS1_11target_archE906ELNS1_3gpuE6ELNS1_3repE0EEENS1_30default_config_static_selectorELNS0_4arch9wavefront6targetE1EEEvSO_.kd
    .uniform_work_group_size: 1
    .uses_dynamic_stack: false
    .vgpr_count:     0
    .vgpr_spill_count: 0
    .wavefront_size: 64
  - .agpr_count:     0
    .args:
      - .offset:         0
        .size:           72
        .value_kind:     by_value
    .group_segment_fixed_size: 0
    .kernarg_segment_align: 8
    .kernarg_segment_size: 72
    .language:       OpenCL C
    .language_version:
      - 2
      - 0
    .max_flat_workgroup_size: 256
    .name:           _ZN7rocprim17ROCPRIM_400000_NS6detail17trampoline_kernelINS0_14default_configENS1_37merge_sort_block_sort_config_selectorIlNS0_10empty_typeEEEZNS1_21merge_sort_block_sortIS3_PlS8_PS5_S9_ZN2at6native12_GLOBAL__N_124unique_dim_cuda_templateIN3c108BFloat16EEESt5tupleIJNSA_6TensorESH_SH_EERKSH_lbbbEUlllE_EE10hipError_tT0_T1_T2_T3_mRjT4_P12ihipStream_tbNS1_7vsmem_tEEUlT_E_NS1_11comp_targetILNS1_3genE10ELNS1_11target_archE1201ELNS1_3gpuE5ELNS1_3repE0EEENS1_30default_config_static_selectorELNS0_4arch9wavefront6targetE1EEEvSO_
    .private_segment_fixed_size: 0
    .sgpr_count:     6
    .sgpr_spill_count: 0
    .symbol:         _ZN7rocprim17ROCPRIM_400000_NS6detail17trampoline_kernelINS0_14default_configENS1_37merge_sort_block_sort_config_selectorIlNS0_10empty_typeEEEZNS1_21merge_sort_block_sortIS3_PlS8_PS5_S9_ZN2at6native12_GLOBAL__N_124unique_dim_cuda_templateIN3c108BFloat16EEESt5tupleIJNSA_6TensorESH_SH_EERKSH_lbbbEUlllE_EE10hipError_tT0_T1_T2_T3_mRjT4_P12ihipStream_tbNS1_7vsmem_tEEUlT_E_NS1_11comp_targetILNS1_3genE10ELNS1_11target_archE1201ELNS1_3gpuE5ELNS1_3repE0EEENS1_30default_config_static_selectorELNS0_4arch9wavefront6targetE1EEEvSO_.kd
    .uniform_work_group_size: 1
    .uses_dynamic_stack: false
    .vgpr_count:     0
    .vgpr_spill_count: 0
    .wavefront_size: 64
  - .agpr_count:     0
    .args:
      - .offset:         0
        .size:           72
        .value_kind:     by_value
    .group_segment_fixed_size: 0
    .kernarg_segment_align: 8
    .kernarg_segment_size: 72
    .language:       OpenCL C
    .language_version:
      - 2
      - 0
    .max_flat_workgroup_size: 512
    .name:           _ZN7rocprim17ROCPRIM_400000_NS6detail17trampoline_kernelINS0_14default_configENS1_37merge_sort_block_sort_config_selectorIlNS0_10empty_typeEEEZNS1_21merge_sort_block_sortIS3_PlS8_PS5_S9_ZN2at6native12_GLOBAL__N_124unique_dim_cuda_templateIN3c108BFloat16EEESt5tupleIJNSA_6TensorESH_SH_EERKSH_lbbbEUlllE_EE10hipError_tT0_T1_T2_T3_mRjT4_P12ihipStream_tbNS1_7vsmem_tEEUlT_E_NS1_11comp_targetILNS1_3genE10ELNS1_11target_archE1200ELNS1_3gpuE4ELNS1_3repE0EEENS1_30default_config_static_selectorELNS0_4arch9wavefront6targetE1EEEvSO_
    .private_segment_fixed_size: 0
    .sgpr_count:     6
    .sgpr_spill_count: 0
    .symbol:         _ZN7rocprim17ROCPRIM_400000_NS6detail17trampoline_kernelINS0_14default_configENS1_37merge_sort_block_sort_config_selectorIlNS0_10empty_typeEEEZNS1_21merge_sort_block_sortIS3_PlS8_PS5_S9_ZN2at6native12_GLOBAL__N_124unique_dim_cuda_templateIN3c108BFloat16EEESt5tupleIJNSA_6TensorESH_SH_EERKSH_lbbbEUlllE_EE10hipError_tT0_T1_T2_T3_mRjT4_P12ihipStream_tbNS1_7vsmem_tEEUlT_E_NS1_11comp_targetILNS1_3genE10ELNS1_11target_archE1200ELNS1_3gpuE4ELNS1_3repE0EEENS1_30default_config_static_selectorELNS0_4arch9wavefront6targetE1EEEvSO_.kd
    .uniform_work_group_size: 1
    .uses_dynamic_stack: false
    .vgpr_count:     0
    .vgpr_spill_count: 0
    .wavefront_size: 64
  - .agpr_count:     0
    .args:
      - .offset:         0
        .size:           72
        .value_kind:     by_value
    .group_segment_fixed_size: 0
    .kernarg_segment_align: 8
    .kernarg_segment_size: 72
    .language:       OpenCL C
    .language_version:
      - 2
      - 0
    .max_flat_workgroup_size: 256
    .name:           _ZN7rocprim17ROCPRIM_400000_NS6detail17trampoline_kernelINS0_14default_configENS1_37merge_sort_block_sort_config_selectorIlNS0_10empty_typeEEEZNS1_21merge_sort_block_sortIS3_PlS8_PS5_S9_ZN2at6native12_GLOBAL__N_124unique_dim_cuda_templateIN3c108BFloat16EEESt5tupleIJNSA_6TensorESH_SH_EERKSH_lbbbEUlllE_EE10hipError_tT0_T1_T2_T3_mRjT4_P12ihipStream_tbNS1_7vsmem_tEEUlT_E_NS1_11comp_targetILNS1_3genE9ELNS1_11target_archE1100ELNS1_3gpuE3ELNS1_3repE0EEENS1_30default_config_static_selectorELNS0_4arch9wavefront6targetE1EEEvSO_
    .private_segment_fixed_size: 0
    .sgpr_count:     6
    .sgpr_spill_count: 0
    .symbol:         _ZN7rocprim17ROCPRIM_400000_NS6detail17trampoline_kernelINS0_14default_configENS1_37merge_sort_block_sort_config_selectorIlNS0_10empty_typeEEEZNS1_21merge_sort_block_sortIS3_PlS8_PS5_S9_ZN2at6native12_GLOBAL__N_124unique_dim_cuda_templateIN3c108BFloat16EEESt5tupleIJNSA_6TensorESH_SH_EERKSH_lbbbEUlllE_EE10hipError_tT0_T1_T2_T3_mRjT4_P12ihipStream_tbNS1_7vsmem_tEEUlT_E_NS1_11comp_targetILNS1_3genE9ELNS1_11target_archE1100ELNS1_3gpuE3ELNS1_3repE0EEENS1_30default_config_static_selectorELNS0_4arch9wavefront6targetE1EEEvSO_.kd
    .uniform_work_group_size: 1
    .uses_dynamic_stack: false
    .vgpr_count:     0
    .vgpr_spill_count: 0
    .wavefront_size: 64
  - .agpr_count:     0
    .args:
      - .offset:         0
        .size:           72
        .value_kind:     by_value
    .group_segment_fixed_size: 0
    .kernarg_segment_align: 8
    .kernarg_segment_size: 72
    .language:       OpenCL C
    .language_version:
      - 2
      - 0
    .max_flat_workgroup_size: 256
    .name:           _ZN7rocprim17ROCPRIM_400000_NS6detail17trampoline_kernelINS0_14default_configENS1_37merge_sort_block_sort_config_selectorIlNS0_10empty_typeEEEZNS1_21merge_sort_block_sortIS3_PlS8_PS5_S9_ZN2at6native12_GLOBAL__N_124unique_dim_cuda_templateIN3c108BFloat16EEESt5tupleIJNSA_6TensorESH_SH_EERKSH_lbbbEUlllE_EE10hipError_tT0_T1_T2_T3_mRjT4_P12ihipStream_tbNS1_7vsmem_tEEUlT_E_NS1_11comp_targetILNS1_3genE8ELNS1_11target_archE1030ELNS1_3gpuE2ELNS1_3repE0EEENS1_30default_config_static_selectorELNS0_4arch9wavefront6targetE1EEEvSO_
    .private_segment_fixed_size: 0
    .sgpr_count:     6
    .sgpr_spill_count: 0
    .symbol:         _ZN7rocprim17ROCPRIM_400000_NS6detail17trampoline_kernelINS0_14default_configENS1_37merge_sort_block_sort_config_selectorIlNS0_10empty_typeEEEZNS1_21merge_sort_block_sortIS3_PlS8_PS5_S9_ZN2at6native12_GLOBAL__N_124unique_dim_cuda_templateIN3c108BFloat16EEESt5tupleIJNSA_6TensorESH_SH_EERKSH_lbbbEUlllE_EE10hipError_tT0_T1_T2_T3_mRjT4_P12ihipStream_tbNS1_7vsmem_tEEUlT_E_NS1_11comp_targetILNS1_3genE8ELNS1_11target_archE1030ELNS1_3gpuE2ELNS1_3repE0EEENS1_30default_config_static_selectorELNS0_4arch9wavefront6targetE1EEEvSO_.kd
    .uniform_work_group_size: 1
    .uses_dynamic_stack: false
    .vgpr_count:     0
    .vgpr_spill_count: 0
    .wavefront_size: 64
  - .agpr_count:     0
    .args:
      - .offset:         0
        .size:           56
        .value_kind:     by_value
    .group_segment_fixed_size: 0
    .kernarg_segment_align: 8
    .kernarg_segment_size: 56
    .language:       OpenCL C
    .language_version:
      - 2
      - 0
    .max_flat_workgroup_size: 128
    .name:           _ZN7rocprim17ROCPRIM_400000_NS6detail17trampoline_kernelINS0_14default_configENS1_38merge_sort_block_merge_config_selectorIlNS0_10empty_typeEEEZZNS1_27merge_sort_block_merge_implIS3_PlPS5_mZN2at6native12_GLOBAL__N_124unique_dim_cuda_templateIN3c108BFloat16EEESt5tupleIJNSA_6TensorESH_SH_EERKSH_lbbbEUlllE_EE10hipError_tT0_T1_T2_jT3_P12ihipStream_tbPNSt15iterator_traitsISN_E10value_typeEPNST_ISO_E10value_typeEPSP_NS1_7vsmem_tEENKUlT_SN_SO_SP_E_clIS8_S8_S9_S9_EESM_S12_SN_SO_SP_EUlS12_E_NS1_11comp_targetILNS1_3genE0ELNS1_11target_archE4294967295ELNS1_3gpuE0ELNS1_3repE0EEENS1_48merge_mergepath_partition_config_static_selectorELNS0_4arch9wavefront6targetE1EEEvSO_
    .private_segment_fixed_size: 0
    .sgpr_count:     38
    .sgpr_spill_count: 0
    .symbol:         _ZN7rocprim17ROCPRIM_400000_NS6detail17trampoline_kernelINS0_14default_configENS1_38merge_sort_block_merge_config_selectorIlNS0_10empty_typeEEEZZNS1_27merge_sort_block_merge_implIS3_PlPS5_mZN2at6native12_GLOBAL__N_124unique_dim_cuda_templateIN3c108BFloat16EEESt5tupleIJNSA_6TensorESH_SH_EERKSH_lbbbEUlllE_EE10hipError_tT0_T1_T2_jT3_P12ihipStream_tbPNSt15iterator_traitsISN_E10value_typeEPNST_ISO_E10value_typeEPSP_NS1_7vsmem_tEENKUlT_SN_SO_SP_E_clIS8_S8_S9_S9_EESM_S12_SN_SO_SP_EUlS12_E_NS1_11comp_targetILNS1_3genE0ELNS1_11target_archE4294967295ELNS1_3gpuE0ELNS1_3repE0EEENS1_48merge_mergepath_partition_config_static_selectorELNS0_4arch9wavefront6targetE1EEEvSO_.kd
    .uniform_work_group_size: 1
    .uses_dynamic_stack: false
    .vgpr_count:     23
    .vgpr_spill_count: 0
    .wavefront_size: 64
  - .agpr_count:     0
    .args:
      - .offset:         0
        .size:           56
        .value_kind:     by_value
    .group_segment_fixed_size: 0
    .kernarg_segment_align: 8
    .kernarg_segment_size: 56
    .language:       OpenCL C
    .language_version:
      - 2
      - 0
    .max_flat_workgroup_size: 128
    .name:           _ZN7rocprim17ROCPRIM_400000_NS6detail17trampoline_kernelINS0_14default_configENS1_38merge_sort_block_merge_config_selectorIlNS0_10empty_typeEEEZZNS1_27merge_sort_block_merge_implIS3_PlPS5_mZN2at6native12_GLOBAL__N_124unique_dim_cuda_templateIN3c108BFloat16EEESt5tupleIJNSA_6TensorESH_SH_EERKSH_lbbbEUlllE_EE10hipError_tT0_T1_T2_jT3_P12ihipStream_tbPNSt15iterator_traitsISN_E10value_typeEPNST_ISO_E10value_typeEPSP_NS1_7vsmem_tEENKUlT_SN_SO_SP_E_clIS8_S8_S9_S9_EESM_S12_SN_SO_SP_EUlS12_E_NS1_11comp_targetILNS1_3genE10ELNS1_11target_archE1201ELNS1_3gpuE5ELNS1_3repE0EEENS1_48merge_mergepath_partition_config_static_selectorELNS0_4arch9wavefront6targetE1EEEvSO_
    .private_segment_fixed_size: 0
    .sgpr_count:     6
    .sgpr_spill_count: 0
    .symbol:         _ZN7rocprim17ROCPRIM_400000_NS6detail17trampoline_kernelINS0_14default_configENS1_38merge_sort_block_merge_config_selectorIlNS0_10empty_typeEEEZZNS1_27merge_sort_block_merge_implIS3_PlPS5_mZN2at6native12_GLOBAL__N_124unique_dim_cuda_templateIN3c108BFloat16EEESt5tupleIJNSA_6TensorESH_SH_EERKSH_lbbbEUlllE_EE10hipError_tT0_T1_T2_jT3_P12ihipStream_tbPNSt15iterator_traitsISN_E10value_typeEPNST_ISO_E10value_typeEPSP_NS1_7vsmem_tEENKUlT_SN_SO_SP_E_clIS8_S8_S9_S9_EESM_S12_SN_SO_SP_EUlS12_E_NS1_11comp_targetILNS1_3genE10ELNS1_11target_archE1201ELNS1_3gpuE5ELNS1_3repE0EEENS1_48merge_mergepath_partition_config_static_selectorELNS0_4arch9wavefront6targetE1EEEvSO_.kd
    .uniform_work_group_size: 1
    .uses_dynamic_stack: false
    .vgpr_count:     0
    .vgpr_spill_count: 0
    .wavefront_size: 64
  - .agpr_count:     0
    .args:
      - .offset:         0
        .size:           56
        .value_kind:     by_value
    .group_segment_fixed_size: 0
    .kernarg_segment_align: 8
    .kernarg_segment_size: 56
    .language:       OpenCL C
    .language_version:
      - 2
      - 0
    .max_flat_workgroup_size: 128
    .name:           _ZN7rocprim17ROCPRIM_400000_NS6detail17trampoline_kernelINS0_14default_configENS1_38merge_sort_block_merge_config_selectorIlNS0_10empty_typeEEEZZNS1_27merge_sort_block_merge_implIS3_PlPS5_mZN2at6native12_GLOBAL__N_124unique_dim_cuda_templateIN3c108BFloat16EEESt5tupleIJNSA_6TensorESH_SH_EERKSH_lbbbEUlllE_EE10hipError_tT0_T1_T2_jT3_P12ihipStream_tbPNSt15iterator_traitsISN_E10value_typeEPNST_ISO_E10value_typeEPSP_NS1_7vsmem_tEENKUlT_SN_SO_SP_E_clIS8_S8_S9_S9_EESM_S12_SN_SO_SP_EUlS12_E_NS1_11comp_targetILNS1_3genE5ELNS1_11target_archE942ELNS1_3gpuE9ELNS1_3repE0EEENS1_48merge_mergepath_partition_config_static_selectorELNS0_4arch9wavefront6targetE1EEEvSO_
    .private_segment_fixed_size: 0
    .sgpr_count:     6
    .sgpr_spill_count: 0
    .symbol:         _ZN7rocprim17ROCPRIM_400000_NS6detail17trampoline_kernelINS0_14default_configENS1_38merge_sort_block_merge_config_selectorIlNS0_10empty_typeEEEZZNS1_27merge_sort_block_merge_implIS3_PlPS5_mZN2at6native12_GLOBAL__N_124unique_dim_cuda_templateIN3c108BFloat16EEESt5tupleIJNSA_6TensorESH_SH_EERKSH_lbbbEUlllE_EE10hipError_tT0_T1_T2_jT3_P12ihipStream_tbPNSt15iterator_traitsISN_E10value_typeEPNST_ISO_E10value_typeEPSP_NS1_7vsmem_tEENKUlT_SN_SO_SP_E_clIS8_S8_S9_S9_EESM_S12_SN_SO_SP_EUlS12_E_NS1_11comp_targetILNS1_3genE5ELNS1_11target_archE942ELNS1_3gpuE9ELNS1_3repE0EEENS1_48merge_mergepath_partition_config_static_selectorELNS0_4arch9wavefront6targetE1EEEvSO_.kd
    .uniform_work_group_size: 1
    .uses_dynamic_stack: false
    .vgpr_count:     0
    .vgpr_spill_count: 0
    .wavefront_size: 64
  - .agpr_count:     0
    .args:
      - .offset:         0
        .size:           56
        .value_kind:     by_value
    .group_segment_fixed_size: 0
    .kernarg_segment_align: 8
    .kernarg_segment_size: 56
    .language:       OpenCL C
    .language_version:
      - 2
      - 0
    .max_flat_workgroup_size: 128
    .name:           _ZN7rocprim17ROCPRIM_400000_NS6detail17trampoline_kernelINS0_14default_configENS1_38merge_sort_block_merge_config_selectorIlNS0_10empty_typeEEEZZNS1_27merge_sort_block_merge_implIS3_PlPS5_mZN2at6native12_GLOBAL__N_124unique_dim_cuda_templateIN3c108BFloat16EEESt5tupleIJNSA_6TensorESH_SH_EERKSH_lbbbEUlllE_EE10hipError_tT0_T1_T2_jT3_P12ihipStream_tbPNSt15iterator_traitsISN_E10value_typeEPNST_ISO_E10value_typeEPSP_NS1_7vsmem_tEENKUlT_SN_SO_SP_E_clIS8_S8_S9_S9_EESM_S12_SN_SO_SP_EUlS12_E_NS1_11comp_targetILNS1_3genE4ELNS1_11target_archE910ELNS1_3gpuE8ELNS1_3repE0EEENS1_48merge_mergepath_partition_config_static_selectorELNS0_4arch9wavefront6targetE1EEEvSO_
    .private_segment_fixed_size: 0
    .sgpr_count:     6
    .sgpr_spill_count: 0
    .symbol:         _ZN7rocprim17ROCPRIM_400000_NS6detail17trampoline_kernelINS0_14default_configENS1_38merge_sort_block_merge_config_selectorIlNS0_10empty_typeEEEZZNS1_27merge_sort_block_merge_implIS3_PlPS5_mZN2at6native12_GLOBAL__N_124unique_dim_cuda_templateIN3c108BFloat16EEESt5tupleIJNSA_6TensorESH_SH_EERKSH_lbbbEUlllE_EE10hipError_tT0_T1_T2_jT3_P12ihipStream_tbPNSt15iterator_traitsISN_E10value_typeEPNST_ISO_E10value_typeEPSP_NS1_7vsmem_tEENKUlT_SN_SO_SP_E_clIS8_S8_S9_S9_EESM_S12_SN_SO_SP_EUlS12_E_NS1_11comp_targetILNS1_3genE4ELNS1_11target_archE910ELNS1_3gpuE8ELNS1_3repE0EEENS1_48merge_mergepath_partition_config_static_selectorELNS0_4arch9wavefront6targetE1EEEvSO_.kd
    .uniform_work_group_size: 1
    .uses_dynamic_stack: false
    .vgpr_count:     0
    .vgpr_spill_count: 0
    .wavefront_size: 64
  - .agpr_count:     0
    .args:
      - .offset:         0
        .size:           56
        .value_kind:     by_value
    .group_segment_fixed_size: 0
    .kernarg_segment_align: 8
    .kernarg_segment_size: 56
    .language:       OpenCL C
    .language_version:
      - 2
      - 0
    .max_flat_workgroup_size: 128
    .name:           _ZN7rocprim17ROCPRIM_400000_NS6detail17trampoline_kernelINS0_14default_configENS1_38merge_sort_block_merge_config_selectorIlNS0_10empty_typeEEEZZNS1_27merge_sort_block_merge_implIS3_PlPS5_mZN2at6native12_GLOBAL__N_124unique_dim_cuda_templateIN3c108BFloat16EEESt5tupleIJNSA_6TensorESH_SH_EERKSH_lbbbEUlllE_EE10hipError_tT0_T1_T2_jT3_P12ihipStream_tbPNSt15iterator_traitsISN_E10value_typeEPNST_ISO_E10value_typeEPSP_NS1_7vsmem_tEENKUlT_SN_SO_SP_E_clIS8_S8_S9_S9_EESM_S12_SN_SO_SP_EUlS12_E_NS1_11comp_targetILNS1_3genE3ELNS1_11target_archE908ELNS1_3gpuE7ELNS1_3repE0EEENS1_48merge_mergepath_partition_config_static_selectorELNS0_4arch9wavefront6targetE1EEEvSO_
    .private_segment_fixed_size: 0
    .sgpr_count:     6
    .sgpr_spill_count: 0
    .symbol:         _ZN7rocprim17ROCPRIM_400000_NS6detail17trampoline_kernelINS0_14default_configENS1_38merge_sort_block_merge_config_selectorIlNS0_10empty_typeEEEZZNS1_27merge_sort_block_merge_implIS3_PlPS5_mZN2at6native12_GLOBAL__N_124unique_dim_cuda_templateIN3c108BFloat16EEESt5tupleIJNSA_6TensorESH_SH_EERKSH_lbbbEUlllE_EE10hipError_tT0_T1_T2_jT3_P12ihipStream_tbPNSt15iterator_traitsISN_E10value_typeEPNST_ISO_E10value_typeEPSP_NS1_7vsmem_tEENKUlT_SN_SO_SP_E_clIS8_S8_S9_S9_EESM_S12_SN_SO_SP_EUlS12_E_NS1_11comp_targetILNS1_3genE3ELNS1_11target_archE908ELNS1_3gpuE7ELNS1_3repE0EEENS1_48merge_mergepath_partition_config_static_selectorELNS0_4arch9wavefront6targetE1EEEvSO_.kd
    .uniform_work_group_size: 1
    .uses_dynamic_stack: false
    .vgpr_count:     0
    .vgpr_spill_count: 0
    .wavefront_size: 64
  - .agpr_count:     0
    .args:
      - .offset:         0
        .size:           56
        .value_kind:     by_value
    .group_segment_fixed_size: 0
    .kernarg_segment_align: 8
    .kernarg_segment_size: 56
    .language:       OpenCL C
    .language_version:
      - 2
      - 0
    .max_flat_workgroup_size: 128
    .name:           _ZN7rocprim17ROCPRIM_400000_NS6detail17trampoline_kernelINS0_14default_configENS1_38merge_sort_block_merge_config_selectorIlNS0_10empty_typeEEEZZNS1_27merge_sort_block_merge_implIS3_PlPS5_mZN2at6native12_GLOBAL__N_124unique_dim_cuda_templateIN3c108BFloat16EEESt5tupleIJNSA_6TensorESH_SH_EERKSH_lbbbEUlllE_EE10hipError_tT0_T1_T2_jT3_P12ihipStream_tbPNSt15iterator_traitsISN_E10value_typeEPNST_ISO_E10value_typeEPSP_NS1_7vsmem_tEENKUlT_SN_SO_SP_E_clIS8_S8_S9_S9_EESM_S12_SN_SO_SP_EUlS12_E_NS1_11comp_targetILNS1_3genE2ELNS1_11target_archE906ELNS1_3gpuE6ELNS1_3repE0EEENS1_48merge_mergepath_partition_config_static_selectorELNS0_4arch9wavefront6targetE1EEEvSO_
    .private_segment_fixed_size: 0
    .sgpr_count:     6
    .sgpr_spill_count: 0
    .symbol:         _ZN7rocprim17ROCPRIM_400000_NS6detail17trampoline_kernelINS0_14default_configENS1_38merge_sort_block_merge_config_selectorIlNS0_10empty_typeEEEZZNS1_27merge_sort_block_merge_implIS3_PlPS5_mZN2at6native12_GLOBAL__N_124unique_dim_cuda_templateIN3c108BFloat16EEESt5tupleIJNSA_6TensorESH_SH_EERKSH_lbbbEUlllE_EE10hipError_tT0_T1_T2_jT3_P12ihipStream_tbPNSt15iterator_traitsISN_E10value_typeEPNST_ISO_E10value_typeEPSP_NS1_7vsmem_tEENKUlT_SN_SO_SP_E_clIS8_S8_S9_S9_EESM_S12_SN_SO_SP_EUlS12_E_NS1_11comp_targetILNS1_3genE2ELNS1_11target_archE906ELNS1_3gpuE6ELNS1_3repE0EEENS1_48merge_mergepath_partition_config_static_selectorELNS0_4arch9wavefront6targetE1EEEvSO_.kd
    .uniform_work_group_size: 1
    .uses_dynamic_stack: false
    .vgpr_count:     0
    .vgpr_spill_count: 0
    .wavefront_size: 64
  - .agpr_count:     0
    .args:
      - .offset:         0
        .size:           56
        .value_kind:     by_value
    .group_segment_fixed_size: 0
    .kernarg_segment_align: 8
    .kernarg_segment_size: 56
    .language:       OpenCL C
    .language_version:
      - 2
      - 0
    .max_flat_workgroup_size: 128
    .name:           _ZN7rocprim17ROCPRIM_400000_NS6detail17trampoline_kernelINS0_14default_configENS1_38merge_sort_block_merge_config_selectorIlNS0_10empty_typeEEEZZNS1_27merge_sort_block_merge_implIS3_PlPS5_mZN2at6native12_GLOBAL__N_124unique_dim_cuda_templateIN3c108BFloat16EEESt5tupleIJNSA_6TensorESH_SH_EERKSH_lbbbEUlllE_EE10hipError_tT0_T1_T2_jT3_P12ihipStream_tbPNSt15iterator_traitsISN_E10value_typeEPNST_ISO_E10value_typeEPSP_NS1_7vsmem_tEENKUlT_SN_SO_SP_E_clIS8_S8_S9_S9_EESM_S12_SN_SO_SP_EUlS12_E_NS1_11comp_targetILNS1_3genE9ELNS1_11target_archE1100ELNS1_3gpuE3ELNS1_3repE0EEENS1_48merge_mergepath_partition_config_static_selectorELNS0_4arch9wavefront6targetE1EEEvSO_
    .private_segment_fixed_size: 0
    .sgpr_count:     6
    .sgpr_spill_count: 0
    .symbol:         _ZN7rocprim17ROCPRIM_400000_NS6detail17trampoline_kernelINS0_14default_configENS1_38merge_sort_block_merge_config_selectorIlNS0_10empty_typeEEEZZNS1_27merge_sort_block_merge_implIS3_PlPS5_mZN2at6native12_GLOBAL__N_124unique_dim_cuda_templateIN3c108BFloat16EEESt5tupleIJNSA_6TensorESH_SH_EERKSH_lbbbEUlllE_EE10hipError_tT0_T1_T2_jT3_P12ihipStream_tbPNSt15iterator_traitsISN_E10value_typeEPNST_ISO_E10value_typeEPSP_NS1_7vsmem_tEENKUlT_SN_SO_SP_E_clIS8_S8_S9_S9_EESM_S12_SN_SO_SP_EUlS12_E_NS1_11comp_targetILNS1_3genE9ELNS1_11target_archE1100ELNS1_3gpuE3ELNS1_3repE0EEENS1_48merge_mergepath_partition_config_static_selectorELNS0_4arch9wavefront6targetE1EEEvSO_.kd
    .uniform_work_group_size: 1
    .uses_dynamic_stack: false
    .vgpr_count:     0
    .vgpr_spill_count: 0
    .wavefront_size: 64
  - .agpr_count:     0
    .args:
      - .offset:         0
        .size:           56
        .value_kind:     by_value
    .group_segment_fixed_size: 0
    .kernarg_segment_align: 8
    .kernarg_segment_size: 56
    .language:       OpenCL C
    .language_version:
      - 2
      - 0
    .max_flat_workgroup_size: 128
    .name:           _ZN7rocprim17ROCPRIM_400000_NS6detail17trampoline_kernelINS0_14default_configENS1_38merge_sort_block_merge_config_selectorIlNS0_10empty_typeEEEZZNS1_27merge_sort_block_merge_implIS3_PlPS5_mZN2at6native12_GLOBAL__N_124unique_dim_cuda_templateIN3c108BFloat16EEESt5tupleIJNSA_6TensorESH_SH_EERKSH_lbbbEUlllE_EE10hipError_tT0_T1_T2_jT3_P12ihipStream_tbPNSt15iterator_traitsISN_E10value_typeEPNST_ISO_E10value_typeEPSP_NS1_7vsmem_tEENKUlT_SN_SO_SP_E_clIS8_S8_S9_S9_EESM_S12_SN_SO_SP_EUlS12_E_NS1_11comp_targetILNS1_3genE8ELNS1_11target_archE1030ELNS1_3gpuE2ELNS1_3repE0EEENS1_48merge_mergepath_partition_config_static_selectorELNS0_4arch9wavefront6targetE1EEEvSO_
    .private_segment_fixed_size: 0
    .sgpr_count:     6
    .sgpr_spill_count: 0
    .symbol:         _ZN7rocprim17ROCPRIM_400000_NS6detail17trampoline_kernelINS0_14default_configENS1_38merge_sort_block_merge_config_selectorIlNS0_10empty_typeEEEZZNS1_27merge_sort_block_merge_implIS3_PlPS5_mZN2at6native12_GLOBAL__N_124unique_dim_cuda_templateIN3c108BFloat16EEESt5tupleIJNSA_6TensorESH_SH_EERKSH_lbbbEUlllE_EE10hipError_tT0_T1_T2_jT3_P12ihipStream_tbPNSt15iterator_traitsISN_E10value_typeEPNST_ISO_E10value_typeEPSP_NS1_7vsmem_tEENKUlT_SN_SO_SP_E_clIS8_S8_S9_S9_EESM_S12_SN_SO_SP_EUlS12_E_NS1_11comp_targetILNS1_3genE8ELNS1_11target_archE1030ELNS1_3gpuE2ELNS1_3repE0EEENS1_48merge_mergepath_partition_config_static_selectorELNS0_4arch9wavefront6targetE1EEEvSO_.kd
    .uniform_work_group_size: 1
    .uses_dynamic_stack: false
    .vgpr_count:     0
    .vgpr_spill_count: 0
    .wavefront_size: 64
  - .agpr_count:     0
    .args:
      - .offset:         0
        .size:           88
        .value_kind:     by_value
      - .offset:         88
        .size:           4
        .value_kind:     hidden_block_count_x
      - .offset:         92
        .size:           4
        .value_kind:     hidden_block_count_y
      - .offset:         96
        .size:           4
        .value_kind:     hidden_block_count_z
      - .offset:         100
        .size:           2
        .value_kind:     hidden_group_size_x
      - .offset:         102
        .size:           2
        .value_kind:     hidden_group_size_y
      - .offset:         104
        .size:           2
        .value_kind:     hidden_group_size_z
      - .offset:         106
        .size:           2
        .value_kind:     hidden_remainder_x
      - .offset:         108
        .size:           2
        .value_kind:     hidden_remainder_y
      - .offset:         110
        .size:           2
        .value_kind:     hidden_remainder_z
      - .offset:         128
        .size:           8
        .value_kind:     hidden_global_offset_x
      - .offset:         136
        .size:           8
        .value_kind:     hidden_global_offset_y
      - .offset:         144
        .size:           8
        .value_kind:     hidden_global_offset_z
      - .offset:         152
        .size:           2
        .value_kind:     hidden_grid_dims
    .group_segment_fixed_size: 8448
    .kernarg_segment_align: 8
    .kernarg_segment_size: 344
    .language:       OpenCL C
    .language_version:
      - 2
      - 0
    .max_flat_workgroup_size: 128
    .name:           _ZN7rocprim17ROCPRIM_400000_NS6detail17trampoline_kernelINS0_14default_configENS1_38merge_sort_block_merge_config_selectorIlNS0_10empty_typeEEEZZNS1_27merge_sort_block_merge_implIS3_PlPS5_mZN2at6native12_GLOBAL__N_124unique_dim_cuda_templateIN3c108BFloat16EEESt5tupleIJNSA_6TensorESH_SH_EERKSH_lbbbEUlllE_EE10hipError_tT0_T1_T2_jT3_P12ihipStream_tbPNSt15iterator_traitsISN_E10value_typeEPNST_ISO_E10value_typeEPSP_NS1_7vsmem_tEENKUlT_SN_SO_SP_E_clIS8_S8_S9_S9_EESM_S12_SN_SO_SP_EUlS12_E0_NS1_11comp_targetILNS1_3genE0ELNS1_11target_archE4294967295ELNS1_3gpuE0ELNS1_3repE0EEENS1_38merge_mergepath_config_static_selectorELNS0_4arch9wavefront6targetE1EEEvSO_
    .private_segment_fixed_size: 0
    .sgpr_count:     58
    .sgpr_spill_count: 0
    .symbol:         _ZN7rocprim17ROCPRIM_400000_NS6detail17trampoline_kernelINS0_14default_configENS1_38merge_sort_block_merge_config_selectorIlNS0_10empty_typeEEEZZNS1_27merge_sort_block_merge_implIS3_PlPS5_mZN2at6native12_GLOBAL__N_124unique_dim_cuda_templateIN3c108BFloat16EEESt5tupleIJNSA_6TensorESH_SH_EERKSH_lbbbEUlllE_EE10hipError_tT0_T1_T2_jT3_P12ihipStream_tbPNSt15iterator_traitsISN_E10value_typeEPNST_ISO_E10value_typeEPSP_NS1_7vsmem_tEENKUlT_SN_SO_SP_E_clIS8_S8_S9_S9_EESM_S12_SN_SO_SP_EUlS12_E0_NS1_11comp_targetILNS1_3genE0ELNS1_11target_archE4294967295ELNS1_3gpuE0ELNS1_3repE0EEENS1_38merge_mergepath_config_static_selectorELNS0_4arch9wavefront6targetE1EEEvSO_.kd
    .uniform_work_group_size: 1
    .uses_dynamic_stack: false
    .vgpr_count:     40
    .vgpr_spill_count: 0
    .wavefront_size: 64
  - .agpr_count:     0
    .args:
      - .offset:         0
        .size:           88
        .value_kind:     by_value
    .group_segment_fixed_size: 0
    .kernarg_segment_align: 8
    .kernarg_segment_size: 88
    .language:       OpenCL C
    .language_version:
      - 2
      - 0
    .max_flat_workgroup_size: 512
    .name:           _ZN7rocprim17ROCPRIM_400000_NS6detail17trampoline_kernelINS0_14default_configENS1_38merge_sort_block_merge_config_selectorIlNS0_10empty_typeEEEZZNS1_27merge_sort_block_merge_implIS3_PlPS5_mZN2at6native12_GLOBAL__N_124unique_dim_cuda_templateIN3c108BFloat16EEESt5tupleIJNSA_6TensorESH_SH_EERKSH_lbbbEUlllE_EE10hipError_tT0_T1_T2_jT3_P12ihipStream_tbPNSt15iterator_traitsISN_E10value_typeEPNST_ISO_E10value_typeEPSP_NS1_7vsmem_tEENKUlT_SN_SO_SP_E_clIS8_S8_S9_S9_EESM_S12_SN_SO_SP_EUlS12_E0_NS1_11comp_targetILNS1_3genE10ELNS1_11target_archE1201ELNS1_3gpuE5ELNS1_3repE0EEENS1_38merge_mergepath_config_static_selectorELNS0_4arch9wavefront6targetE1EEEvSO_
    .private_segment_fixed_size: 0
    .sgpr_count:     6
    .sgpr_spill_count: 0
    .symbol:         _ZN7rocprim17ROCPRIM_400000_NS6detail17trampoline_kernelINS0_14default_configENS1_38merge_sort_block_merge_config_selectorIlNS0_10empty_typeEEEZZNS1_27merge_sort_block_merge_implIS3_PlPS5_mZN2at6native12_GLOBAL__N_124unique_dim_cuda_templateIN3c108BFloat16EEESt5tupleIJNSA_6TensorESH_SH_EERKSH_lbbbEUlllE_EE10hipError_tT0_T1_T2_jT3_P12ihipStream_tbPNSt15iterator_traitsISN_E10value_typeEPNST_ISO_E10value_typeEPSP_NS1_7vsmem_tEENKUlT_SN_SO_SP_E_clIS8_S8_S9_S9_EESM_S12_SN_SO_SP_EUlS12_E0_NS1_11comp_targetILNS1_3genE10ELNS1_11target_archE1201ELNS1_3gpuE5ELNS1_3repE0EEENS1_38merge_mergepath_config_static_selectorELNS0_4arch9wavefront6targetE1EEEvSO_.kd
    .uniform_work_group_size: 1
    .uses_dynamic_stack: false
    .vgpr_count:     0
    .vgpr_spill_count: 0
    .wavefront_size: 64
  - .agpr_count:     0
    .args:
      - .offset:         0
        .size:           88
        .value_kind:     by_value
    .group_segment_fixed_size: 0
    .kernarg_segment_align: 8
    .kernarg_segment_size: 88
    .language:       OpenCL C
    .language_version:
      - 2
      - 0
    .max_flat_workgroup_size: 128
    .name:           _ZN7rocprim17ROCPRIM_400000_NS6detail17trampoline_kernelINS0_14default_configENS1_38merge_sort_block_merge_config_selectorIlNS0_10empty_typeEEEZZNS1_27merge_sort_block_merge_implIS3_PlPS5_mZN2at6native12_GLOBAL__N_124unique_dim_cuda_templateIN3c108BFloat16EEESt5tupleIJNSA_6TensorESH_SH_EERKSH_lbbbEUlllE_EE10hipError_tT0_T1_T2_jT3_P12ihipStream_tbPNSt15iterator_traitsISN_E10value_typeEPNST_ISO_E10value_typeEPSP_NS1_7vsmem_tEENKUlT_SN_SO_SP_E_clIS8_S8_S9_S9_EESM_S12_SN_SO_SP_EUlS12_E0_NS1_11comp_targetILNS1_3genE5ELNS1_11target_archE942ELNS1_3gpuE9ELNS1_3repE0EEENS1_38merge_mergepath_config_static_selectorELNS0_4arch9wavefront6targetE1EEEvSO_
    .private_segment_fixed_size: 0
    .sgpr_count:     6
    .sgpr_spill_count: 0
    .symbol:         _ZN7rocprim17ROCPRIM_400000_NS6detail17trampoline_kernelINS0_14default_configENS1_38merge_sort_block_merge_config_selectorIlNS0_10empty_typeEEEZZNS1_27merge_sort_block_merge_implIS3_PlPS5_mZN2at6native12_GLOBAL__N_124unique_dim_cuda_templateIN3c108BFloat16EEESt5tupleIJNSA_6TensorESH_SH_EERKSH_lbbbEUlllE_EE10hipError_tT0_T1_T2_jT3_P12ihipStream_tbPNSt15iterator_traitsISN_E10value_typeEPNST_ISO_E10value_typeEPSP_NS1_7vsmem_tEENKUlT_SN_SO_SP_E_clIS8_S8_S9_S9_EESM_S12_SN_SO_SP_EUlS12_E0_NS1_11comp_targetILNS1_3genE5ELNS1_11target_archE942ELNS1_3gpuE9ELNS1_3repE0EEENS1_38merge_mergepath_config_static_selectorELNS0_4arch9wavefront6targetE1EEEvSO_.kd
    .uniform_work_group_size: 1
    .uses_dynamic_stack: false
    .vgpr_count:     0
    .vgpr_spill_count: 0
    .wavefront_size: 64
  - .agpr_count:     0
    .args:
      - .offset:         0
        .size:           88
        .value_kind:     by_value
    .group_segment_fixed_size: 0
    .kernarg_segment_align: 8
    .kernarg_segment_size: 88
    .language:       OpenCL C
    .language_version:
      - 2
      - 0
    .max_flat_workgroup_size: 256
    .name:           _ZN7rocprim17ROCPRIM_400000_NS6detail17trampoline_kernelINS0_14default_configENS1_38merge_sort_block_merge_config_selectorIlNS0_10empty_typeEEEZZNS1_27merge_sort_block_merge_implIS3_PlPS5_mZN2at6native12_GLOBAL__N_124unique_dim_cuda_templateIN3c108BFloat16EEESt5tupleIJNSA_6TensorESH_SH_EERKSH_lbbbEUlllE_EE10hipError_tT0_T1_T2_jT3_P12ihipStream_tbPNSt15iterator_traitsISN_E10value_typeEPNST_ISO_E10value_typeEPSP_NS1_7vsmem_tEENKUlT_SN_SO_SP_E_clIS8_S8_S9_S9_EESM_S12_SN_SO_SP_EUlS12_E0_NS1_11comp_targetILNS1_3genE4ELNS1_11target_archE910ELNS1_3gpuE8ELNS1_3repE0EEENS1_38merge_mergepath_config_static_selectorELNS0_4arch9wavefront6targetE1EEEvSO_
    .private_segment_fixed_size: 0
    .sgpr_count:     6
    .sgpr_spill_count: 0
    .symbol:         _ZN7rocprim17ROCPRIM_400000_NS6detail17trampoline_kernelINS0_14default_configENS1_38merge_sort_block_merge_config_selectorIlNS0_10empty_typeEEEZZNS1_27merge_sort_block_merge_implIS3_PlPS5_mZN2at6native12_GLOBAL__N_124unique_dim_cuda_templateIN3c108BFloat16EEESt5tupleIJNSA_6TensorESH_SH_EERKSH_lbbbEUlllE_EE10hipError_tT0_T1_T2_jT3_P12ihipStream_tbPNSt15iterator_traitsISN_E10value_typeEPNST_ISO_E10value_typeEPSP_NS1_7vsmem_tEENKUlT_SN_SO_SP_E_clIS8_S8_S9_S9_EESM_S12_SN_SO_SP_EUlS12_E0_NS1_11comp_targetILNS1_3genE4ELNS1_11target_archE910ELNS1_3gpuE8ELNS1_3repE0EEENS1_38merge_mergepath_config_static_selectorELNS0_4arch9wavefront6targetE1EEEvSO_.kd
    .uniform_work_group_size: 1
    .uses_dynamic_stack: false
    .vgpr_count:     0
    .vgpr_spill_count: 0
    .wavefront_size: 64
  - .agpr_count:     0
    .args:
      - .offset:         0
        .size:           88
        .value_kind:     by_value
    .group_segment_fixed_size: 0
    .kernarg_segment_align: 8
    .kernarg_segment_size: 88
    .language:       OpenCL C
    .language_version:
      - 2
      - 0
    .max_flat_workgroup_size: 128
    .name:           _ZN7rocprim17ROCPRIM_400000_NS6detail17trampoline_kernelINS0_14default_configENS1_38merge_sort_block_merge_config_selectorIlNS0_10empty_typeEEEZZNS1_27merge_sort_block_merge_implIS3_PlPS5_mZN2at6native12_GLOBAL__N_124unique_dim_cuda_templateIN3c108BFloat16EEESt5tupleIJNSA_6TensorESH_SH_EERKSH_lbbbEUlllE_EE10hipError_tT0_T1_T2_jT3_P12ihipStream_tbPNSt15iterator_traitsISN_E10value_typeEPNST_ISO_E10value_typeEPSP_NS1_7vsmem_tEENKUlT_SN_SO_SP_E_clIS8_S8_S9_S9_EESM_S12_SN_SO_SP_EUlS12_E0_NS1_11comp_targetILNS1_3genE3ELNS1_11target_archE908ELNS1_3gpuE7ELNS1_3repE0EEENS1_38merge_mergepath_config_static_selectorELNS0_4arch9wavefront6targetE1EEEvSO_
    .private_segment_fixed_size: 0
    .sgpr_count:     6
    .sgpr_spill_count: 0
    .symbol:         _ZN7rocprim17ROCPRIM_400000_NS6detail17trampoline_kernelINS0_14default_configENS1_38merge_sort_block_merge_config_selectorIlNS0_10empty_typeEEEZZNS1_27merge_sort_block_merge_implIS3_PlPS5_mZN2at6native12_GLOBAL__N_124unique_dim_cuda_templateIN3c108BFloat16EEESt5tupleIJNSA_6TensorESH_SH_EERKSH_lbbbEUlllE_EE10hipError_tT0_T1_T2_jT3_P12ihipStream_tbPNSt15iterator_traitsISN_E10value_typeEPNST_ISO_E10value_typeEPSP_NS1_7vsmem_tEENKUlT_SN_SO_SP_E_clIS8_S8_S9_S9_EESM_S12_SN_SO_SP_EUlS12_E0_NS1_11comp_targetILNS1_3genE3ELNS1_11target_archE908ELNS1_3gpuE7ELNS1_3repE0EEENS1_38merge_mergepath_config_static_selectorELNS0_4arch9wavefront6targetE1EEEvSO_.kd
    .uniform_work_group_size: 1
    .uses_dynamic_stack: false
    .vgpr_count:     0
    .vgpr_spill_count: 0
    .wavefront_size: 64
  - .agpr_count:     0
    .args:
      - .offset:         0
        .size:           88
        .value_kind:     by_value
    .group_segment_fixed_size: 0
    .kernarg_segment_align: 8
    .kernarg_segment_size: 88
    .language:       OpenCL C
    .language_version:
      - 2
      - 0
    .max_flat_workgroup_size: 256
    .name:           _ZN7rocprim17ROCPRIM_400000_NS6detail17trampoline_kernelINS0_14default_configENS1_38merge_sort_block_merge_config_selectorIlNS0_10empty_typeEEEZZNS1_27merge_sort_block_merge_implIS3_PlPS5_mZN2at6native12_GLOBAL__N_124unique_dim_cuda_templateIN3c108BFloat16EEESt5tupleIJNSA_6TensorESH_SH_EERKSH_lbbbEUlllE_EE10hipError_tT0_T1_T2_jT3_P12ihipStream_tbPNSt15iterator_traitsISN_E10value_typeEPNST_ISO_E10value_typeEPSP_NS1_7vsmem_tEENKUlT_SN_SO_SP_E_clIS8_S8_S9_S9_EESM_S12_SN_SO_SP_EUlS12_E0_NS1_11comp_targetILNS1_3genE2ELNS1_11target_archE906ELNS1_3gpuE6ELNS1_3repE0EEENS1_38merge_mergepath_config_static_selectorELNS0_4arch9wavefront6targetE1EEEvSO_
    .private_segment_fixed_size: 0
    .sgpr_count:     6
    .sgpr_spill_count: 0
    .symbol:         _ZN7rocprim17ROCPRIM_400000_NS6detail17trampoline_kernelINS0_14default_configENS1_38merge_sort_block_merge_config_selectorIlNS0_10empty_typeEEEZZNS1_27merge_sort_block_merge_implIS3_PlPS5_mZN2at6native12_GLOBAL__N_124unique_dim_cuda_templateIN3c108BFloat16EEESt5tupleIJNSA_6TensorESH_SH_EERKSH_lbbbEUlllE_EE10hipError_tT0_T1_T2_jT3_P12ihipStream_tbPNSt15iterator_traitsISN_E10value_typeEPNST_ISO_E10value_typeEPSP_NS1_7vsmem_tEENKUlT_SN_SO_SP_E_clIS8_S8_S9_S9_EESM_S12_SN_SO_SP_EUlS12_E0_NS1_11comp_targetILNS1_3genE2ELNS1_11target_archE906ELNS1_3gpuE6ELNS1_3repE0EEENS1_38merge_mergepath_config_static_selectorELNS0_4arch9wavefront6targetE1EEEvSO_.kd
    .uniform_work_group_size: 1
    .uses_dynamic_stack: false
    .vgpr_count:     0
    .vgpr_spill_count: 0
    .wavefront_size: 64
  - .agpr_count:     0
    .args:
      - .offset:         0
        .size:           88
        .value_kind:     by_value
    .group_segment_fixed_size: 0
    .kernarg_segment_align: 8
    .kernarg_segment_size: 88
    .language:       OpenCL C
    .language_version:
      - 2
      - 0
    .max_flat_workgroup_size: 512
    .name:           _ZN7rocprim17ROCPRIM_400000_NS6detail17trampoline_kernelINS0_14default_configENS1_38merge_sort_block_merge_config_selectorIlNS0_10empty_typeEEEZZNS1_27merge_sort_block_merge_implIS3_PlPS5_mZN2at6native12_GLOBAL__N_124unique_dim_cuda_templateIN3c108BFloat16EEESt5tupleIJNSA_6TensorESH_SH_EERKSH_lbbbEUlllE_EE10hipError_tT0_T1_T2_jT3_P12ihipStream_tbPNSt15iterator_traitsISN_E10value_typeEPNST_ISO_E10value_typeEPSP_NS1_7vsmem_tEENKUlT_SN_SO_SP_E_clIS8_S8_S9_S9_EESM_S12_SN_SO_SP_EUlS12_E0_NS1_11comp_targetILNS1_3genE9ELNS1_11target_archE1100ELNS1_3gpuE3ELNS1_3repE0EEENS1_38merge_mergepath_config_static_selectorELNS0_4arch9wavefront6targetE1EEEvSO_
    .private_segment_fixed_size: 0
    .sgpr_count:     6
    .sgpr_spill_count: 0
    .symbol:         _ZN7rocprim17ROCPRIM_400000_NS6detail17trampoline_kernelINS0_14default_configENS1_38merge_sort_block_merge_config_selectorIlNS0_10empty_typeEEEZZNS1_27merge_sort_block_merge_implIS3_PlPS5_mZN2at6native12_GLOBAL__N_124unique_dim_cuda_templateIN3c108BFloat16EEESt5tupleIJNSA_6TensorESH_SH_EERKSH_lbbbEUlllE_EE10hipError_tT0_T1_T2_jT3_P12ihipStream_tbPNSt15iterator_traitsISN_E10value_typeEPNST_ISO_E10value_typeEPSP_NS1_7vsmem_tEENKUlT_SN_SO_SP_E_clIS8_S8_S9_S9_EESM_S12_SN_SO_SP_EUlS12_E0_NS1_11comp_targetILNS1_3genE9ELNS1_11target_archE1100ELNS1_3gpuE3ELNS1_3repE0EEENS1_38merge_mergepath_config_static_selectorELNS0_4arch9wavefront6targetE1EEEvSO_.kd
    .uniform_work_group_size: 1
    .uses_dynamic_stack: false
    .vgpr_count:     0
    .vgpr_spill_count: 0
    .wavefront_size: 64
  - .agpr_count:     0
    .args:
      - .offset:         0
        .size:           88
        .value_kind:     by_value
    .group_segment_fixed_size: 0
    .kernarg_segment_align: 8
    .kernarg_segment_size: 88
    .language:       OpenCL C
    .language_version:
      - 2
      - 0
    .max_flat_workgroup_size: 1024
    .name:           _ZN7rocprim17ROCPRIM_400000_NS6detail17trampoline_kernelINS0_14default_configENS1_38merge_sort_block_merge_config_selectorIlNS0_10empty_typeEEEZZNS1_27merge_sort_block_merge_implIS3_PlPS5_mZN2at6native12_GLOBAL__N_124unique_dim_cuda_templateIN3c108BFloat16EEESt5tupleIJNSA_6TensorESH_SH_EERKSH_lbbbEUlllE_EE10hipError_tT0_T1_T2_jT3_P12ihipStream_tbPNSt15iterator_traitsISN_E10value_typeEPNST_ISO_E10value_typeEPSP_NS1_7vsmem_tEENKUlT_SN_SO_SP_E_clIS8_S8_S9_S9_EESM_S12_SN_SO_SP_EUlS12_E0_NS1_11comp_targetILNS1_3genE8ELNS1_11target_archE1030ELNS1_3gpuE2ELNS1_3repE0EEENS1_38merge_mergepath_config_static_selectorELNS0_4arch9wavefront6targetE1EEEvSO_
    .private_segment_fixed_size: 0
    .sgpr_count:     6
    .sgpr_spill_count: 0
    .symbol:         _ZN7rocprim17ROCPRIM_400000_NS6detail17trampoline_kernelINS0_14default_configENS1_38merge_sort_block_merge_config_selectorIlNS0_10empty_typeEEEZZNS1_27merge_sort_block_merge_implIS3_PlPS5_mZN2at6native12_GLOBAL__N_124unique_dim_cuda_templateIN3c108BFloat16EEESt5tupleIJNSA_6TensorESH_SH_EERKSH_lbbbEUlllE_EE10hipError_tT0_T1_T2_jT3_P12ihipStream_tbPNSt15iterator_traitsISN_E10value_typeEPNST_ISO_E10value_typeEPSP_NS1_7vsmem_tEENKUlT_SN_SO_SP_E_clIS8_S8_S9_S9_EESM_S12_SN_SO_SP_EUlS12_E0_NS1_11comp_targetILNS1_3genE8ELNS1_11target_archE1030ELNS1_3gpuE2ELNS1_3repE0EEENS1_38merge_mergepath_config_static_selectorELNS0_4arch9wavefront6targetE1EEEvSO_.kd
    .uniform_work_group_size: 1
    .uses_dynamic_stack: false
    .vgpr_count:     0
    .vgpr_spill_count: 0
    .wavefront_size: 64
  - .agpr_count:     0
    .args:
      - .offset:         0
        .size:           64
        .value_kind:     by_value
    .group_segment_fixed_size: 0
    .kernarg_segment_align: 8
    .kernarg_segment_size: 64
    .language:       OpenCL C
    .language_version:
      - 2
      - 0
    .max_flat_workgroup_size: 256
    .name:           _ZN7rocprim17ROCPRIM_400000_NS6detail17trampoline_kernelINS0_14default_configENS1_38merge_sort_block_merge_config_selectorIlNS0_10empty_typeEEEZZNS1_27merge_sort_block_merge_implIS3_PlPS5_mZN2at6native12_GLOBAL__N_124unique_dim_cuda_templateIN3c108BFloat16EEESt5tupleIJNSA_6TensorESH_SH_EERKSH_lbbbEUlllE_EE10hipError_tT0_T1_T2_jT3_P12ihipStream_tbPNSt15iterator_traitsISN_E10value_typeEPNST_ISO_E10value_typeEPSP_NS1_7vsmem_tEENKUlT_SN_SO_SP_E_clIS8_S8_S9_S9_EESM_S12_SN_SO_SP_EUlS12_E1_NS1_11comp_targetILNS1_3genE0ELNS1_11target_archE4294967295ELNS1_3gpuE0ELNS1_3repE0EEENS1_36merge_oddeven_config_static_selectorELNS0_4arch9wavefront6targetE1EEEvSO_
    .private_segment_fixed_size: 0
    .sgpr_count:     52
    .sgpr_spill_count: 0
    .symbol:         _ZN7rocprim17ROCPRIM_400000_NS6detail17trampoline_kernelINS0_14default_configENS1_38merge_sort_block_merge_config_selectorIlNS0_10empty_typeEEEZZNS1_27merge_sort_block_merge_implIS3_PlPS5_mZN2at6native12_GLOBAL__N_124unique_dim_cuda_templateIN3c108BFloat16EEESt5tupleIJNSA_6TensorESH_SH_EERKSH_lbbbEUlllE_EE10hipError_tT0_T1_T2_jT3_P12ihipStream_tbPNSt15iterator_traitsISN_E10value_typeEPNST_ISO_E10value_typeEPSP_NS1_7vsmem_tEENKUlT_SN_SO_SP_E_clIS8_S8_S9_S9_EESM_S12_SN_SO_SP_EUlS12_E1_NS1_11comp_targetILNS1_3genE0ELNS1_11target_archE4294967295ELNS1_3gpuE0ELNS1_3repE0EEENS1_36merge_oddeven_config_static_selectorELNS0_4arch9wavefront6targetE1EEEvSO_.kd
    .uniform_work_group_size: 1
    .uses_dynamic_stack: false
    .vgpr_count:     19
    .vgpr_spill_count: 0
    .wavefront_size: 64
  - .agpr_count:     0
    .args:
      - .offset:         0
        .size:           64
        .value_kind:     by_value
    .group_segment_fixed_size: 0
    .kernarg_segment_align: 8
    .kernarg_segment_size: 64
    .language:       OpenCL C
    .language_version:
      - 2
      - 0
    .max_flat_workgroup_size: 256
    .name:           _ZN7rocprim17ROCPRIM_400000_NS6detail17trampoline_kernelINS0_14default_configENS1_38merge_sort_block_merge_config_selectorIlNS0_10empty_typeEEEZZNS1_27merge_sort_block_merge_implIS3_PlPS5_mZN2at6native12_GLOBAL__N_124unique_dim_cuda_templateIN3c108BFloat16EEESt5tupleIJNSA_6TensorESH_SH_EERKSH_lbbbEUlllE_EE10hipError_tT0_T1_T2_jT3_P12ihipStream_tbPNSt15iterator_traitsISN_E10value_typeEPNST_ISO_E10value_typeEPSP_NS1_7vsmem_tEENKUlT_SN_SO_SP_E_clIS8_S8_S9_S9_EESM_S12_SN_SO_SP_EUlS12_E1_NS1_11comp_targetILNS1_3genE10ELNS1_11target_archE1201ELNS1_3gpuE5ELNS1_3repE0EEENS1_36merge_oddeven_config_static_selectorELNS0_4arch9wavefront6targetE1EEEvSO_
    .private_segment_fixed_size: 0
    .sgpr_count:     6
    .sgpr_spill_count: 0
    .symbol:         _ZN7rocprim17ROCPRIM_400000_NS6detail17trampoline_kernelINS0_14default_configENS1_38merge_sort_block_merge_config_selectorIlNS0_10empty_typeEEEZZNS1_27merge_sort_block_merge_implIS3_PlPS5_mZN2at6native12_GLOBAL__N_124unique_dim_cuda_templateIN3c108BFloat16EEESt5tupleIJNSA_6TensorESH_SH_EERKSH_lbbbEUlllE_EE10hipError_tT0_T1_T2_jT3_P12ihipStream_tbPNSt15iterator_traitsISN_E10value_typeEPNST_ISO_E10value_typeEPSP_NS1_7vsmem_tEENKUlT_SN_SO_SP_E_clIS8_S8_S9_S9_EESM_S12_SN_SO_SP_EUlS12_E1_NS1_11comp_targetILNS1_3genE10ELNS1_11target_archE1201ELNS1_3gpuE5ELNS1_3repE0EEENS1_36merge_oddeven_config_static_selectorELNS0_4arch9wavefront6targetE1EEEvSO_.kd
    .uniform_work_group_size: 1
    .uses_dynamic_stack: false
    .vgpr_count:     0
    .vgpr_spill_count: 0
    .wavefront_size: 64
  - .agpr_count:     0
    .args:
      - .offset:         0
        .size:           64
        .value_kind:     by_value
    .group_segment_fixed_size: 0
    .kernarg_segment_align: 8
    .kernarg_segment_size: 64
    .language:       OpenCL C
    .language_version:
      - 2
      - 0
    .max_flat_workgroup_size: 256
    .name:           _ZN7rocprim17ROCPRIM_400000_NS6detail17trampoline_kernelINS0_14default_configENS1_38merge_sort_block_merge_config_selectorIlNS0_10empty_typeEEEZZNS1_27merge_sort_block_merge_implIS3_PlPS5_mZN2at6native12_GLOBAL__N_124unique_dim_cuda_templateIN3c108BFloat16EEESt5tupleIJNSA_6TensorESH_SH_EERKSH_lbbbEUlllE_EE10hipError_tT0_T1_T2_jT3_P12ihipStream_tbPNSt15iterator_traitsISN_E10value_typeEPNST_ISO_E10value_typeEPSP_NS1_7vsmem_tEENKUlT_SN_SO_SP_E_clIS8_S8_S9_S9_EESM_S12_SN_SO_SP_EUlS12_E1_NS1_11comp_targetILNS1_3genE5ELNS1_11target_archE942ELNS1_3gpuE9ELNS1_3repE0EEENS1_36merge_oddeven_config_static_selectorELNS0_4arch9wavefront6targetE1EEEvSO_
    .private_segment_fixed_size: 0
    .sgpr_count:     6
    .sgpr_spill_count: 0
    .symbol:         _ZN7rocprim17ROCPRIM_400000_NS6detail17trampoline_kernelINS0_14default_configENS1_38merge_sort_block_merge_config_selectorIlNS0_10empty_typeEEEZZNS1_27merge_sort_block_merge_implIS3_PlPS5_mZN2at6native12_GLOBAL__N_124unique_dim_cuda_templateIN3c108BFloat16EEESt5tupleIJNSA_6TensorESH_SH_EERKSH_lbbbEUlllE_EE10hipError_tT0_T1_T2_jT3_P12ihipStream_tbPNSt15iterator_traitsISN_E10value_typeEPNST_ISO_E10value_typeEPSP_NS1_7vsmem_tEENKUlT_SN_SO_SP_E_clIS8_S8_S9_S9_EESM_S12_SN_SO_SP_EUlS12_E1_NS1_11comp_targetILNS1_3genE5ELNS1_11target_archE942ELNS1_3gpuE9ELNS1_3repE0EEENS1_36merge_oddeven_config_static_selectorELNS0_4arch9wavefront6targetE1EEEvSO_.kd
    .uniform_work_group_size: 1
    .uses_dynamic_stack: false
    .vgpr_count:     0
    .vgpr_spill_count: 0
    .wavefront_size: 64
  - .agpr_count:     0
    .args:
      - .offset:         0
        .size:           64
        .value_kind:     by_value
    .group_segment_fixed_size: 0
    .kernarg_segment_align: 8
    .kernarg_segment_size: 64
    .language:       OpenCL C
    .language_version:
      - 2
      - 0
    .max_flat_workgroup_size: 256
    .name:           _ZN7rocprim17ROCPRIM_400000_NS6detail17trampoline_kernelINS0_14default_configENS1_38merge_sort_block_merge_config_selectorIlNS0_10empty_typeEEEZZNS1_27merge_sort_block_merge_implIS3_PlPS5_mZN2at6native12_GLOBAL__N_124unique_dim_cuda_templateIN3c108BFloat16EEESt5tupleIJNSA_6TensorESH_SH_EERKSH_lbbbEUlllE_EE10hipError_tT0_T1_T2_jT3_P12ihipStream_tbPNSt15iterator_traitsISN_E10value_typeEPNST_ISO_E10value_typeEPSP_NS1_7vsmem_tEENKUlT_SN_SO_SP_E_clIS8_S8_S9_S9_EESM_S12_SN_SO_SP_EUlS12_E1_NS1_11comp_targetILNS1_3genE4ELNS1_11target_archE910ELNS1_3gpuE8ELNS1_3repE0EEENS1_36merge_oddeven_config_static_selectorELNS0_4arch9wavefront6targetE1EEEvSO_
    .private_segment_fixed_size: 0
    .sgpr_count:     6
    .sgpr_spill_count: 0
    .symbol:         _ZN7rocprim17ROCPRIM_400000_NS6detail17trampoline_kernelINS0_14default_configENS1_38merge_sort_block_merge_config_selectorIlNS0_10empty_typeEEEZZNS1_27merge_sort_block_merge_implIS3_PlPS5_mZN2at6native12_GLOBAL__N_124unique_dim_cuda_templateIN3c108BFloat16EEESt5tupleIJNSA_6TensorESH_SH_EERKSH_lbbbEUlllE_EE10hipError_tT0_T1_T2_jT3_P12ihipStream_tbPNSt15iterator_traitsISN_E10value_typeEPNST_ISO_E10value_typeEPSP_NS1_7vsmem_tEENKUlT_SN_SO_SP_E_clIS8_S8_S9_S9_EESM_S12_SN_SO_SP_EUlS12_E1_NS1_11comp_targetILNS1_3genE4ELNS1_11target_archE910ELNS1_3gpuE8ELNS1_3repE0EEENS1_36merge_oddeven_config_static_selectorELNS0_4arch9wavefront6targetE1EEEvSO_.kd
    .uniform_work_group_size: 1
    .uses_dynamic_stack: false
    .vgpr_count:     0
    .vgpr_spill_count: 0
    .wavefront_size: 64
  - .agpr_count:     0
    .args:
      - .offset:         0
        .size:           64
        .value_kind:     by_value
    .group_segment_fixed_size: 0
    .kernarg_segment_align: 8
    .kernarg_segment_size: 64
    .language:       OpenCL C
    .language_version:
      - 2
      - 0
    .max_flat_workgroup_size: 256
    .name:           _ZN7rocprim17ROCPRIM_400000_NS6detail17trampoline_kernelINS0_14default_configENS1_38merge_sort_block_merge_config_selectorIlNS0_10empty_typeEEEZZNS1_27merge_sort_block_merge_implIS3_PlPS5_mZN2at6native12_GLOBAL__N_124unique_dim_cuda_templateIN3c108BFloat16EEESt5tupleIJNSA_6TensorESH_SH_EERKSH_lbbbEUlllE_EE10hipError_tT0_T1_T2_jT3_P12ihipStream_tbPNSt15iterator_traitsISN_E10value_typeEPNST_ISO_E10value_typeEPSP_NS1_7vsmem_tEENKUlT_SN_SO_SP_E_clIS8_S8_S9_S9_EESM_S12_SN_SO_SP_EUlS12_E1_NS1_11comp_targetILNS1_3genE3ELNS1_11target_archE908ELNS1_3gpuE7ELNS1_3repE0EEENS1_36merge_oddeven_config_static_selectorELNS0_4arch9wavefront6targetE1EEEvSO_
    .private_segment_fixed_size: 0
    .sgpr_count:     6
    .sgpr_spill_count: 0
    .symbol:         _ZN7rocprim17ROCPRIM_400000_NS6detail17trampoline_kernelINS0_14default_configENS1_38merge_sort_block_merge_config_selectorIlNS0_10empty_typeEEEZZNS1_27merge_sort_block_merge_implIS3_PlPS5_mZN2at6native12_GLOBAL__N_124unique_dim_cuda_templateIN3c108BFloat16EEESt5tupleIJNSA_6TensorESH_SH_EERKSH_lbbbEUlllE_EE10hipError_tT0_T1_T2_jT3_P12ihipStream_tbPNSt15iterator_traitsISN_E10value_typeEPNST_ISO_E10value_typeEPSP_NS1_7vsmem_tEENKUlT_SN_SO_SP_E_clIS8_S8_S9_S9_EESM_S12_SN_SO_SP_EUlS12_E1_NS1_11comp_targetILNS1_3genE3ELNS1_11target_archE908ELNS1_3gpuE7ELNS1_3repE0EEENS1_36merge_oddeven_config_static_selectorELNS0_4arch9wavefront6targetE1EEEvSO_.kd
    .uniform_work_group_size: 1
    .uses_dynamic_stack: false
    .vgpr_count:     0
    .vgpr_spill_count: 0
    .wavefront_size: 64
  - .agpr_count:     0
    .args:
      - .offset:         0
        .size:           64
        .value_kind:     by_value
    .group_segment_fixed_size: 0
    .kernarg_segment_align: 8
    .kernarg_segment_size: 64
    .language:       OpenCL C
    .language_version:
      - 2
      - 0
    .max_flat_workgroup_size: 256
    .name:           _ZN7rocprim17ROCPRIM_400000_NS6detail17trampoline_kernelINS0_14default_configENS1_38merge_sort_block_merge_config_selectorIlNS0_10empty_typeEEEZZNS1_27merge_sort_block_merge_implIS3_PlPS5_mZN2at6native12_GLOBAL__N_124unique_dim_cuda_templateIN3c108BFloat16EEESt5tupleIJNSA_6TensorESH_SH_EERKSH_lbbbEUlllE_EE10hipError_tT0_T1_T2_jT3_P12ihipStream_tbPNSt15iterator_traitsISN_E10value_typeEPNST_ISO_E10value_typeEPSP_NS1_7vsmem_tEENKUlT_SN_SO_SP_E_clIS8_S8_S9_S9_EESM_S12_SN_SO_SP_EUlS12_E1_NS1_11comp_targetILNS1_3genE2ELNS1_11target_archE906ELNS1_3gpuE6ELNS1_3repE0EEENS1_36merge_oddeven_config_static_selectorELNS0_4arch9wavefront6targetE1EEEvSO_
    .private_segment_fixed_size: 0
    .sgpr_count:     6
    .sgpr_spill_count: 0
    .symbol:         _ZN7rocprim17ROCPRIM_400000_NS6detail17trampoline_kernelINS0_14default_configENS1_38merge_sort_block_merge_config_selectorIlNS0_10empty_typeEEEZZNS1_27merge_sort_block_merge_implIS3_PlPS5_mZN2at6native12_GLOBAL__N_124unique_dim_cuda_templateIN3c108BFloat16EEESt5tupleIJNSA_6TensorESH_SH_EERKSH_lbbbEUlllE_EE10hipError_tT0_T1_T2_jT3_P12ihipStream_tbPNSt15iterator_traitsISN_E10value_typeEPNST_ISO_E10value_typeEPSP_NS1_7vsmem_tEENKUlT_SN_SO_SP_E_clIS8_S8_S9_S9_EESM_S12_SN_SO_SP_EUlS12_E1_NS1_11comp_targetILNS1_3genE2ELNS1_11target_archE906ELNS1_3gpuE6ELNS1_3repE0EEENS1_36merge_oddeven_config_static_selectorELNS0_4arch9wavefront6targetE1EEEvSO_.kd
    .uniform_work_group_size: 1
    .uses_dynamic_stack: false
    .vgpr_count:     0
    .vgpr_spill_count: 0
    .wavefront_size: 64
  - .agpr_count:     0
    .args:
      - .offset:         0
        .size:           64
        .value_kind:     by_value
    .group_segment_fixed_size: 0
    .kernarg_segment_align: 8
    .kernarg_segment_size: 64
    .language:       OpenCL C
    .language_version:
      - 2
      - 0
    .max_flat_workgroup_size: 256
    .name:           _ZN7rocprim17ROCPRIM_400000_NS6detail17trampoline_kernelINS0_14default_configENS1_38merge_sort_block_merge_config_selectorIlNS0_10empty_typeEEEZZNS1_27merge_sort_block_merge_implIS3_PlPS5_mZN2at6native12_GLOBAL__N_124unique_dim_cuda_templateIN3c108BFloat16EEESt5tupleIJNSA_6TensorESH_SH_EERKSH_lbbbEUlllE_EE10hipError_tT0_T1_T2_jT3_P12ihipStream_tbPNSt15iterator_traitsISN_E10value_typeEPNST_ISO_E10value_typeEPSP_NS1_7vsmem_tEENKUlT_SN_SO_SP_E_clIS8_S8_S9_S9_EESM_S12_SN_SO_SP_EUlS12_E1_NS1_11comp_targetILNS1_3genE9ELNS1_11target_archE1100ELNS1_3gpuE3ELNS1_3repE0EEENS1_36merge_oddeven_config_static_selectorELNS0_4arch9wavefront6targetE1EEEvSO_
    .private_segment_fixed_size: 0
    .sgpr_count:     6
    .sgpr_spill_count: 0
    .symbol:         _ZN7rocprim17ROCPRIM_400000_NS6detail17trampoline_kernelINS0_14default_configENS1_38merge_sort_block_merge_config_selectorIlNS0_10empty_typeEEEZZNS1_27merge_sort_block_merge_implIS3_PlPS5_mZN2at6native12_GLOBAL__N_124unique_dim_cuda_templateIN3c108BFloat16EEESt5tupleIJNSA_6TensorESH_SH_EERKSH_lbbbEUlllE_EE10hipError_tT0_T1_T2_jT3_P12ihipStream_tbPNSt15iterator_traitsISN_E10value_typeEPNST_ISO_E10value_typeEPSP_NS1_7vsmem_tEENKUlT_SN_SO_SP_E_clIS8_S8_S9_S9_EESM_S12_SN_SO_SP_EUlS12_E1_NS1_11comp_targetILNS1_3genE9ELNS1_11target_archE1100ELNS1_3gpuE3ELNS1_3repE0EEENS1_36merge_oddeven_config_static_selectorELNS0_4arch9wavefront6targetE1EEEvSO_.kd
    .uniform_work_group_size: 1
    .uses_dynamic_stack: false
    .vgpr_count:     0
    .vgpr_spill_count: 0
    .wavefront_size: 64
  - .agpr_count:     0
    .args:
      - .offset:         0
        .size:           64
        .value_kind:     by_value
    .group_segment_fixed_size: 0
    .kernarg_segment_align: 8
    .kernarg_segment_size: 64
    .language:       OpenCL C
    .language_version:
      - 2
      - 0
    .max_flat_workgroup_size: 256
    .name:           _ZN7rocprim17ROCPRIM_400000_NS6detail17trampoline_kernelINS0_14default_configENS1_38merge_sort_block_merge_config_selectorIlNS0_10empty_typeEEEZZNS1_27merge_sort_block_merge_implIS3_PlPS5_mZN2at6native12_GLOBAL__N_124unique_dim_cuda_templateIN3c108BFloat16EEESt5tupleIJNSA_6TensorESH_SH_EERKSH_lbbbEUlllE_EE10hipError_tT0_T1_T2_jT3_P12ihipStream_tbPNSt15iterator_traitsISN_E10value_typeEPNST_ISO_E10value_typeEPSP_NS1_7vsmem_tEENKUlT_SN_SO_SP_E_clIS8_S8_S9_S9_EESM_S12_SN_SO_SP_EUlS12_E1_NS1_11comp_targetILNS1_3genE8ELNS1_11target_archE1030ELNS1_3gpuE2ELNS1_3repE0EEENS1_36merge_oddeven_config_static_selectorELNS0_4arch9wavefront6targetE1EEEvSO_
    .private_segment_fixed_size: 0
    .sgpr_count:     6
    .sgpr_spill_count: 0
    .symbol:         _ZN7rocprim17ROCPRIM_400000_NS6detail17trampoline_kernelINS0_14default_configENS1_38merge_sort_block_merge_config_selectorIlNS0_10empty_typeEEEZZNS1_27merge_sort_block_merge_implIS3_PlPS5_mZN2at6native12_GLOBAL__N_124unique_dim_cuda_templateIN3c108BFloat16EEESt5tupleIJNSA_6TensorESH_SH_EERKSH_lbbbEUlllE_EE10hipError_tT0_T1_T2_jT3_P12ihipStream_tbPNSt15iterator_traitsISN_E10value_typeEPNST_ISO_E10value_typeEPSP_NS1_7vsmem_tEENKUlT_SN_SO_SP_E_clIS8_S8_S9_S9_EESM_S12_SN_SO_SP_EUlS12_E1_NS1_11comp_targetILNS1_3genE8ELNS1_11target_archE1030ELNS1_3gpuE2ELNS1_3repE0EEENS1_36merge_oddeven_config_static_selectorELNS0_4arch9wavefront6targetE1EEEvSO_.kd
    .uniform_work_group_size: 1
    .uses_dynamic_stack: false
    .vgpr_count:     0
    .vgpr_spill_count: 0
    .wavefront_size: 64
  - .agpr_count:     0
    .args:
      - .offset:         0
        .size:           64
        .value_kind:     by_value
    .group_segment_fixed_size: 2048
    .kernarg_segment_align: 8
    .kernarg_segment_size: 64
    .language:       OpenCL C
    .language_version:
      - 2
      - 0
    .max_flat_workgroup_size: 128
    .name:           _ZN7rocprim17ROCPRIM_400000_NS6detail17trampoline_kernelINS0_14default_configENS1_35adjacent_difference_config_selectorILb0ElEEZNS1_24adjacent_difference_implIS3_Lb0ELb0EPlS7_ZN2at6native12_GLOBAL__N_124unique_dim_cuda_templateIN3c108BFloat16EEESt5tupleIJNS8_6TensorESF_SF_EERKSF_lbbbEUlllE1_EE10hipError_tPvRmT2_T3_mT4_P12ihipStream_tbEUlT_E_NS1_11comp_targetILNS1_3genE0ELNS1_11target_archE4294967295ELNS1_3gpuE0ELNS1_3repE0EEENS1_30default_config_static_selectorELNS0_4arch9wavefront6targetE1EEEvT1_
    .private_segment_fixed_size: 0
    .sgpr_count:     38
    .sgpr_spill_count: 0
    .symbol:         _ZN7rocprim17ROCPRIM_400000_NS6detail17trampoline_kernelINS0_14default_configENS1_35adjacent_difference_config_selectorILb0ElEEZNS1_24adjacent_difference_implIS3_Lb0ELb0EPlS7_ZN2at6native12_GLOBAL__N_124unique_dim_cuda_templateIN3c108BFloat16EEESt5tupleIJNS8_6TensorESF_SF_EERKSF_lbbbEUlllE1_EE10hipError_tPvRmT2_T3_mT4_P12ihipStream_tbEUlT_E_NS1_11comp_targetILNS1_3genE0ELNS1_11target_archE4294967295ELNS1_3gpuE0ELNS1_3repE0EEENS1_30default_config_static_selectorELNS0_4arch9wavefront6targetE1EEEvT1_.kd
    .uniform_work_group_size: 1
    .uses_dynamic_stack: false
    .vgpr_count:     11
    .vgpr_spill_count: 0
    .wavefront_size: 64
  - .agpr_count:     0
    .args:
      - .offset:         0
        .size:           64
        .value_kind:     by_value
    .group_segment_fixed_size: 0
    .kernarg_segment_align: 8
    .kernarg_segment_size: 64
    .language:       OpenCL C
    .language_version:
      - 2
      - 0
    .max_flat_workgroup_size: 128
    .name:           _ZN7rocprim17ROCPRIM_400000_NS6detail17trampoline_kernelINS0_14default_configENS1_35adjacent_difference_config_selectorILb0ElEEZNS1_24adjacent_difference_implIS3_Lb0ELb0EPlS7_ZN2at6native12_GLOBAL__N_124unique_dim_cuda_templateIN3c108BFloat16EEESt5tupleIJNS8_6TensorESF_SF_EERKSF_lbbbEUlllE1_EE10hipError_tPvRmT2_T3_mT4_P12ihipStream_tbEUlT_E_NS1_11comp_targetILNS1_3genE10ELNS1_11target_archE1201ELNS1_3gpuE5ELNS1_3repE0EEENS1_30default_config_static_selectorELNS0_4arch9wavefront6targetE1EEEvT1_
    .private_segment_fixed_size: 0
    .sgpr_count:     6
    .sgpr_spill_count: 0
    .symbol:         _ZN7rocprim17ROCPRIM_400000_NS6detail17trampoline_kernelINS0_14default_configENS1_35adjacent_difference_config_selectorILb0ElEEZNS1_24adjacent_difference_implIS3_Lb0ELb0EPlS7_ZN2at6native12_GLOBAL__N_124unique_dim_cuda_templateIN3c108BFloat16EEESt5tupleIJNS8_6TensorESF_SF_EERKSF_lbbbEUlllE1_EE10hipError_tPvRmT2_T3_mT4_P12ihipStream_tbEUlT_E_NS1_11comp_targetILNS1_3genE10ELNS1_11target_archE1201ELNS1_3gpuE5ELNS1_3repE0EEENS1_30default_config_static_selectorELNS0_4arch9wavefront6targetE1EEEvT1_.kd
    .uniform_work_group_size: 1
    .uses_dynamic_stack: false
    .vgpr_count:     0
    .vgpr_spill_count: 0
    .wavefront_size: 64
  - .agpr_count:     0
    .args:
      - .offset:         0
        .size:           64
        .value_kind:     by_value
    .group_segment_fixed_size: 0
    .kernarg_segment_align: 8
    .kernarg_segment_size: 64
    .language:       OpenCL C
    .language_version:
      - 2
      - 0
    .max_flat_workgroup_size: 64
    .name:           _ZN7rocprim17ROCPRIM_400000_NS6detail17trampoline_kernelINS0_14default_configENS1_35adjacent_difference_config_selectorILb0ElEEZNS1_24adjacent_difference_implIS3_Lb0ELb0EPlS7_ZN2at6native12_GLOBAL__N_124unique_dim_cuda_templateIN3c108BFloat16EEESt5tupleIJNS8_6TensorESF_SF_EERKSF_lbbbEUlllE1_EE10hipError_tPvRmT2_T3_mT4_P12ihipStream_tbEUlT_E_NS1_11comp_targetILNS1_3genE5ELNS1_11target_archE942ELNS1_3gpuE9ELNS1_3repE0EEENS1_30default_config_static_selectorELNS0_4arch9wavefront6targetE1EEEvT1_
    .private_segment_fixed_size: 0
    .sgpr_count:     6
    .sgpr_spill_count: 0
    .symbol:         _ZN7rocprim17ROCPRIM_400000_NS6detail17trampoline_kernelINS0_14default_configENS1_35adjacent_difference_config_selectorILb0ElEEZNS1_24adjacent_difference_implIS3_Lb0ELb0EPlS7_ZN2at6native12_GLOBAL__N_124unique_dim_cuda_templateIN3c108BFloat16EEESt5tupleIJNS8_6TensorESF_SF_EERKSF_lbbbEUlllE1_EE10hipError_tPvRmT2_T3_mT4_P12ihipStream_tbEUlT_E_NS1_11comp_targetILNS1_3genE5ELNS1_11target_archE942ELNS1_3gpuE9ELNS1_3repE0EEENS1_30default_config_static_selectorELNS0_4arch9wavefront6targetE1EEEvT1_.kd
    .uniform_work_group_size: 1
    .uses_dynamic_stack: false
    .vgpr_count:     0
    .vgpr_spill_count: 0
    .wavefront_size: 64
  - .agpr_count:     0
    .args:
      - .offset:         0
        .size:           64
        .value_kind:     by_value
    .group_segment_fixed_size: 0
    .kernarg_segment_align: 8
    .kernarg_segment_size: 64
    .language:       OpenCL C
    .language_version:
      - 2
      - 0
    .max_flat_workgroup_size: 256
    .name:           _ZN7rocprim17ROCPRIM_400000_NS6detail17trampoline_kernelINS0_14default_configENS1_35adjacent_difference_config_selectorILb0ElEEZNS1_24adjacent_difference_implIS3_Lb0ELb0EPlS7_ZN2at6native12_GLOBAL__N_124unique_dim_cuda_templateIN3c108BFloat16EEESt5tupleIJNS8_6TensorESF_SF_EERKSF_lbbbEUlllE1_EE10hipError_tPvRmT2_T3_mT4_P12ihipStream_tbEUlT_E_NS1_11comp_targetILNS1_3genE4ELNS1_11target_archE910ELNS1_3gpuE8ELNS1_3repE0EEENS1_30default_config_static_selectorELNS0_4arch9wavefront6targetE1EEEvT1_
    .private_segment_fixed_size: 0
    .sgpr_count:     6
    .sgpr_spill_count: 0
    .symbol:         _ZN7rocprim17ROCPRIM_400000_NS6detail17trampoline_kernelINS0_14default_configENS1_35adjacent_difference_config_selectorILb0ElEEZNS1_24adjacent_difference_implIS3_Lb0ELb0EPlS7_ZN2at6native12_GLOBAL__N_124unique_dim_cuda_templateIN3c108BFloat16EEESt5tupleIJNS8_6TensorESF_SF_EERKSF_lbbbEUlllE1_EE10hipError_tPvRmT2_T3_mT4_P12ihipStream_tbEUlT_E_NS1_11comp_targetILNS1_3genE4ELNS1_11target_archE910ELNS1_3gpuE8ELNS1_3repE0EEENS1_30default_config_static_selectorELNS0_4arch9wavefront6targetE1EEEvT1_.kd
    .uniform_work_group_size: 1
    .uses_dynamic_stack: false
    .vgpr_count:     0
    .vgpr_spill_count: 0
    .wavefront_size: 64
  - .agpr_count:     0
    .args:
      - .offset:         0
        .size:           64
        .value_kind:     by_value
    .group_segment_fixed_size: 0
    .kernarg_segment_align: 8
    .kernarg_segment_size: 64
    .language:       OpenCL C
    .language_version:
      - 2
      - 0
    .max_flat_workgroup_size: 128
    .name:           _ZN7rocprim17ROCPRIM_400000_NS6detail17trampoline_kernelINS0_14default_configENS1_35adjacent_difference_config_selectorILb0ElEEZNS1_24adjacent_difference_implIS3_Lb0ELb0EPlS7_ZN2at6native12_GLOBAL__N_124unique_dim_cuda_templateIN3c108BFloat16EEESt5tupleIJNS8_6TensorESF_SF_EERKSF_lbbbEUlllE1_EE10hipError_tPvRmT2_T3_mT4_P12ihipStream_tbEUlT_E_NS1_11comp_targetILNS1_3genE3ELNS1_11target_archE908ELNS1_3gpuE7ELNS1_3repE0EEENS1_30default_config_static_selectorELNS0_4arch9wavefront6targetE1EEEvT1_
    .private_segment_fixed_size: 0
    .sgpr_count:     6
    .sgpr_spill_count: 0
    .symbol:         _ZN7rocprim17ROCPRIM_400000_NS6detail17trampoline_kernelINS0_14default_configENS1_35adjacent_difference_config_selectorILb0ElEEZNS1_24adjacent_difference_implIS3_Lb0ELb0EPlS7_ZN2at6native12_GLOBAL__N_124unique_dim_cuda_templateIN3c108BFloat16EEESt5tupleIJNS8_6TensorESF_SF_EERKSF_lbbbEUlllE1_EE10hipError_tPvRmT2_T3_mT4_P12ihipStream_tbEUlT_E_NS1_11comp_targetILNS1_3genE3ELNS1_11target_archE908ELNS1_3gpuE7ELNS1_3repE0EEENS1_30default_config_static_selectorELNS0_4arch9wavefront6targetE1EEEvT1_.kd
    .uniform_work_group_size: 1
    .uses_dynamic_stack: false
    .vgpr_count:     0
    .vgpr_spill_count: 0
    .wavefront_size: 64
  - .agpr_count:     0
    .args:
      - .offset:         0
        .size:           64
        .value_kind:     by_value
    .group_segment_fixed_size: 0
    .kernarg_segment_align: 8
    .kernarg_segment_size: 64
    .language:       OpenCL C
    .language_version:
      - 2
      - 0
    .max_flat_workgroup_size: 128
    .name:           _ZN7rocprim17ROCPRIM_400000_NS6detail17trampoline_kernelINS0_14default_configENS1_35adjacent_difference_config_selectorILb0ElEEZNS1_24adjacent_difference_implIS3_Lb0ELb0EPlS7_ZN2at6native12_GLOBAL__N_124unique_dim_cuda_templateIN3c108BFloat16EEESt5tupleIJNS8_6TensorESF_SF_EERKSF_lbbbEUlllE1_EE10hipError_tPvRmT2_T3_mT4_P12ihipStream_tbEUlT_E_NS1_11comp_targetILNS1_3genE2ELNS1_11target_archE906ELNS1_3gpuE6ELNS1_3repE0EEENS1_30default_config_static_selectorELNS0_4arch9wavefront6targetE1EEEvT1_
    .private_segment_fixed_size: 0
    .sgpr_count:     6
    .sgpr_spill_count: 0
    .symbol:         _ZN7rocprim17ROCPRIM_400000_NS6detail17trampoline_kernelINS0_14default_configENS1_35adjacent_difference_config_selectorILb0ElEEZNS1_24adjacent_difference_implIS3_Lb0ELb0EPlS7_ZN2at6native12_GLOBAL__N_124unique_dim_cuda_templateIN3c108BFloat16EEESt5tupleIJNS8_6TensorESF_SF_EERKSF_lbbbEUlllE1_EE10hipError_tPvRmT2_T3_mT4_P12ihipStream_tbEUlT_E_NS1_11comp_targetILNS1_3genE2ELNS1_11target_archE906ELNS1_3gpuE6ELNS1_3repE0EEENS1_30default_config_static_selectorELNS0_4arch9wavefront6targetE1EEEvT1_.kd
    .uniform_work_group_size: 1
    .uses_dynamic_stack: false
    .vgpr_count:     0
    .vgpr_spill_count: 0
    .wavefront_size: 64
  - .agpr_count:     0
    .args:
      - .offset:         0
        .size:           64
        .value_kind:     by_value
    .group_segment_fixed_size: 0
    .kernarg_segment_align: 8
    .kernarg_segment_size: 64
    .language:       OpenCL C
    .language_version:
      - 2
      - 0
    .max_flat_workgroup_size: 512
    .name:           _ZN7rocprim17ROCPRIM_400000_NS6detail17trampoline_kernelINS0_14default_configENS1_35adjacent_difference_config_selectorILb0ElEEZNS1_24adjacent_difference_implIS3_Lb0ELb0EPlS7_ZN2at6native12_GLOBAL__N_124unique_dim_cuda_templateIN3c108BFloat16EEESt5tupleIJNS8_6TensorESF_SF_EERKSF_lbbbEUlllE1_EE10hipError_tPvRmT2_T3_mT4_P12ihipStream_tbEUlT_E_NS1_11comp_targetILNS1_3genE9ELNS1_11target_archE1100ELNS1_3gpuE3ELNS1_3repE0EEENS1_30default_config_static_selectorELNS0_4arch9wavefront6targetE1EEEvT1_
    .private_segment_fixed_size: 0
    .sgpr_count:     6
    .sgpr_spill_count: 0
    .symbol:         _ZN7rocprim17ROCPRIM_400000_NS6detail17trampoline_kernelINS0_14default_configENS1_35adjacent_difference_config_selectorILb0ElEEZNS1_24adjacent_difference_implIS3_Lb0ELb0EPlS7_ZN2at6native12_GLOBAL__N_124unique_dim_cuda_templateIN3c108BFloat16EEESt5tupleIJNS8_6TensorESF_SF_EERKSF_lbbbEUlllE1_EE10hipError_tPvRmT2_T3_mT4_P12ihipStream_tbEUlT_E_NS1_11comp_targetILNS1_3genE9ELNS1_11target_archE1100ELNS1_3gpuE3ELNS1_3repE0EEENS1_30default_config_static_selectorELNS0_4arch9wavefront6targetE1EEEvT1_.kd
    .uniform_work_group_size: 1
    .uses_dynamic_stack: false
    .vgpr_count:     0
    .vgpr_spill_count: 0
    .wavefront_size: 64
  - .agpr_count:     0
    .args:
      - .offset:         0
        .size:           64
        .value_kind:     by_value
    .group_segment_fixed_size: 0
    .kernarg_segment_align: 8
    .kernarg_segment_size: 64
    .language:       OpenCL C
    .language_version:
      - 2
      - 0
    .max_flat_workgroup_size: 1024
    .name:           _ZN7rocprim17ROCPRIM_400000_NS6detail17trampoline_kernelINS0_14default_configENS1_35adjacent_difference_config_selectorILb0ElEEZNS1_24adjacent_difference_implIS3_Lb0ELb0EPlS7_ZN2at6native12_GLOBAL__N_124unique_dim_cuda_templateIN3c108BFloat16EEESt5tupleIJNS8_6TensorESF_SF_EERKSF_lbbbEUlllE1_EE10hipError_tPvRmT2_T3_mT4_P12ihipStream_tbEUlT_E_NS1_11comp_targetILNS1_3genE8ELNS1_11target_archE1030ELNS1_3gpuE2ELNS1_3repE0EEENS1_30default_config_static_selectorELNS0_4arch9wavefront6targetE1EEEvT1_
    .private_segment_fixed_size: 0
    .sgpr_count:     6
    .sgpr_spill_count: 0
    .symbol:         _ZN7rocprim17ROCPRIM_400000_NS6detail17trampoline_kernelINS0_14default_configENS1_35adjacent_difference_config_selectorILb0ElEEZNS1_24adjacent_difference_implIS3_Lb0ELb0EPlS7_ZN2at6native12_GLOBAL__N_124unique_dim_cuda_templateIN3c108BFloat16EEESt5tupleIJNS8_6TensorESF_SF_EERKSF_lbbbEUlllE1_EE10hipError_tPvRmT2_T3_mT4_P12ihipStream_tbEUlT_E_NS1_11comp_targetILNS1_3genE8ELNS1_11target_archE1030ELNS1_3gpuE2ELNS1_3repE0EEENS1_30default_config_static_selectorELNS0_4arch9wavefront6targetE1EEEvT1_.kd
    .uniform_work_group_size: 1
    .uses_dynamic_stack: false
    .vgpr_count:     0
    .vgpr_spill_count: 0
    .wavefront_size: 64
  - .agpr_count:     0
    .args:
      - .offset:         0
        .size:           56
        .value_kind:     by_value
      - .offset:         56
        .size:           4
        .value_kind:     hidden_block_count_x
      - .offset:         60
        .size:           4
        .value_kind:     hidden_block_count_y
      - .offset:         64
        .size:           4
        .value_kind:     hidden_block_count_z
      - .offset:         68
        .size:           2
        .value_kind:     hidden_group_size_x
      - .offset:         70
        .size:           2
        .value_kind:     hidden_group_size_y
      - .offset:         72
        .size:           2
        .value_kind:     hidden_group_size_z
      - .offset:         74
        .size:           2
        .value_kind:     hidden_remainder_x
      - .offset:         76
        .size:           2
        .value_kind:     hidden_remainder_y
      - .offset:         78
        .size:           2
        .value_kind:     hidden_remainder_z
      - .offset:         96
        .size:           8
        .value_kind:     hidden_global_offset_x
      - .offset:         104
        .size:           8
        .value_kind:     hidden_global_offset_y
      - .offset:         112
        .size:           8
        .value_kind:     hidden_global_offset_z
      - .offset:         120
        .size:           2
        .value_kind:     hidden_grid_dims
    .group_segment_fixed_size: 0
    .kernarg_segment_align: 8
    .kernarg_segment_size: 312
    .language:       OpenCL C
    .language_version:
      - 2
      - 0
    .max_flat_workgroup_size: 128
    .name:           _ZN7rocprim17ROCPRIM_400000_NS6detail17trampoline_kernelINS0_14default_configENS1_25transform_config_selectorIlLb0EEEZNS1_14transform_implILb0ES3_S5_NS0_18transform_iteratorINS0_17counting_iteratorImlEEZNS1_24adjacent_difference_implIS3_Lb1ELb0EPlSB_ZN2at6native12_GLOBAL__N_124unique_dim_cuda_templateIN3c108BFloat16EEESt5tupleIJNSC_6TensorESJ_SJ_EERKSJ_lbbbEUlllE1_EE10hipError_tPvRmT2_T3_mT4_P12ihipStream_tbEUlmE_lEESB_NS0_8identityIvEEEESO_SR_SS_mST_SV_bEUlT_E_NS1_11comp_targetILNS1_3genE0ELNS1_11target_archE4294967295ELNS1_3gpuE0ELNS1_3repE0EEENS1_30default_config_static_selectorELNS0_4arch9wavefront6targetE1EEEvT1_
    .private_segment_fixed_size: 0
    .sgpr_count:     18
    .sgpr_spill_count: 0
    .symbol:         _ZN7rocprim17ROCPRIM_400000_NS6detail17trampoline_kernelINS0_14default_configENS1_25transform_config_selectorIlLb0EEEZNS1_14transform_implILb0ES3_S5_NS0_18transform_iteratorINS0_17counting_iteratorImlEEZNS1_24adjacent_difference_implIS3_Lb1ELb0EPlSB_ZN2at6native12_GLOBAL__N_124unique_dim_cuda_templateIN3c108BFloat16EEESt5tupleIJNSC_6TensorESJ_SJ_EERKSJ_lbbbEUlllE1_EE10hipError_tPvRmT2_T3_mT4_P12ihipStream_tbEUlmE_lEESB_NS0_8identityIvEEEESO_SR_SS_mST_SV_bEUlT_E_NS1_11comp_targetILNS1_3genE0ELNS1_11target_archE4294967295ELNS1_3gpuE0ELNS1_3repE0EEENS1_30default_config_static_selectorELNS0_4arch9wavefront6targetE1EEEvT1_.kd
    .uniform_work_group_size: 1
    .uses_dynamic_stack: false
    .vgpr_count:     8
    .vgpr_spill_count: 0
    .wavefront_size: 64
  - .agpr_count:     0
    .args:
      - .offset:         0
        .size:           56
        .value_kind:     by_value
    .group_segment_fixed_size: 0
    .kernarg_segment_align: 8
    .kernarg_segment_size: 56
    .language:       OpenCL C
    .language_version:
      - 2
      - 0
    .max_flat_workgroup_size: 512
    .name:           _ZN7rocprim17ROCPRIM_400000_NS6detail17trampoline_kernelINS0_14default_configENS1_25transform_config_selectorIlLb0EEEZNS1_14transform_implILb0ES3_S5_NS0_18transform_iteratorINS0_17counting_iteratorImlEEZNS1_24adjacent_difference_implIS3_Lb1ELb0EPlSB_ZN2at6native12_GLOBAL__N_124unique_dim_cuda_templateIN3c108BFloat16EEESt5tupleIJNSC_6TensorESJ_SJ_EERKSJ_lbbbEUlllE1_EE10hipError_tPvRmT2_T3_mT4_P12ihipStream_tbEUlmE_lEESB_NS0_8identityIvEEEESO_SR_SS_mST_SV_bEUlT_E_NS1_11comp_targetILNS1_3genE5ELNS1_11target_archE942ELNS1_3gpuE9ELNS1_3repE0EEENS1_30default_config_static_selectorELNS0_4arch9wavefront6targetE1EEEvT1_
    .private_segment_fixed_size: 0
    .sgpr_count:     6
    .sgpr_spill_count: 0
    .symbol:         _ZN7rocprim17ROCPRIM_400000_NS6detail17trampoline_kernelINS0_14default_configENS1_25transform_config_selectorIlLb0EEEZNS1_14transform_implILb0ES3_S5_NS0_18transform_iteratorINS0_17counting_iteratorImlEEZNS1_24adjacent_difference_implIS3_Lb1ELb0EPlSB_ZN2at6native12_GLOBAL__N_124unique_dim_cuda_templateIN3c108BFloat16EEESt5tupleIJNSC_6TensorESJ_SJ_EERKSJ_lbbbEUlllE1_EE10hipError_tPvRmT2_T3_mT4_P12ihipStream_tbEUlmE_lEESB_NS0_8identityIvEEEESO_SR_SS_mST_SV_bEUlT_E_NS1_11comp_targetILNS1_3genE5ELNS1_11target_archE942ELNS1_3gpuE9ELNS1_3repE0EEENS1_30default_config_static_selectorELNS0_4arch9wavefront6targetE1EEEvT1_.kd
    .uniform_work_group_size: 1
    .uses_dynamic_stack: false
    .vgpr_count:     0
    .vgpr_spill_count: 0
    .wavefront_size: 64
  - .agpr_count:     0
    .args:
      - .offset:         0
        .size:           56
        .value_kind:     by_value
    .group_segment_fixed_size: 0
    .kernarg_segment_align: 8
    .kernarg_segment_size: 56
    .language:       OpenCL C
    .language_version:
      - 2
      - 0
    .max_flat_workgroup_size: 256
    .name:           _ZN7rocprim17ROCPRIM_400000_NS6detail17trampoline_kernelINS0_14default_configENS1_25transform_config_selectorIlLb0EEEZNS1_14transform_implILb0ES3_S5_NS0_18transform_iteratorINS0_17counting_iteratorImlEEZNS1_24adjacent_difference_implIS3_Lb1ELb0EPlSB_ZN2at6native12_GLOBAL__N_124unique_dim_cuda_templateIN3c108BFloat16EEESt5tupleIJNSC_6TensorESJ_SJ_EERKSJ_lbbbEUlllE1_EE10hipError_tPvRmT2_T3_mT4_P12ihipStream_tbEUlmE_lEESB_NS0_8identityIvEEEESO_SR_SS_mST_SV_bEUlT_E_NS1_11comp_targetILNS1_3genE4ELNS1_11target_archE910ELNS1_3gpuE8ELNS1_3repE0EEENS1_30default_config_static_selectorELNS0_4arch9wavefront6targetE1EEEvT1_
    .private_segment_fixed_size: 0
    .sgpr_count:     6
    .sgpr_spill_count: 0
    .symbol:         _ZN7rocprim17ROCPRIM_400000_NS6detail17trampoline_kernelINS0_14default_configENS1_25transform_config_selectorIlLb0EEEZNS1_14transform_implILb0ES3_S5_NS0_18transform_iteratorINS0_17counting_iteratorImlEEZNS1_24adjacent_difference_implIS3_Lb1ELb0EPlSB_ZN2at6native12_GLOBAL__N_124unique_dim_cuda_templateIN3c108BFloat16EEESt5tupleIJNSC_6TensorESJ_SJ_EERKSJ_lbbbEUlllE1_EE10hipError_tPvRmT2_T3_mT4_P12ihipStream_tbEUlmE_lEESB_NS0_8identityIvEEEESO_SR_SS_mST_SV_bEUlT_E_NS1_11comp_targetILNS1_3genE4ELNS1_11target_archE910ELNS1_3gpuE8ELNS1_3repE0EEENS1_30default_config_static_selectorELNS0_4arch9wavefront6targetE1EEEvT1_.kd
    .uniform_work_group_size: 1
    .uses_dynamic_stack: false
    .vgpr_count:     0
    .vgpr_spill_count: 0
    .wavefront_size: 64
  - .agpr_count:     0
    .args:
      - .offset:         0
        .size:           56
        .value_kind:     by_value
    .group_segment_fixed_size: 0
    .kernarg_segment_align: 8
    .kernarg_segment_size: 56
    .language:       OpenCL C
    .language_version:
      - 2
      - 0
    .max_flat_workgroup_size: 128
    .name:           _ZN7rocprim17ROCPRIM_400000_NS6detail17trampoline_kernelINS0_14default_configENS1_25transform_config_selectorIlLb0EEEZNS1_14transform_implILb0ES3_S5_NS0_18transform_iteratorINS0_17counting_iteratorImlEEZNS1_24adjacent_difference_implIS3_Lb1ELb0EPlSB_ZN2at6native12_GLOBAL__N_124unique_dim_cuda_templateIN3c108BFloat16EEESt5tupleIJNSC_6TensorESJ_SJ_EERKSJ_lbbbEUlllE1_EE10hipError_tPvRmT2_T3_mT4_P12ihipStream_tbEUlmE_lEESB_NS0_8identityIvEEEESO_SR_SS_mST_SV_bEUlT_E_NS1_11comp_targetILNS1_3genE3ELNS1_11target_archE908ELNS1_3gpuE7ELNS1_3repE0EEENS1_30default_config_static_selectorELNS0_4arch9wavefront6targetE1EEEvT1_
    .private_segment_fixed_size: 0
    .sgpr_count:     6
    .sgpr_spill_count: 0
    .symbol:         _ZN7rocprim17ROCPRIM_400000_NS6detail17trampoline_kernelINS0_14default_configENS1_25transform_config_selectorIlLb0EEEZNS1_14transform_implILb0ES3_S5_NS0_18transform_iteratorINS0_17counting_iteratorImlEEZNS1_24adjacent_difference_implIS3_Lb1ELb0EPlSB_ZN2at6native12_GLOBAL__N_124unique_dim_cuda_templateIN3c108BFloat16EEESt5tupleIJNSC_6TensorESJ_SJ_EERKSJ_lbbbEUlllE1_EE10hipError_tPvRmT2_T3_mT4_P12ihipStream_tbEUlmE_lEESB_NS0_8identityIvEEEESO_SR_SS_mST_SV_bEUlT_E_NS1_11comp_targetILNS1_3genE3ELNS1_11target_archE908ELNS1_3gpuE7ELNS1_3repE0EEENS1_30default_config_static_selectorELNS0_4arch9wavefront6targetE1EEEvT1_.kd
    .uniform_work_group_size: 1
    .uses_dynamic_stack: false
    .vgpr_count:     0
    .vgpr_spill_count: 0
    .wavefront_size: 64
  - .agpr_count:     0
    .args:
      - .offset:         0
        .size:           56
        .value_kind:     by_value
    .group_segment_fixed_size: 0
    .kernarg_segment_align: 8
    .kernarg_segment_size: 56
    .language:       OpenCL C
    .language_version:
      - 2
      - 0
    .max_flat_workgroup_size: 512
    .name:           _ZN7rocprim17ROCPRIM_400000_NS6detail17trampoline_kernelINS0_14default_configENS1_25transform_config_selectorIlLb0EEEZNS1_14transform_implILb0ES3_S5_NS0_18transform_iteratorINS0_17counting_iteratorImlEEZNS1_24adjacent_difference_implIS3_Lb1ELb0EPlSB_ZN2at6native12_GLOBAL__N_124unique_dim_cuda_templateIN3c108BFloat16EEESt5tupleIJNSC_6TensorESJ_SJ_EERKSJ_lbbbEUlllE1_EE10hipError_tPvRmT2_T3_mT4_P12ihipStream_tbEUlmE_lEESB_NS0_8identityIvEEEESO_SR_SS_mST_SV_bEUlT_E_NS1_11comp_targetILNS1_3genE2ELNS1_11target_archE906ELNS1_3gpuE6ELNS1_3repE0EEENS1_30default_config_static_selectorELNS0_4arch9wavefront6targetE1EEEvT1_
    .private_segment_fixed_size: 0
    .sgpr_count:     6
    .sgpr_spill_count: 0
    .symbol:         _ZN7rocprim17ROCPRIM_400000_NS6detail17trampoline_kernelINS0_14default_configENS1_25transform_config_selectorIlLb0EEEZNS1_14transform_implILb0ES3_S5_NS0_18transform_iteratorINS0_17counting_iteratorImlEEZNS1_24adjacent_difference_implIS3_Lb1ELb0EPlSB_ZN2at6native12_GLOBAL__N_124unique_dim_cuda_templateIN3c108BFloat16EEESt5tupleIJNSC_6TensorESJ_SJ_EERKSJ_lbbbEUlllE1_EE10hipError_tPvRmT2_T3_mT4_P12ihipStream_tbEUlmE_lEESB_NS0_8identityIvEEEESO_SR_SS_mST_SV_bEUlT_E_NS1_11comp_targetILNS1_3genE2ELNS1_11target_archE906ELNS1_3gpuE6ELNS1_3repE0EEENS1_30default_config_static_selectorELNS0_4arch9wavefront6targetE1EEEvT1_.kd
    .uniform_work_group_size: 1
    .uses_dynamic_stack: false
    .vgpr_count:     0
    .vgpr_spill_count: 0
    .wavefront_size: 64
  - .agpr_count:     0
    .args:
      - .offset:         0
        .size:           56
        .value_kind:     by_value
    .group_segment_fixed_size: 0
    .kernarg_segment_align: 8
    .kernarg_segment_size: 56
    .language:       OpenCL C
    .language_version:
      - 2
      - 0
    .max_flat_workgroup_size: 1024
    .name:           _ZN7rocprim17ROCPRIM_400000_NS6detail17trampoline_kernelINS0_14default_configENS1_25transform_config_selectorIlLb0EEEZNS1_14transform_implILb0ES3_S5_NS0_18transform_iteratorINS0_17counting_iteratorImlEEZNS1_24adjacent_difference_implIS3_Lb1ELb0EPlSB_ZN2at6native12_GLOBAL__N_124unique_dim_cuda_templateIN3c108BFloat16EEESt5tupleIJNSC_6TensorESJ_SJ_EERKSJ_lbbbEUlllE1_EE10hipError_tPvRmT2_T3_mT4_P12ihipStream_tbEUlmE_lEESB_NS0_8identityIvEEEESO_SR_SS_mST_SV_bEUlT_E_NS1_11comp_targetILNS1_3genE10ELNS1_11target_archE1201ELNS1_3gpuE5ELNS1_3repE0EEENS1_30default_config_static_selectorELNS0_4arch9wavefront6targetE1EEEvT1_
    .private_segment_fixed_size: 0
    .sgpr_count:     6
    .sgpr_spill_count: 0
    .symbol:         _ZN7rocprim17ROCPRIM_400000_NS6detail17trampoline_kernelINS0_14default_configENS1_25transform_config_selectorIlLb0EEEZNS1_14transform_implILb0ES3_S5_NS0_18transform_iteratorINS0_17counting_iteratorImlEEZNS1_24adjacent_difference_implIS3_Lb1ELb0EPlSB_ZN2at6native12_GLOBAL__N_124unique_dim_cuda_templateIN3c108BFloat16EEESt5tupleIJNSC_6TensorESJ_SJ_EERKSJ_lbbbEUlllE1_EE10hipError_tPvRmT2_T3_mT4_P12ihipStream_tbEUlmE_lEESB_NS0_8identityIvEEEESO_SR_SS_mST_SV_bEUlT_E_NS1_11comp_targetILNS1_3genE10ELNS1_11target_archE1201ELNS1_3gpuE5ELNS1_3repE0EEENS1_30default_config_static_selectorELNS0_4arch9wavefront6targetE1EEEvT1_.kd
    .uniform_work_group_size: 1
    .uses_dynamic_stack: false
    .vgpr_count:     0
    .vgpr_spill_count: 0
    .wavefront_size: 64
  - .agpr_count:     0
    .args:
      - .offset:         0
        .size:           56
        .value_kind:     by_value
    .group_segment_fixed_size: 0
    .kernarg_segment_align: 8
    .kernarg_segment_size: 56
    .language:       OpenCL C
    .language_version:
      - 2
      - 0
    .max_flat_workgroup_size: 512
    .name:           _ZN7rocprim17ROCPRIM_400000_NS6detail17trampoline_kernelINS0_14default_configENS1_25transform_config_selectorIlLb0EEEZNS1_14transform_implILb0ES3_S5_NS0_18transform_iteratorINS0_17counting_iteratorImlEEZNS1_24adjacent_difference_implIS3_Lb1ELb0EPlSB_ZN2at6native12_GLOBAL__N_124unique_dim_cuda_templateIN3c108BFloat16EEESt5tupleIJNSC_6TensorESJ_SJ_EERKSJ_lbbbEUlllE1_EE10hipError_tPvRmT2_T3_mT4_P12ihipStream_tbEUlmE_lEESB_NS0_8identityIvEEEESO_SR_SS_mST_SV_bEUlT_E_NS1_11comp_targetILNS1_3genE10ELNS1_11target_archE1200ELNS1_3gpuE4ELNS1_3repE0EEENS1_30default_config_static_selectorELNS0_4arch9wavefront6targetE1EEEvT1_
    .private_segment_fixed_size: 0
    .sgpr_count:     6
    .sgpr_spill_count: 0
    .symbol:         _ZN7rocprim17ROCPRIM_400000_NS6detail17trampoline_kernelINS0_14default_configENS1_25transform_config_selectorIlLb0EEEZNS1_14transform_implILb0ES3_S5_NS0_18transform_iteratorINS0_17counting_iteratorImlEEZNS1_24adjacent_difference_implIS3_Lb1ELb0EPlSB_ZN2at6native12_GLOBAL__N_124unique_dim_cuda_templateIN3c108BFloat16EEESt5tupleIJNSC_6TensorESJ_SJ_EERKSJ_lbbbEUlllE1_EE10hipError_tPvRmT2_T3_mT4_P12ihipStream_tbEUlmE_lEESB_NS0_8identityIvEEEESO_SR_SS_mST_SV_bEUlT_E_NS1_11comp_targetILNS1_3genE10ELNS1_11target_archE1200ELNS1_3gpuE4ELNS1_3repE0EEENS1_30default_config_static_selectorELNS0_4arch9wavefront6targetE1EEEvT1_.kd
    .uniform_work_group_size: 1
    .uses_dynamic_stack: false
    .vgpr_count:     0
    .vgpr_spill_count: 0
    .wavefront_size: 64
  - .agpr_count:     0
    .args:
      - .offset:         0
        .size:           56
        .value_kind:     by_value
    .group_segment_fixed_size: 0
    .kernarg_segment_align: 8
    .kernarg_segment_size: 56
    .language:       OpenCL C
    .language_version:
      - 2
      - 0
    .max_flat_workgroup_size: 512
    .name:           _ZN7rocprim17ROCPRIM_400000_NS6detail17trampoline_kernelINS0_14default_configENS1_25transform_config_selectorIlLb0EEEZNS1_14transform_implILb0ES3_S5_NS0_18transform_iteratorINS0_17counting_iteratorImlEEZNS1_24adjacent_difference_implIS3_Lb1ELb0EPlSB_ZN2at6native12_GLOBAL__N_124unique_dim_cuda_templateIN3c108BFloat16EEESt5tupleIJNSC_6TensorESJ_SJ_EERKSJ_lbbbEUlllE1_EE10hipError_tPvRmT2_T3_mT4_P12ihipStream_tbEUlmE_lEESB_NS0_8identityIvEEEESO_SR_SS_mST_SV_bEUlT_E_NS1_11comp_targetILNS1_3genE9ELNS1_11target_archE1100ELNS1_3gpuE3ELNS1_3repE0EEENS1_30default_config_static_selectorELNS0_4arch9wavefront6targetE1EEEvT1_
    .private_segment_fixed_size: 0
    .sgpr_count:     6
    .sgpr_spill_count: 0
    .symbol:         _ZN7rocprim17ROCPRIM_400000_NS6detail17trampoline_kernelINS0_14default_configENS1_25transform_config_selectorIlLb0EEEZNS1_14transform_implILb0ES3_S5_NS0_18transform_iteratorINS0_17counting_iteratorImlEEZNS1_24adjacent_difference_implIS3_Lb1ELb0EPlSB_ZN2at6native12_GLOBAL__N_124unique_dim_cuda_templateIN3c108BFloat16EEESt5tupleIJNSC_6TensorESJ_SJ_EERKSJ_lbbbEUlllE1_EE10hipError_tPvRmT2_T3_mT4_P12ihipStream_tbEUlmE_lEESB_NS0_8identityIvEEEESO_SR_SS_mST_SV_bEUlT_E_NS1_11comp_targetILNS1_3genE9ELNS1_11target_archE1100ELNS1_3gpuE3ELNS1_3repE0EEENS1_30default_config_static_selectorELNS0_4arch9wavefront6targetE1EEEvT1_.kd
    .uniform_work_group_size: 1
    .uses_dynamic_stack: false
    .vgpr_count:     0
    .vgpr_spill_count: 0
    .wavefront_size: 64
  - .agpr_count:     0
    .args:
      - .offset:         0
        .size:           56
        .value_kind:     by_value
    .group_segment_fixed_size: 0
    .kernarg_segment_align: 8
    .kernarg_segment_size: 56
    .language:       OpenCL C
    .language_version:
      - 2
      - 0
    .max_flat_workgroup_size: 512
    .name:           _ZN7rocprim17ROCPRIM_400000_NS6detail17trampoline_kernelINS0_14default_configENS1_25transform_config_selectorIlLb0EEEZNS1_14transform_implILb0ES3_S5_NS0_18transform_iteratorINS0_17counting_iteratorImlEEZNS1_24adjacent_difference_implIS3_Lb1ELb0EPlSB_ZN2at6native12_GLOBAL__N_124unique_dim_cuda_templateIN3c108BFloat16EEESt5tupleIJNSC_6TensorESJ_SJ_EERKSJ_lbbbEUlllE1_EE10hipError_tPvRmT2_T3_mT4_P12ihipStream_tbEUlmE_lEESB_NS0_8identityIvEEEESO_SR_SS_mST_SV_bEUlT_E_NS1_11comp_targetILNS1_3genE8ELNS1_11target_archE1030ELNS1_3gpuE2ELNS1_3repE0EEENS1_30default_config_static_selectorELNS0_4arch9wavefront6targetE1EEEvT1_
    .private_segment_fixed_size: 0
    .sgpr_count:     6
    .sgpr_spill_count: 0
    .symbol:         _ZN7rocprim17ROCPRIM_400000_NS6detail17trampoline_kernelINS0_14default_configENS1_25transform_config_selectorIlLb0EEEZNS1_14transform_implILb0ES3_S5_NS0_18transform_iteratorINS0_17counting_iteratorImlEEZNS1_24adjacent_difference_implIS3_Lb1ELb0EPlSB_ZN2at6native12_GLOBAL__N_124unique_dim_cuda_templateIN3c108BFloat16EEESt5tupleIJNSC_6TensorESJ_SJ_EERKSJ_lbbbEUlllE1_EE10hipError_tPvRmT2_T3_mT4_P12ihipStream_tbEUlmE_lEESB_NS0_8identityIvEEEESO_SR_SS_mST_SV_bEUlT_E_NS1_11comp_targetILNS1_3genE8ELNS1_11target_archE1030ELNS1_3gpuE2ELNS1_3repE0EEENS1_30default_config_static_selectorELNS0_4arch9wavefront6targetE1EEEvT1_.kd
    .uniform_work_group_size: 1
    .uses_dynamic_stack: false
    .vgpr_count:     0
    .vgpr_spill_count: 0
    .wavefront_size: 64
  - .agpr_count:     0
    .args:
      - .offset:         0
        .size:           64
        .value_kind:     by_value
    .group_segment_fixed_size: 8448
    .kernarg_segment_align: 8
    .kernarg_segment_size: 64
    .language:       OpenCL C
    .language_version:
      - 2
      - 0
    .max_flat_workgroup_size: 512
    .name:           _ZN7rocprim17ROCPRIM_400000_NS6detail17trampoline_kernelINS0_14default_configENS1_35adjacent_difference_config_selectorILb1ElEEZNS1_24adjacent_difference_implIS3_Lb1ELb0EPlS7_ZN2at6native12_GLOBAL__N_124unique_dim_cuda_templateIN3c108BFloat16EEESt5tupleIJNS8_6TensorESF_SF_EERKSF_lbbbEUlllE1_EE10hipError_tPvRmT2_T3_mT4_P12ihipStream_tbEUlT_E_NS1_11comp_targetILNS1_3genE0ELNS1_11target_archE4294967295ELNS1_3gpuE0ELNS1_3repE0EEENS1_30default_config_static_selectorELNS0_4arch9wavefront6targetE1EEEvT1_
    .private_segment_fixed_size: 0
    .sgpr_count:     42
    .sgpr_spill_count: 0
    .symbol:         _ZN7rocprim17ROCPRIM_400000_NS6detail17trampoline_kernelINS0_14default_configENS1_35adjacent_difference_config_selectorILb1ElEEZNS1_24adjacent_difference_implIS3_Lb1ELb0EPlS7_ZN2at6native12_GLOBAL__N_124unique_dim_cuda_templateIN3c108BFloat16EEESt5tupleIJNS8_6TensorESF_SF_EERKSF_lbbbEUlllE1_EE10hipError_tPvRmT2_T3_mT4_P12ihipStream_tbEUlT_E_NS1_11comp_targetILNS1_3genE0ELNS1_11target_archE4294967295ELNS1_3gpuE0ELNS1_3repE0EEENS1_30default_config_static_selectorELNS0_4arch9wavefront6targetE1EEEvT1_.kd
    .uniform_work_group_size: 1
    .uses_dynamic_stack: false
    .vgpr_count:     16
    .vgpr_spill_count: 0
    .wavefront_size: 64
  - .agpr_count:     0
    .args:
      - .offset:         0
        .size:           64
        .value_kind:     by_value
    .group_segment_fixed_size: 0
    .kernarg_segment_align: 8
    .kernarg_segment_size: 64
    .language:       OpenCL C
    .language_version:
      - 2
      - 0
    .max_flat_workgroup_size: 32
    .name:           _ZN7rocprim17ROCPRIM_400000_NS6detail17trampoline_kernelINS0_14default_configENS1_35adjacent_difference_config_selectorILb1ElEEZNS1_24adjacent_difference_implIS3_Lb1ELb0EPlS7_ZN2at6native12_GLOBAL__N_124unique_dim_cuda_templateIN3c108BFloat16EEESt5tupleIJNS8_6TensorESF_SF_EERKSF_lbbbEUlllE1_EE10hipError_tPvRmT2_T3_mT4_P12ihipStream_tbEUlT_E_NS1_11comp_targetILNS1_3genE10ELNS1_11target_archE1201ELNS1_3gpuE5ELNS1_3repE0EEENS1_30default_config_static_selectorELNS0_4arch9wavefront6targetE1EEEvT1_
    .private_segment_fixed_size: 0
    .sgpr_count:     6
    .sgpr_spill_count: 0
    .symbol:         _ZN7rocprim17ROCPRIM_400000_NS6detail17trampoline_kernelINS0_14default_configENS1_35adjacent_difference_config_selectorILb1ElEEZNS1_24adjacent_difference_implIS3_Lb1ELb0EPlS7_ZN2at6native12_GLOBAL__N_124unique_dim_cuda_templateIN3c108BFloat16EEESt5tupleIJNS8_6TensorESF_SF_EERKSF_lbbbEUlllE1_EE10hipError_tPvRmT2_T3_mT4_P12ihipStream_tbEUlT_E_NS1_11comp_targetILNS1_3genE10ELNS1_11target_archE1201ELNS1_3gpuE5ELNS1_3repE0EEENS1_30default_config_static_selectorELNS0_4arch9wavefront6targetE1EEEvT1_.kd
    .uniform_work_group_size: 1
    .uses_dynamic_stack: false
    .vgpr_count:     0
    .vgpr_spill_count: 0
    .wavefront_size: 64
  - .agpr_count:     0
    .args:
      - .offset:         0
        .size:           64
        .value_kind:     by_value
    .group_segment_fixed_size: 0
    .kernarg_segment_align: 8
    .kernarg_segment_size: 64
    .language:       OpenCL C
    .language_version:
      - 2
      - 0
    .max_flat_workgroup_size: 256
    .name:           _ZN7rocprim17ROCPRIM_400000_NS6detail17trampoline_kernelINS0_14default_configENS1_35adjacent_difference_config_selectorILb1ElEEZNS1_24adjacent_difference_implIS3_Lb1ELb0EPlS7_ZN2at6native12_GLOBAL__N_124unique_dim_cuda_templateIN3c108BFloat16EEESt5tupleIJNS8_6TensorESF_SF_EERKSF_lbbbEUlllE1_EE10hipError_tPvRmT2_T3_mT4_P12ihipStream_tbEUlT_E_NS1_11comp_targetILNS1_3genE5ELNS1_11target_archE942ELNS1_3gpuE9ELNS1_3repE0EEENS1_30default_config_static_selectorELNS0_4arch9wavefront6targetE1EEEvT1_
    .private_segment_fixed_size: 0
    .sgpr_count:     6
    .sgpr_spill_count: 0
    .symbol:         _ZN7rocprim17ROCPRIM_400000_NS6detail17trampoline_kernelINS0_14default_configENS1_35adjacent_difference_config_selectorILb1ElEEZNS1_24adjacent_difference_implIS3_Lb1ELb0EPlS7_ZN2at6native12_GLOBAL__N_124unique_dim_cuda_templateIN3c108BFloat16EEESt5tupleIJNS8_6TensorESF_SF_EERKSF_lbbbEUlllE1_EE10hipError_tPvRmT2_T3_mT4_P12ihipStream_tbEUlT_E_NS1_11comp_targetILNS1_3genE5ELNS1_11target_archE942ELNS1_3gpuE9ELNS1_3repE0EEENS1_30default_config_static_selectorELNS0_4arch9wavefront6targetE1EEEvT1_.kd
    .uniform_work_group_size: 1
    .uses_dynamic_stack: false
    .vgpr_count:     0
    .vgpr_spill_count: 0
    .wavefront_size: 64
  - .agpr_count:     0
    .args:
      - .offset:         0
        .size:           64
        .value_kind:     by_value
    .group_segment_fixed_size: 0
    .kernarg_segment_align: 8
    .kernarg_segment_size: 64
    .language:       OpenCL C
    .language_version:
      - 2
      - 0
    .max_flat_workgroup_size: 512
    .name:           _ZN7rocprim17ROCPRIM_400000_NS6detail17trampoline_kernelINS0_14default_configENS1_35adjacent_difference_config_selectorILb1ElEEZNS1_24adjacent_difference_implIS3_Lb1ELb0EPlS7_ZN2at6native12_GLOBAL__N_124unique_dim_cuda_templateIN3c108BFloat16EEESt5tupleIJNS8_6TensorESF_SF_EERKSF_lbbbEUlllE1_EE10hipError_tPvRmT2_T3_mT4_P12ihipStream_tbEUlT_E_NS1_11comp_targetILNS1_3genE4ELNS1_11target_archE910ELNS1_3gpuE8ELNS1_3repE0EEENS1_30default_config_static_selectorELNS0_4arch9wavefront6targetE1EEEvT1_
    .private_segment_fixed_size: 0
    .sgpr_count:     6
    .sgpr_spill_count: 0
    .symbol:         _ZN7rocprim17ROCPRIM_400000_NS6detail17trampoline_kernelINS0_14default_configENS1_35adjacent_difference_config_selectorILb1ElEEZNS1_24adjacent_difference_implIS3_Lb1ELb0EPlS7_ZN2at6native12_GLOBAL__N_124unique_dim_cuda_templateIN3c108BFloat16EEESt5tupleIJNS8_6TensorESF_SF_EERKSF_lbbbEUlllE1_EE10hipError_tPvRmT2_T3_mT4_P12ihipStream_tbEUlT_E_NS1_11comp_targetILNS1_3genE4ELNS1_11target_archE910ELNS1_3gpuE8ELNS1_3repE0EEENS1_30default_config_static_selectorELNS0_4arch9wavefront6targetE1EEEvT1_.kd
    .uniform_work_group_size: 1
    .uses_dynamic_stack: false
    .vgpr_count:     0
    .vgpr_spill_count: 0
    .wavefront_size: 64
  - .agpr_count:     0
    .args:
      - .offset:         0
        .size:           64
        .value_kind:     by_value
    .group_segment_fixed_size: 0
    .kernarg_segment_align: 8
    .kernarg_segment_size: 64
    .language:       OpenCL C
    .language_version:
      - 2
      - 0
    .max_flat_workgroup_size: 512
    .name:           _ZN7rocprim17ROCPRIM_400000_NS6detail17trampoline_kernelINS0_14default_configENS1_35adjacent_difference_config_selectorILb1ElEEZNS1_24adjacent_difference_implIS3_Lb1ELb0EPlS7_ZN2at6native12_GLOBAL__N_124unique_dim_cuda_templateIN3c108BFloat16EEESt5tupleIJNS8_6TensorESF_SF_EERKSF_lbbbEUlllE1_EE10hipError_tPvRmT2_T3_mT4_P12ihipStream_tbEUlT_E_NS1_11comp_targetILNS1_3genE3ELNS1_11target_archE908ELNS1_3gpuE7ELNS1_3repE0EEENS1_30default_config_static_selectorELNS0_4arch9wavefront6targetE1EEEvT1_
    .private_segment_fixed_size: 0
    .sgpr_count:     6
    .sgpr_spill_count: 0
    .symbol:         _ZN7rocprim17ROCPRIM_400000_NS6detail17trampoline_kernelINS0_14default_configENS1_35adjacent_difference_config_selectorILb1ElEEZNS1_24adjacent_difference_implIS3_Lb1ELb0EPlS7_ZN2at6native12_GLOBAL__N_124unique_dim_cuda_templateIN3c108BFloat16EEESt5tupleIJNS8_6TensorESF_SF_EERKSF_lbbbEUlllE1_EE10hipError_tPvRmT2_T3_mT4_P12ihipStream_tbEUlT_E_NS1_11comp_targetILNS1_3genE3ELNS1_11target_archE908ELNS1_3gpuE7ELNS1_3repE0EEENS1_30default_config_static_selectorELNS0_4arch9wavefront6targetE1EEEvT1_.kd
    .uniform_work_group_size: 1
    .uses_dynamic_stack: false
    .vgpr_count:     0
    .vgpr_spill_count: 0
    .wavefront_size: 64
  - .agpr_count:     0
    .args:
      - .offset:         0
        .size:           64
        .value_kind:     by_value
    .group_segment_fixed_size: 0
    .kernarg_segment_align: 8
    .kernarg_segment_size: 64
    .language:       OpenCL C
    .language_version:
      - 2
      - 0
    .max_flat_workgroup_size: 128
    .name:           _ZN7rocprim17ROCPRIM_400000_NS6detail17trampoline_kernelINS0_14default_configENS1_35adjacent_difference_config_selectorILb1ElEEZNS1_24adjacent_difference_implIS3_Lb1ELb0EPlS7_ZN2at6native12_GLOBAL__N_124unique_dim_cuda_templateIN3c108BFloat16EEESt5tupleIJNS8_6TensorESF_SF_EERKSF_lbbbEUlllE1_EE10hipError_tPvRmT2_T3_mT4_P12ihipStream_tbEUlT_E_NS1_11comp_targetILNS1_3genE2ELNS1_11target_archE906ELNS1_3gpuE6ELNS1_3repE0EEENS1_30default_config_static_selectorELNS0_4arch9wavefront6targetE1EEEvT1_
    .private_segment_fixed_size: 0
    .sgpr_count:     6
    .sgpr_spill_count: 0
    .symbol:         _ZN7rocprim17ROCPRIM_400000_NS6detail17trampoline_kernelINS0_14default_configENS1_35adjacent_difference_config_selectorILb1ElEEZNS1_24adjacent_difference_implIS3_Lb1ELb0EPlS7_ZN2at6native12_GLOBAL__N_124unique_dim_cuda_templateIN3c108BFloat16EEESt5tupleIJNS8_6TensorESF_SF_EERKSF_lbbbEUlllE1_EE10hipError_tPvRmT2_T3_mT4_P12ihipStream_tbEUlT_E_NS1_11comp_targetILNS1_3genE2ELNS1_11target_archE906ELNS1_3gpuE6ELNS1_3repE0EEENS1_30default_config_static_selectorELNS0_4arch9wavefront6targetE1EEEvT1_.kd
    .uniform_work_group_size: 1
    .uses_dynamic_stack: false
    .vgpr_count:     0
    .vgpr_spill_count: 0
    .wavefront_size: 64
  - .agpr_count:     0
    .args:
      - .offset:         0
        .size:           64
        .value_kind:     by_value
    .group_segment_fixed_size: 0
    .kernarg_segment_align: 8
    .kernarg_segment_size: 64
    .language:       OpenCL C
    .language_version:
      - 2
      - 0
    .max_flat_workgroup_size: 128
    .name:           _ZN7rocprim17ROCPRIM_400000_NS6detail17trampoline_kernelINS0_14default_configENS1_35adjacent_difference_config_selectorILb1ElEEZNS1_24adjacent_difference_implIS3_Lb1ELb0EPlS7_ZN2at6native12_GLOBAL__N_124unique_dim_cuda_templateIN3c108BFloat16EEESt5tupleIJNS8_6TensorESF_SF_EERKSF_lbbbEUlllE1_EE10hipError_tPvRmT2_T3_mT4_P12ihipStream_tbEUlT_E_NS1_11comp_targetILNS1_3genE9ELNS1_11target_archE1100ELNS1_3gpuE3ELNS1_3repE0EEENS1_30default_config_static_selectorELNS0_4arch9wavefront6targetE1EEEvT1_
    .private_segment_fixed_size: 0
    .sgpr_count:     6
    .sgpr_spill_count: 0
    .symbol:         _ZN7rocprim17ROCPRIM_400000_NS6detail17trampoline_kernelINS0_14default_configENS1_35adjacent_difference_config_selectorILb1ElEEZNS1_24adjacent_difference_implIS3_Lb1ELb0EPlS7_ZN2at6native12_GLOBAL__N_124unique_dim_cuda_templateIN3c108BFloat16EEESt5tupleIJNS8_6TensorESF_SF_EERKSF_lbbbEUlllE1_EE10hipError_tPvRmT2_T3_mT4_P12ihipStream_tbEUlT_E_NS1_11comp_targetILNS1_3genE9ELNS1_11target_archE1100ELNS1_3gpuE3ELNS1_3repE0EEENS1_30default_config_static_selectorELNS0_4arch9wavefront6targetE1EEEvT1_.kd
    .uniform_work_group_size: 1
    .uses_dynamic_stack: false
    .vgpr_count:     0
    .vgpr_spill_count: 0
    .wavefront_size: 64
  - .agpr_count:     0
    .args:
      - .offset:         0
        .size:           64
        .value_kind:     by_value
    .group_segment_fixed_size: 0
    .kernarg_segment_align: 8
    .kernarg_segment_size: 64
    .language:       OpenCL C
    .language_version:
      - 2
      - 0
    .max_flat_workgroup_size: 32
    .name:           _ZN7rocprim17ROCPRIM_400000_NS6detail17trampoline_kernelINS0_14default_configENS1_35adjacent_difference_config_selectorILb1ElEEZNS1_24adjacent_difference_implIS3_Lb1ELb0EPlS7_ZN2at6native12_GLOBAL__N_124unique_dim_cuda_templateIN3c108BFloat16EEESt5tupleIJNS8_6TensorESF_SF_EERKSF_lbbbEUlllE1_EE10hipError_tPvRmT2_T3_mT4_P12ihipStream_tbEUlT_E_NS1_11comp_targetILNS1_3genE8ELNS1_11target_archE1030ELNS1_3gpuE2ELNS1_3repE0EEENS1_30default_config_static_selectorELNS0_4arch9wavefront6targetE1EEEvT1_
    .private_segment_fixed_size: 0
    .sgpr_count:     6
    .sgpr_spill_count: 0
    .symbol:         _ZN7rocprim17ROCPRIM_400000_NS6detail17trampoline_kernelINS0_14default_configENS1_35adjacent_difference_config_selectorILb1ElEEZNS1_24adjacent_difference_implIS3_Lb1ELb0EPlS7_ZN2at6native12_GLOBAL__N_124unique_dim_cuda_templateIN3c108BFloat16EEESt5tupleIJNS8_6TensorESF_SF_EERKSF_lbbbEUlllE1_EE10hipError_tPvRmT2_T3_mT4_P12ihipStream_tbEUlT_E_NS1_11comp_targetILNS1_3genE8ELNS1_11target_archE1030ELNS1_3gpuE2ELNS1_3repE0EEENS1_30default_config_static_selectorELNS0_4arch9wavefront6targetE1EEEvT1_.kd
    .uniform_work_group_size: 1
    .uses_dynamic_stack: false
    .vgpr_count:     0
    .vgpr_spill_count: 0
    .wavefront_size: 64
  - .agpr_count:     0
    .args:
      - .offset:         0
        .size:           120
        .value_kind:     by_value
    .group_segment_fixed_size: 28680
    .kernarg_segment_align: 8
    .kernarg_segment_size: 120
    .language:       OpenCL C
    .language_version:
      - 2
      - 0
    .max_flat_workgroup_size: 512
    .name:           _ZN7rocprim17ROCPRIM_400000_NS6detail17trampoline_kernelINS0_14default_configENS1_25partition_config_selectorILNS1_17partition_subalgoE8ElNS0_10empty_typeEbEEZZNS1_14partition_implILS5_8ELb0ES3_jPlPS6_PKS6_NS0_5tupleIJS9_S6_EEENSD_IJSA_SA_EEENS0_18inequality_wrapperIZN2at6native12_GLOBAL__N_124unique_dim_cuda_templateIN3c108BFloat16EEESt5tupleIJNSH_6TensorESO_SO_EERKSO_lbbbEUlllE0_EEPmJS6_EEE10hipError_tPvRmT3_T4_T5_T6_T7_T9_mT8_P12ihipStream_tbDpT10_ENKUlT_T0_E_clISt17integral_constantIbLb0EES1E_EEDaS19_S1A_EUlS19_E_NS1_11comp_targetILNS1_3genE0ELNS1_11target_archE4294967295ELNS1_3gpuE0ELNS1_3repE0EEENS1_30default_config_static_selectorELNS0_4arch9wavefront6targetE1EEEvT1_
    .private_segment_fixed_size: 0
    .sgpr_count:     56
    .sgpr_spill_count: 0
    .symbol:         _ZN7rocprim17ROCPRIM_400000_NS6detail17trampoline_kernelINS0_14default_configENS1_25partition_config_selectorILNS1_17partition_subalgoE8ElNS0_10empty_typeEbEEZZNS1_14partition_implILS5_8ELb0ES3_jPlPS6_PKS6_NS0_5tupleIJS9_S6_EEENSD_IJSA_SA_EEENS0_18inequality_wrapperIZN2at6native12_GLOBAL__N_124unique_dim_cuda_templateIN3c108BFloat16EEESt5tupleIJNSH_6TensorESO_SO_EERKSO_lbbbEUlllE0_EEPmJS6_EEE10hipError_tPvRmT3_T4_T5_T6_T7_T9_mT8_P12ihipStream_tbDpT10_ENKUlT_T0_E_clISt17integral_constantIbLb0EES1E_EEDaS19_S1A_EUlS19_E_NS1_11comp_targetILNS1_3genE0ELNS1_11target_archE4294967295ELNS1_3gpuE0ELNS1_3repE0EEENS1_30default_config_static_selectorELNS0_4arch9wavefront6targetE1EEEvT1_.kd
    .uniform_work_group_size: 1
    .uses_dynamic_stack: false
    .vgpr_count:     58
    .vgpr_spill_count: 0
    .wavefront_size: 64
  - .agpr_count:     0
    .args:
      - .offset:         0
        .size:           120
        .value_kind:     by_value
    .group_segment_fixed_size: 0
    .kernarg_segment_align: 8
    .kernarg_segment_size: 120
    .language:       OpenCL C
    .language_version:
      - 2
      - 0
    .max_flat_workgroup_size: 512
    .name:           _ZN7rocprim17ROCPRIM_400000_NS6detail17trampoline_kernelINS0_14default_configENS1_25partition_config_selectorILNS1_17partition_subalgoE8ElNS0_10empty_typeEbEEZZNS1_14partition_implILS5_8ELb0ES3_jPlPS6_PKS6_NS0_5tupleIJS9_S6_EEENSD_IJSA_SA_EEENS0_18inequality_wrapperIZN2at6native12_GLOBAL__N_124unique_dim_cuda_templateIN3c108BFloat16EEESt5tupleIJNSH_6TensorESO_SO_EERKSO_lbbbEUlllE0_EEPmJS6_EEE10hipError_tPvRmT3_T4_T5_T6_T7_T9_mT8_P12ihipStream_tbDpT10_ENKUlT_T0_E_clISt17integral_constantIbLb0EES1E_EEDaS19_S1A_EUlS19_E_NS1_11comp_targetILNS1_3genE5ELNS1_11target_archE942ELNS1_3gpuE9ELNS1_3repE0EEENS1_30default_config_static_selectorELNS0_4arch9wavefront6targetE1EEEvT1_
    .private_segment_fixed_size: 0
    .sgpr_count:     6
    .sgpr_spill_count: 0
    .symbol:         _ZN7rocprim17ROCPRIM_400000_NS6detail17trampoline_kernelINS0_14default_configENS1_25partition_config_selectorILNS1_17partition_subalgoE8ElNS0_10empty_typeEbEEZZNS1_14partition_implILS5_8ELb0ES3_jPlPS6_PKS6_NS0_5tupleIJS9_S6_EEENSD_IJSA_SA_EEENS0_18inequality_wrapperIZN2at6native12_GLOBAL__N_124unique_dim_cuda_templateIN3c108BFloat16EEESt5tupleIJNSH_6TensorESO_SO_EERKSO_lbbbEUlllE0_EEPmJS6_EEE10hipError_tPvRmT3_T4_T5_T6_T7_T9_mT8_P12ihipStream_tbDpT10_ENKUlT_T0_E_clISt17integral_constantIbLb0EES1E_EEDaS19_S1A_EUlS19_E_NS1_11comp_targetILNS1_3genE5ELNS1_11target_archE942ELNS1_3gpuE9ELNS1_3repE0EEENS1_30default_config_static_selectorELNS0_4arch9wavefront6targetE1EEEvT1_.kd
    .uniform_work_group_size: 1
    .uses_dynamic_stack: false
    .vgpr_count:     0
    .vgpr_spill_count: 0
    .wavefront_size: 64
  - .agpr_count:     0
    .args:
      - .offset:         0
        .size:           120
        .value_kind:     by_value
    .group_segment_fixed_size: 0
    .kernarg_segment_align: 8
    .kernarg_segment_size: 120
    .language:       OpenCL C
    .language_version:
      - 2
      - 0
    .max_flat_workgroup_size: 256
    .name:           _ZN7rocprim17ROCPRIM_400000_NS6detail17trampoline_kernelINS0_14default_configENS1_25partition_config_selectorILNS1_17partition_subalgoE8ElNS0_10empty_typeEbEEZZNS1_14partition_implILS5_8ELb0ES3_jPlPS6_PKS6_NS0_5tupleIJS9_S6_EEENSD_IJSA_SA_EEENS0_18inequality_wrapperIZN2at6native12_GLOBAL__N_124unique_dim_cuda_templateIN3c108BFloat16EEESt5tupleIJNSH_6TensorESO_SO_EERKSO_lbbbEUlllE0_EEPmJS6_EEE10hipError_tPvRmT3_T4_T5_T6_T7_T9_mT8_P12ihipStream_tbDpT10_ENKUlT_T0_E_clISt17integral_constantIbLb0EES1E_EEDaS19_S1A_EUlS19_E_NS1_11comp_targetILNS1_3genE4ELNS1_11target_archE910ELNS1_3gpuE8ELNS1_3repE0EEENS1_30default_config_static_selectorELNS0_4arch9wavefront6targetE1EEEvT1_
    .private_segment_fixed_size: 0
    .sgpr_count:     6
    .sgpr_spill_count: 0
    .symbol:         _ZN7rocprim17ROCPRIM_400000_NS6detail17trampoline_kernelINS0_14default_configENS1_25partition_config_selectorILNS1_17partition_subalgoE8ElNS0_10empty_typeEbEEZZNS1_14partition_implILS5_8ELb0ES3_jPlPS6_PKS6_NS0_5tupleIJS9_S6_EEENSD_IJSA_SA_EEENS0_18inequality_wrapperIZN2at6native12_GLOBAL__N_124unique_dim_cuda_templateIN3c108BFloat16EEESt5tupleIJNSH_6TensorESO_SO_EERKSO_lbbbEUlllE0_EEPmJS6_EEE10hipError_tPvRmT3_T4_T5_T6_T7_T9_mT8_P12ihipStream_tbDpT10_ENKUlT_T0_E_clISt17integral_constantIbLb0EES1E_EEDaS19_S1A_EUlS19_E_NS1_11comp_targetILNS1_3genE4ELNS1_11target_archE910ELNS1_3gpuE8ELNS1_3repE0EEENS1_30default_config_static_selectorELNS0_4arch9wavefront6targetE1EEEvT1_.kd
    .uniform_work_group_size: 1
    .uses_dynamic_stack: false
    .vgpr_count:     0
    .vgpr_spill_count: 0
    .wavefront_size: 64
  - .agpr_count:     0
    .args:
      - .offset:         0
        .size:           120
        .value_kind:     by_value
    .group_segment_fixed_size: 0
    .kernarg_segment_align: 8
    .kernarg_segment_size: 120
    .language:       OpenCL C
    .language_version:
      - 2
      - 0
    .max_flat_workgroup_size: 512
    .name:           _ZN7rocprim17ROCPRIM_400000_NS6detail17trampoline_kernelINS0_14default_configENS1_25partition_config_selectorILNS1_17partition_subalgoE8ElNS0_10empty_typeEbEEZZNS1_14partition_implILS5_8ELb0ES3_jPlPS6_PKS6_NS0_5tupleIJS9_S6_EEENSD_IJSA_SA_EEENS0_18inequality_wrapperIZN2at6native12_GLOBAL__N_124unique_dim_cuda_templateIN3c108BFloat16EEESt5tupleIJNSH_6TensorESO_SO_EERKSO_lbbbEUlllE0_EEPmJS6_EEE10hipError_tPvRmT3_T4_T5_T6_T7_T9_mT8_P12ihipStream_tbDpT10_ENKUlT_T0_E_clISt17integral_constantIbLb0EES1E_EEDaS19_S1A_EUlS19_E_NS1_11comp_targetILNS1_3genE3ELNS1_11target_archE908ELNS1_3gpuE7ELNS1_3repE0EEENS1_30default_config_static_selectorELNS0_4arch9wavefront6targetE1EEEvT1_
    .private_segment_fixed_size: 0
    .sgpr_count:     6
    .sgpr_spill_count: 0
    .symbol:         _ZN7rocprim17ROCPRIM_400000_NS6detail17trampoline_kernelINS0_14default_configENS1_25partition_config_selectorILNS1_17partition_subalgoE8ElNS0_10empty_typeEbEEZZNS1_14partition_implILS5_8ELb0ES3_jPlPS6_PKS6_NS0_5tupleIJS9_S6_EEENSD_IJSA_SA_EEENS0_18inequality_wrapperIZN2at6native12_GLOBAL__N_124unique_dim_cuda_templateIN3c108BFloat16EEESt5tupleIJNSH_6TensorESO_SO_EERKSO_lbbbEUlllE0_EEPmJS6_EEE10hipError_tPvRmT3_T4_T5_T6_T7_T9_mT8_P12ihipStream_tbDpT10_ENKUlT_T0_E_clISt17integral_constantIbLb0EES1E_EEDaS19_S1A_EUlS19_E_NS1_11comp_targetILNS1_3genE3ELNS1_11target_archE908ELNS1_3gpuE7ELNS1_3repE0EEENS1_30default_config_static_selectorELNS0_4arch9wavefront6targetE1EEEvT1_.kd
    .uniform_work_group_size: 1
    .uses_dynamic_stack: false
    .vgpr_count:     0
    .vgpr_spill_count: 0
    .wavefront_size: 64
  - .agpr_count:     0
    .args:
      - .offset:         0
        .size:           120
        .value_kind:     by_value
    .group_segment_fixed_size: 0
    .kernarg_segment_align: 8
    .kernarg_segment_size: 120
    .language:       OpenCL C
    .language_version:
      - 2
      - 0
    .max_flat_workgroup_size: 256
    .name:           _ZN7rocprim17ROCPRIM_400000_NS6detail17trampoline_kernelINS0_14default_configENS1_25partition_config_selectorILNS1_17partition_subalgoE8ElNS0_10empty_typeEbEEZZNS1_14partition_implILS5_8ELb0ES3_jPlPS6_PKS6_NS0_5tupleIJS9_S6_EEENSD_IJSA_SA_EEENS0_18inequality_wrapperIZN2at6native12_GLOBAL__N_124unique_dim_cuda_templateIN3c108BFloat16EEESt5tupleIJNSH_6TensorESO_SO_EERKSO_lbbbEUlllE0_EEPmJS6_EEE10hipError_tPvRmT3_T4_T5_T6_T7_T9_mT8_P12ihipStream_tbDpT10_ENKUlT_T0_E_clISt17integral_constantIbLb0EES1E_EEDaS19_S1A_EUlS19_E_NS1_11comp_targetILNS1_3genE2ELNS1_11target_archE906ELNS1_3gpuE6ELNS1_3repE0EEENS1_30default_config_static_selectorELNS0_4arch9wavefront6targetE1EEEvT1_
    .private_segment_fixed_size: 0
    .sgpr_count:     6
    .sgpr_spill_count: 0
    .symbol:         _ZN7rocprim17ROCPRIM_400000_NS6detail17trampoline_kernelINS0_14default_configENS1_25partition_config_selectorILNS1_17partition_subalgoE8ElNS0_10empty_typeEbEEZZNS1_14partition_implILS5_8ELb0ES3_jPlPS6_PKS6_NS0_5tupleIJS9_S6_EEENSD_IJSA_SA_EEENS0_18inequality_wrapperIZN2at6native12_GLOBAL__N_124unique_dim_cuda_templateIN3c108BFloat16EEESt5tupleIJNSH_6TensorESO_SO_EERKSO_lbbbEUlllE0_EEPmJS6_EEE10hipError_tPvRmT3_T4_T5_T6_T7_T9_mT8_P12ihipStream_tbDpT10_ENKUlT_T0_E_clISt17integral_constantIbLb0EES1E_EEDaS19_S1A_EUlS19_E_NS1_11comp_targetILNS1_3genE2ELNS1_11target_archE906ELNS1_3gpuE6ELNS1_3repE0EEENS1_30default_config_static_selectorELNS0_4arch9wavefront6targetE1EEEvT1_.kd
    .uniform_work_group_size: 1
    .uses_dynamic_stack: false
    .vgpr_count:     0
    .vgpr_spill_count: 0
    .wavefront_size: 64
  - .agpr_count:     0
    .args:
      - .offset:         0
        .size:           120
        .value_kind:     by_value
    .group_segment_fixed_size: 0
    .kernarg_segment_align: 8
    .kernarg_segment_size: 120
    .language:       OpenCL C
    .language_version:
      - 2
      - 0
    .max_flat_workgroup_size: 384
    .name:           _ZN7rocprim17ROCPRIM_400000_NS6detail17trampoline_kernelINS0_14default_configENS1_25partition_config_selectorILNS1_17partition_subalgoE8ElNS0_10empty_typeEbEEZZNS1_14partition_implILS5_8ELb0ES3_jPlPS6_PKS6_NS0_5tupleIJS9_S6_EEENSD_IJSA_SA_EEENS0_18inequality_wrapperIZN2at6native12_GLOBAL__N_124unique_dim_cuda_templateIN3c108BFloat16EEESt5tupleIJNSH_6TensorESO_SO_EERKSO_lbbbEUlllE0_EEPmJS6_EEE10hipError_tPvRmT3_T4_T5_T6_T7_T9_mT8_P12ihipStream_tbDpT10_ENKUlT_T0_E_clISt17integral_constantIbLb0EES1E_EEDaS19_S1A_EUlS19_E_NS1_11comp_targetILNS1_3genE10ELNS1_11target_archE1200ELNS1_3gpuE4ELNS1_3repE0EEENS1_30default_config_static_selectorELNS0_4arch9wavefront6targetE1EEEvT1_
    .private_segment_fixed_size: 0
    .sgpr_count:     6
    .sgpr_spill_count: 0
    .symbol:         _ZN7rocprim17ROCPRIM_400000_NS6detail17trampoline_kernelINS0_14default_configENS1_25partition_config_selectorILNS1_17partition_subalgoE8ElNS0_10empty_typeEbEEZZNS1_14partition_implILS5_8ELb0ES3_jPlPS6_PKS6_NS0_5tupleIJS9_S6_EEENSD_IJSA_SA_EEENS0_18inequality_wrapperIZN2at6native12_GLOBAL__N_124unique_dim_cuda_templateIN3c108BFloat16EEESt5tupleIJNSH_6TensorESO_SO_EERKSO_lbbbEUlllE0_EEPmJS6_EEE10hipError_tPvRmT3_T4_T5_T6_T7_T9_mT8_P12ihipStream_tbDpT10_ENKUlT_T0_E_clISt17integral_constantIbLb0EES1E_EEDaS19_S1A_EUlS19_E_NS1_11comp_targetILNS1_3genE10ELNS1_11target_archE1200ELNS1_3gpuE4ELNS1_3repE0EEENS1_30default_config_static_selectorELNS0_4arch9wavefront6targetE1EEEvT1_.kd
    .uniform_work_group_size: 1
    .uses_dynamic_stack: false
    .vgpr_count:     0
    .vgpr_spill_count: 0
    .wavefront_size: 64
  - .agpr_count:     0
    .args:
      - .offset:         0
        .size:           120
        .value_kind:     by_value
    .group_segment_fixed_size: 0
    .kernarg_segment_align: 8
    .kernarg_segment_size: 120
    .language:       OpenCL C
    .language_version:
      - 2
      - 0
    .max_flat_workgroup_size: 512
    .name:           _ZN7rocprim17ROCPRIM_400000_NS6detail17trampoline_kernelINS0_14default_configENS1_25partition_config_selectorILNS1_17partition_subalgoE8ElNS0_10empty_typeEbEEZZNS1_14partition_implILS5_8ELb0ES3_jPlPS6_PKS6_NS0_5tupleIJS9_S6_EEENSD_IJSA_SA_EEENS0_18inequality_wrapperIZN2at6native12_GLOBAL__N_124unique_dim_cuda_templateIN3c108BFloat16EEESt5tupleIJNSH_6TensorESO_SO_EERKSO_lbbbEUlllE0_EEPmJS6_EEE10hipError_tPvRmT3_T4_T5_T6_T7_T9_mT8_P12ihipStream_tbDpT10_ENKUlT_T0_E_clISt17integral_constantIbLb0EES1E_EEDaS19_S1A_EUlS19_E_NS1_11comp_targetILNS1_3genE9ELNS1_11target_archE1100ELNS1_3gpuE3ELNS1_3repE0EEENS1_30default_config_static_selectorELNS0_4arch9wavefront6targetE1EEEvT1_
    .private_segment_fixed_size: 0
    .sgpr_count:     6
    .sgpr_spill_count: 0
    .symbol:         _ZN7rocprim17ROCPRIM_400000_NS6detail17trampoline_kernelINS0_14default_configENS1_25partition_config_selectorILNS1_17partition_subalgoE8ElNS0_10empty_typeEbEEZZNS1_14partition_implILS5_8ELb0ES3_jPlPS6_PKS6_NS0_5tupleIJS9_S6_EEENSD_IJSA_SA_EEENS0_18inequality_wrapperIZN2at6native12_GLOBAL__N_124unique_dim_cuda_templateIN3c108BFloat16EEESt5tupleIJNSH_6TensorESO_SO_EERKSO_lbbbEUlllE0_EEPmJS6_EEE10hipError_tPvRmT3_T4_T5_T6_T7_T9_mT8_P12ihipStream_tbDpT10_ENKUlT_T0_E_clISt17integral_constantIbLb0EES1E_EEDaS19_S1A_EUlS19_E_NS1_11comp_targetILNS1_3genE9ELNS1_11target_archE1100ELNS1_3gpuE3ELNS1_3repE0EEENS1_30default_config_static_selectorELNS0_4arch9wavefront6targetE1EEEvT1_.kd
    .uniform_work_group_size: 1
    .uses_dynamic_stack: false
    .vgpr_count:     0
    .vgpr_spill_count: 0
    .wavefront_size: 64
  - .agpr_count:     0
    .args:
      - .offset:         0
        .size:           120
        .value_kind:     by_value
    .group_segment_fixed_size: 0
    .kernarg_segment_align: 8
    .kernarg_segment_size: 120
    .language:       OpenCL C
    .language_version:
      - 2
      - 0
    .max_flat_workgroup_size: 512
    .name:           _ZN7rocprim17ROCPRIM_400000_NS6detail17trampoline_kernelINS0_14default_configENS1_25partition_config_selectorILNS1_17partition_subalgoE8ElNS0_10empty_typeEbEEZZNS1_14partition_implILS5_8ELb0ES3_jPlPS6_PKS6_NS0_5tupleIJS9_S6_EEENSD_IJSA_SA_EEENS0_18inequality_wrapperIZN2at6native12_GLOBAL__N_124unique_dim_cuda_templateIN3c108BFloat16EEESt5tupleIJNSH_6TensorESO_SO_EERKSO_lbbbEUlllE0_EEPmJS6_EEE10hipError_tPvRmT3_T4_T5_T6_T7_T9_mT8_P12ihipStream_tbDpT10_ENKUlT_T0_E_clISt17integral_constantIbLb0EES1E_EEDaS19_S1A_EUlS19_E_NS1_11comp_targetILNS1_3genE8ELNS1_11target_archE1030ELNS1_3gpuE2ELNS1_3repE0EEENS1_30default_config_static_selectorELNS0_4arch9wavefront6targetE1EEEvT1_
    .private_segment_fixed_size: 0
    .sgpr_count:     6
    .sgpr_spill_count: 0
    .symbol:         _ZN7rocprim17ROCPRIM_400000_NS6detail17trampoline_kernelINS0_14default_configENS1_25partition_config_selectorILNS1_17partition_subalgoE8ElNS0_10empty_typeEbEEZZNS1_14partition_implILS5_8ELb0ES3_jPlPS6_PKS6_NS0_5tupleIJS9_S6_EEENSD_IJSA_SA_EEENS0_18inequality_wrapperIZN2at6native12_GLOBAL__N_124unique_dim_cuda_templateIN3c108BFloat16EEESt5tupleIJNSH_6TensorESO_SO_EERKSO_lbbbEUlllE0_EEPmJS6_EEE10hipError_tPvRmT3_T4_T5_T6_T7_T9_mT8_P12ihipStream_tbDpT10_ENKUlT_T0_E_clISt17integral_constantIbLb0EES1E_EEDaS19_S1A_EUlS19_E_NS1_11comp_targetILNS1_3genE8ELNS1_11target_archE1030ELNS1_3gpuE2ELNS1_3repE0EEENS1_30default_config_static_selectorELNS0_4arch9wavefront6targetE1EEEvT1_.kd
    .uniform_work_group_size: 1
    .uses_dynamic_stack: false
    .vgpr_count:     0
    .vgpr_spill_count: 0
    .wavefront_size: 64
  - .agpr_count:     0
    .args:
      - .offset:         0
        .size:           136
        .value_kind:     by_value
    .group_segment_fixed_size: 0
    .kernarg_segment_align: 8
    .kernarg_segment_size: 136
    .language:       OpenCL C
    .language_version:
      - 2
      - 0
    .max_flat_workgroup_size: 512
    .name:           _ZN7rocprim17ROCPRIM_400000_NS6detail17trampoline_kernelINS0_14default_configENS1_25partition_config_selectorILNS1_17partition_subalgoE8ElNS0_10empty_typeEbEEZZNS1_14partition_implILS5_8ELb0ES3_jPlPS6_PKS6_NS0_5tupleIJS9_S6_EEENSD_IJSA_SA_EEENS0_18inequality_wrapperIZN2at6native12_GLOBAL__N_124unique_dim_cuda_templateIN3c108BFloat16EEESt5tupleIJNSH_6TensorESO_SO_EERKSO_lbbbEUlllE0_EEPmJS6_EEE10hipError_tPvRmT3_T4_T5_T6_T7_T9_mT8_P12ihipStream_tbDpT10_ENKUlT_T0_E_clISt17integral_constantIbLb1EES1E_EEDaS19_S1A_EUlS19_E_NS1_11comp_targetILNS1_3genE0ELNS1_11target_archE4294967295ELNS1_3gpuE0ELNS1_3repE0EEENS1_30default_config_static_selectorELNS0_4arch9wavefront6targetE1EEEvT1_
    .private_segment_fixed_size: 0
    .sgpr_count:     6
    .sgpr_spill_count: 0
    .symbol:         _ZN7rocprim17ROCPRIM_400000_NS6detail17trampoline_kernelINS0_14default_configENS1_25partition_config_selectorILNS1_17partition_subalgoE8ElNS0_10empty_typeEbEEZZNS1_14partition_implILS5_8ELb0ES3_jPlPS6_PKS6_NS0_5tupleIJS9_S6_EEENSD_IJSA_SA_EEENS0_18inequality_wrapperIZN2at6native12_GLOBAL__N_124unique_dim_cuda_templateIN3c108BFloat16EEESt5tupleIJNSH_6TensorESO_SO_EERKSO_lbbbEUlllE0_EEPmJS6_EEE10hipError_tPvRmT3_T4_T5_T6_T7_T9_mT8_P12ihipStream_tbDpT10_ENKUlT_T0_E_clISt17integral_constantIbLb1EES1E_EEDaS19_S1A_EUlS19_E_NS1_11comp_targetILNS1_3genE0ELNS1_11target_archE4294967295ELNS1_3gpuE0ELNS1_3repE0EEENS1_30default_config_static_selectorELNS0_4arch9wavefront6targetE1EEEvT1_.kd
    .uniform_work_group_size: 1
    .uses_dynamic_stack: false
    .vgpr_count:     0
    .vgpr_spill_count: 0
    .wavefront_size: 64
  - .agpr_count:     0
    .args:
      - .offset:         0
        .size:           136
        .value_kind:     by_value
    .group_segment_fixed_size: 0
    .kernarg_segment_align: 8
    .kernarg_segment_size: 136
    .language:       OpenCL C
    .language_version:
      - 2
      - 0
    .max_flat_workgroup_size: 512
    .name:           _ZN7rocprim17ROCPRIM_400000_NS6detail17trampoline_kernelINS0_14default_configENS1_25partition_config_selectorILNS1_17partition_subalgoE8ElNS0_10empty_typeEbEEZZNS1_14partition_implILS5_8ELb0ES3_jPlPS6_PKS6_NS0_5tupleIJS9_S6_EEENSD_IJSA_SA_EEENS0_18inequality_wrapperIZN2at6native12_GLOBAL__N_124unique_dim_cuda_templateIN3c108BFloat16EEESt5tupleIJNSH_6TensorESO_SO_EERKSO_lbbbEUlllE0_EEPmJS6_EEE10hipError_tPvRmT3_T4_T5_T6_T7_T9_mT8_P12ihipStream_tbDpT10_ENKUlT_T0_E_clISt17integral_constantIbLb1EES1E_EEDaS19_S1A_EUlS19_E_NS1_11comp_targetILNS1_3genE5ELNS1_11target_archE942ELNS1_3gpuE9ELNS1_3repE0EEENS1_30default_config_static_selectorELNS0_4arch9wavefront6targetE1EEEvT1_
    .private_segment_fixed_size: 0
    .sgpr_count:     6
    .sgpr_spill_count: 0
    .symbol:         _ZN7rocprim17ROCPRIM_400000_NS6detail17trampoline_kernelINS0_14default_configENS1_25partition_config_selectorILNS1_17partition_subalgoE8ElNS0_10empty_typeEbEEZZNS1_14partition_implILS5_8ELb0ES3_jPlPS6_PKS6_NS0_5tupleIJS9_S6_EEENSD_IJSA_SA_EEENS0_18inequality_wrapperIZN2at6native12_GLOBAL__N_124unique_dim_cuda_templateIN3c108BFloat16EEESt5tupleIJNSH_6TensorESO_SO_EERKSO_lbbbEUlllE0_EEPmJS6_EEE10hipError_tPvRmT3_T4_T5_T6_T7_T9_mT8_P12ihipStream_tbDpT10_ENKUlT_T0_E_clISt17integral_constantIbLb1EES1E_EEDaS19_S1A_EUlS19_E_NS1_11comp_targetILNS1_3genE5ELNS1_11target_archE942ELNS1_3gpuE9ELNS1_3repE0EEENS1_30default_config_static_selectorELNS0_4arch9wavefront6targetE1EEEvT1_.kd
    .uniform_work_group_size: 1
    .uses_dynamic_stack: false
    .vgpr_count:     0
    .vgpr_spill_count: 0
    .wavefront_size: 64
  - .agpr_count:     0
    .args:
      - .offset:         0
        .size:           136
        .value_kind:     by_value
    .group_segment_fixed_size: 0
    .kernarg_segment_align: 8
    .kernarg_segment_size: 136
    .language:       OpenCL C
    .language_version:
      - 2
      - 0
    .max_flat_workgroup_size: 256
    .name:           _ZN7rocprim17ROCPRIM_400000_NS6detail17trampoline_kernelINS0_14default_configENS1_25partition_config_selectorILNS1_17partition_subalgoE8ElNS0_10empty_typeEbEEZZNS1_14partition_implILS5_8ELb0ES3_jPlPS6_PKS6_NS0_5tupleIJS9_S6_EEENSD_IJSA_SA_EEENS0_18inequality_wrapperIZN2at6native12_GLOBAL__N_124unique_dim_cuda_templateIN3c108BFloat16EEESt5tupleIJNSH_6TensorESO_SO_EERKSO_lbbbEUlllE0_EEPmJS6_EEE10hipError_tPvRmT3_T4_T5_T6_T7_T9_mT8_P12ihipStream_tbDpT10_ENKUlT_T0_E_clISt17integral_constantIbLb1EES1E_EEDaS19_S1A_EUlS19_E_NS1_11comp_targetILNS1_3genE4ELNS1_11target_archE910ELNS1_3gpuE8ELNS1_3repE0EEENS1_30default_config_static_selectorELNS0_4arch9wavefront6targetE1EEEvT1_
    .private_segment_fixed_size: 0
    .sgpr_count:     6
    .sgpr_spill_count: 0
    .symbol:         _ZN7rocprim17ROCPRIM_400000_NS6detail17trampoline_kernelINS0_14default_configENS1_25partition_config_selectorILNS1_17partition_subalgoE8ElNS0_10empty_typeEbEEZZNS1_14partition_implILS5_8ELb0ES3_jPlPS6_PKS6_NS0_5tupleIJS9_S6_EEENSD_IJSA_SA_EEENS0_18inequality_wrapperIZN2at6native12_GLOBAL__N_124unique_dim_cuda_templateIN3c108BFloat16EEESt5tupleIJNSH_6TensorESO_SO_EERKSO_lbbbEUlllE0_EEPmJS6_EEE10hipError_tPvRmT3_T4_T5_T6_T7_T9_mT8_P12ihipStream_tbDpT10_ENKUlT_T0_E_clISt17integral_constantIbLb1EES1E_EEDaS19_S1A_EUlS19_E_NS1_11comp_targetILNS1_3genE4ELNS1_11target_archE910ELNS1_3gpuE8ELNS1_3repE0EEENS1_30default_config_static_selectorELNS0_4arch9wavefront6targetE1EEEvT1_.kd
    .uniform_work_group_size: 1
    .uses_dynamic_stack: false
    .vgpr_count:     0
    .vgpr_spill_count: 0
    .wavefront_size: 64
  - .agpr_count:     0
    .args:
      - .offset:         0
        .size:           136
        .value_kind:     by_value
    .group_segment_fixed_size: 0
    .kernarg_segment_align: 8
    .kernarg_segment_size: 136
    .language:       OpenCL C
    .language_version:
      - 2
      - 0
    .max_flat_workgroup_size: 512
    .name:           _ZN7rocprim17ROCPRIM_400000_NS6detail17trampoline_kernelINS0_14default_configENS1_25partition_config_selectorILNS1_17partition_subalgoE8ElNS0_10empty_typeEbEEZZNS1_14partition_implILS5_8ELb0ES3_jPlPS6_PKS6_NS0_5tupleIJS9_S6_EEENSD_IJSA_SA_EEENS0_18inequality_wrapperIZN2at6native12_GLOBAL__N_124unique_dim_cuda_templateIN3c108BFloat16EEESt5tupleIJNSH_6TensorESO_SO_EERKSO_lbbbEUlllE0_EEPmJS6_EEE10hipError_tPvRmT3_T4_T5_T6_T7_T9_mT8_P12ihipStream_tbDpT10_ENKUlT_T0_E_clISt17integral_constantIbLb1EES1E_EEDaS19_S1A_EUlS19_E_NS1_11comp_targetILNS1_3genE3ELNS1_11target_archE908ELNS1_3gpuE7ELNS1_3repE0EEENS1_30default_config_static_selectorELNS0_4arch9wavefront6targetE1EEEvT1_
    .private_segment_fixed_size: 0
    .sgpr_count:     6
    .sgpr_spill_count: 0
    .symbol:         _ZN7rocprim17ROCPRIM_400000_NS6detail17trampoline_kernelINS0_14default_configENS1_25partition_config_selectorILNS1_17partition_subalgoE8ElNS0_10empty_typeEbEEZZNS1_14partition_implILS5_8ELb0ES3_jPlPS6_PKS6_NS0_5tupleIJS9_S6_EEENSD_IJSA_SA_EEENS0_18inequality_wrapperIZN2at6native12_GLOBAL__N_124unique_dim_cuda_templateIN3c108BFloat16EEESt5tupleIJNSH_6TensorESO_SO_EERKSO_lbbbEUlllE0_EEPmJS6_EEE10hipError_tPvRmT3_T4_T5_T6_T7_T9_mT8_P12ihipStream_tbDpT10_ENKUlT_T0_E_clISt17integral_constantIbLb1EES1E_EEDaS19_S1A_EUlS19_E_NS1_11comp_targetILNS1_3genE3ELNS1_11target_archE908ELNS1_3gpuE7ELNS1_3repE0EEENS1_30default_config_static_selectorELNS0_4arch9wavefront6targetE1EEEvT1_.kd
    .uniform_work_group_size: 1
    .uses_dynamic_stack: false
    .vgpr_count:     0
    .vgpr_spill_count: 0
    .wavefront_size: 64
  - .agpr_count:     0
    .args:
      - .offset:         0
        .size:           136
        .value_kind:     by_value
    .group_segment_fixed_size: 0
    .kernarg_segment_align: 8
    .kernarg_segment_size: 136
    .language:       OpenCL C
    .language_version:
      - 2
      - 0
    .max_flat_workgroup_size: 256
    .name:           _ZN7rocprim17ROCPRIM_400000_NS6detail17trampoline_kernelINS0_14default_configENS1_25partition_config_selectorILNS1_17partition_subalgoE8ElNS0_10empty_typeEbEEZZNS1_14partition_implILS5_8ELb0ES3_jPlPS6_PKS6_NS0_5tupleIJS9_S6_EEENSD_IJSA_SA_EEENS0_18inequality_wrapperIZN2at6native12_GLOBAL__N_124unique_dim_cuda_templateIN3c108BFloat16EEESt5tupleIJNSH_6TensorESO_SO_EERKSO_lbbbEUlllE0_EEPmJS6_EEE10hipError_tPvRmT3_T4_T5_T6_T7_T9_mT8_P12ihipStream_tbDpT10_ENKUlT_T0_E_clISt17integral_constantIbLb1EES1E_EEDaS19_S1A_EUlS19_E_NS1_11comp_targetILNS1_3genE2ELNS1_11target_archE906ELNS1_3gpuE6ELNS1_3repE0EEENS1_30default_config_static_selectorELNS0_4arch9wavefront6targetE1EEEvT1_
    .private_segment_fixed_size: 0
    .sgpr_count:     6
    .sgpr_spill_count: 0
    .symbol:         _ZN7rocprim17ROCPRIM_400000_NS6detail17trampoline_kernelINS0_14default_configENS1_25partition_config_selectorILNS1_17partition_subalgoE8ElNS0_10empty_typeEbEEZZNS1_14partition_implILS5_8ELb0ES3_jPlPS6_PKS6_NS0_5tupleIJS9_S6_EEENSD_IJSA_SA_EEENS0_18inequality_wrapperIZN2at6native12_GLOBAL__N_124unique_dim_cuda_templateIN3c108BFloat16EEESt5tupleIJNSH_6TensorESO_SO_EERKSO_lbbbEUlllE0_EEPmJS6_EEE10hipError_tPvRmT3_T4_T5_T6_T7_T9_mT8_P12ihipStream_tbDpT10_ENKUlT_T0_E_clISt17integral_constantIbLb1EES1E_EEDaS19_S1A_EUlS19_E_NS1_11comp_targetILNS1_3genE2ELNS1_11target_archE906ELNS1_3gpuE6ELNS1_3repE0EEENS1_30default_config_static_selectorELNS0_4arch9wavefront6targetE1EEEvT1_.kd
    .uniform_work_group_size: 1
    .uses_dynamic_stack: false
    .vgpr_count:     0
    .vgpr_spill_count: 0
    .wavefront_size: 64
  - .agpr_count:     0
    .args:
      - .offset:         0
        .size:           136
        .value_kind:     by_value
    .group_segment_fixed_size: 0
    .kernarg_segment_align: 8
    .kernarg_segment_size: 136
    .language:       OpenCL C
    .language_version:
      - 2
      - 0
    .max_flat_workgroup_size: 384
    .name:           _ZN7rocprim17ROCPRIM_400000_NS6detail17trampoline_kernelINS0_14default_configENS1_25partition_config_selectorILNS1_17partition_subalgoE8ElNS0_10empty_typeEbEEZZNS1_14partition_implILS5_8ELb0ES3_jPlPS6_PKS6_NS0_5tupleIJS9_S6_EEENSD_IJSA_SA_EEENS0_18inequality_wrapperIZN2at6native12_GLOBAL__N_124unique_dim_cuda_templateIN3c108BFloat16EEESt5tupleIJNSH_6TensorESO_SO_EERKSO_lbbbEUlllE0_EEPmJS6_EEE10hipError_tPvRmT3_T4_T5_T6_T7_T9_mT8_P12ihipStream_tbDpT10_ENKUlT_T0_E_clISt17integral_constantIbLb1EES1E_EEDaS19_S1A_EUlS19_E_NS1_11comp_targetILNS1_3genE10ELNS1_11target_archE1200ELNS1_3gpuE4ELNS1_3repE0EEENS1_30default_config_static_selectorELNS0_4arch9wavefront6targetE1EEEvT1_
    .private_segment_fixed_size: 0
    .sgpr_count:     6
    .sgpr_spill_count: 0
    .symbol:         _ZN7rocprim17ROCPRIM_400000_NS6detail17trampoline_kernelINS0_14default_configENS1_25partition_config_selectorILNS1_17partition_subalgoE8ElNS0_10empty_typeEbEEZZNS1_14partition_implILS5_8ELb0ES3_jPlPS6_PKS6_NS0_5tupleIJS9_S6_EEENSD_IJSA_SA_EEENS0_18inequality_wrapperIZN2at6native12_GLOBAL__N_124unique_dim_cuda_templateIN3c108BFloat16EEESt5tupleIJNSH_6TensorESO_SO_EERKSO_lbbbEUlllE0_EEPmJS6_EEE10hipError_tPvRmT3_T4_T5_T6_T7_T9_mT8_P12ihipStream_tbDpT10_ENKUlT_T0_E_clISt17integral_constantIbLb1EES1E_EEDaS19_S1A_EUlS19_E_NS1_11comp_targetILNS1_3genE10ELNS1_11target_archE1200ELNS1_3gpuE4ELNS1_3repE0EEENS1_30default_config_static_selectorELNS0_4arch9wavefront6targetE1EEEvT1_.kd
    .uniform_work_group_size: 1
    .uses_dynamic_stack: false
    .vgpr_count:     0
    .vgpr_spill_count: 0
    .wavefront_size: 64
  - .agpr_count:     0
    .args:
      - .offset:         0
        .size:           136
        .value_kind:     by_value
    .group_segment_fixed_size: 0
    .kernarg_segment_align: 8
    .kernarg_segment_size: 136
    .language:       OpenCL C
    .language_version:
      - 2
      - 0
    .max_flat_workgroup_size: 512
    .name:           _ZN7rocprim17ROCPRIM_400000_NS6detail17trampoline_kernelINS0_14default_configENS1_25partition_config_selectorILNS1_17partition_subalgoE8ElNS0_10empty_typeEbEEZZNS1_14partition_implILS5_8ELb0ES3_jPlPS6_PKS6_NS0_5tupleIJS9_S6_EEENSD_IJSA_SA_EEENS0_18inequality_wrapperIZN2at6native12_GLOBAL__N_124unique_dim_cuda_templateIN3c108BFloat16EEESt5tupleIJNSH_6TensorESO_SO_EERKSO_lbbbEUlllE0_EEPmJS6_EEE10hipError_tPvRmT3_T4_T5_T6_T7_T9_mT8_P12ihipStream_tbDpT10_ENKUlT_T0_E_clISt17integral_constantIbLb1EES1E_EEDaS19_S1A_EUlS19_E_NS1_11comp_targetILNS1_3genE9ELNS1_11target_archE1100ELNS1_3gpuE3ELNS1_3repE0EEENS1_30default_config_static_selectorELNS0_4arch9wavefront6targetE1EEEvT1_
    .private_segment_fixed_size: 0
    .sgpr_count:     6
    .sgpr_spill_count: 0
    .symbol:         _ZN7rocprim17ROCPRIM_400000_NS6detail17trampoline_kernelINS0_14default_configENS1_25partition_config_selectorILNS1_17partition_subalgoE8ElNS0_10empty_typeEbEEZZNS1_14partition_implILS5_8ELb0ES3_jPlPS6_PKS6_NS0_5tupleIJS9_S6_EEENSD_IJSA_SA_EEENS0_18inequality_wrapperIZN2at6native12_GLOBAL__N_124unique_dim_cuda_templateIN3c108BFloat16EEESt5tupleIJNSH_6TensorESO_SO_EERKSO_lbbbEUlllE0_EEPmJS6_EEE10hipError_tPvRmT3_T4_T5_T6_T7_T9_mT8_P12ihipStream_tbDpT10_ENKUlT_T0_E_clISt17integral_constantIbLb1EES1E_EEDaS19_S1A_EUlS19_E_NS1_11comp_targetILNS1_3genE9ELNS1_11target_archE1100ELNS1_3gpuE3ELNS1_3repE0EEENS1_30default_config_static_selectorELNS0_4arch9wavefront6targetE1EEEvT1_.kd
    .uniform_work_group_size: 1
    .uses_dynamic_stack: false
    .vgpr_count:     0
    .vgpr_spill_count: 0
    .wavefront_size: 64
  - .agpr_count:     0
    .args:
      - .offset:         0
        .size:           136
        .value_kind:     by_value
    .group_segment_fixed_size: 0
    .kernarg_segment_align: 8
    .kernarg_segment_size: 136
    .language:       OpenCL C
    .language_version:
      - 2
      - 0
    .max_flat_workgroup_size: 512
    .name:           _ZN7rocprim17ROCPRIM_400000_NS6detail17trampoline_kernelINS0_14default_configENS1_25partition_config_selectorILNS1_17partition_subalgoE8ElNS0_10empty_typeEbEEZZNS1_14partition_implILS5_8ELb0ES3_jPlPS6_PKS6_NS0_5tupleIJS9_S6_EEENSD_IJSA_SA_EEENS0_18inequality_wrapperIZN2at6native12_GLOBAL__N_124unique_dim_cuda_templateIN3c108BFloat16EEESt5tupleIJNSH_6TensorESO_SO_EERKSO_lbbbEUlllE0_EEPmJS6_EEE10hipError_tPvRmT3_T4_T5_T6_T7_T9_mT8_P12ihipStream_tbDpT10_ENKUlT_T0_E_clISt17integral_constantIbLb1EES1E_EEDaS19_S1A_EUlS19_E_NS1_11comp_targetILNS1_3genE8ELNS1_11target_archE1030ELNS1_3gpuE2ELNS1_3repE0EEENS1_30default_config_static_selectorELNS0_4arch9wavefront6targetE1EEEvT1_
    .private_segment_fixed_size: 0
    .sgpr_count:     6
    .sgpr_spill_count: 0
    .symbol:         _ZN7rocprim17ROCPRIM_400000_NS6detail17trampoline_kernelINS0_14default_configENS1_25partition_config_selectorILNS1_17partition_subalgoE8ElNS0_10empty_typeEbEEZZNS1_14partition_implILS5_8ELb0ES3_jPlPS6_PKS6_NS0_5tupleIJS9_S6_EEENSD_IJSA_SA_EEENS0_18inequality_wrapperIZN2at6native12_GLOBAL__N_124unique_dim_cuda_templateIN3c108BFloat16EEESt5tupleIJNSH_6TensorESO_SO_EERKSO_lbbbEUlllE0_EEPmJS6_EEE10hipError_tPvRmT3_T4_T5_T6_T7_T9_mT8_P12ihipStream_tbDpT10_ENKUlT_T0_E_clISt17integral_constantIbLb1EES1E_EEDaS19_S1A_EUlS19_E_NS1_11comp_targetILNS1_3genE8ELNS1_11target_archE1030ELNS1_3gpuE2ELNS1_3repE0EEENS1_30default_config_static_selectorELNS0_4arch9wavefront6targetE1EEEvT1_.kd
    .uniform_work_group_size: 1
    .uses_dynamic_stack: false
    .vgpr_count:     0
    .vgpr_spill_count: 0
    .wavefront_size: 64
  - .agpr_count:     0
    .args:
      - .offset:         0
        .size:           120
        .value_kind:     by_value
    .group_segment_fixed_size: 0
    .kernarg_segment_align: 8
    .kernarg_segment_size: 120
    .language:       OpenCL C
    .language_version:
      - 2
      - 0
    .max_flat_workgroup_size: 512
    .name:           _ZN7rocprim17ROCPRIM_400000_NS6detail17trampoline_kernelINS0_14default_configENS1_25partition_config_selectorILNS1_17partition_subalgoE8ElNS0_10empty_typeEbEEZZNS1_14partition_implILS5_8ELb0ES3_jPlPS6_PKS6_NS0_5tupleIJS9_S6_EEENSD_IJSA_SA_EEENS0_18inequality_wrapperIZN2at6native12_GLOBAL__N_124unique_dim_cuda_templateIN3c108BFloat16EEESt5tupleIJNSH_6TensorESO_SO_EERKSO_lbbbEUlllE0_EEPmJS6_EEE10hipError_tPvRmT3_T4_T5_T6_T7_T9_mT8_P12ihipStream_tbDpT10_ENKUlT_T0_E_clISt17integral_constantIbLb1EES1D_IbLb0EEEEDaS19_S1A_EUlS19_E_NS1_11comp_targetILNS1_3genE0ELNS1_11target_archE4294967295ELNS1_3gpuE0ELNS1_3repE0EEENS1_30default_config_static_selectorELNS0_4arch9wavefront6targetE1EEEvT1_
    .private_segment_fixed_size: 0
    .sgpr_count:     6
    .sgpr_spill_count: 0
    .symbol:         _ZN7rocprim17ROCPRIM_400000_NS6detail17trampoline_kernelINS0_14default_configENS1_25partition_config_selectorILNS1_17partition_subalgoE8ElNS0_10empty_typeEbEEZZNS1_14partition_implILS5_8ELb0ES3_jPlPS6_PKS6_NS0_5tupleIJS9_S6_EEENSD_IJSA_SA_EEENS0_18inequality_wrapperIZN2at6native12_GLOBAL__N_124unique_dim_cuda_templateIN3c108BFloat16EEESt5tupleIJNSH_6TensorESO_SO_EERKSO_lbbbEUlllE0_EEPmJS6_EEE10hipError_tPvRmT3_T4_T5_T6_T7_T9_mT8_P12ihipStream_tbDpT10_ENKUlT_T0_E_clISt17integral_constantIbLb1EES1D_IbLb0EEEEDaS19_S1A_EUlS19_E_NS1_11comp_targetILNS1_3genE0ELNS1_11target_archE4294967295ELNS1_3gpuE0ELNS1_3repE0EEENS1_30default_config_static_selectorELNS0_4arch9wavefront6targetE1EEEvT1_.kd
    .uniform_work_group_size: 1
    .uses_dynamic_stack: false
    .vgpr_count:     0
    .vgpr_spill_count: 0
    .wavefront_size: 64
  - .agpr_count:     0
    .args:
      - .offset:         0
        .size:           120
        .value_kind:     by_value
    .group_segment_fixed_size: 0
    .kernarg_segment_align: 8
    .kernarg_segment_size: 120
    .language:       OpenCL C
    .language_version:
      - 2
      - 0
    .max_flat_workgroup_size: 512
    .name:           _ZN7rocprim17ROCPRIM_400000_NS6detail17trampoline_kernelINS0_14default_configENS1_25partition_config_selectorILNS1_17partition_subalgoE8ElNS0_10empty_typeEbEEZZNS1_14partition_implILS5_8ELb0ES3_jPlPS6_PKS6_NS0_5tupleIJS9_S6_EEENSD_IJSA_SA_EEENS0_18inequality_wrapperIZN2at6native12_GLOBAL__N_124unique_dim_cuda_templateIN3c108BFloat16EEESt5tupleIJNSH_6TensorESO_SO_EERKSO_lbbbEUlllE0_EEPmJS6_EEE10hipError_tPvRmT3_T4_T5_T6_T7_T9_mT8_P12ihipStream_tbDpT10_ENKUlT_T0_E_clISt17integral_constantIbLb1EES1D_IbLb0EEEEDaS19_S1A_EUlS19_E_NS1_11comp_targetILNS1_3genE5ELNS1_11target_archE942ELNS1_3gpuE9ELNS1_3repE0EEENS1_30default_config_static_selectorELNS0_4arch9wavefront6targetE1EEEvT1_
    .private_segment_fixed_size: 0
    .sgpr_count:     6
    .sgpr_spill_count: 0
    .symbol:         _ZN7rocprim17ROCPRIM_400000_NS6detail17trampoline_kernelINS0_14default_configENS1_25partition_config_selectorILNS1_17partition_subalgoE8ElNS0_10empty_typeEbEEZZNS1_14partition_implILS5_8ELb0ES3_jPlPS6_PKS6_NS0_5tupleIJS9_S6_EEENSD_IJSA_SA_EEENS0_18inequality_wrapperIZN2at6native12_GLOBAL__N_124unique_dim_cuda_templateIN3c108BFloat16EEESt5tupleIJNSH_6TensorESO_SO_EERKSO_lbbbEUlllE0_EEPmJS6_EEE10hipError_tPvRmT3_T4_T5_T6_T7_T9_mT8_P12ihipStream_tbDpT10_ENKUlT_T0_E_clISt17integral_constantIbLb1EES1D_IbLb0EEEEDaS19_S1A_EUlS19_E_NS1_11comp_targetILNS1_3genE5ELNS1_11target_archE942ELNS1_3gpuE9ELNS1_3repE0EEENS1_30default_config_static_selectorELNS0_4arch9wavefront6targetE1EEEvT1_.kd
    .uniform_work_group_size: 1
    .uses_dynamic_stack: false
    .vgpr_count:     0
    .vgpr_spill_count: 0
    .wavefront_size: 64
  - .agpr_count:     0
    .args:
      - .offset:         0
        .size:           120
        .value_kind:     by_value
    .group_segment_fixed_size: 0
    .kernarg_segment_align: 8
    .kernarg_segment_size: 120
    .language:       OpenCL C
    .language_version:
      - 2
      - 0
    .max_flat_workgroup_size: 256
    .name:           _ZN7rocprim17ROCPRIM_400000_NS6detail17trampoline_kernelINS0_14default_configENS1_25partition_config_selectorILNS1_17partition_subalgoE8ElNS0_10empty_typeEbEEZZNS1_14partition_implILS5_8ELb0ES3_jPlPS6_PKS6_NS0_5tupleIJS9_S6_EEENSD_IJSA_SA_EEENS0_18inequality_wrapperIZN2at6native12_GLOBAL__N_124unique_dim_cuda_templateIN3c108BFloat16EEESt5tupleIJNSH_6TensorESO_SO_EERKSO_lbbbEUlllE0_EEPmJS6_EEE10hipError_tPvRmT3_T4_T5_T6_T7_T9_mT8_P12ihipStream_tbDpT10_ENKUlT_T0_E_clISt17integral_constantIbLb1EES1D_IbLb0EEEEDaS19_S1A_EUlS19_E_NS1_11comp_targetILNS1_3genE4ELNS1_11target_archE910ELNS1_3gpuE8ELNS1_3repE0EEENS1_30default_config_static_selectorELNS0_4arch9wavefront6targetE1EEEvT1_
    .private_segment_fixed_size: 0
    .sgpr_count:     6
    .sgpr_spill_count: 0
    .symbol:         _ZN7rocprim17ROCPRIM_400000_NS6detail17trampoline_kernelINS0_14default_configENS1_25partition_config_selectorILNS1_17partition_subalgoE8ElNS0_10empty_typeEbEEZZNS1_14partition_implILS5_8ELb0ES3_jPlPS6_PKS6_NS0_5tupleIJS9_S6_EEENSD_IJSA_SA_EEENS0_18inequality_wrapperIZN2at6native12_GLOBAL__N_124unique_dim_cuda_templateIN3c108BFloat16EEESt5tupleIJNSH_6TensorESO_SO_EERKSO_lbbbEUlllE0_EEPmJS6_EEE10hipError_tPvRmT3_T4_T5_T6_T7_T9_mT8_P12ihipStream_tbDpT10_ENKUlT_T0_E_clISt17integral_constantIbLb1EES1D_IbLb0EEEEDaS19_S1A_EUlS19_E_NS1_11comp_targetILNS1_3genE4ELNS1_11target_archE910ELNS1_3gpuE8ELNS1_3repE0EEENS1_30default_config_static_selectorELNS0_4arch9wavefront6targetE1EEEvT1_.kd
    .uniform_work_group_size: 1
    .uses_dynamic_stack: false
    .vgpr_count:     0
    .vgpr_spill_count: 0
    .wavefront_size: 64
  - .agpr_count:     0
    .args:
      - .offset:         0
        .size:           120
        .value_kind:     by_value
    .group_segment_fixed_size: 0
    .kernarg_segment_align: 8
    .kernarg_segment_size: 120
    .language:       OpenCL C
    .language_version:
      - 2
      - 0
    .max_flat_workgroup_size: 512
    .name:           _ZN7rocprim17ROCPRIM_400000_NS6detail17trampoline_kernelINS0_14default_configENS1_25partition_config_selectorILNS1_17partition_subalgoE8ElNS0_10empty_typeEbEEZZNS1_14partition_implILS5_8ELb0ES3_jPlPS6_PKS6_NS0_5tupleIJS9_S6_EEENSD_IJSA_SA_EEENS0_18inequality_wrapperIZN2at6native12_GLOBAL__N_124unique_dim_cuda_templateIN3c108BFloat16EEESt5tupleIJNSH_6TensorESO_SO_EERKSO_lbbbEUlllE0_EEPmJS6_EEE10hipError_tPvRmT3_T4_T5_T6_T7_T9_mT8_P12ihipStream_tbDpT10_ENKUlT_T0_E_clISt17integral_constantIbLb1EES1D_IbLb0EEEEDaS19_S1A_EUlS19_E_NS1_11comp_targetILNS1_3genE3ELNS1_11target_archE908ELNS1_3gpuE7ELNS1_3repE0EEENS1_30default_config_static_selectorELNS0_4arch9wavefront6targetE1EEEvT1_
    .private_segment_fixed_size: 0
    .sgpr_count:     6
    .sgpr_spill_count: 0
    .symbol:         _ZN7rocprim17ROCPRIM_400000_NS6detail17trampoline_kernelINS0_14default_configENS1_25partition_config_selectorILNS1_17partition_subalgoE8ElNS0_10empty_typeEbEEZZNS1_14partition_implILS5_8ELb0ES3_jPlPS6_PKS6_NS0_5tupleIJS9_S6_EEENSD_IJSA_SA_EEENS0_18inequality_wrapperIZN2at6native12_GLOBAL__N_124unique_dim_cuda_templateIN3c108BFloat16EEESt5tupleIJNSH_6TensorESO_SO_EERKSO_lbbbEUlllE0_EEPmJS6_EEE10hipError_tPvRmT3_T4_T5_T6_T7_T9_mT8_P12ihipStream_tbDpT10_ENKUlT_T0_E_clISt17integral_constantIbLb1EES1D_IbLb0EEEEDaS19_S1A_EUlS19_E_NS1_11comp_targetILNS1_3genE3ELNS1_11target_archE908ELNS1_3gpuE7ELNS1_3repE0EEENS1_30default_config_static_selectorELNS0_4arch9wavefront6targetE1EEEvT1_.kd
    .uniform_work_group_size: 1
    .uses_dynamic_stack: false
    .vgpr_count:     0
    .vgpr_spill_count: 0
    .wavefront_size: 64
  - .agpr_count:     0
    .args:
      - .offset:         0
        .size:           120
        .value_kind:     by_value
    .group_segment_fixed_size: 0
    .kernarg_segment_align: 8
    .kernarg_segment_size: 120
    .language:       OpenCL C
    .language_version:
      - 2
      - 0
    .max_flat_workgroup_size: 256
    .name:           _ZN7rocprim17ROCPRIM_400000_NS6detail17trampoline_kernelINS0_14default_configENS1_25partition_config_selectorILNS1_17partition_subalgoE8ElNS0_10empty_typeEbEEZZNS1_14partition_implILS5_8ELb0ES3_jPlPS6_PKS6_NS0_5tupleIJS9_S6_EEENSD_IJSA_SA_EEENS0_18inequality_wrapperIZN2at6native12_GLOBAL__N_124unique_dim_cuda_templateIN3c108BFloat16EEESt5tupleIJNSH_6TensorESO_SO_EERKSO_lbbbEUlllE0_EEPmJS6_EEE10hipError_tPvRmT3_T4_T5_T6_T7_T9_mT8_P12ihipStream_tbDpT10_ENKUlT_T0_E_clISt17integral_constantIbLb1EES1D_IbLb0EEEEDaS19_S1A_EUlS19_E_NS1_11comp_targetILNS1_3genE2ELNS1_11target_archE906ELNS1_3gpuE6ELNS1_3repE0EEENS1_30default_config_static_selectorELNS0_4arch9wavefront6targetE1EEEvT1_
    .private_segment_fixed_size: 0
    .sgpr_count:     6
    .sgpr_spill_count: 0
    .symbol:         _ZN7rocprim17ROCPRIM_400000_NS6detail17trampoline_kernelINS0_14default_configENS1_25partition_config_selectorILNS1_17partition_subalgoE8ElNS0_10empty_typeEbEEZZNS1_14partition_implILS5_8ELb0ES3_jPlPS6_PKS6_NS0_5tupleIJS9_S6_EEENSD_IJSA_SA_EEENS0_18inequality_wrapperIZN2at6native12_GLOBAL__N_124unique_dim_cuda_templateIN3c108BFloat16EEESt5tupleIJNSH_6TensorESO_SO_EERKSO_lbbbEUlllE0_EEPmJS6_EEE10hipError_tPvRmT3_T4_T5_T6_T7_T9_mT8_P12ihipStream_tbDpT10_ENKUlT_T0_E_clISt17integral_constantIbLb1EES1D_IbLb0EEEEDaS19_S1A_EUlS19_E_NS1_11comp_targetILNS1_3genE2ELNS1_11target_archE906ELNS1_3gpuE6ELNS1_3repE0EEENS1_30default_config_static_selectorELNS0_4arch9wavefront6targetE1EEEvT1_.kd
    .uniform_work_group_size: 1
    .uses_dynamic_stack: false
    .vgpr_count:     0
    .vgpr_spill_count: 0
    .wavefront_size: 64
  - .agpr_count:     0
    .args:
      - .offset:         0
        .size:           120
        .value_kind:     by_value
    .group_segment_fixed_size: 0
    .kernarg_segment_align: 8
    .kernarg_segment_size: 120
    .language:       OpenCL C
    .language_version:
      - 2
      - 0
    .max_flat_workgroup_size: 384
    .name:           _ZN7rocprim17ROCPRIM_400000_NS6detail17trampoline_kernelINS0_14default_configENS1_25partition_config_selectorILNS1_17partition_subalgoE8ElNS0_10empty_typeEbEEZZNS1_14partition_implILS5_8ELb0ES3_jPlPS6_PKS6_NS0_5tupleIJS9_S6_EEENSD_IJSA_SA_EEENS0_18inequality_wrapperIZN2at6native12_GLOBAL__N_124unique_dim_cuda_templateIN3c108BFloat16EEESt5tupleIJNSH_6TensorESO_SO_EERKSO_lbbbEUlllE0_EEPmJS6_EEE10hipError_tPvRmT3_T4_T5_T6_T7_T9_mT8_P12ihipStream_tbDpT10_ENKUlT_T0_E_clISt17integral_constantIbLb1EES1D_IbLb0EEEEDaS19_S1A_EUlS19_E_NS1_11comp_targetILNS1_3genE10ELNS1_11target_archE1200ELNS1_3gpuE4ELNS1_3repE0EEENS1_30default_config_static_selectorELNS0_4arch9wavefront6targetE1EEEvT1_
    .private_segment_fixed_size: 0
    .sgpr_count:     6
    .sgpr_spill_count: 0
    .symbol:         _ZN7rocprim17ROCPRIM_400000_NS6detail17trampoline_kernelINS0_14default_configENS1_25partition_config_selectorILNS1_17partition_subalgoE8ElNS0_10empty_typeEbEEZZNS1_14partition_implILS5_8ELb0ES3_jPlPS6_PKS6_NS0_5tupleIJS9_S6_EEENSD_IJSA_SA_EEENS0_18inequality_wrapperIZN2at6native12_GLOBAL__N_124unique_dim_cuda_templateIN3c108BFloat16EEESt5tupleIJNSH_6TensorESO_SO_EERKSO_lbbbEUlllE0_EEPmJS6_EEE10hipError_tPvRmT3_T4_T5_T6_T7_T9_mT8_P12ihipStream_tbDpT10_ENKUlT_T0_E_clISt17integral_constantIbLb1EES1D_IbLb0EEEEDaS19_S1A_EUlS19_E_NS1_11comp_targetILNS1_3genE10ELNS1_11target_archE1200ELNS1_3gpuE4ELNS1_3repE0EEENS1_30default_config_static_selectorELNS0_4arch9wavefront6targetE1EEEvT1_.kd
    .uniform_work_group_size: 1
    .uses_dynamic_stack: false
    .vgpr_count:     0
    .vgpr_spill_count: 0
    .wavefront_size: 64
  - .agpr_count:     0
    .args:
      - .offset:         0
        .size:           120
        .value_kind:     by_value
    .group_segment_fixed_size: 0
    .kernarg_segment_align: 8
    .kernarg_segment_size: 120
    .language:       OpenCL C
    .language_version:
      - 2
      - 0
    .max_flat_workgroup_size: 512
    .name:           _ZN7rocprim17ROCPRIM_400000_NS6detail17trampoline_kernelINS0_14default_configENS1_25partition_config_selectorILNS1_17partition_subalgoE8ElNS0_10empty_typeEbEEZZNS1_14partition_implILS5_8ELb0ES3_jPlPS6_PKS6_NS0_5tupleIJS9_S6_EEENSD_IJSA_SA_EEENS0_18inequality_wrapperIZN2at6native12_GLOBAL__N_124unique_dim_cuda_templateIN3c108BFloat16EEESt5tupleIJNSH_6TensorESO_SO_EERKSO_lbbbEUlllE0_EEPmJS6_EEE10hipError_tPvRmT3_T4_T5_T6_T7_T9_mT8_P12ihipStream_tbDpT10_ENKUlT_T0_E_clISt17integral_constantIbLb1EES1D_IbLb0EEEEDaS19_S1A_EUlS19_E_NS1_11comp_targetILNS1_3genE9ELNS1_11target_archE1100ELNS1_3gpuE3ELNS1_3repE0EEENS1_30default_config_static_selectorELNS0_4arch9wavefront6targetE1EEEvT1_
    .private_segment_fixed_size: 0
    .sgpr_count:     6
    .sgpr_spill_count: 0
    .symbol:         _ZN7rocprim17ROCPRIM_400000_NS6detail17trampoline_kernelINS0_14default_configENS1_25partition_config_selectorILNS1_17partition_subalgoE8ElNS0_10empty_typeEbEEZZNS1_14partition_implILS5_8ELb0ES3_jPlPS6_PKS6_NS0_5tupleIJS9_S6_EEENSD_IJSA_SA_EEENS0_18inequality_wrapperIZN2at6native12_GLOBAL__N_124unique_dim_cuda_templateIN3c108BFloat16EEESt5tupleIJNSH_6TensorESO_SO_EERKSO_lbbbEUlllE0_EEPmJS6_EEE10hipError_tPvRmT3_T4_T5_T6_T7_T9_mT8_P12ihipStream_tbDpT10_ENKUlT_T0_E_clISt17integral_constantIbLb1EES1D_IbLb0EEEEDaS19_S1A_EUlS19_E_NS1_11comp_targetILNS1_3genE9ELNS1_11target_archE1100ELNS1_3gpuE3ELNS1_3repE0EEENS1_30default_config_static_selectorELNS0_4arch9wavefront6targetE1EEEvT1_.kd
    .uniform_work_group_size: 1
    .uses_dynamic_stack: false
    .vgpr_count:     0
    .vgpr_spill_count: 0
    .wavefront_size: 64
  - .agpr_count:     0
    .args:
      - .offset:         0
        .size:           120
        .value_kind:     by_value
    .group_segment_fixed_size: 0
    .kernarg_segment_align: 8
    .kernarg_segment_size: 120
    .language:       OpenCL C
    .language_version:
      - 2
      - 0
    .max_flat_workgroup_size: 512
    .name:           _ZN7rocprim17ROCPRIM_400000_NS6detail17trampoline_kernelINS0_14default_configENS1_25partition_config_selectorILNS1_17partition_subalgoE8ElNS0_10empty_typeEbEEZZNS1_14partition_implILS5_8ELb0ES3_jPlPS6_PKS6_NS0_5tupleIJS9_S6_EEENSD_IJSA_SA_EEENS0_18inequality_wrapperIZN2at6native12_GLOBAL__N_124unique_dim_cuda_templateIN3c108BFloat16EEESt5tupleIJNSH_6TensorESO_SO_EERKSO_lbbbEUlllE0_EEPmJS6_EEE10hipError_tPvRmT3_T4_T5_T6_T7_T9_mT8_P12ihipStream_tbDpT10_ENKUlT_T0_E_clISt17integral_constantIbLb1EES1D_IbLb0EEEEDaS19_S1A_EUlS19_E_NS1_11comp_targetILNS1_3genE8ELNS1_11target_archE1030ELNS1_3gpuE2ELNS1_3repE0EEENS1_30default_config_static_selectorELNS0_4arch9wavefront6targetE1EEEvT1_
    .private_segment_fixed_size: 0
    .sgpr_count:     6
    .sgpr_spill_count: 0
    .symbol:         _ZN7rocprim17ROCPRIM_400000_NS6detail17trampoline_kernelINS0_14default_configENS1_25partition_config_selectorILNS1_17partition_subalgoE8ElNS0_10empty_typeEbEEZZNS1_14partition_implILS5_8ELb0ES3_jPlPS6_PKS6_NS0_5tupleIJS9_S6_EEENSD_IJSA_SA_EEENS0_18inequality_wrapperIZN2at6native12_GLOBAL__N_124unique_dim_cuda_templateIN3c108BFloat16EEESt5tupleIJNSH_6TensorESO_SO_EERKSO_lbbbEUlllE0_EEPmJS6_EEE10hipError_tPvRmT3_T4_T5_T6_T7_T9_mT8_P12ihipStream_tbDpT10_ENKUlT_T0_E_clISt17integral_constantIbLb1EES1D_IbLb0EEEEDaS19_S1A_EUlS19_E_NS1_11comp_targetILNS1_3genE8ELNS1_11target_archE1030ELNS1_3gpuE2ELNS1_3repE0EEENS1_30default_config_static_selectorELNS0_4arch9wavefront6targetE1EEEvT1_.kd
    .uniform_work_group_size: 1
    .uses_dynamic_stack: false
    .vgpr_count:     0
    .vgpr_spill_count: 0
    .wavefront_size: 64
  - .agpr_count:     0
    .args:
      - .offset:         0
        .size:           136
        .value_kind:     by_value
    .group_segment_fixed_size: 28680
    .kernarg_segment_align: 8
    .kernarg_segment_size: 136
    .language:       OpenCL C
    .language_version:
      - 2
      - 0
    .max_flat_workgroup_size: 512
    .name:           _ZN7rocprim17ROCPRIM_400000_NS6detail17trampoline_kernelINS0_14default_configENS1_25partition_config_selectorILNS1_17partition_subalgoE8ElNS0_10empty_typeEbEEZZNS1_14partition_implILS5_8ELb0ES3_jPlPS6_PKS6_NS0_5tupleIJS9_S6_EEENSD_IJSA_SA_EEENS0_18inequality_wrapperIZN2at6native12_GLOBAL__N_124unique_dim_cuda_templateIN3c108BFloat16EEESt5tupleIJNSH_6TensorESO_SO_EERKSO_lbbbEUlllE0_EEPmJS6_EEE10hipError_tPvRmT3_T4_T5_T6_T7_T9_mT8_P12ihipStream_tbDpT10_ENKUlT_T0_E_clISt17integral_constantIbLb0EES1D_IbLb1EEEEDaS19_S1A_EUlS19_E_NS1_11comp_targetILNS1_3genE0ELNS1_11target_archE4294967295ELNS1_3gpuE0ELNS1_3repE0EEENS1_30default_config_static_selectorELNS0_4arch9wavefront6targetE1EEEvT1_
    .private_segment_fixed_size: 0
    .sgpr_count:     60
    .sgpr_spill_count: 0
    .symbol:         _ZN7rocprim17ROCPRIM_400000_NS6detail17trampoline_kernelINS0_14default_configENS1_25partition_config_selectorILNS1_17partition_subalgoE8ElNS0_10empty_typeEbEEZZNS1_14partition_implILS5_8ELb0ES3_jPlPS6_PKS6_NS0_5tupleIJS9_S6_EEENSD_IJSA_SA_EEENS0_18inequality_wrapperIZN2at6native12_GLOBAL__N_124unique_dim_cuda_templateIN3c108BFloat16EEESt5tupleIJNSH_6TensorESO_SO_EERKSO_lbbbEUlllE0_EEPmJS6_EEE10hipError_tPvRmT3_T4_T5_T6_T7_T9_mT8_P12ihipStream_tbDpT10_ENKUlT_T0_E_clISt17integral_constantIbLb0EES1D_IbLb1EEEEDaS19_S1A_EUlS19_E_NS1_11comp_targetILNS1_3genE0ELNS1_11target_archE4294967295ELNS1_3gpuE0ELNS1_3repE0EEENS1_30default_config_static_selectorELNS0_4arch9wavefront6targetE1EEEvT1_.kd
    .uniform_work_group_size: 1
    .uses_dynamic_stack: false
    .vgpr_count:     58
    .vgpr_spill_count: 0
    .wavefront_size: 64
  - .agpr_count:     0
    .args:
      - .offset:         0
        .size:           136
        .value_kind:     by_value
    .group_segment_fixed_size: 0
    .kernarg_segment_align: 8
    .kernarg_segment_size: 136
    .language:       OpenCL C
    .language_version:
      - 2
      - 0
    .max_flat_workgroup_size: 512
    .name:           _ZN7rocprim17ROCPRIM_400000_NS6detail17trampoline_kernelINS0_14default_configENS1_25partition_config_selectorILNS1_17partition_subalgoE8ElNS0_10empty_typeEbEEZZNS1_14partition_implILS5_8ELb0ES3_jPlPS6_PKS6_NS0_5tupleIJS9_S6_EEENSD_IJSA_SA_EEENS0_18inequality_wrapperIZN2at6native12_GLOBAL__N_124unique_dim_cuda_templateIN3c108BFloat16EEESt5tupleIJNSH_6TensorESO_SO_EERKSO_lbbbEUlllE0_EEPmJS6_EEE10hipError_tPvRmT3_T4_T5_T6_T7_T9_mT8_P12ihipStream_tbDpT10_ENKUlT_T0_E_clISt17integral_constantIbLb0EES1D_IbLb1EEEEDaS19_S1A_EUlS19_E_NS1_11comp_targetILNS1_3genE5ELNS1_11target_archE942ELNS1_3gpuE9ELNS1_3repE0EEENS1_30default_config_static_selectorELNS0_4arch9wavefront6targetE1EEEvT1_
    .private_segment_fixed_size: 0
    .sgpr_count:     6
    .sgpr_spill_count: 0
    .symbol:         _ZN7rocprim17ROCPRIM_400000_NS6detail17trampoline_kernelINS0_14default_configENS1_25partition_config_selectorILNS1_17partition_subalgoE8ElNS0_10empty_typeEbEEZZNS1_14partition_implILS5_8ELb0ES3_jPlPS6_PKS6_NS0_5tupleIJS9_S6_EEENSD_IJSA_SA_EEENS0_18inequality_wrapperIZN2at6native12_GLOBAL__N_124unique_dim_cuda_templateIN3c108BFloat16EEESt5tupleIJNSH_6TensorESO_SO_EERKSO_lbbbEUlllE0_EEPmJS6_EEE10hipError_tPvRmT3_T4_T5_T6_T7_T9_mT8_P12ihipStream_tbDpT10_ENKUlT_T0_E_clISt17integral_constantIbLb0EES1D_IbLb1EEEEDaS19_S1A_EUlS19_E_NS1_11comp_targetILNS1_3genE5ELNS1_11target_archE942ELNS1_3gpuE9ELNS1_3repE0EEENS1_30default_config_static_selectorELNS0_4arch9wavefront6targetE1EEEvT1_.kd
    .uniform_work_group_size: 1
    .uses_dynamic_stack: false
    .vgpr_count:     0
    .vgpr_spill_count: 0
    .wavefront_size: 64
  - .agpr_count:     0
    .args:
      - .offset:         0
        .size:           136
        .value_kind:     by_value
    .group_segment_fixed_size: 0
    .kernarg_segment_align: 8
    .kernarg_segment_size: 136
    .language:       OpenCL C
    .language_version:
      - 2
      - 0
    .max_flat_workgroup_size: 256
    .name:           _ZN7rocprim17ROCPRIM_400000_NS6detail17trampoline_kernelINS0_14default_configENS1_25partition_config_selectorILNS1_17partition_subalgoE8ElNS0_10empty_typeEbEEZZNS1_14partition_implILS5_8ELb0ES3_jPlPS6_PKS6_NS0_5tupleIJS9_S6_EEENSD_IJSA_SA_EEENS0_18inequality_wrapperIZN2at6native12_GLOBAL__N_124unique_dim_cuda_templateIN3c108BFloat16EEESt5tupleIJNSH_6TensorESO_SO_EERKSO_lbbbEUlllE0_EEPmJS6_EEE10hipError_tPvRmT3_T4_T5_T6_T7_T9_mT8_P12ihipStream_tbDpT10_ENKUlT_T0_E_clISt17integral_constantIbLb0EES1D_IbLb1EEEEDaS19_S1A_EUlS19_E_NS1_11comp_targetILNS1_3genE4ELNS1_11target_archE910ELNS1_3gpuE8ELNS1_3repE0EEENS1_30default_config_static_selectorELNS0_4arch9wavefront6targetE1EEEvT1_
    .private_segment_fixed_size: 0
    .sgpr_count:     6
    .sgpr_spill_count: 0
    .symbol:         _ZN7rocprim17ROCPRIM_400000_NS6detail17trampoline_kernelINS0_14default_configENS1_25partition_config_selectorILNS1_17partition_subalgoE8ElNS0_10empty_typeEbEEZZNS1_14partition_implILS5_8ELb0ES3_jPlPS6_PKS6_NS0_5tupleIJS9_S6_EEENSD_IJSA_SA_EEENS0_18inequality_wrapperIZN2at6native12_GLOBAL__N_124unique_dim_cuda_templateIN3c108BFloat16EEESt5tupleIJNSH_6TensorESO_SO_EERKSO_lbbbEUlllE0_EEPmJS6_EEE10hipError_tPvRmT3_T4_T5_T6_T7_T9_mT8_P12ihipStream_tbDpT10_ENKUlT_T0_E_clISt17integral_constantIbLb0EES1D_IbLb1EEEEDaS19_S1A_EUlS19_E_NS1_11comp_targetILNS1_3genE4ELNS1_11target_archE910ELNS1_3gpuE8ELNS1_3repE0EEENS1_30default_config_static_selectorELNS0_4arch9wavefront6targetE1EEEvT1_.kd
    .uniform_work_group_size: 1
    .uses_dynamic_stack: false
    .vgpr_count:     0
    .vgpr_spill_count: 0
    .wavefront_size: 64
  - .agpr_count:     0
    .args:
      - .offset:         0
        .size:           136
        .value_kind:     by_value
    .group_segment_fixed_size: 0
    .kernarg_segment_align: 8
    .kernarg_segment_size: 136
    .language:       OpenCL C
    .language_version:
      - 2
      - 0
    .max_flat_workgroup_size: 512
    .name:           _ZN7rocprim17ROCPRIM_400000_NS6detail17trampoline_kernelINS0_14default_configENS1_25partition_config_selectorILNS1_17partition_subalgoE8ElNS0_10empty_typeEbEEZZNS1_14partition_implILS5_8ELb0ES3_jPlPS6_PKS6_NS0_5tupleIJS9_S6_EEENSD_IJSA_SA_EEENS0_18inequality_wrapperIZN2at6native12_GLOBAL__N_124unique_dim_cuda_templateIN3c108BFloat16EEESt5tupleIJNSH_6TensorESO_SO_EERKSO_lbbbEUlllE0_EEPmJS6_EEE10hipError_tPvRmT3_T4_T5_T6_T7_T9_mT8_P12ihipStream_tbDpT10_ENKUlT_T0_E_clISt17integral_constantIbLb0EES1D_IbLb1EEEEDaS19_S1A_EUlS19_E_NS1_11comp_targetILNS1_3genE3ELNS1_11target_archE908ELNS1_3gpuE7ELNS1_3repE0EEENS1_30default_config_static_selectorELNS0_4arch9wavefront6targetE1EEEvT1_
    .private_segment_fixed_size: 0
    .sgpr_count:     6
    .sgpr_spill_count: 0
    .symbol:         _ZN7rocprim17ROCPRIM_400000_NS6detail17trampoline_kernelINS0_14default_configENS1_25partition_config_selectorILNS1_17partition_subalgoE8ElNS0_10empty_typeEbEEZZNS1_14partition_implILS5_8ELb0ES3_jPlPS6_PKS6_NS0_5tupleIJS9_S6_EEENSD_IJSA_SA_EEENS0_18inequality_wrapperIZN2at6native12_GLOBAL__N_124unique_dim_cuda_templateIN3c108BFloat16EEESt5tupleIJNSH_6TensorESO_SO_EERKSO_lbbbEUlllE0_EEPmJS6_EEE10hipError_tPvRmT3_T4_T5_T6_T7_T9_mT8_P12ihipStream_tbDpT10_ENKUlT_T0_E_clISt17integral_constantIbLb0EES1D_IbLb1EEEEDaS19_S1A_EUlS19_E_NS1_11comp_targetILNS1_3genE3ELNS1_11target_archE908ELNS1_3gpuE7ELNS1_3repE0EEENS1_30default_config_static_selectorELNS0_4arch9wavefront6targetE1EEEvT1_.kd
    .uniform_work_group_size: 1
    .uses_dynamic_stack: false
    .vgpr_count:     0
    .vgpr_spill_count: 0
    .wavefront_size: 64
  - .agpr_count:     0
    .args:
      - .offset:         0
        .size:           136
        .value_kind:     by_value
    .group_segment_fixed_size: 0
    .kernarg_segment_align: 8
    .kernarg_segment_size: 136
    .language:       OpenCL C
    .language_version:
      - 2
      - 0
    .max_flat_workgroup_size: 256
    .name:           _ZN7rocprim17ROCPRIM_400000_NS6detail17trampoline_kernelINS0_14default_configENS1_25partition_config_selectorILNS1_17partition_subalgoE8ElNS0_10empty_typeEbEEZZNS1_14partition_implILS5_8ELb0ES3_jPlPS6_PKS6_NS0_5tupleIJS9_S6_EEENSD_IJSA_SA_EEENS0_18inequality_wrapperIZN2at6native12_GLOBAL__N_124unique_dim_cuda_templateIN3c108BFloat16EEESt5tupleIJNSH_6TensorESO_SO_EERKSO_lbbbEUlllE0_EEPmJS6_EEE10hipError_tPvRmT3_T4_T5_T6_T7_T9_mT8_P12ihipStream_tbDpT10_ENKUlT_T0_E_clISt17integral_constantIbLb0EES1D_IbLb1EEEEDaS19_S1A_EUlS19_E_NS1_11comp_targetILNS1_3genE2ELNS1_11target_archE906ELNS1_3gpuE6ELNS1_3repE0EEENS1_30default_config_static_selectorELNS0_4arch9wavefront6targetE1EEEvT1_
    .private_segment_fixed_size: 0
    .sgpr_count:     6
    .sgpr_spill_count: 0
    .symbol:         _ZN7rocprim17ROCPRIM_400000_NS6detail17trampoline_kernelINS0_14default_configENS1_25partition_config_selectorILNS1_17partition_subalgoE8ElNS0_10empty_typeEbEEZZNS1_14partition_implILS5_8ELb0ES3_jPlPS6_PKS6_NS0_5tupleIJS9_S6_EEENSD_IJSA_SA_EEENS0_18inequality_wrapperIZN2at6native12_GLOBAL__N_124unique_dim_cuda_templateIN3c108BFloat16EEESt5tupleIJNSH_6TensorESO_SO_EERKSO_lbbbEUlllE0_EEPmJS6_EEE10hipError_tPvRmT3_T4_T5_T6_T7_T9_mT8_P12ihipStream_tbDpT10_ENKUlT_T0_E_clISt17integral_constantIbLb0EES1D_IbLb1EEEEDaS19_S1A_EUlS19_E_NS1_11comp_targetILNS1_3genE2ELNS1_11target_archE906ELNS1_3gpuE6ELNS1_3repE0EEENS1_30default_config_static_selectorELNS0_4arch9wavefront6targetE1EEEvT1_.kd
    .uniform_work_group_size: 1
    .uses_dynamic_stack: false
    .vgpr_count:     0
    .vgpr_spill_count: 0
    .wavefront_size: 64
  - .agpr_count:     0
    .args:
      - .offset:         0
        .size:           136
        .value_kind:     by_value
    .group_segment_fixed_size: 0
    .kernarg_segment_align: 8
    .kernarg_segment_size: 136
    .language:       OpenCL C
    .language_version:
      - 2
      - 0
    .max_flat_workgroup_size: 384
    .name:           _ZN7rocprim17ROCPRIM_400000_NS6detail17trampoline_kernelINS0_14default_configENS1_25partition_config_selectorILNS1_17partition_subalgoE8ElNS0_10empty_typeEbEEZZNS1_14partition_implILS5_8ELb0ES3_jPlPS6_PKS6_NS0_5tupleIJS9_S6_EEENSD_IJSA_SA_EEENS0_18inequality_wrapperIZN2at6native12_GLOBAL__N_124unique_dim_cuda_templateIN3c108BFloat16EEESt5tupleIJNSH_6TensorESO_SO_EERKSO_lbbbEUlllE0_EEPmJS6_EEE10hipError_tPvRmT3_T4_T5_T6_T7_T9_mT8_P12ihipStream_tbDpT10_ENKUlT_T0_E_clISt17integral_constantIbLb0EES1D_IbLb1EEEEDaS19_S1A_EUlS19_E_NS1_11comp_targetILNS1_3genE10ELNS1_11target_archE1200ELNS1_3gpuE4ELNS1_3repE0EEENS1_30default_config_static_selectorELNS0_4arch9wavefront6targetE1EEEvT1_
    .private_segment_fixed_size: 0
    .sgpr_count:     6
    .sgpr_spill_count: 0
    .symbol:         _ZN7rocprim17ROCPRIM_400000_NS6detail17trampoline_kernelINS0_14default_configENS1_25partition_config_selectorILNS1_17partition_subalgoE8ElNS0_10empty_typeEbEEZZNS1_14partition_implILS5_8ELb0ES3_jPlPS6_PKS6_NS0_5tupleIJS9_S6_EEENSD_IJSA_SA_EEENS0_18inequality_wrapperIZN2at6native12_GLOBAL__N_124unique_dim_cuda_templateIN3c108BFloat16EEESt5tupleIJNSH_6TensorESO_SO_EERKSO_lbbbEUlllE0_EEPmJS6_EEE10hipError_tPvRmT3_T4_T5_T6_T7_T9_mT8_P12ihipStream_tbDpT10_ENKUlT_T0_E_clISt17integral_constantIbLb0EES1D_IbLb1EEEEDaS19_S1A_EUlS19_E_NS1_11comp_targetILNS1_3genE10ELNS1_11target_archE1200ELNS1_3gpuE4ELNS1_3repE0EEENS1_30default_config_static_selectorELNS0_4arch9wavefront6targetE1EEEvT1_.kd
    .uniform_work_group_size: 1
    .uses_dynamic_stack: false
    .vgpr_count:     0
    .vgpr_spill_count: 0
    .wavefront_size: 64
  - .agpr_count:     0
    .args:
      - .offset:         0
        .size:           136
        .value_kind:     by_value
    .group_segment_fixed_size: 0
    .kernarg_segment_align: 8
    .kernarg_segment_size: 136
    .language:       OpenCL C
    .language_version:
      - 2
      - 0
    .max_flat_workgroup_size: 512
    .name:           _ZN7rocprim17ROCPRIM_400000_NS6detail17trampoline_kernelINS0_14default_configENS1_25partition_config_selectorILNS1_17partition_subalgoE8ElNS0_10empty_typeEbEEZZNS1_14partition_implILS5_8ELb0ES3_jPlPS6_PKS6_NS0_5tupleIJS9_S6_EEENSD_IJSA_SA_EEENS0_18inequality_wrapperIZN2at6native12_GLOBAL__N_124unique_dim_cuda_templateIN3c108BFloat16EEESt5tupleIJNSH_6TensorESO_SO_EERKSO_lbbbEUlllE0_EEPmJS6_EEE10hipError_tPvRmT3_T4_T5_T6_T7_T9_mT8_P12ihipStream_tbDpT10_ENKUlT_T0_E_clISt17integral_constantIbLb0EES1D_IbLb1EEEEDaS19_S1A_EUlS19_E_NS1_11comp_targetILNS1_3genE9ELNS1_11target_archE1100ELNS1_3gpuE3ELNS1_3repE0EEENS1_30default_config_static_selectorELNS0_4arch9wavefront6targetE1EEEvT1_
    .private_segment_fixed_size: 0
    .sgpr_count:     6
    .sgpr_spill_count: 0
    .symbol:         _ZN7rocprim17ROCPRIM_400000_NS6detail17trampoline_kernelINS0_14default_configENS1_25partition_config_selectorILNS1_17partition_subalgoE8ElNS0_10empty_typeEbEEZZNS1_14partition_implILS5_8ELb0ES3_jPlPS6_PKS6_NS0_5tupleIJS9_S6_EEENSD_IJSA_SA_EEENS0_18inequality_wrapperIZN2at6native12_GLOBAL__N_124unique_dim_cuda_templateIN3c108BFloat16EEESt5tupleIJNSH_6TensorESO_SO_EERKSO_lbbbEUlllE0_EEPmJS6_EEE10hipError_tPvRmT3_T4_T5_T6_T7_T9_mT8_P12ihipStream_tbDpT10_ENKUlT_T0_E_clISt17integral_constantIbLb0EES1D_IbLb1EEEEDaS19_S1A_EUlS19_E_NS1_11comp_targetILNS1_3genE9ELNS1_11target_archE1100ELNS1_3gpuE3ELNS1_3repE0EEENS1_30default_config_static_selectorELNS0_4arch9wavefront6targetE1EEEvT1_.kd
    .uniform_work_group_size: 1
    .uses_dynamic_stack: false
    .vgpr_count:     0
    .vgpr_spill_count: 0
    .wavefront_size: 64
  - .agpr_count:     0
    .args:
      - .offset:         0
        .size:           136
        .value_kind:     by_value
    .group_segment_fixed_size: 0
    .kernarg_segment_align: 8
    .kernarg_segment_size: 136
    .language:       OpenCL C
    .language_version:
      - 2
      - 0
    .max_flat_workgroup_size: 512
    .name:           _ZN7rocprim17ROCPRIM_400000_NS6detail17trampoline_kernelINS0_14default_configENS1_25partition_config_selectorILNS1_17partition_subalgoE8ElNS0_10empty_typeEbEEZZNS1_14partition_implILS5_8ELb0ES3_jPlPS6_PKS6_NS0_5tupleIJS9_S6_EEENSD_IJSA_SA_EEENS0_18inequality_wrapperIZN2at6native12_GLOBAL__N_124unique_dim_cuda_templateIN3c108BFloat16EEESt5tupleIJNSH_6TensorESO_SO_EERKSO_lbbbEUlllE0_EEPmJS6_EEE10hipError_tPvRmT3_T4_T5_T6_T7_T9_mT8_P12ihipStream_tbDpT10_ENKUlT_T0_E_clISt17integral_constantIbLb0EES1D_IbLb1EEEEDaS19_S1A_EUlS19_E_NS1_11comp_targetILNS1_3genE8ELNS1_11target_archE1030ELNS1_3gpuE2ELNS1_3repE0EEENS1_30default_config_static_selectorELNS0_4arch9wavefront6targetE1EEEvT1_
    .private_segment_fixed_size: 0
    .sgpr_count:     6
    .sgpr_spill_count: 0
    .symbol:         _ZN7rocprim17ROCPRIM_400000_NS6detail17trampoline_kernelINS0_14default_configENS1_25partition_config_selectorILNS1_17partition_subalgoE8ElNS0_10empty_typeEbEEZZNS1_14partition_implILS5_8ELb0ES3_jPlPS6_PKS6_NS0_5tupleIJS9_S6_EEENSD_IJSA_SA_EEENS0_18inequality_wrapperIZN2at6native12_GLOBAL__N_124unique_dim_cuda_templateIN3c108BFloat16EEESt5tupleIJNSH_6TensorESO_SO_EERKSO_lbbbEUlllE0_EEPmJS6_EEE10hipError_tPvRmT3_T4_T5_T6_T7_T9_mT8_P12ihipStream_tbDpT10_ENKUlT_T0_E_clISt17integral_constantIbLb0EES1D_IbLb1EEEEDaS19_S1A_EUlS19_E_NS1_11comp_targetILNS1_3genE8ELNS1_11target_archE1030ELNS1_3gpuE2ELNS1_3repE0EEENS1_30default_config_static_selectorELNS0_4arch9wavefront6targetE1EEEvT1_.kd
    .uniform_work_group_size: 1
    .uses_dynamic_stack: false
    .vgpr_count:     0
    .vgpr_spill_count: 0
    .wavefront_size: 64
  - .agpr_count:     0
    .args:
      - .offset:         0
        .size:           120
        .value_kind:     by_value
    .group_segment_fixed_size: 5128
    .kernarg_segment_align: 8
    .kernarg_segment_size: 120
    .language:       OpenCL C
    .language_version:
      - 2
      - 0
    .max_flat_workgroup_size: 128
    .name:           _ZN7rocprim17ROCPRIM_400000_NS6detail17trampoline_kernelINS0_14default_configENS1_25partition_config_selectorILNS1_17partition_subalgoE9EllbEEZZNS1_14partition_implILS5_9ELb0ES3_jPlS8_PNS0_10empty_typeENS0_5tupleIJS8_S9_EEENSB_IJS8_SA_EEENS0_18inequality_wrapperIZN2at6native12_GLOBAL__N_124unique_dim_cuda_templateIN3c108BFloat16EEESt5tupleIJNSF_6TensorESM_SM_EERKSM_lbbbEUlllE0_EEPmJS9_EEE10hipError_tPvRmT3_T4_T5_T6_T7_T9_mT8_P12ihipStream_tbDpT10_ENKUlT_T0_E_clISt17integral_constantIbLb0EES1C_EEDaS17_S18_EUlS17_E_NS1_11comp_targetILNS1_3genE0ELNS1_11target_archE4294967295ELNS1_3gpuE0ELNS1_3repE0EEENS1_30default_config_static_selectorELNS0_4arch9wavefront6targetE1EEEvT1_
    .private_segment_fixed_size: 0
    .sgpr_count:     52
    .sgpr_spill_count: 0
    .symbol:         _ZN7rocprim17ROCPRIM_400000_NS6detail17trampoline_kernelINS0_14default_configENS1_25partition_config_selectorILNS1_17partition_subalgoE9EllbEEZZNS1_14partition_implILS5_9ELb0ES3_jPlS8_PNS0_10empty_typeENS0_5tupleIJS8_S9_EEENSB_IJS8_SA_EEENS0_18inequality_wrapperIZN2at6native12_GLOBAL__N_124unique_dim_cuda_templateIN3c108BFloat16EEESt5tupleIJNSF_6TensorESM_SM_EERKSM_lbbbEUlllE0_EEPmJS9_EEE10hipError_tPvRmT3_T4_T5_T6_T7_T9_mT8_P12ihipStream_tbDpT10_ENKUlT_T0_E_clISt17integral_constantIbLb0EES1C_EEDaS17_S18_EUlS17_E_NS1_11comp_targetILNS1_3genE0ELNS1_11target_archE4294967295ELNS1_3gpuE0ELNS1_3repE0EEENS1_30default_config_static_selectorELNS0_4arch9wavefront6targetE1EEEvT1_.kd
    .uniform_work_group_size: 1
    .uses_dynamic_stack: false
    .vgpr_count:     60
    .vgpr_spill_count: 0
    .wavefront_size: 64
  - .agpr_count:     0
    .args:
      - .offset:         0
        .size:           120
        .value_kind:     by_value
    .group_segment_fixed_size: 0
    .kernarg_segment_align: 8
    .kernarg_segment_size: 120
    .language:       OpenCL C
    .language_version:
      - 2
      - 0
    .max_flat_workgroup_size: 512
    .name:           _ZN7rocprim17ROCPRIM_400000_NS6detail17trampoline_kernelINS0_14default_configENS1_25partition_config_selectorILNS1_17partition_subalgoE9EllbEEZZNS1_14partition_implILS5_9ELb0ES3_jPlS8_PNS0_10empty_typeENS0_5tupleIJS8_S9_EEENSB_IJS8_SA_EEENS0_18inequality_wrapperIZN2at6native12_GLOBAL__N_124unique_dim_cuda_templateIN3c108BFloat16EEESt5tupleIJNSF_6TensorESM_SM_EERKSM_lbbbEUlllE0_EEPmJS9_EEE10hipError_tPvRmT3_T4_T5_T6_T7_T9_mT8_P12ihipStream_tbDpT10_ENKUlT_T0_E_clISt17integral_constantIbLb0EES1C_EEDaS17_S18_EUlS17_E_NS1_11comp_targetILNS1_3genE5ELNS1_11target_archE942ELNS1_3gpuE9ELNS1_3repE0EEENS1_30default_config_static_selectorELNS0_4arch9wavefront6targetE1EEEvT1_
    .private_segment_fixed_size: 0
    .sgpr_count:     6
    .sgpr_spill_count: 0
    .symbol:         _ZN7rocprim17ROCPRIM_400000_NS6detail17trampoline_kernelINS0_14default_configENS1_25partition_config_selectorILNS1_17partition_subalgoE9EllbEEZZNS1_14partition_implILS5_9ELb0ES3_jPlS8_PNS0_10empty_typeENS0_5tupleIJS8_S9_EEENSB_IJS8_SA_EEENS0_18inequality_wrapperIZN2at6native12_GLOBAL__N_124unique_dim_cuda_templateIN3c108BFloat16EEESt5tupleIJNSF_6TensorESM_SM_EERKSM_lbbbEUlllE0_EEPmJS9_EEE10hipError_tPvRmT3_T4_T5_T6_T7_T9_mT8_P12ihipStream_tbDpT10_ENKUlT_T0_E_clISt17integral_constantIbLb0EES1C_EEDaS17_S18_EUlS17_E_NS1_11comp_targetILNS1_3genE5ELNS1_11target_archE942ELNS1_3gpuE9ELNS1_3repE0EEENS1_30default_config_static_selectorELNS0_4arch9wavefront6targetE1EEEvT1_.kd
    .uniform_work_group_size: 1
    .uses_dynamic_stack: false
    .vgpr_count:     0
    .vgpr_spill_count: 0
    .wavefront_size: 64
  - .agpr_count:     0
    .args:
      - .offset:         0
        .size:           120
        .value_kind:     by_value
    .group_segment_fixed_size: 0
    .kernarg_segment_align: 8
    .kernarg_segment_size: 120
    .language:       OpenCL C
    .language_version:
      - 2
      - 0
    .max_flat_workgroup_size: 128
    .name:           _ZN7rocprim17ROCPRIM_400000_NS6detail17trampoline_kernelINS0_14default_configENS1_25partition_config_selectorILNS1_17partition_subalgoE9EllbEEZZNS1_14partition_implILS5_9ELb0ES3_jPlS8_PNS0_10empty_typeENS0_5tupleIJS8_S9_EEENSB_IJS8_SA_EEENS0_18inequality_wrapperIZN2at6native12_GLOBAL__N_124unique_dim_cuda_templateIN3c108BFloat16EEESt5tupleIJNSF_6TensorESM_SM_EERKSM_lbbbEUlllE0_EEPmJS9_EEE10hipError_tPvRmT3_T4_T5_T6_T7_T9_mT8_P12ihipStream_tbDpT10_ENKUlT_T0_E_clISt17integral_constantIbLb0EES1C_EEDaS17_S18_EUlS17_E_NS1_11comp_targetILNS1_3genE4ELNS1_11target_archE910ELNS1_3gpuE8ELNS1_3repE0EEENS1_30default_config_static_selectorELNS0_4arch9wavefront6targetE1EEEvT1_
    .private_segment_fixed_size: 0
    .sgpr_count:     6
    .sgpr_spill_count: 0
    .symbol:         _ZN7rocprim17ROCPRIM_400000_NS6detail17trampoline_kernelINS0_14default_configENS1_25partition_config_selectorILNS1_17partition_subalgoE9EllbEEZZNS1_14partition_implILS5_9ELb0ES3_jPlS8_PNS0_10empty_typeENS0_5tupleIJS8_S9_EEENSB_IJS8_SA_EEENS0_18inequality_wrapperIZN2at6native12_GLOBAL__N_124unique_dim_cuda_templateIN3c108BFloat16EEESt5tupleIJNSF_6TensorESM_SM_EERKSM_lbbbEUlllE0_EEPmJS9_EEE10hipError_tPvRmT3_T4_T5_T6_T7_T9_mT8_P12ihipStream_tbDpT10_ENKUlT_T0_E_clISt17integral_constantIbLb0EES1C_EEDaS17_S18_EUlS17_E_NS1_11comp_targetILNS1_3genE4ELNS1_11target_archE910ELNS1_3gpuE8ELNS1_3repE0EEENS1_30default_config_static_selectorELNS0_4arch9wavefront6targetE1EEEvT1_.kd
    .uniform_work_group_size: 1
    .uses_dynamic_stack: false
    .vgpr_count:     0
    .vgpr_spill_count: 0
    .wavefront_size: 64
  - .agpr_count:     0
    .args:
      - .offset:         0
        .size:           120
        .value_kind:     by_value
    .group_segment_fixed_size: 0
    .kernarg_segment_align: 8
    .kernarg_segment_size: 120
    .language:       OpenCL C
    .language_version:
      - 2
      - 0
    .max_flat_workgroup_size: 128
    .name:           _ZN7rocprim17ROCPRIM_400000_NS6detail17trampoline_kernelINS0_14default_configENS1_25partition_config_selectorILNS1_17partition_subalgoE9EllbEEZZNS1_14partition_implILS5_9ELb0ES3_jPlS8_PNS0_10empty_typeENS0_5tupleIJS8_S9_EEENSB_IJS8_SA_EEENS0_18inequality_wrapperIZN2at6native12_GLOBAL__N_124unique_dim_cuda_templateIN3c108BFloat16EEESt5tupleIJNSF_6TensorESM_SM_EERKSM_lbbbEUlllE0_EEPmJS9_EEE10hipError_tPvRmT3_T4_T5_T6_T7_T9_mT8_P12ihipStream_tbDpT10_ENKUlT_T0_E_clISt17integral_constantIbLb0EES1C_EEDaS17_S18_EUlS17_E_NS1_11comp_targetILNS1_3genE3ELNS1_11target_archE908ELNS1_3gpuE7ELNS1_3repE0EEENS1_30default_config_static_selectorELNS0_4arch9wavefront6targetE1EEEvT1_
    .private_segment_fixed_size: 0
    .sgpr_count:     6
    .sgpr_spill_count: 0
    .symbol:         _ZN7rocprim17ROCPRIM_400000_NS6detail17trampoline_kernelINS0_14default_configENS1_25partition_config_selectorILNS1_17partition_subalgoE9EllbEEZZNS1_14partition_implILS5_9ELb0ES3_jPlS8_PNS0_10empty_typeENS0_5tupleIJS8_S9_EEENSB_IJS8_SA_EEENS0_18inequality_wrapperIZN2at6native12_GLOBAL__N_124unique_dim_cuda_templateIN3c108BFloat16EEESt5tupleIJNSF_6TensorESM_SM_EERKSM_lbbbEUlllE0_EEPmJS9_EEE10hipError_tPvRmT3_T4_T5_T6_T7_T9_mT8_P12ihipStream_tbDpT10_ENKUlT_T0_E_clISt17integral_constantIbLb0EES1C_EEDaS17_S18_EUlS17_E_NS1_11comp_targetILNS1_3genE3ELNS1_11target_archE908ELNS1_3gpuE7ELNS1_3repE0EEENS1_30default_config_static_selectorELNS0_4arch9wavefront6targetE1EEEvT1_.kd
    .uniform_work_group_size: 1
    .uses_dynamic_stack: false
    .vgpr_count:     0
    .vgpr_spill_count: 0
    .wavefront_size: 64
  - .agpr_count:     0
    .args:
      - .offset:         0
        .size:           120
        .value_kind:     by_value
    .group_segment_fixed_size: 0
    .kernarg_segment_align: 8
    .kernarg_segment_size: 120
    .language:       OpenCL C
    .language_version:
      - 2
      - 0
    .max_flat_workgroup_size: 192
    .name:           _ZN7rocprim17ROCPRIM_400000_NS6detail17trampoline_kernelINS0_14default_configENS1_25partition_config_selectorILNS1_17partition_subalgoE9EllbEEZZNS1_14partition_implILS5_9ELb0ES3_jPlS8_PNS0_10empty_typeENS0_5tupleIJS8_S9_EEENSB_IJS8_SA_EEENS0_18inequality_wrapperIZN2at6native12_GLOBAL__N_124unique_dim_cuda_templateIN3c108BFloat16EEESt5tupleIJNSF_6TensorESM_SM_EERKSM_lbbbEUlllE0_EEPmJS9_EEE10hipError_tPvRmT3_T4_T5_T6_T7_T9_mT8_P12ihipStream_tbDpT10_ENKUlT_T0_E_clISt17integral_constantIbLb0EES1C_EEDaS17_S18_EUlS17_E_NS1_11comp_targetILNS1_3genE2ELNS1_11target_archE906ELNS1_3gpuE6ELNS1_3repE0EEENS1_30default_config_static_selectorELNS0_4arch9wavefront6targetE1EEEvT1_
    .private_segment_fixed_size: 0
    .sgpr_count:     6
    .sgpr_spill_count: 0
    .symbol:         _ZN7rocprim17ROCPRIM_400000_NS6detail17trampoline_kernelINS0_14default_configENS1_25partition_config_selectorILNS1_17partition_subalgoE9EllbEEZZNS1_14partition_implILS5_9ELb0ES3_jPlS8_PNS0_10empty_typeENS0_5tupleIJS8_S9_EEENSB_IJS8_SA_EEENS0_18inequality_wrapperIZN2at6native12_GLOBAL__N_124unique_dim_cuda_templateIN3c108BFloat16EEESt5tupleIJNSF_6TensorESM_SM_EERKSM_lbbbEUlllE0_EEPmJS9_EEE10hipError_tPvRmT3_T4_T5_T6_T7_T9_mT8_P12ihipStream_tbDpT10_ENKUlT_T0_E_clISt17integral_constantIbLb0EES1C_EEDaS17_S18_EUlS17_E_NS1_11comp_targetILNS1_3genE2ELNS1_11target_archE906ELNS1_3gpuE6ELNS1_3repE0EEENS1_30default_config_static_selectorELNS0_4arch9wavefront6targetE1EEEvT1_.kd
    .uniform_work_group_size: 1
    .uses_dynamic_stack: false
    .vgpr_count:     0
    .vgpr_spill_count: 0
    .wavefront_size: 64
  - .agpr_count:     0
    .args:
      - .offset:         0
        .size:           120
        .value_kind:     by_value
    .group_segment_fixed_size: 0
    .kernarg_segment_align: 8
    .kernarg_segment_size: 120
    .language:       OpenCL C
    .language_version:
      - 2
      - 0
    .max_flat_workgroup_size: 384
    .name:           _ZN7rocprim17ROCPRIM_400000_NS6detail17trampoline_kernelINS0_14default_configENS1_25partition_config_selectorILNS1_17partition_subalgoE9EllbEEZZNS1_14partition_implILS5_9ELb0ES3_jPlS8_PNS0_10empty_typeENS0_5tupleIJS8_S9_EEENSB_IJS8_SA_EEENS0_18inequality_wrapperIZN2at6native12_GLOBAL__N_124unique_dim_cuda_templateIN3c108BFloat16EEESt5tupleIJNSF_6TensorESM_SM_EERKSM_lbbbEUlllE0_EEPmJS9_EEE10hipError_tPvRmT3_T4_T5_T6_T7_T9_mT8_P12ihipStream_tbDpT10_ENKUlT_T0_E_clISt17integral_constantIbLb0EES1C_EEDaS17_S18_EUlS17_E_NS1_11comp_targetILNS1_3genE10ELNS1_11target_archE1200ELNS1_3gpuE4ELNS1_3repE0EEENS1_30default_config_static_selectorELNS0_4arch9wavefront6targetE1EEEvT1_
    .private_segment_fixed_size: 0
    .sgpr_count:     6
    .sgpr_spill_count: 0
    .symbol:         _ZN7rocprim17ROCPRIM_400000_NS6detail17trampoline_kernelINS0_14default_configENS1_25partition_config_selectorILNS1_17partition_subalgoE9EllbEEZZNS1_14partition_implILS5_9ELb0ES3_jPlS8_PNS0_10empty_typeENS0_5tupleIJS8_S9_EEENSB_IJS8_SA_EEENS0_18inequality_wrapperIZN2at6native12_GLOBAL__N_124unique_dim_cuda_templateIN3c108BFloat16EEESt5tupleIJNSF_6TensorESM_SM_EERKSM_lbbbEUlllE0_EEPmJS9_EEE10hipError_tPvRmT3_T4_T5_T6_T7_T9_mT8_P12ihipStream_tbDpT10_ENKUlT_T0_E_clISt17integral_constantIbLb0EES1C_EEDaS17_S18_EUlS17_E_NS1_11comp_targetILNS1_3genE10ELNS1_11target_archE1200ELNS1_3gpuE4ELNS1_3repE0EEENS1_30default_config_static_selectorELNS0_4arch9wavefront6targetE1EEEvT1_.kd
    .uniform_work_group_size: 1
    .uses_dynamic_stack: false
    .vgpr_count:     0
    .vgpr_spill_count: 0
    .wavefront_size: 64
  - .agpr_count:     0
    .args:
      - .offset:         0
        .size:           120
        .value_kind:     by_value
    .group_segment_fixed_size: 0
    .kernarg_segment_align: 8
    .kernarg_segment_size: 120
    .language:       OpenCL C
    .language_version:
      - 2
      - 0
    .max_flat_workgroup_size: 512
    .name:           _ZN7rocprim17ROCPRIM_400000_NS6detail17trampoline_kernelINS0_14default_configENS1_25partition_config_selectorILNS1_17partition_subalgoE9EllbEEZZNS1_14partition_implILS5_9ELb0ES3_jPlS8_PNS0_10empty_typeENS0_5tupleIJS8_S9_EEENSB_IJS8_SA_EEENS0_18inequality_wrapperIZN2at6native12_GLOBAL__N_124unique_dim_cuda_templateIN3c108BFloat16EEESt5tupleIJNSF_6TensorESM_SM_EERKSM_lbbbEUlllE0_EEPmJS9_EEE10hipError_tPvRmT3_T4_T5_T6_T7_T9_mT8_P12ihipStream_tbDpT10_ENKUlT_T0_E_clISt17integral_constantIbLb0EES1C_EEDaS17_S18_EUlS17_E_NS1_11comp_targetILNS1_3genE9ELNS1_11target_archE1100ELNS1_3gpuE3ELNS1_3repE0EEENS1_30default_config_static_selectorELNS0_4arch9wavefront6targetE1EEEvT1_
    .private_segment_fixed_size: 0
    .sgpr_count:     6
    .sgpr_spill_count: 0
    .symbol:         _ZN7rocprim17ROCPRIM_400000_NS6detail17trampoline_kernelINS0_14default_configENS1_25partition_config_selectorILNS1_17partition_subalgoE9EllbEEZZNS1_14partition_implILS5_9ELb0ES3_jPlS8_PNS0_10empty_typeENS0_5tupleIJS8_S9_EEENSB_IJS8_SA_EEENS0_18inequality_wrapperIZN2at6native12_GLOBAL__N_124unique_dim_cuda_templateIN3c108BFloat16EEESt5tupleIJNSF_6TensorESM_SM_EERKSM_lbbbEUlllE0_EEPmJS9_EEE10hipError_tPvRmT3_T4_T5_T6_T7_T9_mT8_P12ihipStream_tbDpT10_ENKUlT_T0_E_clISt17integral_constantIbLb0EES1C_EEDaS17_S18_EUlS17_E_NS1_11comp_targetILNS1_3genE9ELNS1_11target_archE1100ELNS1_3gpuE3ELNS1_3repE0EEENS1_30default_config_static_selectorELNS0_4arch9wavefront6targetE1EEEvT1_.kd
    .uniform_work_group_size: 1
    .uses_dynamic_stack: false
    .vgpr_count:     0
    .vgpr_spill_count: 0
    .wavefront_size: 64
  - .agpr_count:     0
    .args:
      - .offset:         0
        .size:           120
        .value_kind:     by_value
    .group_segment_fixed_size: 0
    .kernarg_segment_align: 8
    .kernarg_segment_size: 120
    .language:       OpenCL C
    .language_version:
      - 2
      - 0
    .max_flat_workgroup_size: 512
    .name:           _ZN7rocprim17ROCPRIM_400000_NS6detail17trampoline_kernelINS0_14default_configENS1_25partition_config_selectorILNS1_17partition_subalgoE9EllbEEZZNS1_14partition_implILS5_9ELb0ES3_jPlS8_PNS0_10empty_typeENS0_5tupleIJS8_S9_EEENSB_IJS8_SA_EEENS0_18inequality_wrapperIZN2at6native12_GLOBAL__N_124unique_dim_cuda_templateIN3c108BFloat16EEESt5tupleIJNSF_6TensorESM_SM_EERKSM_lbbbEUlllE0_EEPmJS9_EEE10hipError_tPvRmT3_T4_T5_T6_T7_T9_mT8_P12ihipStream_tbDpT10_ENKUlT_T0_E_clISt17integral_constantIbLb0EES1C_EEDaS17_S18_EUlS17_E_NS1_11comp_targetILNS1_3genE8ELNS1_11target_archE1030ELNS1_3gpuE2ELNS1_3repE0EEENS1_30default_config_static_selectorELNS0_4arch9wavefront6targetE1EEEvT1_
    .private_segment_fixed_size: 0
    .sgpr_count:     6
    .sgpr_spill_count: 0
    .symbol:         _ZN7rocprim17ROCPRIM_400000_NS6detail17trampoline_kernelINS0_14default_configENS1_25partition_config_selectorILNS1_17partition_subalgoE9EllbEEZZNS1_14partition_implILS5_9ELb0ES3_jPlS8_PNS0_10empty_typeENS0_5tupleIJS8_S9_EEENSB_IJS8_SA_EEENS0_18inequality_wrapperIZN2at6native12_GLOBAL__N_124unique_dim_cuda_templateIN3c108BFloat16EEESt5tupleIJNSF_6TensorESM_SM_EERKSM_lbbbEUlllE0_EEPmJS9_EEE10hipError_tPvRmT3_T4_T5_T6_T7_T9_mT8_P12ihipStream_tbDpT10_ENKUlT_T0_E_clISt17integral_constantIbLb0EES1C_EEDaS17_S18_EUlS17_E_NS1_11comp_targetILNS1_3genE8ELNS1_11target_archE1030ELNS1_3gpuE2ELNS1_3repE0EEENS1_30default_config_static_selectorELNS0_4arch9wavefront6targetE1EEEvT1_.kd
    .uniform_work_group_size: 1
    .uses_dynamic_stack: false
    .vgpr_count:     0
    .vgpr_spill_count: 0
    .wavefront_size: 64
  - .agpr_count:     0
    .args:
      - .offset:         0
        .size:           136
        .value_kind:     by_value
    .group_segment_fixed_size: 0
    .kernarg_segment_align: 8
    .kernarg_segment_size: 136
    .language:       OpenCL C
    .language_version:
      - 2
      - 0
    .max_flat_workgroup_size: 128
    .name:           _ZN7rocprim17ROCPRIM_400000_NS6detail17trampoline_kernelINS0_14default_configENS1_25partition_config_selectorILNS1_17partition_subalgoE9EllbEEZZNS1_14partition_implILS5_9ELb0ES3_jPlS8_PNS0_10empty_typeENS0_5tupleIJS8_S9_EEENSB_IJS8_SA_EEENS0_18inequality_wrapperIZN2at6native12_GLOBAL__N_124unique_dim_cuda_templateIN3c108BFloat16EEESt5tupleIJNSF_6TensorESM_SM_EERKSM_lbbbEUlllE0_EEPmJS9_EEE10hipError_tPvRmT3_T4_T5_T6_T7_T9_mT8_P12ihipStream_tbDpT10_ENKUlT_T0_E_clISt17integral_constantIbLb1EES1C_EEDaS17_S18_EUlS17_E_NS1_11comp_targetILNS1_3genE0ELNS1_11target_archE4294967295ELNS1_3gpuE0ELNS1_3repE0EEENS1_30default_config_static_selectorELNS0_4arch9wavefront6targetE1EEEvT1_
    .private_segment_fixed_size: 0
    .sgpr_count:     6
    .sgpr_spill_count: 0
    .symbol:         _ZN7rocprim17ROCPRIM_400000_NS6detail17trampoline_kernelINS0_14default_configENS1_25partition_config_selectorILNS1_17partition_subalgoE9EllbEEZZNS1_14partition_implILS5_9ELb0ES3_jPlS8_PNS0_10empty_typeENS0_5tupleIJS8_S9_EEENSB_IJS8_SA_EEENS0_18inequality_wrapperIZN2at6native12_GLOBAL__N_124unique_dim_cuda_templateIN3c108BFloat16EEESt5tupleIJNSF_6TensorESM_SM_EERKSM_lbbbEUlllE0_EEPmJS9_EEE10hipError_tPvRmT3_T4_T5_T6_T7_T9_mT8_P12ihipStream_tbDpT10_ENKUlT_T0_E_clISt17integral_constantIbLb1EES1C_EEDaS17_S18_EUlS17_E_NS1_11comp_targetILNS1_3genE0ELNS1_11target_archE4294967295ELNS1_3gpuE0ELNS1_3repE0EEENS1_30default_config_static_selectorELNS0_4arch9wavefront6targetE1EEEvT1_.kd
    .uniform_work_group_size: 1
    .uses_dynamic_stack: false
    .vgpr_count:     0
    .vgpr_spill_count: 0
    .wavefront_size: 64
  - .agpr_count:     0
    .args:
      - .offset:         0
        .size:           136
        .value_kind:     by_value
    .group_segment_fixed_size: 0
    .kernarg_segment_align: 8
    .kernarg_segment_size: 136
    .language:       OpenCL C
    .language_version:
      - 2
      - 0
    .max_flat_workgroup_size: 512
    .name:           _ZN7rocprim17ROCPRIM_400000_NS6detail17trampoline_kernelINS0_14default_configENS1_25partition_config_selectorILNS1_17partition_subalgoE9EllbEEZZNS1_14partition_implILS5_9ELb0ES3_jPlS8_PNS0_10empty_typeENS0_5tupleIJS8_S9_EEENSB_IJS8_SA_EEENS0_18inequality_wrapperIZN2at6native12_GLOBAL__N_124unique_dim_cuda_templateIN3c108BFloat16EEESt5tupleIJNSF_6TensorESM_SM_EERKSM_lbbbEUlllE0_EEPmJS9_EEE10hipError_tPvRmT3_T4_T5_T6_T7_T9_mT8_P12ihipStream_tbDpT10_ENKUlT_T0_E_clISt17integral_constantIbLb1EES1C_EEDaS17_S18_EUlS17_E_NS1_11comp_targetILNS1_3genE5ELNS1_11target_archE942ELNS1_3gpuE9ELNS1_3repE0EEENS1_30default_config_static_selectorELNS0_4arch9wavefront6targetE1EEEvT1_
    .private_segment_fixed_size: 0
    .sgpr_count:     6
    .sgpr_spill_count: 0
    .symbol:         _ZN7rocprim17ROCPRIM_400000_NS6detail17trampoline_kernelINS0_14default_configENS1_25partition_config_selectorILNS1_17partition_subalgoE9EllbEEZZNS1_14partition_implILS5_9ELb0ES3_jPlS8_PNS0_10empty_typeENS0_5tupleIJS8_S9_EEENSB_IJS8_SA_EEENS0_18inequality_wrapperIZN2at6native12_GLOBAL__N_124unique_dim_cuda_templateIN3c108BFloat16EEESt5tupleIJNSF_6TensorESM_SM_EERKSM_lbbbEUlllE0_EEPmJS9_EEE10hipError_tPvRmT3_T4_T5_T6_T7_T9_mT8_P12ihipStream_tbDpT10_ENKUlT_T0_E_clISt17integral_constantIbLb1EES1C_EEDaS17_S18_EUlS17_E_NS1_11comp_targetILNS1_3genE5ELNS1_11target_archE942ELNS1_3gpuE9ELNS1_3repE0EEENS1_30default_config_static_selectorELNS0_4arch9wavefront6targetE1EEEvT1_.kd
    .uniform_work_group_size: 1
    .uses_dynamic_stack: false
    .vgpr_count:     0
    .vgpr_spill_count: 0
    .wavefront_size: 64
  - .agpr_count:     0
    .args:
      - .offset:         0
        .size:           136
        .value_kind:     by_value
    .group_segment_fixed_size: 0
    .kernarg_segment_align: 8
    .kernarg_segment_size: 136
    .language:       OpenCL C
    .language_version:
      - 2
      - 0
    .max_flat_workgroup_size: 128
    .name:           _ZN7rocprim17ROCPRIM_400000_NS6detail17trampoline_kernelINS0_14default_configENS1_25partition_config_selectorILNS1_17partition_subalgoE9EllbEEZZNS1_14partition_implILS5_9ELb0ES3_jPlS8_PNS0_10empty_typeENS0_5tupleIJS8_S9_EEENSB_IJS8_SA_EEENS0_18inequality_wrapperIZN2at6native12_GLOBAL__N_124unique_dim_cuda_templateIN3c108BFloat16EEESt5tupleIJNSF_6TensorESM_SM_EERKSM_lbbbEUlllE0_EEPmJS9_EEE10hipError_tPvRmT3_T4_T5_T6_T7_T9_mT8_P12ihipStream_tbDpT10_ENKUlT_T0_E_clISt17integral_constantIbLb1EES1C_EEDaS17_S18_EUlS17_E_NS1_11comp_targetILNS1_3genE4ELNS1_11target_archE910ELNS1_3gpuE8ELNS1_3repE0EEENS1_30default_config_static_selectorELNS0_4arch9wavefront6targetE1EEEvT1_
    .private_segment_fixed_size: 0
    .sgpr_count:     6
    .sgpr_spill_count: 0
    .symbol:         _ZN7rocprim17ROCPRIM_400000_NS6detail17trampoline_kernelINS0_14default_configENS1_25partition_config_selectorILNS1_17partition_subalgoE9EllbEEZZNS1_14partition_implILS5_9ELb0ES3_jPlS8_PNS0_10empty_typeENS0_5tupleIJS8_S9_EEENSB_IJS8_SA_EEENS0_18inequality_wrapperIZN2at6native12_GLOBAL__N_124unique_dim_cuda_templateIN3c108BFloat16EEESt5tupleIJNSF_6TensorESM_SM_EERKSM_lbbbEUlllE0_EEPmJS9_EEE10hipError_tPvRmT3_T4_T5_T6_T7_T9_mT8_P12ihipStream_tbDpT10_ENKUlT_T0_E_clISt17integral_constantIbLb1EES1C_EEDaS17_S18_EUlS17_E_NS1_11comp_targetILNS1_3genE4ELNS1_11target_archE910ELNS1_3gpuE8ELNS1_3repE0EEENS1_30default_config_static_selectorELNS0_4arch9wavefront6targetE1EEEvT1_.kd
    .uniform_work_group_size: 1
    .uses_dynamic_stack: false
    .vgpr_count:     0
    .vgpr_spill_count: 0
    .wavefront_size: 64
  - .agpr_count:     0
    .args:
      - .offset:         0
        .size:           136
        .value_kind:     by_value
    .group_segment_fixed_size: 0
    .kernarg_segment_align: 8
    .kernarg_segment_size: 136
    .language:       OpenCL C
    .language_version:
      - 2
      - 0
    .max_flat_workgroup_size: 128
    .name:           _ZN7rocprim17ROCPRIM_400000_NS6detail17trampoline_kernelINS0_14default_configENS1_25partition_config_selectorILNS1_17partition_subalgoE9EllbEEZZNS1_14partition_implILS5_9ELb0ES3_jPlS8_PNS0_10empty_typeENS0_5tupleIJS8_S9_EEENSB_IJS8_SA_EEENS0_18inequality_wrapperIZN2at6native12_GLOBAL__N_124unique_dim_cuda_templateIN3c108BFloat16EEESt5tupleIJNSF_6TensorESM_SM_EERKSM_lbbbEUlllE0_EEPmJS9_EEE10hipError_tPvRmT3_T4_T5_T6_T7_T9_mT8_P12ihipStream_tbDpT10_ENKUlT_T0_E_clISt17integral_constantIbLb1EES1C_EEDaS17_S18_EUlS17_E_NS1_11comp_targetILNS1_3genE3ELNS1_11target_archE908ELNS1_3gpuE7ELNS1_3repE0EEENS1_30default_config_static_selectorELNS0_4arch9wavefront6targetE1EEEvT1_
    .private_segment_fixed_size: 0
    .sgpr_count:     6
    .sgpr_spill_count: 0
    .symbol:         _ZN7rocprim17ROCPRIM_400000_NS6detail17trampoline_kernelINS0_14default_configENS1_25partition_config_selectorILNS1_17partition_subalgoE9EllbEEZZNS1_14partition_implILS5_9ELb0ES3_jPlS8_PNS0_10empty_typeENS0_5tupleIJS8_S9_EEENSB_IJS8_SA_EEENS0_18inequality_wrapperIZN2at6native12_GLOBAL__N_124unique_dim_cuda_templateIN3c108BFloat16EEESt5tupleIJNSF_6TensorESM_SM_EERKSM_lbbbEUlllE0_EEPmJS9_EEE10hipError_tPvRmT3_T4_T5_T6_T7_T9_mT8_P12ihipStream_tbDpT10_ENKUlT_T0_E_clISt17integral_constantIbLb1EES1C_EEDaS17_S18_EUlS17_E_NS1_11comp_targetILNS1_3genE3ELNS1_11target_archE908ELNS1_3gpuE7ELNS1_3repE0EEENS1_30default_config_static_selectorELNS0_4arch9wavefront6targetE1EEEvT1_.kd
    .uniform_work_group_size: 1
    .uses_dynamic_stack: false
    .vgpr_count:     0
    .vgpr_spill_count: 0
    .wavefront_size: 64
  - .agpr_count:     0
    .args:
      - .offset:         0
        .size:           136
        .value_kind:     by_value
    .group_segment_fixed_size: 0
    .kernarg_segment_align: 8
    .kernarg_segment_size: 136
    .language:       OpenCL C
    .language_version:
      - 2
      - 0
    .max_flat_workgroup_size: 192
    .name:           _ZN7rocprim17ROCPRIM_400000_NS6detail17trampoline_kernelINS0_14default_configENS1_25partition_config_selectorILNS1_17partition_subalgoE9EllbEEZZNS1_14partition_implILS5_9ELb0ES3_jPlS8_PNS0_10empty_typeENS0_5tupleIJS8_S9_EEENSB_IJS8_SA_EEENS0_18inequality_wrapperIZN2at6native12_GLOBAL__N_124unique_dim_cuda_templateIN3c108BFloat16EEESt5tupleIJNSF_6TensorESM_SM_EERKSM_lbbbEUlllE0_EEPmJS9_EEE10hipError_tPvRmT3_T4_T5_T6_T7_T9_mT8_P12ihipStream_tbDpT10_ENKUlT_T0_E_clISt17integral_constantIbLb1EES1C_EEDaS17_S18_EUlS17_E_NS1_11comp_targetILNS1_3genE2ELNS1_11target_archE906ELNS1_3gpuE6ELNS1_3repE0EEENS1_30default_config_static_selectorELNS0_4arch9wavefront6targetE1EEEvT1_
    .private_segment_fixed_size: 0
    .sgpr_count:     6
    .sgpr_spill_count: 0
    .symbol:         _ZN7rocprim17ROCPRIM_400000_NS6detail17trampoline_kernelINS0_14default_configENS1_25partition_config_selectorILNS1_17partition_subalgoE9EllbEEZZNS1_14partition_implILS5_9ELb0ES3_jPlS8_PNS0_10empty_typeENS0_5tupleIJS8_S9_EEENSB_IJS8_SA_EEENS0_18inequality_wrapperIZN2at6native12_GLOBAL__N_124unique_dim_cuda_templateIN3c108BFloat16EEESt5tupleIJNSF_6TensorESM_SM_EERKSM_lbbbEUlllE0_EEPmJS9_EEE10hipError_tPvRmT3_T4_T5_T6_T7_T9_mT8_P12ihipStream_tbDpT10_ENKUlT_T0_E_clISt17integral_constantIbLb1EES1C_EEDaS17_S18_EUlS17_E_NS1_11comp_targetILNS1_3genE2ELNS1_11target_archE906ELNS1_3gpuE6ELNS1_3repE0EEENS1_30default_config_static_selectorELNS0_4arch9wavefront6targetE1EEEvT1_.kd
    .uniform_work_group_size: 1
    .uses_dynamic_stack: false
    .vgpr_count:     0
    .vgpr_spill_count: 0
    .wavefront_size: 64
  - .agpr_count:     0
    .args:
      - .offset:         0
        .size:           136
        .value_kind:     by_value
    .group_segment_fixed_size: 0
    .kernarg_segment_align: 8
    .kernarg_segment_size: 136
    .language:       OpenCL C
    .language_version:
      - 2
      - 0
    .max_flat_workgroup_size: 384
    .name:           _ZN7rocprim17ROCPRIM_400000_NS6detail17trampoline_kernelINS0_14default_configENS1_25partition_config_selectorILNS1_17partition_subalgoE9EllbEEZZNS1_14partition_implILS5_9ELb0ES3_jPlS8_PNS0_10empty_typeENS0_5tupleIJS8_S9_EEENSB_IJS8_SA_EEENS0_18inequality_wrapperIZN2at6native12_GLOBAL__N_124unique_dim_cuda_templateIN3c108BFloat16EEESt5tupleIJNSF_6TensorESM_SM_EERKSM_lbbbEUlllE0_EEPmJS9_EEE10hipError_tPvRmT3_T4_T5_T6_T7_T9_mT8_P12ihipStream_tbDpT10_ENKUlT_T0_E_clISt17integral_constantIbLb1EES1C_EEDaS17_S18_EUlS17_E_NS1_11comp_targetILNS1_3genE10ELNS1_11target_archE1200ELNS1_3gpuE4ELNS1_3repE0EEENS1_30default_config_static_selectorELNS0_4arch9wavefront6targetE1EEEvT1_
    .private_segment_fixed_size: 0
    .sgpr_count:     6
    .sgpr_spill_count: 0
    .symbol:         _ZN7rocprim17ROCPRIM_400000_NS6detail17trampoline_kernelINS0_14default_configENS1_25partition_config_selectorILNS1_17partition_subalgoE9EllbEEZZNS1_14partition_implILS5_9ELb0ES3_jPlS8_PNS0_10empty_typeENS0_5tupleIJS8_S9_EEENSB_IJS8_SA_EEENS0_18inequality_wrapperIZN2at6native12_GLOBAL__N_124unique_dim_cuda_templateIN3c108BFloat16EEESt5tupleIJNSF_6TensorESM_SM_EERKSM_lbbbEUlllE0_EEPmJS9_EEE10hipError_tPvRmT3_T4_T5_T6_T7_T9_mT8_P12ihipStream_tbDpT10_ENKUlT_T0_E_clISt17integral_constantIbLb1EES1C_EEDaS17_S18_EUlS17_E_NS1_11comp_targetILNS1_3genE10ELNS1_11target_archE1200ELNS1_3gpuE4ELNS1_3repE0EEENS1_30default_config_static_selectorELNS0_4arch9wavefront6targetE1EEEvT1_.kd
    .uniform_work_group_size: 1
    .uses_dynamic_stack: false
    .vgpr_count:     0
    .vgpr_spill_count: 0
    .wavefront_size: 64
  - .agpr_count:     0
    .args:
      - .offset:         0
        .size:           136
        .value_kind:     by_value
    .group_segment_fixed_size: 0
    .kernarg_segment_align: 8
    .kernarg_segment_size: 136
    .language:       OpenCL C
    .language_version:
      - 2
      - 0
    .max_flat_workgroup_size: 512
    .name:           _ZN7rocprim17ROCPRIM_400000_NS6detail17trampoline_kernelINS0_14default_configENS1_25partition_config_selectorILNS1_17partition_subalgoE9EllbEEZZNS1_14partition_implILS5_9ELb0ES3_jPlS8_PNS0_10empty_typeENS0_5tupleIJS8_S9_EEENSB_IJS8_SA_EEENS0_18inequality_wrapperIZN2at6native12_GLOBAL__N_124unique_dim_cuda_templateIN3c108BFloat16EEESt5tupleIJNSF_6TensorESM_SM_EERKSM_lbbbEUlllE0_EEPmJS9_EEE10hipError_tPvRmT3_T4_T5_T6_T7_T9_mT8_P12ihipStream_tbDpT10_ENKUlT_T0_E_clISt17integral_constantIbLb1EES1C_EEDaS17_S18_EUlS17_E_NS1_11comp_targetILNS1_3genE9ELNS1_11target_archE1100ELNS1_3gpuE3ELNS1_3repE0EEENS1_30default_config_static_selectorELNS0_4arch9wavefront6targetE1EEEvT1_
    .private_segment_fixed_size: 0
    .sgpr_count:     6
    .sgpr_spill_count: 0
    .symbol:         _ZN7rocprim17ROCPRIM_400000_NS6detail17trampoline_kernelINS0_14default_configENS1_25partition_config_selectorILNS1_17partition_subalgoE9EllbEEZZNS1_14partition_implILS5_9ELb0ES3_jPlS8_PNS0_10empty_typeENS0_5tupleIJS8_S9_EEENSB_IJS8_SA_EEENS0_18inequality_wrapperIZN2at6native12_GLOBAL__N_124unique_dim_cuda_templateIN3c108BFloat16EEESt5tupleIJNSF_6TensorESM_SM_EERKSM_lbbbEUlllE0_EEPmJS9_EEE10hipError_tPvRmT3_T4_T5_T6_T7_T9_mT8_P12ihipStream_tbDpT10_ENKUlT_T0_E_clISt17integral_constantIbLb1EES1C_EEDaS17_S18_EUlS17_E_NS1_11comp_targetILNS1_3genE9ELNS1_11target_archE1100ELNS1_3gpuE3ELNS1_3repE0EEENS1_30default_config_static_selectorELNS0_4arch9wavefront6targetE1EEEvT1_.kd
    .uniform_work_group_size: 1
    .uses_dynamic_stack: false
    .vgpr_count:     0
    .vgpr_spill_count: 0
    .wavefront_size: 64
  - .agpr_count:     0
    .args:
      - .offset:         0
        .size:           136
        .value_kind:     by_value
    .group_segment_fixed_size: 0
    .kernarg_segment_align: 8
    .kernarg_segment_size: 136
    .language:       OpenCL C
    .language_version:
      - 2
      - 0
    .max_flat_workgroup_size: 512
    .name:           _ZN7rocprim17ROCPRIM_400000_NS6detail17trampoline_kernelINS0_14default_configENS1_25partition_config_selectorILNS1_17partition_subalgoE9EllbEEZZNS1_14partition_implILS5_9ELb0ES3_jPlS8_PNS0_10empty_typeENS0_5tupleIJS8_S9_EEENSB_IJS8_SA_EEENS0_18inequality_wrapperIZN2at6native12_GLOBAL__N_124unique_dim_cuda_templateIN3c108BFloat16EEESt5tupleIJNSF_6TensorESM_SM_EERKSM_lbbbEUlllE0_EEPmJS9_EEE10hipError_tPvRmT3_T4_T5_T6_T7_T9_mT8_P12ihipStream_tbDpT10_ENKUlT_T0_E_clISt17integral_constantIbLb1EES1C_EEDaS17_S18_EUlS17_E_NS1_11comp_targetILNS1_3genE8ELNS1_11target_archE1030ELNS1_3gpuE2ELNS1_3repE0EEENS1_30default_config_static_selectorELNS0_4arch9wavefront6targetE1EEEvT1_
    .private_segment_fixed_size: 0
    .sgpr_count:     6
    .sgpr_spill_count: 0
    .symbol:         _ZN7rocprim17ROCPRIM_400000_NS6detail17trampoline_kernelINS0_14default_configENS1_25partition_config_selectorILNS1_17partition_subalgoE9EllbEEZZNS1_14partition_implILS5_9ELb0ES3_jPlS8_PNS0_10empty_typeENS0_5tupleIJS8_S9_EEENSB_IJS8_SA_EEENS0_18inequality_wrapperIZN2at6native12_GLOBAL__N_124unique_dim_cuda_templateIN3c108BFloat16EEESt5tupleIJNSF_6TensorESM_SM_EERKSM_lbbbEUlllE0_EEPmJS9_EEE10hipError_tPvRmT3_T4_T5_T6_T7_T9_mT8_P12ihipStream_tbDpT10_ENKUlT_T0_E_clISt17integral_constantIbLb1EES1C_EEDaS17_S18_EUlS17_E_NS1_11comp_targetILNS1_3genE8ELNS1_11target_archE1030ELNS1_3gpuE2ELNS1_3repE0EEENS1_30default_config_static_selectorELNS0_4arch9wavefront6targetE1EEEvT1_.kd
    .uniform_work_group_size: 1
    .uses_dynamic_stack: false
    .vgpr_count:     0
    .vgpr_spill_count: 0
    .wavefront_size: 64
  - .agpr_count:     0
    .args:
      - .offset:         0
        .size:           120
        .value_kind:     by_value
    .group_segment_fixed_size: 0
    .kernarg_segment_align: 8
    .kernarg_segment_size: 120
    .language:       OpenCL C
    .language_version:
      - 2
      - 0
    .max_flat_workgroup_size: 128
    .name:           _ZN7rocprim17ROCPRIM_400000_NS6detail17trampoline_kernelINS0_14default_configENS1_25partition_config_selectorILNS1_17partition_subalgoE9EllbEEZZNS1_14partition_implILS5_9ELb0ES3_jPlS8_PNS0_10empty_typeENS0_5tupleIJS8_S9_EEENSB_IJS8_SA_EEENS0_18inequality_wrapperIZN2at6native12_GLOBAL__N_124unique_dim_cuda_templateIN3c108BFloat16EEESt5tupleIJNSF_6TensorESM_SM_EERKSM_lbbbEUlllE0_EEPmJS9_EEE10hipError_tPvRmT3_T4_T5_T6_T7_T9_mT8_P12ihipStream_tbDpT10_ENKUlT_T0_E_clISt17integral_constantIbLb1EES1B_IbLb0EEEEDaS17_S18_EUlS17_E_NS1_11comp_targetILNS1_3genE0ELNS1_11target_archE4294967295ELNS1_3gpuE0ELNS1_3repE0EEENS1_30default_config_static_selectorELNS0_4arch9wavefront6targetE1EEEvT1_
    .private_segment_fixed_size: 0
    .sgpr_count:     6
    .sgpr_spill_count: 0
    .symbol:         _ZN7rocprim17ROCPRIM_400000_NS6detail17trampoline_kernelINS0_14default_configENS1_25partition_config_selectorILNS1_17partition_subalgoE9EllbEEZZNS1_14partition_implILS5_9ELb0ES3_jPlS8_PNS0_10empty_typeENS0_5tupleIJS8_S9_EEENSB_IJS8_SA_EEENS0_18inequality_wrapperIZN2at6native12_GLOBAL__N_124unique_dim_cuda_templateIN3c108BFloat16EEESt5tupleIJNSF_6TensorESM_SM_EERKSM_lbbbEUlllE0_EEPmJS9_EEE10hipError_tPvRmT3_T4_T5_T6_T7_T9_mT8_P12ihipStream_tbDpT10_ENKUlT_T0_E_clISt17integral_constantIbLb1EES1B_IbLb0EEEEDaS17_S18_EUlS17_E_NS1_11comp_targetILNS1_3genE0ELNS1_11target_archE4294967295ELNS1_3gpuE0ELNS1_3repE0EEENS1_30default_config_static_selectorELNS0_4arch9wavefront6targetE1EEEvT1_.kd
    .uniform_work_group_size: 1
    .uses_dynamic_stack: false
    .vgpr_count:     0
    .vgpr_spill_count: 0
    .wavefront_size: 64
  - .agpr_count:     0
    .args:
      - .offset:         0
        .size:           120
        .value_kind:     by_value
    .group_segment_fixed_size: 0
    .kernarg_segment_align: 8
    .kernarg_segment_size: 120
    .language:       OpenCL C
    .language_version:
      - 2
      - 0
    .max_flat_workgroup_size: 512
    .name:           _ZN7rocprim17ROCPRIM_400000_NS6detail17trampoline_kernelINS0_14default_configENS1_25partition_config_selectorILNS1_17partition_subalgoE9EllbEEZZNS1_14partition_implILS5_9ELb0ES3_jPlS8_PNS0_10empty_typeENS0_5tupleIJS8_S9_EEENSB_IJS8_SA_EEENS0_18inequality_wrapperIZN2at6native12_GLOBAL__N_124unique_dim_cuda_templateIN3c108BFloat16EEESt5tupleIJNSF_6TensorESM_SM_EERKSM_lbbbEUlllE0_EEPmJS9_EEE10hipError_tPvRmT3_T4_T5_T6_T7_T9_mT8_P12ihipStream_tbDpT10_ENKUlT_T0_E_clISt17integral_constantIbLb1EES1B_IbLb0EEEEDaS17_S18_EUlS17_E_NS1_11comp_targetILNS1_3genE5ELNS1_11target_archE942ELNS1_3gpuE9ELNS1_3repE0EEENS1_30default_config_static_selectorELNS0_4arch9wavefront6targetE1EEEvT1_
    .private_segment_fixed_size: 0
    .sgpr_count:     6
    .sgpr_spill_count: 0
    .symbol:         _ZN7rocprim17ROCPRIM_400000_NS6detail17trampoline_kernelINS0_14default_configENS1_25partition_config_selectorILNS1_17partition_subalgoE9EllbEEZZNS1_14partition_implILS5_9ELb0ES3_jPlS8_PNS0_10empty_typeENS0_5tupleIJS8_S9_EEENSB_IJS8_SA_EEENS0_18inequality_wrapperIZN2at6native12_GLOBAL__N_124unique_dim_cuda_templateIN3c108BFloat16EEESt5tupleIJNSF_6TensorESM_SM_EERKSM_lbbbEUlllE0_EEPmJS9_EEE10hipError_tPvRmT3_T4_T5_T6_T7_T9_mT8_P12ihipStream_tbDpT10_ENKUlT_T0_E_clISt17integral_constantIbLb1EES1B_IbLb0EEEEDaS17_S18_EUlS17_E_NS1_11comp_targetILNS1_3genE5ELNS1_11target_archE942ELNS1_3gpuE9ELNS1_3repE0EEENS1_30default_config_static_selectorELNS0_4arch9wavefront6targetE1EEEvT1_.kd
    .uniform_work_group_size: 1
    .uses_dynamic_stack: false
    .vgpr_count:     0
    .vgpr_spill_count: 0
    .wavefront_size: 64
  - .agpr_count:     0
    .args:
      - .offset:         0
        .size:           120
        .value_kind:     by_value
    .group_segment_fixed_size: 0
    .kernarg_segment_align: 8
    .kernarg_segment_size: 120
    .language:       OpenCL C
    .language_version:
      - 2
      - 0
    .max_flat_workgroup_size: 128
    .name:           _ZN7rocprim17ROCPRIM_400000_NS6detail17trampoline_kernelINS0_14default_configENS1_25partition_config_selectorILNS1_17partition_subalgoE9EllbEEZZNS1_14partition_implILS5_9ELb0ES3_jPlS8_PNS0_10empty_typeENS0_5tupleIJS8_S9_EEENSB_IJS8_SA_EEENS0_18inequality_wrapperIZN2at6native12_GLOBAL__N_124unique_dim_cuda_templateIN3c108BFloat16EEESt5tupleIJNSF_6TensorESM_SM_EERKSM_lbbbEUlllE0_EEPmJS9_EEE10hipError_tPvRmT3_T4_T5_T6_T7_T9_mT8_P12ihipStream_tbDpT10_ENKUlT_T0_E_clISt17integral_constantIbLb1EES1B_IbLb0EEEEDaS17_S18_EUlS17_E_NS1_11comp_targetILNS1_3genE4ELNS1_11target_archE910ELNS1_3gpuE8ELNS1_3repE0EEENS1_30default_config_static_selectorELNS0_4arch9wavefront6targetE1EEEvT1_
    .private_segment_fixed_size: 0
    .sgpr_count:     6
    .sgpr_spill_count: 0
    .symbol:         _ZN7rocprim17ROCPRIM_400000_NS6detail17trampoline_kernelINS0_14default_configENS1_25partition_config_selectorILNS1_17partition_subalgoE9EllbEEZZNS1_14partition_implILS5_9ELb0ES3_jPlS8_PNS0_10empty_typeENS0_5tupleIJS8_S9_EEENSB_IJS8_SA_EEENS0_18inequality_wrapperIZN2at6native12_GLOBAL__N_124unique_dim_cuda_templateIN3c108BFloat16EEESt5tupleIJNSF_6TensorESM_SM_EERKSM_lbbbEUlllE0_EEPmJS9_EEE10hipError_tPvRmT3_T4_T5_T6_T7_T9_mT8_P12ihipStream_tbDpT10_ENKUlT_T0_E_clISt17integral_constantIbLb1EES1B_IbLb0EEEEDaS17_S18_EUlS17_E_NS1_11comp_targetILNS1_3genE4ELNS1_11target_archE910ELNS1_3gpuE8ELNS1_3repE0EEENS1_30default_config_static_selectorELNS0_4arch9wavefront6targetE1EEEvT1_.kd
    .uniform_work_group_size: 1
    .uses_dynamic_stack: false
    .vgpr_count:     0
    .vgpr_spill_count: 0
    .wavefront_size: 64
  - .agpr_count:     0
    .args:
      - .offset:         0
        .size:           120
        .value_kind:     by_value
    .group_segment_fixed_size: 0
    .kernarg_segment_align: 8
    .kernarg_segment_size: 120
    .language:       OpenCL C
    .language_version:
      - 2
      - 0
    .max_flat_workgroup_size: 128
    .name:           _ZN7rocprim17ROCPRIM_400000_NS6detail17trampoline_kernelINS0_14default_configENS1_25partition_config_selectorILNS1_17partition_subalgoE9EllbEEZZNS1_14partition_implILS5_9ELb0ES3_jPlS8_PNS0_10empty_typeENS0_5tupleIJS8_S9_EEENSB_IJS8_SA_EEENS0_18inequality_wrapperIZN2at6native12_GLOBAL__N_124unique_dim_cuda_templateIN3c108BFloat16EEESt5tupleIJNSF_6TensorESM_SM_EERKSM_lbbbEUlllE0_EEPmJS9_EEE10hipError_tPvRmT3_T4_T5_T6_T7_T9_mT8_P12ihipStream_tbDpT10_ENKUlT_T0_E_clISt17integral_constantIbLb1EES1B_IbLb0EEEEDaS17_S18_EUlS17_E_NS1_11comp_targetILNS1_3genE3ELNS1_11target_archE908ELNS1_3gpuE7ELNS1_3repE0EEENS1_30default_config_static_selectorELNS0_4arch9wavefront6targetE1EEEvT1_
    .private_segment_fixed_size: 0
    .sgpr_count:     6
    .sgpr_spill_count: 0
    .symbol:         _ZN7rocprim17ROCPRIM_400000_NS6detail17trampoline_kernelINS0_14default_configENS1_25partition_config_selectorILNS1_17partition_subalgoE9EllbEEZZNS1_14partition_implILS5_9ELb0ES3_jPlS8_PNS0_10empty_typeENS0_5tupleIJS8_S9_EEENSB_IJS8_SA_EEENS0_18inequality_wrapperIZN2at6native12_GLOBAL__N_124unique_dim_cuda_templateIN3c108BFloat16EEESt5tupleIJNSF_6TensorESM_SM_EERKSM_lbbbEUlllE0_EEPmJS9_EEE10hipError_tPvRmT3_T4_T5_T6_T7_T9_mT8_P12ihipStream_tbDpT10_ENKUlT_T0_E_clISt17integral_constantIbLb1EES1B_IbLb0EEEEDaS17_S18_EUlS17_E_NS1_11comp_targetILNS1_3genE3ELNS1_11target_archE908ELNS1_3gpuE7ELNS1_3repE0EEENS1_30default_config_static_selectorELNS0_4arch9wavefront6targetE1EEEvT1_.kd
    .uniform_work_group_size: 1
    .uses_dynamic_stack: false
    .vgpr_count:     0
    .vgpr_spill_count: 0
    .wavefront_size: 64
  - .agpr_count:     0
    .args:
      - .offset:         0
        .size:           120
        .value_kind:     by_value
    .group_segment_fixed_size: 0
    .kernarg_segment_align: 8
    .kernarg_segment_size: 120
    .language:       OpenCL C
    .language_version:
      - 2
      - 0
    .max_flat_workgroup_size: 192
    .name:           _ZN7rocprim17ROCPRIM_400000_NS6detail17trampoline_kernelINS0_14default_configENS1_25partition_config_selectorILNS1_17partition_subalgoE9EllbEEZZNS1_14partition_implILS5_9ELb0ES3_jPlS8_PNS0_10empty_typeENS0_5tupleIJS8_S9_EEENSB_IJS8_SA_EEENS0_18inequality_wrapperIZN2at6native12_GLOBAL__N_124unique_dim_cuda_templateIN3c108BFloat16EEESt5tupleIJNSF_6TensorESM_SM_EERKSM_lbbbEUlllE0_EEPmJS9_EEE10hipError_tPvRmT3_T4_T5_T6_T7_T9_mT8_P12ihipStream_tbDpT10_ENKUlT_T0_E_clISt17integral_constantIbLb1EES1B_IbLb0EEEEDaS17_S18_EUlS17_E_NS1_11comp_targetILNS1_3genE2ELNS1_11target_archE906ELNS1_3gpuE6ELNS1_3repE0EEENS1_30default_config_static_selectorELNS0_4arch9wavefront6targetE1EEEvT1_
    .private_segment_fixed_size: 0
    .sgpr_count:     6
    .sgpr_spill_count: 0
    .symbol:         _ZN7rocprim17ROCPRIM_400000_NS6detail17trampoline_kernelINS0_14default_configENS1_25partition_config_selectorILNS1_17partition_subalgoE9EllbEEZZNS1_14partition_implILS5_9ELb0ES3_jPlS8_PNS0_10empty_typeENS0_5tupleIJS8_S9_EEENSB_IJS8_SA_EEENS0_18inequality_wrapperIZN2at6native12_GLOBAL__N_124unique_dim_cuda_templateIN3c108BFloat16EEESt5tupleIJNSF_6TensorESM_SM_EERKSM_lbbbEUlllE0_EEPmJS9_EEE10hipError_tPvRmT3_T4_T5_T6_T7_T9_mT8_P12ihipStream_tbDpT10_ENKUlT_T0_E_clISt17integral_constantIbLb1EES1B_IbLb0EEEEDaS17_S18_EUlS17_E_NS1_11comp_targetILNS1_3genE2ELNS1_11target_archE906ELNS1_3gpuE6ELNS1_3repE0EEENS1_30default_config_static_selectorELNS0_4arch9wavefront6targetE1EEEvT1_.kd
    .uniform_work_group_size: 1
    .uses_dynamic_stack: false
    .vgpr_count:     0
    .vgpr_spill_count: 0
    .wavefront_size: 64
  - .agpr_count:     0
    .args:
      - .offset:         0
        .size:           120
        .value_kind:     by_value
    .group_segment_fixed_size: 0
    .kernarg_segment_align: 8
    .kernarg_segment_size: 120
    .language:       OpenCL C
    .language_version:
      - 2
      - 0
    .max_flat_workgroup_size: 384
    .name:           _ZN7rocprim17ROCPRIM_400000_NS6detail17trampoline_kernelINS0_14default_configENS1_25partition_config_selectorILNS1_17partition_subalgoE9EllbEEZZNS1_14partition_implILS5_9ELb0ES3_jPlS8_PNS0_10empty_typeENS0_5tupleIJS8_S9_EEENSB_IJS8_SA_EEENS0_18inequality_wrapperIZN2at6native12_GLOBAL__N_124unique_dim_cuda_templateIN3c108BFloat16EEESt5tupleIJNSF_6TensorESM_SM_EERKSM_lbbbEUlllE0_EEPmJS9_EEE10hipError_tPvRmT3_T4_T5_T6_T7_T9_mT8_P12ihipStream_tbDpT10_ENKUlT_T0_E_clISt17integral_constantIbLb1EES1B_IbLb0EEEEDaS17_S18_EUlS17_E_NS1_11comp_targetILNS1_3genE10ELNS1_11target_archE1200ELNS1_3gpuE4ELNS1_3repE0EEENS1_30default_config_static_selectorELNS0_4arch9wavefront6targetE1EEEvT1_
    .private_segment_fixed_size: 0
    .sgpr_count:     6
    .sgpr_spill_count: 0
    .symbol:         _ZN7rocprim17ROCPRIM_400000_NS6detail17trampoline_kernelINS0_14default_configENS1_25partition_config_selectorILNS1_17partition_subalgoE9EllbEEZZNS1_14partition_implILS5_9ELb0ES3_jPlS8_PNS0_10empty_typeENS0_5tupleIJS8_S9_EEENSB_IJS8_SA_EEENS0_18inequality_wrapperIZN2at6native12_GLOBAL__N_124unique_dim_cuda_templateIN3c108BFloat16EEESt5tupleIJNSF_6TensorESM_SM_EERKSM_lbbbEUlllE0_EEPmJS9_EEE10hipError_tPvRmT3_T4_T5_T6_T7_T9_mT8_P12ihipStream_tbDpT10_ENKUlT_T0_E_clISt17integral_constantIbLb1EES1B_IbLb0EEEEDaS17_S18_EUlS17_E_NS1_11comp_targetILNS1_3genE10ELNS1_11target_archE1200ELNS1_3gpuE4ELNS1_3repE0EEENS1_30default_config_static_selectorELNS0_4arch9wavefront6targetE1EEEvT1_.kd
    .uniform_work_group_size: 1
    .uses_dynamic_stack: false
    .vgpr_count:     0
    .vgpr_spill_count: 0
    .wavefront_size: 64
  - .agpr_count:     0
    .args:
      - .offset:         0
        .size:           120
        .value_kind:     by_value
    .group_segment_fixed_size: 0
    .kernarg_segment_align: 8
    .kernarg_segment_size: 120
    .language:       OpenCL C
    .language_version:
      - 2
      - 0
    .max_flat_workgroup_size: 512
    .name:           _ZN7rocprim17ROCPRIM_400000_NS6detail17trampoline_kernelINS0_14default_configENS1_25partition_config_selectorILNS1_17partition_subalgoE9EllbEEZZNS1_14partition_implILS5_9ELb0ES3_jPlS8_PNS0_10empty_typeENS0_5tupleIJS8_S9_EEENSB_IJS8_SA_EEENS0_18inequality_wrapperIZN2at6native12_GLOBAL__N_124unique_dim_cuda_templateIN3c108BFloat16EEESt5tupleIJNSF_6TensorESM_SM_EERKSM_lbbbEUlllE0_EEPmJS9_EEE10hipError_tPvRmT3_T4_T5_T6_T7_T9_mT8_P12ihipStream_tbDpT10_ENKUlT_T0_E_clISt17integral_constantIbLb1EES1B_IbLb0EEEEDaS17_S18_EUlS17_E_NS1_11comp_targetILNS1_3genE9ELNS1_11target_archE1100ELNS1_3gpuE3ELNS1_3repE0EEENS1_30default_config_static_selectorELNS0_4arch9wavefront6targetE1EEEvT1_
    .private_segment_fixed_size: 0
    .sgpr_count:     6
    .sgpr_spill_count: 0
    .symbol:         _ZN7rocprim17ROCPRIM_400000_NS6detail17trampoline_kernelINS0_14default_configENS1_25partition_config_selectorILNS1_17partition_subalgoE9EllbEEZZNS1_14partition_implILS5_9ELb0ES3_jPlS8_PNS0_10empty_typeENS0_5tupleIJS8_S9_EEENSB_IJS8_SA_EEENS0_18inequality_wrapperIZN2at6native12_GLOBAL__N_124unique_dim_cuda_templateIN3c108BFloat16EEESt5tupleIJNSF_6TensorESM_SM_EERKSM_lbbbEUlllE0_EEPmJS9_EEE10hipError_tPvRmT3_T4_T5_T6_T7_T9_mT8_P12ihipStream_tbDpT10_ENKUlT_T0_E_clISt17integral_constantIbLb1EES1B_IbLb0EEEEDaS17_S18_EUlS17_E_NS1_11comp_targetILNS1_3genE9ELNS1_11target_archE1100ELNS1_3gpuE3ELNS1_3repE0EEENS1_30default_config_static_selectorELNS0_4arch9wavefront6targetE1EEEvT1_.kd
    .uniform_work_group_size: 1
    .uses_dynamic_stack: false
    .vgpr_count:     0
    .vgpr_spill_count: 0
    .wavefront_size: 64
  - .agpr_count:     0
    .args:
      - .offset:         0
        .size:           120
        .value_kind:     by_value
    .group_segment_fixed_size: 0
    .kernarg_segment_align: 8
    .kernarg_segment_size: 120
    .language:       OpenCL C
    .language_version:
      - 2
      - 0
    .max_flat_workgroup_size: 512
    .name:           _ZN7rocprim17ROCPRIM_400000_NS6detail17trampoline_kernelINS0_14default_configENS1_25partition_config_selectorILNS1_17partition_subalgoE9EllbEEZZNS1_14partition_implILS5_9ELb0ES3_jPlS8_PNS0_10empty_typeENS0_5tupleIJS8_S9_EEENSB_IJS8_SA_EEENS0_18inequality_wrapperIZN2at6native12_GLOBAL__N_124unique_dim_cuda_templateIN3c108BFloat16EEESt5tupleIJNSF_6TensorESM_SM_EERKSM_lbbbEUlllE0_EEPmJS9_EEE10hipError_tPvRmT3_T4_T5_T6_T7_T9_mT8_P12ihipStream_tbDpT10_ENKUlT_T0_E_clISt17integral_constantIbLb1EES1B_IbLb0EEEEDaS17_S18_EUlS17_E_NS1_11comp_targetILNS1_3genE8ELNS1_11target_archE1030ELNS1_3gpuE2ELNS1_3repE0EEENS1_30default_config_static_selectorELNS0_4arch9wavefront6targetE1EEEvT1_
    .private_segment_fixed_size: 0
    .sgpr_count:     6
    .sgpr_spill_count: 0
    .symbol:         _ZN7rocprim17ROCPRIM_400000_NS6detail17trampoline_kernelINS0_14default_configENS1_25partition_config_selectorILNS1_17partition_subalgoE9EllbEEZZNS1_14partition_implILS5_9ELb0ES3_jPlS8_PNS0_10empty_typeENS0_5tupleIJS8_S9_EEENSB_IJS8_SA_EEENS0_18inequality_wrapperIZN2at6native12_GLOBAL__N_124unique_dim_cuda_templateIN3c108BFloat16EEESt5tupleIJNSF_6TensorESM_SM_EERKSM_lbbbEUlllE0_EEPmJS9_EEE10hipError_tPvRmT3_T4_T5_T6_T7_T9_mT8_P12ihipStream_tbDpT10_ENKUlT_T0_E_clISt17integral_constantIbLb1EES1B_IbLb0EEEEDaS17_S18_EUlS17_E_NS1_11comp_targetILNS1_3genE8ELNS1_11target_archE1030ELNS1_3gpuE2ELNS1_3repE0EEENS1_30default_config_static_selectorELNS0_4arch9wavefront6targetE1EEEvT1_.kd
    .uniform_work_group_size: 1
    .uses_dynamic_stack: false
    .vgpr_count:     0
    .vgpr_spill_count: 0
    .wavefront_size: 64
  - .agpr_count:     0
    .args:
      - .offset:         0
        .size:           136
        .value_kind:     by_value
    .group_segment_fixed_size: 5128
    .kernarg_segment_align: 8
    .kernarg_segment_size: 136
    .language:       OpenCL C
    .language_version:
      - 2
      - 0
    .max_flat_workgroup_size: 128
    .name:           _ZN7rocprim17ROCPRIM_400000_NS6detail17trampoline_kernelINS0_14default_configENS1_25partition_config_selectorILNS1_17partition_subalgoE9EllbEEZZNS1_14partition_implILS5_9ELb0ES3_jPlS8_PNS0_10empty_typeENS0_5tupleIJS8_S9_EEENSB_IJS8_SA_EEENS0_18inequality_wrapperIZN2at6native12_GLOBAL__N_124unique_dim_cuda_templateIN3c108BFloat16EEESt5tupleIJNSF_6TensorESM_SM_EERKSM_lbbbEUlllE0_EEPmJS9_EEE10hipError_tPvRmT3_T4_T5_T6_T7_T9_mT8_P12ihipStream_tbDpT10_ENKUlT_T0_E_clISt17integral_constantIbLb0EES1B_IbLb1EEEEDaS17_S18_EUlS17_E_NS1_11comp_targetILNS1_3genE0ELNS1_11target_archE4294967295ELNS1_3gpuE0ELNS1_3repE0EEENS1_30default_config_static_selectorELNS0_4arch9wavefront6targetE1EEEvT1_
    .private_segment_fixed_size: 0
    .sgpr_count:     58
    .sgpr_spill_count: 0
    .symbol:         _ZN7rocprim17ROCPRIM_400000_NS6detail17trampoline_kernelINS0_14default_configENS1_25partition_config_selectorILNS1_17partition_subalgoE9EllbEEZZNS1_14partition_implILS5_9ELb0ES3_jPlS8_PNS0_10empty_typeENS0_5tupleIJS8_S9_EEENSB_IJS8_SA_EEENS0_18inequality_wrapperIZN2at6native12_GLOBAL__N_124unique_dim_cuda_templateIN3c108BFloat16EEESt5tupleIJNSF_6TensorESM_SM_EERKSM_lbbbEUlllE0_EEPmJS9_EEE10hipError_tPvRmT3_T4_T5_T6_T7_T9_mT8_P12ihipStream_tbDpT10_ENKUlT_T0_E_clISt17integral_constantIbLb0EES1B_IbLb1EEEEDaS17_S18_EUlS17_E_NS1_11comp_targetILNS1_3genE0ELNS1_11target_archE4294967295ELNS1_3gpuE0ELNS1_3repE0EEENS1_30default_config_static_selectorELNS0_4arch9wavefront6targetE1EEEvT1_.kd
    .uniform_work_group_size: 1
    .uses_dynamic_stack: false
    .vgpr_count:     60
    .vgpr_spill_count: 0
    .wavefront_size: 64
  - .agpr_count:     0
    .args:
      - .offset:         0
        .size:           136
        .value_kind:     by_value
    .group_segment_fixed_size: 0
    .kernarg_segment_align: 8
    .kernarg_segment_size: 136
    .language:       OpenCL C
    .language_version:
      - 2
      - 0
    .max_flat_workgroup_size: 512
    .name:           _ZN7rocprim17ROCPRIM_400000_NS6detail17trampoline_kernelINS0_14default_configENS1_25partition_config_selectorILNS1_17partition_subalgoE9EllbEEZZNS1_14partition_implILS5_9ELb0ES3_jPlS8_PNS0_10empty_typeENS0_5tupleIJS8_S9_EEENSB_IJS8_SA_EEENS0_18inequality_wrapperIZN2at6native12_GLOBAL__N_124unique_dim_cuda_templateIN3c108BFloat16EEESt5tupleIJNSF_6TensorESM_SM_EERKSM_lbbbEUlllE0_EEPmJS9_EEE10hipError_tPvRmT3_T4_T5_T6_T7_T9_mT8_P12ihipStream_tbDpT10_ENKUlT_T0_E_clISt17integral_constantIbLb0EES1B_IbLb1EEEEDaS17_S18_EUlS17_E_NS1_11comp_targetILNS1_3genE5ELNS1_11target_archE942ELNS1_3gpuE9ELNS1_3repE0EEENS1_30default_config_static_selectorELNS0_4arch9wavefront6targetE1EEEvT1_
    .private_segment_fixed_size: 0
    .sgpr_count:     6
    .sgpr_spill_count: 0
    .symbol:         _ZN7rocprim17ROCPRIM_400000_NS6detail17trampoline_kernelINS0_14default_configENS1_25partition_config_selectorILNS1_17partition_subalgoE9EllbEEZZNS1_14partition_implILS5_9ELb0ES3_jPlS8_PNS0_10empty_typeENS0_5tupleIJS8_S9_EEENSB_IJS8_SA_EEENS0_18inequality_wrapperIZN2at6native12_GLOBAL__N_124unique_dim_cuda_templateIN3c108BFloat16EEESt5tupleIJNSF_6TensorESM_SM_EERKSM_lbbbEUlllE0_EEPmJS9_EEE10hipError_tPvRmT3_T4_T5_T6_T7_T9_mT8_P12ihipStream_tbDpT10_ENKUlT_T0_E_clISt17integral_constantIbLb0EES1B_IbLb1EEEEDaS17_S18_EUlS17_E_NS1_11comp_targetILNS1_3genE5ELNS1_11target_archE942ELNS1_3gpuE9ELNS1_3repE0EEENS1_30default_config_static_selectorELNS0_4arch9wavefront6targetE1EEEvT1_.kd
    .uniform_work_group_size: 1
    .uses_dynamic_stack: false
    .vgpr_count:     0
    .vgpr_spill_count: 0
    .wavefront_size: 64
  - .agpr_count:     0
    .args:
      - .offset:         0
        .size:           136
        .value_kind:     by_value
    .group_segment_fixed_size: 0
    .kernarg_segment_align: 8
    .kernarg_segment_size: 136
    .language:       OpenCL C
    .language_version:
      - 2
      - 0
    .max_flat_workgroup_size: 128
    .name:           _ZN7rocprim17ROCPRIM_400000_NS6detail17trampoline_kernelINS0_14default_configENS1_25partition_config_selectorILNS1_17partition_subalgoE9EllbEEZZNS1_14partition_implILS5_9ELb0ES3_jPlS8_PNS0_10empty_typeENS0_5tupleIJS8_S9_EEENSB_IJS8_SA_EEENS0_18inequality_wrapperIZN2at6native12_GLOBAL__N_124unique_dim_cuda_templateIN3c108BFloat16EEESt5tupleIJNSF_6TensorESM_SM_EERKSM_lbbbEUlllE0_EEPmJS9_EEE10hipError_tPvRmT3_T4_T5_T6_T7_T9_mT8_P12ihipStream_tbDpT10_ENKUlT_T0_E_clISt17integral_constantIbLb0EES1B_IbLb1EEEEDaS17_S18_EUlS17_E_NS1_11comp_targetILNS1_3genE4ELNS1_11target_archE910ELNS1_3gpuE8ELNS1_3repE0EEENS1_30default_config_static_selectorELNS0_4arch9wavefront6targetE1EEEvT1_
    .private_segment_fixed_size: 0
    .sgpr_count:     6
    .sgpr_spill_count: 0
    .symbol:         _ZN7rocprim17ROCPRIM_400000_NS6detail17trampoline_kernelINS0_14default_configENS1_25partition_config_selectorILNS1_17partition_subalgoE9EllbEEZZNS1_14partition_implILS5_9ELb0ES3_jPlS8_PNS0_10empty_typeENS0_5tupleIJS8_S9_EEENSB_IJS8_SA_EEENS0_18inequality_wrapperIZN2at6native12_GLOBAL__N_124unique_dim_cuda_templateIN3c108BFloat16EEESt5tupleIJNSF_6TensorESM_SM_EERKSM_lbbbEUlllE0_EEPmJS9_EEE10hipError_tPvRmT3_T4_T5_T6_T7_T9_mT8_P12ihipStream_tbDpT10_ENKUlT_T0_E_clISt17integral_constantIbLb0EES1B_IbLb1EEEEDaS17_S18_EUlS17_E_NS1_11comp_targetILNS1_3genE4ELNS1_11target_archE910ELNS1_3gpuE8ELNS1_3repE0EEENS1_30default_config_static_selectorELNS0_4arch9wavefront6targetE1EEEvT1_.kd
    .uniform_work_group_size: 1
    .uses_dynamic_stack: false
    .vgpr_count:     0
    .vgpr_spill_count: 0
    .wavefront_size: 64
  - .agpr_count:     0
    .args:
      - .offset:         0
        .size:           136
        .value_kind:     by_value
    .group_segment_fixed_size: 0
    .kernarg_segment_align: 8
    .kernarg_segment_size: 136
    .language:       OpenCL C
    .language_version:
      - 2
      - 0
    .max_flat_workgroup_size: 128
    .name:           _ZN7rocprim17ROCPRIM_400000_NS6detail17trampoline_kernelINS0_14default_configENS1_25partition_config_selectorILNS1_17partition_subalgoE9EllbEEZZNS1_14partition_implILS5_9ELb0ES3_jPlS8_PNS0_10empty_typeENS0_5tupleIJS8_S9_EEENSB_IJS8_SA_EEENS0_18inequality_wrapperIZN2at6native12_GLOBAL__N_124unique_dim_cuda_templateIN3c108BFloat16EEESt5tupleIJNSF_6TensorESM_SM_EERKSM_lbbbEUlllE0_EEPmJS9_EEE10hipError_tPvRmT3_T4_T5_T6_T7_T9_mT8_P12ihipStream_tbDpT10_ENKUlT_T0_E_clISt17integral_constantIbLb0EES1B_IbLb1EEEEDaS17_S18_EUlS17_E_NS1_11comp_targetILNS1_3genE3ELNS1_11target_archE908ELNS1_3gpuE7ELNS1_3repE0EEENS1_30default_config_static_selectorELNS0_4arch9wavefront6targetE1EEEvT1_
    .private_segment_fixed_size: 0
    .sgpr_count:     6
    .sgpr_spill_count: 0
    .symbol:         _ZN7rocprim17ROCPRIM_400000_NS6detail17trampoline_kernelINS0_14default_configENS1_25partition_config_selectorILNS1_17partition_subalgoE9EllbEEZZNS1_14partition_implILS5_9ELb0ES3_jPlS8_PNS0_10empty_typeENS0_5tupleIJS8_S9_EEENSB_IJS8_SA_EEENS0_18inequality_wrapperIZN2at6native12_GLOBAL__N_124unique_dim_cuda_templateIN3c108BFloat16EEESt5tupleIJNSF_6TensorESM_SM_EERKSM_lbbbEUlllE0_EEPmJS9_EEE10hipError_tPvRmT3_T4_T5_T6_T7_T9_mT8_P12ihipStream_tbDpT10_ENKUlT_T0_E_clISt17integral_constantIbLb0EES1B_IbLb1EEEEDaS17_S18_EUlS17_E_NS1_11comp_targetILNS1_3genE3ELNS1_11target_archE908ELNS1_3gpuE7ELNS1_3repE0EEENS1_30default_config_static_selectorELNS0_4arch9wavefront6targetE1EEEvT1_.kd
    .uniform_work_group_size: 1
    .uses_dynamic_stack: false
    .vgpr_count:     0
    .vgpr_spill_count: 0
    .wavefront_size: 64
  - .agpr_count:     0
    .args:
      - .offset:         0
        .size:           136
        .value_kind:     by_value
    .group_segment_fixed_size: 0
    .kernarg_segment_align: 8
    .kernarg_segment_size: 136
    .language:       OpenCL C
    .language_version:
      - 2
      - 0
    .max_flat_workgroup_size: 192
    .name:           _ZN7rocprim17ROCPRIM_400000_NS6detail17trampoline_kernelINS0_14default_configENS1_25partition_config_selectorILNS1_17partition_subalgoE9EllbEEZZNS1_14partition_implILS5_9ELb0ES3_jPlS8_PNS0_10empty_typeENS0_5tupleIJS8_S9_EEENSB_IJS8_SA_EEENS0_18inequality_wrapperIZN2at6native12_GLOBAL__N_124unique_dim_cuda_templateIN3c108BFloat16EEESt5tupleIJNSF_6TensorESM_SM_EERKSM_lbbbEUlllE0_EEPmJS9_EEE10hipError_tPvRmT3_T4_T5_T6_T7_T9_mT8_P12ihipStream_tbDpT10_ENKUlT_T0_E_clISt17integral_constantIbLb0EES1B_IbLb1EEEEDaS17_S18_EUlS17_E_NS1_11comp_targetILNS1_3genE2ELNS1_11target_archE906ELNS1_3gpuE6ELNS1_3repE0EEENS1_30default_config_static_selectorELNS0_4arch9wavefront6targetE1EEEvT1_
    .private_segment_fixed_size: 0
    .sgpr_count:     6
    .sgpr_spill_count: 0
    .symbol:         _ZN7rocprim17ROCPRIM_400000_NS6detail17trampoline_kernelINS0_14default_configENS1_25partition_config_selectorILNS1_17partition_subalgoE9EllbEEZZNS1_14partition_implILS5_9ELb0ES3_jPlS8_PNS0_10empty_typeENS0_5tupleIJS8_S9_EEENSB_IJS8_SA_EEENS0_18inequality_wrapperIZN2at6native12_GLOBAL__N_124unique_dim_cuda_templateIN3c108BFloat16EEESt5tupleIJNSF_6TensorESM_SM_EERKSM_lbbbEUlllE0_EEPmJS9_EEE10hipError_tPvRmT3_T4_T5_T6_T7_T9_mT8_P12ihipStream_tbDpT10_ENKUlT_T0_E_clISt17integral_constantIbLb0EES1B_IbLb1EEEEDaS17_S18_EUlS17_E_NS1_11comp_targetILNS1_3genE2ELNS1_11target_archE906ELNS1_3gpuE6ELNS1_3repE0EEENS1_30default_config_static_selectorELNS0_4arch9wavefront6targetE1EEEvT1_.kd
    .uniform_work_group_size: 1
    .uses_dynamic_stack: false
    .vgpr_count:     0
    .vgpr_spill_count: 0
    .wavefront_size: 64
  - .agpr_count:     0
    .args:
      - .offset:         0
        .size:           136
        .value_kind:     by_value
    .group_segment_fixed_size: 0
    .kernarg_segment_align: 8
    .kernarg_segment_size: 136
    .language:       OpenCL C
    .language_version:
      - 2
      - 0
    .max_flat_workgroup_size: 384
    .name:           _ZN7rocprim17ROCPRIM_400000_NS6detail17trampoline_kernelINS0_14default_configENS1_25partition_config_selectorILNS1_17partition_subalgoE9EllbEEZZNS1_14partition_implILS5_9ELb0ES3_jPlS8_PNS0_10empty_typeENS0_5tupleIJS8_S9_EEENSB_IJS8_SA_EEENS0_18inequality_wrapperIZN2at6native12_GLOBAL__N_124unique_dim_cuda_templateIN3c108BFloat16EEESt5tupleIJNSF_6TensorESM_SM_EERKSM_lbbbEUlllE0_EEPmJS9_EEE10hipError_tPvRmT3_T4_T5_T6_T7_T9_mT8_P12ihipStream_tbDpT10_ENKUlT_T0_E_clISt17integral_constantIbLb0EES1B_IbLb1EEEEDaS17_S18_EUlS17_E_NS1_11comp_targetILNS1_3genE10ELNS1_11target_archE1200ELNS1_3gpuE4ELNS1_3repE0EEENS1_30default_config_static_selectorELNS0_4arch9wavefront6targetE1EEEvT1_
    .private_segment_fixed_size: 0
    .sgpr_count:     6
    .sgpr_spill_count: 0
    .symbol:         _ZN7rocprim17ROCPRIM_400000_NS6detail17trampoline_kernelINS0_14default_configENS1_25partition_config_selectorILNS1_17partition_subalgoE9EllbEEZZNS1_14partition_implILS5_9ELb0ES3_jPlS8_PNS0_10empty_typeENS0_5tupleIJS8_S9_EEENSB_IJS8_SA_EEENS0_18inequality_wrapperIZN2at6native12_GLOBAL__N_124unique_dim_cuda_templateIN3c108BFloat16EEESt5tupleIJNSF_6TensorESM_SM_EERKSM_lbbbEUlllE0_EEPmJS9_EEE10hipError_tPvRmT3_T4_T5_T6_T7_T9_mT8_P12ihipStream_tbDpT10_ENKUlT_T0_E_clISt17integral_constantIbLb0EES1B_IbLb1EEEEDaS17_S18_EUlS17_E_NS1_11comp_targetILNS1_3genE10ELNS1_11target_archE1200ELNS1_3gpuE4ELNS1_3repE0EEENS1_30default_config_static_selectorELNS0_4arch9wavefront6targetE1EEEvT1_.kd
    .uniform_work_group_size: 1
    .uses_dynamic_stack: false
    .vgpr_count:     0
    .vgpr_spill_count: 0
    .wavefront_size: 64
  - .agpr_count:     0
    .args:
      - .offset:         0
        .size:           136
        .value_kind:     by_value
    .group_segment_fixed_size: 0
    .kernarg_segment_align: 8
    .kernarg_segment_size: 136
    .language:       OpenCL C
    .language_version:
      - 2
      - 0
    .max_flat_workgroup_size: 512
    .name:           _ZN7rocprim17ROCPRIM_400000_NS6detail17trampoline_kernelINS0_14default_configENS1_25partition_config_selectorILNS1_17partition_subalgoE9EllbEEZZNS1_14partition_implILS5_9ELb0ES3_jPlS8_PNS0_10empty_typeENS0_5tupleIJS8_S9_EEENSB_IJS8_SA_EEENS0_18inequality_wrapperIZN2at6native12_GLOBAL__N_124unique_dim_cuda_templateIN3c108BFloat16EEESt5tupleIJNSF_6TensorESM_SM_EERKSM_lbbbEUlllE0_EEPmJS9_EEE10hipError_tPvRmT3_T4_T5_T6_T7_T9_mT8_P12ihipStream_tbDpT10_ENKUlT_T0_E_clISt17integral_constantIbLb0EES1B_IbLb1EEEEDaS17_S18_EUlS17_E_NS1_11comp_targetILNS1_3genE9ELNS1_11target_archE1100ELNS1_3gpuE3ELNS1_3repE0EEENS1_30default_config_static_selectorELNS0_4arch9wavefront6targetE1EEEvT1_
    .private_segment_fixed_size: 0
    .sgpr_count:     6
    .sgpr_spill_count: 0
    .symbol:         _ZN7rocprim17ROCPRIM_400000_NS6detail17trampoline_kernelINS0_14default_configENS1_25partition_config_selectorILNS1_17partition_subalgoE9EllbEEZZNS1_14partition_implILS5_9ELb0ES3_jPlS8_PNS0_10empty_typeENS0_5tupleIJS8_S9_EEENSB_IJS8_SA_EEENS0_18inequality_wrapperIZN2at6native12_GLOBAL__N_124unique_dim_cuda_templateIN3c108BFloat16EEESt5tupleIJNSF_6TensorESM_SM_EERKSM_lbbbEUlllE0_EEPmJS9_EEE10hipError_tPvRmT3_T4_T5_T6_T7_T9_mT8_P12ihipStream_tbDpT10_ENKUlT_T0_E_clISt17integral_constantIbLb0EES1B_IbLb1EEEEDaS17_S18_EUlS17_E_NS1_11comp_targetILNS1_3genE9ELNS1_11target_archE1100ELNS1_3gpuE3ELNS1_3repE0EEENS1_30default_config_static_selectorELNS0_4arch9wavefront6targetE1EEEvT1_.kd
    .uniform_work_group_size: 1
    .uses_dynamic_stack: false
    .vgpr_count:     0
    .vgpr_spill_count: 0
    .wavefront_size: 64
  - .agpr_count:     0
    .args:
      - .offset:         0
        .size:           136
        .value_kind:     by_value
    .group_segment_fixed_size: 0
    .kernarg_segment_align: 8
    .kernarg_segment_size: 136
    .language:       OpenCL C
    .language_version:
      - 2
      - 0
    .max_flat_workgroup_size: 512
    .name:           _ZN7rocprim17ROCPRIM_400000_NS6detail17trampoline_kernelINS0_14default_configENS1_25partition_config_selectorILNS1_17partition_subalgoE9EllbEEZZNS1_14partition_implILS5_9ELb0ES3_jPlS8_PNS0_10empty_typeENS0_5tupleIJS8_S9_EEENSB_IJS8_SA_EEENS0_18inequality_wrapperIZN2at6native12_GLOBAL__N_124unique_dim_cuda_templateIN3c108BFloat16EEESt5tupleIJNSF_6TensorESM_SM_EERKSM_lbbbEUlllE0_EEPmJS9_EEE10hipError_tPvRmT3_T4_T5_T6_T7_T9_mT8_P12ihipStream_tbDpT10_ENKUlT_T0_E_clISt17integral_constantIbLb0EES1B_IbLb1EEEEDaS17_S18_EUlS17_E_NS1_11comp_targetILNS1_3genE8ELNS1_11target_archE1030ELNS1_3gpuE2ELNS1_3repE0EEENS1_30default_config_static_selectorELNS0_4arch9wavefront6targetE1EEEvT1_
    .private_segment_fixed_size: 0
    .sgpr_count:     6
    .sgpr_spill_count: 0
    .symbol:         _ZN7rocprim17ROCPRIM_400000_NS6detail17trampoline_kernelINS0_14default_configENS1_25partition_config_selectorILNS1_17partition_subalgoE9EllbEEZZNS1_14partition_implILS5_9ELb0ES3_jPlS8_PNS0_10empty_typeENS0_5tupleIJS8_S9_EEENSB_IJS8_SA_EEENS0_18inequality_wrapperIZN2at6native12_GLOBAL__N_124unique_dim_cuda_templateIN3c108BFloat16EEESt5tupleIJNSF_6TensorESM_SM_EERKSM_lbbbEUlllE0_EEPmJS9_EEE10hipError_tPvRmT3_T4_T5_T6_T7_T9_mT8_P12ihipStream_tbDpT10_ENKUlT_T0_E_clISt17integral_constantIbLb0EES1B_IbLb1EEEEDaS17_S18_EUlS17_E_NS1_11comp_targetILNS1_3genE8ELNS1_11target_archE1030ELNS1_3gpuE2ELNS1_3repE0EEENS1_30default_config_static_selectorELNS0_4arch9wavefront6targetE1EEEvT1_.kd
    .uniform_work_group_size: 1
    .uses_dynamic_stack: false
    .vgpr_count:     0
    .vgpr_spill_count: 0
    .wavefront_size: 64
  - .agpr_count:     0
    .args:
      - .offset:         0
        .size:           72
        .value_kind:     by_value
      - .offset:         72
        .size:           4
        .value_kind:     hidden_block_count_x
      - .offset:         76
        .size:           4
        .value_kind:     hidden_block_count_y
      - .offset:         80
        .size:           4
        .value_kind:     hidden_block_count_z
      - .offset:         84
        .size:           2
        .value_kind:     hidden_group_size_x
      - .offset:         86
        .size:           2
        .value_kind:     hidden_group_size_y
      - .offset:         88
        .size:           2
        .value_kind:     hidden_group_size_z
      - .offset:         90
        .size:           2
        .value_kind:     hidden_remainder_x
      - .offset:         92
        .size:           2
        .value_kind:     hidden_remainder_y
      - .offset:         94
        .size:           2
        .value_kind:     hidden_remainder_z
      - .offset:         112
        .size:           8
        .value_kind:     hidden_global_offset_x
      - .offset:         120
        .size:           8
        .value_kind:     hidden_global_offset_y
      - .offset:         128
        .size:           8
        .value_kind:     hidden_global_offset_z
      - .offset:         136
        .size:           2
        .value_kind:     hidden_grid_dims
      - .offset:         152
        .size:           8
        .value_kind:     hidden_hostcall_buffer
      - .offset:         160
        .size:           8
        .value_kind:     hidden_multigrid_sync_arg
      - .offset:         168
        .size:           8
        .value_kind:     hidden_heap_v1
      - .offset:         176
        .size:           8
        .value_kind:     hidden_default_queue
      - .offset:         184
        .size:           8
        .value_kind:     hidden_completion_action
      - .offset:         272
        .size:           8
        .value_kind:     hidden_queue_ptr
    .group_segment_fixed_size: 16896
    .kernarg_segment_align: 8
    .kernarg_segment_size: 328
    .language:       OpenCL C
    .language_version:
      - 2
      - 0
    .max_flat_workgroup_size: 256
    .name:           _ZN7rocprim17ROCPRIM_400000_NS6detail17trampoline_kernelINS0_14default_configENS1_37merge_sort_block_sort_config_selectorIlNS0_10empty_typeEEEZNS1_21merge_sort_block_sortIS3_PlS8_PS5_S9_ZN2at6native12_GLOBAL__N_124unique_dim_cuda_templateIN3c104HalfEEESt5tupleIJNSA_6TensorESH_SH_EERKSH_lbbbEUlllE_EE10hipError_tT0_T1_T2_T3_mRjT4_P12ihipStream_tbNS1_7vsmem_tEEUlT_E_NS1_11comp_targetILNS1_3genE0ELNS1_11target_archE4294967295ELNS1_3gpuE0ELNS1_3repE0EEENS1_30default_config_static_selectorELNS0_4arch9wavefront6targetE1EEEvSO_
    .private_segment_fixed_size: 8
    .sgpr_count:     102
    .sgpr_spill_count: 0
    .symbol:         _ZN7rocprim17ROCPRIM_400000_NS6detail17trampoline_kernelINS0_14default_configENS1_37merge_sort_block_sort_config_selectorIlNS0_10empty_typeEEEZNS1_21merge_sort_block_sortIS3_PlS8_PS5_S9_ZN2at6native12_GLOBAL__N_124unique_dim_cuda_templateIN3c104HalfEEESt5tupleIJNSA_6TensorESH_SH_EERKSH_lbbbEUlllE_EE10hipError_tT0_T1_T2_T3_mRjT4_P12ihipStream_tbNS1_7vsmem_tEEUlT_E_NS1_11comp_targetILNS1_3genE0ELNS1_11target_archE4294967295ELNS1_3gpuE0ELNS1_3repE0EEENS1_30default_config_static_selectorELNS0_4arch9wavefront6targetE1EEEvSO_.kd
    .uniform_work_group_size: 1
    .uses_dynamic_stack: false
    .vgpr_count:     119
    .vgpr_spill_count: 0
    .wavefront_size: 64
  - .agpr_count:     0
    .args:
      - .offset:         0
        .size:           72
        .value_kind:     by_value
    .group_segment_fixed_size: 0
    .kernarg_segment_align: 8
    .kernarg_segment_size: 72
    .language:       OpenCL C
    .language_version:
      - 2
      - 0
    .max_flat_workgroup_size: 256
    .name:           _ZN7rocprim17ROCPRIM_400000_NS6detail17trampoline_kernelINS0_14default_configENS1_37merge_sort_block_sort_config_selectorIlNS0_10empty_typeEEEZNS1_21merge_sort_block_sortIS3_PlS8_PS5_S9_ZN2at6native12_GLOBAL__N_124unique_dim_cuda_templateIN3c104HalfEEESt5tupleIJNSA_6TensorESH_SH_EERKSH_lbbbEUlllE_EE10hipError_tT0_T1_T2_T3_mRjT4_P12ihipStream_tbNS1_7vsmem_tEEUlT_E_NS1_11comp_targetILNS1_3genE5ELNS1_11target_archE942ELNS1_3gpuE9ELNS1_3repE0EEENS1_30default_config_static_selectorELNS0_4arch9wavefront6targetE1EEEvSO_
    .private_segment_fixed_size: 0
    .sgpr_count:     6
    .sgpr_spill_count: 0
    .symbol:         _ZN7rocprim17ROCPRIM_400000_NS6detail17trampoline_kernelINS0_14default_configENS1_37merge_sort_block_sort_config_selectorIlNS0_10empty_typeEEEZNS1_21merge_sort_block_sortIS3_PlS8_PS5_S9_ZN2at6native12_GLOBAL__N_124unique_dim_cuda_templateIN3c104HalfEEESt5tupleIJNSA_6TensorESH_SH_EERKSH_lbbbEUlllE_EE10hipError_tT0_T1_T2_T3_mRjT4_P12ihipStream_tbNS1_7vsmem_tEEUlT_E_NS1_11comp_targetILNS1_3genE5ELNS1_11target_archE942ELNS1_3gpuE9ELNS1_3repE0EEENS1_30default_config_static_selectorELNS0_4arch9wavefront6targetE1EEEvSO_.kd
    .uniform_work_group_size: 1
    .uses_dynamic_stack: false
    .vgpr_count:     0
    .vgpr_spill_count: 0
    .wavefront_size: 64
  - .agpr_count:     0
    .args:
      - .offset:         0
        .size:           72
        .value_kind:     by_value
    .group_segment_fixed_size: 0
    .kernarg_segment_align: 8
    .kernarg_segment_size: 72
    .language:       OpenCL C
    .language_version:
      - 2
      - 0
    .max_flat_workgroup_size: 256
    .name:           _ZN7rocprim17ROCPRIM_400000_NS6detail17trampoline_kernelINS0_14default_configENS1_37merge_sort_block_sort_config_selectorIlNS0_10empty_typeEEEZNS1_21merge_sort_block_sortIS3_PlS8_PS5_S9_ZN2at6native12_GLOBAL__N_124unique_dim_cuda_templateIN3c104HalfEEESt5tupleIJNSA_6TensorESH_SH_EERKSH_lbbbEUlllE_EE10hipError_tT0_T1_T2_T3_mRjT4_P12ihipStream_tbNS1_7vsmem_tEEUlT_E_NS1_11comp_targetILNS1_3genE4ELNS1_11target_archE910ELNS1_3gpuE8ELNS1_3repE0EEENS1_30default_config_static_selectorELNS0_4arch9wavefront6targetE1EEEvSO_
    .private_segment_fixed_size: 0
    .sgpr_count:     6
    .sgpr_spill_count: 0
    .symbol:         _ZN7rocprim17ROCPRIM_400000_NS6detail17trampoline_kernelINS0_14default_configENS1_37merge_sort_block_sort_config_selectorIlNS0_10empty_typeEEEZNS1_21merge_sort_block_sortIS3_PlS8_PS5_S9_ZN2at6native12_GLOBAL__N_124unique_dim_cuda_templateIN3c104HalfEEESt5tupleIJNSA_6TensorESH_SH_EERKSH_lbbbEUlllE_EE10hipError_tT0_T1_T2_T3_mRjT4_P12ihipStream_tbNS1_7vsmem_tEEUlT_E_NS1_11comp_targetILNS1_3genE4ELNS1_11target_archE910ELNS1_3gpuE8ELNS1_3repE0EEENS1_30default_config_static_selectorELNS0_4arch9wavefront6targetE1EEEvSO_.kd
    .uniform_work_group_size: 1
    .uses_dynamic_stack: false
    .vgpr_count:     0
    .vgpr_spill_count: 0
    .wavefront_size: 64
  - .agpr_count:     0
    .args:
      - .offset:         0
        .size:           72
        .value_kind:     by_value
    .group_segment_fixed_size: 0
    .kernarg_segment_align: 8
    .kernarg_segment_size: 72
    .language:       OpenCL C
    .language_version:
      - 2
      - 0
    .max_flat_workgroup_size: 256
    .name:           _ZN7rocprim17ROCPRIM_400000_NS6detail17trampoline_kernelINS0_14default_configENS1_37merge_sort_block_sort_config_selectorIlNS0_10empty_typeEEEZNS1_21merge_sort_block_sortIS3_PlS8_PS5_S9_ZN2at6native12_GLOBAL__N_124unique_dim_cuda_templateIN3c104HalfEEESt5tupleIJNSA_6TensorESH_SH_EERKSH_lbbbEUlllE_EE10hipError_tT0_T1_T2_T3_mRjT4_P12ihipStream_tbNS1_7vsmem_tEEUlT_E_NS1_11comp_targetILNS1_3genE3ELNS1_11target_archE908ELNS1_3gpuE7ELNS1_3repE0EEENS1_30default_config_static_selectorELNS0_4arch9wavefront6targetE1EEEvSO_
    .private_segment_fixed_size: 0
    .sgpr_count:     6
    .sgpr_spill_count: 0
    .symbol:         _ZN7rocprim17ROCPRIM_400000_NS6detail17trampoline_kernelINS0_14default_configENS1_37merge_sort_block_sort_config_selectorIlNS0_10empty_typeEEEZNS1_21merge_sort_block_sortIS3_PlS8_PS5_S9_ZN2at6native12_GLOBAL__N_124unique_dim_cuda_templateIN3c104HalfEEESt5tupleIJNSA_6TensorESH_SH_EERKSH_lbbbEUlllE_EE10hipError_tT0_T1_T2_T3_mRjT4_P12ihipStream_tbNS1_7vsmem_tEEUlT_E_NS1_11comp_targetILNS1_3genE3ELNS1_11target_archE908ELNS1_3gpuE7ELNS1_3repE0EEENS1_30default_config_static_selectorELNS0_4arch9wavefront6targetE1EEEvSO_.kd
    .uniform_work_group_size: 1
    .uses_dynamic_stack: false
    .vgpr_count:     0
    .vgpr_spill_count: 0
    .wavefront_size: 64
  - .agpr_count:     0
    .args:
      - .offset:         0
        .size:           72
        .value_kind:     by_value
    .group_segment_fixed_size: 0
    .kernarg_segment_align: 8
    .kernarg_segment_size: 72
    .language:       OpenCL C
    .language_version:
      - 2
      - 0
    .max_flat_workgroup_size: 256
    .name:           _ZN7rocprim17ROCPRIM_400000_NS6detail17trampoline_kernelINS0_14default_configENS1_37merge_sort_block_sort_config_selectorIlNS0_10empty_typeEEEZNS1_21merge_sort_block_sortIS3_PlS8_PS5_S9_ZN2at6native12_GLOBAL__N_124unique_dim_cuda_templateIN3c104HalfEEESt5tupleIJNSA_6TensorESH_SH_EERKSH_lbbbEUlllE_EE10hipError_tT0_T1_T2_T3_mRjT4_P12ihipStream_tbNS1_7vsmem_tEEUlT_E_NS1_11comp_targetILNS1_3genE2ELNS1_11target_archE906ELNS1_3gpuE6ELNS1_3repE0EEENS1_30default_config_static_selectorELNS0_4arch9wavefront6targetE1EEEvSO_
    .private_segment_fixed_size: 0
    .sgpr_count:     6
    .sgpr_spill_count: 0
    .symbol:         _ZN7rocprim17ROCPRIM_400000_NS6detail17trampoline_kernelINS0_14default_configENS1_37merge_sort_block_sort_config_selectorIlNS0_10empty_typeEEEZNS1_21merge_sort_block_sortIS3_PlS8_PS5_S9_ZN2at6native12_GLOBAL__N_124unique_dim_cuda_templateIN3c104HalfEEESt5tupleIJNSA_6TensorESH_SH_EERKSH_lbbbEUlllE_EE10hipError_tT0_T1_T2_T3_mRjT4_P12ihipStream_tbNS1_7vsmem_tEEUlT_E_NS1_11comp_targetILNS1_3genE2ELNS1_11target_archE906ELNS1_3gpuE6ELNS1_3repE0EEENS1_30default_config_static_selectorELNS0_4arch9wavefront6targetE1EEEvSO_.kd
    .uniform_work_group_size: 1
    .uses_dynamic_stack: false
    .vgpr_count:     0
    .vgpr_spill_count: 0
    .wavefront_size: 64
  - .agpr_count:     0
    .args:
      - .offset:         0
        .size:           72
        .value_kind:     by_value
    .group_segment_fixed_size: 0
    .kernarg_segment_align: 8
    .kernarg_segment_size: 72
    .language:       OpenCL C
    .language_version:
      - 2
      - 0
    .max_flat_workgroup_size: 256
    .name:           _ZN7rocprim17ROCPRIM_400000_NS6detail17trampoline_kernelINS0_14default_configENS1_37merge_sort_block_sort_config_selectorIlNS0_10empty_typeEEEZNS1_21merge_sort_block_sortIS3_PlS8_PS5_S9_ZN2at6native12_GLOBAL__N_124unique_dim_cuda_templateIN3c104HalfEEESt5tupleIJNSA_6TensorESH_SH_EERKSH_lbbbEUlllE_EE10hipError_tT0_T1_T2_T3_mRjT4_P12ihipStream_tbNS1_7vsmem_tEEUlT_E_NS1_11comp_targetILNS1_3genE10ELNS1_11target_archE1201ELNS1_3gpuE5ELNS1_3repE0EEENS1_30default_config_static_selectorELNS0_4arch9wavefront6targetE1EEEvSO_
    .private_segment_fixed_size: 0
    .sgpr_count:     6
    .sgpr_spill_count: 0
    .symbol:         _ZN7rocprim17ROCPRIM_400000_NS6detail17trampoline_kernelINS0_14default_configENS1_37merge_sort_block_sort_config_selectorIlNS0_10empty_typeEEEZNS1_21merge_sort_block_sortIS3_PlS8_PS5_S9_ZN2at6native12_GLOBAL__N_124unique_dim_cuda_templateIN3c104HalfEEESt5tupleIJNSA_6TensorESH_SH_EERKSH_lbbbEUlllE_EE10hipError_tT0_T1_T2_T3_mRjT4_P12ihipStream_tbNS1_7vsmem_tEEUlT_E_NS1_11comp_targetILNS1_3genE10ELNS1_11target_archE1201ELNS1_3gpuE5ELNS1_3repE0EEENS1_30default_config_static_selectorELNS0_4arch9wavefront6targetE1EEEvSO_.kd
    .uniform_work_group_size: 1
    .uses_dynamic_stack: false
    .vgpr_count:     0
    .vgpr_spill_count: 0
    .wavefront_size: 64
  - .agpr_count:     0
    .args:
      - .offset:         0
        .size:           72
        .value_kind:     by_value
    .group_segment_fixed_size: 0
    .kernarg_segment_align: 8
    .kernarg_segment_size: 72
    .language:       OpenCL C
    .language_version:
      - 2
      - 0
    .max_flat_workgroup_size: 512
    .name:           _ZN7rocprim17ROCPRIM_400000_NS6detail17trampoline_kernelINS0_14default_configENS1_37merge_sort_block_sort_config_selectorIlNS0_10empty_typeEEEZNS1_21merge_sort_block_sortIS3_PlS8_PS5_S9_ZN2at6native12_GLOBAL__N_124unique_dim_cuda_templateIN3c104HalfEEESt5tupleIJNSA_6TensorESH_SH_EERKSH_lbbbEUlllE_EE10hipError_tT0_T1_T2_T3_mRjT4_P12ihipStream_tbNS1_7vsmem_tEEUlT_E_NS1_11comp_targetILNS1_3genE10ELNS1_11target_archE1200ELNS1_3gpuE4ELNS1_3repE0EEENS1_30default_config_static_selectorELNS0_4arch9wavefront6targetE1EEEvSO_
    .private_segment_fixed_size: 0
    .sgpr_count:     6
    .sgpr_spill_count: 0
    .symbol:         _ZN7rocprim17ROCPRIM_400000_NS6detail17trampoline_kernelINS0_14default_configENS1_37merge_sort_block_sort_config_selectorIlNS0_10empty_typeEEEZNS1_21merge_sort_block_sortIS3_PlS8_PS5_S9_ZN2at6native12_GLOBAL__N_124unique_dim_cuda_templateIN3c104HalfEEESt5tupleIJNSA_6TensorESH_SH_EERKSH_lbbbEUlllE_EE10hipError_tT0_T1_T2_T3_mRjT4_P12ihipStream_tbNS1_7vsmem_tEEUlT_E_NS1_11comp_targetILNS1_3genE10ELNS1_11target_archE1200ELNS1_3gpuE4ELNS1_3repE0EEENS1_30default_config_static_selectorELNS0_4arch9wavefront6targetE1EEEvSO_.kd
    .uniform_work_group_size: 1
    .uses_dynamic_stack: false
    .vgpr_count:     0
    .vgpr_spill_count: 0
    .wavefront_size: 64
  - .agpr_count:     0
    .args:
      - .offset:         0
        .size:           72
        .value_kind:     by_value
    .group_segment_fixed_size: 0
    .kernarg_segment_align: 8
    .kernarg_segment_size: 72
    .language:       OpenCL C
    .language_version:
      - 2
      - 0
    .max_flat_workgroup_size: 256
    .name:           _ZN7rocprim17ROCPRIM_400000_NS6detail17trampoline_kernelINS0_14default_configENS1_37merge_sort_block_sort_config_selectorIlNS0_10empty_typeEEEZNS1_21merge_sort_block_sortIS3_PlS8_PS5_S9_ZN2at6native12_GLOBAL__N_124unique_dim_cuda_templateIN3c104HalfEEESt5tupleIJNSA_6TensorESH_SH_EERKSH_lbbbEUlllE_EE10hipError_tT0_T1_T2_T3_mRjT4_P12ihipStream_tbNS1_7vsmem_tEEUlT_E_NS1_11comp_targetILNS1_3genE9ELNS1_11target_archE1100ELNS1_3gpuE3ELNS1_3repE0EEENS1_30default_config_static_selectorELNS0_4arch9wavefront6targetE1EEEvSO_
    .private_segment_fixed_size: 0
    .sgpr_count:     6
    .sgpr_spill_count: 0
    .symbol:         _ZN7rocprim17ROCPRIM_400000_NS6detail17trampoline_kernelINS0_14default_configENS1_37merge_sort_block_sort_config_selectorIlNS0_10empty_typeEEEZNS1_21merge_sort_block_sortIS3_PlS8_PS5_S9_ZN2at6native12_GLOBAL__N_124unique_dim_cuda_templateIN3c104HalfEEESt5tupleIJNSA_6TensorESH_SH_EERKSH_lbbbEUlllE_EE10hipError_tT0_T1_T2_T3_mRjT4_P12ihipStream_tbNS1_7vsmem_tEEUlT_E_NS1_11comp_targetILNS1_3genE9ELNS1_11target_archE1100ELNS1_3gpuE3ELNS1_3repE0EEENS1_30default_config_static_selectorELNS0_4arch9wavefront6targetE1EEEvSO_.kd
    .uniform_work_group_size: 1
    .uses_dynamic_stack: false
    .vgpr_count:     0
    .vgpr_spill_count: 0
    .wavefront_size: 64
  - .agpr_count:     0
    .args:
      - .offset:         0
        .size:           72
        .value_kind:     by_value
    .group_segment_fixed_size: 0
    .kernarg_segment_align: 8
    .kernarg_segment_size: 72
    .language:       OpenCL C
    .language_version:
      - 2
      - 0
    .max_flat_workgroup_size: 256
    .name:           _ZN7rocprim17ROCPRIM_400000_NS6detail17trampoline_kernelINS0_14default_configENS1_37merge_sort_block_sort_config_selectorIlNS0_10empty_typeEEEZNS1_21merge_sort_block_sortIS3_PlS8_PS5_S9_ZN2at6native12_GLOBAL__N_124unique_dim_cuda_templateIN3c104HalfEEESt5tupleIJNSA_6TensorESH_SH_EERKSH_lbbbEUlllE_EE10hipError_tT0_T1_T2_T3_mRjT4_P12ihipStream_tbNS1_7vsmem_tEEUlT_E_NS1_11comp_targetILNS1_3genE8ELNS1_11target_archE1030ELNS1_3gpuE2ELNS1_3repE0EEENS1_30default_config_static_selectorELNS0_4arch9wavefront6targetE1EEEvSO_
    .private_segment_fixed_size: 0
    .sgpr_count:     6
    .sgpr_spill_count: 0
    .symbol:         _ZN7rocprim17ROCPRIM_400000_NS6detail17trampoline_kernelINS0_14default_configENS1_37merge_sort_block_sort_config_selectorIlNS0_10empty_typeEEEZNS1_21merge_sort_block_sortIS3_PlS8_PS5_S9_ZN2at6native12_GLOBAL__N_124unique_dim_cuda_templateIN3c104HalfEEESt5tupleIJNSA_6TensorESH_SH_EERKSH_lbbbEUlllE_EE10hipError_tT0_T1_T2_T3_mRjT4_P12ihipStream_tbNS1_7vsmem_tEEUlT_E_NS1_11comp_targetILNS1_3genE8ELNS1_11target_archE1030ELNS1_3gpuE2ELNS1_3repE0EEENS1_30default_config_static_selectorELNS0_4arch9wavefront6targetE1EEEvSO_.kd
    .uniform_work_group_size: 1
    .uses_dynamic_stack: false
    .vgpr_count:     0
    .vgpr_spill_count: 0
    .wavefront_size: 64
  - .agpr_count:     0
    .args:
      - .offset:         0
        .size:           56
        .value_kind:     by_value
    .group_segment_fixed_size: 0
    .kernarg_segment_align: 8
    .kernarg_segment_size: 56
    .language:       OpenCL C
    .language_version:
      - 2
      - 0
    .max_flat_workgroup_size: 128
    .name:           _ZN7rocprim17ROCPRIM_400000_NS6detail17trampoline_kernelINS0_14default_configENS1_38merge_sort_block_merge_config_selectorIlNS0_10empty_typeEEEZZNS1_27merge_sort_block_merge_implIS3_PlPS5_mZN2at6native12_GLOBAL__N_124unique_dim_cuda_templateIN3c104HalfEEESt5tupleIJNSA_6TensorESH_SH_EERKSH_lbbbEUlllE_EE10hipError_tT0_T1_T2_jT3_P12ihipStream_tbPNSt15iterator_traitsISN_E10value_typeEPNST_ISO_E10value_typeEPSP_NS1_7vsmem_tEENKUlT_SN_SO_SP_E_clIS8_S8_S9_S9_EESM_S12_SN_SO_SP_EUlS12_E_NS1_11comp_targetILNS1_3genE0ELNS1_11target_archE4294967295ELNS1_3gpuE0ELNS1_3repE0EEENS1_48merge_mergepath_partition_config_static_selectorELNS0_4arch9wavefront6targetE1EEEvSO_
    .private_segment_fixed_size: 0
    .sgpr_count:     38
    .sgpr_spill_count: 0
    .symbol:         _ZN7rocprim17ROCPRIM_400000_NS6detail17trampoline_kernelINS0_14default_configENS1_38merge_sort_block_merge_config_selectorIlNS0_10empty_typeEEEZZNS1_27merge_sort_block_merge_implIS3_PlPS5_mZN2at6native12_GLOBAL__N_124unique_dim_cuda_templateIN3c104HalfEEESt5tupleIJNSA_6TensorESH_SH_EERKSH_lbbbEUlllE_EE10hipError_tT0_T1_T2_jT3_P12ihipStream_tbPNSt15iterator_traitsISN_E10value_typeEPNST_ISO_E10value_typeEPSP_NS1_7vsmem_tEENKUlT_SN_SO_SP_E_clIS8_S8_S9_S9_EESM_S12_SN_SO_SP_EUlS12_E_NS1_11comp_targetILNS1_3genE0ELNS1_11target_archE4294967295ELNS1_3gpuE0ELNS1_3repE0EEENS1_48merge_mergepath_partition_config_static_selectorELNS0_4arch9wavefront6targetE1EEEvSO_.kd
    .uniform_work_group_size: 1
    .uses_dynamic_stack: false
    .vgpr_count:     23
    .vgpr_spill_count: 0
    .wavefront_size: 64
  - .agpr_count:     0
    .args:
      - .offset:         0
        .size:           56
        .value_kind:     by_value
    .group_segment_fixed_size: 0
    .kernarg_segment_align: 8
    .kernarg_segment_size: 56
    .language:       OpenCL C
    .language_version:
      - 2
      - 0
    .max_flat_workgroup_size: 128
    .name:           _ZN7rocprim17ROCPRIM_400000_NS6detail17trampoline_kernelINS0_14default_configENS1_38merge_sort_block_merge_config_selectorIlNS0_10empty_typeEEEZZNS1_27merge_sort_block_merge_implIS3_PlPS5_mZN2at6native12_GLOBAL__N_124unique_dim_cuda_templateIN3c104HalfEEESt5tupleIJNSA_6TensorESH_SH_EERKSH_lbbbEUlllE_EE10hipError_tT0_T1_T2_jT3_P12ihipStream_tbPNSt15iterator_traitsISN_E10value_typeEPNST_ISO_E10value_typeEPSP_NS1_7vsmem_tEENKUlT_SN_SO_SP_E_clIS8_S8_S9_S9_EESM_S12_SN_SO_SP_EUlS12_E_NS1_11comp_targetILNS1_3genE10ELNS1_11target_archE1201ELNS1_3gpuE5ELNS1_3repE0EEENS1_48merge_mergepath_partition_config_static_selectorELNS0_4arch9wavefront6targetE1EEEvSO_
    .private_segment_fixed_size: 0
    .sgpr_count:     6
    .sgpr_spill_count: 0
    .symbol:         _ZN7rocprim17ROCPRIM_400000_NS6detail17trampoline_kernelINS0_14default_configENS1_38merge_sort_block_merge_config_selectorIlNS0_10empty_typeEEEZZNS1_27merge_sort_block_merge_implIS3_PlPS5_mZN2at6native12_GLOBAL__N_124unique_dim_cuda_templateIN3c104HalfEEESt5tupleIJNSA_6TensorESH_SH_EERKSH_lbbbEUlllE_EE10hipError_tT0_T1_T2_jT3_P12ihipStream_tbPNSt15iterator_traitsISN_E10value_typeEPNST_ISO_E10value_typeEPSP_NS1_7vsmem_tEENKUlT_SN_SO_SP_E_clIS8_S8_S9_S9_EESM_S12_SN_SO_SP_EUlS12_E_NS1_11comp_targetILNS1_3genE10ELNS1_11target_archE1201ELNS1_3gpuE5ELNS1_3repE0EEENS1_48merge_mergepath_partition_config_static_selectorELNS0_4arch9wavefront6targetE1EEEvSO_.kd
    .uniform_work_group_size: 1
    .uses_dynamic_stack: false
    .vgpr_count:     0
    .vgpr_spill_count: 0
    .wavefront_size: 64
  - .agpr_count:     0
    .args:
      - .offset:         0
        .size:           56
        .value_kind:     by_value
    .group_segment_fixed_size: 0
    .kernarg_segment_align: 8
    .kernarg_segment_size: 56
    .language:       OpenCL C
    .language_version:
      - 2
      - 0
    .max_flat_workgroup_size: 128
    .name:           _ZN7rocprim17ROCPRIM_400000_NS6detail17trampoline_kernelINS0_14default_configENS1_38merge_sort_block_merge_config_selectorIlNS0_10empty_typeEEEZZNS1_27merge_sort_block_merge_implIS3_PlPS5_mZN2at6native12_GLOBAL__N_124unique_dim_cuda_templateIN3c104HalfEEESt5tupleIJNSA_6TensorESH_SH_EERKSH_lbbbEUlllE_EE10hipError_tT0_T1_T2_jT3_P12ihipStream_tbPNSt15iterator_traitsISN_E10value_typeEPNST_ISO_E10value_typeEPSP_NS1_7vsmem_tEENKUlT_SN_SO_SP_E_clIS8_S8_S9_S9_EESM_S12_SN_SO_SP_EUlS12_E_NS1_11comp_targetILNS1_3genE5ELNS1_11target_archE942ELNS1_3gpuE9ELNS1_3repE0EEENS1_48merge_mergepath_partition_config_static_selectorELNS0_4arch9wavefront6targetE1EEEvSO_
    .private_segment_fixed_size: 0
    .sgpr_count:     6
    .sgpr_spill_count: 0
    .symbol:         _ZN7rocprim17ROCPRIM_400000_NS6detail17trampoline_kernelINS0_14default_configENS1_38merge_sort_block_merge_config_selectorIlNS0_10empty_typeEEEZZNS1_27merge_sort_block_merge_implIS3_PlPS5_mZN2at6native12_GLOBAL__N_124unique_dim_cuda_templateIN3c104HalfEEESt5tupleIJNSA_6TensorESH_SH_EERKSH_lbbbEUlllE_EE10hipError_tT0_T1_T2_jT3_P12ihipStream_tbPNSt15iterator_traitsISN_E10value_typeEPNST_ISO_E10value_typeEPSP_NS1_7vsmem_tEENKUlT_SN_SO_SP_E_clIS8_S8_S9_S9_EESM_S12_SN_SO_SP_EUlS12_E_NS1_11comp_targetILNS1_3genE5ELNS1_11target_archE942ELNS1_3gpuE9ELNS1_3repE0EEENS1_48merge_mergepath_partition_config_static_selectorELNS0_4arch9wavefront6targetE1EEEvSO_.kd
    .uniform_work_group_size: 1
    .uses_dynamic_stack: false
    .vgpr_count:     0
    .vgpr_spill_count: 0
    .wavefront_size: 64
  - .agpr_count:     0
    .args:
      - .offset:         0
        .size:           56
        .value_kind:     by_value
    .group_segment_fixed_size: 0
    .kernarg_segment_align: 8
    .kernarg_segment_size: 56
    .language:       OpenCL C
    .language_version:
      - 2
      - 0
    .max_flat_workgroup_size: 128
    .name:           _ZN7rocprim17ROCPRIM_400000_NS6detail17trampoline_kernelINS0_14default_configENS1_38merge_sort_block_merge_config_selectorIlNS0_10empty_typeEEEZZNS1_27merge_sort_block_merge_implIS3_PlPS5_mZN2at6native12_GLOBAL__N_124unique_dim_cuda_templateIN3c104HalfEEESt5tupleIJNSA_6TensorESH_SH_EERKSH_lbbbEUlllE_EE10hipError_tT0_T1_T2_jT3_P12ihipStream_tbPNSt15iterator_traitsISN_E10value_typeEPNST_ISO_E10value_typeEPSP_NS1_7vsmem_tEENKUlT_SN_SO_SP_E_clIS8_S8_S9_S9_EESM_S12_SN_SO_SP_EUlS12_E_NS1_11comp_targetILNS1_3genE4ELNS1_11target_archE910ELNS1_3gpuE8ELNS1_3repE0EEENS1_48merge_mergepath_partition_config_static_selectorELNS0_4arch9wavefront6targetE1EEEvSO_
    .private_segment_fixed_size: 0
    .sgpr_count:     6
    .sgpr_spill_count: 0
    .symbol:         _ZN7rocprim17ROCPRIM_400000_NS6detail17trampoline_kernelINS0_14default_configENS1_38merge_sort_block_merge_config_selectorIlNS0_10empty_typeEEEZZNS1_27merge_sort_block_merge_implIS3_PlPS5_mZN2at6native12_GLOBAL__N_124unique_dim_cuda_templateIN3c104HalfEEESt5tupleIJNSA_6TensorESH_SH_EERKSH_lbbbEUlllE_EE10hipError_tT0_T1_T2_jT3_P12ihipStream_tbPNSt15iterator_traitsISN_E10value_typeEPNST_ISO_E10value_typeEPSP_NS1_7vsmem_tEENKUlT_SN_SO_SP_E_clIS8_S8_S9_S9_EESM_S12_SN_SO_SP_EUlS12_E_NS1_11comp_targetILNS1_3genE4ELNS1_11target_archE910ELNS1_3gpuE8ELNS1_3repE0EEENS1_48merge_mergepath_partition_config_static_selectorELNS0_4arch9wavefront6targetE1EEEvSO_.kd
    .uniform_work_group_size: 1
    .uses_dynamic_stack: false
    .vgpr_count:     0
    .vgpr_spill_count: 0
    .wavefront_size: 64
  - .agpr_count:     0
    .args:
      - .offset:         0
        .size:           56
        .value_kind:     by_value
    .group_segment_fixed_size: 0
    .kernarg_segment_align: 8
    .kernarg_segment_size: 56
    .language:       OpenCL C
    .language_version:
      - 2
      - 0
    .max_flat_workgroup_size: 128
    .name:           _ZN7rocprim17ROCPRIM_400000_NS6detail17trampoline_kernelINS0_14default_configENS1_38merge_sort_block_merge_config_selectorIlNS0_10empty_typeEEEZZNS1_27merge_sort_block_merge_implIS3_PlPS5_mZN2at6native12_GLOBAL__N_124unique_dim_cuda_templateIN3c104HalfEEESt5tupleIJNSA_6TensorESH_SH_EERKSH_lbbbEUlllE_EE10hipError_tT0_T1_T2_jT3_P12ihipStream_tbPNSt15iterator_traitsISN_E10value_typeEPNST_ISO_E10value_typeEPSP_NS1_7vsmem_tEENKUlT_SN_SO_SP_E_clIS8_S8_S9_S9_EESM_S12_SN_SO_SP_EUlS12_E_NS1_11comp_targetILNS1_3genE3ELNS1_11target_archE908ELNS1_3gpuE7ELNS1_3repE0EEENS1_48merge_mergepath_partition_config_static_selectorELNS0_4arch9wavefront6targetE1EEEvSO_
    .private_segment_fixed_size: 0
    .sgpr_count:     6
    .sgpr_spill_count: 0
    .symbol:         _ZN7rocprim17ROCPRIM_400000_NS6detail17trampoline_kernelINS0_14default_configENS1_38merge_sort_block_merge_config_selectorIlNS0_10empty_typeEEEZZNS1_27merge_sort_block_merge_implIS3_PlPS5_mZN2at6native12_GLOBAL__N_124unique_dim_cuda_templateIN3c104HalfEEESt5tupleIJNSA_6TensorESH_SH_EERKSH_lbbbEUlllE_EE10hipError_tT0_T1_T2_jT3_P12ihipStream_tbPNSt15iterator_traitsISN_E10value_typeEPNST_ISO_E10value_typeEPSP_NS1_7vsmem_tEENKUlT_SN_SO_SP_E_clIS8_S8_S9_S9_EESM_S12_SN_SO_SP_EUlS12_E_NS1_11comp_targetILNS1_3genE3ELNS1_11target_archE908ELNS1_3gpuE7ELNS1_3repE0EEENS1_48merge_mergepath_partition_config_static_selectorELNS0_4arch9wavefront6targetE1EEEvSO_.kd
    .uniform_work_group_size: 1
    .uses_dynamic_stack: false
    .vgpr_count:     0
    .vgpr_spill_count: 0
    .wavefront_size: 64
  - .agpr_count:     0
    .args:
      - .offset:         0
        .size:           56
        .value_kind:     by_value
    .group_segment_fixed_size: 0
    .kernarg_segment_align: 8
    .kernarg_segment_size: 56
    .language:       OpenCL C
    .language_version:
      - 2
      - 0
    .max_flat_workgroup_size: 128
    .name:           _ZN7rocprim17ROCPRIM_400000_NS6detail17trampoline_kernelINS0_14default_configENS1_38merge_sort_block_merge_config_selectorIlNS0_10empty_typeEEEZZNS1_27merge_sort_block_merge_implIS3_PlPS5_mZN2at6native12_GLOBAL__N_124unique_dim_cuda_templateIN3c104HalfEEESt5tupleIJNSA_6TensorESH_SH_EERKSH_lbbbEUlllE_EE10hipError_tT0_T1_T2_jT3_P12ihipStream_tbPNSt15iterator_traitsISN_E10value_typeEPNST_ISO_E10value_typeEPSP_NS1_7vsmem_tEENKUlT_SN_SO_SP_E_clIS8_S8_S9_S9_EESM_S12_SN_SO_SP_EUlS12_E_NS1_11comp_targetILNS1_3genE2ELNS1_11target_archE906ELNS1_3gpuE6ELNS1_3repE0EEENS1_48merge_mergepath_partition_config_static_selectorELNS0_4arch9wavefront6targetE1EEEvSO_
    .private_segment_fixed_size: 0
    .sgpr_count:     6
    .sgpr_spill_count: 0
    .symbol:         _ZN7rocprim17ROCPRIM_400000_NS6detail17trampoline_kernelINS0_14default_configENS1_38merge_sort_block_merge_config_selectorIlNS0_10empty_typeEEEZZNS1_27merge_sort_block_merge_implIS3_PlPS5_mZN2at6native12_GLOBAL__N_124unique_dim_cuda_templateIN3c104HalfEEESt5tupleIJNSA_6TensorESH_SH_EERKSH_lbbbEUlllE_EE10hipError_tT0_T1_T2_jT3_P12ihipStream_tbPNSt15iterator_traitsISN_E10value_typeEPNST_ISO_E10value_typeEPSP_NS1_7vsmem_tEENKUlT_SN_SO_SP_E_clIS8_S8_S9_S9_EESM_S12_SN_SO_SP_EUlS12_E_NS1_11comp_targetILNS1_3genE2ELNS1_11target_archE906ELNS1_3gpuE6ELNS1_3repE0EEENS1_48merge_mergepath_partition_config_static_selectorELNS0_4arch9wavefront6targetE1EEEvSO_.kd
    .uniform_work_group_size: 1
    .uses_dynamic_stack: false
    .vgpr_count:     0
    .vgpr_spill_count: 0
    .wavefront_size: 64
  - .agpr_count:     0
    .args:
      - .offset:         0
        .size:           56
        .value_kind:     by_value
    .group_segment_fixed_size: 0
    .kernarg_segment_align: 8
    .kernarg_segment_size: 56
    .language:       OpenCL C
    .language_version:
      - 2
      - 0
    .max_flat_workgroup_size: 128
    .name:           _ZN7rocprim17ROCPRIM_400000_NS6detail17trampoline_kernelINS0_14default_configENS1_38merge_sort_block_merge_config_selectorIlNS0_10empty_typeEEEZZNS1_27merge_sort_block_merge_implIS3_PlPS5_mZN2at6native12_GLOBAL__N_124unique_dim_cuda_templateIN3c104HalfEEESt5tupleIJNSA_6TensorESH_SH_EERKSH_lbbbEUlllE_EE10hipError_tT0_T1_T2_jT3_P12ihipStream_tbPNSt15iterator_traitsISN_E10value_typeEPNST_ISO_E10value_typeEPSP_NS1_7vsmem_tEENKUlT_SN_SO_SP_E_clIS8_S8_S9_S9_EESM_S12_SN_SO_SP_EUlS12_E_NS1_11comp_targetILNS1_3genE9ELNS1_11target_archE1100ELNS1_3gpuE3ELNS1_3repE0EEENS1_48merge_mergepath_partition_config_static_selectorELNS0_4arch9wavefront6targetE1EEEvSO_
    .private_segment_fixed_size: 0
    .sgpr_count:     6
    .sgpr_spill_count: 0
    .symbol:         _ZN7rocprim17ROCPRIM_400000_NS6detail17trampoline_kernelINS0_14default_configENS1_38merge_sort_block_merge_config_selectorIlNS0_10empty_typeEEEZZNS1_27merge_sort_block_merge_implIS3_PlPS5_mZN2at6native12_GLOBAL__N_124unique_dim_cuda_templateIN3c104HalfEEESt5tupleIJNSA_6TensorESH_SH_EERKSH_lbbbEUlllE_EE10hipError_tT0_T1_T2_jT3_P12ihipStream_tbPNSt15iterator_traitsISN_E10value_typeEPNST_ISO_E10value_typeEPSP_NS1_7vsmem_tEENKUlT_SN_SO_SP_E_clIS8_S8_S9_S9_EESM_S12_SN_SO_SP_EUlS12_E_NS1_11comp_targetILNS1_3genE9ELNS1_11target_archE1100ELNS1_3gpuE3ELNS1_3repE0EEENS1_48merge_mergepath_partition_config_static_selectorELNS0_4arch9wavefront6targetE1EEEvSO_.kd
    .uniform_work_group_size: 1
    .uses_dynamic_stack: false
    .vgpr_count:     0
    .vgpr_spill_count: 0
    .wavefront_size: 64
  - .agpr_count:     0
    .args:
      - .offset:         0
        .size:           56
        .value_kind:     by_value
    .group_segment_fixed_size: 0
    .kernarg_segment_align: 8
    .kernarg_segment_size: 56
    .language:       OpenCL C
    .language_version:
      - 2
      - 0
    .max_flat_workgroup_size: 128
    .name:           _ZN7rocprim17ROCPRIM_400000_NS6detail17trampoline_kernelINS0_14default_configENS1_38merge_sort_block_merge_config_selectorIlNS0_10empty_typeEEEZZNS1_27merge_sort_block_merge_implIS3_PlPS5_mZN2at6native12_GLOBAL__N_124unique_dim_cuda_templateIN3c104HalfEEESt5tupleIJNSA_6TensorESH_SH_EERKSH_lbbbEUlllE_EE10hipError_tT0_T1_T2_jT3_P12ihipStream_tbPNSt15iterator_traitsISN_E10value_typeEPNST_ISO_E10value_typeEPSP_NS1_7vsmem_tEENKUlT_SN_SO_SP_E_clIS8_S8_S9_S9_EESM_S12_SN_SO_SP_EUlS12_E_NS1_11comp_targetILNS1_3genE8ELNS1_11target_archE1030ELNS1_3gpuE2ELNS1_3repE0EEENS1_48merge_mergepath_partition_config_static_selectorELNS0_4arch9wavefront6targetE1EEEvSO_
    .private_segment_fixed_size: 0
    .sgpr_count:     6
    .sgpr_spill_count: 0
    .symbol:         _ZN7rocprim17ROCPRIM_400000_NS6detail17trampoline_kernelINS0_14default_configENS1_38merge_sort_block_merge_config_selectorIlNS0_10empty_typeEEEZZNS1_27merge_sort_block_merge_implIS3_PlPS5_mZN2at6native12_GLOBAL__N_124unique_dim_cuda_templateIN3c104HalfEEESt5tupleIJNSA_6TensorESH_SH_EERKSH_lbbbEUlllE_EE10hipError_tT0_T1_T2_jT3_P12ihipStream_tbPNSt15iterator_traitsISN_E10value_typeEPNST_ISO_E10value_typeEPSP_NS1_7vsmem_tEENKUlT_SN_SO_SP_E_clIS8_S8_S9_S9_EESM_S12_SN_SO_SP_EUlS12_E_NS1_11comp_targetILNS1_3genE8ELNS1_11target_archE1030ELNS1_3gpuE2ELNS1_3repE0EEENS1_48merge_mergepath_partition_config_static_selectorELNS0_4arch9wavefront6targetE1EEEvSO_.kd
    .uniform_work_group_size: 1
    .uses_dynamic_stack: false
    .vgpr_count:     0
    .vgpr_spill_count: 0
    .wavefront_size: 64
  - .agpr_count:     0
    .args:
      - .offset:         0
        .size:           88
        .value_kind:     by_value
      - .offset:         88
        .size:           4
        .value_kind:     hidden_block_count_x
      - .offset:         92
        .size:           4
        .value_kind:     hidden_block_count_y
      - .offset:         96
        .size:           4
        .value_kind:     hidden_block_count_z
      - .offset:         100
        .size:           2
        .value_kind:     hidden_group_size_x
      - .offset:         102
        .size:           2
        .value_kind:     hidden_group_size_y
      - .offset:         104
        .size:           2
        .value_kind:     hidden_group_size_z
      - .offset:         106
        .size:           2
        .value_kind:     hidden_remainder_x
      - .offset:         108
        .size:           2
        .value_kind:     hidden_remainder_y
      - .offset:         110
        .size:           2
        .value_kind:     hidden_remainder_z
      - .offset:         128
        .size:           8
        .value_kind:     hidden_global_offset_x
      - .offset:         136
        .size:           8
        .value_kind:     hidden_global_offset_y
      - .offset:         144
        .size:           8
        .value_kind:     hidden_global_offset_z
      - .offset:         152
        .size:           2
        .value_kind:     hidden_grid_dims
    .group_segment_fixed_size: 8448
    .kernarg_segment_align: 8
    .kernarg_segment_size: 344
    .language:       OpenCL C
    .language_version:
      - 2
      - 0
    .max_flat_workgroup_size: 128
    .name:           _ZN7rocprim17ROCPRIM_400000_NS6detail17trampoline_kernelINS0_14default_configENS1_38merge_sort_block_merge_config_selectorIlNS0_10empty_typeEEEZZNS1_27merge_sort_block_merge_implIS3_PlPS5_mZN2at6native12_GLOBAL__N_124unique_dim_cuda_templateIN3c104HalfEEESt5tupleIJNSA_6TensorESH_SH_EERKSH_lbbbEUlllE_EE10hipError_tT0_T1_T2_jT3_P12ihipStream_tbPNSt15iterator_traitsISN_E10value_typeEPNST_ISO_E10value_typeEPSP_NS1_7vsmem_tEENKUlT_SN_SO_SP_E_clIS8_S8_S9_S9_EESM_S12_SN_SO_SP_EUlS12_E0_NS1_11comp_targetILNS1_3genE0ELNS1_11target_archE4294967295ELNS1_3gpuE0ELNS1_3repE0EEENS1_38merge_mergepath_config_static_selectorELNS0_4arch9wavefront6targetE1EEEvSO_
    .private_segment_fixed_size: 0
    .sgpr_count:     58
    .sgpr_spill_count: 0
    .symbol:         _ZN7rocprim17ROCPRIM_400000_NS6detail17trampoline_kernelINS0_14default_configENS1_38merge_sort_block_merge_config_selectorIlNS0_10empty_typeEEEZZNS1_27merge_sort_block_merge_implIS3_PlPS5_mZN2at6native12_GLOBAL__N_124unique_dim_cuda_templateIN3c104HalfEEESt5tupleIJNSA_6TensorESH_SH_EERKSH_lbbbEUlllE_EE10hipError_tT0_T1_T2_jT3_P12ihipStream_tbPNSt15iterator_traitsISN_E10value_typeEPNST_ISO_E10value_typeEPSP_NS1_7vsmem_tEENKUlT_SN_SO_SP_E_clIS8_S8_S9_S9_EESM_S12_SN_SO_SP_EUlS12_E0_NS1_11comp_targetILNS1_3genE0ELNS1_11target_archE4294967295ELNS1_3gpuE0ELNS1_3repE0EEENS1_38merge_mergepath_config_static_selectorELNS0_4arch9wavefront6targetE1EEEvSO_.kd
    .uniform_work_group_size: 1
    .uses_dynamic_stack: false
    .vgpr_count:     40
    .vgpr_spill_count: 0
    .wavefront_size: 64
  - .agpr_count:     0
    .args:
      - .offset:         0
        .size:           88
        .value_kind:     by_value
    .group_segment_fixed_size: 0
    .kernarg_segment_align: 8
    .kernarg_segment_size: 88
    .language:       OpenCL C
    .language_version:
      - 2
      - 0
    .max_flat_workgroup_size: 512
    .name:           _ZN7rocprim17ROCPRIM_400000_NS6detail17trampoline_kernelINS0_14default_configENS1_38merge_sort_block_merge_config_selectorIlNS0_10empty_typeEEEZZNS1_27merge_sort_block_merge_implIS3_PlPS5_mZN2at6native12_GLOBAL__N_124unique_dim_cuda_templateIN3c104HalfEEESt5tupleIJNSA_6TensorESH_SH_EERKSH_lbbbEUlllE_EE10hipError_tT0_T1_T2_jT3_P12ihipStream_tbPNSt15iterator_traitsISN_E10value_typeEPNST_ISO_E10value_typeEPSP_NS1_7vsmem_tEENKUlT_SN_SO_SP_E_clIS8_S8_S9_S9_EESM_S12_SN_SO_SP_EUlS12_E0_NS1_11comp_targetILNS1_3genE10ELNS1_11target_archE1201ELNS1_3gpuE5ELNS1_3repE0EEENS1_38merge_mergepath_config_static_selectorELNS0_4arch9wavefront6targetE1EEEvSO_
    .private_segment_fixed_size: 0
    .sgpr_count:     6
    .sgpr_spill_count: 0
    .symbol:         _ZN7rocprim17ROCPRIM_400000_NS6detail17trampoline_kernelINS0_14default_configENS1_38merge_sort_block_merge_config_selectorIlNS0_10empty_typeEEEZZNS1_27merge_sort_block_merge_implIS3_PlPS5_mZN2at6native12_GLOBAL__N_124unique_dim_cuda_templateIN3c104HalfEEESt5tupleIJNSA_6TensorESH_SH_EERKSH_lbbbEUlllE_EE10hipError_tT0_T1_T2_jT3_P12ihipStream_tbPNSt15iterator_traitsISN_E10value_typeEPNST_ISO_E10value_typeEPSP_NS1_7vsmem_tEENKUlT_SN_SO_SP_E_clIS8_S8_S9_S9_EESM_S12_SN_SO_SP_EUlS12_E0_NS1_11comp_targetILNS1_3genE10ELNS1_11target_archE1201ELNS1_3gpuE5ELNS1_3repE0EEENS1_38merge_mergepath_config_static_selectorELNS0_4arch9wavefront6targetE1EEEvSO_.kd
    .uniform_work_group_size: 1
    .uses_dynamic_stack: false
    .vgpr_count:     0
    .vgpr_spill_count: 0
    .wavefront_size: 64
  - .agpr_count:     0
    .args:
      - .offset:         0
        .size:           88
        .value_kind:     by_value
    .group_segment_fixed_size: 0
    .kernarg_segment_align: 8
    .kernarg_segment_size: 88
    .language:       OpenCL C
    .language_version:
      - 2
      - 0
    .max_flat_workgroup_size: 128
    .name:           _ZN7rocprim17ROCPRIM_400000_NS6detail17trampoline_kernelINS0_14default_configENS1_38merge_sort_block_merge_config_selectorIlNS0_10empty_typeEEEZZNS1_27merge_sort_block_merge_implIS3_PlPS5_mZN2at6native12_GLOBAL__N_124unique_dim_cuda_templateIN3c104HalfEEESt5tupleIJNSA_6TensorESH_SH_EERKSH_lbbbEUlllE_EE10hipError_tT0_T1_T2_jT3_P12ihipStream_tbPNSt15iterator_traitsISN_E10value_typeEPNST_ISO_E10value_typeEPSP_NS1_7vsmem_tEENKUlT_SN_SO_SP_E_clIS8_S8_S9_S9_EESM_S12_SN_SO_SP_EUlS12_E0_NS1_11comp_targetILNS1_3genE5ELNS1_11target_archE942ELNS1_3gpuE9ELNS1_3repE0EEENS1_38merge_mergepath_config_static_selectorELNS0_4arch9wavefront6targetE1EEEvSO_
    .private_segment_fixed_size: 0
    .sgpr_count:     6
    .sgpr_spill_count: 0
    .symbol:         _ZN7rocprim17ROCPRIM_400000_NS6detail17trampoline_kernelINS0_14default_configENS1_38merge_sort_block_merge_config_selectorIlNS0_10empty_typeEEEZZNS1_27merge_sort_block_merge_implIS3_PlPS5_mZN2at6native12_GLOBAL__N_124unique_dim_cuda_templateIN3c104HalfEEESt5tupleIJNSA_6TensorESH_SH_EERKSH_lbbbEUlllE_EE10hipError_tT0_T1_T2_jT3_P12ihipStream_tbPNSt15iterator_traitsISN_E10value_typeEPNST_ISO_E10value_typeEPSP_NS1_7vsmem_tEENKUlT_SN_SO_SP_E_clIS8_S8_S9_S9_EESM_S12_SN_SO_SP_EUlS12_E0_NS1_11comp_targetILNS1_3genE5ELNS1_11target_archE942ELNS1_3gpuE9ELNS1_3repE0EEENS1_38merge_mergepath_config_static_selectorELNS0_4arch9wavefront6targetE1EEEvSO_.kd
    .uniform_work_group_size: 1
    .uses_dynamic_stack: false
    .vgpr_count:     0
    .vgpr_spill_count: 0
    .wavefront_size: 64
  - .agpr_count:     0
    .args:
      - .offset:         0
        .size:           88
        .value_kind:     by_value
    .group_segment_fixed_size: 0
    .kernarg_segment_align: 8
    .kernarg_segment_size: 88
    .language:       OpenCL C
    .language_version:
      - 2
      - 0
    .max_flat_workgroup_size: 256
    .name:           _ZN7rocprim17ROCPRIM_400000_NS6detail17trampoline_kernelINS0_14default_configENS1_38merge_sort_block_merge_config_selectorIlNS0_10empty_typeEEEZZNS1_27merge_sort_block_merge_implIS3_PlPS5_mZN2at6native12_GLOBAL__N_124unique_dim_cuda_templateIN3c104HalfEEESt5tupleIJNSA_6TensorESH_SH_EERKSH_lbbbEUlllE_EE10hipError_tT0_T1_T2_jT3_P12ihipStream_tbPNSt15iterator_traitsISN_E10value_typeEPNST_ISO_E10value_typeEPSP_NS1_7vsmem_tEENKUlT_SN_SO_SP_E_clIS8_S8_S9_S9_EESM_S12_SN_SO_SP_EUlS12_E0_NS1_11comp_targetILNS1_3genE4ELNS1_11target_archE910ELNS1_3gpuE8ELNS1_3repE0EEENS1_38merge_mergepath_config_static_selectorELNS0_4arch9wavefront6targetE1EEEvSO_
    .private_segment_fixed_size: 0
    .sgpr_count:     6
    .sgpr_spill_count: 0
    .symbol:         _ZN7rocprim17ROCPRIM_400000_NS6detail17trampoline_kernelINS0_14default_configENS1_38merge_sort_block_merge_config_selectorIlNS0_10empty_typeEEEZZNS1_27merge_sort_block_merge_implIS3_PlPS5_mZN2at6native12_GLOBAL__N_124unique_dim_cuda_templateIN3c104HalfEEESt5tupleIJNSA_6TensorESH_SH_EERKSH_lbbbEUlllE_EE10hipError_tT0_T1_T2_jT3_P12ihipStream_tbPNSt15iterator_traitsISN_E10value_typeEPNST_ISO_E10value_typeEPSP_NS1_7vsmem_tEENKUlT_SN_SO_SP_E_clIS8_S8_S9_S9_EESM_S12_SN_SO_SP_EUlS12_E0_NS1_11comp_targetILNS1_3genE4ELNS1_11target_archE910ELNS1_3gpuE8ELNS1_3repE0EEENS1_38merge_mergepath_config_static_selectorELNS0_4arch9wavefront6targetE1EEEvSO_.kd
    .uniform_work_group_size: 1
    .uses_dynamic_stack: false
    .vgpr_count:     0
    .vgpr_spill_count: 0
    .wavefront_size: 64
  - .agpr_count:     0
    .args:
      - .offset:         0
        .size:           88
        .value_kind:     by_value
    .group_segment_fixed_size: 0
    .kernarg_segment_align: 8
    .kernarg_segment_size: 88
    .language:       OpenCL C
    .language_version:
      - 2
      - 0
    .max_flat_workgroup_size: 128
    .name:           _ZN7rocprim17ROCPRIM_400000_NS6detail17trampoline_kernelINS0_14default_configENS1_38merge_sort_block_merge_config_selectorIlNS0_10empty_typeEEEZZNS1_27merge_sort_block_merge_implIS3_PlPS5_mZN2at6native12_GLOBAL__N_124unique_dim_cuda_templateIN3c104HalfEEESt5tupleIJNSA_6TensorESH_SH_EERKSH_lbbbEUlllE_EE10hipError_tT0_T1_T2_jT3_P12ihipStream_tbPNSt15iterator_traitsISN_E10value_typeEPNST_ISO_E10value_typeEPSP_NS1_7vsmem_tEENKUlT_SN_SO_SP_E_clIS8_S8_S9_S9_EESM_S12_SN_SO_SP_EUlS12_E0_NS1_11comp_targetILNS1_3genE3ELNS1_11target_archE908ELNS1_3gpuE7ELNS1_3repE0EEENS1_38merge_mergepath_config_static_selectorELNS0_4arch9wavefront6targetE1EEEvSO_
    .private_segment_fixed_size: 0
    .sgpr_count:     6
    .sgpr_spill_count: 0
    .symbol:         _ZN7rocprim17ROCPRIM_400000_NS6detail17trampoline_kernelINS0_14default_configENS1_38merge_sort_block_merge_config_selectorIlNS0_10empty_typeEEEZZNS1_27merge_sort_block_merge_implIS3_PlPS5_mZN2at6native12_GLOBAL__N_124unique_dim_cuda_templateIN3c104HalfEEESt5tupleIJNSA_6TensorESH_SH_EERKSH_lbbbEUlllE_EE10hipError_tT0_T1_T2_jT3_P12ihipStream_tbPNSt15iterator_traitsISN_E10value_typeEPNST_ISO_E10value_typeEPSP_NS1_7vsmem_tEENKUlT_SN_SO_SP_E_clIS8_S8_S9_S9_EESM_S12_SN_SO_SP_EUlS12_E0_NS1_11comp_targetILNS1_3genE3ELNS1_11target_archE908ELNS1_3gpuE7ELNS1_3repE0EEENS1_38merge_mergepath_config_static_selectorELNS0_4arch9wavefront6targetE1EEEvSO_.kd
    .uniform_work_group_size: 1
    .uses_dynamic_stack: false
    .vgpr_count:     0
    .vgpr_spill_count: 0
    .wavefront_size: 64
  - .agpr_count:     0
    .args:
      - .offset:         0
        .size:           88
        .value_kind:     by_value
    .group_segment_fixed_size: 0
    .kernarg_segment_align: 8
    .kernarg_segment_size: 88
    .language:       OpenCL C
    .language_version:
      - 2
      - 0
    .max_flat_workgroup_size: 256
    .name:           _ZN7rocprim17ROCPRIM_400000_NS6detail17trampoline_kernelINS0_14default_configENS1_38merge_sort_block_merge_config_selectorIlNS0_10empty_typeEEEZZNS1_27merge_sort_block_merge_implIS3_PlPS5_mZN2at6native12_GLOBAL__N_124unique_dim_cuda_templateIN3c104HalfEEESt5tupleIJNSA_6TensorESH_SH_EERKSH_lbbbEUlllE_EE10hipError_tT0_T1_T2_jT3_P12ihipStream_tbPNSt15iterator_traitsISN_E10value_typeEPNST_ISO_E10value_typeEPSP_NS1_7vsmem_tEENKUlT_SN_SO_SP_E_clIS8_S8_S9_S9_EESM_S12_SN_SO_SP_EUlS12_E0_NS1_11comp_targetILNS1_3genE2ELNS1_11target_archE906ELNS1_3gpuE6ELNS1_3repE0EEENS1_38merge_mergepath_config_static_selectorELNS0_4arch9wavefront6targetE1EEEvSO_
    .private_segment_fixed_size: 0
    .sgpr_count:     6
    .sgpr_spill_count: 0
    .symbol:         _ZN7rocprim17ROCPRIM_400000_NS6detail17trampoline_kernelINS0_14default_configENS1_38merge_sort_block_merge_config_selectorIlNS0_10empty_typeEEEZZNS1_27merge_sort_block_merge_implIS3_PlPS5_mZN2at6native12_GLOBAL__N_124unique_dim_cuda_templateIN3c104HalfEEESt5tupleIJNSA_6TensorESH_SH_EERKSH_lbbbEUlllE_EE10hipError_tT0_T1_T2_jT3_P12ihipStream_tbPNSt15iterator_traitsISN_E10value_typeEPNST_ISO_E10value_typeEPSP_NS1_7vsmem_tEENKUlT_SN_SO_SP_E_clIS8_S8_S9_S9_EESM_S12_SN_SO_SP_EUlS12_E0_NS1_11comp_targetILNS1_3genE2ELNS1_11target_archE906ELNS1_3gpuE6ELNS1_3repE0EEENS1_38merge_mergepath_config_static_selectorELNS0_4arch9wavefront6targetE1EEEvSO_.kd
    .uniform_work_group_size: 1
    .uses_dynamic_stack: false
    .vgpr_count:     0
    .vgpr_spill_count: 0
    .wavefront_size: 64
  - .agpr_count:     0
    .args:
      - .offset:         0
        .size:           88
        .value_kind:     by_value
    .group_segment_fixed_size: 0
    .kernarg_segment_align: 8
    .kernarg_segment_size: 88
    .language:       OpenCL C
    .language_version:
      - 2
      - 0
    .max_flat_workgroup_size: 512
    .name:           _ZN7rocprim17ROCPRIM_400000_NS6detail17trampoline_kernelINS0_14default_configENS1_38merge_sort_block_merge_config_selectorIlNS0_10empty_typeEEEZZNS1_27merge_sort_block_merge_implIS3_PlPS5_mZN2at6native12_GLOBAL__N_124unique_dim_cuda_templateIN3c104HalfEEESt5tupleIJNSA_6TensorESH_SH_EERKSH_lbbbEUlllE_EE10hipError_tT0_T1_T2_jT3_P12ihipStream_tbPNSt15iterator_traitsISN_E10value_typeEPNST_ISO_E10value_typeEPSP_NS1_7vsmem_tEENKUlT_SN_SO_SP_E_clIS8_S8_S9_S9_EESM_S12_SN_SO_SP_EUlS12_E0_NS1_11comp_targetILNS1_3genE9ELNS1_11target_archE1100ELNS1_3gpuE3ELNS1_3repE0EEENS1_38merge_mergepath_config_static_selectorELNS0_4arch9wavefront6targetE1EEEvSO_
    .private_segment_fixed_size: 0
    .sgpr_count:     6
    .sgpr_spill_count: 0
    .symbol:         _ZN7rocprim17ROCPRIM_400000_NS6detail17trampoline_kernelINS0_14default_configENS1_38merge_sort_block_merge_config_selectorIlNS0_10empty_typeEEEZZNS1_27merge_sort_block_merge_implIS3_PlPS5_mZN2at6native12_GLOBAL__N_124unique_dim_cuda_templateIN3c104HalfEEESt5tupleIJNSA_6TensorESH_SH_EERKSH_lbbbEUlllE_EE10hipError_tT0_T1_T2_jT3_P12ihipStream_tbPNSt15iterator_traitsISN_E10value_typeEPNST_ISO_E10value_typeEPSP_NS1_7vsmem_tEENKUlT_SN_SO_SP_E_clIS8_S8_S9_S9_EESM_S12_SN_SO_SP_EUlS12_E0_NS1_11comp_targetILNS1_3genE9ELNS1_11target_archE1100ELNS1_3gpuE3ELNS1_3repE0EEENS1_38merge_mergepath_config_static_selectorELNS0_4arch9wavefront6targetE1EEEvSO_.kd
    .uniform_work_group_size: 1
    .uses_dynamic_stack: false
    .vgpr_count:     0
    .vgpr_spill_count: 0
    .wavefront_size: 64
  - .agpr_count:     0
    .args:
      - .offset:         0
        .size:           88
        .value_kind:     by_value
    .group_segment_fixed_size: 0
    .kernarg_segment_align: 8
    .kernarg_segment_size: 88
    .language:       OpenCL C
    .language_version:
      - 2
      - 0
    .max_flat_workgroup_size: 1024
    .name:           _ZN7rocprim17ROCPRIM_400000_NS6detail17trampoline_kernelINS0_14default_configENS1_38merge_sort_block_merge_config_selectorIlNS0_10empty_typeEEEZZNS1_27merge_sort_block_merge_implIS3_PlPS5_mZN2at6native12_GLOBAL__N_124unique_dim_cuda_templateIN3c104HalfEEESt5tupleIJNSA_6TensorESH_SH_EERKSH_lbbbEUlllE_EE10hipError_tT0_T1_T2_jT3_P12ihipStream_tbPNSt15iterator_traitsISN_E10value_typeEPNST_ISO_E10value_typeEPSP_NS1_7vsmem_tEENKUlT_SN_SO_SP_E_clIS8_S8_S9_S9_EESM_S12_SN_SO_SP_EUlS12_E0_NS1_11comp_targetILNS1_3genE8ELNS1_11target_archE1030ELNS1_3gpuE2ELNS1_3repE0EEENS1_38merge_mergepath_config_static_selectorELNS0_4arch9wavefront6targetE1EEEvSO_
    .private_segment_fixed_size: 0
    .sgpr_count:     6
    .sgpr_spill_count: 0
    .symbol:         _ZN7rocprim17ROCPRIM_400000_NS6detail17trampoline_kernelINS0_14default_configENS1_38merge_sort_block_merge_config_selectorIlNS0_10empty_typeEEEZZNS1_27merge_sort_block_merge_implIS3_PlPS5_mZN2at6native12_GLOBAL__N_124unique_dim_cuda_templateIN3c104HalfEEESt5tupleIJNSA_6TensorESH_SH_EERKSH_lbbbEUlllE_EE10hipError_tT0_T1_T2_jT3_P12ihipStream_tbPNSt15iterator_traitsISN_E10value_typeEPNST_ISO_E10value_typeEPSP_NS1_7vsmem_tEENKUlT_SN_SO_SP_E_clIS8_S8_S9_S9_EESM_S12_SN_SO_SP_EUlS12_E0_NS1_11comp_targetILNS1_3genE8ELNS1_11target_archE1030ELNS1_3gpuE2ELNS1_3repE0EEENS1_38merge_mergepath_config_static_selectorELNS0_4arch9wavefront6targetE1EEEvSO_.kd
    .uniform_work_group_size: 1
    .uses_dynamic_stack: false
    .vgpr_count:     0
    .vgpr_spill_count: 0
    .wavefront_size: 64
  - .agpr_count:     0
    .args:
      - .offset:         0
        .size:           64
        .value_kind:     by_value
    .group_segment_fixed_size: 0
    .kernarg_segment_align: 8
    .kernarg_segment_size: 64
    .language:       OpenCL C
    .language_version:
      - 2
      - 0
    .max_flat_workgroup_size: 256
    .name:           _ZN7rocprim17ROCPRIM_400000_NS6detail17trampoline_kernelINS0_14default_configENS1_38merge_sort_block_merge_config_selectorIlNS0_10empty_typeEEEZZNS1_27merge_sort_block_merge_implIS3_PlPS5_mZN2at6native12_GLOBAL__N_124unique_dim_cuda_templateIN3c104HalfEEESt5tupleIJNSA_6TensorESH_SH_EERKSH_lbbbEUlllE_EE10hipError_tT0_T1_T2_jT3_P12ihipStream_tbPNSt15iterator_traitsISN_E10value_typeEPNST_ISO_E10value_typeEPSP_NS1_7vsmem_tEENKUlT_SN_SO_SP_E_clIS8_S8_S9_S9_EESM_S12_SN_SO_SP_EUlS12_E1_NS1_11comp_targetILNS1_3genE0ELNS1_11target_archE4294967295ELNS1_3gpuE0ELNS1_3repE0EEENS1_36merge_oddeven_config_static_selectorELNS0_4arch9wavefront6targetE1EEEvSO_
    .private_segment_fixed_size: 0
    .sgpr_count:     52
    .sgpr_spill_count: 0
    .symbol:         _ZN7rocprim17ROCPRIM_400000_NS6detail17trampoline_kernelINS0_14default_configENS1_38merge_sort_block_merge_config_selectorIlNS0_10empty_typeEEEZZNS1_27merge_sort_block_merge_implIS3_PlPS5_mZN2at6native12_GLOBAL__N_124unique_dim_cuda_templateIN3c104HalfEEESt5tupleIJNSA_6TensorESH_SH_EERKSH_lbbbEUlllE_EE10hipError_tT0_T1_T2_jT3_P12ihipStream_tbPNSt15iterator_traitsISN_E10value_typeEPNST_ISO_E10value_typeEPSP_NS1_7vsmem_tEENKUlT_SN_SO_SP_E_clIS8_S8_S9_S9_EESM_S12_SN_SO_SP_EUlS12_E1_NS1_11comp_targetILNS1_3genE0ELNS1_11target_archE4294967295ELNS1_3gpuE0ELNS1_3repE0EEENS1_36merge_oddeven_config_static_selectorELNS0_4arch9wavefront6targetE1EEEvSO_.kd
    .uniform_work_group_size: 1
    .uses_dynamic_stack: false
    .vgpr_count:     19
    .vgpr_spill_count: 0
    .wavefront_size: 64
  - .agpr_count:     0
    .args:
      - .offset:         0
        .size:           64
        .value_kind:     by_value
    .group_segment_fixed_size: 0
    .kernarg_segment_align: 8
    .kernarg_segment_size: 64
    .language:       OpenCL C
    .language_version:
      - 2
      - 0
    .max_flat_workgroup_size: 256
    .name:           _ZN7rocprim17ROCPRIM_400000_NS6detail17trampoline_kernelINS0_14default_configENS1_38merge_sort_block_merge_config_selectorIlNS0_10empty_typeEEEZZNS1_27merge_sort_block_merge_implIS3_PlPS5_mZN2at6native12_GLOBAL__N_124unique_dim_cuda_templateIN3c104HalfEEESt5tupleIJNSA_6TensorESH_SH_EERKSH_lbbbEUlllE_EE10hipError_tT0_T1_T2_jT3_P12ihipStream_tbPNSt15iterator_traitsISN_E10value_typeEPNST_ISO_E10value_typeEPSP_NS1_7vsmem_tEENKUlT_SN_SO_SP_E_clIS8_S8_S9_S9_EESM_S12_SN_SO_SP_EUlS12_E1_NS1_11comp_targetILNS1_3genE10ELNS1_11target_archE1201ELNS1_3gpuE5ELNS1_3repE0EEENS1_36merge_oddeven_config_static_selectorELNS0_4arch9wavefront6targetE1EEEvSO_
    .private_segment_fixed_size: 0
    .sgpr_count:     6
    .sgpr_spill_count: 0
    .symbol:         _ZN7rocprim17ROCPRIM_400000_NS6detail17trampoline_kernelINS0_14default_configENS1_38merge_sort_block_merge_config_selectorIlNS0_10empty_typeEEEZZNS1_27merge_sort_block_merge_implIS3_PlPS5_mZN2at6native12_GLOBAL__N_124unique_dim_cuda_templateIN3c104HalfEEESt5tupleIJNSA_6TensorESH_SH_EERKSH_lbbbEUlllE_EE10hipError_tT0_T1_T2_jT3_P12ihipStream_tbPNSt15iterator_traitsISN_E10value_typeEPNST_ISO_E10value_typeEPSP_NS1_7vsmem_tEENKUlT_SN_SO_SP_E_clIS8_S8_S9_S9_EESM_S12_SN_SO_SP_EUlS12_E1_NS1_11comp_targetILNS1_3genE10ELNS1_11target_archE1201ELNS1_3gpuE5ELNS1_3repE0EEENS1_36merge_oddeven_config_static_selectorELNS0_4arch9wavefront6targetE1EEEvSO_.kd
    .uniform_work_group_size: 1
    .uses_dynamic_stack: false
    .vgpr_count:     0
    .vgpr_spill_count: 0
    .wavefront_size: 64
  - .agpr_count:     0
    .args:
      - .offset:         0
        .size:           64
        .value_kind:     by_value
    .group_segment_fixed_size: 0
    .kernarg_segment_align: 8
    .kernarg_segment_size: 64
    .language:       OpenCL C
    .language_version:
      - 2
      - 0
    .max_flat_workgroup_size: 256
    .name:           _ZN7rocprim17ROCPRIM_400000_NS6detail17trampoline_kernelINS0_14default_configENS1_38merge_sort_block_merge_config_selectorIlNS0_10empty_typeEEEZZNS1_27merge_sort_block_merge_implIS3_PlPS5_mZN2at6native12_GLOBAL__N_124unique_dim_cuda_templateIN3c104HalfEEESt5tupleIJNSA_6TensorESH_SH_EERKSH_lbbbEUlllE_EE10hipError_tT0_T1_T2_jT3_P12ihipStream_tbPNSt15iterator_traitsISN_E10value_typeEPNST_ISO_E10value_typeEPSP_NS1_7vsmem_tEENKUlT_SN_SO_SP_E_clIS8_S8_S9_S9_EESM_S12_SN_SO_SP_EUlS12_E1_NS1_11comp_targetILNS1_3genE5ELNS1_11target_archE942ELNS1_3gpuE9ELNS1_3repE0EEENS1_36merge_oddeven_config_static_selectorELNS0_4arch9wavefront6targetE1EEEvSO_
    .private_segment_fixed_size: 0
    .sgpr_count:     6
    .sgpr_spill_count: 0
    .symbol:         _ZN7rocprim17ROCPRIM_400000_NS6detail17trampoline_kernelINS0_14default_configENS1_38merge_sort_block_merge_config_selectorIlNS0_10empty_typeEEEZZNS1_27merge_sort_block_merge_implIS3_PlPS5_mZN2at6native12_GLOBAL__N_124unique_dim_cuda_templateIN3c104HalfEEESt5tupleIJNSA_6TensorESH_SH_EERKSH_lbbbEUlllE_EE10hipError_tT0_T1_T2_jT3_P12ihipStream_tbPNSt15iterator_traitsISN_E10value_typeEPNST_ISO_E10value_typeEPSP_NS1_7vsmem_tEENKUlT_SN_SO_SP_E_clIS8_S8_S9_S9_EESM_S12_SN_SO_SP_EUlS12_E1_NS1_11comp_targetILNS1_3genE5ELNS1_11target_archE942ELNS1_3gpuE9ELNS1_3repE0EEENS1_36merge_oddeven_config_static_selectorELNS0_4arch9wavefront6targetE1EEEvSO_.kd
    .uniform_work_group_size: 1
    .uses_dynamic_stack: false
    .vgpr_count:     0
    .vgpr_spill_count: 0
    .wavefront_size: 64
  - .agpr_count:     0
    .args:
      - .offset:         0
        .size:           64
        .value_kind:     by_value
    .group_segment_fixed_size: 0
    .kernarg_segment_align: 8
    .kernarg_segment_size: 64
    .language:       OpenCL C
    .language_version:
      - 2
      - 0
    .max_flat_workgroup_size: 256
    .name:           _ZN7rocprim17ROCPRIM_400000_NS6detail17trampoline_kernelINS0_14default_configENS1_38merge_sort_block_merge_config_selectorIlNS0_10empty_typeEEEZZNS1_27merge_sort_block_merge_implIS3_PlPS5_mZN2at6native12_GLOBAL__N_124unique_dim_cuda_templateIN3c104HalfEEESt5tupleIJNSA_6TensorESH_SH_EERKSH_lbbbEUlllE_EE10hipError_tT0_T1_T2_jT3_P12ihipStream_tbPNSt15iterator_traitsISN_E10value_typeEPNST_ISO_E10value_typeEPSP_NS1_7vsmem_tEENKUlT_SN_SO_SP_E_clIS8_S8_S9_S9_EESM_S12_SN_SO_SP_EUlS12_E1_NS1_11comp_targetILNS1_3genE4ELNS1_11target_archE910ELNS1_3gpuE8ELNS1_3repE0EEENS1_36merge_oddeven_config_static_selectorELNS0_4arch9wavefront6targetE1EEEvSO_
    .private_segment_fixed_size: 0
    .sgpr_count:     6
    .sgpr_spill_count: 0
    .symbol:         _ZN7rocprim17ROCPRIM_400000_NS6detail17trampoline_kernelINS0_14default_configENS1_38merge_sort_block_merge_config_selectorIlNS0_10empty_typeEEEZZNS1_27merge_sort_block_merge_implIS3_PlPS5_mZN2at6native12_GLOBAL__N_124unique_dim_cuda_templateIN3c104HalfEEESt5tupleIJNSA_6TensorESH_SH_EERKSH_lbbbEUlllE_EE10hipError_tT0_T1_T2_jT3_P12ihipStream_tbPNSt15iterator_traitsISN_E10value_typeEPNST_ISO_E10value_typeEPSP_NS1_7vsmem_tEENKUlT_SN_SO_SP_E_clIS8_S8_S9_S9_EESM_S12_SN_SO_SP_EUlS12_E1_NS1_11comp_targetILNS1_3genE4ELNS1_11target_archE910ELNS1_3gpuE8ELNS1_3repE0EEENS1_36merge_oddeven_config_static_selectorELNS0_4arch9wavefront6targetE1EEEvSO_.kd
    .uniform_work_group_size: 1
    .uses_dynamic_stack: false
    .vgpr_count:     0
    .vgpr_spill_count: 0
    .wavefront_size: 64
  - .agpr_count:     0
    .args:
      - .offset:         0
        .size:           64
        .value_kind:     by_value
    .group_segment_fixed_size: 0
    .kernarg_segment_align: 8
    .kernarg_segment_size: 64
    .language:       OpenCL C
    .language_version:
      - 2
      - 0
    .max_flat_workgroup_size: 256
    .name:           _ZN7rocprim17ROCPRIM_400000_NS6detail17trampoline_kernelINS0_14default_configENS1_38merge_sort_block_merge_config_selectorIlNS0_10empty_typeEEEZZNS1_27merge_sort_block_merge_implIS3_PlPS5_mZN2at6native12_GLOBAL__N_124unique_dim_cuda_templateIN3c104HalfEEESt5tupleIJNSA_6TensorESH_SH_EERKSH_lbbbEUlllE_EE10hipError_tT0_T1_T2_jT3_P12ihipStream_tbPNSt15iterator_traitsISN_E10value_typeEPNST_ISO_E10value_typeEPSP_NS1_7vsmem_tEENKUlT_SN_SO_SP_E_clIS8_S8_S9_S9_EESM_S12_SN_SO_SP_EUlS12_E1_NS1_11comp_targetILNS1_3genE3ELNS1_11target_archE908ELNS1_3gpuE7ELNS1_3repE0EEENS1_36merge_oddeven_config_static_selectorELNS0_4arch9wavefront6targetE1EEEvSO_
    .private_segment_fixed_size: 0
    .sgpr_count:     6
    .sgpr_spill_count: 0
    .symbol:         _ZN7rocprim17ROCPRIM_400000_NS6detail17trampoline_kernelINS0_14default_configENS1_38merge_sort_block_merge_config_selectorIlNS0_10empty_typeEEEZZNS1_27merge_sort_block_merge_implIS3_PlPS5_mZN2at6native12_GLOBAL__N_124unique_dim_cuda_templateIN3c104HalfEEESt5tupleIJNSA_6TensorESH_SH_EERKSH_lbbbEUlllE_EE10hipError_tT0_T1_T2_jT3_P12ihipStream_tbPNSt15iterator_traitsISN_E10value_typeEPNST_ISO_E10value_typeEPSP_NS1_7vsmem_tEENKUlT_SN_SO_SP_E_clIS8_S8_S9_S9_EESM_S12_SN_SO_SP_EUlS12_E1_NS1_11comp_targetILNS1_3genE3ELNS1_11target_archE908ELNS1_3gpuE7ELNS1_3repE0EEENS1_36merge_oddeven_config_static_selectorELNS0_4arch9wavefront6targetE1EEEvSO_.kd
    .uniform_work_group_size: 1
    .uses_dynamic_stack: false
    .vgpr_count:     0
    .vgpr_spill_count: 0
    .wavefront_size: 64
  - .agpr_count:     0
    .args:
      - .offset:         0
        .size:           64
        .value_kind:     by_value
    .group_segment_fixed_size: 0
    .kernarg_segment_align: 8
    .kernarg_segment_size: 64
    .language:       OpenCL C
    .language_version:
      - 2
      - 0
    .max_flat_workgroup_size: 256
    .name:           _ZN7rocprim17ROCPRIM_400000_NS6detail17trampoline_kernelINS0_14default_configENS1_38merge_sort_block_merge_config_selectorIlNS0_10empty_typeEEEZZNS1_27merge_sort_block_merge_implIS3_PlPS5_mZN2at6native12_GLOBAL__N_124unique_dim_cuda_templateIN3c104HalfEEESt5tupleIJNSA_6TensorESH_SH_EERKSH_lbbbEUlllE_EE10hipError_tT0_T1_T2_jT3_P12ihipStream_tbPNSt15iterator_traitsISN_E10value_typeEPNST_ISO_E10value_typeEPSP_NS1_7vsmem_tEENKUlT_SN_SO_SP_E_clIS8_S8_S9_S9_EESM_S12_SN_SO_SP_EUlS12_E1_NS1_11comp_targetILNS1_3genE2ELNS1_11target_archE906ELNS1_3gpuE6ELNS1_3repE0EEENS1_36merge_oddeven_config_static_selectorELNS0_4arch9wavefront6targetE1EEEvSO_
    .private_segment_fixed_size: 0
    .sgpr_count:     6
    .sgpr_spill_count: 0
    .symbol:         _ZN7rocprim17ROCPRIM_400000_NS6detail17trampoline_kernelINS0_14default_configENS1_38merge_sort_block_merge_config_selectorIlNS0_10empty_typeEEEZZNS1_27merge_sort_block_merge_implIS3_PlPS5_mZN2at6native12_GLOBAL__N_124unique_dim_cuda_templateIN3c104HalfEEESt5tupleIJNSA_6TensorESH_SH_EERKSH_lbbbEUlllE_EE10hipError_tT0_T1_T2_jT3_P12ihipStream_tbPNSt15iterator_traitsISN_E10value_typeEPNST_ISO_E10value_typeEPSP_NS1_7vsmem_tEENKUlT_SN_SO_SP_E_clIS8_S8_S9_S9_EESM_S12_SN_SO_SP_EUlS12_E1_NS1_11comp_targetILNS1_3genE2ELNS1_11target_archE906ELNS1_3gpuE6ELNS1_3repE0EEENS1_36merge_oddeven_config_static_selectorELNS0_4arch9wavefront6targetE1EEEvSO_.kd
    .uniform_work_group_size: 1
    .uses_dynamic_stack: false
    .vgpr_count:     0
    .vgpr_spill_count: 0
    .wavefront_size: 64
  - .agpr_count:     0
    .args:
      - .offset:         0
        .size:           64
        .value_kind:     by_value
    .group_segment_fixed_size: 0
    .kernarg_segment_align: 8
    .kernarg_segment_size: 64
    .language:       OpenCL C
    .language_version:
      - 2
      - 0
    .max_flat_workgroup_size: 256
    .name:           _ZN7rocprim17ROCPRIM_400000_NS6detail17trampoline_kernelINS0_14default_configENS1_38merge_sort_block_merge_config_selectorIlNS0_10empty_typeEEEZZNS1_27merge_sort_block_merge_implIS3_PlPS5_mZN2at6native12_GLOBAL__N_124unique_dim_cuda_templateIN3c104HalfEEESt5tupleIJNSA_6TensorESH_SH_EERKSH_lbbbEUlllE_EE10hipError_tT0_T1_T2_jT3_P12ihipStream_tbPNSt15iterator_traitsISN_E10value_typeEPNST_ISO_E10value_typeEPSP_NS1_7vsmem_tEENKUlT_SN_SO_SP_E_clIS8_S8_S9_S9_EESM_S12_SN_SO_SP_EUlS12_E1_NS1_11comp_targetILNS1_3genE9ELNS1_11target_archE1100ELNS1_3gpuE3ELNS1_3repE0EEENS1_36merge_oddeven_config_static_selectorELNS0_4arch9wavefront6targetE1EEEvSO_
    .private_segment_fixed_size: 0
    .sgpr_count:     6
    .sgpr_spill_count: 0
    .symbol:         _ZN7rocprim17ROCPRIM_400000_NS6detail17trampoline_kernelINS0_14default_configENS1_38merge_sort_block_merge_config_selectorIlNS0_10empty_typeEEEZZNS1_27merge_sort_block_merge_implIS3_PlPS5_mZN2at6native12_GLOBAL__N_124unique_dim_cuda_templateIN3c104HalfEEESt5tupleIJNSA_6TensorESH_SH_EERKSH_lbbbEUlllE_EE10hipError_tT0_T1_T2_jT3_P12ihipStream_tbPNSt15iterator_traitsISN_E10value_typeEPNST_ISO_E10value_typeEPSP_NS1_7vsmem_tEENKUlT_SN_SO_SP_E_clIS8_S8_S9_S9_EESM_S12_SN_SO_SP_EUlS12_E1_NS1_11comp_targetILNS1_3genE9ELNS1_11target_archE1100ELNS1_3gpuE3ELNS1_3repE0EEENS1_36merge_oddeven_config_static_selectorELNS0_4arch9wavefront6targetE1EEEvSO_.kd
    .uniform_work_group_size: 1
    .uses_dynamic_stack: false
    .vgpr_count:     0
    .vgpr_spill_count: 0
    .wavefront_size: 64
  - .agpr_count:     0
    .args:
      - .offset:         0
        .size:           64
        .value_kind:     by_value
    .group_segment_fixed_size: 0
    .kernarg_segment_align: 8
    .kernarg_segment_size: 64
    .language:       OpenCL C
    .language_version:
      - 2
      - 0
    .max_flat_workgroup_size: 256
    .name:           _ZN7rocprim17ROCPRIM_400000_NS6detail17trampoline_kernelINS0_14default_configENS1_38merge_sort_block_merge_config_selectorIlNS0_10empty_typeEEEZZNS1_27merge_sort_block_merge_implIS3_PlPS5_mZN2at6native12_GLOBAL__N_124unique_dim_cuda_templateIN3c104HalfEEESt5tupleIJNSA_6TensorESH_SH_EERKSH_lbbbEUlllE_EE10hipError_tT0_T1_T2_jT3_P12ihipStream_tbPNSt15iterator_traitsISN_E10value_typeEPNST_ISO_E10value_typeEPSP_NS1_7vsmem_tEENKUlT_SN_SO_SP_E_clIS8_S8_S9_S9_EESM_S12_SN_SO_SP_EUlS12_E1_NS1_11comp_targetILNS1_3genE8ELNS1_11target_archE1030ELNS1_3gpuE2ELNS1_3repE0EEENS1_36merge_oddeven_config_static_selectorELNS0_4arch9wavefront6targetE1EEEvSO_
    .private_segment_fixed_size: 0
    .sgpr_count:     6
    .sgpr_spill_count: 0
    .symbol:         _ZN7rocprim17ROCPRIM_400000_NS6detail17trampoline_kernelINS0_14default_configENS1_38merge_sort_block_merge_config_selectorIlNS0_10empty_typeEEEZZNS1_27merge_sort_block_merge_implIS3_PlPS5_mZN2at6native12_GLOBAL__N_124unique_dim_cuda_templateIN3c104HalfEEESt5tupleIJNSA_6TensorESH_SH_EERKSH_lbbbEUlllE_EE10hipError_tT0_T1_T2_jT3_P12ihipStream_tbPNSt15iterator_traitsISN_E10value_typeEPNST_ISO_E10value_typeEPSP_NS1_7vsmem_tEENKUlT_SN_SO_SP_E_clIS8_S8_S9_S9_EESM_S12_SN_SO_SP_EUlS12_E1_NS1_11comp_targetILNS1_3genE8ELNS1_11target_archE1030ELNS1_3gpuE2ELNS1_3repE0EEENS1_36merge_oddeven_config_static_selectorELNS0_4arch9wavefront6targetE1EEEvSO_.kd
    .uniform_work_group_size: 1
    .uses_dynamic_stack: false
    .vgpr_count:     0
    .vgpr_spill_count: 0
    .wavefront_size: 64
  - .agpr_count:     0
    .args:
      - .offset:         0
        .size:           64
        .value_kind:     by_value
    .group_segment_fixed_size: 2048
    .kernarg_segment_align: 8
    .kernarg_segment_size: 64
    .language:       OpenCL C
    .language_version:
      - 2
      - 0
    .max_flat_workgroup_size: 128
    .name:           _ZN7rocprim17ROCPRIM_400000_NS6detail17trampoline_kernelINS0_14default_configENS1_35adjacent_difference_config_selectorILb0ElEEZNS1_24adjacent_difference_implIS3_Lb0ELb0EPlS7_ZN2at6native12_GLOBAL__N_124unique_dim_cuda_templateIN3c104HalfEEESt5tupleIJNS8_6TensorESF_SF_EERKSF_lbbbEUlllE1_EE10hipError_tPvRmT2_T3_mT4_P12ihipStream_tbEUlT_E_NS1_11comp_targetILNS1_3genE0ELNS1_11target_archE4294967295ELNS1_3gpuE0ELNS1_3repE0EEENS1_30default_config_static_selectorELNS0_4arch9wavefront6targetE1EEEvT1_
    .private_segment_fixed_size: 0
    .sgpr_count:     38
    .sgpr_spill_count: 0
    .symbol:         _ZN7rocprim17ROCPRIM_400000_NS6detail17trampoline_kernelINS0_14default_configENS1_35adjacent_difference_config_selectorILb0ElEEZNS1_24adjacent_difference_implIS3_Lb0ELb0EPlS7_ZN2at6native12_GLOBAL__N_124unique_dim_cuda_templateIN3c104HalfEEESt5tupleIJNS8_6TensorESF_SF_EERKSF_lbbbEUlllE1_EE10hipError_tPvRmT2_T3_mT4_P12ihipStream_tbEUlT_E_NS1_11comp_targetILNS1_3genE0ELNS1_11target_archE4294967295ELNS1_3gpuE0ELNS1_3repE0EEENS1_30default_config_static_selectorELNS0_4arch9wavefront6targetE1EEEvT1_.kd
    .uniform_work_group_size: 1
    .uses_dynamic_stack: false
    .vgpr_count:     11
    .vgpr_spill_count: 0
    .wavefront_size: 64
  - .agpr_count:     0
    .args:
      - .offset:         0
        .size:           64
        .value_kind:     by_value
    .group_segment_fixed_size: 0
    .kernarg_segment_align: 8
    .kernarg_segment_size: 64
    .language:       OpenCL C
    .language_version:
      - 2
      - 0
    .max_flat_workgroup_size: 128
    .name:           _ZN7rocprim17ROCPRIM_400000_NS6detail17trampoline_kernelINS0_14default_configENS1_35adjacent_difference_config_selectorILb0ElEEZNS1_24adjacent_difference_implIS3_Lb0ELb0EPlS7_ZN2at6native12_GLOBAL__N_124unique_dim_cuda_templateIN3c104HalfEEESt5tupleIJNS8_6TensorESF_SF_EERKSF_lbbbEUlllE1_EE10hipError_tPvRmT2_T3_mT4_P12ihipStream_tbEUlT_E_NS1_11comp_targetILNS1_3genE10ELNS1_11target_archE1201ELNS1_3gpuE5ELNS1_3repE0EEENS1_30default_config_static_selectorELNS0_4arch9wavefront6targetE1EEEvT1_
    .private_segment_fixed_size: 0
    .sgpr_count:     6
    .sgpr_spill_count: 0
    .symbol:         _ZN7rocprim17ROCPRIM_400000_NS6detail17trampoline_kernelINS0_14default_configENS1_35adjacent_difference_config_selectorILb0ElEEZNS1_24adjacent_difference_implIS3_Lb0ELb0EPlS7_ZN2at6native12_GLOBAL__N_124unique_dim_cuda_templateIN3c104HalfEEESt5tupleIJNS8_6TensorESF_SF_EERKSF_lbbbEUlllE1_EE10hipError_tPvRmT2_T3_mT4_P12ihipStream_tbEUlT_E_NS1_11comp_targetILNS1_3genE10ELNS1_11target_archE1201ELNS1_3gpuE5ELNS1_3repE0EEENS1_30default_config_static_selectorELNS0_4arch9wavefront6targetE1EEEvT1_.kd
    .uniform_work_group_size: 1
    .uses_dynamic_stack: false
    .vgpr_count:     0
    .vgpr_spill_count: 0
    .wavefront_size: 64
  - .agpr_count:     0
    .args:
      - .offset:         0
        .size:           64
        .value_kind:     by_value
    .group_segment_fixed_size: 0
    .kernarg_segment_align: 8
    .kernarg_segment_size: 64
    .language:       OpenCL C
    .language_version:
      - 2
      - 0
    .max_flat_workgroup_size: 64
    .name:           _ZN7rocprim17ROCPRIM_400000_NS6detail17trampoline_kernelINS0_14default_configENS1_35adjacent_difference_config_selectorILb0ElEEZNS1_24adjacent_difference_implIS3_Lb0ELb0EPlS7_ZN2at6native12_GLOBAL__N_124unique_dim_cuda_templateIN3c104HalfEEESt5tupleIJNS8_6TensorESF_SF_EERKSF_lbbbEUlllE1_EE10hipError_tPvRmT2_T3_mT4_P12ihipStream_tbEUlT_E_NS1_11comp_targetILNS1_3genE5ELNS1_11target_archE942ELNS1_3gpuE9ELNS1_3repE0EEENS1_30default_config_static_selectorELNS0_4arch9wavefront6targetE1EEEvT1_
    .private_segment_fixed_size: 0
    .sgpr_count:     6
    .sgpr_spill_count: 0
    .symbol:         _ZN7rocprim17ROCPRIM_400000_NS6detail17trampoline_kernelINS0_14default_configENS1_35adjacent_difference_config_selectorILb0ElEEZNS1_24adjacent_difference_implIS3_Lb0ELb0EPlS7_ZN2at6native12_GLOBAL__N_124unique_dim_cuda_templateIN3c104HalfEEESt5tupleIJNS8_6TensorESF_SF_EERKSF_lbbbEUlllE1_EE10hipError_tPvRmT2_T3_mT4_P12ihipStream_tbEUlT_E_NS1_11comp_targetILNS1_3genE5ELNS1_11target_archE942ELNS1_3gpuE9ELNS1_3repE0EEENS1_30default_config_static_selectorELNS0_4arch9wavefront6targetE1EEEvT1_.kd
    .uniform_work_group_size: 1
    .uses_dynamic_stack: false
    .vgpr_count:     0
    .vgpr_spill_count: 0
    .wavefront_size: 64
  - .agpr_count:     0
    .args:
      - .offset:         0
        .size:           64
        .value_kind:     by_value
    .group_segment_fixed_size: 0
    .kernarg_segment_align: 8
    .kernarg_segment_size: 64
    .language:       OpenCL C
    .language_version:
      - 2
      - 0
    .max_flat_workgroup_size: 256
    .name:           _ZN7rocprim17ROCPRIM_400000_NS6detail17trampoline_kernelINS0_14default_configENS1_35adjacent_difference_config_selectorILb0ElEEZNS1_24adjacent_difference_implIS3_Lb0ELb0EPlS7_ZN2at6native12_GLOBAL__N_124unique_dim_cuda_templateIN3c104HalfEEESt5tupleIJNS8_6TensorESF_SF_EERKSF_lbbbEUlllE1_EE10hipError_tPvRmT2_T3_mT4_P12ihipStream_tbEUlT_E_NS1_11comp_targetILNS1_3genE4ELNS1_11target_archE910ELNS1_3gpuE8ELNS1_3repE0EEENS1_30default_config_static_selectorELNS0_4arch9wavefront6targetE1EEEvT1_
    .private_segment_fixed_size: 0
    .sgpr_count:     6
    .sgpr_spill_count: 0
    .symbol:         _ZN7rocprim17ROCPRIM_400000_NS6detail17trampoline_kernelINS0_14default_configENS1_35adjacent_difference_config_selectorILb0ElEEZNS1_24adjacent_difference_implIS3_Lb0ELb0EPlS7_ZN2at6native12_GLOBAL__N_124unique_dim_cuda_templateIN3c104HalfEEESt5tupleIJNS8_6TensorESF_SF_EERKSF_lbbbEUlllE1_EE10hipError_tPvRmT2_T3_mT4_P12ihipStream_tbEUlT_E_NS1_11comp_targetILNS1_3genE4ELNS1_11target_archE910ELNS1_3gpuE8ELNS1_3repE0EEENS1_30default_config_static_selectorELNS0_4arch9wavefront6targetE1EEEvT1_.kd
    .uniform_work_group_size: 1
    .uses_dynamic_stack: false
    .vgpr_count:     0
    .vgpr_spill_count: 0
    .wavefront_size: 64
  - .agpr_count:     0
    .args:
      - .offset:         0
        .size:           64
        .value_kind:     by_value
    .group_segment_fixed_size: 0
    .kernarg_segment_align: 8
    .kernarg_segment_size: 64
    .language:       OpenCL C
    .language_version:
      - 2
      - 0
    .max_flat_workgroup_size: 128
    .name:           _ZN7rocprim17ROCPRIM_400000_NS6detail17trampoline_kernelINS0_14default_configENS1_35adjacent_difference_config_selectorILb0ElEEZNS1_24adjacent_difference_implIS3_Lb0ELb0EPlS7_ZN2at6native12_GLOBAL__N_124unique_dim_cuda_templateIN3c104HalfEEESt5tupleIJNS8_6TensorESF_SF_EERKSF_lbbbEUlllE1_EE10hipError_tPvRmT2_T3_mT4_P12ihipStream_tbEUlT_E_NS1_11comp_targetILNS1_3genE3ELNS1_11target_archE908ELNS1_3gpuE7ELNS1_3repE0EEENS1_30default_config_static_selectorELNS0_4arch9wavefront6targetE1EEEvT1_
    .private_segment_fixed_size: 0
    .sgpr_count:     6
    .sgpr_spill_count: 0
    .symbol:         _ZN7rocprim17ROCPRIM_400000_NS6detail17trampoline_kernelINS0_14default_configENS1_35adjacent_difference_config_selectorILb0ElEEZNS1_24adjacent_difference_implIS3_Lb0ELb0EPlS7_ZN2at6native12_GLOBAL__N_124unique_dim_cuda_templateIN3c104HalfEEESt5tupleIJNS8_6TensorESF_SF_EERKSF_lbbbEUlllE1_EE10hipError_tPvRmT2_T3_mT4_P12ihipStream_tbEUlT_E_NS1_11comp_targetILNS1_3genE3ELNS1_11target_archE908ELNS1_3gpuE7ELNS1_3repE0EEENS1_30default_config_static_selectorELNS0_4arch9wavefront6targetE1EEEvT1_.kd
    .uniform_work_group_size: 1
    .uses_dynamic_stack: false
    .vgpr_count:     0
    .vgpr_spill_count: 0
    .wavefront_size: 64
  - .agpr_count:     0
    .args:
      - .offset:         0
        .size:           64
        .value_kind:     by_value
    .group_segment_fixed_size: 0
    .kernarg_segment_align: 8
    .kernarg_segment_size: 64
    .language:       OpenCL C
    .language_version:
      - 2
      - 0
    .max_flat_workgroup_size: 128
    .name:           _ZN7rocprim17ROCPRIM_400000_NS6detail17trampoline_kernelINS0_14default_configENS1_35adjacent_difference_config_selectorILb0ElEEZNS1_24adjacent_difference_implIS3_Lb0ELb0EPlS7_ZN2at6native12_GLOBAL__N_124unique_dim_cuda_templateIN3c104HalfEEESt5tupleIJNS8_6TensorESF_SF_EERKSF_lbbbEUlllE1_EE10hipError_tPvRmT2_T3_mT4_P12ihipStream_tbEUlT_E_NS1_11comp_targetILNS1_3genE2ELNS1_11target_archE906ELNS1_3gpuE6ELNS1_3repE0EEENS1_30default_config_static_selectorELNS0_4arch9wavefront6targetE1EEEvT1_
    .private_segment_fixed_size: 0
    .sgpr_count:     6
    .sgpr_spill_count: 0
    .symbol:         _ZN7rocprim17ROCPRIM_400000_NS6detail17trampoline_kernelINS0_14default_configENS1_35adjacent_difference_config_selectorILb0ElEEZNS1_24adjacent_difference_implIS3_Lb0ELb0EPlS7_ZN2at6native12_GLOBAL__N_124unique_dim_cuda_templateIN3c104HalfEEESt5tupleIJNS8_6TensorESF_SF_EERKSF_lbbbEUlllE1_EE10hipError_tPvRmT2_T3_mT4_P12ihipStream_tbEUlT_E_NS1_11comp_targetILNS1_3genE2ELNS1_11target_archE906ELNS1_3gpuE6ELNS1_3repE0EEENS1_30default_config_static_selectorELNS0_4arch9wavefront6targetE1EEEvT1_.kd
    .uniform_work_group_size: 1
    .uses_dynamic_stack: false
    .vgpr_count:     0
    .vgpr_spill_count: 0
    .wavefront_size: 64
  - .agpr_count:     0
    .args:
      - .offset:         0
        .size:           64
        .value_kind:     by_value
    .group_segment_fixed_size: 0
    .kernarg_segment_align: 8
    .kernarg_segment_size: 64
    .language:       OpenCL C
    .language_version:
      - 2
      - 0
    .max_flat_workgroup_size: 512
    .name:           _ZN7rocprim17ROCPRIM_400000_NS6detail17trampoline_kernelINS0_14default_configENS1_35adjacent_difference_config_selectorILb0ElEEZNS1_24adjacent_difference_implIS3_Lb0ELb0EPlS7_ZN2at6native12_GLOBAL__N_124unique_dim_cuda_templateIN3c104HalfEEESt5tupleIJNS8_6TensorESF_SF_EERKSF_lbbbEUlllE1_EE10hipError_tPvRmT2_T3_mT4_P12ihipStream_tbEUlT_E_NS1_11comp_targetILNS1_3genE9ELNS1_11target_archE1100ELNS1_3gpuE3ELNS1_3repE0EEENS1_30default_config_static_selectorELNS0_4arch9wavefront6targetE1EEEvT1_
    .private_segment_fixed_size: 0
    .sgpr_count:     6
    .sgpr_spill_count: 0
    .symbol:         _ZN7rocprim17ROCPRIM_400000_NS6detail17trampoline_kernelINS0_14default_configENS1_35adjacent_difference_config_selectorILb0ElEEZNS1_24adjacent_difference_implIS3_Lb0ELb0EPlS7_ZN2at6native12_GLOBAL__N_124unique_dim_cuda_templateIN3c104HalfEEESt5tupleIJNS8_6TensorESF_SF_EERKSF_lbbbEUlllE1_EE10hipError_tPvRmT2_T3_mT4_P12ihipStream_tbEUlT_E_NS1_11comp_targetILNS1_3genE9ELNS1_11target_archE1100ELNS1_3gpuE3ELNS1_3repE0EEENS1_30default_config_static_selectorELNS0_4arch9wavefront6targetE1EEEvT1_.kd
    .uniform_work_group_size: 1
    .uses_dynamic_stack: false
    .vgpr_count:     0
    .vgpr_spill_count: 0
    .wavefront_size: 64
  - .agpr_count:     0
    .args:
      - .offset:         0
        .size:           64
        .value_kind:     by_value
    .group_segment_fixed_size: 0
    .kernarg_segment_align: 8
    .kernarg_segment_size: 64
    .language:       OpenCL C
    .language_version:
      - 2
      - 0
    .max_flat_workgroup_size: 1024
    .name:           _ZN7rocprim17ROCPRIM_400000_NS6detail17trampoline_kernelINS0_14default_configENS1_35adjacent_difference_config_selectorILb0ElEEZNS1_24adjacent_difference_implIS3_Lb0ELb0EPlS7_ZN2at6native12_GLOBAL__N_124unique_dim_cuda_templateIN3c104HalfEEESt5tupleIJNS8_6TensorESF_SF_EERKSF_lbbbEUlllE1_EE10hipError_tPvRmT2_T3_mT4_P12ihipStream_tbEUlT_E_NS1_11comp_targetILNS1_3genE8ELNS1_11target_archE1030ELNS1_3gpuE2ELNS1_3repE0EEENS1_30default_config_static_selectorELNS0_4arch9wavefront6targetE1EEEvT1_
    .private_segment_fixed_size: 0
    .sgpr_count:     6
    .sgpr_spill_count: 0
    .symbol:         _ZN7rocprim17ROCPRIM_400000_NS6detail17trampoline_kernelINS0_14default_configENS1_35adjacent_difference_config_selectorILb0ElEEZNS1_24adjacent_difference_implIS3_Lb0ELb0EPlS7_ZN2at6native12_GLOBAL__N_124unique_dim_cuda_templateIN3c104HalfEEESt5tupleIJNS8_6TensorESF_SF_EERKSF_lbbbEUlllE1_EE10hipError_tPvRmT2_T3_mT4_P12ihipStream_tbEUlT_E_NS1_11comp_targetILNS1_3genE8ELNS1_11target_archE1030ELNS1_3gpuE2ELNS1_3repE0EEENS1_30default_config_static_selectorELNS0_4arch9wavefront6targetE1EEEvT1_.kd
    .uniform_work_group_size: 1
    .uses_dynamic_stack: false
    .vgpr_count:     0
    .vgpr_spill_count: 0
    .wavefront_size: 64
  - .agpr_count:     0
    .args:
      - .offset:         0
        .size:           56
        .value_kind:     by_value
      - .offset:         56
        .size:           4
        .value_kind:     hidden_block_count_x
      - .offset:         60
        .size:           4
        .value_kind:     hidden_block_count_y
      - .offset:         64
        .size:           4
        .value_kind:     hidden_block_count_z
      - .offset:         68
        .size:           2
        .value_kind:     hidden_group_size_x
      - .offset:         70
        .size:           2
        .value_kind:     hidden_group_size_y
      - .offset:         72
        .size:           2
        .value_kind:     hidden_group_size_z
      - .offset:         74
        .size:           2
        .value_kind:     hidden_remainder_x
      - .offset:         76
        .size:           2
        .value_kind:     hidden_remainder_y
      - .offset:         78
        .size:           2
        .value_kind:     hidden_remainder_z
      - .offset:         96
        .size:           8
        .value_kind:     hidden_global_offset_x
      - .offset:         104
        .size:           8
        .value_kind:     hidden_global_offset_y
      - .offset:         112
        .size:           8
        .value_kind:     hidden_global_offset_z
      - .offset:         120
        .size:           2
        .value_kind:     hidden_grid_dims
    .group_segment_fixed_size: 0
    .kernarg_segment_align: 8
    .kernarg_segment_size: 312
    .language:       OpenCL C
    .language_version:
      - 2
      - 0
    .max_flat_workgroup_size: 128
    .name:           _ZN7rocprim17ROCPRIM_400000_NS6detail17trampoline_kernelINS0_14default_configENS1_25transform_config_selectorIlLb0EEEZNS1_14transform_implILb0ES3_S5_NS0_18transform_iteratorINS0_17counting_iteratorImlEEZNS1_24adjacent_difference_implIS3_Lb1ELb0EPlSB_ZN2at6native12_GLOBAL__N_124unique_dim_cuda_templateIN3c104HalfEEESt5tupleIJNSC_6TensorESJ_SJ_EERKSJ_lbbbEUlllE1_EE10hipError_tPvRmT2_T3_mT4_P12ihipStream_tbEUlmE_lEESB_NS0_8identityIvEEEESO_SR_SS_mST_SV_bEUlT_E_NS1_11comp_targetILNS1_3genE0ELNS1_11target_archE4294967295ELNS1_3gpuE0ELNS1_3repE0EEENS1_30default_config_static_selectorELNS0_4arch9wavefront6targetE1EEEvT1_
    .private_segment_fixed_size: 0
    .sgpr_count:     18
    .sgpr_spill_count: 0
    .symbol:         _ZN7rocprim17ROCPRIM_400000_NS6detail17trampoline_kernelINS0_14default_configENS1_25transform_config_selectorIlLb0EEEZNS1_14transform_implILb0ES3_S5_NS0_18transform_iteratorINS0_17counting_iteratorImlEEZNS1_24adjacent_difference_implIS3_Lb1ELb0EPlSB_ZN2at6native12_GLOBAL__N_124unique_dim_cuda_templateIN3c104HalfEEESt5tupleIJNSC_6TensorESJ_SJ_EERKSJ_lbbbEUlllE1_EE10hipError_tPvRmT2_T3_mT4_P12ihipStream_tbEUlmE_lEESB_NS0_8identityIvEEEESO_SR_SS_mST_SV_bEUlT_E_NS1_11comp_targetILNS1_3genE0ELNS1_11target_archE4294967295ELNS1_3gpuE0ELNS1_3repE0EEENS1_30default_config_static_selectorELNS0_4arch9wavefront6targetE1EEEvT1_.kd
    .uniform_work_group_size: 1
    .uses_dynamic_stack: false
    .vgpr_count:     8
    .vgpr_spill_count: 0
    .wavefront_size: 64
  - .agpr_count:     0
    .args:
      - .offset:         0
        .size:           56
        .value_kind:     by_value
    .group_segment_fixed_size: 0
    .kernarg_segment_align: 8
    .kernarg_segment_size: 56
    .language:       OpenCL C
    .language_version:
      - 2
      - 0
    .max_flat_workgroup_size: 512
    .name:           _ZN7rocprim17ROCPRIM_400000_NS6detail17trampoline_kernelINS0_14default_configENS1_25transform_config_selectorIlLb0EEEZNS1_14transform_implILb0ES3_S5_NS0_18transform_iteratorINS0_17counting_iteratorImlEEZNS1_24adjacent_difference_implIS3_Lb1ELb0EPlSB_ZN2at6native12_GLOBAL__N_124unique_dim_cuda_templateIN3c104HalfEEESt5tupleIJNSC_6TensorESJ_SJ_EERKSJ_lbbbEUlllE1_EE10hipError_tPvRmT2_T3_mT4_P12ihipStream_tbEUlmE_lEESB_NS0_8identityIvEEEESO_SR_SS_mST_SV_bEUlT_E_NS1_11comp_targetILNS1_3genE5ELNS1_11target_archE942ELNS1_3gpuE9ELNS1_3repE0EEENS1_30default_config_static_selectorELNS0_4arch9wavefront6targetE1EEEvT1_
    .private_segment_fixed_size: 0
    .sgpr_count:     6
    .sgpr_spill_count: 0
    .symbol:         _ZN7rocprim17ROCPRIM_400000_NS6detail17trampoline_kernelINS0_14default_configENS1_25transform_config_selectorIlLb0EEEZNS1_14transform_implILb0ES3_S5_NS0_18transform_iteratorINS0_17counting_iteratorImlEEZNS1_24adjacent_difference_implIS3_Lb1ELb0EPlSB_ZN2at6native12_GLOBAL__N_124unique_dim_cuda_templateIN3c104HalfEEESt5tupleIJNSC_6TensorESJ_SJ_EERKSJ_lbbbEUlllE1_EE10hipError_tPvRmT2_T3_mT4_P12ihipStream_tbEUlmE_lEESB_NS0_8identityIvEEEESO_SR_SS_mST_SV_bEUlT_E_NS1_11comp_targetILNS1_3genE5ELNS1_11target_archE942ELNS1_3gpuE9ELNS1_3repE0EEENS1_30default_config_static_selectorELNS0_4arch9wavefront6targetE1EEEvT1_.kd
    .uniform_work_group_size: 1
    .uses_dynamic_stack: false
    .vgpr_count:     0
    .vgpr_spill_count: 0
    .wavefront_size: 64
  - .agpr_count:     0
    .args:
      - .offset:         0
        .size:           56
        .value_kind:     by_value
    .group_segment_fixed_size: 0
    .kernarg_segment_align: 8
    .kernarg_segment_size: 56
    .language:       OpenCL C
    .language_version:
      - 2
      - 0
    .max_flat_workgroup_size: 256
    .name:           _ZN7rocprim17ROCPRIM_400000_NS6detail17trampoline_kernelINS0_14default_configENS1_25transform_config_selectorIlLb0EEEZNS1_14transform_implILb0ES3_S5_NS0_18transform_iteratorINS0_17counting_iteratorImlEEZNS1_24adjacent_difference_implIS3_Lb1ELb0EPlSB_ZN2at6native12_GLOBAL__N_124unique_dim_cuda_templateIN3c104HalfEEESt5tupleIJNSC_6TensorESJ_SJ_EERKSJ_lbbbEUlllE1_EE10hipError_tPvRmT2_T3_mT4_P12ihipStream_tbEUlmE_lEESB_NS0_8identityIvEEEESO_SR_SS_mST_SV_bEUlT_E_NS1_11comp_targetILNS1_3genE4ELNS1_11target_archE910ELNS1_3gpuE8ELNS1_3repE0EEENS1_30default_config_static_selectorELNS0_4arch9wavefront6targetE1EEEvT1_
    .private_segment_fixed_size: 0
    .sgpr_count:     6
    .sgpr_spill_count: 0
    .symbol:         _ZN7rocprim17ROCPRIM_400000_NS6detail17trampoline_kernelINS0_14default_configENS1_25transform_config_selectorIlLb0EEEZNS1_14transform_implILb0ES3_S5_NS0_18transform_iteratorINS0_17counting_iteratorImlEEZNS1_24adjacent_difference_implIS3_Lb1ELb0EPlSB_ZN2at6native12_GLOBAL__N_124unique_dim_cuda_templateIN3c104HalfEEESt5tupleIJNSC_6TensorESJ_SJ_EERKSJ_lbbbEUlllE1_EE10hipError_tPvRmT2_T3_mT4_P12ihipStream_tbEUlmE_lEESB_NS0_8identityIvEEEESO_SR_SS_mST_SV_bEUlT_E_NS1_11comp_targetILNS1_3genE4ELNS1_11target_archE910ELNS1_3gpuE8ELNS1_3repE0EEENS1_30default_config_static_selectorELNS0_4arch9wavefront6targetE1EEEvT1_.kd
    .uniform_work_group_size: 1
    .uses_dynamic_stack: false
    .vgpr_count:     0
    .vgpr_spill_count: 0
    .wavefront_size: 64
  - .agpr_count:     0
    .args:
      - .offset:         0
        .size:           56
        .value_kind:     by_value
    .group_segment_fixed_size: 0
    .kernarg_segment_align: 8
    .kernarg_segment_size: 56
    .language:       OpenCL C
    .language_version:
      - 2
      - 0
    .max_flat_workgroup_size: 128
    .name:           _ZN7rocprim17ROCPRIM_400000_NS6detail17trampoline_kernelINS0_14default_configENS1_25transform_config_selectorIlLb0EEEZNS1_14transform_implILb0ES3_S5_NS0_18transform_iteratorINS0_17counting_iteratorImlEEZNS1_24adjacent_difference_implIS3_Lb1ELb0EPlSB_ZN2at6native12_GLOBAL__N_124unique_dim_cuda_templateIN3c104HalfEEESt5tupleIJNSC_6TensorESJ_SJ_EERKSJ_lbbbEUlllE1_EE10hipError_tPvRmT2_T3_mT4_P12ihipStream_tbEUlmE_lEESB_NS0_8identityIvEEEESO_SR_SS_mST_SV_bEUlT_E_NS1_11comp_targetILNS1_3genE3ELNS1_11target_archE908ELNS1_3gpuE7ELNS1_3repE0EEENS1_30default_config_static_selectorELNS0_4arch9wavefront6targetE1EEEvT1_
    .private_segment_fixed_size: 0
    .sgpr_count:     6
    .sgpr_spill_count: 0
    .symbol:         _ZN7rocprim17ROCPRIM_400000_NS6detail17trampoline_kernelINS0_14default_configENS1_25transform_config_selectorIlLb0EEEZNS1_14transform_implILb0ES3_S5_NS0_18transform_iteratorINS0_17counting_iteratorImlEEZNS1_24adjacent_difference_implIS3_Lb1ELb0EPlSB_ZN2at6native12_GLOBAL__N_124unique_dim_cuda_templateIN3c104HalfEEESt5tupleIJNSC_6TensorESJ_SJ_EERKSJ_lbbbEUlllE1_EE10hipError_tPvRmT2_T3_mT4_P12ihipStream_tbEUlmE_lEESB_NS0_8identityIvEEEESO_SR_SS_mST_SV_bEUlT_E_NS1_11comp_targetILNS1_3genE3ELNS1_11target_archE908ELNS1_3gpuE7ELNS1_3repE0EEENS1_30default_config_static_selectorELNS0_4arch9wavefront6targetE1EEEvT1_.kd
    .uniform_work_group_size: 1
    .uses_dynamic_stack: false
    .vgpr_count:     0
    .vgpr_spill_count: 0
    .wavefront_size: 64
  - .agpr_count:     0
    .args:
      - .offset:         0
        .size:           56
        .value_kind:     by_value
    .group_segment_fixed_size: 0
    .kernarg_segment_align: 8
    .kernarg_segment_size: 56
    .language:       OpenCL C
    .language_version:
      - 2
      - 0
    .max_flat_workgroup_size: 512
    .name:           _ZN7rocprim17ROCPRIM_400000_NS6detail17trampoline_kernelINS0_14default_configENS1_25transform_config_selectorIlLb0EEEZNS1_14transform_implILb0ES3_S5_NS0_18transform_iteratorINS0_17counting_iteratorImlEEZNS1_24adjacent_difference_implIS3_Lb1ELb0EPlSB_ZN2at6native12_GLOBAL__N_124unique_dim_cuda_templateIN3c104HalfEEESt5tupleIJNSC_6TensorESJ_SJ_EERKSJ_lbbbEUlllE1_EE10hipError_tPvRmT2_T3_mT4_P12ihipStream_tbEUlmE_lEESB_NS0_8identityIvEEEESO_SR_SS_mST_SV_bEUlT_E_NS1_11comp_targetILNS1_3genE2ELNS1_11target_archE906ELNS1_3gpuE6ELNS1_3repE0EEENS1_30default_config_static_selectorELNS0_4arch9wavefront6targetE1EEEvT1_
    .private_segment_fixed_size: 0
    .sgpr_count:     6
    .sgpr_spill_count: 0
    .symbol:         _ZN7rocprim17ROCPRIM_400000_NS6detail17trampoline_kernelINS0_14default_configENS1_25transform_config_selectorIlLb0EEEZNS1_14transform_implILb0ES3_S5_NS0_18transform_iteratorINS0_17counting_iteratorImlEEZNS1_24adjacent_difference_implIS3_Lb1ELb0EPlSB_ZN2at6native12_GLOBAL__N_124unique_dim_cuda_templateIN3c104HalfEEESt5tupleIJNSC_6TensorESJ_SJ_EERKSJ_lbbbEUlllE1_EE10hipError_tPvRmT2_T3_mT4_P12ihipStream_tbEUlmE_lEESB_NS0_8identityIvEEEESO_SR_SS_mST_SV_bEUlT_E_NS1_11comp_targetILNS1_3genE2ELNS1_11target_archE906ELNS1_3gpuE6ELNS1_3repE0EEENS1_30default_config_static_selectorELNS0_4arch9wavefront6targetE1EEEvT1_.kd
    .uniform_work_group_size: 1
    .uses_dynamic_stack: false
    .vgpr_count:     0
    .vgpr_spill_count: 0
    .wavefront_size: 64
  - .agpr_count:     0
    .args:
      - .offset:         0
        .size:           56
        .value_kind:     by_value
    .group_segment_fixed_size: 0
    .kernarg_segment_align: 8
    .kernarg_segment_size: 56
    .language:       OpenCL C
    .language_version:
      - 2
      - 0
    .max_flat_workgroup_size: 1024
    .name:           _ZN7rocprim17ROCPRIM_400000_NS6detail17trampoline_kernelINS0_14default_configENS1_25transform_config_selectorIlLb0EEEZNS1_14transform_implILb0ES3_S5_NS0_18transform_iteratorINS0_17counting_iteratorImlEEZNS1_24adjacent_difference_implIS3_Lb1ELb0EPlSB_ZN2at6native12_GLOBAL__N_124unique_dim_cuda_templateIN3c104HalfEEESt5tupleIJNSC_6TensorESJ_SJ_EERKSJ_lbbbEUlllE1_EE10hipError_tPvRmT2_T3_mT4_P12ihipStream_tbEUlmE_lEESB_NS0_8identityIvEEEESO_SR_SS_mST_SV_bEUlT_E_NS1_11comp_targetILNS1_3genE10ELNS1_11target_archE1201ELNS1_3gpuE5ELNS1_3repE0EEENS1_30default_config_static_selectorELNS0_4arch9wavefront6targetE1EEEvT1_
    .private_segment_fixed_size: 0
    .sgpr_count:     6
    .sgpr_spill_count: 0
    .symbol:         _ZN7rocprim17ROCPRIM_400000_NS6detail17trampoline_kernelINS0_14default_configENS1_25transform_config_selectorIlLb0EEEZNS1_14transform_implILb0ES3_S5_NS0_18transform_iteratorINS0_17counting_iteratorImlEEZNS1_24adjacent_difference_implIS3_Lb1ELb0EPlSB_ZN2at6native12_GLOBAL__N_124unique_dim_cuda_templateIN3c104HalfEEESt5tupleIJNSC_6TensorESJ_SJ_EERKSJ_lbbbEUlllE1_EE10hipError_tPvRmT2_T3_mT4_P12ihipStream_tbEUlmE_lEESB_NS0_8identityIvEEEESO_SR_SS_mST_SV_bEUlT_E_NS1_11comp_targetILNS1_3genE10ELNS1_11target_archE1201ELNS1_3gpuE5ELNS1_3repE0EEENS1_30default_config_static_selectorELNS0_4arch9wavefront6targetE1EEEvT1_.kd
    .uniform_work_group_size: 1
    .uses_dynamic_stack: false
    .vgpr_count:     0
    .vgpr_spill_count: 0
    .wavefront_size: 64
  - .agpr_count:     0
    .args:
      - .offset:         0
        .size:           56
        .value_kind:     by_value
    .group_segment_fixed_size: 0
    .kernarg_segment_align: 8
    .kernarg_segment_size: 56
    .language:       OpenCL C
    .language_version:
      - 2
      - 0
    .max_flat_workgroup_size: 512
    .name:           _ZN7rocprim17ROCPRIM_400000_NS6detail17trampoline_kernelINS0_14default_configENS1_25transform_config_selectorIlLb0EEEZNS1_14transform_implILb0ES3_S5_NS0_18transform_iteratorINS0_17counting_iteratorImlEEZNS1_24adjacent_difference_implIS3_Lb1ELb0EPlSB_ZN2at6native12_GLOBAL__N_124unique_dim_cuda_templateIN3c104HalfEEESt5tupleIJNSC_6TensorESJ_SJ_EERKSJ_lbbbEUlllE1_EE10hipError_tPvRmT2_T3_mT4_P12ihipStream_tbEUlmE_lEESB_NS0_8identityIvEEEESO_SR_SS_mST_SV_bEUlT_E_NS1_11comp_targetILNS1_3genE10ELNS1_11target_archE1200ELNS1_3gpuE4ELNS1_3repE0EEENS1_30default_config_static_selectorELNS0_4arch9wavefront6targetE1EEEvT1_
    .private_segment_fixed_size: 0
    .sgpr_count:     6
    .sgpr_spill_count: 0
    .symbol:         _ZN7rocprim17ROCPRIM_400000_NS6detail17trampoline_kernelINS0_14default_configENS1_25transform_config_selectorIlLb0EEEZNS1_14transform_implILb0ES3_S5_NS0_18transform_iteratorINS0_17counting_iteratorImlEEZNS1_24adjacent_difference_implIS3_Lb1ELb0EPlSB_ZN2at6native12_GLOBAL__N_124unique_dim_cuda_templateIN3c104HalfEEESt5tupleIJNSC_6TensorESJ_SJ_EERKSJ_lbbbEUlllE1_EE10hipError_tPvRmT2_T3_mT4_P12ihipStream_tbEUlmE_lEESB_NS0_8identityIvEEEESO_SR_SS_mST_SV_bEUlT_E_NS1_11comp_targetILNS1_3genE10ELNS1_11target_archE1200ELNS1_3gpuE4ELNS1_3repE0EEENS1_30default_config_static_selectorELNS0_4arch9wavefront6targetE1EEEvT1_.kd
    .uniform_work_group_size: 1
    .uses_dynamic_stack: false
    .vgpr_count:     0
    .vgpr_spill_count: 0
    .wavefront_size: 64
  - .agpr_count:     0
    .args:
      - .offset:         0
        .size:           56
        .value_kind:     by_value
    .group_segment_fixed_size: 0
    .kernarg_segment_align: 8
    .kernarg_segment_size: 56
    .language:       OpenCL C
    .language_version:
      - 2
      - 0
    .max_flat_workgroup_size: 512
    .name:           _ZN7rocprim17ROCPRIM_400000_NS6detail17trampoline_kernelINS0_14default_configENS1_25transform_config_selectorIlLb0EEEZNS1_14transform_implILb0ES3_S5_NS0_18transform_iteratorINS0_17counting_iteratorImlEEZNS1_24adjacent_difference_implIS3_Lb1ELb0EPlSB_ZN2at6native12_GLOBAL__N_124unique_dim_cuda_templateIN3c104HalfEEESt5tupleIJNSC_6TensorESJ_SJ_EERKSJ_lbbbEUlllE1_EE10hipError_tPvRmT2_T3_mT4_P12ihipStream_tbEUlmE_lEESB_NS0_8identityIvEEEESO_SR_SS_mST_SV_bEUlT_E_NS1_11comp_targetILNS1_3genE9ELNS1_11target_archE1100ELNS1_3gpuE3ELNS1_3repE0EEENS1_30default_config_static_selectorELNS0_4arch9wavefront6targetE1EEEvT1_
    .private_segment_fixed_size: 0
    .sgpr_count:     6
    .sgpr_spill_count: 0
    .symbol:         _ZN7rocprim17ROCPRIM_400000_NS6detail17trampoline_kernelINS0_14default_configENS1_25transform_config_selectorIlLb0EEEZNS1_14transform_implILb0ES3_S5_NS0_18transform_iteratorINS0_17counting_iteratorImlEEZNS1_24adjacent_difference_implIS3_Lb1ELb0EPlSB_ZN2at6native12_GLOBAL__N_124unique_dim_cuda_templateIN3c104HalfEEESt5tupleIJNSC_6TensorESJ_SJ_EERKSJ_lbbbEUlllE1_EE10hipError_tPvRmT2_T3_mT4_P12ihipStream_tbEUlmE_lEESB_NS0_8identityIvEEEESO_SR_SS_mST_SV_bEUlT_E_NS1_11comp_targetILNS1_3genE9ELNS1_11target_archE1100ELNS1_3gpuE3ELNS1_3repE0EEENS1_30default_config_static_selectorELNS0_4arch9wavefront6targetE1EEEvT1_.kd
    .uniform_work_group_size: 1
    .uses_dynamic_stack: false
    .vgpr_count:     0
    .vgpr_spill_count: 0
    .wavefront_size: 64
  - .agpr_count:     0
    .args:
      - .offset:         0
        .size:           56
        .value_kind:     by_value
    .group_segment_fixed_size: 0
    .kernarg_segment_align: 8
    .kernarg_segment_size: 56
    .language:       OpenCL C
    .language_version:
      - 2
      - 0
    .max_flat_workgroup_size: 512
    .name:           _ZN7rocprim17ROCPRIM_400000_NS6detail17trampoline_kernelINS0_14default_configENS1_25transform_config_selectorIlLb0EEEZNS1_14transform_implILb0ES3_S5_NS0_18transform_iteratorINS0_17counting_iteratorImlEEZNS1_24adjacent_difference_implIS3_Lb1ELb0EPlSB_ZN2at6native12_GLOBAL__N_124unique_dim_cuda_templateIN3c104HalfEEESt5tupleIJNSC_6TensorESJ_SJ_EERKSJ_lbbbEUlllE1_EE10hipError_tPvRmT2_T3_mT4_P12ihipStream_tbEUlmE_lEESB_NS0_8identityIvEEEESO_SR_SS_mST_SV_bEUlT_E_NS1_11comp_targetILNS1_3genE8ELNS1_11target_archE1030ELNS1_3gpuE2ELNS1_3repE0EEENS1_30default_config_static_selectorELNS0_4arch9wavefront6targetE1EEEvT1_
    .private_segment_fixed_size: 0
    .sgpr_count:     6
    .sgpr_spill_count: 0
    .symbol:         _ZN7rocprim17ROCPRIM_400000_NS6detail17trampoline_kernelINS0_14default_configENS1_25transform_config_selectorIlLb0EEEZNS1_14transform_implILb0ES3_S5_NS0_18transform_iteratorINS0_17counting_iteratorImlEEZNS1_24adjacent_difference_implIS3_Lb1ELb0EPlSB_ZN2at6native12_GLOBAL__N_124unique_dim_cuda_templateIN3c104HalfEEESt5tupleIJNSC_6TensorESJ_SJ_EERKSJ_lbbbEUlllE1_EE10hipError_tPvRmT2_T3_mT4_P12ihipStream_tbEUlmE_lEESB_NS0_8identityIvEEEESO_SR_SS_mST_SV_bEUlT_E_NS1_11comp_targetILNS1_3genE8ELNS1_11target_archE1030ELNS1_3gpuE2ELNS1_3repE0EEENS1_30default_config_static_selectorELNS0_4arch9wavefront6targetE1EEEvT1_.kd
    .uniform_work_group_size: 1
    .uses_dynamic_stack: false
    .vgpr_count:     0
    .vgpr_spill_count: 0
    .wavefront_size: 64
  - .agpr_count:     0
    .args:
      - .offset:         0
        .size:           64
        .value_kind:     by_value
    .group_segment_fixed_size: 8448
    .kernarg_segment_align: 8
    .kernarg_segment_size: 64
    .language:       OpenCL C
    .language_version:
      - 2
      - 0
    .max_flat_workgroup_size: 512
    .name:           _ZN7rocprim17ROCPRIM_400000_NS6detail17trampoline_kernelINS0_14default_configENS1_35adjacent_difference_config_selectorILb1ElEEZNS1_24adjacent_difference_implIS3_Lb1ELb0EPlS7_ZN2at6native12_GLOBAL__N_124unique_dim_cuda_templateIN3c104HalfEEESt5tupleIJNS8_6TensorESF_SF_EERKSF_lbbbEUlllE1_EE10hipError_tPvRmT2_T3_mT4_P12ihipStream_tbEUlT_E_NS1_11comp_targetILNS1_3genE0ELNS1_11target_archE4294967295ELNS1_3gpuE0ELNS1_3repE0EEENS1_30default_config_static_selectorELNS0_4arch9wavefront6targetE1EEEvT1_
    .private_segment_fixed_size: 0
    .sgpr_count:     42
    .sgpr_spill_count: 0
    .symbol:         _ZN7rocprim17ROCPRIM_400000_NS6detail17trampoline_kernelINS0_14default_configENS1_35adjacent_difference_config_selectorILb1ElEEZNS1_24adjacent_difference_implIS3_Lb1ELb0EPlS7_ZN2at6native12_GLOBAL__N_124unique_dim_cuda_templateIN3c104HalfEEESt5tupleIJNS8_6TensorESF_SF_EERKSF_lbbbEUlllE1_EE10hipError_tPvRmT2_T3_mT4_P12ihipStream_tbEUlT_E_NS1_11comp_targetILNS1_3genE0ELNS1_11target_archE4294967295ELNS1_3gpuE0ELNS1_3repE0EEENS1_30default_config_static_selectorELNS0_4arch9wavefront6targetE1EEEvT1_.kd
    .uniform_work_group_size: 1
    .uses_dynamic_stack: false
    .vgpr_count:     16
    .vgpr_spill_count: 0
    .wavefront_size: 64
  - .agpr_count:     0
    .args:
      - .offset:         0
        .size:           64
        .value_kind:     by_value
    .group_segment_fixed_size: 0
    .kernarg_segment_align: 8
    .kernarg_segment_size: 64
    .language:       OpenCL C
    .language_version:
      - 2
      - 0
    .max_flat_workgroup_size: 32
    .name:           _ZN7rocprim17ROCPRIM_400000_NS6detail17trampoline_kernelINS0_14default_configENS1_35adjacent_difference_config_selectorILb1ElEEZNS1_24adjacent_difference_implIS3_Lb1ELb0EPlS7_ZN2at6native12_GLOBAL__N_124unique_dim_cuda_templateIN3c104HalfEEESt5tupleIJNS8_6TensorESF_SF_EERKSF_lbbbEUlllE1_EE10hipError_tPvRmT2_T3_mT4_P12ihipStream_tbEUlT_E_NS1_11comp_targetILNS1_3genE10ELNS1_11target_archE1201ELNS1_3gpuE5ELNS1_3repE0EEENS1_30default_config_static_selectorELNS0_4arch9wavefront6targetE1EEEvT1_
    .private_segment_fixed_size: 0
    .sgpr_count:     6
    .sgpr_spill_count: 0
    .symbol:         _ZN7rocprim17ROCPRIM_400000_NS6detail17trampoline_kernelINS0_14default_configENS1_35adjacent_difference_config_selectorILb1ElEEZNS1_24adjacent_difference_implIS3_Lb1ELb0EPlS7_ZN2at6native12_GLOBAL__N_124unique_dim_cuda_templateIN3c104HalfEEESt5tupleIJNS8_6TensorESF_SF_EERKSF_lbbbEUlllE1_EE10hipError_tPvRmT2_T3_mT4_P12ihipStream_tbEUlT_E_NS1_11comp_targetILNS1_3genE10ELNS1_11target_archE1201ELNS1_3gpuE5ELNS1_3repE0EEENS1_30default_config_static_selectorELNS0_4arch9wavefront6targetE1EEEvT1_.kd
    .uniform_work_group_size: 1
    .uses_dynamic_stack: false
    .vgpr_count:     0
    .vgpr_spill_count: 0
    .wavefront_size: 64
  - .agpr_count:     0
    .args:
      - .offset:         0
        .size:           64
        .value_kind:     by_value
    .group_segment_fixed_size: 0
    .kernarg_segment_align: 8
    .kernarg_segment_size: 64
    .language:       OpenCL C
    .language_version:
      - 2
      - 0
    .max_flat_workgroup_size: 256
    .name:           _ZN7rocprim17ROCPRIM_400000_NS6detail17trampoline_kernelINS0_14default_configENS1_35adjacent_difference_config_selectorILb1ElEEZNS1_24adjacent_difference_implIS3_Lb1ELb0EPlS7_ZN2at6native12_GLOBAL__N_124unique_dim_cuda_templateIN3c104HalfEEESt5tupleIJNS8_6TensorESF_SF_EERKSF_lbbbEUlllE1_EE10hipError_tPvRmT2_T3_mT4_P12ihipStream_tbEUlT_E_NS1_11comp_targetILNS1_3genE5ELNS1_11target_archE942ELNS1_3gpuE9ELNS1_3repE0EEENS1_30default_config_static_selectorELNS0_4arch9wavefront6targetE1EEEvT1_
    .private_segment_fixed_size: 0
    .sgpr_count:     6
    .sgpr_spill_count: 0
    .symbol:         _ZN7rocprim17ROCPRIM_400000_NS6detail17trampoline_kernelINS0_14default_configENS1_35adjacent_difference_config_selectorILb1ElEEZNS1_24adjacent_difference_implIS3_Lb1ELb0EPlS7_ZN2at6native12_GLOBAL__N_124unique_dim_cuda_templateIN3c104HalfEEESt5tupleIJNS8_6TensorESF_SF_EERKSF_lbbbEUlllE1_EE10hipError_tPvRmT2_T3_mT4_P12ihipStream_tbEUlT_E_NS1_11comp_targetILNS1_3genE5ELNS1_11target_archE942ELNS1_3gpuE9ELNS1_3repE0EEENS1_30default_config_static_selectorELNS0_4arch9wavefront6targetE1EEEvT1_.kd
    .uniform_work_group_size: 1
    .uses_dynamic_stack: false
    .vgpr_count:     0
    .vgpr_spill_count: 0
    .wavefront_size: 64
  - .agpr_count:     0
    .args:
      - .offset:         0
        .size:           64
        .value_kind:     by_value
    .group_segment_fixed_size: 0
    .kernarg_segment_align: 8
    .kernarg_segment_size: 64
    .language:       OpenCL C
    .language_version:
      - 2
      - 0
    .max_flat_workgroup_size: 512
    .name:           _ZN7rocprim17ROCPRIM_400000_NS6detail17trampoline_kernelINS0_14default_configENS1_35adjacent_difference_config_selectorILb1ElEEZNS1_24adjacent_difference_implIS3_Lb1ELb0EPlS7_ZN2at6native12_GLOBAL__N_124unique_dim_cuda_templateIN3c104HalfEEESt5tupleIJNS8_6TensorESF_SF_EERKSF_lbbbEUlllE1_EE10hipError_tPvRmT2_T3_mT4_P12ihipStream_tbEUlT_E_NS1_11comp_targetILNS1_3genE4ELNS1_11target_archE910ELNS1_3gpuE8ELNS1_3repE0EEENS1_30default_config_static_selectorELNS0_4arch9wavefront6targetE1EEEvT1_
    .private_segment_fixed_size: 0
    .sgpr_count:     6
    .sgpr_spill_count: 0
    .symbol:         _ZN7rocprim17ROCPRIM_400000_NS6detail17trampoline_kernelINS0_14default_configENS1_35adjacent_difference_config_selectorILb1ElEEZNS1_24adjacent_difference_implIS3_Lb1ELb0EPlS7_ZN2at6native12_GLOBAL__N_124unique_dim_cuda_templateIN3c104HalfEEESt5tupleIJNS8_6TensorESF_SF_EERKSF_lbbbEUlllE1_EE10hipError_tPvRmT2_T3_mT4_P12ihipStream_tbEUlT_E_NS1_11comp_targetILNS1_3genE4ELNS1_11target_archE910ELNS1_3gpuE8ELNS1_3repE0EEENS1_30default_config_static_selectorELNS0_4arch9wavefront6targetE1EEEvT1_.kd
    .uniform_work_group_size: 1
    .uses_dynamic_stack: false
    .vgpr_count:     0
    .vgpr_spill_count: 0
    .wavefront_size: 64
  - .agpr_count:     0
    .args:
      - .offset:         0
        .size:           64
        .value_kind:     by_value
    .group_segment_fixed_size: 0
    .kernarg_segment_align: 8
    .kernarg_segment_size: 64
    .language:       OpenCL C
    .language_version:
      - 2
      - 0
    .max_flat_workgroup_size: 512
    .name:           _ZN7rocprim17ROCPRIM_400000_NS6detail17trampoline_kernelINS0_14default_configENS1_35adjacent_difference_config_selectorILb1ElEEZNS1_24adjacent_difference_implIS3_Lb1ELb0EPlS7_ZN2at6native12_GLOBAL__N_124unique_dim_cuda_templateIN3c104HalfEEESt5tupleIJNS8_6TensorESF_SF_EERKSF_lbbbEUlllE1_EE10hipError_tPvRmT2_T3_mT4_P12ihipStream_tbEUlT_E_NS1_11comp_targetILNS1_3genE3ELNS1_11target_archE908ELNS1_3gpuE7ELNS1_3repE0EEENS1_30default_config_static_selectorELNS0_4arch9wavefront6targetE1EEEvT1_
    .private_segment_fixed_size: 0
    .sgpr_count:     6
    .sgpr_spill_count: 0
    .symbol:         _ZN7rocprim17ROCPRIM_400000_NS6detail17trampoline_kernelINS0_14default_configENS1_35adjacent_difference_config_selectorILb1ElEEZNS1_24adjacent_difference_implIS3_Lb1ELb0EPlS7_ZN2at6native12_GLOBAL__N_124unique_dim_cuda_templateIN3c104HalfEEESt5tupleIJNS8_6TensorESF_SF_EERKSF_lbbbEUlllE1_EE10hipError_tPvRmT2_T3_mT4_P12ihipStream_tbEUlT_E_NS1_11comp_targetILNS1_3genE3ELNS1_11target_archE908ELNS1_3gpuE7ELNS1_3repE0EEENS1_30default_config_static_selectorELNS0_4arch9wavefront6targetE1EEEvT1_.kd
    .uniform_work_group_size: 1
    .uses_dynamic_stack: false
    .vgpr_count:     0
    .vgpr_spill_count: 0
    .wavefront_size: 64
  - .agpr_count:     0
    .args:
      - .offset:         0
        .size:           64
        .value_kind:     by_value
    .group_segment_fixed_size: 0
    .kernarg_segment_align: 8
    .kernarg_segment_size: 64
    .language:       OpenCL C
    .language_version:
      - 2
      - 0
    .max_flat_workgroup_size: 128
    .name:           _ZN7rocprim17ROCPRIM_400000_NS6detail17trampoline_kernelINS0_14default_configENS1_35adjacent_difference_config_selectorILb1ElEEZNS1_24adjacent_difference_implIS3_Lb1ELb0EPlS7_ZN2at6native12_GLOBAL__N_124unique_dim_cuda_templateIN3c104HalfEEESt5tupleIJNS8_6TensorESF_SF_EERKSF_lbbbEUlllE1_EE10hipError_tPvRmT2_T3_mT4_P12ihipStream_tbEUlT_E_NS1_11comp_targetILNS1_3genE2ELNS1_11target_archE906ELNS1_3gpuE6ELNS1_3repE0EEENS1_30default_config_static_selectorELNS0_4arch9wavefront6targetE1EEEvT1_
    .private_segment_fixed_size: 0
    .sgpr_count:     6
    .sgpr_spill_count: 0
    .symbol:         _ZN7rocprim17ROCPRIM_400000_NS6detail17trampoline_kernelINS0_14default_configENS1_35adjacent_difference_config_selectorILb1ElEEZNS1_24adjacent_difference_implIS3_Lb1ELb0EPlS7_ZN2at6native12_GLOBAL__N_124unique_dim_cuda_templateIN3c104HalfEEESt5tupleIJNS8_6TensorESF_SF_EERKSF_lbbbEUlllE1_EE10hipError_tPvRmT2_T3_mT4_P12ihipStream_tbEUlT_E_NS1_11comp_targetILNS1_3genE2ELNS1_11target_archE906ELNS1_3gpuE6ELNS1_3repE0EEENS1_30default_config_static_selectorELNS0_4arch9wavefront6targetE1EEEvT1_.kd
    .uniform_work_group_size: 1
    .uses_dynamic_stack: false
    .vgpr_count:     0
    .vgpr_spill_count: 0
    .wavefront_size: 64
  - .agpr_count:     0
    .args:
      - .offset:         0
        .size:           64
        .value_kind:     by_value
    .group_segment_fixed_size: 0
    .kernarg_segment_align: 8
    .kernarg_segment_size: 64
    .language:       OpenCL C
    .language_version:
      - 2
      - 0
    .max_flat_workgroup_size: 128
    .name:           _ZN7rocprim17ROCPRIM_400000_NS6detail17trampoline_kernelINS0_14default_configENS1_35adjacent_difference_config_selectorILb1ElEEZNS1_24adjacent_difference_implIS3_Lb1ELb0EPlS7_ZN2at6native12_GLOBAL__N_124unique_dim_cuda_templateIN3c104HalfEEESt5tupleIJNS8_6TensorESF_SF_EERKSF_lbbbEUlllE1_EE10hipError_tPvRmT2_T3_mT4_P12ihipStream_tbEUlT_E_NS1_11comp_targetILNS1_3genE9ELNS1_11target_archE1100ELNS1_3gpuE3ELNS1_3repE0EEENS1_30default_config_static_selectorELNS0_4arch9wavefront6targetE1EEEvT1_
    .private_segment_fixed_size: 0
    .sgpr_count:     6
    .sgpr_spill_count: 0
    .symbol:         _ZN7rocprim17ROCPRIM_400000_NS6detail17trampoline_kernelINS0_14default_configENS1_35adjacent_difference_config_selectorILb1ElEEZNS1_24adjacent_difference_implIS3_Lb1ELb0EPlS7_ZN2at6native12_GLOBAL__N_124unique_dim_cuda_templateIN3c104HalfEEESt5tupleIJNS8_6TensorESF_SF_EERKSF_lbbbEUlllE1_EE10hipError_tPvRmT2_T3_mT4_P12ihipStream_tbEUlT_E_NS1_11comp_targetILNS1_3genE9ELNS1_11target_archE1100ELNS1_3gpuE3ELNS1_3repE0EEENS1_30default_config_static_selectorELNS0_4arch9wavefront6targetE1EEEvT1_.kd
    .uniform_work_group_size: 1
    .uses_dynamic_stack: false
    .vgpr_count:     0
    .vgpr_spill_count: 0
    .wavefront_size: 64
  - .agpr_count:     0
    .args:
      - .offset:         0
        .size:           64
        .value_kind:     by_value
    .group_segment_fixed_size: 0
    .kernarg_segment_align: 8
    .kernarg_segment_size: 64
    .language:       OpenCL C
    .language_version:
      - 2
      - 0
    .max_flat_workgroup_size: 32
    .name:           _ZN7rocprim17ROCPRIM_400000_NS6detail17trampoline_kernelINS0_14default_configENS1_35adjacent_difference_config_selectorILb1ElEEZNS1_24adjacent_difference_implIS3_Lb1ELb0EPlS7_ZN2at6native12_GLOBAL__N_124unique_dim_cuda_templateIN3c104HalfEEESt5tupleIJNS8_6TensorESF_SF_EERKSF_lbbbEUlllE1_EE10hipError_tPvRmT2_T3_mT4_P12ihipStream_tbEUlT_E_NS1_11comp_targetILNS1_3genE8ELNS1_11target_archE1030ELNS1_3gpuE2ELNS1_3repE0EEENS1_30default_config_static_selectorELNS0_4arch9wavefront6targetE1EEEvT1_
    .private_segment_fixed_size: 0
    .sgpr_count:     6
    .sgpr_spill_count: 0
    .symbol:         _ZN7rocprim17ROCPRIM_400000_NS6detail17trampoline_kernelINS0_14default_configENS1_35adjacent_difference_config_selectorILb1ElEEZNS1_24adjacent_difference_implIS3_Lb1ELb0EPlS7_ZN2at6native12_GLOBAL__N_124unique_dim_cuda_templateIN3c104HalfEEESt5tupleIJNS8_6TensorESF_SF_EERKSF_lbbbEUlllE1_EE10hipError_tPvRmT2_T3_mT4_P12ihipStream_tbEUlT_E_NS1_11comp_targetILNS1_3genE8ELNS1_11target_archE1030ELNS1_3gpuE2ELNS1_3repE0EEENS1_30default_config_static_selectorELNS0_4arch9wavefront6targetE1EEEvT1_.kd
    .uniform_work_group_size: 1
    .uses_dynamic_stack: false
    .vgpr_count:     0
    .vgpr_spill_count: 0
    .wavefront_size: 64
  - .agpr_count:     0
    .args:
      - .offset:         0
        .size:           120
        .value_kind:     by_value
    .group_segment_fixed_size: 28680
    .kernarg_segment_align: 8
    .kernarg_segment_size: 120
    .language:       OpenCL C
    .language_version:
      - 2
      - 0
    .max_flat_workgroup_size: 512
    .name:           _ZN7rocprim17ROCPRIM_400000_NS6detail17trampoline_kernelINS0_14default_configENS1_25partition_config_selectorILNS1_17partition_subalgoE8ElNS0_10empty_typeEbEEZZNS1_14partition_implILS5_8ELb0ES3_jPlPS6_PKS6_NS0_5tupleIJS9_S6_EEENSD_IJSA_SA_EEENS0_18inequality_wrapperIZN2at6native12_GLOBAL__N_124unique_dim_cuda_templateIN3c104HalfEEESt5tupleIJNSH_6TensorESO_SO_EERKSO_lbbbEUlllE0_EEPmJS6_EEE10hipError_tPvRmT3_T4_T5_T6_T7_T9_mT8_P12ihipStream_tbDpT10_ENKUlT_T0_E_clISt17integral_constantIbLb0EES1E_EEDaS19_S1A_EUlS19_E_NS1_11comp_targetILNS1_3genE0ELNS1_11target_archE4294967295ELNS1_3gpuE0ELNS1_3repE0EEENS1_30default_config_static_selectorELNS0_4arch9wavefront6targetE1EEEvT1_
    .private_segment_fixed_size: 0
    .sgpr_count:     56
    .sgpr_spill_count: 0
    .symbol:         _ZN7rocprim17ROCPRIM_400000_NS6detail17trampoline_kernelINS0_14default_configENS1_25partition_config_selectorILNS1_17partition_subalgoE8ElNS0_10empty_typeEbEEZZNS1_14partition_implILS5_8ELb0ES3_jPlPS6_PKS6_NS0_5tupleIJS9_S6_EEENSD_IJSA_SA_EEENS0_18inequality_wrapperIZN2at6native12_GLOBAL__N_124unique_dim_cuda_templateIN3c104HalfEEESt5tupleIJNSH_6TensorESO_SO_EERKSO_lbbbEUlllE0_EEPmJS6_EEE10hipError_tPvRmT3_T4_T5_T6_T7_T9_mT8_P12ihipStream_tbDpT10_ENKUlT_T0_E_clISt17integral_constantIbLb0EES1E_EEDaS19_S1A_EUlS19_E_NS1_11comp_targetILNS1_3genE0ELNS1_11target_archE4294967295ELNS1_3gpuE0ELNS1_3repE0EEENS1_30default_config_static_selectorELNS0_4arch9wavefront6targetE1EEEvT1_.kd
    .uniform_work_group_size: 1
    .uses_dynamic_stack: false
    .vgpr_count:     58
    .vgpr_spill_count: 0
    .wavefront_size: 64
  - .agpr_count:     0
    .args:
      - .offset:         0
        .size:           120
        .value_kind:     by_value
    .group_segment_fixed_size: 0
    .kernarg_segment_align: 8
    .kernarg_segment_size: 120
    .language:       OpenCL C
    .language_version:
      - 2
      - 0
    .max_flat_workgroup_size: 512
    .name:           _ZN7rocprim17ROCPRIM_400000_NS6detail17trampoline_kernelINS0_14default_configENS1_25partition_config_selectorILNS1_17partition_subalgoE8ElNS0_10empty_typeEbEEZZNS1_14partition_implILS5_8ELb0ES3_jPlPS6_PKS6_NS0_5tupleIJS9_S6_EEENSD_IJSA_SA_EEENS0_18inequality_wrapperIZN2at6native12_GLOBAL__N_124unique_dim_cuda_templateIN3c104HalfEEESt5tupleIJNSH_6TensorESO_SO_EERKSO_lbbbEUlllE0_EEPmJS6_EEE10hipError_tPvRmT3_T4_T5_T6_T7_T9_mT8_P12ihipStream_tbDpT10_ENKUlT_T0_E_clISt17integral_constantIbLb0EES1E_EEDaS19_S1A_EUlS19_E_NS1_11comp_targetILNS1_3genE5ELNS1_11target_archE942ELNS1_3gpuE9ELNS1_3repE0EEENS1_30default_config_static_selectorELNS0_4arch9wavefront6targetE1EEEvT1_
    .private_segment_fixed_size: 0
    .sgpr_count:     6
    .sgpr_spill_count: 0
    .symbol:         _ZN7rocprim17ROCPRIM_400000_NS6detail17trampoline_kernelINS0_14default_configENS1_25partition_config_selectorILNS1_17partition_subalgoE8ElNS0_10empty_typeEbEEZZNS1_14partition_implILS5_8ELb0ES3_jPlPS6_PKS6_NS0_5tupleIJS9_S6_EEENSD_IJSA_SA_EEENS0_18inequality_wrapperIZN2at6native12_GLOBAL__N_124unique_dim_cuda_templateIN3c104HalfEEESt5tupleIJNSH_6TensorESO_SO_EERKSO_lbbbEUlllE0_EEPmJS6_EEE10hipError_tPvRmT3_T4_T5_T6_T7_T9_mT8_P12ihipStream_tbDpT10_ENKUlT_T0_E_clISt17integral_constantIbLb0EES1E_EEDaS19_S1A_EUlS19_E_NS1_11comp_targetILNS1_3genE5ELNS1_11target_archE942ELNS1_3gpuE9ELNS1_3repE0EEENS1_30default_config_static_selectorELNS0_4arch9wavefront6targetE1EEEvT1_.kd
    .uniform_work_group_size: 1
    .uses_dynamic_stack: false
    .vgpr_count:     0
    .vgpr_spill_count: 0
    .wavefront_size: 64
  - .agpr_count:     0
    .args:
      - .offset:         0
        .size:           120
        .value_kind:     by_value
    .group_segment_fixed_size: 0
    .kernarg_segment_align: 8
    .kernarg_segment_size: 120
    .language:       OpenCL C
    .language_version:
      - 2
      - 0
    .max_flat_workgroup_size: 256
    .name:           _ZN7rocprim17ROCPRIM_400000_NS6detail17trampoline_kernelINS0_14default_configENS1_25partition_config_selectorILNS1_17partition_subalgoE8ElNS0_10empty_typeEbEEZZNS1_14partition_implILS5_8ELb0ES3_jPlPS6_PKS6_NS0_5tupleIJS9_S6_EEENSD_IJSA_SA_EEENS0_18inequality_wrapperIZN2at6native12_GLOBAL__N_124unique_dim_cuda_templateIN3c104HalfEEESt5tupleIJNSH_6TensorESO_SO_EERKSO_lbbbEUlllE0_EEPmJS6_EEE10hipError_tPvRmT3_T4_T5_T6_T7_T9_mT8_P12ihipStream_tbDpT10_ENKUlT_T0_E_clISt17integral_constantIbLb0EES1E_EEDaS19_S1A_EUlS19_E_NS1_11comp_targetILNS1_3genE4ELNS1_11target_archE910ELNS1_3gpuE8ELNS1_3repE0EEENS1_30default_config_static_selectorELNS0_4arch9wavefront6targetE1EEEvT1_
    .private_segment_fixed_size: 0
    .sgpr_count:     6
    .sgpr_spill_count: 0
    .symbol:         _ZN7rocprim17ROCPRIM_400000_NS6detail17trampoline_kernelINS0_14default_configENS1_25partition_config_selectorILNS1_17partition_subalgoE8ElNS0_10empty_typeEbEEZZNS1_14partition_implILS5_8ELb0ES3_jPlPS6_PKS6_NS0_5tupleIJS9_S6_EEENSD_IJSA_SA_EEENS0_18inequality_wrapperIZN2at6native12_GLOBAL__N_124unique_dim_cuda_templateIN3c104HalfEEESt5tupleIJNSH_6TensorESO_SO_EERKSO_lbbbEUlllE0_EEPmJS6_EEE10hipError_tPvRmT3_T4_T5_T6_T7_T9_mT8_P12ihipStream_tbDpT10_ENKUlT_T0_E_clISt17integral_constantIbLb0EES1E_EEDaS19_S1A_EUlS19_E_NS1_11comp_targetILNS1_3genE4ELNS1_11target_archE910ELNS1_3gpuE8ELNS1_3repE0EEENS1_30default_config_static_selectorELNS0_4arch9wavefront6targetE1EEEvT1_.kd
    .uniform_work_group_size: 1
    .uses_dynamic_stack: false
    .vgpr_count:     0
    .vgpr_spill_count: 0
    .wavefront_size: 64
  - .agpr_count:     0
    .args:
      - .offset:         0
        .size:           120
        .value_kind:     by_value
    .group_segment_fixed_size: 0
    .kernarg_segment_align: 8
    .kernarg_segment_size: 120
    .language:       OpenCL C
    .language_version:
      - 2
      - 0
    .max_flat_workgroup_size: 512
    .name:           _ZN7rocprim17ROCPRIM_400000_NS6detail17trampoline_kernelINS0_14default_configENS1_25partition_config_selectorILNS1_17partition_subalgoE8ElNS0_10empty_typeEbEEZZNS1_14partition_implILS5_8ELb0ES3_jPlPS6_PKS6_NS0_5tupleIJS9_S6_EEENSD_IJSA_SA_EEENS0_18inequality_wrapperIZN2at6native12_GLOBAL__N_124unique_dim_cuda_templateIN3c104HalfEEESt5tupleIJNSH_6TensorESO_SO_EERKSO_lbbbEUlllE0_EEPmJS6_EEE10hipError_tPvRmT3_T4_T5_T6_T7_T9_mT8_P12ihipStream_tbDpT10_ENKUlT_T0_E_clISt17integral_constantIbLb0EES1E_EEDaS19_S1A_EUlS19_E_NS1_11comp_targetILNS1_3genE3ELNS1_11target_archE908ELNS1_3gpuE7ELNS1_3repE0EEENS1_30default_config_static_selectorELNS0_4arch9wavefront6targetE1EEEvT1_
    .private_segment_fixed_size: 0
    .sgpr_count:     6
    .sgpr_spill_count: 0
    .symbol:         _ZN7rocprim17ROCPRIM_400000_NS6detail17trampoline_kernelINS0_14default_configENS1_25partition_config_selectorILNS1_17partition_subalgoE8ElNS0_10empty_typeEbEEZZNS1_14partition_implILS5_8ELb0ES3_jPlPS6_PKS6_NS0_5tupleIJS9_S6_EEENSD_IJSA_SA_EEENS0_18inequality_wrapperIZN2at6native12_GLOBAL__N_124unique_dim_cuda_templateIN3c104HalfEEESt5tupleIJNSH_6TensorESO_SO_EERKSO_lbbbEUlllE0_EEPmJS6_EEE10hipError_tPvRmT3_T4_T5_T6_T7_T9_mT8_P12ihipStream_tbDpT10_ENKUlT_T0_E_clISt17integral_constantIbLb0EES1E_EEDaS19_S1A_EUlS19_E_NS1_11comp_targetILNS1_3genE3ELNS1_11target_archE908ELNS1_3gpuE7ELNS1_3repE0EEENS1_30default_config_static_selectorELNS0_4arch9wavefront6targetE1EEEvT1_.kd
    .uniform_work_group_size: 1
    .uses_dynamic_stack: false
    .vgpr_count:     0
    .vgpr_spill_count: 0
    .wavefront_size: 64
  - .agpr_count:     0
    .args:
      - .offset:         0
        .size:           120
        .value_kind:     by_value
    .group_segment_fixed_size: 0
    .kernarg_segment_align: 8
    .kernarg_segment_size: 120
    .language:       OpenCL C
    .language_version:
      - 2
      - 0
    .max_flat_workgroup_size: 256
    .name:           _ZN7rocprim17ROCPRIM_400000_NS6detail17trampoline_kernelINS0_14default_configENS1_25partition_config_selectorILNS1_17partition_subalgoE8ElNS0_10empty_typeEbEEZZNS1_14partition_implILS5_8ELb0ES3_jPlPS6_PKS6_NS0_5tupleIJS9_S6_EEENSD_IJSA_SA_EEENS0_18inequality_wrapperIZN2at6native12_GLOBAL__N_124unique_dim_cuda_templateIN3c104HalfEEESt5tupleIJNSH_6TensorESO_SO_EERKSO_lbbbEUlllE0_EEPmJS6_EEE10hipError_tPvRmT3_T4_T5_T6_T7_T9_mT8_P12ihipStream_tbDpT10_ENKUlT_T0_E_clISt17integral_constantIbLb0EES1E_EEDaS19_S1A_EUlS19_E_NS1_11comp_targetILNS1_3genE2ELNS1_11target_archE906ELNS1_3gpuE6ELNS1_3repE0EEENS1_30default_config_static_selectorELNS0_4arch9wavefront6targetE1EEEvT1_
    .private_segment_fixed_size: 0
    .sgpr_count:     6
    .sgpr_spill_count: 0
    .symbol:         _ZN7rocprim17ROCPRIM_400000_NS6detail17trampoline_kernelINS0_14default_configENS1_25partition_config_selectorILNS1_17partition_subalgoE8ElNS0_10empty_typeEbEEZZNS1_14partition_implILS5_8ELb0ES3_jPlPS6_PKS6_NS0_5tupleIJS9_S6_EEENSD_IJSA_SA_EEENS0_18inequality_wrapperIZN2at6native12_GLOBAL__N_124unique_dim_cuda_templateIN3c104HalfEEESt5tupleIJNSH_6TensorESO_SO_EERKSO_lbbbEUlllE0_EEPmJS6_EEE10hipError_tPvRmT3_T4_T5_T6_T7_T9_mT8_P12ihipStream_tbDpT10_ENKUlT_T0_E_clISt17integral_constantIbLb0EES1E_EEDaS19_S1A_EUlS19_E_NS1_11comp_targetILNS1_3genE2ELNS1_11target_archE906ELNS1_3gpuE6ELNS1_3repE0EEENS1_30default_config_static_selectorELNS0_4arch9wavefront6targetE1EEEvT1_.kd
    .uniform_work_group_size: 1
    .uses_dynamic_stack: false
    .vgpr_count:     0
    .vgpr_spill_count: 0
    .wavefront_size: 64
  - .agpr_count:     0
    .args:
      - .offset:         0
        .size:           120
        .value_kind:     by_value
    .group_segment_fixed_size: 0
    .kernarg_segment_align: 8
    .kernarg_segment_size: 120
    .language:       OpenCL C
    .language_version:
      - 2
      - 0
    .max_flat_workgroup_size: 384
    .name:           _ZN7rocprim17ROCPRIM_400000_NS6detail17trampoline_kernelINS0_14default_configENS1_25partition_config_selectorILNS1_17partition_subalgoE8ElNS0_10empty_typeEbEEZZNS1_14partition_implILS5_8ELb0ES3_jPlPS6_PKS6_NS0_5tupleIJS9_S6_EEENSD_IJSA_SA_EEENS0_18inequality_wrapperIZN2at6native12_GLOBAL__N_124unique_dim_cuda_templateIN3c104HalfEEESt5tupleIJNSH_6TensorESO_SO_EERKSO_lbbbEUlllE0_EEPmJS6_EEE10hipError_tPvRmT3_T4_T5_T6_T7_T9_mT8_P12ihipStream_tbDpT10_ENKUlT_T0_E_clISt17integral_constantIbLb0EES1E_EEDaS19_S1A_EUlS19_E_NS1_11comp_targetILNS1_3genE10ELNS1_11target_archE1200ELNS1_3gpuE4ELNS1_3repE0EEENS1_30default_config_static_selectorELNS0_4arch9wavefront6targetE1EEEvT1_
    .private_segment_fixed_size: 0
    .sgpr_count:     6
    .sgpr_spill_count: 0
    .symbol:         _ZN7rocprim17ROCPRIM_400000_NS6detail17trampoline_kernelINS0_14default_configENS1_25partition_config_selectorILNS1_17partition_subalgoE8ElNS0_10empty_typeEbEEZZNS1_14partition_implILS5_8ELb0ES3_jPlPS6_PKS6_NS0_5tupleIJS9_S6_EEENSD_IJSA_SA_EEENS0_18inequality_wrapperIZN2at6native12_GLOBAL__N_124unique_dim_cuda_templateIN3c104HalfEEESt5tupleIJNSH_6TensorESO_SO_EERKSO_lbbbEUlllE0_EEPmJS6_EEE10hipError_tPvRmT3_T4_T5_T6_T7_T9_mT8_P12ihipStream_tbDpT10_ENKUlT_T0_E_clISt17integral_constantIbLb0EES1E_EEDaS19_S1A_EUlS19_E_NS1_11comp_targetILNS1_3genE10ELNS1_11target_archE1200ELNS1_3gpuE4ELNS1_3repE0EEENS1_30default_config_static_selectorELNS0_4arch9wavefront6targetE1EEEvT1_.kd
    .uniform_work_group_size: 1
    .uses_dynamic_stack: false
    .vgpr_count:     0
    .vgpr_spill_count: 0
    .wavefront_size: 64
  - .agpr_count:     0
    .args:
      - .offset:         0
        .size:           120
        .value_kind:     by_value
    .group_segment_fixed_size: 0
    .kernarg_segment_align: 8
    .kernarg_segment_size: 120
    .language:       OpenCL C
    .language_version:
      - 2
      - 0
    .max_flat_workgroup_size: 512
    .name:           _ZN7rocprim17ROCPRIM_400000_NS6detail17trampoline_kernelINS0_14default_configENS1_25partition_config_selectorILNS1_17partition_subalgoE8ElNS0_10empty_typeEbEEZZNS1_14partition_implILS5_8ELb0ES3_jPlPS6_PKS6_NS0_5tupleIJS9_S6_EEENSD_IJSA_SA_EEENS0_18inequality_wrapperIZN2at6native12_GLOBAL__N_124unique_dim_cuda_templateIN3c104HalfEEESt5tupleIJNSH_6TensorESO_SO_EERKSO_lbbbEUlllE0_EEPmJS6_EEE10hipError_tPvRmT3_T4_T5_T6_T7_T9_mT8_P12ihipStream_tbDpT10_ENKUlT_T0_E_clISt17integral_constantIbLb0EES1E_EEDaS19_S1A_EUlS19_E_NS1_11comp_targetILNS1_3genE9ELNS1_11target_archE1100ELNS1_3gpuE3ELNS1_3repE0EEENS1_30default_config_static_selectorELNS0_4arch9wavefront6targetE1EEEvT1_
    .private_segment_fixed_size: 0
    .sgpr_count:     6
    .sgpr_spill_count: 0
    .symbol:         _ZN7rocprim17ROCPRIM_400000_NS6detail17trampoline_kernelINS0_14default_configENS1_25partition_config_selectorILNS1_17partition_subalgoE8ElNS0_10empty_typeEbEEZZNS1_14partition_implILS5_8ELb0ES3_jPlPS6_PKS6_NS0_5tupleIJS9_S6_EEENSD_IJSA_SA_EEENS0_18inequality_wrapperIZN2at6native12_GLOBAL__N_124unique_dim_cuda_templateIN3c104HalfEEESt5tupleIJNSH_6TensorESO_SO_EERKSO_lbbbEUlllE0_EEPmJS6_EEE10hipError_tPvRmT3_T4_T5_T6_T7_T9_mT8_P12ihipStream_tbDpT10_ENKUlT_T0_E_clISt17integral_constantIbLb0EES1E_EEDaS19_S1A_EUlS19_E_NS1_11comp_targetILNS1_3genE9ELNS1_11target_archE1100ELNS1_3gpuE3ELNS1_3repE0EEENS1_30default_config_static_selectorELNS0_4arch9wavefront6targetE1EEEvT1_.kd
    .uniform_work_group_size: 1
    .uses_dynamic_stack: false
    .vgpr_count:     0
    .vgpr_spill_count: 0
    .wavefront_size: 64
  - .agpr_count:     0
    .args:
      - .offset:         0
        .size:           120
        .value_kind:     by_value
    .group_segment_fixed_size: 0
    .kernarg_segment_align: 8
    .kernarg_segment_size: 120
    .language:       OpenCL C
    .language_version:
      - 2
      - 0
    .max_flat_workgroup_size: 512
    .name:           _ZN7rocprim17ROCPRIM_400000_NS6detail17trampoline_kernelINS0_14default_configENS1_25partition_config_selectorILNS1_17partition_subalgoE8ElNS0_10empty_typeEbEEZZNS1_14partition_implILS5_8ELb0ES3_jPlPS6_PKS6_NS0_5tupleIJS9_S6_EEENSD_IJSA_SA_EEENS0_18inequality_wrapperIZN2at6native12_GLOBAL__N_124unique_dim_cuda_templateIN3c104HalfEEESt5tupleIJNSH_6TensorESO_SO_EERKSO_lbbbEUlllE0_EEPmJS6_EEE10hipError_tPvRmT3_T4_T5_T6_T7_T9_mT8_P12ihipStream_tbDpT10_ENKUlT_T0_E_clISt17integral_constantIbLb0EES1E_EEDaS19_S1A_EUlS19_E_NS1_11comp_targetILNS1_3genE8ELNS1_11target_archE1030ELNS1_3gpuE2ELNS1_3repE0EEENS1_30default_config_static_selectorELNS0_4arch9wavefront6targetE1EEEvT1_
    .private_segment_fixed_size: 0
    .sgpr_count:     6
    .sgpr_spill_count: 0
    .symbol:         _ZN7rocprim17ROCPRIM_400000_NS6detail17trampoline_kernelINS0_14default_configENS1_25partition_config_selectorILNS1_17partition_subalgoE8ElNS0_10empty_typeEbEEZZNS1_14partition_implILS5_8ELb0ES3_jPlPS6_PKS6_NS0_5tupleIJS9_S6_EEENSD_IJSA_SA_EEENS0_18inequality_wrapperIZN2at6native12_GLOBAL__N_124unique_dim_cuda_templateIN3c104HalfEEESt5tupleIJNSH_6TensorESO_SO_EERKSO_lbbbEUlllE0_EEPmJS6_EEE10hipError_tPvRmT3_T4_T5_T6_T7_T9_mT8_P12ihipStream_tbDpT10_ENKUlT_T0_E_clISt17integral_constantIbLb0EES1E_EEDaS19_S1A_EUlS19_E_NS1_11comp_targetILNS1_3genE8ELNS1_11target_archE1030ELNS1_3gpuE2ELNS1_3repE0EEENS1_30default_config_static_selectorELNS0_4arch9wavefront6targetE1EEEvT1_.kd
    .uniform_work_group_size: 1
    .uses_dynamic_stack: false
    .vgpr_count:     0
    .vgpr_spill_count: 0
    .wavefront_size: 64
  - .agpr_count:     0
    .args:
      - .offset:         0
        .size:           136
        .value_kind:     by_value
    .group_segment_fixed_size: 0
    .kernarg_segment_align: 8
    .kernarg_segment_size: 136
    .language:       OpenCL C
    .language_version:
      - 2
      - 0
    .max_flat_workgroup_size: 512
    .name:           _ZN7rocprim17ROCPRIM_400000_NS6detail17trampoline_kernelINS0_14default_configENS1_25partition_config_selectorILNS1_17partition_subalgoE8ElNS0_10empty_typeEbEEZZNS1_14partition_implILS5_8ELb0ES3_jPlPS6_PKS6_NS0_5tupleIJS9_S6_EEENSD_IJSA_SA_EEENS0_18inequality_wrapperIZN2at6native12_GLOBAL__N_124unique_dim_cuda_templateIN3c104HalfEEESt5tupleIJNSH_6TensorESO_SO_EERKSO_lbbbEUlllE0_EEPmJS6_EEE10hipError_tPvRmT3_T4_T5_T6_T7_T9_mT8_P12ihipStream_tbDpT10_ENKUlT_T0_E_clISt17integral_constantIbLb1EES1E_EEDaS19_S1A_EUlS19_E_NS1_11comp_targetILNS1_3genE0ELNS1_11target_archE4294967295ELNS1_3gpuE0ELNS1_3repE0EEENS1_30default_config_static_selectorELNS0_4arch9wavefront6targetE1EEEvT1_
    .private_segment_fixed_size: 0
    .sgpr_count:     6
    .sgpr_spill_count: 0
    .symbol:         _ZN7rocprim17ROCPRIM_400000_NS6detail17trampoline_kernelINS0_14default_configENS1_25partition_config_selectorILNS1_17partition_subalgoE8ElNS0_10empty_typeEbEEZZNS1_14partition_implILS5_8ELb0ES3_jPlPS6_PKS6_NS0_5tupleIJS9_S6_EEENSD_IJSA_SA_EEENS0_18inequality_wrapperIZN2at6native12_GLOBAL__N_124unique_dim_cuda_templateIN3c104HalfEEESt5tupleIJNSH_6TensorESO_SO_EERKSO_lbbbEUlllE0_EEPmJS6_EEE10hipError_tPvRmT3_T4_T5_T6_T7_T9_mT8_P12ihipStream_tbDpT10_ENKUlT_T0_E_clISt17integral_constantIbLb1EES1E_EEDaS19_S1A_EUlS19_E_NS1_11comp_targetILNS1_3genE0ELNS1_11target_archE4294967295ELNS1_3gpuE0ELNS1_3repE0EEENS1_30default_config_static_selectorELNS0_4arch9wavefront6targetE1EEEvT1_.kd
    .uniform_work_group_size: 1
    .uses_dynamic_stack: false
    .vgpr_count:     0
    .vgpr_spill_count: 0
    .wavefront_size: 64
  - .agpr_count:     0
    .args:
      - .offset:         0
        .size:           136
        .value_kind:     by_value
    .group_segment_fixed_size: 0
    .kernarg_segment_align: 8
    .kernarg_segment_size: 136
    .language:       OpenCL C
    .language_version:
      - 2
      - 0
    .max_flat_workgroup_size: 512
    .name:           _ZN7rocprim17ROCPRIM_400000_NS6detail17trampoline_kernelINS0_14default_configENS1_25partition_config_selectorILNS1_17partition_subalgoE8ElNS0_10empty_typeEbEEZZNS1_14partition_implILS5_8ELb0ES3_jPlPS6_PKS6_NS0_5tupleIJS9_S6_EEENSD_IJSA_SA_EEENS0_18inequality_wrapperIZN2at6native12_GLOBAL__N_124unique_dim_cuda_templateIN3c104HalfEEESt5tupleIJNSH_6TensorESO_SO_EERKSO_lbbbEUlllE0_EEPmJS6_EEE10hipError_tPvRmT3_T4_T5_T6_T7_T9_mT8_P12ihipStream_tbDpT10_ENKUlT_T0_E_clISt17integral_constantIbLb1EES1E_EEDaS19_S1A_EUlS19_E_NS1_11comp_targetILNS1_3genE5ELNS1_11target_archE942ELNS1_3gpuE9ELNS1_3repE0EEENS1_30default_config_static_selectorELNS0_4arch9wavefront6targetE1EEEvT1_
    .private_segment_fixed_size: 0
    .sgpr_count:     6
    .sgpr_spill_count: 0
    .symbol:         _ZN7rocprim17ROCPRIM_400000_NS6detail17trampoline_kernelINS0_14default_configENS1_25partition_config_selectorILNS1_17partition_subalgoE8ElNS0_10empty_typeEbEEZZNS1_14partition_implILS5_8ELb0ES3_jPlPS6_PKS6_NS0_5tupleIJS9_S6_EEENSD_IJSA_SA_EEENS0_18inequality_wrapperIZN2at6native12_GLOBAL__N_124unique_dim_cuda_templateIN3c104HalfEEESt5tupleIJNSH_6TensorESO_SO_EERKSO_lbbbEUlllE0_EEPmJS6_EEE10hipError_tPvRmT3_T4_T5_T6_T7_T9_mT8_P12ihipStream_tbDpT10_ENKUlT_T0_E_clISt17integral_constantIbLb1EES1E_EEDaS19_S1A_EUlS19_E_NS1_11comp_targetILNS1_3genE5ELNS1_11target_archE942ELNS1_3gpuE9ELNS1_3repE0EEENS1_30default_config_static_selectorELNS0_4arch9wavefront6targetE1EEEvT1_.kd
    .uniform_work_group_size: 1
    .uses_dynamic_stack: false
    .vgpr_count:     0
    .vgpr_spill_count: 0
    .wavefront_size: 64
  - .agpr_count:     0
    .args:
      - .offset:         0
        .size:           136
        .value_kind:     by_value
    .group_segment_fixed_size: 0
    .kernarg_segment_align: 8
    .kernarg_segment_size: 136
    .language:       OpenCL C
    .language_version:
      - 2
      - 0
    .max_flat_workgroup_size: 256
    .name:           _ZN7rocprim17ROCPRIM_400000_NS6detail17trampoline_kernelINS0_14default_configENS1_25partition_config_selectorILNS1_17partition_subalgoE8ElNS0_10empty_typeEbEEZZNS1_14partition_implILS5_8ELb0ES3_jPlPS6_PKS6_NS0_5tupleIJS9_S6_EEENSD_IJSA_SA_EEENS0_18inequality_wrapperIZN2at6native12_GLOBAL__N_124unique_dim_cuda_templateIN3c104HalfEEESt5tupleIJNSH_6TensorESO_SO_EERKSO_lbbbEUlllE0_EEPmJS6_EEE10hipError_tPvRmT3_T4_T5_T6_T7_T9_mT8_P12ihipStream_tbDpT10_ENKUlT_T0_E_clISt17integral_constantIbLb1EES1E_EEDaS19_S1A_EUlS19_E_NS1_11comp_targetILNS1_3genE4ELNS1_11target_archE910ELNS1_3gpuE8ELNS1_3repE0EEENS1_30default_config_static_selectorELNS0_4arch9wavefront6targetE1EEEvT1_
    .private_segment_fixed_size: 0
    .sgpr_count:     6
    .sgpr_spill_count: 0
    .symbol:         _ZN7rocprim17ROCPRIM_400000_NS6detail17trampoline_kernelINS0_14default_configENS1_25partition_config_selectorILNS1_17partition_subalgoE8ElNS0_10empty_typeEbEEZZNS1_14partition_implILS5_8ELb0ES3_jPlPS6_PKS6_NS0_5tupleIJS9_S6_EEENSD_IJSA_SA_EEENS0_18inequality_wrapperIZN2at6native12_GLOBAL__N_124unique_dim_cuda_templateIN3c104HalfEEESt5tupleIJNSH_6TensorESO_SO_EERKSO_lbbbEUlllE0_EEPmJS6_EEE10hipError_tPvRmT3_T4_T5_T6_T7_T9_mT8_P12ihipStream_tbDpT10_ENKUlT_T0_E_clISt17integral_constantIbLb1EES1E_EEDaS19_S1A_EUlS19_E_NS1_11comp_targetILNS1_3genE4ELNS1_11target_archE910ELNS1_3gpuE8ELNS1_3repE0EEENS1_30default_config_static_selectorELNS0_4arch9wavefront6targetE1EEEvT1_.kd
    .uniform_work_group_size: 1
    .uses_dynamic_stack: false
    .vgpr_count:     0
    .vgpr_spill_count: 0
    .wavefront_size: 64
  - .agpr_count:     0
    .args:
      - .offset:         0
        .size:           136
        .value_kind:     by_value
    .group_segment_fixed_size: 0
    .kernarg_segment_align: 8
    .kernarg_segment_size: 136
    .language:       OpenCL C
    .language_version:
      - 2
      - 0
    .max_flat_workgroup_size: 512
    .name:           _ZN7rocprim17ROCPRIM_400000_NS6detail17trampoline_kernelINS0_14default_configENS1_25partition_config_selectorILNS1_17partition_subalgoE8ElNS0_10empty_typeEbEEZZNS1_14partition_implILS5_8ELb0ES3_jPlPS6_PKS6_NS0_5tupleIJS9_S6_EEENSD_IJSA_SA_EEENS0_18inequality_wrapperIZN2at6native12_GLOBAL__N_124unique_dim_cuda_templateIN3c104HalfEEESt5tupleIJNSH_6TensorESO_SO_EERKSO_lbbbEUlllE0_EEPmJS6_EEE10hipError_tPvRmT3_T4_T5_T6_T7_T9_mT8_P12ihipStream_tbDpT10_ENKUlT_T0_E_clISt17integral_constantIbLb1EES1E_EEDaS19_S1A_EUlS19_E_NS1_11comp_targetILNS1_3genE3ELNS1_11target_archE908ELNS1_3gpuE7ELNS1_3repE0EEENS1_30default_config_static_selectorELNS0_4arch9wavefront6targetE1EEEvT1_
    .private_segment_fixed_size: 0
    .sgpr_count:     6
    .sgpr_spill_count: 0
    .symbol:         _ZN7rocprim17ROCPRIM_400000_NS6detail17trampoline_kernelINS0_14default_configENS1_25partition_config_selectorILNS1_17partition_subalgoE8ElNS0_10empty_typeEbEEZZNS1_14partition_implILS5_8ELb0ES3_jPlPS6_PKS6_NS0_5tupleIJS9_S6_EEENSD_IJSA_SA_EEENS0_18inequality_wrapperIZN2at6native12_GLOBAL__N_124unique_dim_cuda_templateIN3c104HalfEEESt5tupleIJNSH_6TensorESO_SO_EERKSO_lbbbEUlllE0_EEPmJS6_EEE10hipError_tPvRmT3_T4_T5_T6_T7_T9_mT8_P12ihipStream_tbDpT10_ENKUlT_T0_E_clISt17integral_constantIbLb1EES1E_EEDaS19_S1A_EUlS19_E_NS1_11comp_targetILNS1_3genE3ELNS1_11target_archE908ELNS1_3gpuE7ELNS1_3repE0EEENS1_30default_config_static_selectorELNS0_4arch9wavefront6targetE1EEEvT1_.kd
    .uniform_work_group_size: 1
    .uses_dynamic_stack: false
    .vgpr_count:     0
    .vgpr_spill_count: 0
    .wavefront_size: 64
  - .agpr_count:     0
    .args:
      - .offset:         0
        .size:           136
        .value_kind:     by_value
    .group_segment_fixed_size: 0
    .kernarg_segment_align: 8
    .kernarg_segment_size: 136
    .language:       OpenCL C
    .language_version:
      - 2
      - 0
    .max_flat_workgroup_size: 256
    .name:           _ZN7rocprim17ROCPRIM_400000_NS6detail17trampoline_kernelINS0_14default_configENS1_25partition_config_selectorILNS1_17partition_subalgoE8ElNS0_10empty_typeEbEEZZNS1_14partition_implILS5_8ELb0ES3_jPlPS6_PKS6_NS0_5tupleIJS9_S6_EEENSD_IJSA_SA_EEENS0_18inequality_wrapperIZN2at6native12_GLOBAL__N_124unique_dim_cuda_templateIN3c104HalfEEESt5tupleIJNSH_6TensorESO_SO_EERKSO_lbbbEUlllE0_EEPmJS6_EEE10hipError_tPvRmT3_T4_T5_T6_T7_T9_mT8_P12ihipStream_tbDpT10_ENKUlT_T0_E_clISt17integral_constantIbLb1EES1E_EEDaS19_S1A_EUlS19_E_NS1_11comp_targetILNS1_3genE2ELNS1_11target_archE906ELNS1_3gpuE6ELNS1_3repE0EEENS1_30default_config_static_selectorELNS0_4arch9wavefront6targetE1EEEvT1_
    .private_segment_fixed_size: 0
    .sgpr_count:     6
    .sgpr_spill_count: 0
    .symbol:         _ZN7rocprim17ROCPRIM_400000_NS6detail17trampoline_kernelINS0_14default_configENS1_25partition_config_selectorILNS1_17partition_subalgoE8ElNS0_10empty_typeEbEEZZNS1_14partition_implILS5_8ELb0ES3_jPlPS6_PKS6_NS0_5tupleIJS9_S6_EEENSD_IJSA_SA_EEENS0_18inequality_wrapperIZN2at6native12_GLOBAL__N_124unique_dim_cuda_templateIN3c104HalfEEESt5tupleIJNSH_6TensorESO_SO_EERKSO_lbbbEUlllE0_EEPmJS6_EEE10hipError_tPvRmT3_T4_T5_T6_T7_T9_mT8_P12ihipStream_tbDpT10_ENKUlT_T0_E_clISt17integral_constantIbLb1EES1E_EEDaS19_S1A_EUlS19_E_NS1_11comp_targetILNS1_3genE2ELNS1_11target_archE906ELNS1_3gpuE6ELNS1_3repE0EEENS1_30default_config_static_selectorELNS0_4arch9wavefront6targetE1EEEvT1_.kd
    .uniform_work_group_size: 1
    .uses_dynamic_stack: false
    .vgpr_count:     0
    .vgpr_spill_count: 0
    .wavefront_size: 64
  - .agpr_count:     0
    .args:
      - .offset:         0
        .size:           136
        .value_kind:     by_value
    .group_segment_fixed_size: 0
    .kernarg_segment_align: 8
    .kernarg_segment_size: 136
    .language:       OpenCL C
    .language_version:
      - 2
      - 0
    .max_flat_workgroup_size: 384
    .name:           _ZN7rocprim17ROCPRIM_400000_NS6detail17trampoline_kernelINS0_14default_configENS1_25partition_config_selectorILNS1_17partition_subalgoE8ElNS0_10empty_typeEbEEZZNS1_14partition_implILS5_8ELb0ES3_jPlPS6_PKS6_NS0_5tupleIJS9_S6_EEENSD_IJSA_SA_EEENS0_18inequality_wrapperIZN2at6native12_GLOBAL__N_124unique_dim_cuda_templateIN3c104HalfEEESt5tupleIJNSH_6TensorESO_SO_EERKSO_lbbbEUlllE0_EEPmJS6_EEE10hipError_tPvRmT3_T4_T5_T6_T7_T9_mT8_P12ihipStream_tbDpT10_ENKUlT_T0_E_clISt17integral_constantIbLb1EES1E_EEDaS19_S1A_EUlS19_E_NS1_11comp_targetILNS1_3genE10ELNS1_11target_archE1200ELNS1_3gpuE4ELNS1_3repE0EEENS1_30default_config_static_selectorELNS0_4arch9wavefront6targetE1EEEvT1_
    .private_segment_fixed_size: 0
    .sgpr_count:     6
    .sgpr_spill_count: 0
    .symbol:         _ZN7rocprim17ROCPRIM_400000_NS6detail17trampoline_kernelINS0_14default_configENS1_25partition_config_selectorILNS1_17partition_subalgoE8ElNS0_10empty_typeEbEEZZNS1_14partition_implILS5_8ELb0ES3_jPlPS6_PKS6_NS0_5tupleIJS9_S6_EEENSD_IJSA_SA_EEENS0_18inequality_wrapperIZN2at6native12_GLOBAL__N_124unique_dim_cuda_templateIN3c104HalfEEESt5tupleIJNSH_6TensorESO_SO_EERKSO_lbbbEUlllE0_EEPmJS6_EEE10hipError_tPvRmT3_T4_T5_T6_T7_T9_mT8_P12ihipStream_tbDpT10_ENKUlT_T0_E_clISt17integral_constantIbLb1EES1E_EEDaS19_S1A_EUlS19_E_NS1_11comp_targetILNS1_3genE10ELNS1_11target_archE1200ELNS1_3gpuE4ELNS1_3repE0EEENS1_30default_config_static_selectorELNS0_4arch9wavefront6targetE1EEEvT1_.kd
    .uniform_work_group_size: 1
    .uses_dynamic_stack: false
    .vgpr_count:     0
    .vgpr_spill_count: 0
    .wavefront_size: 64
  - .agpr_count:     0
    .args:
      - .offset:         0
        .size:           136
        .value_kind:     by_value
    .group_segment_fixed_size: 0
    .kernarg_segment_align: 8
    .kernarg_segment_size: 136
    .language:       OpenCL C
    .language_version:
      - 2
      - 0
    .max_flat_workgroup_size: 512
    .name:           _ZN7rocprim17ROCPRIM_400000_NS6detail17trampoline_kernelINS0_14default_configENS1_25partition_config_selectorILNS1_17partition_subalgoE8ElNS0_10empty_typeEbEEZZNS1_14partition_implILS5_8ELb0ES3_jPlPS6_PKS6_NS0_5tupleIJS9_S6_EEENSD_IJSA_SA_EEENS0_18inequality_wrapperIZN2at6native12_GLOBAL__N_124unique_dim_cuda_templateIN3c104HalfEEESt5tupleIJNSH_6TensorESO_SO_EERKSO_lbbbEUlllE0_EEPmJS6_EEE10hipError_tPvRmT3_T4_T5_T6_T7_T9_mT8_P12ihipStream_tbDpT10_ENKUlT_T0_E_clISt17integral_constantIbLb1EES1E_EEDaS19_S1A_EUlS19_E_NS1_11comp_targetILNS1_3genE9ELNS1_11target_archE1100ELNS1_3gpuE3ELNS1_3repE0EEENS1_30default_config_static_selectorELNS0_4arch9wavefront6targetE1EEEvT1_
    .private_segment_fixed_size: 0
    .sgpr_count:     6
    .sgpr_spill_count: 0
    .symbol:         _ZN7rocprim17ROCPRIM_400000_NS6detail17trampoline_kernelINS0_14default_configENS1_25partition_config_selectorILNS1_17partition_subalgoE8ElNS0_10empty_typeEbEEZZNS1_14partition_implILS5_8ELb0ES3_jPlPS6_PKS6_NS0_5tupleIJS9_S6_EEENSD_IJSA_SA_EEENS0_18inequality_wrapperIZN2at6native12_GLOBAL__N_124unique_dim_cuda_templateIN3c104HalfEEESt5tupleIJNSH_6TensorESO_SO_EERKSO_lbbbEUlllE0_EEPmJS6_EEE10hipError_tPvRmT3_T4_T5_T6_T7_T9_mT8_P12ihipStream_tbDpT10_ENKUlT_T0_E_clISt17integral_constantIbLb1EES1E_EEDaS19_S1A_EUlS19_E_NS1_11comp_targetILNS1_3genE9ELNS1_11target_archE1100ELNS1_3gpuE3ELNS1_3repE0EEENS1_30default_config_static_selectorELNS0_4arch9wavefront6targetE1EEEvT1_.kd
    .uniform_work_group_size: 1
    .uses_dynamic_stack: false
    .vgpr_count:     0
    .vgpr_spill_count: 0
    .wavefront_size: 64
  - .agpr_count:     0
    .args:
      - .offset:         0
        .size:           136
        .value_kind:     by_value
    .group_segment_fixed_size: 0
    .kernarg_segment_align: 8
    .kernarg_segment_size: 136
    .language:       OpenCL C
    .language_version:
      - 2
      - 0
    .max_flat_workgroup_size: 512
    .name:           _ZN7rocprim17ROCPRIM_400000_NS6detail17trampoline_kernelINS0_14default_configENS1_25partition_config_selectorILNS1_17partition_subalgoE8ElNS0_10empty_typeEbEEZZNS1_14partition_implILS5_8ELb0ES3_jPlPS6_PKS6_NS0_5tupleIJS9_S6_EEENSD_IJSA_SA_EEENS0_18inequality_wrapperIZN2at6native12_GLOBAL__N_124unique_dim_cuda_templateIN3c104HalfEEESt5tupleIJNSH_6TensorESO_SO_EERKSO_lbbbEUlllE0_EEPmJS6_EEE10hipError_tPvRmT3_T4_T5_T6_T7_T9_mT8_P12ihipStream_tbDpT10_ENKUlT_T0_E_clISt17integral_constantIbLb1EES1E_EEDaS19_S1A_EUlS19_E_NS1_11comp_targetILNS1_3genE8ELNS1_11target_archE1030ELNS1_3gpuE2ELNS1_3repE0EEENS1_30default_config_static_selectorELNS0_4arch9wavefront6targetE1EEEvT1_
    .private_segment_fixed_size: 0
    .sgpr_count:     6
    .sgpr_spill_count: 0
    .symbol:         _ZN7rocprim17ROCPRIM_400000_NS6detail17trampoline_kernelINS0_14default_configENS1_25partition_config_selectorILNS1_17partition_subalgoE8ElNS0_10empty_typeEbEEZZNS1_14partition_implILS5_8ELb0ES3_jPlPS6_PKS6_NS0_5tupleIJS9_S6_EEENSD_IJSA_SA_EEENS0_18inequality_wrapperIZN2at6native12_GLOBAL__N_124unique_dim_cuda_templateIN3c104HalfEEESt5tupleIJNSH_6TensorESO_SO_EERKSO_lbbbEUlllE0_EEPmJS6_EEE10hipError_tPvRmT3_T4_T5_T6_T7_T9_mT8_P12ihipStream_tbDpT10_ENKUlT_T0_E_clISt17integral_constantIbLb1EES1E_EEDaS19_S1A_EUlS19_E_NS1_11comp_targetILNS1_3genE8ELNS1_11target_archE1030ELNS1_3gpuE2ELNS1_3repE0EEENS1_30default_config_static_selectorELNS0_4arch9wavefront6targetE1EEEvT1_.kd
    .uniform_work_group_size: 1
    .uses_dynamic_stack: false
    .vgpr_count:     0
    .vgpr_spill_count: 0
    .wavefront_size: 64
  - .agpr_count:     0
    .args:
      - .offset:         0
        .size:           120
        .value_kind:     by_value
    .group_segment_fixed_size: 0
    .kernarg_segment_align: 8
    .kernarg_segment_size: 120
    .language:       OpenCL C
    .language_version:
      - 2
      - 0
    .max_flat_workgroup_size: 512
    .name:           _ZN7rocprim17ROCPRIM_400000_NS6detail17trampoline_kernelINS0_14default_configENS1_25partition_config_selectorILNS1_17partition_subalgoE8ElNS0_10empty_typeEbEEZZNS1_14partition_implILS5_8ELb0ES3_jPlPS6_PKS6_NS0_5tupleIJS9_S6_EEENSD_IJSA_SA_EEENS0_18inequality_wrapperIZN2at6native12_GLOBAL__N_124unique_dim_cuda_templateIN3c104HalfEEESt5tupleIJNSH_6TensorESO_SO_EERKSO_lbbbEUlllE0_EEPmJS6_EEE10hipError_tPvRmT3_T4_T5_T6_T7_T9_mT8_P12ihipStream_tbDpT10_ENKUlT_T0_E_clISt17integral_constantIbLb1EES1D_IbLb0EEEEDaS19_S1A_EUlS19_E_NS1_11comp_targetILNS1_3genE0ELNS1_11target_archE4294967295ELNS1_3gpuE0ELNS1_3repE0EEENS1_30default_config_static_selectorELNS0_4arch9wavefront6targetE1EEEvT1_
    .private_segment_fixed_size: 0
    .sgpr_count:     6
    .sgpr_spill_count: 0
    .symbol:         _ZN7rocprim17ROCPRIM_400000_NS6detail17trampoline_kernelINS0_14default_configENS1_25partition_config_selectorILNS1_17partition_subalgoE8ElNS0_10empty_typeEbEEZZNS1_14partition_implILS5_8ELb0ES3_jPlPS6_PKS6_NS0_5tupleIJS9_S6_EEENSD_IJSA_SA_EEENS0_18inequality_wrapperIZN2at6native12_GLOBAL__N_124unique_dim_cuda_templateIN3c104HalfEEESt5tupleIJNSH_6TensorESO_SO_EERKSO_lbbbEUlllE0_EEPmJS6_EEE10hipError_tPvRmT3_T4_T5_T6_T7_T9_mT8_P12ihipStream_tbDpT10_ENKUlT_T0_E_clISt17integral_constantIbLb1EES1D_IbLb0EEEEDaS19_S1A_EUlS19_E_NS1_11comp_targetILNS1_3genE0ELNS1_11target_archE4294967295ELNS1_3gpuE0ELNS1_3repE0EEENS1_30default_config_static_selectorELNS0_4arch9wavefront6targetE1EEEvT1_.kd
    .uniform_work_group_size: 1
    .uses_dynamic_stack: false
    .vgpr_count:     0
    .vgpr_spill_count: 0
    .wavefront_size: 64
  - .agpr_count:     0
    .args:
      - .offset:         0
        .size:           120
        .value_kind:     by_value
    .group_segment_fixed_size: 0
    .kernarg_segment_align: 8
    .kernarg_segment_size: 120
    .language:       OpenCL C
    .language_version:
      - 2
      - 0
    .max_flat_workgroup_size: 512
    .name:           _ZN7rocprim17ROCPRIM_400000_NS6detail17trampoline_kernelINS0_14default_configENS1_25partition_config_selectorILNS1_17partition_subalgoE8ElNS0_10empty_typeEbEEZZNS1_14partition_implILS5_8ELb0ES3_jPlPS6_PKS6_NS0_5tupleIJS9_S6_EEENSD_IJSA_SA_EEENS0_18inequality_wrapperIZN2at6native12_GLOBAL__N_124unique_dim_cuda_templateIN3c104HalfEEESt5tupleIJNSH_6TensorESO_SO_EERKSO_lbbbEUlllE0_EEPmJS6_EEE10hipError_tPvRmT3_T4_T5_T6_T7_T9_mT8_P12ihipStream_tbDpT10_ENKUlT_T0_E_clISt17integral_constantIbLb1EES1D_IbLb0EEEEDaS19_S1A_EUlS19_E_NS1_11comp_targetILNS1_3genE5ELNS1_11target_archE942ELNS1_3gpuE9ELNS1_3repE0EEENS1_30default_config_static_selectorELNS0_4arch9wavefront6targetE1EEEvT1_
    .private_segment_fixed_size: 0
    .sgpr_count:     6
    .sgpr_spill_count: 0
    .symbol:         _ZN7rocprim17ROCPRIM_400000_NS6detail17trampoline_kernelINS0_14default_configENS1_25partition_config_selectorILNS1_17partition_subalgoE8ElNS0_10empty_typeEbEEZZNS1_14partition_implILS5_8ELb0ES3_jPlPS6_PKS6_NS0_5tupleIJS9_S6_EEENSD_IJSA_SA_EEENS0_18inequality_wrapperIZN2at6native12_GLOBAL__N_124unique_dim_cuda_templateIN3c104HalfEEESt5tupleIJNSH_6TensorESO_SO_EERKSO_lbbbEUlllE0_EEPmJS6_EEE10hipError_tPvRmT3_T4_T5_T6_T7_T9_mT8_P12ihipStream_tbDpT10_ENKUlT_T0_E_clISt17integral_constantIbLb1EES1D_IbLb0EEEEDaS19_S1A_EUlS19_E_NS1_11comp_targetILNS1_3genE5ELNS1_11target_archE942ELNS1_3gpuE9ELNS1_3repE0EEENS1_30default_config_static_selectorELNS0_4arch9wavefront6targetE1EEEvT1_.kd
    .uniform_work_group_size: 1
    .uses_dynamic_stack: false
    .vgpr_count:     0
    .vgpr_spill_count: 0
    .wavefront_size: 64
  - .agpr_count:     0
    .args:
      - .offset:         0
        .size:           120
        .value_kind:     by_value
    .group_segment_fixed_size: 0
    .kernarg_segment_align: 8
    .kernarg_segment_size: 120
    .language:       OpenCL C
    .language_version:
      - 2
      - 0
    .max_flat_workgroup_size: 256
    .name:           _ZN7rocprim17ROCPRIM_400000_NS6detail17trampoline_kernelINS0_14default_configENS1_25partition_config_selectorILNS1_17partition_subalgoE8ElNS0_10empty_typeEbEEZZNS1_14partition_implILS5_8ELb0ES3_jPlPS6_PKS6_NS0_5tupleIJS9_S6_EEENSD_IJSA_SA_EEENS0_18inequality_wrapperIZN2at6native12_GLOBAL__N_124unique_dim_cuda_templateIN3c104HalfEEESt5tupleIJNSH_6TensorESO_SO_EERKSO_lbbbEUlllE0_EEPmJS6_EEE10hipError_tPvRmT3_T4_T5_T6_T7_T9_mT8_P12ihipStream_tbDpT10_ENKUlT_T0_E_clISt17integral_constantIbLb1EES1D_IbLb0EEEEDaS19_S1A_EUlS19_E_NS1_11comp_targetILNS1_3genE4ELNS1_11target_archE910ELNS1_3gpuE8ELNS1_3repE0EEENS1_30default_config_static_selectorELNS0_4arch9wavefront6targetE1EEEvT1_
    .private_segment_fixed_size: 0
    .sgpr_count:     6
    .sgpr_spill_count: 0
    .symbol:         _ZN7rocprim17ROCPRIM_400000_NS6detail17trampoline_kernelINS0_14default_configENS1_25partition_config_selectorILNS1_17partition_subalgoE8ElNS0_10empty_typeEbEEZZNS1_14partition_implILS5_8ELb0ES3_jPlPS6_PKS6_NS0_5tupleIJS9_S6_EEENSD_IJSA_SA_EEENS0_18inequality_wrapperIZN2at6native12_GLOBAL__N_124unique_dim_cuda_templateIN3c104HalfEEESt5tupleIJNSH_6TensorESO_SO_EERKSO_lbbbEUlllE0_EEPmJS6_EEE10hipError_tPvRmT3_T4_T5_T6_T7_T9_mT8_P12ihipStream_tbDpT10_ENKUlT_T0_E_clISt17integral_constantIbLb1EES1D_IbLb0EEEEDaS19_S1A_EUlS19_E_NS1_11comp_targetILNS1_3genE4ELNS1_11target_archE910ELNS1_3gpuE8ELNS1_3repE0EEENS1_30default_config_static_selectorELNS0_4arch9wavefront6targetE1EEEvT1_.kd
    .uniform_work_group_size: 1
    .uses_dynamic_stack: false
    .vgpr_count:     0
    .vgpr_spill_count: 0
    .wavefront_size: 64
  - .agpr_count:     0
    .args:
      - .offset:         0
        .size:           120
        .value_kind:     by_value
    .group_segment_fixed_size: 0
    .kernarg_segment_align: 8
    .kernarg_segment_size: 120
    .language:       OpenCL C
    .language_version:
      - 2
      - 0
    .max_flat_workgroup_size: 512
    .name:           _ZN7rocprim17ROCPRIM_400000_NS6detail17trampoline_kernelINS0_14default_configENS1_25partition_config_selectorILNS1_17partition_subalgoE8ElNS0_10empty_typeEbEEZZNS1_14partition_implILS5_8ELb0ES3_jPlPS6_PKS6_NS0_5tupleIJS9_S6_EEENSD_IJSA_SA_EEENS0_18inequality_wrapperIZN2at6native12_GLOBAL__N_124unique_dim_cuda_templateIN3c104HalfEEESt5tupleIJNSH_6TensorESO_SO_EERKSO_lbbbEUlllE0_EEPmJS6_EEE10hipError_tPvRmT3_T4_T5_T6_T7_T9_mT8_P12ihipStream_tbDpT10_ENKUlT_T0_E_clISt17integral_constantIbLb1EES1D_IbLb0EEEEDaS19_S1A_EUlS19_E_NS1_11comp_targetILNS1_3genE3ELNS1_11target_archE908ELNS1_3gpuE7ELNS1_3repE0EEENS1_30default_config_static_selectorELNS0_4arch9wavefront6targetE1EEEvT1_
    .private_segment_fixed_size: 0
    .sgpr_count:     6
    .sgpr_spill_count: 0
    .symbol:         _ZN7rocprim17ROCPRIM_400000_NS6detail17trampoline_kernelINS0_14default_configENS1_25partition_config_selectorILNS1_17partition_subalgoE8ElNS0_10empty_typeEbEEZZNS1_14partition_implILS5_8ELb0ES3_jPlPS6_PKS6_NS0_5tupleIJS9_S6_EEENSD_IJSA_SA_EEENS0_18inequality_wrapperIZN2at6native12_GLOBAL__N_124unique_dim_cuda_templateIN3c104HalfEEESt5tupleIJNSH_6TensorESO_SO_EERKSO_lbbbEUlllE0_EEPmJS6_EEE10hipError_tPvRmT3_T4_T5_T6_T7_T9_mT8_P12ihipStream_tbDpT10_ENKUlT_T0_E_clISt17integral_constantIbLb1EES1D_IbLb0EEEEDaS19_S1A_EUlS19_E_NS1_11comp_targetILNS1_3genE3ELNS1_11target_archE908ELNS1_3gpuE7ELNS1_3repE0EEENS1_30default_config_static_selectorELNS0_4arch9wavefront6targetE1EEEvT1_.kd
    .uniform_work_group_size: 1
    .uses_dynamic_stack: false
    .vgpr_count:     0
    .vgpr_spill_count: 0
    .wavefront_size: 64
  - .agpr_count:     0
    .args:
      - .offset:         0
        .size:           120
        .value_kind:     by_value
    .group_segment_fixed_size: 0
    .kernarg_segment_align: 8
    .kernarg_segment_size: 120
    .language:       OpenCL C
    .language_version:
      - 2
      - 0
    .max_flat_workgroup_size: 256
    .name:           _ZN7rocprim17ROCPRIM_400000_NS6detail17trampoline_kernelINS0_14default_configENS1_25partition_config_selectorILNS1_17partition_subalgoE8ElNS0_10empty_typeEbEEZZNS1_14partition_implILS5_8ELb0ES3_jPlPS6_PKS6_NS0_5tupleIJS9_S6_EEENSD_IJSA_SA_EEENS0_18inequality_wrapperIZN2at6native12_GLOBAL__N_124unique_dim_cuda_templateIN3c104HalfEEESt5tupleIJNSH_6TensorESO_SO_EERKSO_lbbbEUlllE0_EEPmJS6_EEE10hipError_tPvRmT3_T4_T5_T6_T7_T9_mT8_P12ihipStream_tbDpT10_ENKUlT_T0_E_clISt17integral_constantIbLb1EES1D_IbLb0EEEEDaS19_S1A_EUlS19_E_NS1_11comp_targetILNS1_3genE2ELNS1_11target_archE906ELNS1_3gpuE6ELNS1_3repE0EEENS1_30default_config_static_selectorELNS0_4arch9wavefront6targetE1EEEvT1_
    .private_segment_fixed_size: 0
    .sgpr_count:     6
    .sgpr_spill_count: 0
    .symbol:         _ZN7rocprim17ROCPRIM_400000_NS6detail17trampoline_kernelINS0_14default_configENS1_25partition_config_selectorILNS1_17partition_subalgoE8ElNS0_10empty_typeEbEEZZNS1_14partition_implILS5_8ELb0ES3_jPlPS6_PKS6_NS0_5tupleIJS9_S6_EEENSD_IJSA_SA_EEENS0_18inequality_wrapperIZN2at6native12_GLOBAL__N_124unique_dim_cuda_templateIN3c104HalfEEESt5tupleIJNSH_6TensorESO_SO_EERKSO_lbbbEUlllE0_EEPmJS6_EEE10hipError_tPvRmT3_T4_T5_T6_T7_T9_mT8_P12ihipStream_tbDpT10_ENKUlT_T0_E_clISt17integral_constantIbLb1EES1D_IbLb0EEEEDaS19_S1A_EUlS19_E_NS1_11comp_targetILNS1_3genE2ELNS1_11target_archE906ELNS1_3gpuE6ELNS1_3repE0EEENS1_30default_config_static_selectorELNS0_4arch9wavefront6targetE1EEEvT1_.kd
    .uniform_work_group_size: 1
    .uses_dynamic_stack: false
    .vgpr_count:     0
    .vgpr_spill_count: 0
    .wavefront_size: 64
  - .agpr_count:     0
    .args:
      - .offset:         0
        .size:           120
        .value_kind:     by_value
    .group_segment_fixed_size: 0
    .kernarg_segment_align: 8
    .kernarg_segment_size: 120
    .language:       OpenCL C
    .language_version:
      - 2
      - 0
    .max_flat_workgroup_size: 384
    .name:           _ZN7rocprim17ROCPRIM_400000_NS6detail17trampoline_kernelINS0_14default_configENS1_25partition_config_selectorILNS1_17partition_subalgoE8ElNS0_10empty_typeEbEEZZNS1_14partition_implILS5_8ELb0ES3_jPlPS6_PKS6_NS0_5tupleIJS9_S6_EEENSD_IJSA_SA_EEENS0_18inequality_wrapperIZN2at6native12_GLOBAL__N_124unique_dim_cuda_templateIN3c104HalfEEESt5tupleIJNSH_6TensorESO_SO_EERKSO_lbbbEUlllE0_EEPmJS6_EEE10hipError_tPvRmT3_T4_T5_T6_T7_T9_mT8_P12ihipStream_tbDpT10_ENKUlT_T0_E_clISt17integral_constantIbLb1EES1D_IbLb0EEEEDaS19_S1A_EUlS19_E_NS1_11comp_targetILNS1_3genE10ELNS1_11target_archE1200ELNS1_3gpuE4ELNS1_3repE0EEENS1_30default_config_static_selectorELNS0_4arch9wavefront6targetE1EEEvT1_
    .private_segment_fixed_size: 0
    .sgpr_count:     6
    .sgpr_spill_count: 0
    .symbol:         _ZN7rocprim17ROCPRIM_400000_NS6detail17trampoline_kernelINS0_14default_configENS1_25partition_config_selectorILNS1_17partition_subalgoE8ElNS0_10empty_typeEbEEZZNS1_14partition_implILS5_8ELb0ES3_jPlPS6_PKS6_NS0_5tupleIJS9_S6_EEENSD_IJSA_SA_EEENS0_18inequality_wrapperIZN2at6native12_GLOBAL__N_124unique_dim_cuda_templateIN3c104HalfEEESt5tupleIJNSH_6TensorESO_SO_EERKSO_lbbbEUlllE0_EEPmJS6_EEE10hipError_tPvRmT3_T4_T5_T6_T7_T9_mT8_P12ihipStream_tbDpT10_ENKUlT_T0_E_clISt17integral_constantIbLb1EES1D_IbLb0EEEEDaS19_S1A_EUlS19_E_NS1_11comp_targetILNS1_3genE10ELNS1_11target_archE1200ELNS1_3gpuE4ELNS1_3repE0EEENS1_30default_config_static_selectorELNS0_4arch9wavefront6targetE1EEEvT1_.kd
    .uniform_work_group_size: 1
    .uses_dynamic_stack: false
    .vgpr_count:     0
    .vgpr_spill_count: 0
    .wavefront_size: 64
  - .agpr_count:     0
    .args:
      - .offset:         0
        .size:           120
        .value_kind:     by_value
    .group_segment_fixed_size: 0
    .kernarg_segment_align: 8
    .kernarg_segment_size: 120
    .language:       OpenCL C
    .language_version:
      - 2
      - 0
    .max_flat_workgroup_size: 512
    .name:           _ZN7rocprim17ROCPRIM_400000_NS6detail17trampoline_kernelINS0_14default_configENS1_25partition_config_selectorILNS1_17partition_subalgoE8ElNS0_10empty_typeEbEEZZNS1_14partition_implILS5_8ELb0ES3_jPlPS6_PKS6_NS0_5tupleIJS9_S6_EEENSD_IJSA_SA_EEENS0_18inequality_wrapperIZN2at6native12_GLOBAL__N_124unique_dim_cuda_templateIN3c104HalfEEESt5tupleIJNSH_6TensorESO_SO_EERKSO_lbbbEUlllE0_EEPmJS6_EEE10hipError_tPvRmT3_T4_T5_T6_T7_T9_mT8_P12ihipStream_tbDpT10_ENKUlT_T0_E_clISt17integral_constantIbLb1EES1D_IbLb0EEEEDaS19_S1A_EUlS19_E_NS1_11comp_targetILNS1_3genE9ELNS1_11target_archE1100ELNS1_3gpuE3ELNS1_3repE0EEENS1_30default_config_static_selectorELNS0_4arch9wavefront6targetE1EEEvT1_
    .private_segment_fixed_size: 0
    .sgpr_count:     6
    .sgpr_spill_count: 0
    .symbol:         _ZN7rocprim17ROCPRIM_400000_NS6detail17trampoline_kernelINS0_14default_configENS1_25partition_config_selectorILNS1_17partition_subalgoE8ElNS0_10empty_typeEbEEZZNS1_14partition_implILS5_8ELb0ES3_jPlPS6_PKS6_NS0_5tupleIJS9_S6_EEENSD_IJSA_SA_EEENS0_18inequality_wrapperIZN2at6native12_GLOBAL__N_124unique_dim_cuda_templateIN3c104HalfEEESt5tupleIJNSH_6TensorESO_SO_EERKSO_lbbbEUlllE0_EEPmJS6_EEE10hipError_tPvRmT3_T4_T5_T6_T7_T9_mT8_P12ihipStream_tbDpT10_ENKUlT_T0_E_clISt17integral_constantIbLb1EES1D_IbLb0EEEEDaS19_S1A_EUlS19_E_NS1_11comp_targetILNS1_3genE9ELNS1_11target_archE1100ELNS1_3gpuE3ELNS1_3repE0EEENS1_30default_config_static_selectorELNS0_4arch9wavefront6targetE1EEEvT1_.kd
    .uniform_work_group_size: 1
    .uses_dynamic_stack: false
    .vgpr_count:     0
    .vgpr_spill_count: 0
    .wavefront_size: 64
  - .agpr_count:     0
    .args:
      - .offset:         0
        .size:           120
        .value_kind:     by_value
    .group_segment_fixed_size: 0
    .kernarg_segment_align: 8
    .kernarg_segment_size: 120
    .language:       OpenCL C
    .language_version:
      - 2
      - 0
    .max_flat_workgroup_size: 512
    .name:           _ZN7rocprim17ROCPRIM_400000_NS6detail17trampoline_kernelINS0_14default_configENS1_25partition_config_selectorILNS1_17partition_subalgoE8ElNS0_10empty_typeEbEEZZNS1_14partition_implILS5_8ELb0ES3_jPlPS6_PKS6_NS0_5tupleIJS9_S6_EEENSD_IJSA_SA_EEENS0_18inequality_wrapperIZN2at6native12_GLOBAL__N_124unique_dim_cuda_templateIN3c104HalfEEESt5tupleIJNSH_6TensorESO_SO_EERKSO_lbbbEUlllE0_EEPmJS6_EEE10hipError_tPvRmT3_T4_T5_T6_T7_T9_mT8_P12ihipStream_tbDpT10_ENKUlT_T0_E_clISt17integral_constantIbLb1EES1D_IbLb0EEEEDaS19_S1A_EUlS19_E_NS1_11comp_targetILNS1_3genE8ELNS1_11target_archE1030ELNS1_3gpuE2ELNS1_3repE0EEENS1_30default_config_static_selectorELNS0_4arch9wavefront6targetE1EEEvT1_
    .private_segment_fixed_size: 0
    .sgpr_count:     6
    .sgpr_spill_count: 0
    .symbol:         _ZN7rocprim17ROCPRIM_400000_NS6detail17trampoline_kernelINS0_14default_configENS1_25partition_config_selectorILNS1_17partition_subalgoE8ElNS0_10empty_typeEbEEZZNS1_14partition_implILS5_8ELb0ES3_jPlPS6_PKS6_NS0_5tupleIJS9_S6_EEENSD_IJSA_SA_EEENS0_18inequality_wrapperIZN2at6native12_GLOBAL__N_124unique_dim_cuda_templateIN3c104HalfEEESt5tupleIJNSH_6TensorESO_SO_EERKSO_lbbbEUlllE0_EEPmJS6_EEE10hipError_tPvRmT3_T4_T5_T6_T7_T9_mT8_P12ihipStream_tbDpT10_ENKUlT_T0_E_clISt17integral_constantIbLb1EES1D_IbLb0EEEEDaS19_S1A_EUlS19_E_NS1_11comp_targetILNS1_3genE8ELNS1_11target_archE1030ELNS1_3gpuE2ELNS1_3repE0EEENS1_30default_config_static_selectorELNS0_4arch9wavefront6targetE1EEEvT1_.kd
    .uniform_work_group_size: 1
    .uses_dynamic_stack: false
    .vgpr_count:     0
    .vgpr_spill_count: 0
    .wavefront_size: 64
  - .agpr_count:     0
    .args:
      - .offset:         0
        .size:           136
        .value_kind:     by_value
    .group_segment_fixed_size: 28680
    .kernarg_segment_align: 8
    .kernarg_segment_size: 136
    .language:       OpenCL C
    .language_version:
      - 2
      - 0
    .max_flat_workgroup_size: 512
    .name:           _ZN7rocprim17ROCPRIM_400000_NS6detail17trampoline_kernelINS0_14default_configENS1_25partition_config_selectorILNS1_17partition_subalgoE8ElNS0_10empty_typeEbEEZZNS1_14partition_implILS5_8ELb0ES3_jPlPS6_PKS6_NS0_5tupleIJS9_S6_EEENSD_IJSA_SA_EEENS0_18inequality_wrapperIZN2at6native12_GLOBAL__N_124unique_dim_cuda_templateIN3c104HalfEEESt5tupleIJNSH_6TensorESO_SO_EERKSO_lbbbEUlllE0_EEPmJS6_EEE10hipError_tPvRmT3_T4_T5_T6_T7_T9_mT8_P12ihipStream_tbDpT10_ENKUlT_T0_E_clISt17integral_constantIbLb0EES1D_IbLb1EEEEDaS19_S1A_EUlS19_E_NS1_11comp_targetILNS1_3genE0ELNS1_11target_archE4294967295ELNS1_3gpuE0ELNS1_3repE0EEENS1_30default_config_static_selectorELNS0_4arch9wavefront6targetE1EEEvT1_
    .private_segment_fixed_size: 0
    .sgpr_count:     60
    .sgpr_spill_count: 0
    .symbol:         _ZN7rocprim17ROCPRIM_400000_NS6detail17trampoline_kernelINS0_14default_configENS1_25partition_config_selectorILNS1_17partition_subalgoE8ElNS0_10empty_typeEbEEZZNS1_14partition_implILS5_8ELb0ES3_jPlPS6_PKS6_NS0_5tupleIJS9_S6_EEENSD_IJSA_SA_EEENS0_18inequality_wrapperIZN2at6native12_GLOBAL__N_124unique_dim_cuda_templateIN3c104HalfEEESt5tupleIJNSH_6TensorESO_SO_EERKSO_lbbbEUlllE0_EEPmJS6_EEE10hipError_tPvRmT3_T4_T5_T6_T7_T9_mT8_P12ihipStream_tbDpT10_ENKUlT_T0_E_clISt17integral_constantIbLb0EES1D_IbLb1EEEEDaS19_S1A_EUlS19_E_NS1_11comp_targetILNS1_3genE0ELNS1_11target_archE4294967295ELNS1_3gpuE0ELNS1_3repE0EEENS1_30default_config_static_selectorELNS0_4arch9wavefront6targetE1EEEvT1_.kd
    .uniform_work_group_size: 1
    .uses_dynamic_stack: false
    .vgpr_count:     58
    .vgpr_spill_count: 0
    .wavefront_size: 64
  - .agpr_count:     0
    .args:
      - .offset:         0
        .size:           136
        .value_kind:     by_value
    .group_segment_fixed_size: 0
    .kernarg_segment_align: 8
    .kernarg_segment_size: 136
    .language:       OpenCL C
    .language_version:
      - 2
      - 0
    .max_flat_workgroup_size: 512
    .name:           _ZN7rocprim17ROCPRIM_400000_NS6detail17trampoline_kernelINS0_14default_configENS1_25partition_config_selectorILNS1_17partition_subalgoE8ElNS0_10empty_typeEbEEZZNS1_14partition_implILS5_8ELb0ES3_jPlPS6_PKS6_NS0_5tupleIJS9_S6_EEENSD_IJSA_SA_EEENS0_18inequality_wrapperIZN2at6native12_GLOBAL__N_124unique_dim_cuda_templateIN3c104HalfEEESt5tupleIJNSH_6TensorESO_SO_EERKSO_lbbbEUlllE0_EEPmJS6_EEE10hipError_tPvRmT3_T4_T5_T6_T7_T9_mT8_P12ihipStream_tbDpT10_ENKUlT_T0_E_clISt17integral_constantIbLb0EES1D_IbLb1EEEEDaS19_S1A_EUlS19_E_NS1_11comp_targetILNS1_3genE5ELNS1_11target_archE942ELNS1_3gpuE9ELNS1_3repE0EEENS1_30default_config_static_selectorELNS0_4arch9wavefront6targetE1EEEvT1_
    .private_segment_fixed_size: 0
    .sgpr_count:     6
    .sgpr_spill_count: 0
    .symbol:         _ZN7rocprim17ROCPRIM_400000_NS6detail17trampoline_kernelINS0_14default_configENS1_25partition_config_selectorILNS1_17partition_subalgoE8ElNS0_10empty_typeEbEEZZNS1_14partition_implILS5_8ELb0ES3_jPlPS6_PKS6_NS0_5tupleIJS9_S6_EEENSD_IJSA_SA_EEENS0_18inequality_wrapperIZN2at6native12_GLOBAL__N_124unique_dim_cuda_templateIN3c104HalfEEESt5tupleIJNSH_6TensorESO_SO_EERKSO_lbbbEUlllE0_EEPmJS6_EEE10hipError_tPvRmT3_T4_T5_T6_T7_T9_mT8_P12ihipStream_tbDpT10_ENKUlT_T0_E_clISt17integral_constantIbLb0EES1D_IbLb1EEEEDaS19_S1A_EUlS19_E_NS1_11comp_targetILNS1_3genE5ELNS1_11target_archE942ELNS1_3gpuE9ELNS1_3repE0EEENS1_30default_config_static_selectorELNS0_4arch9wavefront6targetE1EEEvT1_.kd
    .uniform_work_group_size: 1
    .uses_dynamic_stack: false
    .vgpr_count:     0
    .vgpr_spill_count: 0
    .wavefront_size: 64
  - .agpr_count:     0
    .args:
      - .offset:         0
        .size:           136
        .value_kind:     by_value
    .group_segment_fixed_size: 0
    .kernarg_segment_align: 8
    .kernarg_segment_size: 136
    .language:       OpenCL C
    .language_version:
      - 2
      - 0
    .max_flat_workgroup_size: 256
    .name:           _ZN7rocprim17ROCPRIM_400000_NS6detail17trampoline_kernelINS0_14default_configENS1_25partition_config_selectorILNS1_17partition_subalgoE8ElNS0_10empty_typeEbEEZZNS1_14partition_implILS5_8ELb0ES3_jPlPS6_PKS6_NS0_5tupleIJS9_S6_EEENSD_IJSA_SA_EEENS0_18inequality_wrapperIZN2at6native12_GLOBAL__N_124unique_dim_cuda_templateIN3c104HalfEEESt5tupleIJNSH_6TensorESO_SO_EERKSO_lbbbEUlllE0_EEPmJS6_EEE10hipError_tPvRmT3_T4_T5_T6_T7_T9_mT8_P12ihipStream_tbDpT10_ENKUlT_T0_E_clISt17integral_constantIbLb0EES1D_IbLb1EEEEDaS19_S1A_EUlS19_E_NS1_11comp_targetILNS1_3genE4ELNS1_11target_archE910ELNS1_3gpuE8ELNS1_3repE0EEENS1_30default_config_static_selectorELNS0_4arch9wavefront6targetE1EEEvT1_
    .private_segment_fixed_size: 0
    .sgpr_count:     6
    .sgpr_spill_count: 0
    .symbol:         _ZN7rocprim17ROCPRIM_400000_NS6detail17trampoline_kernelINS0_14default_configENS1_25partition_config_selectorILNS1_17partition_subalgoE8ElNS0_10empty_typeEbEEZZNS1_14partition_implILS5_8ELb0ES3_jPlPS6_PKS6_NS0_5tupleIJS9_S6_EEENSD_IJSA_SA_EEENS0_18inequality_wrapperIZN2at6native12_GLOBAL__N_124unique_dim_cuda_templateIN3c104HalfEEESt5tupleIJNSH_6TensorESO_SO_EERKSO_lbbbEUlllE0_EEPmJS6_EEE10hipError_tPvRmT3_T4_T5_T6_T7_T9_mT8_P12ihipStream_tbDpT10_ENKUlT_T0_E_clISt17integral_constantIbLb0EES1D_IbLb1EEEEDaS19_S1A_EUlS19_E_NS1_11comp_targetILNS1_3genE4ELNS1_11target_archE910ELNS1_3gpuE8ELNS1_3repE0EEENS1_30default_config_static_selectorELNS0_4arch9wavefront6targetE1EEEvT1_.kd
    .uniform_work_group_size: 1
    .uses_dynamic_stack: false
    .vgpr_count:     0
    .vgpr_spill_count: 0
    .wavefront_size: 64
  - .agpr_count:     0
    .args:
      - .offset:         0
        .size:           136
        .value_kind:     by_value
    .group_segment_fixed_size: 0
    .kernarg_segment_align: 8
    .kernarg_segment_size: 136
    .language:       OpenCL C
    .language_version:
      - 2
      - 0
    .max_flat_workgroup_size: 512
    .name:           _ZN7rocprim17ROCPRIM_400000_NS6detail17trampoline_kernelINS0_14default_configENS1_25partition_config_selectorILNS1_17partition_subalgoE8ElNS0_10empty_typeEbEEZZNS1_14partition_implILS5_8ELb0ES3_jPlPS6_PKS6_NS0_5tupleIJS9_S6_EEENSD_IJSA_SA_EEENS0_18inequality_wrapperIZN2at6native12_GLOBAL__N_124unique_dim_cuda_templateIN3c104HalfEEESt5tupleIJNSH_6TensorESO_SO_EERKSO_lbbbEUlllE0_EEPmJS6_EEE10hipError_tPvRmT3_T4_T5_T6_T7_T9_mT8_P12ihipStream_tbDpT10_ENKUlT_T0_E_clISt17integral_constantIbLb0EES1D_IbLb1EEEEDaS19_S1A_EUlS19_E_NS1_11comp_targetILNS1_3genE3ELNS1_11target_archE908ELNS1_3gpuE7ELNS1_3repE0EEENS1_30default_config_static_selectorELNS0_4arch9wavefront6targetE1EEEvT1_
    .private_segment_fixed_size: 0
    .sgpr_count:     6
    .sgpr_spill_count: 0
    .symbol:         _ZN7rocprim17ROCPRIM_400000_NS6detail17trampoline_kernelINS0_14default_configENS1_25partition_config_selectorILNS1_17partition_subalgoE8ElNS0_10empty_typeEbEEZZNS1_14partition_implILS5_8ELb0ES3_jPlPS6_PKS6_NS0_5tupleIJS9_S6_EEENSD_IJSA_SA_EEENS0_18inequality_wrapperIZN2at6native12_GLOBAL__N_124unique_dim_cuda_templateIN3c104HalfEEESt5tupleIJNSH_6TensorESO_SO_EERKSO_lbbbEUlllE0_EEPmJS6_EEE10hipError_tPvRmT3_T4_T5_T6_T7_T9_mT8_P12ihipStream_tbDpT10_ENKUlT_T0_E_clISt17integral_constantIbLb0EES1D_IbLb1EEEEDaS19_S1A_EUlS19_E_NS1_11comp_targetILNS1_3genE3ELNS1_11target_archE908ELNS1_3gpuE7ELNS1_3repE0EEENS1_30default_config_static_selectorELNS0_4arch9wavefront6targetE1EEEvT1_.kd
    .uniform_work_group_size: 1
    .uses_dynamic_stack: false
    .vgpr_count:     0
    .vgpr_spill_count: 0
    .wavefront_size: 64
  - .agpr_count:     0
    .args:
      - .offset:         0
        .size:           136
        .value_kind:     by_value
    .group_segment_fixed_size: 0
    .kernarg_segment_align: 8
    .kernarg_segment_size: 136
    .language:       OpenCL C
    .language_version:
      - 2
      - 0
    .max_flat_workgroup_size: 256
    .name:           _ZN7rocprim17ROCPRIM_400000_NS6detail17trampoline_kernelINS0_14default_configENS1_25partition_config_selectorILNS1_17partition_subalgoE8ElNS0_10empty_typeEbEEZZNS1_14partition_implILS5_8ELb0ES3_jPlPS6_PKS6_NS0_5tupleIJS9_S6_EEENSD_IJSA_SA_EEENS0_18inequality_wrapperIZN2at6native12_GLOBAL__N_124unique_dim_cuda_templateIN3c104HalfEEESt5tupleIJNSH_6TensorESO_SO_EERKSO_lbbbEUlllE0_EEPmJS6_EEE10hipError_tPvRmT3_T4_T5_T6_T7_T9_mT8_P12ihipStream_tbDpT10_ENKUlT_T0_E_clISt17integral_constantIbLb0EES1D_IbLb1EEEEDaS19_S1A_EUlS19_E_NS1_11comp_targetILNS1_3genE2ELNS1_11target_archE906ELNS1_3gpuE6ELNS1_3repE0EEENS1_30default_config_static_selectorELNS0_4arch9wavefront6targetE1EEEvT1_
    .private_segment_fixed_size: 0
    .sgpr_count:     6
    .sgpr_spill_count: 0
    .symbol:         _ZN7rocprim17ROCPRIM_400000_NS6detail17trampoline_kernelINS0_14default_configENS1_25partition_config_selectorILNS1_17partition_subalgoE8ElNS0_10empty_typeEbEEZZNS1_14partition_implILS5_8ELb0ES3_jPlPS6_PKS6_NS0_5tupleIJS9_S6_EEENSD_IJSA_SA_EEENS0_18inequality_wrapperIZN2at6native12_GLOBAL__N_124unique_dim_cuda_templateIN3c104HalfEEESt5tupleIJNSH_6TensorESO_SO_EERKSO_lbbbEUlllE0_EEPmJS6_EEE10hipError_tPvRmT3_T4_T5_T6_T7_T9_mT8_P12ihipStream_tbDpT10_ENKUlT_T0_E_clISt17integral_constantIbLb0EES1D_IbLb1EEEEDaS19_S1A_EUlS19_E_NS1_11comp_targetILNS1_3genE2ELNS1_11target_archE906ELNS1_3gpuE6ELNS1_3repE0EEENS1_30default_config_static_selectorELNS0_4arch9wavefront6targetE1EEEvT1_.kd
    .uniform_work_group_size: 1
    .uses_dynamic_stack: false
    .vgpr_count:     0
    .vgpr_spill_count: 0
    .wavefront_size: 64
  - .agpr_count:     0
    .args:
      - .offset:         0
        .size:           136
        .value_kind:     by_value
    .group_segment_fixed_size: 0
    .kernarg_segment_align: 8
    .kernarg_segment_size: 136
    .language:       OpenCL C
    .language_version:
      - 2
      - 0
    .max_flat_workgroup_size: 384
    .name:           _ZN7rocprim17ROCPRIM_400000_NS6detail17trampoline_kernelINS0_14default_configENS1_25partition_config_selectorILNS1_17partition_subalgoE8ElNS0_10empty_typeEbEEZZNS1_14partition_implILS5_8ELb0ES3_jPlPS6_PKS6_NS0_5tupleIJS9_S6_EEENSD_IJSA_SA_EEENS0_18inequality_wrapperIZN2at6native12_GLOBAL__N_124unique_dim_cuda_templateIN3c104HalfEEESt5tupleIJNSH_6TensorESO_SO_EERKSO_lbbbEUlllE0_EEPmJS6_EEE10hipError_tPvRmT3_T4_T5_T6_T7_T9_mT8_P12ihipStream_tbDpT10_ENKUlT_T0_E_clISt17integral_constantIbLb0EES1D_IbLb1EEEEDaS19_S1A_EUlS19_E_NS1_11comp_targetILNS1_3genE10ELNS1_11target_archE1200ELNS1_3gpuE4ELNS1_3repE0EEENS1_30default_config_static_selectorELNS0_4arch9wavefront6targetE1EEEvT1_
    .private_segment_fixed_size: 0
    .sgpr_count:     6
    .sgpr_spill_count: 0
    .symbol:         _ZN7rocprim17ROCPRIM_400000_NS6detail17trampoline_kernelINS0_14default_configENS1_25partition_config_selectorILNS1_17partition_subalgoE8ElNS0_10empty_typeEbEEZZNS1_14partition_implILS5_8ELb0ES3_jPlPS6_PKS6_NS0_5tupleIJS9_S6_EEENSD_IJSA_SA_EEENS0_18inequality_wrapperIZN2at6native12_GLOBAL__N_124unique_dim_cuda_templateIN3c104HalfEEESt5tupleIJNSH_6TensorESO_SO_EERKSO_lbbbEUlllE0_EEPmJS6_EEE10hipError_tPvRmT3_T4_T5_T6_T7_T9_mT8_P12ihipStream_tbDpT10_ENKUlT_T0_E_clISt17integral_constantIbLb0EES1D_IbLb1EEEEDaS19_S1A_EUlS19_E_NS1_11comp_targetILNS1_3genE10ELNS1_11target_archE1200ELNS1_3gpuE4ELNS1_3repE0EEENS1_30default_config_static_selectorELNS0_4arch9wavefront6targetE1EEEvT1_.kd
    .uniform_work_group_size: 1
    .uses_dynamic_stack: false
    .vgpr_count:     0
    .vgpr_spill_count: 0
    .wavefront_size: 64
  - .agpr_count:     0
    .args:
      - .offset:         0
        .size:           136
        .value_kind:     by_value
    .group_segment_fixed_size: 0
    .kernarg_segment_align: 8
    .kernarg_segment_size: 136
    .language:       OpenCL C
    .language_version:
      - 2
      - 0
    .max_flat_workgroup_size: 512
    .name:           _ZN7rocprim17ROCPRIM_400000_NS6detail17trampoline_kernelINS0_14default_configENS1_25partition_config_selectorILNS1_17partition_subalgoE8ElNS0_10empty_typeEbEEZZNS1_14partition_implILS5_8ELb0ES3_jPlPS6_PKS6_NS0_5tupleIJS9_S6_EEENSD_IJSA_SA_EEENS0_18inequality_wrapperIZN2at6native12_GLOBAL__N_124unique_dim_cuda_templateIN3c104HalfEEESt5tupleIJNSH_6TensorESO_SO_EERKSO_lbbbEUlllE0_EEPmJS6_EEE10hipError_tPvRmT3_T4_T5_T6_T7_T9_mT8_P12ihipStream_tbDpT10_ENKUlT_T0_E_clISt17integral_constantIbLb0EES1D_IbLb1EEEEDaS19_S1A_EUlS19_E_NS1_11comp_targetILNS1_3genE9ELNS1_11target_archE1100ELNS1_3gpuE3ELNS1_3repE0EEENS1_30default_config_static_selectorELNS0_4arch9wavefront6targetE1EEEvT1_
    .private_segment_fixed_size: 0
    .sgpr_count:     6
    .sgpr_spill_count: 0
    .symbol:         _ZN7rocprim17ROCPRIM_400000_NS6detail17trampoline_kernelINS0_14default_configENS1_25partition_config_selectorILNS1_17partition_subalgoE8ElNS0_10empty_typeEbEEZZNS1_14partition_implILS5_8ELb0ES3_jPlPS6_PKS6_NS0_5tupleIJS9_S6_EEENSD_IJSA_SA_EEENS0_18inequality_wrapperIZN2at6native12_GLOBAL__N_124unique_dim_cuda_templateIN3c104HalfEEESt5tupleIJNSH_6TensorESO_SO_EERKSO_lbbbEUlllE0_EEPmJS6_EEE10hipError_tPvRmT3_T4_T5_T6_T7_T9_mT8_P12ihipStream_tbDpT10_ENKUlT_T0_E_clISt17integral_constantIbLb0EES1D_IbLb1EEEEDaS19_S1A_EUlS19_E_NS1_11comp_targetILNS1_3genE9ELNS1_11target_archE1100ELNS1_3gpuE3ELNS1_3repE0EEENS1_30default_config_static_selectorELNS0_4arch9wavefront6targetE1EEEvT1_.kd
    .uniform_work_group_size: 1
    .uses_dynamic_stack: false
    .vgpr_count:     0
    .vgpr_spill_count: 0
    .wavefront_size: 64
  - .agpr_count:     0
    .args:
      - .offset:         0
        .size:           136
        .value_kind:     by_value
    .group_segment_fixed_size: 0
    .kernarg_segment_align: 8
    .kernarg_segment_size: 136
    .language:       OpenCL C
    .language_version:
      - 2
      - 0
    .max_flat_workgroup_size: 512
    .name:           _ZN7rocprim17ROCPRIM_400000_NS6detail17trampoline_kernelINS0_14default_configENS1_25partition_config_selectorILNS1_17partition_subalgoE8ElNS0_10empty_typeEbEEZZNS1_14partition_implILS5_8ELb0ES3_jPlPS6_PKS6_NS0_5tupleIJS9_S6_EEENSD_IJSA_SA_EEENS0_18inequality_wrapperIZN2at6native12_GLOBAL__N_124unique_dim_cuda_templateIN3c104HalfEEESt5tupleIJNSH_6TensorESO_SO_EERKSO_lbbbEUlllE0_EEPmJS6_EEE10hipError_tPvRmT3_T4_T5_T6_T7_T9_mT8_P12ihipStream_tbDpT10_ENKUlT_T0_E_clISt17integral_constantIbLb0EES1D_IbLb1EEEEDaS19_S1A_EUlS19_E_NS1_11comp_targetILNS1_3genE8ELNS1_11target_archE1030ELNS1_3gpuE2ELNS1_3repE0EEENS1_30default_config_static_selectorELNS0_4arch9wavefront6targetE1EEEvT1_
    .private_segment_fixed_size: 0
    .sgpr_count:     6
    .sgpr_spill_count: 0
    .symbol:         _ZN7rocprim17ROCPRIM_400000_NS6detail17trampoline_kernelINS0_14default_configENS1_25partition_config_selectorILNS1_17partition_subalgoE8ElNS0_10empty_typeEbEEZZNS1_14partition_implILS5_8ELb0ES3_jPlPS6_PKS6_NS0_5tupleIJS9_S6_EEENSD_IJSA_SA_EEENS0_18inequality_wrapperIZN2at6native12_GLOBAL__N_124unique_dim_cuda_templateIN3c104HalfEEESt5tupleIJNSH_6TensorESO_SO_EERKSO_lbbbEUlllE0_EEPmJS6_EEE10hipError_tPvRmT3_T4_T5_T6_T7_T9_mT8_P12ihipStream_tbDpT10_ENKUlT_T0_E_clISt17integral_constantIbLb0EES1D_IbLb1EEEEDaS19_S1A_EUlS19_E_NS1_11comp_targetILNS1_3genE8ELNS1_11target_archE1030ELNS1_3gpuE2ELNS1_3repE0EEENS1_30default_config_static_selectorELNS0_4arch9wavefront6targetE1EEEvT1_.kd
    .uniform_work_group_size: 1
    .uses_dynamic_stack: false
    .vgpr_count:     0
    .vgpr_spill_count: 0
    .wavefront_size: 64
  - .agpr_count:     0
    .args:
      - .offset:         0
        .size:           120
        .value_kind:     by_value
    .group_segment_fixed_size: 5128
    .kernarg_segment_align: 8
    .kernarg_segment_size: 120
    .language:       OpenCL C
    .language_version:
      - 2
      - 0
    .max_flat_workgroup_size: 128
    .name:           _ZN7rocprim17ROCPRIM_400000_NS6detail17trampoline_kernelINS0_14default_configENS1_25partition_config_selectorILNS1_17partition_subalgoE9EllbEEZZNS1_14partition_implILS5_9ELb0ES3_jPlS8_PNS0_10empty_typeENS0_5tupleIJS8_S9_EEENSB_IJS8_SA_EEENS0_18inequality_wrapperIZN2at6native12_GLOBAL__N_124unique_dim_cuda_templateIN3c104HalfEEESt5tupleIJNSF_6TensorESM_SM_EERKSM_lbbbEUlllE0_EEPmJS9_EEE10hipError_tPvRmT3_T4_T5_T6_T7_T9_mT8_P12ihipStream_tbDpT10_ENKUlT_T0_E_clISt17integral_constantIbLb0EES1C_EEDaS17_S18_EUlS17_E_NS1_11comp_targetILNS1_3genE0ELNS1_11target_archE4294967295ELNS1_3gpuE0ELNS1_3repE0EEENS1_30default_config_static_selectorELNS0_4arch9wavefront6targetE1EEEvT1_
    .private_segment_fixed_size: 0
    .sgpr_count:     52
    .sgpr_spill_count: 0
    .symbol:         _ZN7rocprim17ROCPRIM_400000_NS6detail17trampoline_kernelINS0_14default_configENS1_25partition_config_selectorILNS1_17partition_subalgoE9EllbEEZZNS1_14partition_implILS5_9ELb0ES3_jPlS8_PNS0_10empty_typeENS0_5tupleIJS8_S9_EEENSB_IJS8_SA_EEENS0_18inequality_wrapperIZN2at6native12_GLOBAL__N_124unique_dim_cuda_templateIN3c104HalfEEESt5tupleIJNSF_6TensorESM_SM_EERKSM_lbbbEUlllE0_EEPmJS9_EEE10hipError_tPvRmT3_T4_T5_T6_T7_T9_mT8_P12ihipStream_tbDpT10_ENKUlT_T0_E_clISt17integral_constantIbLb0EES1C_EEDaS17_S18_EUlS17_E_NS1_11comp_targetILNS1_3genE0ELNS1_11target_archE4294967295ELNS1_3gpuE0ELNS1_3repE0EEENS1_30default_config_static_selectorELNS0_4arch9wavefront6targetE1EEEvT1_.kd
    .uniform_work_group_size: 1
    .uses_dynamic_stack: false
    .vgpr_count:     60
    .vgpr_spill_count: 0
    .wavefront_size: 64
  - .agpr_count:     0
    .args:
      - .offset:         0
        .size:           120
        .value_kind:     by_value
    .group_segment_fixed_size: 0
    .kernarg_segment_align: 8
    .kernarg_segment_size: 120
    .language:       OpenCL C
    .language_version:
      - 2
      - 0
    .max_flat_workgroup_size: 512
    .name:           _ZN7rocprim17ROCPRIM_400000_NS6detail17trampoline_kernelINS0_14default_configENS1_25partition_config_selectorILNS1_17partition_subalgoE9EllbEEZZNS1_14partition_implILS5_9ELb0ES3_jPlS8_PNS0_10empty_typeENS0_5tupleIJS8_S9_EEENSB_IJS8_SA_EEENS0_18inequality_wrapperIZN2at6native12_GLOBAL__N_124unique_dim_cuda_templateIN3c104HalfEEESt5tupleIJNSF_6TensorESM_SM_EERKSM_lbbbEUlllE0_EEPmJS9_EEE10hipError_tPvRmT3_T4_T5_T6_T7_T9_mT8_P12ihipStream_tbDpT10_ENKUlT_T0_E_clISt17integral_constantIbLb0EES1C_EEDaS17_S18_EUlS17_E_NS1_11comp_targetILNS1_3genE5ELNS1_11target_archE942ELNS1_3gpuE9ELNS1_3repE0EEENS1_30default_config_static_selectorELNS0_4arch9wavefront6targetE1EEEvT1_
    .private_segment_fixed_size: 0
    .sgpr_count:     6
    .sgpr_spill_count: 0
    .symbol:         _ZN7rocprim17ROCPRIM_400000_NS6detail17trampoline_kernelINS0_14default_configENS1_25partition_config_selectorILNS1_17partition_subalgoE9EllbEEZZNS1_14partition_implILS5_9ELb0ES3_jPlS8_PNS0_10empty_typeENS0_5tupleIJS8_S9_EEENSB_IJS8_SA_EEENS0_18inequality_wrapperIZN2at6native12_GLOBAL__N_124unique_dim_cuda_templateIN3c104HalfEEESt5tupleIJNSF_6TensorESM_SM_EERKSM_lbbbEUlllE0_EEPmJS9_EEE10hipError_tPvRmT3_T4_T5_T6_T7_T9_mT8_P12ihipStream_tbDpT10_ENKUlT_T0_E_clISt17integral_constantIbLb0EES1C_EEDaS17_S18_EUlS17_E_NS1_11comp_targetILNS1_3genE5ELNS1_11target_archE942ELNS1_3gpuE9ELNS1_3repE0EEENS1_30default_config_static_selectorELNS0_4arch9wavefront6targetE1EEEvT1_.kd
    .uniform_work_group_size: 1
    .uses_dynamic_stack: false
    .vgpr_count:     0
    .vgpr_spill_count: 0
    .wavefront_size: 64
  - .agpr_count:     0
    .args:
      - .offset:         0
        .size:           120
        .value_kind:     by_value
    .group_segment_fixed_size: 0
    .kernarg_segment_align: 8
    .kernarg_segment_size: 120
    .language:       OpenCL C
    .language_version:
      - 2
      - 0
    .max_flat_workgroup_size: 128
    .name:           _ZN7rocprim17ROCPRIM_400000_NS6detail17trampoline_kernelINS0_14default_configENS1_25partition_config_selectorILNS1_17partition_subalgoE9EllbEEZZNS1_14partition_implILS5_9ELb0ES3_jPlS8_PNS0_10empty_typeENS0_5tupleIJS8_S9_EEENSB_IJS8_SA_EEENS0_18inequality_wrapperIZN2at6native12_GLOBAL__N_124unique_dim_cuda_templateIN3c104HalfEEESt5tupleIJNSF_6TensorESM_SM_EERKSM_lbbbEUlllE0_EEPmJS9_EEE10hipError_tPvRmT3_T4_T5_T6_T7_T9_mT8_P12ihipStream_tbDpT10_ENKUlT_T0_E_clISt17integral_constantIbLb0EES1C_EEDaS17_S18_EUlS17_E_NS1_11comp_targetILNS1_3genE4ELNS1_11target_archE910ELNS1_3gpuE8ELNS1_3repE0EEENS1_30default_config_static_selectorELNS0_4arch9wavefront6targetE1EEEvT1_
    .private_segment_fixed_size: 0
    .sgpr_count:     6
    .sgpr_spill_count: 0
    .symbol:         _ZN7rocprim17ROCPRIM_400000_NS6detail17trampoline_kernelINS0_14default_configENS1_25partition_config_selectorILNS1_17partition_subalgoE9EllbEEZZNS1_14partition_implILS5_9ELb0ES3_jPlS8_PNS0_10empty_typeENS0_5tupleIJS8_S9_EEENSB_IJS8_SA_EEENS0_18inequality_wrapperIZN2at6native12_GLOBAL__N_124unique_dim_cuda_templateIN3c104HalfEEESt5tupleIJNSF_6TensorESM_SM_EERKSM_lbbbEUlllE0_EEPmJS9_EEE10hipError_tPvRmT3_T4_T5_T6_T7_T9_mT8_P12ihipStream_tbDpT10_ENKUlT_T0_E_clISt17integral_constantIbLb0EES1C_EEDaS17_S18_EUlS17_E_NS1_11comp_targetILNS1_3genE4ELNS1_11target_archE910ELNS1_3gpuE8ELNS1_3repE0EEENS1_30default_config_static_selectorELNS0_4arch9wavefront6targetE1EEEvT1_.kd
    .uniform_work_group_size: 1
    .uses_dynamic_stack: false
    .vgpr_count:     0
    .vgpr_spill_count: 0
    .wavefront_size: 64
  - .agpr_count:     0
    .args:
      - .offset:         0
        .size:           120
        .value_kind:     by_value
    .group_segment_fixed_size: 0
    .kernarg_segment_align: 8
    .kernarg_segment_size: 120
    .language:       OpenCL C
    .language_version:
      - 2
      - 0
    .max_flat_workgroup_size: 128
    .name:           _ZN7rocprim17ROCPRIM_400000_NS6detail17trampoline_kernelINS0_14default_configENS1_25partition_config_selectorILNS1_17partition_subalgoE9EllbEEZZNS1_14partition_implILS5_9ELb0ES3_jPlS8_PNS0_10empty_typeENS0_5tupleIJS8_S9_EEENSB_IJS8_SA_EEENS0_18inequality_wrapperIZN2at6native12_GLOBAL__N_124unique_dim_cuda_templateIN3c104HalfEEESt5tupleIJNSF_6TensorESM_SM_EERKSM_lbbbEUlllE0_EEPmJS9_EEE10hipError_tPvRmT3_T4_T5_T6_T7_T9_mT8_P12ihipStream_tbDpT10_ENKUlT_T0_E_clISt17integral_constantIbLb0EES1C_EEDaS17_S18_EUlS17_E_NS1_11comp_targetILNS1_3genE3ELNS1_11target_archE908ELNS1_3gpuE7ELNS1_3repE0EEENS1_30default_config_static_selectorELNS0_4arch9wavefront6targetE1EEEvT1_
    .private_segment_fixed_size: 0
    .sgpr_count:     6
    .sgpr_spill_count: 0
    .symbol:         _ZN7rocprim17ROCPRIM_400000_NS6detail17trampoline_kernelINS0_14default_configENS1_25partition_config_selectorILNS1_17partition_subalgoE9EllbEEZZNS1_14partition_implILS5_9ELb0ES3_jPlS8_PNS0_10empty_typeENS0_5tupleIJS8_S9_EEENSB_IJS8_SA_EEENS0_18inequality_wrapperIZN2at6native12_GLOBAL__N_124unique_dim_cuda_templateIN3c104HalfEEESt5tupleIJNSF_6TensorESM_SM_EERKSM_lbbbEUlllE0_EEPmJS9_EEE10hipError_tPvRmT3_T4_T5_T6_T7_T9_mT8_P12ihipStream_tbDpT10_ENKUlT_T0_E_clISt17integral_constantIbLb0EES1C_EEDaS17_S18_EUlS17_E_NS1_11comp_targetILNS1_3genE3ELNS1_11target_archE908ELNS1_3gpuE7ELNS1_3repE0EEENS1_30default_config_static_selectorELNS0_4arch9wavefront6targetE1EEEvT1_.kd
    .uniform_work_group_size: 1
    .uses_dynamic_stack: false
    .vgpr_count:     0
    .vgpr_spill_count: 0
    .wavefront_size: 64
  - .agpr_count:     0
    .args:
      - .offset:         0
        .size:           120
        .value_kind:     by_value
    .group_segment_fixed_size: 0
    .kernarg_segment_align: 8
    .kernarg_segment_size: 120
    .language:       OpenCL C
    .language_version:
      - 2
      - 0
    .max_flat_workgroup_size: 192
    .name:           _ZN7rocprim17ROCPRIM_400000_NS6detail17trampoline_kernelINS0_14default_configENS1_25partition_config_selectorILNS1_17partition_subalgoE9EllbEEZZNS1_14partition_implILS5_9ELb0ES3_jPlS8_PNS0_10empty_typeENS0_5tupleIJS8_S9_EEENSB_IJS8_SA_EEENS0_18inequality_wrapperIZN2at6native12_GLOBAL__N_124unique_dim_cuda_templateIN3c104HalfEEESt5tupleIJNSF_6TensorESM_SM_EERKSM_lbbbEUlllE0_EEPmJS9_EEE10hipError_tPvRmT3_T4_T5_T6_T7_T9_mT8_P12ihipStream_tbDpT10_ENKUlT_T0_E_clISt17integral_constantIbLb0EES1C_EEDaS17_S18_EUlS17_E_NS1_11comp_targetILNS1_3genE2ELNS1_11target_archE906ELNS1_3gpuE6ELNS1_3repE0EEENS1_30default_config_static_selectorELNS0_4arch9wavefront6targetE1EEEvT1_
    .private_segment_fixed_size: 0
    .sgpr_count:     6
    .sgpr_spill_count: 0
    .symbol:         _ZN7rocprim17ROCPRIM_400000_NS6detail17trampoline_kernelINS0_14default_configENS1_25partition_config_selectorILNS1_17partition_subalgoE9EllbEEZZNS1_14partition_implILS5_9ELb0ES3_jPlS8_PNS0_10empty_typeENS0_5tupleIJS8_S9_EEENSB_IJS8_SA_EEENS0_18inequality_wrapperIZN2at6native12_GLOBAL__N_124unique_dim_cuda_templateIN3c104HalfEEESt5tupleIJNSF_6TensorESM_SM_EERKSM_lbbbEUlllE0_EEPmJS9_EEE10hipError_tPvRmT3_T4_T5_T6_T7_T9_mT8_P12ihipStream_tbDpT10_ENKUlT_T0_E_clISt17integral_constantIbLb0EES1C_EEDaS17_S18_EUlS17_E_NS1_11comp_targetILNS1_3genE2ELNS1_11target_archE906ELNS1_3gpuE6ELNS1_3repE0EEENS1_30default_config_static_selectorELNS0_4arch9wavefront6targetE1EEEvT1_.kd
    .uniform_work_group_size: 1
    .uses_dynamic_stack: false
    .vgpr_count:     0
    .vgpr_spill_count: 0
    .wavefront_size: 64
  - .agpr_count:     0
    .args:
      - .offset:         0
        .size:           120
        .value_kind:     by_value
    .group_segment_fixed_size: 0
    .kernarg_segment_align: 8
    .kernarg_segment_size: 120
    .language:       OpenCL C
    .language_version:
      - 2
      - 0
    .max_flat_workgroup_size: 384
    .name:           _ZN7rocprim17ROCPRIM_400000_NS6detail17trampoline_kernelINS0_14default_configENS1_25partition_config_selectorILNS1_17partition_subalgoE9EllbEEZZNS1_14partition_implILS5_9ELb0ES3_jPlS8_PNS0_10empty_typeENS0_5tupleIJS8_S9_EEENSB_IJS8_SA_EEENS0_18inequality_wrapperIZN2at6native12_GLOBAL__N_124unique_dim_cuda_templateIN3c104HalfEEESt5tupleIJNSF_6TensorESM_SM_EERKSM_lbbbEUlllE0_EEPmJS9_EEE10hipError_tPvRmT3_T4_T5_T6_T7_T9_mT8_P12ihipStream_tbDpT10_ENKUlT_T0_E_clISt17integral_constantIbLb0EES1C_EEDaS17_S18_EUlS17_E_NS1_11comp_targetILNS1_3genE10ELNS1_11target_archE1200ELNS1_3gpuE4ELNS1_3repE0EEENS1_30default_config_static_selectorELNS0_4arch9wavefront6targetE1EEEvT1_
    .private_segment_fixed_size: 0
    .sgpr_count:     6
    .sgpr_spill_count: 0
    .symbol:         _ZN7rocprim17ROCPRIM_400000_NS6detail17trampoline_kernelINS0_14default_configENS1_25partition_config_selectorILNS1_17partition_subalgoE9EllbEEZZNS1_14partition_implILS5_9ELb0ES3_jPlS8_PNS0_10empty_typeENS0_5tupleIJS8_S9_EEENSB_IJS8_SA_EEENS0_18inequality_wrapperIZN2at6native12_GLOBAL__N_124unique_dim_cuda_templateIN3c104HalfEEESt5tupleIJNSF_6TensorESM_SM_EERKSM_lbbbEUlllE0_EEPmJS9_EEE10hipError_tPvRmT3_T4_T5_T6_T7_T9_mT8_P12ihipStream_tbDpT10_ENKUlT_T0_E_clISt17integral_constantIbLb0EES1C_EEDaS17_S18_EUlS17_E_NS1_11comp_targetILNS1_3genE10ELNS1_11target_archE1200ELNS1_3gpuE4ELNS1_3repE0EEENS1_30default_config_static_selectorELNS0_4arch9wavefront6targetE1EEEvT1_.kd
    .uniform_work_group_size: 1
    .uses_dynamic_stack: false
    .vgpr_count:     0
    .vgpr_spill_count: 0
    .wavefront_size: 64
  - .agpr_count:     0
    .args:
      - .offset:         0
        .size:           120
        .value_kind:     by_value
    .group_segment_fixed_size: 0
    .kernarg_segment_align: 8
    .kernarg_segment_size: 120
    .language:       OpenCL C
    .language_version:
      - 2
      - 0
    .max_flat_workgroup_size: 512
    .name:           _ZN7rocprim17ROCPRIM_400000_NS6detail17trampoline_kernelINS0_14default_configENS1_25partition_config_selectorILNS1_17partition_subalgoE9EllbEEZZNS1_14partition_implILS5_9ELb0ES3_jPlS8_PNS0_10empty_typeENS0_5tupleIJS8_S9_EEENSB_IJS8_SA_EEENS0_18inequality_wrapperIZN2at6native12_GLOBAL__N_124unique_dim_cuda_templateIN3c104HalfEEESt5tupleIJNSF_6TensorESM_SM_EERKSM_lbbbEUlllE0_EEPmJS9_EEE10hipError_tPvRmT3_T4_T5_T6_T7_T9_mT8_P12ihipStream_tbDpT10_ENKUlT_T0_E_clISt17integral_constantIbLb0EES1C_EEDaS17_S18_EUlS17_E_NS1_11comp_targetILNS1_3genE9ELNS1_11target_archE1100ELNS1_3gpuE3ELNS1_3repE0EEENS1_30default_config_static_selectorELNS0_4arch9wavefront6targetE1EEEvT1_
    .private_segment_fixed_size: 0
    .sgpr_count:     6
    .sgpr_spill_count: 0
    .symbol:         _ZN7rocprim17ROCPRIM_400000_NS6detail17trampoline_kernelINS0_14default_configENS1_25partition_config_selectorILNS1_17partition_subalgoE9EllbEEZZNS1_14partition_implILS5_9ELb0ES3_jPlS8_PNS0_10empty_typeENS0_5tupleIJS8_S9_EEENSB_IJS8_SA_EEENS0_18inequality_wrapperIZN2at6native12_GLOBAL__N_124unique_dim_cuda_templateIN3c104HalfEEESt5tupleIJNSF_6TensorESM_SM_EERKSM_lbbbEUlllE0_EEPmJS9_EEE10hipError_tPvRmT3_T4_T5_T6_T7_T9_mT8_P12ihipStream_tbDpT10_ENKUlT_T0_E_clISt17integral_constantIbLb0EES1C_EEDaS17_S18_EUlS17_E_NS1_11comp_targetILNS1_3genE9ELNS1_11target_archE1100ELNS1_3gpuE3ELNS1_3repE0EEENS1_30default_config_static_selectorELNS0_4arch9wavefront6targetE1EEEvT1_.kd
    .uniform_work_group_size: 1
    .uses_dynamic_stack: false
    .vgpr_count:     0
    .vgpr_spill_count: 0
    .wavefront_size: 64
  - .agpr_count:     0
    .args:
      - .offset:         0
        .size:           120
        .value_kind:     by_value
    .group_segment_fixed_size: 0
    .kernarg_segment_align: 8
    .kernarg_segment_size: 120
    .language:       OpenCL C
    .language_version:
      - 2
      - 0
    .max_flat_workgroup_size: 512
    .name:           _ZN7rocprim17ROCPRIM_400000_NS6detail17trampoline_kernelINS0_14default_configENS1_25partition_config_selectorILNS1_17partition_subalgoE9EllbEEZZNS1_14partition_implILS5_9ELb0ES3_jPlS8_PNS0_10empty_typeENS0_5tupleIJS8_S9_EEENSB_IJS8_SA_EEENS0_18inequality_wrapperIZN2at6native12_GLOBAL__N_124unique_dim_cuda_templateIN3c104HalfEEESt5tupleIJNSF_6TensorESM_SM_EERKSM_lbbbEUlllE0_EEPmJS9_EEE10hipError_tPvRmT3_T4_T5_T6_T7_T9_mT8_P12ihipStream_tbDpT10_ENKUlT_T0_E_clISt17integral_constantIbLb0EES1C_EEDaS17_S18_EUlS17_E_NS1_11comp_targetILNS1_3genE8ELNS1_11target_archE1030ELNS1_3gpuE2ELNS1_3repE0EEENS1_30default_config_static_selectorELNS0_4arch9wavefront6targetE1EEEvT1_
    .private_segment_fixed_size: 0
    .sgpr_count:     6
    .sgpr_spill_count: 0
    .symbol:         _ZN7rocprim17ROCPRIM_400000_NS6detail17trampoline_kernelINS0_14default_configENS1_25partition_config_selectorILNS1_17partition_subalgoE9EllbEEZZNS1_14partition_implILS5_9ELb0ES3_jPlS8_PNS0_10empty_typeENS0_5tupleIJS8_S9_EEENSB_IJS8_SA_EEENS0_18inequality_wrapperIZN2at6native12_GLOBAL__N_124unique_dim_cuda_templateIN3c104HalfEEESt5tupleIJNSF_6TensorESM_SM_EERKSM_lbbbEUlllE0_EEPmJS9_EEE10hipError_tPvRmT3_T4_T5_T6_T7_T9_mT8_P12ihipStream_tbDpT10_ENKUlT_T0_E_clISt17integral_constantIbLb0EES1C_EEDaS17_S18_EUlS17_E_NS1_11comp_targetILNS1_3genE8ELNS1_11target_archE1030ELNS1_3gpuE2ELNS1_3repE0EEENS1_30default_config_static_selectorELNS0_4arch9wavefront6targetE1EEEvT1_.kd
    .uniform_work_group_size: 1
    .uses_dynamic_stack: false
    .vgpr_count:     0
    .vgpr_spill_count: 0
    .wavefront_size: 64
  - .agpr_count:     0
    .args:
      - .offset:         0
        .size:           136
        .value_kind:     by_value
    .group_segment_fixed_size: 0
    .kernarg_segment_align: 8
    .kernarg_segment_size: 136
    .language:       OpenCL C
    .language_version:
      - 2
      - 0
    .max_flat_workgroup_size: 128
    .name:           _ZN7rocprim17ROCPRIM_400000_NS6detail17trampoline_kernelINS0_14default_configENS1_25partition_config_selectorILNS1_17partition_subalgoE9EllbEEZZNS1_14partition_implILS5_9ELb0ES3_jPlS8_PNS0_10empty_typeENS0_5tupleIJS8_S9_EEENSB_IJS8_SA_EEENS0_18inequality_wrapperIZN2at6native12_GLOBAL__N_124unique_dim_cuda_templateIN3c104HalfEEESt5tupleIJNSF_6TensorESM_SM_EERKSM_lbbbEUlllE0_EEPmJS9_EEE10hipError_tPvRmT3_T4_T5_T6_T7_T9_mT8_P12ihipStream_tbDpT10_ENKUlT_T0_E_clISt17integral_constantIbLb1EES1C_EEDaS17_S18_EUlS17_E_NS1_11comp_targetILNS1_3genE0ELNS1_11target_archE4294967295ELNS1_3gpuE0ELNS1_3repE0EEENS1_30default_config_static_selectorELNS0_4arch9wavefront6targetE1EEEvT1_
    .private_segment_fixed_size: 0
    .sgpr_count:     6
    .sgpr_spill_count: 0
    .symbol:         _ZN7rocprim17ROCPRIM_400000_NS6detail17trampoline_kernelINS0_14default_configENS1_25partition_config_selectorILNS1_17partition_subalgoE9EllbEEZZNS1_14partition_implILS5_9ELb0ES3_jPlS8_PNS0_10empty_typeENS0_5tupleIJS8_S9_EEENSB_IJS8_SA_EEENS0_18inequality_wrapperIZN2at6native12_GLOBAL__N_124unique_dim_cuda_templateIN3c104HalfEEESt5tupleIJNSF_6TensorESM_SM_EERKSM_lbbbEUlllE0_EEPmJS9_EEE10hipError_tPvRmT3_T4_T5_T6_T7_T9_mT8_P12ihipStream_tbDpT10_ENKUlT_T0_E_clISt17integral_constantIbLb1EES1C_EEDaS17_S18_EUlS17_E_NS1_11comp_targetILNS1_3genE0ELNS1_11target_archE4294967295ELNS1_3gpuE0ELNS1_3repE0EEENS1_30default_config_static_selectorELNS0_4arch9wavefront6targetE1EEEvT1_.kd
    .uniform_work_group_size: 1
    .uses_dynamic_stack: false
    .vgpr_count:     0
    .vgpr_spill_count: 0
    .wavefront_size: 64
  - .agpr_count:     0
    .args:
      - .offset:         0
        .size:           136
        .value_kind:     by_value
    .group_segment_fixed_size: 0
    .kernarg_segment_align: 8
    .kernarg_segment_size: 136
    .language:       OpenCL C
    .language_version:
      - 2
      - 0
    .max_flat_workgroup_size: 512
    .name:           _ZN7rocprim17ROCPRIM_400000_NS6detail17trampoline_kernelINS0_14default_configENS1_25partition_config_selectorILNS1_17partition_subalgoE9EllbEEZZNS1_14partition_implILS5_9ELb0ES3_jPlS8_PNS0_10empty_typeENS0_5tupleIJS8_S9_EEENSB_IJS8_SA_EEENS0_18inequality_wrapperIZN2at6native12_GLOBAL__N_124unique_dim_cuda_templateIN3c104HalfEEESt5tupleIJNSF_6TensorESM_SM_EERKSM_lbbbEUlllE0_EEPmJS9_EEE10hipError_tPvRmT3_T4_T5_T6_T7_T9_mT8_P12ihipStream_tbDpT10_ENKUlT_T0_E_clISt17integral_constantIbLb1EES1C_EEDaS17_S18_EUlS17_E_NS1_11comp_targetILNS1_3genE5ELNS1_11target_archE942ELNS1_3gpuE9ELNS1_3repE0EEENS1_30default_config_static_selectorELNS0_4arch9wavefront6targetE1EEEvT1_
    .private_segment_fixed_size: 0
    .sgpr_count:     6
    .sgpr_spill_count: 0
    .symbol:         _ZN7rocprim17ROCPRIM_400000_NS6detail17trampoline_kernelINS0_14default_configENS1_25partition_config_selectorILNS1_17partition_subalgoE9EllbEEZZNS1_14partition_implILS5_9ELb0ES3_jPlS8_PNS0_10empty_typeENS0_5tupleIJS8_S9_EEENSB_IJS8_SA_EEENS0_18inequality_wrapperIZN2at6native12_GLOBAL__N_124unique_dim_cuda_templateIN3c104HalfEEESt5tupleIJNSF_6TensorESM_SM_EERKSM_lbbbEUlllE0_EEPmJS9_EEE10hipError_tPvRmT3_T4_T5_T6_T7_T9_mT8_P12ihipStream_tbDpT10_ENKUlT_T0_E_clISt17integral_constantIbLb1EES1C_EEDaS17_S18_EUlS17_E_NS1_11comp_targetILNS1_3genE5ELNS1_11target_archE942ELNS1_3gpuE9ELNS1_3repE0EEENS1_30default_config_static_selectorELNS0_4arch9wavefront6targetE1EEEvT1_.kd
    .uniform_work_group_size: 1
    .uses_dynamic_stack: false
    .vgpr_count:     0
    .vgpr_spill_count: 0
    .wavefront_size: 64
  - .agpr_count:     0
    .args:
      - .offset:         0
        .size:           136
        .value_kind:     by_value
    .group_segment_fixed_size: 0
    .kernarg_segment_align: 8
    .kernarg_segment_size: 136
    .language:       OpenCL C
    .language_version:
      - 2
      - 0
    .max_flat_workgroup_size: 128
    .name:           _ZN7rocprim17ROCPRIM_400000_NS6detail17trampoline_kernelINS0_14default_configENS1_25partition_config_selectorILNS1_17partition_subalgoE9EllbEEZZNS1_14partition_implILS5_9ELb0ES3_jPlS8_PNS0_10empty_typeENS0_5tupleIJS8_S9_EEENSB_IJS8_SA_EEENS0_18inequality_wrapperIZN2at6native12_GLOBAL__N_124unique_dim_cuda_templateIN3c104HalfEEESt5tupleIJNSF_6TensorESM_SM_EERKSM_lbbbEUlllE0_EEPmJS9_EEE10hipError_tPvRmT3_T4_T5_T6_T7_T9_mT8_P12ihipStream_tbDpT10_ENKUlT_T0_E_clISt17integral_constantIbLb1EES1C_EEDaS17_S18_EUlS17_E_NS1_11comp_targetILNS1_3genE4ELNS1_11target_archE910ELNS1_3gpuE8ELNS1_3repE0EEENS1_30default_config_static_selectorELNS0_4arch9wavefront6targetE1EEEvT1_
    .private_segment_fixed_size: 0
    .sgpr_count:     6
    .sgpr_spill_count: 0
    .symbol:         _ZN7rocprim17ROCPRIM_400000_NS6detail17trampoline_kernelINS0_14default_configENS1_25partition_config_selectorILNS1_17partition_subalgoE9EllbEEZZNS1_14partition_implILS5_9ELb0ES3_jPlS8_PNS0_10empty_typeENS0_5tupleIJS8_S9_EEENSB_IJS8_SA_EEENS0_18inequality_wrapperIZN2at6native12_GLOBAL__N_124unique_dim_cuda_templateIN3c104HalfEEESt5tupleIJNSF_6TensorESM_SM_EERKSM_lbbbEUlllE0_EEPmJS9_EEE10hipError_tPvRmT3_T4_T5_T6_T7_T9_mT8_P12ihipStream_tbDpT10_ENKUlT_T0_E_clISt17integral_constantIbLb1EES1C_EEDaS17_S18_EUlS17_E_NS1_11comp_targetILNS1_3genE4ELNS1_11target_archE910ELNS1_3gpuE8ELNS1_3repE0EEENS1_30default_config_static_selectorELNS0_4arch9wavefront6targetE1EEEvT1_.kd
    .uniform_work_group_size: 1
    .uses_dynamic_stack: false
    .vgpr_count:     0
    .vgpr_spill_count: 0
    .wavefront_size: 64
  - .agpr_count:     0
    .args:
      - .offset:         0
        .size:           136
        .value_kind:     by_value
    .group_segment_fixed_size: 0
    .kernarg_segment_align: 8
    .kernarg_segment_size: 136
    .language:       OpenCL C
    .language_version:
      - 2
      - 0
    .max_flat_workgroup_size: 128
    .name:           _ZN7rocprim17ROCPRIM_400000_NS6detail17trampoline_kernelINS0_14default_configENS1_25partition_config_selectorILNS1_17partition_subalgoE9EllbEEZZNS1_14partition_implILS5_9ELb0ES3_jPlS8_PNS0_10empty_typeENS0_5tupleIJS8_S9_EEENSB_IJS8_SA_EEENS0_18inequality_wrapperIZN2at6native12_GLOBAL__N_124unique_dim_cuda_templateIN3c104HalfEEESt5tupleIJNSF_6TensorESM_SM_EERKSM_lbbbEUlllE0_EEPmJS9_EEE10hipError_tPvRmT3_T4_T5_T6_T7_T9_mT8_P12ihipStream_tbDpT10_ENKUlT_T0_E_clISt17integral_constantIbLb1EES1C_EEDaS17_S18_EUlS17_E_NS1_11comp_targetILNS1_3genE3ELNS1_11target_archE908ELNS1_3gpuE7ELNS1_3repE0EEENS1_30default_config_static_selectorELNS0_4arch9wavefront6targetE1EEEvT1_
    .private_segment_fixed_size: 0
    .sgpr_count:     6
    .sgpr_spill_count: 0
    .symbol:         _ZN7rocprim17ROCPRIM_400000_NS6detail17trampoline_kernelINS0_14default_configENS1_25partition_config_selectorILNS1_17partition_subalgoE9EllbEEZZNS1_14partition_implILS5_9ELb0ES3_jPlS8_PNS0_10empty_typeENS0_5tupleIJS8_S9_EEENSB_IJS8_SA_EEENS0_18inequality_wrapperIZN2at6native12_GLOBAL__N_124unique_dim_cuda_templateIN3c104HalfEEESt5tupleIJNSF_6TensorESM_SM_EERKSM_lbbbEUlllE0_EEPmJS9_EEE10hipError_tPvRmT3_T4_T5_T6_T7_T9_mT8_P12ihipStream_tbDpT10_ENKUlT_T0_E_clISt17integral_constantIbLb1EES1C_EEDaS17_S18_EUlS17_E_NS1_11comp_targetILNS1_3genE3ELNS1_11target_archE908ELNS1_3gpuE7ELNS1_3repE0EEENS1_30default_config_static_selectorELNS0_4arch9wavefront6targetE1EEEvT1_.kd
    .uniform_work_group_size: 1
    .uses_dynamic_stack: false
    .vgpr_count:     0
    .vgpr_spill_count: 0
    .wavefront_size: 64
  - .agpr_count:     0
    .args:
      - .offset:         0
        .size:           136
        .value_kind:     by_value
    .group_segment_fixed_size: 0
    .kernarg_segment_align: 8
    .kernarg_segment_size: 136
    .language:       OpenCL C
    .language_version:
      - 2
      - 0
    .max_flat_workgroup_size: 192
    .name:           _ZN7rocprim17ROCPRIM_400000_NS6detail17trampoline_kernelINS0_14default_configENS1_25partition_config_selectorILNS1_17partition_subalgoE9EllbEEZZNS1_14partition_implILS5_9ELb0ES3_jPlS8_PNS0_10empty_typeENS0_5tupleIJS8_S9_EEENSB_IJS8_SA_EEENS0_18inequality_wrapperIZN2at6native12_GLOBAL__N_124unique_dim_cuda_templateIN3c104HalfEEESt5tupleIJNSF_6TensorESM_SM_EERKSM_lbbbEUlllE0_EEPmJS9_EEE10hipError_tPvRmT3_T4_T5_T6_T7_T9_mT8_P12ihipStream_tbDpT10_ENKUlT_T0_E_clISt17integral_constantIbLb1EES1C_EEDaS17_S18_EUlS17_E_NS1_11comp_targetILNS1_3genE2ELNS1_11target_archE906ELNS1_3gpuE6ELNS1_3repE0EEENS1_30default_config_static_selectorELNS0_4arch9wavefront6targetE1EEEvT1_
    .private_segment_fixed_size: 0
    .sgpr_count:     6
    .sgpr_spill_count: 0
    .symbol:         _ZN7rocprim17ROCPRIM_400000_NS6detail17trampoline_kernelINS0_14default_configENS1_25partition_config_selectorILNS1_17partition_subalgoE9EllbEEZZNS1_14partition_implILS5_9ELb0ES3_jPlS8_PNS0_10empty_typeENS0_5tupleIJS8_S9_EEENSB_IJS8_SA_EEENS0_18inequality_wrapperIZN2at6native12_GLOBAL__N_124unique_dim_cuda_templateIN3c104HalfEEESt5tupleIJNSF_6TensorESM_SM_EERKSM_lbbbEUlllE0_EEPmJS9_EEE10hipError_tPvRmT3_T4_T5_T6_T7_T9_mT8_P12ihipStream_tbDpT10_ENKUlT_T0_E_clISt17integral_constantIbLb1EES1C_EEDaS17_S18_EUlS17_E_NS1_11comp_targetILNS1_3genE2ELNS1_11target_archE906ELNS1_3gpuE6ELNS1_3repE0EEENS1_30default_config_static_selectorELNS0_4arch9wavefront6targetE1EEEvT1_.kd
    .uniform_work_group_size: 1
    .uses_dynamic_stack: false
    .vgpr_count:     0
    .vgpr_spill_count: 0
    .wavefront_size: 64
  - .agpr_count:     0
    .args:
      - .offset:         0
        .size:           136
        .value_kind:     by_value
    .group_segment_fixed_size: 0
    .kernarg_segment_align: 8
    .kernarg_segment_size: 136
    .language:       OpenCL C
    .language_version:
      - 2
      - 0
    .max_flat_workgroup_size: 384
    .name:           _ZN7rocprim17ROCPRIM_400000_NS6detail17trampoline_kernelINS0_14default_configENS1_25partition_config_selectorILNS1_17partition_subalgoE9EllbEEZZNS1_14partition_implILS5_9ELb0ES3_jPlS8_PNS0_10empty_typeENS0_5tupleIJS8_S9_EEENSB_IJS8_SA_EEENS0_18inequality_wrapperIZN2at6native12_GLOBAL__N_124unique_dim_cuda_templateIN3c104HalfEEESt5tupleIJNSF_6TensorESM_SM_EERKSM_lbbbEUlllE0_EEPmJS9_EEE10hipError_tPvRmT3_T4_T5_T6_T7_T9_mT8_P12ihipStream_tbDpT10_ENKUlT_T0_E_clISt17integral_constantIbLb1EES1C_EEDaS17_S18_EUlS17_E_NS1_11comp_targetILNS1_3genE10ELNS1_11target_archE1200ELNS1_3gpuE4ELNS1_3repE0EEENS1_30default_config_static_selectorELNS0_4arch9wavefront6targetE1EEEvT1_
    .private_segment_fixed_size: 0
    .sgpr_count:     6
    .sgpr_spill_count: 0
    .symbol:         _ZN7rocprim17ROCPRIM_400000_NS6detail17trampoline_kernelINS0_14default_configENS1_25partition_config_selectorILNS1_17partition_subalgoE9EllbEEZZNS1_14partition_implILS5_9ELb0ES3_jPlS8_PNS0_10empty_typeENS0_5tupleIJS8_S9_EEENSB_IJS8_SA_EEENS0_18inequality_wrapperIZN2at6native12_GLOBAL__N_124unique_dim_cuda_templateIN3c104HalfEEESt5tupleIJNSF_6TensorESM_SM_EERKSM_lbbbEUlllE0_EEPmJS9_EEE10hipError_tPvRmT3_T4_T5_T6_T7_T9_mT8_P12ihipStream_tbDpT10_ENKUlT_T0_E_clISt17integral_constantIbLb1EES1C_EEDaS17_S18_EUlS17_E_NS1_11comp_targetILNS1_3genE10ELNS1_11target_archE1200ELNS1_3gpuE4ELNS1_3repE0EEENS1_30default_config_static_selectorELNS0_4arch9wavefront6targetE1EEEvT1_.kd
    .uniform_work_group_size: 1
    .uses_dynamic_stack: false
    .vgpr_count:     0
    .vgpr_spill_count: 0
    .wavefront_size: 64
  - .agpr_count:     0
    .args:
      - .offset:         0
        .size:           136
        .value_kind:     by_value
    .group_segment_fixed_size: 0
    .kernarg_segment_align: 8
    .kernarg_segment_size: 136
    .language:       OpenCL C
    .language_version:
      - 2
      - 0
    .max_flat_workgroup_size: 512
    .name:           _ZN7rocprim17ROCPRIM_400000_NS6detail17trampoline_kernelINS0_14default_configENS1_25partition_config_selectorILNS1_17partition_subalgoE9EllbEEZZNS1_14partition_implILS5_9ELb0ES3_jPlS8_PNS0_10empty_typeENS0_5tupleIJS8_S9_EEENSB_IJS8_SA_EEENS0_18inequality_wrapperIZN2at6native12_GLOBAL__N_124unique_dim_cuda_templateIN3c104HalfEEESt5tupleIJNSF_6TensorESM_SM_EERKSM_lbbbEUlllE0_EEPmJS9_EEE10hipError_tPvRmT3_T4_T5_T6_T7_T9_mT8_P12ihipStream_tbDpT10_ENKUlT_T0_E_clISt17integral_constantIbLb1EES1C_EEDaS17_S18_EUlS17_E_NS1_11comp_targetILNS1_3genE9ELNS1_11target_archE1100ELNS1_3gpuE3ELNS1_3repE0EEENS1_30default_config_static_selectorELNS0_4arch9wavefront6targetE1EEEvT1_
    .private_segment_fixed_size: 0
    .sgpr_count:     6
    .sgpr_spill_count: 0
    .symbol:         _ZN7rocprim17ROCPRIM_400000_NS6detail17trampoline_kernelINS0_14default_configENS1_25partition_config_selectorILNS1_17partition_subalgoE9EllbEEZZNS1_14partition_implILS5_9ELb0ES3_jPlS8_PNS0_10empty_typeENS0_5tupleIJS8_S9_EEENSB_IJS8_SA_EEENS0_18inequality_wrapperIZN2at6native12_GLOBAL__N_124unique_dim_cuda_templateIN3c104HalfEEESt5tupleIJNSF_6TensorESM_SM_EERKSM_lbbbEUlllE0_EEPmJS9_EEE10hipError_tPvRmT3_T4_T5_T6_T7_T9_mT8_P12ihipStream_tbDpT10_ENKUlT_T0_E_clISt17integral_constantIbLb1EES1C_EEDaS17_S18_EUlS17_E_NS1_11comp_targetILNS1_3genE9ELNS1_11target_archE1100ELNS1_3gpuE3ELNS1_3repE0EEENS1_30default_config_static_selectorELNS0_4arch9wavefront6targetE1EEEvT1_.kd
    .uniform_work_group_size: 1
    .uses_dynamic_stack: false
    .vgpr_count:     0
    .vgpr_spill_count: 0
    .wavefront_size: 64
  - .agpr_count:     0
    .args:
      - .offset:         0
        .size:           136
        .value_kind:     by_value
    .group_segment_fixed_size: 0
    .kernarg_segment_align: 8
    .kernarg_segment_size: 136
    .language:       OpenCL C
    .language_version:
      - 2
      - 0
    .max_flat_workgroup_size: 512
    .name:           _ZN7rocprim17ROCPRIM_400000_NS6detail17trampoline_kernelINS0_14default_configENS1_25partition_config_selectorILNS1_17partition_subalgoE9EllbEEZZNS1_14partition_implILS5_9ELb0ES3_jPlS8_PNS0_10empty_typeENS0_5tupleIJS8_S9_EEENSB_IJS8_SA_EEENS0_18inequality_wrapperIZN2at6native12_GLOBAL__N_124unique_dim_cuda_templateIN3c104HalfEEESt5tupleIJNSF_6TensorESM_SM_EERKSM_lbbbEUlllE0_EEPmJS9_EEE10hipError_tPvRmT3_T4_T5_T6_T7_T9_mT8_P12ihipStream_tbDpT10_ENKUlT_T0_E_clISt17integral_constantIbLb1EES1C_EEDaS17_S18_EUlS17_E_NS1_11comp_targetILNS1_3genE8ELNS1_11target_archE1030ELNS1_3gpuE2ELNS1_3repE0EEENS1_30default_config_static_selectorELNS0_4arch9wavefront6targetE1EEEvT1_
    .private_segment_fixed_size: 0
    .sgpr_count:     6
    .sgpr_spill_count: 0
    .symbol:         _ZN7rocprim17ROCPRIM_400000_NS6detail17trampoline_kernelINS0_14default_configENS1_25partition_config_selectorILNS1_17partition_subalgoE9EllbEEZZNS1_14partition_implILS5_9ELb0ES3_jPlS8_PNS0_10empty_typeENS0_5tupleIJS8_S9_EEENSB_IJS8_SA_EEENS0_18inequality_wrapperIZN2at6native12_GLOBAL__N_124unique_dim_cuda_templateIN3c104HalfEEESt5tupleIJNSF_6TensorESM_SM_EERKSM_lbbbEUlllE0_EEPmJS9_EEE10hipError_tPvRmT3_T4_T5_T6_T7_T9_mT8_P12ihipStream_tbDpT10_ENKUlT_T0_E_clISt17integral_constantIbLb1EES1C_EEDaS17_S18_EUlS17_E_NS1_11comp_targetILNS1_3genE8ELNS1_11target_archE1030ELNS1_3gpuE2ELNS1_3repE0EEENS1_30default_config_static_selectorELNS0_4arch9wavefront6targetE1EEEvT1_.kd
    .uniform_work_group_size: 1
    .uses_dynamic_stack: false
    .vgpr_count:     0
    .vgpr_spill_count: 0
    .wavefront_size: 64
  - .agpr_count:     0
    .args:
      - .offset:         0
        .size:           120
        .value_kind:     by_value
    .group_segment_fixed_size: 0
    .kernarg_segment_align: 8
    .kernarg_segment_size: 120
    .language:       OpenCL C
    .language_version:
      - 2
      - 0
    .max_flat_workgroup_size: 128
    .name:           _ZN7rocprim17ROCPRIM_400000_NS6detail17trampoline_kernelINS0_14default_configENS1_25partition_config_selectorILNS1_17partition_subalgoE9EllbEEZZNS1_14partition_implILS5_9ELb0ES3_jPlS8_PNS0_10empty_typeENS0_5tupleIJS8_S9_EEENSB_IJS8_SA_EEENS0_18inequality_wrapperIZN2at6native12_GLOBAL__N_124unique_dim_cuda_templateIN3c104HalfEEESt5tupleIJNSF_6TensorESM_SM_EERKSM_lbbbEUlllE0_EEPmJS9_EEE10hipError_tPvRmT3_T4_T5_T6_T7_T9_mT8_P12ihipStream_tbDpT10_ENKUlT_T0_E_clISt17integral_constantIbLb1EES1B_IbLb0EEEEDaS17_S18_EUlS17_E_NS1_11comp_targetILNS1_3genE0ELNS1_11target_archE4294967295ELNS1_3gpuE0ELNS1_3repE0EEENS1_30default_config_static_selectorELNS0_4arch9wavefront6targetE1EEEvT1_
    .private_segment_fixed_size: 0
    .sgpr_count:     6
    .sgpr_spill_count: 0
    .symbol:         _ZN7rocprim17ROCPRIM_400000_NS6detail17trampoline_kernelINS0_14default_configENS1_25partition_config_selectorILNS1_17partition_subalgoE9EllbEEZZNS1_14partition_implILS5_9ELb0ES3_jPlS8_PNS0_10empty_typeENS0_5tupleIJS8_S9_EEENSB_IJS8_SA_EEENS0_18inequality_wrapperIZN2at6native12_GLOBAL__N_124unique_dim_cuda_templateIN3c104HalfEEESt5tupleIJNSF_6TensorESM_SM_EERKSM_lbbbEUlllE0_EEPmJS9_EEE10hipError_tPvRmT3_T4_T5_T6_T7_T9_mT8_P12ihipStream_tbDpT10_ENKUlT_T0_E_clISt17integral_constantIbLb1EES1B_IbLb0EEEEDaS17_S18_EUlS17_E_NS1_11comp_targetILNS1_3genE0ELNS1_11target_archE4294967295ELNS1_3gpuE0ELNS1_3repE0EEENS1_30default_config_static_selectorELNS0_4arch9wavefront6targetE1EEEvT1_.kd
    .uniform_work_group_size: 1
    .uses_dynamic_stack: false
    .vgpr_count:     0
    .vgpr_spill_count: 0
    .wavefront_size: 64
  - .agpr_count:     0
    .args:
      - .offset:         0
        .size:           120
        .value_kind:     by_value
    .group_segment_fixed_size: 0
    .kernarg_segment_align: 8
    .kernarg_segment_size: 120
    .language:       OpenCL C
    .language_version:
      - 2
      - 0
    .max_flat_workgroup_size: 512
    .name:           _ZN7rocprim17ROCPRIM_400000_NS6detail17trampoline_kernelINS0_14default_configENS1_25partition_config_selectorILNS1_17partition_subalgoE9EllbEEZZNS1_14partition_implILS5_9ELb0ES3_jPlS8_PNS0_10empty_typeENS0_5tupleIJS8_S9_EEENSB_IJS8_SA_EEENS0_18inequality_wrapperIZN2at6native12_GLOBAL__N_124unique_dim_cuda_templateIN3c104HalfEEESt5tupleIJNSF_6TensorESM_SM_EERKSM_lbbbEUlllE0_EEPmJS9_EEE10hipError_tPvRmT3_T4_T5_T6_T7_T9_mT8_P12ihipStream_tbDpT10_ENKUlT_T0_E_clISt17integral_constantIbLb1EES1B_IbLb0EEEEDaS17_S18_EUlS17_E_NS1_11comp_targetILNS1_3genE5ELNS1_11target_archE942ELNS1_3gpuE9ELNS1_3repE0EEENS1_30default_config_static_selectorELNS0_4arch9wavefront6targetE1EEEvT1_
    .private_segment_fixed_size: 0
    .sgpr_count:     6
    .sgpr_spill_count: 0
    .symbol:         _ZN7rocprim17ROCPRIM_400000_NS6detail17trampoline_kernelINS0_14default_configENS1_25partition_config_selectorILNS1_17partition_subalgoE9EllbEEZZNS1_14partition_implILS5_9ELb0ES3_jPlS8_PNS0_10empty_typeENS0_5tupleIJS8_S9_EEENSB_IJS8_SA_EEENS0_18inequality_wrapperIZN2at6native12_GLOBAL__N_124unique_dim_cuda_templateIN3c104HalfEEESt5tupleIJNSF_6TensorESM_SM_EERKSM_lbbbEUlllE0_EEPmJS9_EEE10hipError_tPvRmT3_T4_T5_T6_T7_T9_mT8_P12ihipStream_tbDpT10_ENKUlT_T0_E_clISt17integral_constantIbLb1EES1B_IbLb0EEEEDaS17_S18_EUlS17_E_NS1_11comp_targetILNS1_3genE5ELNS1_11target_archE942ELNS1_3gpuE9ELNS1_3repE0EEENS1_30default_config_static_selectorELNS0_4arch9wavefront6targetE1EEEvT1_.kd
    .uniform_work_group_size: 1
    .uses_dynamic_stack: false
    .vgpr_count:     0
    .vgpr_spill_count: 0
    .wavefront_size: 64
  - .agpr_count:     0
    .args:
      - .offset:         0
        .size:           120
        .value_kind:     by_value
    .group_segment_fixed_size: 0
    .kernarg_segment_align: 8
    .kernarg_segment_size: 120
    .language:       OpenCL C
    .language_version:
      - 2
      - 0
    .max_flat_workgroup_size: 128
    .name:           _ZN7rocprim17ROCPRIM_400000_NS6detail17trampoline_kernelINS0_14default_configENS1_25partition_config_selectorILNS1_17partition_subalgoE9EllbEEZZNS1_14partition_implILS5_9ELb0ES3_jPlS8_PNS0_10empty_typeENS0_5tupleIJS8_S9_EEENSB_IJS8_SA_EEENS0_18inequality_wrapperIZN2at6native12_GLOBAL__N_124unique_dim_cuda_templateIN3c104HalfEEESt5tupleIJNSF_6TensorESM_SM_EERKSM_lbbbEUlllE0_EEPmJS9_EEE10hipError_tPvRmT3_T4_T5_T6_T7_T9_mT8_P12ihipStream_tbDpT10_ENKUlT_T0_E_clISt17integral_constantIbLb1EES1B_IbLb0EEEEDaS17_S18_EUlS17_E_NS1_11comp_targetILNS1_3genE4ELNS1_11target_archE910ELNS1_3gpuE8ELNS1_3repE0EEENS1_30default_config_static_selectorELNS0_4arch9wavefront6targetE1EEEvT1_
    .private_segment_fixed_size: 0
    .sgpr_count:     6
    .sgpr_spill_count: 0
    .symbol:         _ZN7rocprim17ROCPRIM_400000_NS6detail17trampoline_kernelINS0_14default_configENS1_25partition_config_selectorILNS1_17partition_subalgoE9EllbEEZZNS1_14partition_implILS5_9ELb0ES3_jPlS8_PNS0_10empty_typeENS0_5tupleIJS8_S9_EEENSB_IJS8_SA_EEENS0_18inequality_wrapperIZN2at6native12_GLOBAL__N_124unique_dim_cuda_templateIN3c104HalfEEESt5tupleIJNSF_6TensorESM_SM_EERKSM_lbbbEUlllE0_EEPmJS9_EEE10hipError_tPvRmT3_T4_T5_T6_T7_T9_mT8_P12ihipStream_tbDpT10_ENKUlT_T0_E_clISt17integral_constantIbLb1EES1B_IbLb0EEEEDaS17_S18_EUlS17_E_NS1_11comp_targetILNS1_3genE4ELNS1_11target_archE910ELNS1_3gpuE8ELNS1_3repE0EEENS1_30default_config_static_selectorELNS0_4arch9wavefront6targetE1EEEvT1_.kd
    .uniform_work_group_size: 1
    .uses_dynamic_stack: false
    .vgpr_count:     0
    .vgpr_spill_count: 0
    .wavefront_size: 64
  - .agpr_count:     0
    .args:
      - .offset:         0
        .size:           120
        .value_kind:     by_value
    .group_segment_fixed_size: 0
    .kernarg_segment_align: 8
    .kernarg_segment_size: 120
    .language:       OpenCL C
    .language_version:
      - 2
      - 0
    .max_flat_workgroup_size: 128
    .name:           _ZN7rocprim17ROCPRIM_400000_NS6detail17trampoline_kernelINS0_14default_configENS1_25partition_config_selectorILNS1_17partition_subalgoE9EllbEEZZNS1_14partition_implILS5_9ELb0ES3_jPlS8_PNS0_10empty_typeENS0_5tupleIJS8_S9_EEENSB_IJS8_SA_EEENS0_18inequality_wrapperIZN2at6native12_GLOBAL__N_124unique_dim_cuda_templateIN3c104HalfEEESt5tupleIJNSF_6TensorESM_SM_EERKSM_lbbbEUlllE0_EEPmJS9_EEE10hipError_tPvRmT3_T4_T5_T6_T7_T9_mT8_P12ihipStream_tbDpT10_ENKUlT_T0_E_clISt17integral_constantIbLb1EES1B_IbLb0EEEEDaS17_S18_EUlS17_E_NS1_11comp_targetILNS1_3genE3ELNS1_11target_archE908ELNS1_3gpuE7ELNS1_3repE0EEENS1_30default_config_static_selectorELNS0_4arch9wavefront6targetE1EEEvT1_
    .private_segment_fixed_size: 0
    .sgpr_count:     6
    .sgpr_spill_count: 0
    .symbol:         _ZN7rocprim17ROCPRIM_400000_NS6detail17trampoline_kernelINS0_14default_configENS1_25partition_config_selectorILNS1_17partition_subalgoE9EllbEEZZNS1_14partition_implILS5_9ELb0ES3_jPlS8_PNS0_10empty_typeENS0_5tupleIJS8_S9_EEENSB_IJS8_SA_EEENS0_18inequality_wrapperIZN2at6native12_GLOBAL__N_124unique_dim_cuda_templateIN3c104HalfEEESt5tupleIJNSF_6TensorESM_SM_EERKSM_lbbbEUlllE0_EEPmJS9_EEE10hipError_tPvRmT3_T4_T5_T6_T7_T9_mT8_P12ihipStream_tbDpT10_ENKUlT_T0_E_clISt17integral_constantIbLb1EES1B_IbLb0EEEEDaS17_S18_EUlS17_E_NS1_11comp_targetILNS1_3genE3ELNS1_11target_archE908ELNS1_3gpuE7ELNS1_3repE0EEENS1_30default_config_static_selectorELNS0_4arch9wavefront6targetE1EEEvT1_.kd
    .uniform_work_group_size: 1
    .uses_dynamic_stack: false
    .vgpr_count:     0
    .vgpr_spill_count: 0
    .wavefront_size: 64
  - .agpr_count:     0
    .args:
      - .offset:         0
        .size:           120
        .value_kind:     by_value
    .group_segment_fixed_size: 0
    .kernarg_segment_align: 8
    .kernarg_segment_size: 120
    .language:       OpenCL C
    .language_version:
      - 2
      - 0
    .max_flat_workgroup_size: 192
    .name:           _ZN7rocprim17ROCPRIM_400000_NS6detail17trampoline_kernelINS0_14default_configENS1_25partition_config_selectorILNS1_17partition_subalgoE9EllbEEZZNS1_14partition_implILS5_9ELb0ES3_jPlS8_PNS0_10empty_typeENS0_5tupleIJS8_S9_EEENSB_IJS8_SA_EEENS0_18inequality_wrapperIZN2at6native12_GLOBAL__N_124unique_dim_cuda_templateIN3c104HalfEEESt5tupleIJNSF_6TensorESM_SM_EERKSM_lbbbEUlllE0_EEPmJS9_EEE10hipError_tPvRmT3_T4_T5_T6_T7_T9_mT8_P12ihipStream_tbDpT10_ENKUlT_T0_E_clISt17integral_constantIbLb1EES1B_IbLb0EEEEDaS17_S18_EUlS17_E_NS1_11comp_targetILNS1_3genE2ELNS1_11target_archE906ELNS1_3gpuE6ELNS1_3repE0EEENS1_30default_config_static_selectorELNS0_4arch9wavefront6targetE1EEEvT1_
    .private_segment_fixed_size: 0
    .sgpr_count:     6
    .sgpr_spill_count: 0
    .symbol:         _ZN7rocprim17ROCPRIM_400000_NS6detail17trampoline_kernelINS0_14default_configENS1_25partition_config_selectorILNS1_17partition_subalgoE9EllbEEZZNS1_14partition_implILS5_9ELb0ES3_jPlS8_PNS0_10empty_typeENS0_5tupleIJS8_S9_EEENSB_IJS8_SA_EEENS0_18inequality_wrapperIZN2at6native12_GLOBAL__N_124unique_dim_cuda_templateIN3c104HalfEEESt5tupleIJNSF_6TensorESM_SM_EERKSM_lbbbEUlllE0_EEPmJS9_EEE10hipError_tPvRmT3_T4_T5_T6_T7_T9_mT8_P12ihipStream_tbDpT10_ENKUlT_T0_E_clISt17integral_constantIbLb1EES1B_IbLb0EEEEDaS17_S18_EUlS17_E_NS1_11comp_targetILNS1_3genE2ELNS1_11target_archE906ELNS1_3gpuE6ELNS1_3repE0EEENS1_30default_config_static_selectorELNS0_4arch9wavefront6targetE1EEEvT1_.kd
    .uniform_work_group_size: 1
    .uses_dynamic_stack: false
    .vgpr_count:     0
    .vgpr_spill_count: 0
    .wavefront_size: 64
  - .agpr_count:     0
    .args:
      - .offset:         0
        .size:           120
        .value_kind:     by_value
    .group_segment_fixed_size: 0
    .kernarg_segment_align: 8
    .kernarg_segment_size: 120
    .language:       OpenCL C
    .language_version:
      - 2
      - 0
    .max_flat_workgroup_size: 384
    .name:           _ZN7rocprim17ROCPRIM_400000_NS6detail17trampoline_kernelINS0_14default_configENS1_25partition_config_selectorILNS1_17partition_subalgoE9EllbEEZZNS1_14partition_implILS5_9ELb0ES3_jPlS8_PNS0_10empty_typeENS0_5tupleIJS8_S9_EEENSB_IJS8_SA_EEENS0_18inequality_wrapperIZN2at6native12_GLOBAL__N_124unique_dim_cuda_templateIN3c104HalfEEESt5tupleIJNSF_6TensorESM_SM_EERKSM_lbbbEUlllE0_EEPmJS9_EEE10hipError_tPvRmT3_T4_T5_T6_T7_T9_mT8_P12ihipStream_tbDpT10_ENKUlT_T0_E_clISt17integral_constantIbLb1EES1B_IbLb0EEEEDaS17_S18_EUlS17_E_NS1_11comp_targetILNS1_3genE10ELNS1_11target_archE1200ELNS1_3gpuE4ELNS1_3repE0EEENS1_30default_config_static_selectorELNS0_4arch9wavefront6targetE1EEEvT1_
    .private_segment_fixed_size: 0
    .sgpr_count:     6
    .sgpr_spill_count: 0
    .symbol:         _ZN7rocprim17ROCPRIM_400000_NS6detail17trampoline_kernelINS0_14default_configENS1_25partition_config_selectorILNS1_17partition_subalgoE9EllbEEZZNS1_14partition_implILS5_9ELb0ES3_jPlS8_PNS0_10empty_typeENS0_5tupleIJS8_S9_EEENSB_IJS8_SA_EEENS0_18inequality_wrapperIZN2at6native12_GLOBAL__N_124unique_dim_cuda_templateIN3c104HalfEEESt5tupleIJNSF_6TensorESM_SM_EERKSM_lbbbEUlllE0_EEPmJS9_EEE10hipError_tPvRmT3_T4_T5_T6_T7_T9_mT8_P12ihipStream_tbDpT10_ENKUlT_T0_E_clISt17integral_constantIbLb1EES1B_IbLb0EEEEDaS17_S18_EUlS17_E_NS1_11comp_targetILNS1_3genE10ELNS1_11target_archE1200ELNS1_3gpuE4ELNS1_3repE0EEENS1_30default_config_static_selectorELNS0_4arch9wavefront6targetE1EEEvT1_.kd
    .uniform_work_group_size: 1
    .uses_dynamic_stack: false
    .vgpr_count:     0
    .vgpr_spill_count: 0
    .wavefront_size: 64
  - .agpr_count:     0
    .args:
      - .offset:         0
        .size:           120
        .value_kind:     by_value
    .group_segment_fixed_size: 0
    .kernarg_segment_align: 8
    .kernarg_segment_size: 120
    .language:       OpenCL C
    .language_version:
      - 2
      - 0
    .max_flat_workgroup_size: 512
    .name:           _ZN7rocprim17ROCPRIM_400000_NS6detail17trampoline_kernelINS0_14default_configENS1_25partition_config_selectorILNS1_17partition_subalgoE9EllbEEZZNS1_14partition_implILS5_9ELb0ES3_jPlS8_PNS0_10empty_typeENS0_5tupleIJS8_S9_EEENSB_IJS8_SA_EEENS0_18inequality_wrapperIZN2at6native12_GLOBAL__N_124unique_dim_cuda_templateIN3c104HalfEEESt5tupleIJNSF_6TensorESM_SM_EERKSM_lbbbEUlllE0_EEPmJS9_EEE10hipError_tPvRmT3_T4_T5_T6_T7_T9_mT8_P12ihipStream_tbDpT10_ENKUlT_T0_E_clISt17integral_constantIbLb1EES1B_IbLb0EEEEDaS17_S18_EUlS17_E_NS1_11comp_targetILNS1_3genE9ELNS1_11target_archE1100ELNS1_3gpuE3ELNS1_3repE0EEENS1_30default_config_static_selectorELNS0_4arch9wavefront6targetE1EEEvT1_
    .private_segment_fixed_size: 0
    .sgpr_count:     6
    .sgpr_spill_count: 0
    .symbol:         _ZN7rocprim17ROCPRIM_400000_NS6detail17trampoline_kernelINS0_14default_configENS1_25partition_config_selectorILNS1_17partition_subalgoE9EllbEEZZNS1_14partition_implILS5_9ELb0ES3_jPlS8_PNS0_10empty_typeENS0_5tupleIJS8_S9_EEENSB_IJS8_SA_EEENS0_18inequality_wrapperIZN2at6native12_GLOBAL__N_124unique_dim_cuda_templateIN3c104HalfEEESt5tupleIJNSF_6TensorESM_SM_EERKSM_lbbbEUlllE0_EEPmJS9_EEE10hipError_tPvRmT3_T4_T5_T6_T7_T9_mT8_P12ihipStream_tbDpT10_ENKUlT_T0_E_clISt17integral_constantIbLb1EES1B_IbLb0EEEEDaS17_S18_EUlS17_E_NS1_11comp_targetILNS1_3genE9ELNS1_11target_archE1100ELNS1_3gpuE3ELNS1_3repE0EEENS1_30default_config_static_selectorELNS0_4arch9wavefront6targetE1EEEvT1_.kd
    .uniform_work_group_size: 1
    .uses_dynamic_stack: false
    .vgpr_count:     0
    .vgpr_spill_count: 0
    .wavefront_size: 64
  - .agpr_count:     0
    .args:
      - .offset:         0
        .size:           120
        .value_kind:     by_value
    .group_segment_fixed_size: 0
    .kernarg_segment_align: 8
    .kernarg_segment_size: 120
    .language:       OpenCL C
    .language_version:
      - 2
      - 0
    .max_flat_workgroup_size: 512
    .name:           _ZN7rocprim17ROCPRIM_400000_NS6detail17trampoline_kernelINS0_14default_configENS1_25partition_config_selectorILNS1_17partition_subalgoE9EllbEEZZNS1_14partition_implILS5_9ELb0ES3_jPlS8_PNS0_10empty_typeENS0_5tupleIJS8_S9_EEENSB_IJS8_SA_EEENS0_18inequality_wrapperIZN2at6native12_GLOBAL__N_124unique_dim_cuda_templateIN3c104HalfEEESt5tupleIJNSF_6TensorESM_SM_EERKSM_lbbbEUlllE0_EEPmJS9_EEE10hipError_tPvRmT3_T4_T5_T6_T7_T9_mT8_P12ihipStream_tbDpT10_ENKUlT_T0_E_clISt17integral_constantIbLb1EES1B_IbLb0EEEEDaS17_S18_EUlS17_E_NS1_11comp_targetILNS1_3genE8ELNS1_11target_archE1030ELNS1_3gpuE2ELNS1_3repE0EEENS1_30default_config_static_selectorELNS0_4arch9wavefront6targetE1EEEvT1_
    .private_segment_fixed_size: 0
    .sgpr_count:     6
    .sgpr_spill_count: 0
    .symbol:         _ZN7rocprim17ROCPRIM_400000_NS6detail17trampoline_kernelINS0_14default_configENS1_25partition_config_selectorILNS1_17partition_subalgoE9EllbEEZZNS1_14partition_implILS5_9ELb0ES3_jPlS8_PNS0_10empty_typeENS0_5tupleIJS8_S9_EEENSB_IJS8_SA_EEENS0_18inequality_wrapperIZN2at6native12_GLOBAL__N_124unique_dim_cuda_templateIN3c104HalfEEESt5tupleIJNSF_6TensorESM_SM_EERKSM_lbbbEUlllE0_EEPmJS9_EEE10hipError_tPvRmT3_T4_T5_T6_T7_T9_mT8_P12ihipStream_tbDpT10_ENKUlT_T0_E_clISt17integral_constantIbLb1EES1B_IbLb0EEEEDaS17_S18_EUlS17_E_NS1_11comp_targetILNS1_3genE8ELNS1_11target_archE1030ELNS1_3gpuE2ELNS1_3repE0EEENS1_30default_config_static_selectorELNS0_4arch9wavefront6targetE1EEEvT1_.kd
    .uniform_work_group_size: 1
    .uses_dynamic_stack: false
    .vgpr_count:     0
    .vgpr_spill_count: 0
    .wavefront_size: 64
  - .agpr_count:     0
    .args:
      - .offset:         0
        .size:           136
        .value_kind:     by_value
    .group_segment_fixed_size: 5128
    .kernarg_segment_align: 8
    .kernarg_segment_size: 136
    .language:       OpenCL C
    .language_version:
      - 2
      - 0
    .max_flat_workgroup_size: 128
    .name:           _ZN7rocprim17ROCPRIM_400000_NS6detail17trampoline_kernelINS0_14default_configENS1_25partition_config_selectorILNS1_17partition_subalgoE9EllbEEZZNS1_14partition_implILS5_9ELb0ES3_jPlS8_PNS0_10empty_typeENS0_5tupleIJS8_S9_EEENSB_IJS8_SA_EEENS0_18inequality_wrapperIZN2at6native12_GLOBAL__N_124unique_dim_cuda_templateIN3c104HalfEEESt5tupleIJNSF_6TensorESM_SM_EERKSM_lbbbEUlllE0_EEPmJS9_EEE10hipError_tPvRmT3_T4_T5_T6_T7_T9_mT8_P12ihipStream_tbDpT10_ENKUlT_T0_E_clISt17integral_constantIbLb0EES1B_IbLb1EEEEDaS17_S18_EUlS17_E_NS1_11comp_targetILNS1_3genE0ELNS1_11target_archE4294967295ELNS1_3gpuE0ELNS1_3repE0EEENS1_30default_config_static_selectorELNS0_4arch9wavefront6targetE1EEEvT1_
    .private_segment_fixed_size: 0
    .sgpr_count:     58
    .sgpr_spill_count: 0
    .symbol:         _ZN7rocprim17ROCPRIM_400000_NS6detail17trampoline_kernelINS0_14default_configENS1_25partition_config_selectorILNS1_17partition_subalgoE9EllbEEZZNS1_14partition_implILS5_9ELb0ES3_jPlS8_PNS0_10empty_typeENS0_5tupleIJS8_S9_EEENSB_IJS8_SA_EEENS0_18inequality_wrapperIZN2at6native12_GLOBAL__N_124unique_dim_cuda_templateIN3c104HalfEEESt5tupleIJNSF_6TensorESM_SM_EERKSM_lbbbEUlllE0_EEPmJS9_EEE10hipError_tPvRmT3_T4_T5_T6_T7_T9_mT8_P12ihipStream_tbDpT10_ENKUlT_T0_E_clISt17integral_constantIbLb0EES1B_IbLb1EEEEDaS17_S18_EUlS17_E_NS1_11comp_targetILNS1_3genE0ELNS1_11target_archE4294967295ELNS1_3gpuE0ELNS1_3repE0EEENS1_30default_config_static_selectorELNS0_4arch9wavefront6targetE1EEEvT1_.kd
    .uniform_work_group_size: 1
    .uses_dynamic_stack: false
    .vgpr_count:     60
    .vgpr_spill_count: 0
    .wavefront_size: 64
  - .agpr_count:     0
    .args:
      - .offset:         0
        .size:           136
        .value_kind:     by_value
    .group_segment_fixed_size: 0
    .kernarg_segment_align: 8
    .kernarg_segment_size: 136
    .language:       OpenCL C
    .language_version:
      - 2
      - 0
    .max_flat_workgroup_size: 512
    .name:           _ZN7rocprim17ROCPRIM_400000_NS6detail17trampoline_kernelINS0_14default_configENS1_25partition_config_selectorILNS1_17partition_subalgoE9EllbEEZZNS1_14partition_implILS5_9ELb0ES3_jPlS8_PNS0_10empty_typeENS0_5tupleIJS8_S9_EEENSB_IJS8_SA_EEENS0_18inequality_wrapperIZN2at6native12_GLOBAL__N_124unique_dim_cuda_templateIN3c104HalfEEESt5tupleIJNSF_6TensorESM_SM_EERKSM_lbbbEUlllE0_EEPmJS9_EEE10hipError_tPvRmT3_T4_T5_T6_T7_T9_mT8_P12ihipStream_tbDpT10_ENKUlT_T0_E_clISt17integral_constantIbLb0EES1B_IbLb1EEEEDaS17_S18_EUlS17_E_NS1_11comp_targetILNS1_3genE5ELNS1_11target_archE942ELNS1_3gpuE9ELNS1_3repE0EEENS1_30default_config_static_selectorELNS0_4arch9wavefront6targetE1EEEvT1_
    .private_segment_fixed_size: 0
    .sgpr_count:     6
    .sgpr_spill_count: 0
    .symbol:         _ZN7rocprim17ROCPRIM_400000_NS6detail17trampoline_kernelINS0_14default_configENS1_25partition_config_selectorILNS1_17partition_subalgoE9EllbEEZZNS1_14partition_implILS5_9ELb0ES3_jPlS8_PNS0_10empty_typeENS0_5tupleIJS8_S9_EEENSB_IJS8_SA_EEENS0_18inequality_wrapperIZN2at6native12_GLOBAL__N_124unique_dim_cuda_templateIN3c104HalfEEESt5tupleIJNSF_6TensorESM_SM_EERKSM_lbbbEUlllE0_EEPmJS9_EEE10hipError_tPvRmT3_T4_T5_T6_T7_T9_mT8_P12ihipStream_tbDpT10_ENKUlT_T0_E_clISt17integral_constantIbLb0EES1B_IbLb1EEEEDaS17_S18_EUlS17_E_NS1_11comp_targetILNS1_3genE5ELNS1_11target_archE942ELNS1_3gpuE9ELNS1_3repE0EEENS1_30default_config_static_selectorELNS0_4arch9wavefront6targetE1EEEvT1_.kd
    .uniform_work_group_size: 1
    .uses_dynamic_stack: false
    .vgpr_count:     0
    .vgpr_spill_count: 0
    .wavefront_size: 64
  - .agpr_count:     0
    .args:
      - .offset:         0
        .size:           136
        .value_kind:     by_value
    .group_segment_fixed_size: 0
    .kernarg_segment_align: 8
    .kernarg_segment_size: 136
    .language:       OpenCL C
    .language_version:
      - 2
      - 0
    .max_flat_workgroup_size: 128
    .name:           _ZN7rocprim17ROCPRIM_400000_NS6detail17trampoline_kernelINS0_14default_configENS1_25partition_config_selectorILNS1_17partition_subalgoE9EllbEEZZNS1_14partition_implILS5_9ELb0ES3_jPlS8_PNS0_10empty_typeENS0_5tupleIJS8_S9_EEENSB_IJS8_SA_EEENS0_18inequality_wrapperIZN2at6native12_GLOBAL__N_124unique_dim_cuda_templateIN3c104HalfEEESt5tupleIJNSF_6TensorESM_SM_EERKSM_lbbbEUlllE0_EEPmJS9_EEE10hipError_tPvRmT3_T4_T5_T6_T7_T9_mT8_P12ihipStream_tbDpT10_ENKUlT_T0_E_clISt17integral_constantIbLb0EES1B_IbLb1EEEEDaS17_S18_EUlS17_E_NS1_11comp_targetILNS1_3genE4ELNS1_11target_archE910ELNS1_3gpuE8ELNS1_3repE0EEENS1_30default_config_static_selectorELNS0_4arch9wavefront6targetE1EEEvT1_
    .private_segment_fixed_size: 0
    .sgpr_count:     6
    .sgpr_spill_count: 0
    .symbol:         _ZN7rocprim17ROCPRIM_400000_NS6detail17trampoline_kernelINS0_14default_configENS1_25partition_config_selectorILNS1_17partition_subalgoE9EllbEEZZNS1_14partition_implILS5_9ELb0ES3_jPlS8_PNS0_10empty_typeENS0_5tupleIJS8_S9_EEENSB_IJS8_SA_EEENS0_18inequality_wrapperIZN2at6native12_GLOBAL__N_124unique_dim_cuda_templateIN3c104HalfEEESt5tupleIJNSF_6TensorESM_SM_EERKSM_lbbbEUlllE0_EEPmJS9_EEE10hipError_tPvRmT3_T4_T5_T6_T7_T9_mT8_P12ihipStream_tbDpT10_ENKUlT_T0_E_clISt17integral_constantIbLb0EES1B_IbLb1EEEEDaS17_S18_EUlS17_E_NS1_11comp_targetILNS1_3genE4ELNS1_11target_archE910ELNS1_3gpuE8ELNS1_3repE0EEENS1_30default_config_static_selectorELNS0_4arch9wavefront6targetE1EEEvT1_.kd
    .uniform_work_group_size: 1
    .uses_dynamic_stack: false
    .vgpr_count:     0
    .vgpr_spill_count: 0
    .wavefront_size: 64
  - .agpr_count:     0
    .args:
      - .offset:         0
        .size:           136
        .value_kind:     by_value
    .group_segment_fixed_size: 0
    .kernarg_segment_align: 8
    .kernarg_segment_size: 136
    .language:       OpenCL C
    .language_version:
      - 2
      - 0
    .max_flat_workgroup_size: 128
    .name:           _ZN7rocprim17ROCPRIM_400000_NS6detail17trampoline_kernelINS0_14default_configENS1_25partition_config_selectorILNS1_17partition_subalgoE9EllbEEZZNS1_14partition_implILS5_9ELb0ES3_jPlS8_PNS0_10empty_typeENS0_5tupleIJS8_S9_EEENSB_IJS8_SA_EEENS0_18inequality_wrapperIZN2at6native12_GLOBAL__N_124unique_dim_cuda_templateIN3c104HalfEEESt5tupleIJNSF_6TensorESM_SM_EERKSM_lbbbEUlllE0_EEPmJS9_EEE10hipError_tPvRmT3_T4_T5_T6_T7_T9_mT8_P12ihipStream_tbDpT10_ENKUlT_T0_E_clISt17integral_constantIbLb0EES1B_IbLb1EEEEDaS17_S18_EUlS17_E_NS1_11comp_targetILNS1_3genE3ELNS1_11target_archE908ELNS1_3gpuE7ELNS1_3repE0EEENS1_30default_config_static_selectorELNS0_4arch9wavefront6targetE1EEEvT1_
    .private_segment_fixed_size: 0
    .sgpr_count:     6
    .sgpr_spill_count: 0
    .symbol:         _ZN7rocprim17ROCPRIM_400000_NS6detail17trampoline_kernelINS0_14default_configENS1_25partition_config_selectorILNS1_17partition_subalgoE9EllbEEZZNS1_14partition_implILS5_9ELb0ES3_jPlS8_PNS0_10empty_typeENS0_5tupleIJS8_S9_EEENSB_IJS8_SA_EEENS0_18inequality_wrapperIZN2at6native12_GLOBAL__N_124unique_dim_cuda_templateIN3c104HalfEEESt5tupleIJNSF_6TensorESM_SM_EERKSM_lbbbEUlllE0_EEPmJS9_EEE10hipError_tPvRmT3_T4_T5_T6_T7_T9_mT8_P12ihipStream_tbDpT10_ENKUlT_T0_E_clISt17integral_constantIbLb0EES1B_IbLb1EEEEDaS17_S18_EUlS17_E_NS1_11comp_targetILNS1_3genE3ELNS1_11target_archE908ELNS1_3gpuE7ELNS1_3repE0EEENS1_30default_config_static_selectorELNS0_4arch9wavefront6targetE1EEEvT1_.kd
    .uniform_work_group_size: 1
    .uses_dynamic_stack: false
    .vgpr_count:     0
    .vgpr_spill_count: 0
    .wavefront_size: 64
  - .agpr_count:     0
    .args:
      - .offset:         0
        .size:           136
        .value_kind:     by_value
    .group_segment_fixed_size: 0
    .kernarg_segment_align: 8
    .kernarg_segment_size: 136
    .language:       OpenCL C
    .language_version:
      - 2
      - 0
    .max_flat_workgroup_size: 192
    .name:           _ZN7rocprim17ROCPRIM_400000_NS6detail17trampoline_kernelINS0_14default_configENS1_25partition_config_selectorILNS1_17partition_subalgoE9EllbEEZZNS1_14partition_implILS5_9ELb0ES3_jPlS8_PNS0_10empty_typeENS0_5tupleIJS8_S9_EEENSB_IJS8_SA_EEENS0_18inequality_wrapperIZN2at6native12_GLOBAL__N_124unique_dim_cuda_templateIN3c104HalfEEESt5tupleIJNSF_6TensorESM_SM_EERKSM_lbbbEUlllE0_EEPmJS9_EEE10hipError_tPvRmT3_T4_T5_T6_T7_T9_mT8_P12ihipStream_tbDpT10_ENKUlT_T0_E_clISt17integral_constantIbLb0EES1B_IbLb1EEEEDaS17_S18_EUlS17_E_NS1_11comp_targetILNS1_3genE2ELNS1_11target_archE906ELNS1_3gpuE6ELNS1_3repE0EEENS1_30default_config_static_selectorELNS0_4arch9wavefront6targetE1EEEvT1_
    .private_segment_fixed_size: 0
    .sgpr_count:     6
    .sgpr_spill_count: 0
    .symbol:         _ZN7rocprim17ROCPRIM_400000_NS6detail17trampoline_kernelINS0_14default_configENS1_25partition_config_selectorILNS1_17partition_subalgoE9EllbEEZZNS1_14partition_implILS5_9ELb0ES3_jPlS8_PNS0_10empty_typeENS0_5tupleIJS8_S9_EEENSB_IJS8_SA_EEENS0_18inequality_wrapperIZN2at6native12_GLOBAL__N_124unique_dim_cuda_templateIN3c104HalfEEESt5tupleIJNSF_6TensorESM_SM_EERKSM_lbbbEUlllE0_EEPmJS9_EEE10hipError_tPvRmT3_T4_T5_T6_T7_T9_mT8_P12ihipStream_tbDpT10_ENKUlT_T0_E_clISt17integral_constantIbLb0EES1B_IbLb1EEEEDaS17_S18_EUlS17_E_NS1_11comp_targetILNS1_3genE2ELNS1_11target_archE906ELNS1_3gpuE6ELNS1_3repE0EEENS1_30default_config_static_selectorELNS0_4arch9wavefront6targetE1EEEvT1_.kd
    .uniform_work_group_size: 1
    .uses_dynamic_stack: false
    .vgpr_count:     0
    .vgpr_spill_count: 0
    .wavefront_size: 64
  - .agpr_count:     0
    .args:
      - .offset:         0
        .size:           136
        .value_kind:     by_value
    .group_segment_fixed_size: 0
    .kernarg_segment_align: 8
    .kernarg_segment_size: 136
    .language:       OpenCL C
    .language_version:
      - 2
      - 0
    .max_flat_workgroup_size: 384
    .name:           _ZN7rocprim17ROCPRIM_400000_NS6detail17trampoline_kernelINS0_14default_configENS1_25partition_config_selectorILNS1_17partition_subalgoE9EllbEEZZNS1_14partition_implILS5_9ELb0ES3_jPlS8_PNS0_10empty_typeENS0_5tupleIJS8_S9_EEENSB_IJS8_SA_EEENS0_18inequality_wrapperIZN2at6native12_GLOBAL__N_124unique_dim_cuda_templateIN3c104HalfEEESt5tupleIJNSF_6TensorESM_SM_EERKSM_lbbbEUlllE0_EEPmJS9_EEE10hipError_tPvRmT3_T4_T5_T6_T7_T9_mT8_P12ihipStream_tbDpT10_ENKUlT_T0_E_clISt17integral_constantIbLb0EES1B_IbLb1EEEEDaS17_S18_EUlS17_E_NS1_11comp_targetILNS1_3genE10ELNS1_11target_archE1200ELNS1_3gpuE4ELNS1_3repE0EEENS1_30default_config_static_selectorELNS0_4arch9wavefront6targetE1EEEvT1_
    .private_segment_fixed_size: 0
    .sgpr_count:     6
    .sgpr_spill_count: 0
    .symbol:         _ZN7rocprim17ROCPRIM_400000_NS6detail17trampoline_kernelINS0_14default_configENS1_25partition_config_selectorILNS1_17partition_subalgoE9EllbEEZZNS1_14partition_implILS5_9ELb0ES3_jPlS8_PNS0_10empty_typeENS0_5tupleIJS8_S9_EEENSB_IJS8_SA_EEENS0_18inequality_wrapperIZN2at6native12_GLOBAL__N_124unique_dim_cuda_templateIN3c104HalfEEESt5tupleIJNSF_6TensorESM_SM_EERKSM_lbbbEUlllE0_EEPmJS9_EEE10hipError_tPvRmT3_T4_T5_T6_T7_T9_mT8_P12ihipStream_tbDpT10_ENKUlT_T0_E_clISt17integral_constantIbLb0EES1B_IbLb1EEEEDaS17_S18_EUlS17_E_NS1_11comp_targetILNS1_3genE10ELNS1_11target_archE1200ELNS1_3gpuE4ELNS1_3repE0EEENS1_30default_config_static_selectorELNS0_4arch9wavefront6targetE1EEEvT1_.kd
    .uniform_work_group_size: 1
    .uses_dynamic_stack: false
    .vgpr_count:     0
    .vgpr_spill_count: 0
    .wavefront_size: 64
  - .agpr_count:     0
    .args:
      - .offset:         0
        .size:           136
        .value_kind:     by_value
    .group_segment_fixed_size: 0
    .kernarg_segment_align: 8
    .kernarg_segment_size: 136
    .language:       OpenCL C
    .language_version:
      - 2
      - 0
    .max_flat_workgroup_size: 512
    .name:           _ZN7rocprim17ROCPRIM_400000_NS6detail17trampoline_kernelINS0_14default_configENS1_25partition_config_selectorILNS1_17partition_subalgoE9EllbEEZZNS1_14partition_implILS5_9ELb0ES3_jPlS8_PNS0_10empty_typeENS0_5tupleIJS8_S9_EEENSB_IJS8_SA_EEENS0_18inequality_wrapperIZN2at6native12_GLOBAL__N_124unique_dim_cuda_templateIN3c104HalfEEESt5tupleIJNSF_6TensorESM_SM_EERKSM_lbbbEUlllE0_EEPmJS9_EEE10hipError_tPvRmT3_T4_T5_T6_T7_T9_mT8_P12ihipStream_tbDpT10_ENKUlT_T0_E_clISt17integral_constantIbLb0EES1B_IbLb1EEEEDaS17_S18_EUlS17_E_NS1_11comp_targetILNS1_3genE9ELNS1_11target_archE1100ELNS1_3gpuE3ELNS1_3repE0EEENS1_30default_config_static_selectorELNS0_4arch9wavefront6targetE1EEEvT1_
    .private_segment_fixed_size: 0
    .sgpr_count:     6
    .sgpr_spill_count: 0
    .symbol:         _ZN7rocprim17ROCPRIM_400000_NS6detail17trampoline_kernelINS0_14default_configENS1_25partition_config_selectorILNS1_17partition_subalgoE9EllbEEZZNS1_14partition_implILS5_9ELb0ES3_jPlS8_PNS0_10empty_typeENS0_5tupleIJS8_S9_EEENSB_IJS8_SA_EEENS0_18inequality_wrapperIZN2at6native12_GLOBAL__N_124unique_dim_cuda_templateIN3c104HalfEEESt5tupleIJNSF_6TensorESM_SM_EERKSM_lbbbEUlllE0_EEPmJS9_EEE10hipError_tPvRmT3_T4_T5_T6_T7_T9_mT8_P12ihipStream_tbDpT10_ENKUlT_T0_E_clISt17integral_constantIbLb0EES1B_IbLb1EEEEDaS17_S18_EUlS17_E_NS1_11comp_targetILNS1_3genE9ELNS1_11target_archE1100ELNS1_3gpuE3ELNS1_3repE0EEENS1_30default_config_static_selectorELNS0_4arch9wavefront6targetE1EEEvT1_.kd
    .uniform_work_group_size: 1
    .uses_dynamic_stack: false
    .vgpr_count:     0
    .vgpr_spill_count: 0
    .wavefront_size: 64
  - .agpr_count:     0
    .args:
      - .offset:         0
        .size:           136
        .value_kind:     by_value
    .group_segment_fixed_size: 0
    .kernarg_segment_align: 8
    .kernarg_segment_size: 136
    .language:       OpenCL C
    .language_version:
      - 2
      - 0
    .max_flat_workgroup_size: 512
    .name:           _ZN7rocprim17ROCPRIM_400000_NS6detail17trampoline_kernelINS0_14default_configENS1_25partition_config_selectorILNS1_17partition_subalgoE9EllbEEZZNS1_14partition_implILS5_9ELb0ES3_jPlS8_PNS0_10empty_typeENS0_5tupleIJS8_S9_EEENSB_IJS8_SA_EEENS0_18inequality_wrapperIZN2at6native12_GLOBAL__N_124unique_dim_cuda_templateIN3c104HalfEEESt5tupleIJNSF_6TensorESM_SM_EERKSM_lbbbEUlllE0_EEPmJS9_EEE10hipError_tPvRmT3_T4_T5_T6_T7_T9_mT8_P12ihipStream_tbDpT10_ENKUlT_T0_E_clISt17integral_constantIbLb0EES1B_IbLb1EEEEDaS17_S18_EUlS17_E_NS1_11comp_targetILNS1_3genE8ELNS1_11target_archE1030ELNS1_3gpuE2ELNS1_3repE0EEENS1_30default_config_static_selectorELNS0_4arch9wavefront6targetE1EEEvT1_
    .private_segment_fixed_size: 0
    .sgpr_count:     6
    .sgpr_spill_count: 0
    .symbol:         _ZN7rocprim17ROCPRIM_400000_NS6detail17trampoline_kernelINS0_14default_configENS1_25partition_config_selectorILNS1_17partition_subalgoE9EllbEEZZNS1_14partition_implILS5_9ELb0ES3_jPlS8_PNS0_10empty_typeENS0_5tupleIJS8_S9_EEENSB_IJS8_SA_EEENS0_18inequality_wrapperIZN2at6native12_GLOBAL__N_124unique_dim_cuda_templateIN3c104HalfEEESt5tupleIJNSF_6TensorESM_SM_EERKSM_lbbbEUlllE0_EEPmJS9_EEE10hipError_tPvRmT3_T4_T5_T6_T7_T9_mT8_P12ihipStream_tbDpT10_ENKUlT_T0_E_clISt17integral_constantIbLb0EES1B_IbLb1EEEEDaS17_S18_EUlS17_E_NS1_11comp_targetILNS1_3genE8ELNS1_11target_archE1030ELNS1_3gpuE2ELNS1_3repE0EEENS1_30default_config_static_selectorELNS0_4arch9wavefront6targetE1EEEvT1_.kd
    .uniform_work_group_size: 1
    .uses_dynamic_stack: false
    .vgpr_count:     0
    .vgpr_spill_count: 0
    .wavefront_size: 64
  - .agpr_count:     0
    .args:
      - .offset:         0
        .size:           72
        .value_kind:     by_value
      - .offset:         72
        .size:           4
        .value_kind:     hidden_block_count_x
      - .offset:         76
        .size:           4
        .value_kind:     hidden_block_count_y
      - .offset:         80
        .size:           4
        .value_kind:     hidden_block_count_z
      - .offset:         84
        .size:           2
        .value_kind:     hidden_group_size_x
      - .offset:         86
        .size:           2
        .value_kind:     hidden_group_size_y
      - .offset:         88
        .size:           2
        .value_kind:     hidden_group_size_z
      - .offset:         90
        .size:           2
        .value_kind:     hidden_remainder_x
      - .offset:         92
        .size:           2
        .value_kind:     hidden_remainder_y
      - .offset:         94
        .size:           2
        .value_kind:     hidden_remainder_z
      - .offset:         112
        .size:           8
        .value_kind:     hidden_global_offset_x
      - .offset:         120
        .size:           8
        .value_kind:     hidden_global_offset_y
      - .offset:         128
        .size:           8
        .value_kind:     hidden_global_offset_z
      - .offset:         136
        .size:           2
        .value_kind:     hidden_grid_dims
    .group_segment_fixed_size: 16896
    .kernarg_segment_align: 8
    .kernarg_segment_size: 328
    .language:       OpenCL C
    .language_version:
      - 2
      - 0
    .max_flat_workgroup_size: 256
    .name:           _ZN7rocprim17ROCPRIM_400000_NS6detail17trampoline_kernelINS0_14default_configENS1_37merge_sort_block_sort_config_selectorIlNS0_10empty_typeEEEZNS1_21merge_sort_block_sortIS3_PlS8_PS5_S9_ZN2at6native12_GLOBAL__N_124unique_dim_cuda_templateItEESt5tupleIJNSA_6TensorESF_SF_EERKSF_lbbbEUlllE_EE10hipError_tT0_T1_T2_T3_mRjT4_P12ihipStream_tbNS1_7vsmem_tEEUlT_E_NS1_11comp_targetILNS1_3genE0ELNS1_11target_archE4294967295ELNS1_3gpuE0ELNS1_3repE0EEENS1_30default_config_static_selectorELNS0_4arch9wavefront6targetE1EEEvSM_
    .private_segment_fixed_size: 0
    .sgpr_count:     73
    .sgpr_spill_count: 0
    .symbol:         _ZN7rocprim17ROCPRIM_400000_NS6detail17trampoline_kernelINS0_14default_configENS1_37merge_sort_block_sort_config_selectorIlNS0_10empty_typeEEEZNS1_21merge_sort_block_sortIS3_PlS8_PS5_S9_ZN2at6native12_GLOBAL__N_124unique_dim_cuda_templateItEESt5tupleIJNSA_6TensorESF_SF_EERKSF_lbbbEUlllE_EE10hipError_tT0_T1_T2_T3_mRjT4_P12ihipStream_tbNS1_7vsmem_tEEUlT_E_NS1_11comp_targetILNS1_3genE0ELNS1_11target_archE4294967295ELNS1_3gpuE0ELNS1_3repE0EEENS1_30default_config_static_selectorELNS0_4arch9wavefront6targetE1EEEvSM_.kd
    .uniform_work_group_size: 1
    .uses_dynamic_stack: false
    .vgpr_count:     55
    .vgpr_spill_count: 0
    .wavefront_size: 64
  - .agpr_count:     0
    .args:
      - .offset:         0
        .size:           72
        .value_kind:     by_value
    .group_segment_fixed_size: 0
    .kernarg_segment_align: 8
    .kernarg_segment_size: 72
    .language:       OpenCL C
    .language_version:
      - 2
      - 0
    .max_flat_workgroup_size: 256
    .name:           _ZN7rocprim17ROCPRIM_400000_NS6detail17trampoline_kernelINS0_14default_configENS1_37merge_sort_block_sort_config_selectorIlNS0_10empty_typeEEEZNS1_21merge_sort_block_sortIS3_PlS8_PS5_S9_ZN2at6native12_GLOBAL__N_124unique_dim_cuda_templateItEESt5tupleIJNSA_6TensorESF_SF_EERKSF_lbbbEUlllE_EE10hipError_tT0_T1_T2_T3_mRjT4_P12ihipStream_tbNS1_7vsmem_tEEUlT_E_NS1_11comp_targetILNS1_3genE5ELNS1_11target_archE942ELNS1_3gpuE9ELNS1_3repE0EEENS1_30default_config_static_selectorELNS0_4arch9wavefront6targetE1EEEvSM_
    .private_segment_fixed_size: 0
    .sgpr_count:     6
    .sgpr_spill_count: 0
    .symbol:         _ZN7rocprim17ROCPRIM_400000_NS6detail17trampoline_kernelINS0_14default_configENS1_37merge_sort_block_sort_config_selectorIlNS0_10empty_typeEEEZNS1_21merge_sort_block_sortIS3_PlS8_PS5_S9_ZN2at6native12_GLOBAL__N_124unique_dim_cuda_templateItEESt5tupleIJNSA_6TensorESF_SF_EERKSF_lbbbEUlllE_EE10hipError_tT0_T1_T2_T3_mRjT4_P12ihipStream_tbNS1_7vsmem_tEEUlT_E_NS1_11comp_targetILNS1_3genE5ELNS1_11target_archE942ELNS1_3gpuE9ELNS1_3repE0EEENS1_30default_config_static_selectorELNS0_4arch9wavefront6targetE1EEEvSM_.kd
    .uniform_work_group_size: 1
    .uses_dynamic_stack: false
    .vgpr_count:     0
    .vgpr_spill_count: 0
    .wavefront_size: 64
  - .agpr_count:     0
    .args:
      - .offset:         0
        .size:           72
        .value_kind:     by_value
    .group_segment_fixed_size: 0
    .kernarg_segment_align: 8
    .kernarg_segment_size: 72
    .language:       OpenCL C
    .language_version:
      - 2
      - 0
    .max_flat_workgroup_size: 256
    .name:           _ZN7rocprim17ROCPRIM_400000_NS6detail17trampoline_kernelINS0_14default_configENS1_37merge_sort_block_sort_config_selectorIlNS0_10empty_typeEEEZNS1_21merge_sort_block_sortIS3_PlS8_PS5_S9_ZN2at6native12_GLOBAL__N_124unique_dim_cuda_templateItEESt5tupleIJNSA_6TensorESF_SF_EERKSF_lbbbEUlllE_EE10hipError_tT0_T1_T2_T3_mRjT4_P12ihipStream_tbNS1_7vsmem_tEEUlT_E_NS1_11comp_targetILNS1_3genE4ELNS1_11target_archE910ELNS1_3gpuE8ELNS1_3repE0EEENS1_30default_config_static_selectorELNS0_4arch9wavefront6targetE1EEEvSM_
    .private_segment_fixed_size: 0
    .sgpr_count:     6
    .sgpr_spill_count: 0
    .symbol:         _ZN7rocprim17ROCPRIM_400000_NS6detail17trampoline_kernelINS0_14default_configENS1_37merge_sort_block_sort_config_selectorIlNS0_10empty_typeEEEZNS1_21merge_sort_block_sortIS3_PlS8_PS5_S9_ZN2at6native12_GLOBAL__N_124unique_dim_cuda_templateItEESt5tupleIJNSA_6TensorESF_SF_EERKSF_lbbbEUlllE_EE10hipError_tT0_T1_T2_T3_mRjT4_P12ihipStream_tbNS1_7vsmem_tEEUlT_E_NS1_11comp_targetILNS1_3genE4ELNS1_11target_archE910ELNS1_3gpuE8ELNS1_3repE0EEENS1_30default_config_static_selectorELNS0_4arch9wavefront6targetE1EEEvSM_.kd
    .uniform_work_group_size: 1
    .uses_dynamic_stack: false
    .vgpr_count:     0
    .vgpr_spill_count: 0
    .wavefront_size: 64
  - .agpr_count:     0
    .args:
      - .offset:         0
        .size:           72
        .value_kind:     by_value
    .group_segment_fixed_size: 0
    .kernarg_segment_align: 8
    .kernarg_segment_size: 72
    .language:       OpenCL C
    .language_version:
      - 2
      - 0
    .max_flat_workgroup_size: 256
    .name:           _ZN7rocprim17ROCPRIM_400000_NS6detail17trampoline_kernelINS0_14default_configENS1_37merge_sort_block_sort_config_selectorIlNS0_10empty_typeEEEZNS1_21merge_sort_block_sortIS3_PlS8_PS5_S9_ZN2at6native12_GLOBAL__N_124unique_dim_cuda_templateItEESt5tupleIJNSA_6TensorESF_SF_EERKSF_lbbbEUlllE_EE10hipError_tT0_T1_T2_T3_mRjT4_P12ihipStream_tbNS1_7vsmem_tEEUlT_E_NS1_11comp_targetILNS1_3genE3ELNS1_11target_archE908ELNS1_3gpuE7ELNS1_3repE0EEENS1_30default_config_static_selectorELNS0_4arch9wavefront6targetE1EEEvSM_
    .private_segment_fixed_size: 0
    .sgpr_count:     6
    .sgpr_spill_count: 0
    .symbol:         _ZN7rocprim17ROCPRIM_400000_NS6detail17trampoline_kernelINS0_14default_configENS1_37merge_sort_block_sort_config_selectorIlNS0_10empty_typeEEEZNS1_21merge_sort_block_sortIS3_PlS8_PS5_S9_ZN2at6native12_GLOBAL__N_124unique_dim_cuda_templateItEESt5tupleIJNSA_6TensorESF_SF_EERKSF_lbbbEUlllE_EE10hipError_tT0_T1_T2_T3_mRjT4_P12ihipStream_tbNS1_7vsmem_tEEUlT_E_NS1_11comp_targetILNS1_3genE3ELNS1_11target_archE908ELNS1_3gpuE7ELNS1_3repE0EEENS1_30default_config_static_selectorELNS0_4arch9wavefront6targetE1EEEvSM_.kd
    .uniform_work_group_size: 1
    .uses_dynamic_stack: false
    .vgpr_count:     0
    .vgpr_spill_count: 0
    .wavefront_size: 64
  - .agpr_count:     0
    .args:
      - .offset:         0
        .size:           72
        .value_kind:     by_value
    .group_segment_fixed_size: 0
    .kernarg_segment_align: 8
    .kernarg_segment_size: 72
    .language:       OpenCL C
    .language_version:
      - 2
      - 0
    .max_flat_workgroup_size: 256
    .name:           _ZN7rocprim17ROCPRIM_400000_NS6detail17trampoline_kernelINS0_14default_configENS1_37merge_sort_block_sort_config_selectorIlNS0_10empty_typeEEEZNS1_21merge_sort_block_sortIS3_PlS8_PS5_S9_ZN2at6native12_GLOBAL__N_124unique_dim_cuda_templateItEESt5tupleIJNSA_6TensorESF_SF_EERKSF_lbbbEUlllE_EE10hipError_tT0_T1_T2_T3_mRjT4_P12ihipStream_tbNS1_7vsmem_tEEUlT_E_NS1_11comp_targetILNS1_3genE2ELNS1_11target_archE906ELNS1_3gpuE6ELNS1_3repE0EEENS1_30default_config_static_selectorELNS0_4arch9wavefront6targetE1EEEvSM_
    .private_segment_fixed_size: 0
    .sgpr_count:     6
    .sgpr_spill_count: 0
    .symbol:         _ZN7rocprim17ROCPRIM_400000_NS6detail17trampoline_kernelINS0_14default_configENS1_37merge_sort_block_sort_config_selectorIlNS0_10empty_typeEEEZNS1_21merge_sort_block_sortIS3_PlS8_PS5_S9_ZN2at6native12_GLOBAL__N_124unique_dim_cuda_templateItEESt5tupleIJNSA_6TensorESF_SF_EERKSF_lbbbEUlllE_EE10hipError_tT0_T1_T2_T3_mRjT4_P12ihipStream_tbNS1_7vsmem_tEEUlT_E_NS1_11comp_targetILNS1_3genE2ELNS1_11target_archE906ELNS1_3gpuE6ELNS1_3repE0EEENS1_30default_config_static_selectorELNS0_4arch9wavefront6targetE1EEEvSM_.kd
    .uniform_work_group_size: 1
    .uses_dynamic_stack: false
    .vgpr_count:     0
    .vgpr_spill_count: 0
    .wavefront_size: 64
  - .agpr_count:     0
    .args:
      - .offset:         0
        .size:           72
        .value_kind:     by_value
    .group_segment_fixed_size: 0
    .kernarg_segment_align: 8
    .kernarg_segment_size: 72
    .language:       OpenCL C
    .language_version:
      - 2
      - 0
    .max_flat_workgroup_size: 256
    .name:           _ZN7rocprim17ROCPRIM_400000_NS6detail17trampoline_kernelINS0_14default_configENS1_37merge_sort_block_sort_config_selectorIlNS0_10empty_typeEEEZNS1_21merge_sort_block_sortIS3_PlS8_PS5_S9_ZN2at6native12_GLOBAL__N_124unique_dim_cuda_templateItEESt5tupleIJNSA_6TensorESF_SF_EERKSF_lbbbEUlllE_EE10hipError_tT0_T1_T2_T3_mRjT4_P12ihipStream_tbNS1_7vsmem_tEEUlT_E_NS1_11comp_targetILNS1_3genE10ELNS1_11target_archE1201ELNS1_3gpuE5ELNS1_3repE0EEENS1_30default_config_static_selectorELNS0_4arch9wavefront6targetE1EEEvSM_
    .private_segment_fixed_size: 0
    .sgpr_count:     6
    .sgpr_spill_count: 0
    .symbol:         _ZN7rocprim17ROCPRIM_400000_NS6detail17trampoline_kernelINS0_14default_configENS1_37merge_sort_block_sort_config_selectorIlNS0_10empty_typeEEEZNS1_21merge_sort_block_sortIS3_PlS8_PS5_S9_ZN2at6native12_GLOBAL__N_124unique_dim_cuda_templateItEESt5tupleIJNSA_6TensorESF_SF_EERKSF_lbbbEUlllE_EE10hipError_tT0_T1_T2_T3_mRjT4_P12ihipStream_tbNS1_7vsmem_tEEUlT_E_NS1_11comp_targetILNS1_3genE10ELNS1_11target_archE1201ELNS1_3gpuE5ELNS1_3repE0EEENS1_30default_config_static_selectorELNS0_4arch9wavefront6targetE1EEEvSM_.kd
    .uniform_work_group_size: 1
    .uses_dynamic_stack: false
    .vgpr_count:     0
    .vgpr_spill_count: 0
    .wavefront_size: 64
  - .agpr_count:     0
    .args:
      - .offset:         0
        .size:           72
        .value_kind:     by_value
    .group_segment_fixed_size: 0
    .kernarg_segment_align: 8
    .kernarg_segment_size: 72
    .language:       OpenCL C
    .language_version:
      - 2
      - 0
    .max_flat_workgroup_size: 512
    .name:           _ZN7rocprim17ROCPRIM_400000_NS6detail17trampoline_kernelINS0_14default_configENS1_37merge_sort_block_sort_config_selectorIlNS0_10empty_typeEEEZNS1_21merge_sort_block_sortIS3_PlS8_PS5_S9_ZN2at6native12_GLOBAL__N_124unique_dim_cuda_templateItEESt5tupleIJNSA_6TensorESF_SF_EERKSF_lbbbEUlllE_EE10hipError_tT0_T1_T2_T3_mRjT4_P12ihipStream_tbNS1_7vsmem_tEEUlT_E_NS1_11comp_targetILNS1_3genE10ELNS1_11target_archE1200ELNS1_3gpuE4ELNS1_3repE0EEENS1_30default_config_static_selectorELNS0_4arch9wavefront6targetE1EEEvSM_
    .private_segment_fixed_size: 0
    .sgpr_count:     6
    .sgpr_spill_count: 0
    .symbol:         _ZN7rocprim17ROCPRIM_400000_NS6detail17trampoline_kernelINS0_14default_configENS1_37merge_sort_block_sort_config_selectorIlNS0_10empty_typeEEEZNS1_21merge_sort_block_sortIS3_PlS8_PS5_S9_ZN2at6native12_GLOBAL__N_124unique_dim_cuda_templateItEESt5tupleIJNSA_6TensorESF_SF_EERKSF_lbbbEUlllE_EE10hipError_tT0_T1_T2_T3_mRjT4_P12ihipStream_tbNS1_7vsmem_tEEUlT_E_NS1_11comp_targetILNS1_3genE10ELNS1_11target_archE1200ELNS1_3gpuE4ELNS1_3repE0EEENS1_30default_config_static_selectorELNS0_4arch9wavefront6targetE1EEEvSM_.kd
    .uniform_work_group_size: 1
    .uses_dynamic_stack: false
    .vgpr_count:     0
    .vgpr_spill_count: 0
    .wavefront_size: 64
  - .agpr_count:     0
    .args:
      - .offset:         0
        .size:           72
        .value_kind:     by_value
    .group_segment_fixed_size: 0
    .kernarg_segment_align: 8
    .kernarg_segment_size: 72
    .language:       OpenCL C
    .language_version:
      - 2
      - 0
    .max_flat_workgroup_size: 256
    .name:           _ZN7rocprim17ROCPRIM_400000_NS6detail17trampoline_kernelINS0_14default_configENS1_37merge_sort_block_sort_config_selectorIlNS0_10empty_typeEEEZNS1_21merge_sort_block_sortIS3_PlS8_PS5_S9_ZN2at6native12_GLOBAL__N_124unique_dim_cuda_templateItEESt5tupleIJNSA_6TensorESF_SF_EERKSF_lbbbEUlllE_EE10hipError_tT0_T1_T2_T3_mRjT4_P12ihipStream_tbNS1_7vsmem_tEEUlT_E_NS1_11comp_targetILNS1_3genE9ELNS1_11target_archE1100ELNS1_3gpuE3ELNS1_3repE0EEENS1_30default_config_static_selectorELNS0_4arch9wavefront6targetE1EEEvSM_
    .private_segment_fixed_size: 0
    .sgpr_count:     6
    .sgpr_spill_count: 0
    .symbol:         _ZN7rocprim17ROCPRIM_400000_NS6detail17trampoline_kernelINS0_14default_configENS1_37merge_sort_block_sort_config_selectorIlNS0_10empty_typeEEEZNS1_21merge_sort_block_sortIS3_PlS8_PS5_S9_ZN2at6native12_GLOBAL__N_124unique_dim_cuda_templateItEESt5tupleIJNSA_6TensorESF_SF_EERKSF_lbbbEUlllE_EE10hipError_tT0_T1_T2_T3_mRjT4_P12ihipStream_tbNS1_7vsmem_tEEUlT_E_NS1_11comp_targetILNS1_3genE9ELNS1_11target_archE1100ELNS1_3gpuE3ELNS1_3repE0EEENS1_30default_config_static_selectorELNS0_4arch9wavefront6targetE1EEEvSM_.kd
    .uniform_work_group_size: 1
    .uses_dynamic_stack: false
    .vgpr_count:     0
    .vgpr_spill_count: 0
    .wavefront_size: 64
  - .agpr_count:     0
    .args:
      - .offset:         0
        .size:           72
        .value_kind:     by_value
    .group_segment_fixed_size: 0
    .kernarg_segment_align: 8
    .kernarg_segment_size: 72
    .language:       OpenCL C
    .language_version:
      - 2
      - 0
    .max_flat_workgroup_size: 256
    .name:           _ZN7rocprim17ROCPRIM_400000_NS6detail17trampoline_kernelINS0_14default_configENS1_37merge_sort_block_sort_config_selectorIlNS0_10empty_typeEEEZNS1_21merge_sort_block_sortIS3_PlS8_PS5_S9_ZN2at6native12_GLOBAL__N_124unique_dim_cuda_templateItEESt5tupleIJNSA_6TensorESF_SF_EERKSF_lbbbEUlllE_EE10hipError_tT0_T1_T2_T3_mRjT4_P12ihipStream_tbNS1_7vsmem_tEEUlT_E_NS1_11comp_targetILNS1_3genE8ELNS1_11target_archE1030ELNS1_3gpuE2ELNS1_3repE0EEENS1_30default_config_static_selectorELNS0_4arch9wavefront6targetE1EEEvSM_
    .private_segment_fixed_size: 0
    .sgpr_count:     6
    .sgpr_spill_count: 0
    .symbol:         _ZN7rocprim17ROCPRIM_400000_NS6detail17trampoline_kernelINS0_14default_configENS1_37merge_sort_block_sort_config_selectorIlNS0_10empty_typeEEEZNS1_21merge_sort_block_sortIS3_PlS8_PS5_S9_ZN2at6native12_GLOBAL__N_124unique_dim_cuda_templateItEESt5tupleIJNSA_6TensorESF_SF_EERKSF_lbbbEUlllE_EE10hipError_tT0_T1_T2_T3_mRjT4_P12ihipStream_tbNS1_7vsmem_tEEUlT_E_NS1_11comp_targetILNS1_3genE8ELNS1_11target_archE1030ELNS1_3gpuE2ELNS1_3repE0EEENS1_30default_config_static_selectorELNS0_4arch9wavefront6targetE1EEEvSM_.kd
    .uniform_work_group_size: 1
    .uses_dynamic_stack: false
    .vgpr_count:     0
    .vgpr_spill_count: 0
    .wavefront_size: 64
  - .agpr_count:     0
    .args:
      - .offset:         0
        .size:           56
        .value_kind:     by_value
    .group_segment_fixed_size: 0
    .kernarg_segment_align: 8
    .kernarg_segment_size: 56
    .language:       OpenCL C
    .language_version:
      - 2
      - 0
    .max_flat_workgroup_size: 128
    .name:           _ZN7rocprim17ROCPRIM_400000_NS6detail17trampoline_kernelINS0_14default_configENS1_38merge_sort_block_merge_config_selectorIlNS0_10empty_typeEEEZZNS1_27merge_sort_block_merge_implIS3_PlPS5_mZN2at6native12_GLOBAL__N_124unique_dim_cuda_templateItEESt5tupleIJNSA_6TensorESF_SF_EERKSF_lbbbEUlllE_EE10hipError_tT0_T1_T2_jT3_P12ihipStream_tbPNSt15iterator_traitsISL_E10value_typeEPNSR_ISM_E10value_typeEPSN_NS1_7vsmem_tEENKUlT_SL_SM_SN_E_clIS8_S8_S9_S9_EESK_S10_SL_SM_SN_EUlS10_E_NS1_11comp_targetILNS1_3genE0ELNS1_11target_archE4294967295ELNS1_3gpuE0ELNS1_3repE0EEENS1_48merge_mergepath_partition_config_static_selectorELNS0_4arch9wavefront6targetE1EEEvSM_
    .private_segment_fixed_size: 0
    .sgpr_count:     38
    .sgpr_spill_count: 0
    .symbol:         _ZN7rocprim17ROCPRIM_400000_NS6detail17trampoline_kernelINS0_14default_configENS1_38merge_sort_block_merge_config_selectorIlNS0_10empty_typeEEEZZNS1_27merge_sort_block_merge_implIS3_PlPS5_mZN2at6native12_GLOBAL__N_124unique_dim_cuda_templateItEESt5tupleIJNSA_6TensorESF_SF_EERKSF_lbbbEUlllE_EE10hipError_tT0_T1_T2_jT3_P12ihipStream_tbPNSt15iterator_traitsISL_E10value_typeEPNSR_ISM_E10value_typeEPSN_NS1_7vsmem_tEENKUlT_SL_SM_SN_E_clIS8_S8_S9_S9_EESK_S10_SL_SM_SN_EUlS10_E_NS1_11comp_targetILNS1_3genE0ELNS1_11target_archE4294967295ELNS1_3gpuE0ELNS1_3repE0EEENS1_48merge_mergepath_partition_config_static_selectorELNS0_4arch9wavefront6targetE1EEEvSM_.kd
    .uniform_work_group_size: 1
    .uses_dynamic_stack: false
    .vgpr_count:     23
    .vgpr_spill_count: 0
    .wavefront_size: 64
  - .agpr_count:     0
    .args:
      - .offset:         0
        .size:           56
        .value_kind:     by_value
    .group_segment_fixed_size: 0
    .kernarg_segment_align: 8
    .kernarg_segment_size: 56
    .language:       OpenCL C
    .language_version:
      - 2
      - 0
    .max_flat_workgroup_size: 128
    .name:           _ZN7rocprim17ROCPRIM_400000_NS6detail17trampoline_kernelINS0_14default_configENS1_38merge_sort_block_merge_config_selectorIlNS0_10empty_typeEEEZZNS1_27merge_sort_block_merge_implIS3_PlPS5_mZN2at6native12_GLOBAL__N_124unique_dim_cuda_templateItEESt5tupleIJNSA_6TensorESF_SF_EERKSF_lbbbEUlllE_EE10hipError_tT0_T1_T2_jT3_P12ihipStream_tbPNSt15iterator_traitsISL_E10value_typeEPNSR_ISM_E10value_typeEPSN_NS1_7vsmem_tEENKUlT_SL_SM_SN_E_clIS8_S8_S9_S9_EESK_S10_SL_SM_SN_EUlS10_E_NS1_11comp_targetILNS1_3genE10ELNS1_11target_archE1201ELNS1_3gpuE5ELNS1_3repE0EEENS1_48merge_mergepath_partition_config_static_selectorELNS0_4arch9wavefront6targetE1EEEvSM_
    .private_segment_fixed_size: 0
    .sgpr_count:     6
    .sgpr_spill_count: 0
    .symbol:         _ZN7rocprim17ROCPRIM_400000_NS6detail17trampoline_kernelINS0_14default_configENS1_38merge_sort_block_merge_config_selectorIlNS0_10empty_typeEEEZZNS1_27merge_sort_block_merge_implIS3_PlPS5_mZN2at6native12_GLOBAL__N_124unique_dim_cuda_templateItEESt5tupleIJNSA_6TensorESF_SF_EERKSF_lbbbEUlllE_EE10hipError_tT0_T1_T2_jT3_P12ihipStream_tbPNSt15iterator_traitsISL_E10value_typeEPNSR_ISM_E10value_typeEPSN_NS1_7vsmem_tEENKUlT_SL_SM_SN_E_clIS8_S8_S9_S9_EESK_S10_SL_SM_SN_EUlS10_E_NS1_11comp_targetILNS1_3genE10ELNS1_11target_archE1201ELNS1_3gpuE5ELNS1_3repE0EEENS1_48merge_mergepath_partition_config_static_selectorELNS0_4arch9wavefront6targetE1EEEvSM_.kd
    .uniform_work_group_size: 1
    .uses_dynamic_stack: false
    .vgpr_count:     0
    .vgpr_spill_count: 0
    .wavefront_size: 64
  - .agpr_count:     0
    .args:
      - .offset:         0
        .size:           56
        .value_kind:     by_value
    .group_segment_fixed_size: 0
    .kernarg_segment_align: 8
    .kernarg_segment_size: 56
    .language:       OpenCL C
    .language_version:
      - 2
      - 0
    .max_flat_workgroup_size: 128
    .name:           _ZN7rocprim17ROCPRIM_400000_NS6detail17trampoline_kernelINS0_14default_configENS1_38merge_sort_block_merge_config_selectorIlNS0_10empty_typeEEEZZNS1_27merge_sort_block_merge_implIS3_PlPS5_mZN2at6native12_GLOBAL__N_124unique_dim_cuda_templateItEESt5tupleIJNSA_6TensorESF_SF_EERKSF_lbbbEUlllE_EE10hipError_tT0_T1_T2_jT3_P12ihipStream_tbPNSt15iterator_traitsISL_E10value_typeEPNSR_ISM_E10value_typeEPSN_NS1_7vsmem_tEENKUlT_SL_SM_SN_E_clIS8_S8_S9_S9_EESK_S10_SL_SM_SN_EUlS10_E_NS1_11comp_targetILNS1_3genE5ELNS1_11target_archE942ELNS1_3gpuE9ELNS1_3repE0EEENS1_48merge_mergepath_partition_config_static_selectorELNS0_4arch9wavefront6targetE1EEEvSM_
    .private_segment_fixed_size: 0
    .sgpr_count:     6
    .sgpr_spill_count: 0
    .symbol:         _ZN7rocprim17ROCPRIM_400000_NS6detail17trampoline_kernelINS0_14default_configENS1_38merge_sort_block_merge_config_selectorIlNS0_10empty_typeEEEZZNS1_27merge_sort_block_merge_implIS3_PlPS5_mZN2at6native12_GLOBAL__N_124unique_dim_cuda_templateItEESt5tupleIJNSA_6TensorESF_SF_EERKSF_lbbbEUlllE_EE10hipError_tT0_T1_T2_jT3_P12ihipStream_tbPNSt15iterator_traitsISL_E10value_typeEPNSR_ISM_E10value_typeEPSN_NS1_7vsmem_tEENKUlT_SL_SM_SN_E_clIS8_S8_S9_S9_EESK_S10_SL_SM_SN_EUlS10_E_NS1_11comp_targetILNS1_3genE5ELNS1_11target_archE942ELNS1_3gpuE9ELNS1_3repE0EEENS1_48merge_mergepath_partition_config_static_selectorELNS0_4arch9wavefront6targetE1EEEvSM_.kd
    .uniform_work_group_size: 1
    .uses_dynamic_stack: false
    .vgpr_count:     0
    .vgpr_spill_count: 0
    .wavefront_size: 64
  - .agpr_count:     0
    .args:
      - .offset:         0
        .size:           56
        .value_kind:     by_value
    .group_segment_fixed_size: 0
    .kernarg_segment_align: 8
    .kernarg_segment_size: 56
    .language:       OpenCL C
    .language_version:
      - 2
      - 0
    .max_flat_workgroup_size: 128
    .name:           _ZN7rocprim17ROCPRIM_400000_NS6detail17trampoline_kernelINS0_14default_configENS1_38merge_sort_block_merge_config_selectorIlNS0_10empty_typeEEEZZNS1_27merge_sort_block_merge_implIS3_PlPS5_mZN2at6native12_GLOBAL__N_124unique_dim_cuda_templateItEESt5tupleIJNSA_6TensorESF_SF_EERKSF_lbbbEUlllE_EE10hipError_tT0_T1_T2_jT3_P12ihipStream_tbPNSt15iterator_traitsISL_E10value_typeEPNSR_ISM_E10value_typeEPSN_NS1_7vsmem_tEENKUlT_SL_SM_SN_E_clIS8_S8_S9_S9_EESK_S10_SL_SM_SN_EUlS10_E_NS1_11comp_targetILNS1_3genE4ELNS1_11target_archE910ELNS1_3gpuE8ELNS1_3repE0EEENS1_48merge_mergepath_partition_config_static_selectorELNS0_4arch9wavefront6targetE1EEEvSM_
    .private_segment_fixed_size: 0
    .sgpr_count:     6
    .sgpr_spill_count: 0
    .symbol:         _ZN7rocprim17ROCPRIM_400000_NS6detail17trampoline_kernelINS0_14default_configENS1_38merge_sort_block_merge_config_selectorIlNS0_10empty_typeEEEZZNS1_27merge_sort_block_merge_implIS3_PlPS5_mZN2at6native12_GLOBAL__N_124unique_dim_cuda_templateItEESt5tupleIJNSA_6TensorESF_SF_EERKSF_lbbbEUlllE_EE10hipError_tT0_T1_T2_jT3_P12ihipStream_tbPNSt15iterator_traitsISL_E10value_typeEPNSR_ISM_E10value_typeEPSN_NS1_7vsmem_tEENKUlT_SL_SM_SN_E_clIS8_S8_S9_S9_EESK_S10_SL_SM_SN_EUlS10_E_NS1_11comp_targetILNS1_3genE4ELNS1_11target_archE910ELNS1_3gpuE8ELNS1_3repE0EEENS1_48merge_mergepath_partition_config_static_selectorELNS0_4arch9wavefront6targetE1EEEvSM_.kd
    .uniform_work_group_size: 1
    .uses_dynamic_stack: false
    .vgpr_count:     0
    .vgpr_spill_count: 0
    .wavefront_size: 64
  - .agpr_count:     0
    .args:
      - .offset:         0
        .size:           56
        .value_kind:     by_value
    .group_segment_fixed_size: 0
    .kernarg_segment_align: 8
    .kernarg_segment_size: 56
    .language:       OpenCL C
    .language_version:
      - 2
      - 0
    .max_flat_workgroup_size: 128
    .name:           _ZN7rocprim17ROCPRIM_400000_NS6detail17trampoline_kernelINS0_14default_configENS1_38merge_sort_block_merge_config_selectorIlNS0_10empty_typeEEEZZNS1_27merge_sort_block_merge_implIS3_PlPS5_mZN2at6native12_GLOBAL__N_124unique_dim_cuda_templateItEESt5tupleIJNSA_6TensorESF_SF_EERKSF_lbbbEUlllE_EE10hipError_tT0_T1_T2_jT3_P12ihipStream_tbPNSt15iterator_traitsISL_E10value_typeEPNSR_ISM_E10value_typeEPSN_NS1_7vsmem_tEENKUlT_SL_SM_SN_E_clIS8_S8_S9_S9_EESK_S10_SL_SM_SN_EUlS10_E_NS1_11comp_targetILNS1_3genE3ELNS1_11target_archE908ELNS1_3gpuE7ELNS1_3repE0EEENS1_48merge_mergepath_partition_config_static_selectorELNS0_4arch9wavefront6targetE1EEEvSM_
    .private_segment_fixed_size: 0
    .sgpr_count:     6
    .sgpr_spill_count: 0
    .symbol:         _ZN7rocprim17ROCPRIM_400000_NS6detail17trampoline_kernelINS0_14default_configENS1_38merge_sort_block_merge_config_selectorIlNS0_10empty_typeEEEZZNS1_27merge_sort_block_merge_implIS3_PlPS5_mZN2at6native12_GLOBAL__N_124unique_dim_cuda_templateItEESt5tupleIJNSA_6TensorESF_SF_EERKSF_lbbbEUlllE_EE10hipError_tT0_T1_T2_jT3_P12ihipStream_tbPNSt15iterator_traitsISL_E10value_typeEPNSR_ISM_E10value_typeEPSN_NS1_7vsmem_tEENKUlT_SL_SM_SN_E_clIS8_S8_S9_S9_EESK_S10_SL_SM_SN_EUlS10_E_NS1_11comp_targetILNS1_3genE3ELNS1_11target_archE908ELNS1_3gpuE7ELNS1_3repE0EEENS1_48merge_mergepath_partition_config_static_selectorELNS0_4arch9wavefront6targetE1EEEvSM_.kd
    .uniform_work_group_size: 1
    .uses_dynamic_stack: false
    .vgpr_count:     0
    .vgpr_spill_count: 0
    .wavefront_size: 64
  - .agpr_count:     0
    .args:
      - .offset:         0
        .size:           56
        .value_kind:     by_value
    .group_segment_fixed_size: 0
    .kernarg_segment_align: 8
    .kernarg_segment_size: 56
    .language:       OpenCL C
    .language_version:
      - 2
      - 0
    .max_flat_workgroup_size: 128
    .name:           _ZN7rocprim17ROCPRIM_400000_NS6detail17trampoline_kernelINS0_14default_configENS1_38merge_sort_block_merge_config_selectorIlNS0_10empty_typeEEEZZNS1_27merge_sort_block_merge_implIS3_PlPS5_mZN2at6native12_GLOBAL__N_124unique_dim_cuda_templateItEESt5tupleIJNSA_6TensorESF_SF_EERKSF_lbbbEUlllE_EE10hipError_tT0_T1_T2_jT3_P12ihipStream_tbPNSt15iterator_traitsISL_E10value_typeEPNSR_ISM_E10value_typeEPSN_NS1_7vsmem_tEENKUlT_SL_SM_SN_E_clIS8_S8_S9_S9_EESK_S10_SL_SM_SN_EUlS10_E_NS1_11comp_targetILNS1_3genE2ELNS1_11target_archE906ELNS1_3gpuE6ELNS1_3repE0EEENS1_48merge_mergepath_partition_config_static_selectorELNS0_4arch9wavefront6targetE1EEEvSM_
    .private_segment_fixed_size: 0
    .sgpr_count:     6
    .sgpr_spill_count: 0
    .symbol:         _ZN7rocprim17ROCPRIM_400000_NS6detail17trampoline_kernelINS0_14default_configENS1_38merge_sort_block_merge_config_selectorIlNS0_10empty_typeEEEZZNS1_27merge_sort_block_merge_implIS3_PlPS5_mZN2at6native12_GLOBAL__N_124unique_dim_cuda_templateItEESt5tupleIJNSA_6TensorESF_SF_EERKSF_lbbbEUlllE_EE10hipError_tT0_T1_T2_jT3_P12ihipStream_tbPNSt15iterator_traitsISL_E10value_typeEPNSR_ISM_E10value_typeEPSN_NS1_7vsmem_tEENKUlT_SL_SM_SN_E_clIS8_S8_S9_S9_EESK_S10_SL_SM_SN_EUlS10_E_NS1_11comp_targetILNS1_3genE2ELNS1_11target_archE906ELNS1_3gpuE6ELNS1_3repE0EEENS1_48merge_mergepath_partition_config_static_selectorELNS0_4arch9wavefront6targetE1EEEvSM_.kd
    .uniform_work_group_size: 1
    .uses_dynamic_stack: false
    .vgpr_count:     0
    .vgpr_spill_count: 0
    .wavefront_size: 64
  - .agpr_count:     0
    .args:
      - .offset:         0
        .size:           56
        .value_kind:     by_value
    .group_segment_fixed_size: 0
    .kernarg_segment_align: 8
    .kernarg_segment_size: 56
    .language:       OpenCL C
    .language_version:
      - 2
      - 0
    .max_flat_workgroup_size: 128
    .name:           _ZN7rocprim17ROCPRIM_400000_NS6detail17trampoline_kernelINS0_14default_configENS1_38merge_sort_block_merge_config_selectorIlNS0_10empty_typeEEEZZNS1_27merge_sort_block_merge_implIS3_PlPS5_mZN2at6native12_GLOBAL__N_124unique_dim_cuda_templateItEESt5tupleIJNSA_6TensorESF_SF_EERKSF_lbbbEUlllE_EE10hipError_tT0_T1_T2_jT3_P12ihipStream_tbPNSt15iterator_traitsISL_E10value_typeEPNSR_ISM_E10value_typeEPSN_NS1_7vsmem_tEENKUlT_SL_SM_SN_E_clIS8_S8_S9_S9_EESK_S10_SL_SM_SN_EUlS10_E_NS1_11comp_targetILNS1_3genE9ELNS1_11target_archE1100ELNS1_3gpuE3ELNS1_3repE0EEENS1_48merge_mergepath_partition_config_static_selectorELNS0_4arch9wavefront6targetE1EEEvSM_
    .private_segment_fixed_size: 0
    .sgpr_count:     6
    .sgpr_spill_count: 0
    .symbol:         _ZN7rocprim17ROCPRIM_400000_NS6detail17trampoline_kernelINS0_14default_configENS1_38merge_sort_block_merge_config_selectorIlNS0_10empty_typeEEEZZNS1_27merge_sort_block_merge_implIS3_PlPS5_mZN2at6native12_GLOBAL__N_124unique_dim_cuda_templateItEESt5tupleIJNSA_6TensorESF_SF_EERKSF_lbbbEUlllE_EE10hipError_tT0_T1_T2_jT3_P12ihipStream_tbPNSt15iterator_traitsISL_E10value_typeEPNSR_ISM_E10value_typeEPSN_NS1_7vsmem_tEENKUlT_SL_SM_SN_E_clIS8_S8_S9_S9_EESK_S10_SL_SM_SN_EUlS10_E_NS1_11comp_targetILNS1_3genE9ELNS1_11target_archE1100ELNS1_3gpuE3ELNS1_3repE0EEENS1_48merge_mergepath_partition_config_static_selectorELNS0_4arch9wavefront6targetE1EEEvSM_.kd
    .uniform_work_group_size: 1
    .uses_dynamic_stack: false
    .vgpr_count:     0
    .vgpr_spill_count: 0
    .wavefront_size: 64
  - .agpr_count:     0
    .args:
      - .offset:         0
        .size:           56
        .value_kind:     by_value
    .group_segment_fixed_size: 0
    .kernarg_segment_align: 8
    .kernarg_segment_size: 56
    .language:       OpenCL C
    .language_version:
      - 2
      - 0
    .max_flat_workgroup_size: 128
    .name:           _ZN7rocprim17ROCPRIM_400000_NS6detail17trampoline_kernelINS0_14default_configENS1_38merge_sort_block_merge_config_selectorIlNS0_10empty_typeEEEZZNS1_27merge_sort_block_merge_implIS3_PlPS5_mZN2at6native12_GLOBAL__N_124unique_dim_cuda_templateItEESt5tupleIJNSA_6TensorESF_SF_EERKSF_lbbbEUlllE_EE10hipError_tT0_T1_T2_jT3_P12ihipStream_tbPNSt15iterator_traitsISL_E10value_typeEPNSR_ISM_E10value_typeEPSN_NS1_7vsmem_tEENKUlT_SL_SM_SN_E_clIS8_S8_S9_S9_EESK_S10_SL_SM_SN_EUlS10_E_NS1_11comp_targetILNS1_3genE8ELNS1_11target_archE1030ELNS1_3gpuE2ELNS1_3repE0EEENS1_48merge_mergepath_partition_config_static_selectorELNS0_4arch9wavefront6targetE1EEEvSM_
    .private_segment_fixed_size: 0
    .sgpr_count:     6
    .sgpr_spill_count: 0
    .symbol:         _ZN7rocprim17ROCPRIM_400000_NS6detail17trampoline_kernelINS0_14default_configENS1_38merge_sort_block_merge_config_selectorIlNS0_10empty_typeEEEZZNS1_27merge_sort_block_merge_implIS3_PlPS5_mZN2at6native12_GLOBAL__N_124unique_dim_cuda_templateItEESt5tupleIJNSA_6TensorESF_SF_EERKSF_lbbbEUlllE_EE10hipError_tT0_T1_T2_jT3_P12ihipStream_tbPNSt15iterator_traitsISL_E10value_typeEPNSR_ISM_E10value_typeEPSN_NS1_7vsmem_tEENKUlT_SL_SM_SN_E_clIS8_S8_S9_S9_EESK_S10_SL_SM_SN_EUlS10_E_NS1_11comp_targetILNS1_3genE8ELNS1_11target_archE1030ELNS1_3gpuE2ELNS1_3repE0EEENS1_48merge_mergepath_partition_config_static_selectorELNS0_4arch9wavefront6targetE1EEEvSM_.kd
    .uniform_work_group_size: 1
    .uses_dynamic_stack: false
    .vgpr_count:     0
    .vgpr_spill_count: 0
    .wavefront_size: 64
  - .agpr_count:     0
    .args:
      - .offset:         0
        .size:           88
        .value_kind:     by_value
      - .offset:         88
        .size:           4
        .value_kind:     hidden_block_count_x
      - .offset:         92
        .size:           4
        .value_kind:     hidden_block_count_y
      - .offset:         96
        .size:           4
        .value_kind:     hidden_block_count_z
      - .offset:         100
        .size:           2
        .value_kind:     hidden_group_size_x
      - .offset:         102
        .size:           2
        .value_kind:     hidden_group_size_y
      - .offset:         104
        .size:           2
        .value_kind:     hidden_group_size_z
      - .offset:         106
        .size:           2
        .value_kind:     hidden_remainder_x
      - .offset:         108
        .size:           2
        .value_kind:     hidden_remainder_y
      - .offset:         110
        .size:           2
        .value_kind:     hidden_remainder_z
      - .offset:         128
        .size:           8
        .value_kind:     hidden_global_offset_x
      - .offset:         136
        .size:           8
        .value_kind:     hidden_global_offset_y
      - .offset:         144
        .size:           8
        .value_kind:     hidden_global_offset_z
      - .offset:         152
        .size:           2
        .value_kind:     hidden_grid_dims
    .group_segment_fixed_size: 8448
    .kernarg_segment_align: 8
    .kernarg_segment_size: 344
    .language:       OpenCL C
    .language_version:
      - 2
      - 0
    .max_flat_workgroup_size: 128
    .name:           _ZN7rocprim17ROCPRIM_400000_NS6detail17trampoline_kernelINS0_14default_configENS1_38merge_sort_block_merge_config_selectorIlNS0_10empty_typeEEEZZNS1_27merge_sort_block_merge_implIS3_PlPS5_mZN2at6native12_GLOBAL__N_124unique_dim_cuda_templateItEESt5tupleIJNSA_6TensorESF_SF_EERKSF_lbbbEUlllE_EE10hipError_tT0_T1_T2_jT3_P12ihipStream_tbPNSt15iterator_traitsISL_E10value_typeEPNSR_ISM_E10value_typeEPSN_NS1_7vsmem_tEENKUlT_SL_SM_SN_E_clIS8_S8_S9_S9_EESK_S10_SL_SM_SN_EUlS10_E0_NS1_11comp_targetILNS1_3genE0ELNS1_11target_archE4294967295ELNS1_3gpuE0ELNS1_3repE0EEENS1_38merge_mergepath_config_static_selectorELNS0_4arch9wavefront6targetE1EEEvSM_
    .private_segment_fixed_size: 0
    .sgpr_count:     58
    .sgpr_spill_count: 0
    .symbol:         _ZN7rocprim17ROCPRIM_400000_NS6detail17trampoline_kernelINS0_14default_configENS1_38merge_sort_block_merge_config_selectorIlNS0_10empty_typeEEEZZNS1_27merge_sort_block_merge_implIS3_PlPS5_mZN2at6native12_GLOBAL__N_124unique_dim_cuda_templateItEESt5tupleIJNSA_6TensorESF_SF_EERKSF_lbbbEUlllE_EE10hipError_tT0_T1_T2_jT3_P12ihipStream_tbPNSt15iterator_traitsISL_E10value_typeEPNSR_ISM_E10value_typeEPSN_NS1_7vsmem_tEENKUlT_SL_SM_SN_E_clIS8_S8_S9_S9_EESK_S10_SL_SM_SN_EUlS10_E0_NS1_11comp_targetILNS1_3genE0ELNS1_11target_archE4294967295ELNS1_3gpuE0ELNS1_3repE0EEENS1_38merge_mergepath_config_static_selectorELNS0_4arch9wavefront6targetE1EEEvSM_.kd
    .uniform_work_group_size: 1
    .uses_dynamic_stack: false
    .vgpr_count:     38
    .vgpr_spill_count: 0
    .wavefront_size: 64
  - .agpr_count:     0
    .args:
      - .offset:         0
        .size:           88
        .value_kind:     by_value
    .group_segment_fixed_size: 0
    .kernarg_segment_align: 8
    .kernarg_segment_size: 88
    .language:       OpenCL C
    .language_version:
      - 2
      - 0
    .max_flat_workgroup_size: 512
    .name:           _ZN7rocprim17ROCPRIM_400000_NS6detail17trampoline_kernelINS0_14default_configENS1_38merge_sort_block_merge_config_selectorIlNS0_10empty_typeEEEZZNS1_27merge_sort_block_merge_implIS3_PlPS5_mZN2at6native12_GLOBAL__N_124unique_dim_cuda_templateItEESt5tupleIJNSA_6TensorESF_SF_EERKSF_lbbbEUlllE_EE10hipError_tT0_T1_T2_jT3_P12ihipStream_tbPNSt15iterator_traitsISL_E10value_typeEPNSR_ISM_E10value_typeEPSN_NS1_7vsmem_tEENKUlT_SL_SM_SN_E_clIS8_S8_S9_S9_EESK_S10_SL_SM_SN_EUlS10_E0_NS1_11comp_targetILNS1_3genE10ELNS1_11target_archE1201ELNS1_3gpuE5ELNS1_3repE0EEENS1_38merge_mergepath_config_static_selectorELNS0_4arch9wavefront6targetE1EEEvSM_
    .private_segment_fixed_size: 0
    .sgpr_count:     6
    .sgpr_spill_count: 0
    .symbol:         _ZN7rocprim17ROCPRIM_400000_NS6detail17trampoline_kernelINS0_14default_configENS1_38merge_sort_block_merge_config_selectorIlNS0_10empty_typeEEEZZNS1_27merge_sort_block_merge_implIS3_PlPS5_mZN2at6native12_GLOBAL__N_124unique_dim_cuda_templateItEESt5tupleIJNSA_6TensorESF_SF_EERKSF_lbbbEUlllE_EE10hipError_tT0_T1_T2_jT3_P12ihipStream_tbPNSt15iterator_traitsISL_E10value_typeEPNSR_ISM_E10value_typeEPSN_NS1_7vsmem_tEENKUlT_SL_SM_SN_E_clIS8_S8_S9_S9_EESK_S10_SL_SM_SN_EUlS10_E0_NS1_11comp_targetILNS1_3genE10ELNS1_11target_archE1201ELNS1_3gpuE5ELNS1_3repE0EEENS1_38merge_mergepath_config_static_selectorELNS0_4arch9wavefront6targetE1EEEvSM_.kd
    .uniform_work_group_size: 1
    .uses_dynamic_stack: false
    .vgpr_count:     0
    .vgpr_spill_count: 0
    .wavefront_size: 64
  - .agpr_count:     0
    .args:
      - .offset:         0
        .size:           88
        .value_kind:     by_value
    .group_segment_fixed_size: 0
    .kernarg_segment_align: 8
    .kernarg_segment_size: 88
    .language:       OpenCL C
    .language_version:
      - 2
      - 0
    .max_flat_workgroup_size: 128
    .name:           _ZN7rocprim17ROCPRIM_400000_NS6detail17trampoline_kernelINS0_14default_configENS1_38merge_sort_block_merge_config_selectorIlNS0_10empty_typeEEEZZNS1_27merge_sort_block_merge_implIS3_PlPS5_mZN2at6native12_GLOBAL__N_124unique_dim_cuda_templateItEESt5tupleIJNSA_6TensorESF_SF_EERKSF_lbbbEUlllE_EE10hipError_tT0_T1_T2_jT3_P12ihipStream_tbPNSt15iterator_traitsISL_E10value_typeEPNSR_ISM_E10value_typeEPSN_NS1_7vsmem_tEENKUlT_SL_SM_SN_E_clIS8_S8_S9_S9_EESK_S10_SL_SM_SN_EUlS10_E0_NS1_11comp_targetILNS1_3genE5ELNS1_11target_archE942ELNS1_3gpuE9ELNS1_3repE0EEENS1_38merge_mergepath_config_static_selectorELNS0_4arch9wavefront6targetE1EEEvSM_
    .private_segment_fixed_size: 0
    .sgpr_count:     6
    .sgpr_spill_count: 0
    .symbol:         _ZN7rocprim17ROCPRIM_400000_NS6detail17trampoline_kernelINS0_14default_configENS1_38merge_sort_block_merge_config_selectorIlNS0_10empty_typeEEEZZNS1_27merge_sort_block_merge_implIS3_PlPS5_mZN2at6native12_GLOBAL__N_124unique_dim_cuda_templateItEESt5tupleIJNSA_6TensorESF_SF_EERKSF_lbbbEUlllE_EE10hipError_tT0_T1_T2_jT3_P12ihipStream_tbPNSt15iterator_traitsISL_E10value_typeEPNSR_ISM_E10value_typeEPSN_NS1_7vsmem_tEENKUlT_SL_SM_SN_E_clIS8_S8_S9_S9_EESK_S10_SL_SM_SN_EUlS10_E0_NS1_11comp_targetILNS1_3genE5ELNS1_11target_archE942ELNS1_3gpuE9ELNS1_3repE0EEENS1_38merge_mergepath_config_static_selectorELNS0_4arch9wavefront6targetE1EEEvSM_.kd
    .uniform_work_group_size: 1
    .uses_dynamic_stack: false
    .vgpr_count:     0
    .vgpr_spill_count: 0
    .wavefront_size: 64
  - .agpr_count:     0
    .args:
      - .offset:         0
        .size:           88
        .value_kind:     by_value
    .group_segment_fixed_size: 0
    .kernarg_segment_align: 8
    .kernarg_segment_size: 88
    .language:       OpenCL C
    .language_version:
      - 2
      - 0
    .max_flat_workgroup_size: 256
    .name:           _ZN7rocprim17ROCPRIM_400000_NS6detail17trampoline_kernelINS0_14default_configENS1_38merge_sort_block_merge_config_selectorIlNS0_10empty_typeEEEZZNS1_27merge_sort_block_merge_implIS3_PlPS5_mZN2at6native12_GLOBAL__N_124unique_dim_cuda_templateItEESt5tupleIJNSA_6TensorESF_SF_EERKSF_lbbbEUlllE_EE10hipError_tT0_T1_T2_jT3_P12ihipStream_tbPNSt15iterator_traitsISL_E10value_typeEPNSR_ISM_E10value_typeEPSN_NS1_7vsmem_tEENKUlT_SL_SM_SN_E_clIS8_S8_S9_S9_EESK_S10_SL_SM_SN_EUlS10_E0_NS1_11comp_targetILNS1_3genE4ELNS1_11target_archE910ELNS1_3gpuE8ELNS1_3repE0EEENS1_38merge_mergepath_config_static_selectorELNS0_4arch9wavefront6targetE1EEEvSM_
    .private_segment_fixed_size: 0
    .sgpr_count:     6
    .sgpr_spill_count: 0
    .symbol:         _ZN7rocprim17ROCPRIM_400000_NS6detail17trampoline_kernelINS0_14default_configENS1_38merge_sort_block_merge_config_selectorIlNS0_10empty_typeEEEZZNS1_27merge_sort_block_merge_implIS3_PlPS5_mZN2at6native12_GLOBAL__N_124unique_dim_cuda_templateItEESt5tupleIJNSA_6TensorESF_SF_EERKSF_lbbbEUlllE_EE10hipError_tT0_T1_T2_jT3_P12ihipStream_tbPNSt15iterator_traitsISL_E10value_typeEPNSR_ISM_E10value_typeEPSN_NS1_7vsmem_tEENKUlT_SL_SM_SN_E_clIS8_S8_S9_S9_EESK_S10_SL_SM_SN_EUlS10_E0_NS1_11comp_targetILNS1_3genE4ELNS1_11target_archE910ELNS1_3gpuE8ELNS1_3repE0EEENS1_38merge_mergepath_config_static_selectorELNS0_4arch9wavefront6targetE1EEEvSM_.kd
    .uniform_work_group_size: 1
    .uses_dynamic_stack: false
    .vgpr_count:     0
    .vgpr_spill_count: 0
    .wavefront_size: 64
  - .agpr_count:     0
    .args:
      - .offset:         0
        .size:           88
        .value_kind:     by_value
    .group_segment_fixed_size: 0
    .kernarg_segment_align: 8
    .kernarg_segment_size: 88
    .language:       OpenCL C
    .language_version:
      - 2
      - 0
    .max_flat_workgroup_size: 128
    .name:           _ZN7rocprim17ROCPRIM_400000_NS6detail17trampoline_kernelINS0_14default_configENS1_38merge_sort_block_merge_config_selectorIlNS0_10empty_typeEEEZZNS1_27merge_sort_block_merge_implIS3_PlPS5_mZN2at6native12_GLOBAL__N_124unique_dim_cuda_templateItEESt5tupleIJNSA_6TensorESF_SF_EERKSF_lbbbEUlllE_EE10hipError_tT0_T1_T2_jT3_P12ihipStream_tbPNSt15iterator_traitsISL_E10value_typeEPNSR_ISM_E10value_typeEPSN_NS1_7vsmem_tEENKUlT_SL_SM_SN_E_clIS8_S8_S9_S9_EESK_S10_SL_SM_SN_EUlS10_E0_NS1_11comp_targetILNS1_3genE3ELNS1_11target_archE908ELNS1_3gpuE7ELNS1_3repE0EEENS1_38merge_mergepath_config_static_selectorELNS0_4arch9wavefront6targetE1EEEvSM_
    .private_segment_fixed_size: 0
    .sgpr_count:     6
    .sgpr_spill_count: 0
    .symbol:         _ZN7rocprim17ROCPRIM_400000_NS6detail17trampoline_kernelINS0_14default_configENS1_38merge_sort_block_merge_config_selectorIlNS0_10empty_typeEEEZZNS1_27merge_sort_block_merge_implIS3_PlPS5_mZN2at6native12_GLOBAL__N_124unique_dim_cuda_templateItEESt5tupleIJNSA_6TensorESF_SF_EERKSF_lbbbEUlllE_EE10hipError_tT0_T1_T2_jT3_P12ihipStream_tbPNSt15iterator_traitsISL_E10value_typeEPNSR_ISM_E10value_typeEPSN_NS1_7vsmem_tEENKUlT_SL_SM_SN_E_clIS8_S8_S9_S9_EESK_S10_SL_SM_SN_EUlS10_E0_NS1_11comp_targetILNS1_3genE3ELNS1_11target_archE908ELNS1_3gpuE7ELNS1_3repE0EEENS1_38merge_mergepath_config_static_selectorELNS0_4arch9wavefront6targetE1EEEvSM_.kd
    .uniform_work_group_size: 1
    .uses_dynamic_stack: false
    .vgpr_count:     0
    .vgpr_spill_count: 0
    .wavefront_size: 64
  - .agpr_count:     0
    .args:
      - .offset:         0
        .size:           88
        .value_kind:     by_value
    .group_segment_fixed_size: 0
    .kernarg_segment_align: 8
    .kernarg_segment_size: 88
    .language:       OpenCL C
    .language_version:
      - 2
      - 0
    .max_flat_workgroup_size: 256
    .name:           _ZN7rocprim17ROCPRIM_400000_NS6detail17trampoline_kernelINS0_14default_configENS1_38merge_sort_block_merge_config_selectorIlNS0_10empty_typeEEEZZNS1_27merge_sort_block_merge_implIS3_PlPS5_mZN2at6native12_GLOBAL__N_124unique_dim_cuda_templateItEESt5tupleIJNSA_6TensorESF_SF_EERKSF_lbbbEUlllE_EE10hipError_tT0_T1_T2_jT3_P12ihipStream_tbPNSt15iterator_traitsISL_E10value_typeEPNSR_ISM_E10value_typeEPSN_NS1_7vsmem_tEENKUlT_SL_SM_SN_E_clIS8_S8_S9_S9_EESK_S10_SL_SM_SN_EUlS10_E0_NS1_11comp_targetILNS1_3genE2ELNS1_11target_archE906ELNS1_3gpuE6ELNS1_3repE0EEENS1_38merge_mergepath_config_static_selectorELNS0_4arch9wavefront6targetE1EEEvSM_
    .private_segment_fixed_size: 0
    .sgpr_count:     6
    .sgpr_spill_count: 0
    .symbol:         _ZN7rocprim17ROCPRIM_400000_NS6detail17trampoline_kernelINS0_14default_configENS1_38merge_sort_block_merge_config_selectorIlNS0_10empty_typeEEEZZNS1_27merge_sort_block_merge_implIS3_PlPS5_mZN2at6native12_GLOBAL__N_124unique_dim_cuda_templateItEESt5tupleIJNSA_6TensorESF_SF_EERKSF_lbbbEUlllE_EE10hipError_tT0_T1_T2_jT3_P12ihipStream_tbPNSt15iterator_traitsISL_E10value_typeEPNSR_ISM_E10value_typeEPSN_NS1_7vsmem_tEENKUlT_SL_SM_SN_E_clIS8_S8_S9_S9_EESK_S10_SL_SM_SN_EUlS10_E0_NS1_11comp_targetILNS1_3genE2ELNS1_11target_archE906ELNS1_3gpuE6ELNS1_3repE0EEENS1_38merge_mergepath_config_static_selectorELNS0_4arch9wavefront6targetE1EEEvSM_.kd
    .uniform_work_group_size: 1
    .uses_dynamic_stack: false
    .vgpr_count:     0
    .vgpr_spill_count: 0
    .wavefront_size: 64
  - .agpr_count:     0
    .args:
      - .offset:         0
        .size:           88
        .value_kind:     by_value
    .group_segment_fixed_size: 0
    .kernarg_segment_align: 8
    .kernarg_segment_size: 88
    .language:       OpenCL C
    .language_version:
      - 2
      - 0
    .max_flat_workgroup_size: 512
    .name:           _ZN7rocprim17ROCPRIM_400000_NS6detail17trampoline_kernelINS0_14default_configENS1_38merge_sort_block_merge_config_selectorIlNS0_10empty_typeEEEZZNS1_27merge_sort_block_merge_implIS3_PlPS5_mZN2at6native12_GLOBAL__N_124unique_dim_cuda_templateItEESt5tupleIJNSA_6TensorESF_SF_EERKSF_lbbbEUlllE_EE10hipError_tT0_T1_T2_jT3_P12ihipStream_tbPNSt15iterator_traitsISL_E10value_typeEPNSR_ISM_E10value_typeEPSN_NS1_7vsmem_tEENKUlT_SL_SM_SN_E_clIS8_S8_S9_S9_EESK_S10_SL_SM_SN_EUlS10_E0_NS1_11comp_targetILNS1_3genE9ELNS1_11target_archE1100ELNS1_3gpuE3ELNS1_3repE0EEENS1_38merge_mergepath_config_static_selectorELNS0_4arch9wavefront6targetE1EEEvSM_
    .private_segment_fixed_size: 0
    .sgpr_count:     6
    .sgpr_spill_count: 0
    .symbol:         _ZN7rocprim17ROCPRIM_400000_NS6detail17trampoline_kernelINS0_14default_configENS1_38merge_sort_block_merge_config_selectorIlNS0_10empty_typeEEEZZNS1_27merge_sort_block_merge_implIS3_PlPS5_mZN2at6native12_GLOBAL__N_124unique_dim_cuda_templateItEESt5tupleIJNSA_6TensorESF_SF_EERKSF_lbbbEUlllE_EE10hipError_tT0_T1_T2_jT3_P12ihipStream_tbPNSt15iterator_traitsISL_E10value_typeEPNSR_ISM_E10value_typeEPSN_NS1_7vsmem_tEENKUlT_SL_SM_SN_E_clIS8_S8_S9_S9_EESK_S10_SL_SM_SN_EUlS10_E0_NS1_11comp_targetILNS1_3genE9ELNS1_11target_archE1100ELNS1_3gpuE3ELNS1_3repE0EEENS1_38merge_mergepath_config_static_selectorELNS0_4arch9wavefront6targetE1EEEvSM_.kd
    .uniform_work_group_size: 1
    .uses_dynamic_stack: false
    .vgpr_count:     0
    .vgpr_spill_count: 0
    .wavefront_size: 64
  - .agpr_count:     0
    .args:
      - .offset:         0
        .size:           88
        .value_kind:     by_value
    .group_segment_fixed_size: 0
    .kernarg_segment_align: 8
    .kernarg_segment_size: 88
    .language:       OpenCL C
    .language_version:
      - 2
      - 0
    .max_flat_workgroup_size: 1024
    .name:           _ZN7rocprim17ROCPRIM_400000_NS6detail17trampoline_kernelINS0_14default_configENS1_38merge_sort_block_merge_config_selectorIlNS0_10empty_typeEEEZZNS1_27merge_sort_block_merge_implIS3_PlPS5_mZN2at6native12_GLOBAL__N_124unique_dim_cuda_templateItEESt5tupleIJNSA_6TensorESF_SF_EERKSF_lbbbEUlllE_EE10hipError_tT0_T1_T2_jT3_P12ihipStream_tbPNSt15iterator_traitsISL_E10value_typeEPNSR_ISM_E10value_typeEPSN_NS1_7vsmem_tEENKUlT_SL_SM_SN_E_clIS8_S8_S9_S9_EESK_S10_SL_SM_SN_EUlS10_E0_NS1_11comp_targetILNS1_3genE8ELNS1_11target_archE1030ELNS1_3gpuE2ELNS1_3repE0EEENS1_38merge_mergepath_config_static_selectorELNS0_4arch9wavefront6targetE1EEEvSM_
    .private_segment_fixed_size: 0
    .sgpr_count:     6
    .sgpr_spill_count: 0
    .symbol:         _ZN7rocprim17ROCPRIM_400000_NS6detail17trampoline_kernelINS0_14default_configENS1_38merge_sort_block_merge_config_selectorIlNS0_10empty_typeEEEZZNS1_27merge_sort_block_merge_implIS3_PlPS5_mZN2at6native12_GLOBAL__N_124unique_dim_cuda_templateItEESt5tupleIJNSA_6TensorESF_SF_EERKSF_lbbbEUlllE_EE10hipError_tT0_T1_T2_jT3_P12ihipStream_tbPNSt15iterator_traitsISL_E10value_typeEPNSR_ISM_E10value_typeEPSN_NS1_7vsmem_tEENKUlT_SL_SM_SN_E_clIS8_S8_S9_S9_EESK_S10_SL_SM_SN_EUlS10_E0_NS1_11comp_targetILNS1_3genE8ELNS1_11target_archE1030ELNS1_3gpuE2ELNS1_3repE0EEENS1_38merge_mergepath_config_static_selectorELNS0_4arch9wavefront6targetE1EEEvSM_.kd
    .uniform_work_group_size: 1
    .uses_dynamic_stack: false
    .vgpr_count:     0
    .vgpr_spill_count: 0
    .wavefront_size: 64
  - .agpr_count:     0
    .args:
      - .offset:         0
        .size:           64
        .value_kind:     by_value
    .group_segment_fixed_size: 0
    .kernarg_segment_align: 8
    .kernarg_segment_size: 64
    .language:       OpenCL C
    .language_version:
      - 2
      - 0
    .max_flat_workgroup_size: 256
    .name:           _ZN7rocprim17ROCPRIM_400000_NS6detail17trampoline_kernelINS0_14default_configENS1_38merge_sort_block_merge_config_selectorIlNS0_10empty_typeEEEZZNS1_27merge_sort_block_merge_implIS3_PlPS5_mZN2at6native12_GLOBAL__N_124unique_dim_cuda_templateItEESt5tupleIJNSA_6TensorESF_SF_EERKSF_lbbbEUlllE_EE10hipError_tT0_T1_T2_jT3_P12ihipStream_tbPNSt15iterator_traitsISL_E10value_typeEPNSR_ISM_E10value_typeEPSN_NS1_7vsmem_tEENKUlT_SL_SM_SN_E_clIS8_S8_S9_S9_EESK_S10_SL_SM_SN_EUlS10_E1_NS1_11comp_targetILNS1_3genE0ELNS1_11target_archE4294967295ELNS1_3gpuE0ELNS1_3repE0EEENS1_36merge_oddeven_config_static_selectorELNS0_4arch9wavefront6targetE1EEEvSM_
    .private_segment_fixed_size: 0
    .sgpr_count:     52
    .sgpr_spill_count: 0
    .symbol:         _ZN7rocprim17ROCPRIM_400000_NS6detail17trampoline_kernelINS0_14default_configENS1_38merge_sort_block_merge_config_selectorIlNS0_10empty_typeEEEZZNS1_27merge_sort_block_merge_implIS3_PlPS5_mZN2at6native12_GLOBAL__N_124unique_dim_cuda_templateItEESt5tupleIJNSA_6TensorESF_SF_EERKSF_lbbbEUlllE_EE10hipError_tT0_T1_T2_jT3_P12ihipStream_tbPNSt15iterator_traitsISL_E10value_typeEPNSR_ISM_E10value_typeEPSN_NS1_7vsmem_tEENKUlT_SL_SM_SN_E_clIS8_S8_S9_S9_EESK_S10_SL_SM_SN_EUlS10_E1_NS1_11comp_targetILNS1_3genE0ELNS1_11target_archE4294967295ELNS1_3gpuE0ELNS1_3repE0EEENS1_36merge_oddeven_config_static_selectorELNS0_4arch9wavefront6targetE1EEEvSM_.kd
    .uniform_work_group_size: 1
    .uses_dynamic_stack: false
    .vgpr_count:     19
    .vgpr_spill_count: 0
    .wavefront_size: 64
  - .agpr_count:     0
    .args:
      - .offset:         0
        .size:           64
        .value_kind:     by_value
    .group_segment_fixed_size: 0
    .kernarg_segment_align: 8
    .kernarg_segment_size: 64
    .language:       OpenCL C
    .language_version:
      - 2
      - 0
    .max_flat_workgroup_size: 256
    .name:           _ZN7rocprim17ROCPRIM_400000_NS6detail17trampoline_kernelINS0_14default_configENS1_38merge_sort_block_merge_config_selectorIlNS0_10empty_typeEEEZZNS1_27merge_sort_block_merge_implIS3_PlPS5_mZN2at6native12_GLOBAL__N_124unique_dim_cuda_templateItEESt5tupleIJNSA_6TensorESF_SF_EERKSF_lbbbEUlllE_EE10hipError_tT0_T1_T2_jT3_P12ihipStream_tbPNSt15iterator_traitsISL_E10value_typeEPNSR_ISM_E10value_typeEPSN_NS1_7vsmem_tEENKUlT_SL_SM_SN_E_clIS8_S8_S9_S9_EESK_S10_SL_SM_SN_EUlS10_E1_NS1_11comp_targetILNS1_3genE10ELNS1_11target_archE1201ELNS1_3gpuE5ELNS1_3repE0EEENS1_36merge_oddeven_config_static_selectorELNS0_4arch9wavefront6targetE1EEEvSM_
    .private_segment_fixed_size: 0
    .sgpr_count:     6
    .sgpr_spill_count: 0
    .symbol:         _ZN7rocprim17ROCPRIM_400000_NS6detail17trampoline_kernelINS0_14default_configENS1_38merge_sort_block_merge_config_selectorIlNS0_10empty_typeEEEZZNS1_27merge_sort_block_merge_implIS3_PlPS5_mZN2at6native12_GLOBAL__N_124unique_dim_cuda_templateItEESt5tupleIJNSA_6TensorESF_SF_EERKSF_lbbbEUlllE_EE10hipError_tT0_T1_T2_jT3_P12ihipStream_tbPNSt15iterator_traitsISL_E10value_typeEPNSR_ISM_E10value_typeEPSN_NS1_7vsmem_tEENKUlT_SL_SM_SN_E_clIS8_S8_S9_S9_EESK_S10_SL_SM_SN_EUlS10_E1_NS1_11comp_targetILNS1_3genE10ELNS1_11target_archE1201ELNS1_3gpuE5ELNS1_3repE0EEENS1_36merge_oddeven_config_static_selectorELNS0_4arch9wavefront6targetE1EEEvSM_.kd
    .uniform_work_group_size: 1
    .uses_dynamic_stack: false
    .vgpr_count:     0
    .vgpr_spill_count: 0
    .wavefront_size: 64
  - .agpr_count:     0
    .args:
      - .offset:         0
        .size:           64
        .value_kind:     by_value
    .group_segment_fixed_size: 0
    .kernarg_segment_align: 8
    .kernarg_segment_size: 64
    .language:       OpenCL C
    .language_version:
      - 2
      - 0
    .max_flat_workgroup_size: 256
    .name:           _ZN7rocprim17ROCPRIM_400000_NS6detail17trampoline_kernelINS0_14default_configENS1_38merge_sort_block_merge_config_selectorIlNS0_10empty_typeEEEZZNS1_27merge_sort_block_merge_implIS3_PlPS5_mZN2at6native12_GLOBAL__N_124unique_dim_cuda_templateItEESt5tupleIJNSA_6TensorESF_SF_EERKSF_lbbbEUlllE_EE10hipError_tT0_T1_T2_jT3_P12ihipStream_tbPNSt15iterator_traitsISL_E10value_typeEPNSR_ISM_E10value_typeEPSN_NS1_7vsmem_tEENKUlT_SL_SM_SN_E_clIS8_S8_S9_S9_EESK_S10_SL_SM_SN_EUlS10_E1_NS1_11comp_targetILNS1_3genE5ELNS1_11target_archE942ELNS1_3gpuE9ELNS1_3repE0EEENS1_36merge_oddeven_config_static_selectorELNS0_4arch9wavefront6targetE1EEEvSM_
    .private_segment_fixed_size: 0
    .sgpr_count:     6
    .sgpr_spill_count: 0
    .symbol:         _ZN7rocprim17ROCPRIM_400000_NS6detail17trampoline_kernelINS0_14default_configENS1_38merge_sort_block_merge_config_selectorIlNS0_10empty_typeEEEZZNS1_27merge_sort_block_merge_implIS3_PlPS5_mZN2at6native12_GLOBAL__N_124unique_dim_cuda_templateItEESt5tupleIJNSA_6TensorESF_SF_EERKSF_lbbbEUlllE_EE10hipError_tT0_T1_T2_jT3_P12ihipStream_tbPNSt15iterator_traitsISL_E10value_typeEPNSR_ISM_E10value_typeEPSN_NS1_7vsmem_tEENKUlT_SL_SM_SN_E_clIS8_S8_S9_S9_EESK_S10_SL_SM_SN_EUlS10_E1_NS1_11comp_targetILNS1_3genE5ELNS1_11target_archE942ELNS1_3gpuE9ELNS1_3repE0EEENS1_36merge_oddeven_config_static_selectorELNS0_4arch9wavefront6targetE1EEEvSM_.kd
    .uniform_work_group_size: 1
    .uses_dynamic_stack: false
    .vgpr_count:     0
    .vgpr_spill_count: 0
    .wavefront_size: 64
  - .agpr_count:     0
    .args:
      - .offset:         0
        .size:           64
        .value_kind:     by_value
    .group_segment_fixed_size: 0
    .kernarg_segment_align: 8
    .kernarg_segment_size: 64
    .language:       OpenCL C
    .language_version:
      - 2
      - 0
    .max_flat_workgroup_size: 256
    .name:           _ZN7rocprim17ROCPRIM_400000_NS6detail17trampoline_kernelINS0_14default_configENS1_38merge_sort_block_merge_config_selectorIlNS0_10empty_typeEEEZZNS1_27merge_sort_block_merge_implIS3_PlPS5_mZN2at6native12_GLOBAL__N_124unique_dim_cuda_templateItEESt5tupleIJNSA_6TensorESF_SF_EERKSF_lbbbEUlllE_EE10hipError_tT0_T1_T2_jT3_P12ihipStream_tbPNSt15iterator_traitsISL_E10value_typeEPNSR_ISM_E10value_typeEPSN_NS1_7vsmem_tEENKUlT_SL_SM_SN_E_clIS8_S8_S9_S9_EESK_S10_SL_SM_SN_EUlS10_E1_NS1_11comp_targetILNS1_3genE4ELNS1_11target_archE910ELNS1_3gpuE8ELNS1_3repE0EEENS1_36merge_oddeven_config_static_selectorELNS0_4arch9wavefront6targetE1EEEvSM_
    .private_segment_fixed_size: 0
    .sgpr_count:     6
    .sgpr_spill_count: 0
    .symbol:         _ZN7rocprim17ROCPRIM_400000_NS6detail17trampoline_kernelINS0_14default_configENS1_38merge_sort_block_merge_config_selectorIlNS0_10empty_typeEEEZZNS1_27merge_sort_block_merge_implIS3_PlPS5_mZN2at6native12_GLOBAL__N_124unique_dim_cuda_templateItEESt5tupleIJNSA_6TensorESF_SF_EERKSF_lbbbEUlllE_EE10hipError_tT0_T1_T2_jT3_P12ihipStream_tbPNSt15iterator_traitsISL_E10value_typeEPNSR_ISM_E10value_typeEPSN_NS1_7vsmem_tEENKUlT_SL_SM_SN_E_clIS8_S8_S9_S9_EESK_S10_SL_SM_SN_EUlS10_E1_NS1_11comp_targetILNS1_3genE4ELNS1_11target_archE910ELNS1_3gpuE8ELNS1_3repE0EEENS1_36merge_oddeven_config_static_selectorELNS0_4arch9wavefront6targetE1EEEvSM_.kd
    .uniform_work_group_size: 1
    .uses_dynamic_stack: false
    .vgpr_count:     0
    .vgpr_spill_count: 0
    .wavefront_size: 64
  - .agpr_count:     0
    .args:
      - .offset:         0
        .size:           64
        .value_kind:     by_value
    .group_segment_fixed_size: 0
    .kernarg_segment_align: 8
    .kernarg_segment_size: 64
    .language:       OpenCL C
    .language_version:
      - 2
      - 0
    .max_flat_workgroup_size: 256
    .name:           _ZN7rocprim17ROCPRIM_400000_NS6detail17trampoline_kernelINS0_14default_configENS1_38merge_sort_block_merge_config_selectorIlNS0_10empty_typeEEEZZNS1_27merge_sort_block_merge_implIS3_PlPS5_mZN2at6native12_GLOBAL__N_124unique_dim_cuda_templateItEESt5tupleIJNSA_6TensorESF_SF_EERKSF_lbbbEUlllE_EE10hipError_tT0_T1_T2_jT3_P12ihipStream_tbPNSt15iterator_traitsISL_E10value_typeEPNSR_ISM_E10value_typeEPSN_NS1_7vsmem_tEENKUlT_SL_SM_SN_E_clIS8_S8_S9_S9_EESK_S10_SL_SM_SN_EUlS10_E1_NS1_11comp_targetILNS1_3genE3ELNS1_11target_archE908ELNS1_3gpuE7ELNS1_3repE0EEENS1_36merge_oddeven_config_static_selectorELNS0_4arch9wavefront6targetE1EEEvSM_
    .private_segment_fixed_size: 0
    .sgpr_count:     6
    .sgpr_spill_count: 0
    .symbol:         _ZN7rocprim17ROCPRIM_400000_NS6detail17trampoline_kernelINS0_14default_configENS1_38merge_sort_block_merge_config_selectorIlNS0_10empty_typeEEEZZNS1_27merge_sort_block_merge_implIS3_PlPS5_mZN2at6native12_GLOBAL__N_124unique_dim_cuda_templateItEESt5tupleIJNSA_6TensorESF_SF_EERKSF_lbbbEUlllE_EE10hipError_tT0_T1_T2_jT3_P12ihipStream_tbPNSt15iterator_traitsISL_E10value_typeEPNSR_ISM_E10value_typeEPSN_NS1_7vsmem_tEENKUlT_SL_SM_SN_E_clIS8_S8_S9_S9_EESK_S10_SL_SM_SN_EUlS10_E1_NS1_11comp_targetILNS1_3genE3ELNS1_11target_archE908ELNS1_3gpuE7ELNS1_3repE0EEENS1_36merge_oddeven_config_static_selectorELNS0_4arch9wavefront6targetE1EEEvSM_.kd
    .uniform_work_group_size: 1
    .uses_dynamic_stack: false
    .vgpr_count:     0
    .vgpr_spill_count: 0
    .wavefront_size: 64
  - .agpr_count:     0
    .args:
      - .offset:         0
        .size:           64
        .value_kind:     by_value
    .group_segment_fixed_size: 0
    .kernarg_segment_align: 8
    .kernarg_segment_size: 64
    .language:       OpenCL C
    .language_version:
      - 2
      - 0
    .max_flat_workgroup_size: 256
    .name:           _ZN7rocprim17ROCPRIM_400000_NS6detail17trampoline_kernelINS0_14default_configENS1_38merge_sort_block_merge_config_selectorIlNS0_10empty_typeEEEZZNS1_27merge_sort_block_merge_implIS3_PlPS5_mZN2at6native12_GLOBAL__N_124unique_dim_cuda_templateItEESt5tupleIJNSA_6TensorESF_SF_EERKSF_lbbbEUlllE_EE10hipError_tT0_T1_T2_jT3_P12ihipStream_tbPNSt15iterator_traitsISL_E10value_typeEPNSR_ISM_E10value_typeEPSN_NS1_7vsmem_tEENKUlT_SL_SM_SN_E_clIS8_S8_S9_S9_EESK_S10_SL_SM_SN_EUlS10_E1_NS1_11comp_targetILNS1_3genE2ELNS1_11target_archE906ELNS1_3gpuE6ELNS1_3repE0EEENS1_36merge_oddeven_config_static_selectorELNS0_4arch9wavefront6targetE1EEEvSM_
    .private_segment_fixed_size: 0
    .sgpr_count:     6
    .sgpr_spill_count: 0
    .symbol:         _ZN7rocprim17ROCPRIM_400000_NS6detail17trampoline_kernelINS0_14default_configENS1_38merge_sort_block_merge_config_selectorIlNS0_10empty_typeEEEZZNS1_27merge_sort_block_merge_implIS3_PlPS5_mZN2at6native12_GLOBAL__N_124unique_dim_cuda_templateItEESt5tupleIJNSA_6TensorESF_SF_EERKSF_lbbbEUlllE_EE10hipError_tT0_T1_T2_jT3_P12ihipStream_tbPNSt15iterator_traitsISL_E10value_typeEPNSR_ISM_E10value_typeEPSN_NS1_7vsmem_tEENKUlT_SL_SM_SN_E_clIS8_S8_S9_S9_EESK_S10_SL_SM_SN_EUlS10_E1_NS1_11comp_targetILNS1_3genE2ELNS1_11target_archE906ELNS1_3gpuE6ELNS1_3repE0EEENS1_36merge_oddeven_config_static_selectorELNS0_4arch9wavefront6targetE1EEEvSM_.kd
    .uniform_work_group_size: 1
    .uses_dynamic_stack: false
    .vgpr_count:     0
    .vgpr_spill_count: 0
    .wavefront_size: 64
  - .agpr_count:     0
    .args:
      - .offset:         0
        .size:           64
        .value_kind:     by_value
    .group_segment_fixed_size: 0
    .kernarg_segment_align: 8
    .kernarg_segment_size: 64
    .language:       OpenCL C
    .language_version:
      - 2
      - 0
    .max_flat_workgroup_size: 256
    .name:           _ZN7rocprim17ROCPRIM_400000_NS6detail17trampoline_kernelINS0_14default_configENS1_38merge_sort_block_merge_config_selectorIlNS0_10empty_typeEEEZZNS1_27merge_sort_block_merge_implIS3_PlPS5_mZN2at6native12_GLOBAL__N_124unique_dim_cuda_templateItEESt5tupleIJNSA_6TensorESF_SF_EERKSF_lbbbEUlllE_EE10hipError_tT0_T1_T2_jT3_P12ihipStream_tbPNSt15iterator_traitsISL_E10value_typeEPNSR_ISM_E10value_typeEPSN_NS1_7vsmem_tEENKUlT_SL_SM_SN_E_clIS8_S8_S9_S9_EESK_S10_SL_SM_SN_EUlS10_E1_NS1_11comp_targetILNS1_3genE9ELNS1_11target_archE1100ELNS1_3gpuE3ELNS1_3repE0EEENS1_36merge_oddeven_config_static_selectorELNS0_4arch9wavefront6targetE1EEEvSM_
    .private_segment_fixed_size: 0
    .sgpr_count:     6
    .sgpr_spill_count: 0
    .symbol:         _ZN7rocprim17ROCPRIM_400000_NS6detail17trampoline_kernelINS0_14default_configENS1_38merge_sort_block_merge_config_selectorIlNS0_10empty_typeEEEZZNS1_27merge_sort_block_merge_implIS3_PlPS5_mZN2at6native12_GLOBAL__N_124unique_dim_cuda_templateItEESt5tupleIJNSA_6TensorESF_SF_EERKSF_lbbbEUlllE_EE10hipError_tT0_T1_T2_jT3_P12ihipStream_tbPNSt15iterator_traitsISL_E10value_typeEPNSR_ISM_E10value_typeEPSN_NS1_7vsmem_tEENKUlT_SL_SM_SN_E_clIS8_S8_S9_S9_EESK_S10_SL_SM_SN_EUlS10_E1_NS1_11comp_targetILNS1_3genE9ELNS1_11target_archE1100ELNS1_3gpuE3ELNS1_3repE0EEENS1_36merge_oddeven_config_static_selectorELNS0_4arch9wavefront6targetE1EEEvSM_.kd
    .uniform_work_group_size: 1
    .uses_dynamic_stack: false
    .vgpr_count:     0
    .vgpr_spill_count: 0
    .wavefront_size: 64
  - .agpr_count:     0
    .args:
      - .offset:         0
        .size:           64
        .value_kind:     by_value
    .group_segment_fixed_size: 0
    .kernarg_segment_align: 8
    .kernarg_segment_size: 64
    .language:       OpenCL C
    .language_version:
      - 2
      - 0
    .max_flat_workgroup_size: 256
    .name:           _ZN7rocprim17ROCPRIM_400000_NS6detail17trampoline_kernelINS0_14default_configENS1_38merge_sort_block_merge_config_selectorIlNS0_10empty_typeEEEZZNS1_27merge_sort_block_merge_implIS3_PlPS5_mZN2at6native12_GLOBAL__N_124unique_dim_cuda_templateItEESt5tupleIJNSA_6TensorESF_SF_EERKSF_lbbbEUlllE_EE10hipError_tT0_T1_T2_jT3_P12ihipStream_tbPNSt15iterator_traitsISL_E10value_typeEPNSR_ISM_E10value_typeEPSN_NS1_7vsmem_tEENKUlT_SL_SM_SN_E_clIS8_S8_S9_S9_EESK_S10_SL_SM_SN_EUlS10_E1_NS1_11comp_targetILNS1_3genE8ELNS1_11target_archE1030ELNS1_3gpuE2ELNS1_3repE0EEENS1_36merge_oddeven_config_static_selectorELNS0_4arch9wavefront6targetE1EEEvSM_
    .private_segment_fixed_size: 0
    .sgpr_count:     6
    .sgpr_spill_count: 0
    .symbol:         _ZN7rocprim17ROCPRIM_400000_NS6detail17trampoline_kernelINS0_14default_configENS1_38merge_sort_block_merge_config_selectorIlNS0_10empty_typeEEEZZNS1_27merge_sort_block_merge_implIS3_PlPS5_mZN2at6native12_GLOBAL__N_124unique_dim_cuda_templateItEESt5tupleIJNSA_6TensorESF_SF_EERKSF_lbbbEUlllE_EE10hipError_tT0_T1_T2_jT3_P12ihipStream_tbPNSt15iterator_traitsISL_E10value_typeEPNSR_ISM_E10value_typeEPSN_NS1_7vsmem_tEENKUlT_SL_SM_SN_E_clIS8_S8_S9_S9_EESK_S10_SL_SM_SN_EUlS10_E1_NS1_11comp_targetILNS1_3genE8ELNS1_11target_archE1030ELNS1_3gpuE2ELNS1_3repE0EEENS1_36merge_oddeven_config_static_selectorELNS0_4arch9wavefront6targetE1EEEvSM_.kd
    .uniform_work_group_size: 1
    .uses_dynamic_stack: false
    .vgpr_count:     0
    .vgpr_spill_count: 0
    .wavefront_size: 64
  - .agpr_count:     0
    .args:
      - .offset:         0
        .size:           64
        .value_kind:     by_value
    .group_segment_fixed_size: 2048
    .kernarg_segment_align: 8
    .kernarg_segment_size: 64
    .language:       OpenCL C
    .language_version:
      - 2
      - 0
    .max_flat_workgroup_size: 128
    .name:           _ZN7rocprim17ROCPRIM_400000_NS6detail17trampoline_kernelINS0_14default_configENS1_35adjacent_difference_config_selectorILb0ElEEZNS1_24adjacent_difference_implIS3_Lb0ELb0EPlS7_ZN2at6native12_GLOBAL__N_124unique_dim_cuda_templateItEESt5tupleIJNS8_6TensorESD_SD_EERKSD_lbbbEUlllE1_EE10hipError_tPvRmT2_T3_mT4_P12ihipStream_tbEUlT_E_NS1_11comp_targetILNS1_3genE0ELNS1_11target_archE4294967295ELNS1_3gpuE0ELNS1_3repE0EEENS1_30default_config_static_selectorELNS0_4arch9wavefront6targetE1EEEvT1_
    .private_segment_fixed_size: 0
    .sgpr_count:     38
    .sgpr_spill_count: 0
    .symbol:         _ZN7rocprim17ROCPRIM_400000_NS6detail17trampoline_kernelINS0_14default_configENS1_35adjacent_difference_config_selectorILb0ElEEZNS1_24adjacent_difference_implIS3_Lb0ELb0EPlS7_ZN2at6native12_GLOBAL__N_124unique_dim_cuda_templateItEESt5tupleIJNS8_6TensorESD_SD_EERKSD_lbbbEUlllE1_EE10hipError_tPvRmT2_T3_mT4_P12ihipStream_tbEUlT_E_NS1_11comp_targetILNS1_3genE0ELNS1_11target_archE4294967295ELNS1_3gpuE0ELNS1_3repE0EEENS1_30default_config_static_selectorELNS0_4arch9wavefront6targetE1EEEvT1_.kd
    .uniform_work_group_size: 1
    .uses_dynamic_stack: false
    .vgpr_count:     11
    .vgpr_spill_count: 0
    .wavefront_size: 64
  - .agpr_count:     0
    .args:
      - .offset:         0
        .size:           64
        .value_kind:     by_value
    .group_segment_fixed_size: 0
    .kernarg_segment_align: 8
    .kernarg_segment_size: 64
    .language:       OpenCL C
    .language_version:
      - 2
      - 0
    .max_flat_workgroup_size: 128
    .name:           _ZN7rocprim17ROCPRIM_400000_NS6detail17trampoline_kernelINS0_14default_configENS1_35adjacent_difference_config_selectorILb0ElEEZNS1_24adjacent_difference_implIS3_Lb0ELb0EPlS7_ZN2at6native12_GLOBAL__N_124unique_dim_cuda_templateItEESt5tupleIJNS8_6TensorESD_SD_EERKSD_lbbbEUlllE1_EE10hipError_tPvRmT2_T3_mT4_P12ihipStream_tbEUlT_E_NS1_11comp_targetILNS1_3genE10ELNS1_11target_archE1201ELNS1_3gpuE5ELNS1_3repE0EEENS1_30default_config_static_selectorELNS0_4arch9wavefront6targetE1EEEvT1_
    .private_segment_fixed_size: 0
    .sgpr_count:     6
    .sgpr_spill_count: 0
    .symbol:         _ZN7rocprim17ROCPRIM_400000_NS6detail17trampoline_kernelINS0_14default_configENS1_35adjacent_difference_config_selectorILb0ElEEZNS1_24adjacent_difference_implIS3_Lb0ELb0EPlS7_ZN2at6native12_GLOBAL__N_124unique_dim_cuda_templateItEESt5tupleIJNS8_6TensorESD_SD_EERKSD_lbbbEUlllE1_EE10hipError_tPvRmT2_T3_mT4_P12ihipStream_tbEUlT_E_NS1_11comp_targetILNS1_3genE10ELNS1_11target_archE1201ELNS1_3gpuE5ELNS1_3repE0EEENS1_30default_config_static_selectorELNS0_4arch9wavefront6targetE1EEEvT1_.kd
    .uniform_work_group_size: 1
    .uses_dynamic_stack: false
    .vgpr_count:     0
    .vgpr_spill_count: 0
    .wavefront_size: 64
  - .agpr_count:     0
    .args:
      - .offset:         0
        .size:           64
        .value_kind:     by_value
    .group_segment_fixed_size: 0
    .kernarg_segment_align: 8
    .kernarg_segment_size: 64
    .language:       OpenCL C
    .language_version:
      - 2
      - 0
    .max_flat_workgroup_size: 64
    .name:           _ZN7rocprim17ROCPRIM_400000_NS6detail17trampoline_kernelINS0_14default_configENS1_35adjacent_difference_config_selectorILb0ElEEZNS1_24adjacent_difference_implIS3_Lb0ELb0EPlS7_ZN2at6native12_GLOBAL__N_124unique_dim_cuda_templateItEESt5tupleIJNS8_6TensorESD_SD_EERKSD_lbbbEUlllE1_EE10hipError_tPvRmT2_T3_mT4_P12ihipStream_tbEUlT_E_NS1_11comp_targetILNS1_3genE5ELNS1_11target_archE942ELNS1_3gpuE9ELNS1_3repE0EEENS1_30default_config_static_selectorELNS0_4arch9wavefront6targetE1EEEvT1_
    .private_segment_fixed_size: 0
    .sgpr_count:     6
    .sgpr_spill_count: 0
    .symbol:         _ZN7rocprim17ROCPRIM_400000_NS6detail17trampoline_kernelINS0_14default_configENS1_35adjacent_difference_config_selectorILb0ElEEZNS1_24adjacent_difference_implIS3_Lb0ELb0EPlS7_ZN2at6native12_GLOBAL__N_124unique_dim_cuda_templateItEESt5tupleIJNS8_6TensorESD_SD_EERKSD_lbbbEUlllE1_EE10hipError_tPvRmT2_T3_mT4_P12ihipStream_tbEUlT_E_NS1_11comp_targetILNS1_3genE5ELNS1_11target_archE942ELNS1_3gpuE9ELNS1_3repE0EEENS1_30default_config_static_selectorELNS0_4arch9wavefront6targetE1EEEvT1_.kd
    .uniform_work_group_size: 1
    .uses_dynamic_stack: false
    .vgpr_count:     0
    .vgpr_spill_count: 0
    .wavefront_size: 64
  - .agpr_count:     0
    .args:
      - .offset:         0
        .size:           64
        .value_kind:     by_value
    .group_segment_fixed_size: 0
    .kernarg_segment_align: 8
    .kernarg_segment_size: 64
    .language:       OpenCL C
    .language_version:
      - 2
      - 0
    .max_flat_workgroup_size: 256
    .name:           _ZN7rocprim17ROCPRIM_400000_NS6detail17trampoline_kernelINS0_14default_configENS1_35adjacent_difference_config_selectorILb0ElEEZNS1_24adjacent_difference_implIS3_Lb0ELb0EPlS7_ZN2at6native12_GLOBAL__N_124unique_dim_cuda_templateItEESt5tupleIJNS8_6TensorESD_SD_EERKSD_lbbbEUlllE1_EE10hipError_tPvRmT2_T3_mT4_P12ihipStream_tbEUlT_E_NS1_11comp_targetILNS1_3genE4ELNS1_11target_archE910ELNS1_3gpuE8ELNS1_3repE0EEENS1_30default_config_static_selectorELNS0_4arch9wavefront6targetE1EEEvT1_
    .private_segment_fixed_size: 0
    .sgpr_count:     6
    .sgpr_spill_count: 0
    .symbol:         _ZN7rocprim17ROCPRIM_400000_NS6detail17trampoline_kernelINS0_14default_configENS1_35adjacent_difference_config_selectorILb0ElEEZNS1_24adjacent_difference_implIS3_Lb0ELb0EPlS7_ZN2at6native12_GLOBAL__N_124unique_dim_cuda_templateItEESt5tupleIJNS8_6TensorESD_SD_EERKSD_lbbbEUlllE1_EE10hipError_tPvRmT2_T3_mT4_P12ihipStream_tbEUlT_E_NS1_11comp_targetILNS1_3genE4ELNS1_11target_archE910ELNS1_3gpuE8ELNS1_3repE0EEENS1_30default_config_static_selectorELNS0_4arch9wavefront6targetE1EEEvT1_.kd
    .uniform_work_group_size: 1
    .uses_dynamic_stack: false
    .vgpr_count:     0
    .vgpr_spill_count: 0
    .wavefront_size: 64
  - .agpr_count:     0
    .args:
      - .offset:         0
        .size:           64
        .value_kind:     by_value
    .group_segment_fixed_size: 0
    .kernarg_segment_align: 8
    .kernarg_segment_size: 64
    .language:       OpenCL C
    .language_version:
      - 2
      - 0
    .max_flat_workgroup_size: 128
    .name:           _ZN7rocprim17ROCPRIM_400000_NS6detail17trampoline_kernelINS0_14default_configENS1_35adjacent_difference_config_selectorILb0ElEEZNS1_24adjacent_difference_implIS3_Lb0ELb0EPlS7_ZN2at6native12_GLOBAL__N_124unique_dim_cuda_templateItEESt5tupleIJNS8_6TensorESD_SD_EERKSD_lbbbEUlllE1_EE10hipError_tPvRmT2_T3_mT4_P12ihipStream_tbEUlT_E_NS1_11comp_targetILNS1_3genE3ELNS1_11target_archE908ELNS1_3gpuE7ELNS1_3repE0EEENS1_30default_config_static_selectorELNS0_4arch9wavefront6targetE1EEEvT1_
    .private_segment_fixed_size: 0
    .sgpr_count:     6
    .sgpr_spill_count: 0
    .symbol:         _ZN7rocprim17ROCPRIM_400000_NS6detail17trampoline_kernelINS0_14default_configENS1_35adjacent_difference_config_selectorILb0ElEEZNS1_24adjacent_difference_implIS3_Lb0ELb0EPlS7_ZN2at6native12_GLOBAL__N_124unique_dim_cuda_templateItEESt5tupleIJNS8_6TensorESD_SD_EERKSD_lbbbEUlllE1_EE10hipError_tPvRmT2_T3_mT4_P12ihipStream_tbEUlT_E_NS1_11comp_targetILNS1_3genE3ELNS1_11target_archE908ELNS1_3gpuE7ELNS1_3repE0EEENS1_30default_config_static_selectorELNS0_4arch9wavefront6targetE1EEEvT1_.kd
    .uniform_work_group_size: 1
    .uses_dynamic_stack: false
    .vgpr_count:     0
    .vgpr_spill_count: 0
    .wavefront_size: 64
  - .agpr_count:     0
    .args:
      - .offset:         0
        .size:           64
        .value_kind:     by_value
    .group_segment_fixed_size: 0
    .kernarg_segment_align: 8
    .kernarg_segment_size: 64
    .language:       OpenCL C
    .language_version:
      - 2
      - 0
    .max_flat_workgroup_size: 128
    .name:           _ZN7rocprim17ROCPRIM_400000_NS6detail17trampoline_kernelINS0_14default_configENS1_35adjacent_difference_config_selectorILb0ElEEZNS1_24adjacent_difference_implIS3_Lb0ELb0EPlS7_ZN2at6native12_GLOBAL__N_124unique_dim_cuda_templateItEESt5tupleIJNS8_6TensorESD_SD_EERKSD_lbbbEUlllE1_EE10hipError_tPvRmT2_T3_mT4_P12ihipStream_tbEUlT_E_NS1_11comp_targetILNS1_3genE2ELNS1_11target_archE906ELNS1_3gpuE6ELNS1_3repE0EEENS1_30default_config_static_selectorELNS0_4arch9wavefront6targetE1EEEvT1_
    .private_segment_fixed_size: 0
    .sgpr_count:     6
    .sgpr_spill_count: 0
    .symbol:         _ZN7rocprim17ROCPRIM_400000_NS6detail17trampoline_kernelINS0_14default_configENS1_35adjacent_difference_config_selectorILb0ElEEZNS1_24adjacent_difference_implIS3_Lb0ELb0EPlS7_ZN2at6native12_GLOBAL__N_124unique_dim_cuda_templateItEESt5tupleIJNS8_6TensorESD_SD_EERKSD_lbbbEUlllE1_EE10hipError_tPvRmT2_T3_mT4_P12ihipStream_tbEUlT_E_NS1_11comp_targetILNS1_3genE2ELNS1_11target_archE906ELNS1_3gpuE6ELNS1_3repE0EEENS1_30default_config_static_selectorELNS0_4arch9wavefront6targetE1EEEvT1_.kd
    .uniform_work_group_size: 1
    .uses_dynamic_stack: false
    .vgpr_count:     0
    .vgpr_spill_count: 0
    .wavefront_size: 64
  - .agpr_count:     0
    .args:
      - .offset:         0
        .size:           64
        .value_kind:     by_value
    .group_segment_fixed_size: 0
    .kernarg_segment_align: 8
    .kernarg_segment_size: 64
    .language:       OpenCL C
    .language_version:
      - 2
      - 0
    .max_flat_workgroup_size: 512
    .name:           _ZN7rocprim17ROCPRIM_400000_NS6detail17trampoline_kernelINS0_14default_configENS1_35adjacent_difference_config_selectorILb0ElEEZNS1_24adjacent_difference_implIS3_Lb0ELb0EPlS7_ZN2at6native12_GLOBAL__N_124unique_dim_cuda_templateItEESt5tupleIJNS8_6TensorESD_SD_EERKSD_lbbbEUlllE1_EE10hipError_tPvRmT2_T3_mT4_P12ihipStream_tbEUlT_E_NS1_11comp_targetILNS1_3genE9ELNS1_11target_archE1100ELNS1_3gpuE3ELNS1_3repE0EEENS1_30default_config_static_selectorELNS0_4arch9wavefront6targetE1EEEvT1_
    .private_segment_fixed_size: 0
    .sgpr_count:     6
    .sgpr_spill_count: 0
    .symbol:         _ZN7rocprim17ROCPRIM_400000_NS6detail17trampoline_kernelINS0_14default_configENS1_35adjacent_difference_config_selectorILb0ElEEZNS1_24adjacent_difference_implIS3_Lb0ELb0EPlS7_ZN2at6native12_GLOBAL__N_124unique_dim_cuda_templateItEESt5tupleIJNS8_6TensorESD_SD_EERKSD_lbbbEUlllE1_EE10hipError_tPvRmT2_T3_mT4_P12ihipStream_tbEUlT_E_NS1_11comp_targetILNS1_3genE9ELNS1_11target_archE1100ELNS1_3gpuE3ELNS1_3repE0EEENS1_30default_config_static_selectorELNS0_4arch9wavefront6targetE1EEEvT1_.kd
    .uniform_work_group_size: 1
    .uses_dynamic_stack: false
    .vgpr_count:     0
    .vgpr_spill_count: 0
    .wavefront_size: 64
  - .agpr_count:     0
    .args:
      - .offset:         0
        .size:           64
        .value_kind:     by_value
    .group_segment_fixed_size: 0
    .kernarg_segment_align: 8
    .kernarg_segment_size: 64
    .language:       OpenCL C
    .language_version:
      - 2
      - 0
    .max_flat_workgroup_size: 1024
    .name:           _ZN7rocprim17ROCPRIM_400000_NS6detail17trampoline_kernelINS0_14default_configENS1_35adjacent_difference_config_selectorILb0ElEEZNS1_24adjacent_difference_implIS3_Lb0ELb0EPlS7_ZN2at6native12_GLOBAL__N_124unique_dim_cuda_templateItEESt5tupleIJNS8_6TensorESD_SD_EERKSD_lbbbEUlllE1_EE10hipError_tPvRmT2_T3_mT4_P12ihipStream_tbEUlT_E_NS1_11comp_targetILNS1_3genE8ELNS1_11target_archE1030ELNS1_3gpuE2ELNS1_3repE0EEENS1_30default_config_static_selectorELNS0_4arch9wavefront6targetE1EEEvT1_
    .private_segment_fixed_size: 0
    .sgpr_count:     6
    .sgpr_spill_count: 0
    .symbol:         _ZN7rocprim17ROCPRIM_400000_NS6detail17trampoline_kernelINS0_14default_configENS1_35adjacent_difference_config_selectorILb0ElEEZNS1_24adjacent_difference_implIS3_Lb0ELb0EPlS7_ZN2at6native12_GLOBAL__N_124unique_dim_cuda_templateItEESt5tupleIJNS8_6TensorESD_SD_EERKSD_lbbbEUlllE1_EE10hipError_tPvRmT2_T3_mT4_P12ihipStream_tbEUlT_E_NS1_11comp_targetILNS1_3genE8ELNS1_11target_archE1030ELNS1_3gpuE2ELNS1_3repE0EEENS1_30default_config_static_selectorELNS0_4arch9wavefront6targetE1EEEvT1_.kd
    .uniform_work_group_size: 1
    .uses_dynamic_stack: false
    .vgpr_count:     0
    .vgpr_spill_count: 0
    .wavefront_size: 64
  - .agpr_count:     0
    .args:
      - .offset:         0
        .size:           56
        .value_kind:     by_value
      - .offset:         56
        .size:           4
        .value_kind:     hidden_block_count_x
      - .offset:         60
        .size:           4
        .value_kind:     hidden_block_count_y
      - .offset:         64
        .size:           4
        .value_kind:     hidden_block_count_z
      - .offset:         68
        .size:           2
        .value_kind:     hidden_group_size_x
      - .offset:         70
        .size:           2
        .value_kind:     hidden_group_size_y
      - .offset:         72
        .size:           2
        .value_kind:     hidden_group_size_z
      - .offset:         74
        .size:           2
        .value_kind:     hidden_remainder_x
      - .offset:         76
        .size:           2
        .value_kind:     hidden_remainder_y
      - .offset:         78
        .size:           2
        .value_kind:     hidden_remainder_z
      - .offset:         96
        .size:           8
        .value_kind:     hidden_global_offset_x
      - .offset:         104
        .size:           8
        .value_kind:     hidden_global_offset_y
      - .offset:         112
        .size:           8
        .value_kind:     hidden_global_offset_z
      - .offset:         120
        .size:           2
        .value_kind:     hidden_grid_dims
    .group_segment_fixed_size: 0
    .kernarg_segment_align: 8
    .kernarg_segment_size: 312
    .language:       OpenCL C
    .language_version:
      - 2
      - 0
    .max_flat_workgroup_size: 128
    .name:           _ZN7rocprim17ROCPRIM_400000_NS6detail17trampoline_kernelINS0_14default_configENS1_25transform_config_selectorIlLb0EEEZNS1_14transform_implILb0ES3_S5_NS0_18transform_iteratorINS0_17counting_iteratorImlEEZNS1_24adjacent_difference_implIS3_Lb1ELb0EPlSB_ZN2at6native12_GLOBAL__N_124unique_dim_cuda_templateItEESt5tupleIJNSC_6TensorESH_SH_EERKSH_lbbbEUlllE1_EE10hipError_tPvRmT2_T3_mT4_P12ihipStream_tbEUlmE_lEESB_NS0_8identityIvEEEESM_SP_SQ_mSR_ST_bEUlT_E_NS1_11comp_targetILNS1_3genE0ELNS1_11target_archE4294967295ELNS1_3gpuE0ELNS1_3repE0EEENS1_30default_config_static_selectorELNS0_4arch9wavefront6targetE1EEEvT1_
    .private_segment_fixed_size: 0
    .sgpr_count:     18
    .sgpr_spill_count: 0
    .symbol:         _ZN7rocprim17ROCPRIM_400000_NS6detail17trampoline_kernelINS0_14default_configENS1_25transform_config_selectorIlLb0EEEZNS1_14transform_implILb0ES3_S5_NS0_18transform_iteratorINS0_17counting_iteratorImlEEZNS1_24adjacent_difference_implIS3_Lb1ELb0EPlSB_ZN2at6native12_GLOBAL__N_124unique_dim_cuda_templateItEESt5tupleIJNSC_6TensorESH_SH_EERKSH_lbbbEUlllE1_EE10hipError_tPvRmT2_T3_mT4_P12ihipStream_tbEUlmE_lEESB_NS0_8identityIvEEEESM_SP_SQ_mSR_ST_bEUlT_E_NS1_11comp_targetILNS1_3genE0ELNS1_11target_archE4294967295ELNS1_3gpuE0ELNS1_3repE0EEENS1_30default_config_static_selectorELNS0_4arch9wavefront6targetE1EEEvT1_.kd
    .uniform_work_group_size: 1
    .uses_dynamic_stack: false
    .vgpr_count:     8
    .vgpr_spill_count: 0
    .wavefront_size: 64
  - .agpr_count:     0
    .args:
      - .offset:         0
        .size:           56
        .value_kind:     by_value
    .group_segment_fixed_size: 0
    .kernarg_segment_align: 8
    .kernarg_segment_size: 56
    .language:       OpenCL C
    .language_version:
      - 2
      - 0
    .max_flat_workgroup_size: 512
    .name:           _ZN7rocprim17ROCPRIM_400000_NS6detail17trampoline_kernelINS0_14default_configENS1_25transform_config_selectorIlLb0EEEZNS1_14transform_implILb0ES3_S5_NS0_18transform_iteratorINS0_17counting_iteratorImlEEZNS1_24adjacent_difference_implIS3_Lb1ELb0EPlSB_ZN2at6native12_GLOBAL__N_124unique_dim_cuda_templateItEESt5tupleIJNSC_6TensorESH_SH_EERKSH_lbbbEUlllE1_EE10hipError_tPvRmT2_T3_mT4_P12ihipStream_tbEUlmE_lEESB_NS0_8identityIvEEEESM_SP_SQ_mSR_ST_bEUlT_E_NS1_11comp_targetILNS1_3genE5ELNS1_11target_archE942ELNS1_3gpuE9ELNS1_3repE0EEENS1_30default_config_static_selectorELNS0_4arch9wavefront6targetE1EEEvT1_
    .private_segment_fixed_size: 0
    .sgpr_count:     6
    .sgpr_spill_count: 0
    .symbol:         _ZN7rocprim17ROCPRIM_400000_NS6detail17trampoline_kernelINS0_14default_configENS1_25transform_config_selectorIlLb0EEEZNS1_14transform_implILb0ES3_S5_NS0_18transform_iteratorINS0_17counting_iteratorImlEEZNS1_24adjacent_difference_implIS3_Lb1ELb0EPlSB_ZN2at6native12_GLOBAL__N_124unique_dim_cuda_templateItEESt5tupleIJNSC_6TensorESH_SH_EERKSH_lbbbEUlllE1_EE10hipError_tPvRmT2_T3_mT4_P12ihipStream_tbEUlmE_lEESB_NS0_8identityIvEEEESM_SP_SQ_mSR_ST_bEUlT_E_NS1_11comp_targetILNS1_3genE5ELNS1_11target_archE942ELNS1_3gpuE9ELNS1_3repE0EEENS1_30default_config_static_selectorELNS0_4arch9wavefront6targetE1EEEvT1_.kd
    .uniform_work_group_size: 1
    .uses_dynamic_stack: false
    .vgpr_count:     0
    .vgpr_spill_count: 0
    .wavefront_size: 64
  - .agpr_count:     0
    .args:
      - .offset:         0
        .size:           56
        .value_kind:     by_value
    .group_segment_fixed_size: 0
    .kernarg_segment_align: 8
    .kernarg_segment_size: 56
    .language:       OpenCL C
    .language_version:
      - 2
      - 0
    .max_flat_workgroup_size: 256
    .name:           _ZN7rocprim17ROCPRIM_400000_NS6detail17trampoline_kernelINS0_14default_configENS1_25transform_config_selectorIlLb0EEEZNS1_14transform_implILb0ES3_S5_NS0_18transform_iteratorINS0_17counting_iteratorImlEEZNS1_24adjacent_difference_implIS3_Lb1ELb0EPlSB_ZN2at6native12_GLOBAL__N_124unique_dim_cuda_templateItEESt5tupleIJNSC_6TensorESH_SH_EERKSH_lbbbEUlllE1_EE10hipError_tPvRmT2_T3_mT4_P12ihipStream_tbEUlmE_lEESB_NS0_8identityIvEEEESM_SP_SQ_mSR_ST_bEUlT_E_NS1_11comp_targetILNS1_3genE4ELNS1_11target_archE910ELNS1_3gpuE8ELNS1_3repE0EEENS1_30default_config_static_selectorELNS0_4arch9wavefront6targetE1EEEvT1_
    .private_segment_fixed_size: 0
    .sgpr_count:     6
    .sgpr_spill_count: 0
    .symbol:         _ZN7rocprim17ROCPRIM_400000_NS6detail17trampoline_kernelINS0_14default_configENS1_25transform_config_selectorIlLb0EEEZNS1_14transform_implILb0ES3_S5_NS0_18transform_iteratorINS0_17counting_iteratorImlEEZNS1_24adjacent_difference_implIS3_Lb1ELb0EPlSB_ZN2at6native12_GLOBAL__N_124unique_dim_cuda_templateItEESt5tupleIJNSC_6TensorESH_SH_EERKSH_lbbbEUlllE1_EE10hipError_tPvRmT2_T3_mT4_P12ihipStream_tbEUlmE_lEESB_NS0_8identityIvEEEESM_SP_SQ_mSR_ST_bEUlT_E_NS1_11comp_targetILNS1_3genE4ELNS1_11target_archE910ELNS1_3gpuE8ELNS1_3repE0EEENS1_30default_config_static_selectorELNS0_4arch9wavefront6targetE1EEEvT1_.kd
    .uniform_work_group_size: 1
    .uses_dynamic_stack: false
    .vgpr_count:     0
    .vgpr_spill_count: 0
    .wavefront_size: 64
  - .agpr_count:     0
    .args:
      - .offset:         0
        .size:           56
        .value_kind:     by_value
    .group_segment_fixed_size: 0
    .kernarg_segment_align: 8
    .kernarg_segment_size: 56
    .language:       OpenCL C
    .language_version:
      - 2
      - 0
    .max_flat_workgroup_size: 128
    .name:           _ZN7rocprim17ROCPRIM_400000_NS6detail17trampoline_kernelINS0_14default_configENS1_25transform_config_selectorIlLb0EEEZNS1_14transform_implILb0ES3_S5_NS0_18transform_iteratorINS0_17counting_iteratorImlEEZNS1_24adjacent_difference_implIS3_Lb1ELb0EPlSB_ZN2at6native12_GLOBAL__N_124unique_dim_cuda_templateItEESt5tupleIJNSC_6TensorESH_SH_EERKSH_lbbbEUlllE1_EE10hipError_tPvRmT2_T3_mT4_P12ihipStream_tbEUlmE_lEESB_NS0_8identityIvEEEESM_SP_SQ_mSR_ST_bEUlT_E_NS1_11comp_targetILNS1_3genE3ELNS1_11target_archE908ELNS1_3gpuE7ELNS1_3repE0EEENS1_30default_config_static_selectorELNS0_4arch9wavefront6targetE1EEEvT1_
    .private_segment_fixed_size: 0
    .sgpr_count:     6
    .sgpr_spill_count: 0
    .symbol:         _ZN7rocprim17ROCPRIM_400000_NS6detail17trampoline_kernelINS0_14default_configENS1_25transform_config_selectorIlLb0EEEZNS1_14transform_implILb0ES3_S5_NS0_18transform_iteratorINS0_17counting_iteratorImlEEZNS1_24adjacent_difference_implIS3_Lb1ELb0EPlSB_ZN2at6native12_GLOBAL__N_124unique_dim_cuda_templateItEESt5tupleIJNSC_6TensorESH_SH_EERKSH_lbbbEUlllE1_EE10hipError_tPvRmT2_T3_mT4_P12ihipStream_tbEUlmE_lEESB_NS0_8identityIvEEEESM_SP_SQ_mSR_ST_bEUlT_E_NS1_11comp_targetILNS1_3genE3ELNS1_11target_archE908ELNS1_3gpuE7ELNS1_3repE0EEENS1_30default_config_static_selectorELNS0_4arch9wavefront6targetE1EEEvT1_.kd
    .uniform_work_group_size: 1
    .uses_dynamic_stack: false
    .vgpr_count:     0
    .vgpr_spill_count: 0
    .wavefront_size: 64
  - .agpr_count:     0
    .args:
      - .offset:         0
        .size:           56
        .value_kind:     by_value
    .group_segment_fixed_size: 0
    .kernarg_segment_align: 8
    .kernarg_segment_size: 56
    .language:       OpenCL C
    .language_version:
      - 2
      - 0
    .max_flat_workgroup_size: 512
    .name:           _ZN7rocprim17ROCPRIM_400000_NS6detail17trampoline_kernelINS0_14default_configENS1_25transform_config_selectorIlLb0EEEZNS1_14transform_implILb0ES3_S5_NS0_18transform_iteratorINS0_17counting_iteratorImlEEZNS1_24adjacent_difference_implIS3_Lb1ELb0EPlSB_ZN2at6native12_GLOBAL__N_124unique_dim_cuda_templateItEESt5tupleIJNSC_6TensorESH_SH_EERKSH_lbbbEUlllE1_EE10hipError_tPvRmT2_T3_mT4_P12ihipStream_tbEUlmE_lEESB_NS0_8identityIvEEEESM_SP_SQ_mSR_ST_bEUlT_E_NS1_11comp_targetILNS1_3genE2ELNS1_11target_archE906ELNS1_3gpuE6ELNS1_3repE0EEENS1_30default_config_static_selectorELNS0_4arch9wavefront6targetE1EEEvT1_
    .private_segment_fixed_size: 0
    .sgpr_count:     6
    .sgpr_spill_count: 0
    .symbol:         _ZN7rocprim17ROCPRIM_400000_NS6detail17trampoline_kernelINS0_14default_configENS1_25transform_config_selectorIlLb0EEEZNS1_14transform_implILb0ES3_S5_NS0_18transform_iteratorINS0_17counting_iteratorImlEEZNS1_24adjacent_difference_implIS3_Lb1ELb0EPlSB_ZN2at6native12_GLOBAL__N_124unique_dim_cuda_templateItEESt5tupleIJNSC_6TensorESH_SH_EERKSH_lbbbEUlllE1_EE10hipError_tPvRmT2_T3_mT4_P12ihipStream_tbEUlmE_lEESB_NS0_8identityIvEEEESM_SP_SQ_mSR_ST_bEUlT_E_NS1_11comp_targetILNS1_3genE2ELNS1_11target_archE906ELNS1_3gpuE6ELNS1_3repE0EEENS1_30default_config_static_selectorELNS0_4arch9wavefront6targetE1EEEvT1_.kd
    .uniform_work_group_size: 1
    .uses_dynamic_stack: false
    .vgpr_count:     0
    .vgpr_spill_count: 0
    .wavefront_size: 64
  - .agpr_count:     0
    .args:
      - .offset:         0
        .size:           56
        .value_kind:     by_value
    .group_segment_fixed_size: 0
    .kernarg_segment_align: 8
    .kernarg_segment_size: 56
    .language:       OpenCL C
    .language_version:
      - 2
      - 0
    .max_flat_workgroup_size: 1024
    .name:           _ZN7rocprim17ROCPRIM_400000_NS6detail17trampoline_kernelINS0_14default_configENS1_25transform_config_selectorIlLb0EEEZNS1_14transform_implILb0ES3_S5_NS0_18transform_iteratorINS0_17counting_iteratorImlEEZNS1_24adjacent_difference_implIS3_Lb1ELb0EPlSB_ZN2at6native12_GLOBAL__N_124unique_dim_cuda_templateItEESt5tupleIJNSC_6TensorESH_SH_EERKSH_lbbbEUlllE1_EE10hipError_tPvRmT2_T3_mT4_P12ihipStream_tbEUlmE_lEESB_NS0_8identityIvEEEESM_SP_SQ_mSR_ST_bEUlT_E_NS1_11comp_targetILNS1_3genE10ELNS1_11target_archE1201ELNS1_3gpuE5ELNS1_3repE0EEENS1_30default_config_static_selectorELNS0_4arch9wavefront6targetE1EEEvT1_
    .private_segment_fixed_size: 0
    .sgpr_count:     6
    .sgpr_spill_count: 0
    .symbol:         _ZN7rocprim17ROCPRIM_400000_NS6detail17trampoline_kernelINS0_14default_configENS1_25transform_config_selectorIlLb0EEEZNS1_14transform_implILb0ES3_S5_NS0_18transform_iteratorINS0_17counting_iteratorImlEEZNS1_24adjacent_difference_implIS3_Lb1ELb0EPlSB_ZN2at6native12_GLOBAL__N_124unique_dim_cuda_templateItEESt5tupleIJNSC_6TensorESH_SH_EERKSH_lbbbEUlllE1_EE10hipError_tPvRmT2_T3_mT4_P12ihipStream_tbEUlmE_lEESB_NS0_8identityIvEEEESM_SP_SQ_mSR_ST_bEUlT_E_NS1_11comp_targetILNS1_3genE10ELNS1_11target_archE1201ELNS1_3gpuE5ELNS1_3repE0EEENS1_30default_config_static_selectorELNS0_4arch9wavefront6targetE1EEEvT1_.kd
    .uniform_work_group_size: 1
    .uses_dynamic_stack: false
    .vgpr_count:     0
    .vgpr_spill_count: 0
    .wavefront_size: 64
  - .agpr_count:     0
    .args:
      - .offset:         0
        .size:           56
        .value_kind:     by_value
    .group_segment_fixed_size: 0
    .kernarg_segment_align: 8
    .kernarg_segment_size: 56
    .language:       OpenCL C
    .language_version:
      - 2
      - 0
    .max_flat_workgroup_size: 512
    .name:           _ZN7rocprim17ROCPRIM_400000_NS6detail17trampoline_kernelINS0_14default_configENS1_25transform_config_selectorIlLb0EEEZNS1_14transform_implILb0ES3_S5_NS0_18transform_iteratorINS0_17counting_iteratorImlEEZNS1_24adjacent_difference_implIS3_Lb1ELb0EPlSB_ZN2at6native12_GLOBAL__N_124unique_dim_cuda_templateItEESt5tupleIJNSC_6TensorESH_SH_EERKSH_lbbbEUlllE1_EE10hipError_tPvRmT2_T3_mT4_P12ihipStream_tbEUlmE_lEESB_NS0_8identityIvEEEESM_SP_SQ_mSR_ST_bEUlT_E_NS1_11comp_targetILNS1_3genE10ELNS1_11target_archE1200ELNS1_3gpuE4ELNS1_3repE0EEENS1_30default_config_static_selectorELNS0_4arch9wavefront6targetE1EEEvT1_
    .private_segment_fixed_size: 0
    .sgpr_count:     6
    .sgpr_spill_count: 0
    .symbol:         _ZN7rocprim17ROCPRIM_400000_NS6detail17trampoline_kernelINS0_14default_configENS1_25transform_config_selectorIlLb0EEEZNS1_14transform_implILb0ES3_S5_NS0_18transform_iteratorINS0_17counting_iteratorImlEEZNS1_24adjacent_difference_implIS3_Lb1ELb0EPlSB_ZN2at6native12_GLOBAL__N_124unique_dim_cuda_templateItEESt5tupleIJNSC_6TensorESH_SH_EERKSH_lbbbEUlllE1_EE10hipError_tPvRmT2_T3_mT4_P12ihipStream_tbEUlmE_lEESB_NS0_8identityIvEEEESM_SP_SQ_mSR_ST_bEUlT_E_NS1_11comp_targetILNS1_3genE10ELNS1_11target_archE1200ELNS1_3gpuE4ELNS1_3repE0EEENS1_30default_config_static_selectorELNS0_4arch9wavefront6targetE1EEEvT1_.kd
    .uniform_work_group_size: 1
    .uses_dynamic_stack: false
    .vgpr_count:     0
    .vgpr_spill_count: 0
    .wavefront_size: 64
  - .agpr_count:     0
    .args:
      - .offset:         0
        .size:           56
        .value_kind:     by_value
    .group_segment_fixed_size: 0
    .kernarg_segment_align: 8
    .kernarg_segment_size: 56
    .language:       OpenCL C
    .language_version:
      - 2
      - 0
    .max_flat_workgroup_size: 512
    .name:           _ZN7rocprim17ROCPRIM_400000_NS6detail17trampoline_kernelINS0_14default_configENS1_25transform_config_selectorIlLb0EEEZNS1_14transform_implILb0ES3_S5_NS0_18transform_iteratorINS0_17counting_iteratorImlEEZNS1_24adjacent_difference_implIS3_Lb1ELb0EPlSB_ZN2at6native12_GLOBAL__N_124unique_dim_cuda_templateItEESt5tupleIJNSC_6TensorESH_SH_EERKSH_lbbbEUlllE1_EE10hipError_tPvRmT2_T3_mT4_P12ihipStream_tbEUlmE_lEESB_NS0_8identityIvEEEESM_SP_SQ_mSR_ST_bEUlT_E_NS1_11comp_targetILNS1_3genE9ELNS1_11target_archE1100ELNS1_3gpuE3ELNS1_3repE0EEENS1_30default_config_static_selectorELNS0_4arch9wavefront6targetE1EEEvT1_
    .private_segment_fixed_size: 0
    .sgpr_count:     6
    .sgpr_spill_count: 0
    .symbol:         _ZN7rocprim17ROCPRIM_400000_NS6detail17trampoline_kernelINS0_14default_configENS1_25transform_config_selectorIlLb0EEEZNS1_14transform_implILb0ES3_S5_NS0_18transform_iteratorINS0_17counting_iteratorImlEEZNS1_24adjacent_difference_implIS3_Lb1ELb0EPlSB_ZN2at6native12_GLOBAL__N_124unique_dim_cuda_templateItEESt5tupleIJNSC_6TensorESH_SH_EERKSH_lbbbEUlllE1_EE10hipError_tPvRmT2_T3_mT4_P12ihipStream_tbEUlmE_lEESB_NS0_8identityIvEEEESM_SP_SQ_mSR_ST_bEUlT_E_NS1_11comp_targetILNS1_3genE9ELNS1_11target_archE1100ELNS1_3gpuE3ELNS1_3repE0EEENS1_30default_config_static_selectorELNS0_4arch9wavefront6targetE1EEEvT1_.kd
    .uniform_work_group_size: 1
    .uses_dynamic_stack: false
    .vgpr_count:     0
    .vgpr_spill_count: 0
    .wavefront_size: 64
  - .agpr_count:     0
    .args:
      - .offset:         0
        .size:           56
        .value_kind:     by_value
    .group_segment_fixed_size: 0
    .kernarg_segment_align: 8
    .kernarg_segment_size: 56
    .language:       OpenCL C
    .language_version:
      - 2
      - 0
    .max_flat_workgroup_size: 512
    .name:           _ZN7rocprim17ROCPRIM_400000_NS6detail17trampoline_kernelINS0_14default_configENS1_25transform_config_selectorIlLb0EEEZNS1_14transform_implILb0ES3_S5_NS0_18transform_iteratorINS0_17counting_iteratorImlEEZNS1_24adjacent_difference_implIS3_Lb1ELb0EPlSB_ZN2at6native12_GLOBAL__N_124unique_dim_cuda_templateItEESt5tupleIJNSC_6TensorESH_SH_EERKSH_lbbbEUlllE1_EE10hipError_tPvRmT2_T3_mT4_P12ihipStream_tbEUlmE_lEESB_NS0_8identityIvEEEESM_SP_SQ_mSR_ST_bEUlT_E_NS1_11comp_targetILNS1_3genE8ELNS1_11target_archE1030ELNS1_3gpuE2ELNS1_3repE0EEENS1_30default_config_static_selectorELNS0_4arch9wavefront6targetE1EEEvT1_
    .private_segment_fixed_size: 0
    .sgpr_count:     6
    .sgpr_spill_count: 0
    .symbol:         _ZN7rocprim17ROCPRIM_400000_NS6detail17trampoline_kernelINS0_14default_configENS1_25transform_config_selectorIlLb0EEEZNS1_14transform_implILb0ES3_S5_NS0_18transform_iteratorINS0_17counting_iteratorImlEEZNS1_24adjacent_difference_implIS3_Lb1ELb0EPlSB_ZN2at6native12_GLOBAL__N_124unique_dim_cuda_templateItEESt5tupleIJNSC_6TensorESH_SH_EERKSH_lbbbEUlllE1_EE10hipError_tPvRmT2_T3_mT4_P12ihipStream_tbEUlmE_lEESB_NS0_8identityIvEEEESM_SP_SQ_mSR_ST_bEUlT_E_NS1_11comp_targetILNS1_3genE8ELNS1_11target_archE1030ELNS1_3gpuE2ELNS1_3repE0EEENS1_30default_config_static_selectorELNS0_4arch9wavefront6targetE1EEEvT1_.kd
    .uniform_work_group_size: 1
    .uses_dynamic_stack: false
    .vgpr_count:     0
    .vgpr_spill_count: 0
    .wavefront_size: 64
  - .agpr_count:     0
    .args:
      - .offset:         0
        .size:           64
        .value_kind:     by_value
    .group_segment_fixed_size: 8448
    .kernarg_segment_align: 8
    .kernarg_segment_size: 64
    .language:       OpenCL C
    .language_version:
      - 2
      - 0
    .max_flat_workgroup_size: 512
    .name:           _ZN7rocprim17ROCPRIM_400000_NS6detail17trampoline_kernelINS0_14default_configENS1_35adjacent_difference_config_selectorILb1ElEEZNS1_24adjacent_difference_implIS3_Lb1ELb0EPlS7_ZN2at6native12_GLOBAL__N_124unique_dim_cuda_templateItEESt5tupleIJNS8_6TensorESD_SD_EERKSD_lbbbEUlllE1_EE10hipError_tPvRmT2_T3_mT4_P12ihipStream_tbEUlT_E_NS1_11comp_targetILNS1_3genE0ELNS1_11target_archE4294967295ELNS1_3gpuE0ELNS1_3repE0EEENS1_30default_config_static_selectorELNS0_4arch9wavefront6targetE1EEEvT1_
    .private_segment_fixed_size: 0
    .sgpr_count:     42
    .sgpr_spill_count: 0
    .symbol:         _ZN7rocprim17ROCPRIM_400000_NS6detail17trampoline_kernelINS0_14default_configENS1_35adjacent_difference_config_selectorILb1ElEEZNS1_24adjacent_difference_implIS3_Lb1ELb0EPlS7_ZN2at6native12_GLOBAL__N_124unique_dim_cuda_templateItEESt5tupleIJNS8_6TensorESD_SD_EERKSD_lbbbEUlllE1_EE10hipError_tPvRmT2_T3_mT4_P12ihipStream_tbEUlT_E_NS1_11comp_targetILNS1_3genE0ELNS1_11target_archE4294967295ELNS1_3gpuE0ELNS1_3repE0EEENS1_30default_config_static_selectorELNS0_4arch9wavefront6targetE1EEEvT1_.kd
    .uniform_work_group_size: 1
    .uses_dynamic_stack: false
    .vgpr_count:     16
    .vgpr_spill_count: 0
    .wavefront_size: 64
  - .agpr_count:     0
    .args:
      - .offset:         0
        .size:           64
        .value_kind:     by_value
    .group_segment_fixed_size: 0
    .kernarg_segment_align: 8
    .kernarg_segment_size: 64
    .language:       OpenCL C
    .language_version:
      - 2
      - 0
    .max_flat_workgroup_size: 32
    .name:           _ZN7rocprim17ROCPRIM_400000_NS6detail17trampoline_kernelINS0_14default_configENS1_35adjacent_difference_config_selectorILb1ElEEZNS1_24adjacent_difference_implIS3_Lb1ELb0EPlS7_ZN2at6native12_GLOBAL__N_124unique_dim_cuda_templateItEESt5tupleIJNS8_6TensorESD_SD_EERKSD_lbbbEUlllE1_EE10hipError_tPvRmT2_T3_mT4_P12ihipStream_tbEUlT_E_NS1_11comp_targetILNS1_3genE10ELNS1_11target_archE1201ELNS1_3gpuE5ELNS1_3repE0EEENS1_30default_config_static_selectorELNS0_4arch9wavefront6targetE1EEEvT1_
    .private_segment_fixed_size: 0
    .sgpr_count:     6
    .sgpr_spill_count: 0
    .symbol:         _ZN7rocprim17ROCPRIM_400000_NS6detail17trampoline_kernelINS0_14default_configENS1_35adjacent_difference_config_selectorILb1ElEEZNS1_24adjacent_difference_implIS3_Lb1ELb0EPlS7_ZN2at6native12_GLOBAL__N_124unique_dim_cuda_templateItEESt5tupleIJNS8_6TensorESD_SD_EERKSD_lbbbEUlllE1_EE10hipError_tPvRmT2_T3_mT4_P12ihipStream_tbEUlT_E_NS1_11comp_targetILNS1_3genE10ELNS1_11target_archE1201ELNS1_3gpuE5ELNS1_3repE0EEENS1_30default_config_static_selectorELNS0_4arch9wavefront6targetE1EEEvT1_.kd
    .uniform_work_group_size: 1
    .uses_dynamic_stack: false
    .vgpr_count:     0
    .vgpr_spill_count: 0
    .wavefront_size: 64
  - .agpr_count:     0
    .args:
      - .offset:         0
        .size:           64
        .value_kind:     by_value
    .group_segment_fixed_size: 0
    .kernarg_segment_align: 8
    .kernarg_segment_size: 64
    .language:       OpenCL C
    .language_version:
      - 2
      - 0
    .max_flat_workgroup_size: 256
    .name:           _ZN7rocprim17ROCPRIM_400000_NS6detail17trampoline_kernelINS0_14default_configENS1_35adjacent_difference_config_selectorILb1ElEEZNS1_24adjacent_difference_implIS3_Lb1ELb0EPlS7_ZN2at6native12_GLOBAL__N_124unique_dim_cuda_templateItEESt5tupleIJNS8_6TensorESD_SD_EERKSD_lbbbEUlllE1_EE10hipError_tPvRmT2_T3_mT4_P12ihipStream_tbEUlT_E_NS1_11comp_targetILNS1_3genE5ELNS1_11target_archE942ELNS1_3gpuE9ELNS1_3repE0EEENS1_30default_config_static_selectorELNS0_4arch9wavefront6targetE1EEEvT1_
    .private_segment_fixed_size: 0
    .sgpr_count:     6
    .sgpr_spill_count: 0
    .symbol:         _ZN7rocprim17ROCPRIM_400000_NS6detail17trampoline_kernelINS0_14default_configENS1_35adjacent_difference_config_selectorILb1ElEEZNS1_24adjacent_difference_implIS3_Lb1ELb0EPlS7_ZN2at6native12_GLOBAL__N_124unique_dim_cuda_templateItEESt5tupleIJNS8_6TensorESD_SD_EERKSD_lbbbEUlllE1_EE10hipError_tPvRmT2_T3_mT4_P12ihipStream_tbEUlT_E_NS1_11comp_targetILNS1_3genE5ELNS1_11target_archE942ELNS1_3gpuE9ELNS1_3repE0EEENS1_30default_config_static_selectorELNS0_4arch9wavefront6targetE1EEEvT1_.kd
    .uniform_work_group_size: 1
    .uses_dynamic_stack: false
    .vgpr_count:     0
    .vgpr_spill_count: 0
    .wavefront_size: 64
  - .agpr_count:     0
    .args:
      - .offset:         0
        .size:           64
        .value_kind:     by_value
    .group_segment_fixed_size: 0
    .kernarg_segment_align: 8
    .kernarg_segment_size: 64
    .language:       OpenCL C
    .language_version:
      - 2
      - 0
    .max_flat_workgroup_size: 512
    .name:           _ZN7rocprim17ROCPRIM_400000_NS6detail17trampoline_kernelINS0_14default_configENS1_35adjacent_difference_config_selectorILb1ElEEZNS1_24adjacent_difference_implIS3_Lb1ELb0EPlS7_ZN2at6native12_GLOBAL__N_124unique_dim_cuda_templateItEESt5tupleIJNS8_6TensorESD_SD_EERKSD_lbbbEUlllE1_EE10hipError_tPvRmT2_T3_mT4_P12ihipStream_tbEUlT_E_NS1_11comp_targetILNS1_3genE4ELNS1_11target_archE910ELNS1_3gpuE8ELNS1_3repE0EEENS1_30default_config_static_selectorELNS0_4arch9wavefront6targetE1EEEvT1_
    .private_segment_fixed_size: 0
    .sgpr_count:     6
    .sgpr_spill_count: 0
    .symbol:         _ZN7rocprim17ROCPRIM_400000_NS6detail17trampoline_kernelINS0_14default_configENS1_35adjacent_difference_config_selectorILb1ElEEZNS1_24adjacent_difference_implIS3_Lb1ELb0EPlS7_ZN2at6native12_GLOBAL__N_124unique_dim_cuda_templateItEESt5tupleIJNS8_6TensorESD_SD_EERKSD_lbbbEUlllE1_EE10hipError_tPvRmT2_T3_mT4_P12ihipStream_tbEUlT_E_NS1_11comp_targetILNS1_3genE4ELNS1_11target_archE910ELNS1_3gpuE8ELNS1_3repE0EEENS1_30default_config_static_selectorELNS0_4arch9wavefront6targetE1EEEvT1_.kd
    .uniform_work_group_size: 1
    .uses_dynamic_stack: false
    .vgpr_count:     0
    .vgpr_spill_count: 0
    .wavefront_size: 64
  - .agpr_count:     0
    .args:
      - .offset:         0
        .size:           64
        .value_kind:     by_value
    .group_segment_fixed_size: 0
    .kernarg_segment_align: 8
    .kernarg_segment_size: 64
    .language:       OpenCL C
    .language_version:
      - 2
      - 0
    .max_flat_workgroup_size: 512
    .name:           _ZN7rocprim17ROCPRIM_400000_NS6detail17trampoline_kernelINS0_14default_configENS1_35adjacent_difference_config_selectorILb1ElEEZNS1_24adjacent_difference_implIS3_Lb1ELb0EPlS7_ZN2at6native12_GLOBAL__N_124unique_dim_cuda_templateItEESt5tupleIJNS8_6TensorESD_SD_EERKSD_lbbbEUlllE1_EE10hipError_tPvRmT2_T3_mT4_P12ihipStream_tbEUlT_E_NS1_11comp_targetILNS1_3genE3ELNS1_11target_archE908ELNS1_3gpuE7ELNS1_3repE0EEENS1_30default_config_static_selectorELNS0_4arch9wavefront6targetE1EEEvT1_
    .private_segment_fixed_size: 0
    .sgpr_count:     6
    .sgpr_spill_count: 0
    .symbol:         _ZN7rocprim17ROCPRIM_400000_NS6detail17trampoline_kernelINS0_14default_configENS1_35adjacent_difference_config_selectorILb1ElEEZNS1_24adjacent_difference_implIS3_Lb1ELb0EPlS7_ZN2at6native12_GLOBAL__N_124unique_dim_cuda_templateItEESt5tupleIJNS8_6TensorESD_SD_EERKSD_lbbbEUlllE1_EE10hipError_tPvRmT2_T3_mT4_P12ihipStream_tbEUlT_E_NS1_11comp_targetILNS1_3genE3ELNS1_11target_archE908ELNS1_3gpuE7ELNS1_3repE0EEENS1_30default_config_static_selectorELNS0_4arch9wavefront6targetE1EEEvT1_.kd
    .uniform_work_group_size: 1
    .uses_dynamic_stack: false
    .vgpr_count:     0
    .vgpr_spill_count: 0
    .wavefront_size: 64
  - .agpr_count:     0
    .args:
      - .offset:         0
        .size:           64
        .value_kind:     by_value
    .group_segment_fixed_size: 0
    .kernarg_segment_align: 8
    .kernarg_segment_size: 64
    .language:       OpenCL C
    .language_version:
      - 2
      - 0
    .max_flat_workgroup_size: 128
    .name:           _ZN7rocprim17ROCPRIM_400000_NS6detail17trampoline_kernelINS0_14default_configENS1_35adjacent_difference_config_selectorILb1ElEEZNS1_24adjacent_difference_implIS3_Lb1ELb0EPlS7_ZN2at6native12_GLOBAL__N_124unique_dim_cuda_templateItEESt5tupleIJNS8_6TensorESD_SD_EERKSD_lbbbEUlllE1_EE10hipError_tPvRmT2_T3_mT4_P12ihipStream_tbEUlT_E_NS1_11comp_targetILNS1_3genE2ELNS1_11target_archE906ELNS1_3gpuE6ELNS1_3repE0EEENS1_30default_config_static_selectorELNS0_4arch9wavefront6targetE1EEEvT1_
    .private_segment_fixed_size: 0
    .sgpr_count:     6
    .sgpr_spill_count: 0
    .symbol:         _ZN7rocprim17ROCPRIM_400000_NS6detail17trampoline_kernelINS0_14default_configENS1_35adjacent_difference_config_selectorILb1ElEEZNS1_24adjacent_difference_implIS3_Lb1ELb0EPlS7_ZN2at6native12_GLOBAL__N_124unique_dim_cuda_templateItEESt5tupleIJNS8_6TensorESD_SD_EERKSD_lbbbEUlllE1_EE10hipError_tPvRmT2_T3_mT4_P12ihipStream_tbEUlT_E_NS1_11comp_targetILNS1_3genE2ELNS1_11target_archE906ELNS1_3gpuE6ELNS1_3repE0EEENS1_30default_config_static_selectorELNS0_4arch9wavefront6targetE1EEEvT1_.kd
    .uniform_work_group_size: 1
    .uses_dynamic_stack: false
    .vgpr_count:     0
    .vgpr_spill_count: 0
    .wavefront_size: 64
  - .agpr_count:     0
    .args:
      - .offset:         0
        .size:           64
        .value_kind:     by_value
    .group_segment_fixed_size: 0
    .kernarg_segment_align: 8
    .kernarg_segment_size: 64
    .language:       OpenCL C
    .language_version:
      - 2
      - 0
    .max_flat_workgroup_size: 128
    .name:           _ZN7rocprim17ROCPRIM_400000_NS6detail17trampoline_kernelINS0_14default_configENS1_35adjacent_difference_config_selectorILb1ElEEZNS1_24adjacent_difference_implIS3_Lb1ELb0EPlS7_ZN2at6native12_GLOBAL__N_124unique_dim_cuda_templateItEESt5tupleIJNS8_6TensorESD_SD_EERKSD_lbbbEUlllE1_EE10hipError_tPvRmT2_T3_mT4_P12ihipStream_tbEUlT_E_NS1_11comp_targetILNS1_3genE9ELNS1_11target_archE1100ELNS1_3gpuE3ELNS1_3repE0EEENS1_30default_config_static_selectorELNS0_4arch9wavefront6targetE1EEEvT1_
    .private_segment_fixed_size: 0
    .sgpr_count:     6
    .sgpr_spill_count: 0
    .symbol:         _ZN7rocprim17ROCPRIM_400000_NS6detail17trampoline_kernelINS0_14default_configENS1_35adjacent_difference_config_selectorILb1ElEEZNS1_24adjacent_difference_implIS3_Lb1ELb0EPlS7_ZN2at6native12_GLOBAL__N_124unique_dim_cuda_templateItEESt5tupleIJNS8_6TensorESD_SD_EERKSD_lbbbEUlllE1_EE10hipError_tPvRmT2_T3_mT4_P12ihipStream_tbEUlT_E_NS1_11comp_targetILNS1_3genE9ELNS1_11target_archE1100ELNS1_3gpuE3ELNS1_3repE0EEENS1_30default_config_static_selectorELNS0_4arch9wavefront6targetE1EEEvT1_.kd
    .uniform_work_group_size: 1
    .uses_dynamic_stack: false
    .vgpr_count:     0
    .vgpr_spill_count: 0
    .wavefront_size: 64
  - .agpr_count:     0
    .args:
      - .offset:         0
        .size:           64
        .value_kind:     by_value
    .group_segment_fixed_size: 0
    .kernarg_segment_align: 8
    .kernarg_segment_size: 64
    .language:       OpenCL C
    .language_version:
      - 2
      - 0
    .max_flat_workgroup_size: 32
    .name:           _ZN7rocprim17ROCPRIM_400000_NS6detail17trampoline_kernelINS0_14default_configENS1_35adjacent_difference_config_selectorILb1ElEEZNS1_24adjacent_difference_implIS3_Lb1ELb0EPlS7_ZN2at6native12_GLOBAL__N_124unique_dim_cuda_templateItEESt5tupleIJNS8_6TensorESD_SD_EERKSD_lbbbEUlllE1_EE10hipError_tPvRmT2_T3_mT4_P12ihipStream_tbEUlT_E_NS1_11comp_targetILNS1_3genE8ELNS1_11target_archE1030ELNS1_3gpuE2ELNS1_3repE0EEENS1_30default_config_static_selectorELNS0_4arch9wavefront6targetE1EEEvT1_
    .private_segment_fixed_size: 0
    .sgpr_count:     6
    .sgpr_spill_count: 0
    .symbol:         _ZN7rocprim17ROCPRIM_400000_NS6detail17trampoline_kernelINS0_14default_configENS1_35adjacent_difference_config_selectorILb1ElEEZNS1_24adjacent_difference_implIS3_Lb1ELb0EPlS7_ZN2at6native12_GLOBAL__N_124unique_dim_cuda_templateItEESt5tupleIJNS8_6TensorESD_SD_EERKSD_lbbbEUlllE1_EE10hipError_tPvRmT2_T3_mT4_P12ihipStream_tbEUlT_E_NS1_11comp_targetILNS1_3genE8ELNS1_11target_archE1030ELNS1_3gpuE2ELNS1_3repE0EEENS1_30default_config_static_selectorELNS0_4arch9wavefront6targetE1EEEvT1_.kd
    .uniform_work_group_size: 1
    .uses_dynamic_stack: false
    .vgpr_count:     0
    .vgpr_spill_count: 0
    .wavefront_size: 64
  - .agpr_count:     0
    .args:
      - .offset:         0
        .size:           120
        .value_kind:     by_value
    .group_segment_fixed_size: 28680
    .kernarg_segment_align: 8
    .kernarg_segment_size: 120
    .language:       OpenCL C
    .language_version:
      - 2
      - 0
    .max_flat_workgroup_size: 512
    .name:           _ZN7rocprim17ROCPRIM_400000_NS6detail17trampoline_kernelINS0_14default_configENS1_25partition_config_selectorILNS1_17partition_subalgoE8ElNS0_10empty_typeEbEEZZNS1_14partition_implILS5_8ELb0ES3_jPlPS6_PKS6_NS0_5tupleIJS9_S6_EEENSD_IJSA_SA_EEENS0_18inequality_wrapperIZN2at6native12_GLOBAL__N_124unique_dim_cuda_templateItEESt5tupleIJNSH_6TensorESM_SM_EERKSM_lbbbEUlllE0_EEPmJS6_EEE10hipError_tPvRmT3_T4_T5_T6_T7_T9_mT8_P12ihipStream_tbDpT10_ENKUlT_T0_E_clISt17integral_constantIbLb0EES1C_EEDaS17_S18_EUlS17_E_NS1_11comp_targetILNS1_3genE0ELNS1_11target_archE4294967295ELNS1_3gpuE0ELNS1_3repE0EEENS1_30default_config_static_selectorELNS0_4arch9wavefront6targetE1EEEvT1_
    .private_segment_fixed_size: 0
    .sgpr_count:     56
    .sgpr_spill_count: 0
    .symbol:         _ZN7rocprim17ROCPRIM_400000_NS6detail17trampoline_kernelINS0_14default_configENS1_25partition_config_selectorILNS1_17partition_subalgoE8ElNS0_10empty_typeEbEEZZNS1_14partition_implILS5_8ELb0ES3_jPlPS6_PKS6_NS0_5tupleIJS9_S6_EEENSD_IJSA_SA_EEENS0_18inequality_wrapperIZN2at6native12_GLOBAL__N_124unique_dim_cuda_templateItEESt5tupleIJNSH_6TensorESM_SM_EERKSM_lbbbEUlllE0_EEPmJS6_EEE10hipError_tPvRmT3_T4_T5_T6_T7_T9_mT8_P12ihipStream_tbDpT10_ENKUlT_T0_E_clISt17integral_constantIbLb0EES1C_EEDaS17_S18_EUlS17_E_NS1_11comp_targetILNS1_3genE0ELNS1_11target_archE4294967295ELNS1_3gpuE0ELNS1_3repE0EEENS1_30default_config_static_selectorELNS0_4arch9wavefront6targetE1EEEvT1_.kd
    .uniform_work_group_size: 1
    .uses_dynamic_stack: false
    .vgpr_count:     58
    .vgpr_spill_count: 0
    .wavefront_size: 64
  - .agpr_count:     0
    .args:
      - .offset:         0
        .size:           120
        .value_kind:     by_value
    .group_segment_fixed_size: 0
    .kernarg_segment_align: 8
    .kernarg_segment_size: 120
    .language:       OpenCL C
    .language_version:
      - 2
      - 0
    .max_flat_workgroup_size: 512
    .name:           _ZN7rocprim17ROCPRIM_400000_NS6detail17trampoline_kernelINS0_14default_configENS1_25partition_config_selectorILNS1_17partition_subalgoE8ElNS0_10empty_typeEbEEZZNS1_14partition_implILS5_8ELb0ES3_jPlPS6_PKS6_NS0_5tupleIJS9_S6_EEENSD_IJSA_SA_EEENS0_18inequality_wrapperIZN2at6native12_GLOBAL__N_124unique_dim_cuda_templateItEESt5tupleIJNSH_6TensorESM_SM_EERKSM_lbbbEUlllE0_EEPmJS6_EEE10hipError_tPvRmT3_T4_T5_T6_T7_T9_mT8_P12ihipStream_tbDpT10_ENKUlT_T0_E_clISt17integral_constantIbLb0EES1C_EEDaS17_S18_EUlS17_E_NS1_11comp_targetILNS1_3genE5ELNS1_11target_archE942ELNS1_3gpuE9ELNS1_3repE0EEENS1_30default_config_static_selectorELNS0_4arch9wavefront6targetE1EEEvT1_
    .private_segment_fixed_size: 0
    .sgpr_count:     6
    .sgpr_spill_count: 0
    .symbol:         _ZN7rocprim17ROCPRIM_400000_NS6detail17trampoline_kernelINS0_14default_configENS1_25partition_config_selectorILNS1_17partition_subalgoE8ElNS0_10empty_typeEbEEZZNS1_14partition_implILS5_8ELb0ES3_jPlPS6_PKS6_NS0_5tupleIJS9_S6_EEENSD_IJSA_SA_EEENS0_18inequality_wrapperIZN2at6native12_GLOBAL__N_124unique_dim_cuda_templateItEESt5tupleIJNSH_6TensorESM_SM_EERKSM_lbbbEUlllE0_EEPmJS6_EEE10hipError_tPvRmT3_T4_T5_T6_T7_T9_mT8_P12ihipStream_tbDpT10_ENKUlT_T0_E_clISt17integral_constantIbLb0EES1C_EEDaS17_S18_EUlS17_E_NS1_11comp_targetILNS1_3genE5ELNS1_11target_archE942ELNS1_3gpuE9ELNS1_3repE0EEENS1_30default_config_static_selectorELNS0_4arch9wavefront6targetE1EEEvT1_.kd
    .uniform_work_group_size: 1
    .uses_dynamic_stack: false
    .vgpr_count:     0
    .vgpr_spill_count: 0
    .wavefront_size: 64
  - .agpr_count:     0
    .args:
      - .offset:         0
        .size:           120
        .value_kind:     by_value
    .group_segment_fixed_size: 0
    .kernarg_segment_align: 8
    .kernarg_segment_size: 120
    .language:       OpenCL C
    .language_version:
      - 2
      - 0
    .max_flat_workgroup_size: 256
    .name:           _ZN7rocprim17ROCPRIM_400000_NS6detail17trampoline_kernelINS0_14default_configENS1_25partition_config_selectorILNS1_17partition_subalgoE8ElNS0_10empty_typeEbEEZZNS1_14partition_implILS5_8ELb0ES3_jPlPS6_PKS6_NS0_5tupleIJS9_S6_EEENSD_IJSA_SA_EEENS0_18inequality_wrapperIZN2at6native12_GLOBAL__N_124unique_dim_cuda_templateItEESt5tupleIJNSH_6TensorESM_SM_EERKSM_lbbbEUlllE0_EEPmJS6_EEE10hipError_tPvRmT3_T4_T5_T6_T7_T9_mT8_P12ihipStream_tbDpT10_ENKUlT_T0_E_clISt17integral_constantIbLb0EES1C_EEDaS17_S18_EUlS17_E_NS1_11comp_targetILNS1_3genE4ELNS1_11target_archE910ELNS1_3gpuE8ELNS1_3repE0EEENS1_30default_config_static_selectorELNS0_4arch9wavefront6targetE1EEEvT1_
    .private_segment_fixed_size: 0
    .sgpr_count:     6
    .sgpr_spill_count: 0
    .symbol:         _ZN7rocprim17ROCPRIM_400000_NS6detail17trampoline_kernelINS0_14default_configENS1_25partition_config_selectorILNS1_17partition_subalgoE8ElNS0_10empty_typeEbEEZZNS1_14partition_implILS5_8ELb0ES3_jPlPS6_PKS6_NS0_5tupleIJS9_S6_EEENSD_IJSA_SA_EEENS0_18inequality_wrapperIZN2at6native12_GLOBAL__N_124unique_dim_cuda_templateItEESt5tupleIJNSH_6TensorESM_SM_EERKSM_lbbbEUlllE0_EEPmJS6_EEE10hipError_tPvRmT3_T4_T5_T6_T7_T9_mT8_P12ihipStream_tbDpT10_ENKUlT_T0_E_clISt17integral_constantIbLb0EES1C_EEDaS17_S18_EUlS17_E_NS1_11comp_targetILNS1_3genE4ELNS1_11target_archE910ELNS1_3gpuE8ELNS1_3repE0EEENS1_30default_config_static_selectorELNS0_4arch9wavefront6targetE1EEEvT1_.kd
    .uniform_work_group_size: 1
    .uses_dynamic_stack: false
    .vgpr_count:     0
    .vgpr_spill_count: 0
    .wavefront_size: 64
  - .agpr_count:     0
    .args:
      - .offset:         0
        .size:           120
        .value_kind:     by_value
    .group_segment_fixed_size: 0
    .kernarg_segment_align: 8
    .kernarg_segment_size: 120
    .language:       OpenCL C
    .language_version:
      - 2
      - 0
    .max_flat_workgroup_size: 512
    .name:           _ZN7rocprim17ROCPRIM_400000_NS6detail17trampoline_kernelINS0_14default_configENS1_25partition_config_selectorILNS1_17partition_subalgoE8ElNS0_10empty_typeEbEEZZNS1_14partition_implILS5_8ELb0ES3_jPlPS6_PKS6_NS0_5tupleIJS9_S6_EEENSD_IJSA_SA_EEENS0_18inequality_wrapperIZN2at6native12_GLOBAL__N_124unique_dim_cuda_templateItEESt5tupleIJNSH_6TensorESM_SM_EERKSM_lbbbEUlllE0_EEPmJS6_EEE10hipError_tPvRmT3_T4_T5_T6_T7_T9_mT8_P12ihipStream_tbDpT10_ENKUlT_T0_E_clISt17integral_constantIbLb0EES1C_EEDaS17_S18_EUlS17_E_NS1_11comp_targetILNS1_3genE3ELNS1_11target_archE908ELNS1_3gpuE7ELNS1_3repE0EEENS1_30default_config_static_selectorELNS0_4arch9wavefront6targetE1EEEvT1_
    .private_segment_fixed_size: 0
    .sgpr_count:     6
    .sgpr_spill_count: 0
    .symbol:         _ZN7rocprim17ROCPRIM_400000_NS6detail17trampoline_kernelINS0_14default_configENS1_25partition_config_selectorILNS1_17partition_subalgoE8ElNS0_10empty_typeEbEEZZNS1_14partition_implILS5_8ELb0ES3_jPlPS6_PKS6_NS0_5tupleIJS9_S6_EEENSD_IJSA_SA_EEENS0_18inequality_wrapperIZN2at6native12_GLOBAL__N_124unique_dim_cuda_templateItEESt5tupleIJNSH_6TensorESM_SM_EERKSM_lbbbEUlllE0_EEPmJS6_EEE10hipError_tPvRmT3_T4_T5_T6_T7_T9_mT8_P12ihipStream_tbDpT10_ENKUlT_T0_E_clISt17integral_constantIbLb0EES1C_EEDaS17_S18_EUlS17_E_NS1_11comp_targetILNS1_3genE3ELNS1_11target_archE908ELNS1_3gpuE7ELNS1_3repE0EEENS1_30default_config_static_selectorELNS0_4arch9wavefront6targetE1EEEvT1_.kd
    .uniform_work_group_size: 1
    .uses_dynamic_stack: false
    .vgpr_count:     0
    .vgpr_spill_count: 0
    .wavefront_size: 64
  - .agpr_count:     0
    .args:
      - .offset:         0
        .size:           120
        .value_kind:     by_value
    .group_segment_fixed_size: 0
    .kernarg_segment_align: 8
    .kernarg_segment_size: 120
    .language:       OpenCL C
    .language_version:
      - 2
      - 0
    .max_flat_workgroup_size: 256
    .name:           _ZN7rocprim17ROCPRIM_400000_NS6detail17trampoline_kernelINS0_14default_configENS1_25partition_config_selectorILNS1_17partition_subalgoE8ElNS0_10empty_typeEbEEZZNS1_14partition_implILS5_8ELb0ES3_jPlPS6_PKS6_NS0_5tupleIJS9_S6_EEENSD_IJSA_SA_EEENS0_18inequality_wrapperIZN2at6native12_GLOBAL__N_124unique_dim_cuda_templateItEESt5tupleIJNSH_6TensorESM_SM_EERKSM_lbbbEUlllE0_EEPmJS6_EEE10hipError_tPvRmT3_T4_T5_T6_T7_T9_mT8_P12ihipStream_tbDpT10_ENKUlT_T0_E_clISt17integral_constantIbLb0EES1C_EEDaS17_S18_EUlS17_E_NS1_11comp_targetILNS1_3genE2ELNS1_11target_archE906ELNS1_3gpuE6ELNS1_3repE0EEENS1_30default_config_static_selectorELNS0_4arch9wavefront6targetE1EEEvT1_
    .private_segment_fixed_size: 0
    .sgpr_count:     6
    .sgpr_spill_count: 0
    .symbol:         _ZN7rocprim17ROCPRIM_400000_NS6detail17trampoline_kernelINS0_14default_configENS1_25partition_config_selectorILNS1_17partition_subalgoE8ElNS0_10empty_typeEbEEZZNS1_14partition_implILS5_8ELb0ES3_jPlPS6_PKS6_NS0_5tupleIJS9_S6_EEENSD_IJSA_SA_EEENS0_18inequality_wrapperIZN2at6native12_GLOBAL__N_124unique_dim_cuda_templateItEESt5tupleIJNSH_6TensorESM_SM_EERKSM_lbbbEUlllE0_EEPmJS6_EEE10hipError_tPvRmT3_T4_T5_T6_T7_T9_mT8_P12ihipStream_tbDpT10_ENKUlT_T0_E_clISt17integral_constantIbLb0EES1C_EEDaS17_S18_EUlS17_E_NS1_11comp_targetILNS1_3genE2ELNS1_11target_archE906ELNS1_3gpuE6ELNS1_3repE0EEENS1_30default_config_static_selectorELNS0_4arch9wavefront6targetE1EEEvT1_.kd
    .uniform_work_group_size: 1
    .uses_dynamic_stack: false
    .vgpr_count:     0
    .vgpr_spill_count: 0
    .wavefront_size: 64
  - .agpr_count:     0
    .args:
      - .offset:         0
        .size:           120
        .value_kind:     by_value
    .group_segment_fixed_size: 0
    .kernarg_segment_align: 8
    .kernarg_segment_size: 120
    .language:       OpenCL C
    .language_version:
      - 2
      - 0
    .max_flat_workgroup_size: 384
    .name:           _ZN7rocprim17ROCPRIM_400000_NS6detail17trampoline_kernelINS0_14default_configENS1_25partition_config_selectorILNS1_17partition_subalgoE8ElNS0_10empty_typeEbEEZZNS1_14partition_implILS5_8ELb0ES3_jPlPS6_PKS6_NS0_5tupleIJS9_S6_EEENSD_IJSA_SA_EEENS0_18inequality_wrapperIZN2at6native12_GLOBAL__N_124unique_dim_cuda_templateItEESt5tupleIJNSH_6TensorESM_SM_EERKSM_lbbbEUlllE0_EEPmJS6_EEE10hipError_tPvRmT3_T4_T5_T6_T7_T9_mT8_P12ihipStream_tbDpT10_ENKUlT_T0_E_clISt17integral_constantIbLb0EES1C_EEDaS17_S18_EUlS17_E_NS1_11comp_targetILNS1_3genE10ELNS1_11target_archE1200ELNS1_3gpuE4ELNS1_3repE0EEENS1_30default_config_static_selectorELNS0_4arch9wavefront6targetE1EEEvT1_
    .private_segment_fixed_size: 0
    .sgpr_count:     6
    .sgpr_spill_count: 0
    .symbol:         _ZN7rocprim17ROCPRIM_400000_NS6detail17trampoline_kernelINS0_14default_configENS1_25partition_config_selectorILNS1_17partition_subalgoE8ElNS0_10empty_typeEbEEZZNS1_14partition_implILS5_8ELb0ES3_jPlPS6_PKS6_NS0_5tupleIJS9_S6_EEENSD_IJSA_SA_EEENS0_18inequality_wrapperIZN2at6native12_GLOBAL__N_124unique_dim_cuda_templateItEESt5tupleIJNSH_6TensorESM_SM_EERKSM_lbbbEUlllE0_EEPmJS6_EEE10hipError_tPvRmT3_T4_T5_T6_T7_T9_mT8_P12ihipStream_tbDpT10_ENKUlT_T0_E_clISt17integral_constantIbLb0EES1C_EEDaS17_S18_EUlS17_E_NS1_11comp_targetILNS1_3genE10ELNS1_11target_archE1200ELNS1_3gpuE4ELNS1_3repE0EEENS1_30default_config_static_selectorELNS0_4arch9wavefront6targetE1EEEvT1_.kd
    .uniform_work_group_size: 1
    .uses_dynamic_stack: false
    .vgpr_count:     0
    .vgpr_spill_count: 0
    .wavefront_size: 64
  - .agpr_count:     0
    .args:
      - .offset:         0
        .size:           120
        .value_kind:     by_value
    .group_segment_fixed_size: 0
    .kernarg_segment_align: 8
    .kernarg_segment_size: 120
    .language:       OpenCL C
    .language_version:
      - 2
      - 0
    .max_flat_workgroup_size: 512
    .name:           _ZN7rocprim17ROCPRIM_400000_NS6detail17trampoline_kernelINS0_14default_configENS1_25partition_config_selectorILNS1_17partition_subalgoE8ElNS0_10empty_typeEbEEZZNS1_14partition_implILS5_8ELb0ES3_jPlPS6_PKS6_NS0_5tupleIJS9_S6_EEENSD_IJSA_SA_EEENS0_18inequality_wrapperIZN2at6native12_GLOBAL__N_124unique_dim_cuda_templateItEESt5tupleIJNSH_6TensorESM_SM_EERKSM_lbbbEUlllE0_EEPmJS6_EEE10hipError_tPvRmT3_T4_T5_T6_T7_T9_mT8_P12ihipStream_tbDpT10_ENKUlT_T0_E_clISt17integral_constantIbLb0EES1C_EEDaS17_S18_EUlS17_E_NS1_11comp_targetILNS1_3genE9ELNS1_11target_archE1100ELNS1_3gpuE3ELNS1_3repE0EEENS1_30default_config_static_selectorELNS0_4arch9wavefront6targetE1EEEvT1_
    .private_segment_fixed_size: 0
    .sgpr_count:     6
    .sgpr_spill_count: 0
    .symbol:         _ZN7rocprim17ROCPRIM_400000_NS6detail17trampoline_kernelINS0_14default_configENS1_25partition_config_selectorILNS1_17partition_subalgoE8ElNS0_10empty_typeEbEEZZNS1_14partition_implILS5_8ELb0ES3_jPlPS6_PKS6_NS0_5tupleIJS9_S6_EEENSD_IJSA_SA_EEENS0_18inequality_wrapperIZN2at6native12_GLOBAL__N_124unique_dim_cuda_templateItEESt5tupleIJNSH_6TensorESM_SM_EERKSM_lbbbEUlllE0_EEPmJS6_EEE10hipError_tPvRmT3_T4_T5_T6_T7_T9_mT8_P12ihipStream_tbDpT10_ENKUlT_T0_E_clISt17integral_constantIbLb0EES1C_EEDaS17_S18_EUlS17_E_NS1_11comp_targetILNS1_3genE9ELNS1_11target_archE1100ELNS1_3gpuE3ELNS1_3repE0EEENS1_30default_config_static_selectorELNS0_4arch9wavefront6targetE1EEEvT1_.kd
    .uniform_work_group_size: 1
    .uses_dynamic_stack: false
    .vgpr_count:     0
    .vgpr_spill_count: 0
    .wavefront_size: 64
  - .agpr_count:     0
    .args:
      - .offset:         0
        .size:           120
        .value_kind:     by_value
    .group_segment_fixed_size: 0
    .kernarg_segment_align: 8
    .kernarg_segment_size: 120
    .language:       OpenCL C
    .language_version:
      - 2
      - 0
    .max_flat_workgroup_size: 512
    .name:           _ZN7rocprim17ROCPRIM_400000_NS6detail17trampoline_kernelINS0_14default_configENS1_25partition_config_selectorILNS1_17partition_subalgoE8ElNS0_10empty_typeEbEEZZNS1_14partition_implILS5_8ELb0ES3_jPlPS6_PKS6_NS0_5tupleIJS9_S6_EEENSD_IJSA_SA_EEENS0_18inequality_wrapperIZN2at6native12_GLOBAL__N_124unique_dim_cuda_templateItEESt5tupleIJNSH_6TensorESM_SM_EERKSM_lbbbEUlllE0_EEPmJS6_EEE10hipError_tPvRmT3_T4_T5_T6_T7_T9_mT8_P12ihipStream_tbDpT10_ENKUlT_T0_E_clISt17integral_constantIbLb0EES1C_EEDaS17_S18_EUlS17_E_NS1_11comp_targetILNS1_3genE8ELNS1_11target_archE1030ELNS1_3gpuE2ELNS1_3repE0EEENS1_30default_config_static_selectorELNS0_4arch9wavefront6targetE1EEEvT1_
    .private_segment_fixed_size: 0
    .sgpr_count:     6
    .sgpr_spill_count: 0
    .symbol:         _ZN7rocprim17ROCPRIM_400000_NS6detail17trampoline_kernelINS0_14default_configENS1_25partition_config_selectorILNS1_17partition_subalgoE8ElNS0_10empty_typeEbEEZZNS1_14partition_implILS5_8ELb0ES3_jPlPS6_PKS6_NS0_5tupleIJS9_S6_EEENSD_IJSA_SA_EEENS0_18inequality_wrapperIZN2at6native12_GLOBAL__N_124unique_dim_cuda_templateItEESt5tupleIJNSH_6TensorESM_SM_EERKSM_lbbbEUlllE0_EEPmJS6_EEE10hipError_tPvRmT3_T4_T5_T6_T7_T9_mT8_P12ihipStream_tbDpT10_ENKUlT_T0_E_clISt17integral_constantIbLb0EES1C_EEDaS17_S18_EUlS17_E_NS1_11comp_targetILNS1_3genE8ELNS1_11target_archE1030ELNS1_3gpuE2ELNS1_3repE0EEENS1_30default_config_static_selectorELNS0_4arch9wavefront6targetE1EEEvT1_.kd
    .uniform_work_group_size: 1
    .uses_dynamic_stack: false
    .vgpr_count:     0
    .vgpr_spill_count: 0
    .wavefront_size: 64
  - .agpr_count:     0
    .args:
      - .offset:         0
        .size:           136
        .value_kind:     by_value
    .group_segment_fixed_size: 0
    .kernarg_segment_align: 8
    .kernarg_segment_size: 136
    .language:       OpenCL C
    .language_version:
      - 2
      - 0
    .max_flat_workgroup_size: 512
    .name:           _ZN7rocprim17ROCPRIM_400000_NS6detail17trampoline_kernelINS0_14default_configENS1_25partition_config_selectorILNS1_17partition_subalgoE8ElNS0_10empty_typeEbEEZZNS1_14partition_implILS5_8ELb0ES3_jPlPS6_PKS6_NS0_5tupleIJS9_S6_EEENSD_IJSA_SA_EEENS0_18inequality_wrapperIZN2at6native12_GLOBAL__N_124unique_dim_cuda_templateItEESt5tupleIJNSH_6TensorESM_SM_EERKSM_lbbbEUlllE0_EEPmJS6_EEE10hipError_tPvRmT3_T4_T5_T6_T7_T9_mT8_P12ihipStream_tbDpT10_ENKUlT_T0_E_clISt17integral_constantIbLb1EES1C_EEDaS17_S18_EUlS17_E_NS1_11comp_targetILNS1_3genE0ELNS1_11target_archE4294967295ELNS1_3gpuE0ELNS1_3repE0EEENS1_30default_config_static_selectorELNS0_4arch9wavefront6targetE1EEEvT1_
    .private_segment_fixed_size: 0
    .sgpr_count:     6
    .sgpr_spill_count: 0
    .symbol:         _ZN7rocprim17ROCPRIM_400000_NS6detail17trampoline_kernelINS0_14default_configENS1_25partition_config_selectorILNS1_17partition_subalgoE8ElNS0_10empty_typeEbEEZZNS1_14partition_implILS5_8ELb0ES3_jPlPS6_PKS6_NS0_5tupleIJS9_S6_EEENSD_IJSA_SA_EEENS0_18inequality_wrapperIZN2at6native12_GLOBAL__N_124unique_dim_cuda_templateItEESt5tupleIJNSH_6TensorESM_SM_EERKSM_lbbbEUlllE0_EEPmJS6_EEE10hipError_tPvRmT3_T4_T5_T6_T7_T9_mT8_P12ihipStream_tbDpT10_ENKUlT_T0_E_clISt17integral_constantIbLb1EES1C_EEDaS17_S18_EUlS17_E_NS1_11comp_targetILNS1_3genE0ELNS1_11target_archE4294967295ELNS1_3gpuE0ELNS1_3repE0EEENS1_30default_config_static_selectorELNS0_4arch9wavefront6targetE1EEEvT1_.kd
    .uniform_work_group_size: 1
    .uses_dynamic_stack: false
    .vgpr_count:     0
    .vgpr_spill_count: 0
    .wavefront_size: 64
  - .agpr_count:     0
    .args:
      - .offset:         0
        .size:           136
        .value_kind:     by_value
    .group_segment_fixed_size: 0
    .kernarg_segment_align: 8
    .kernarg_segment_size: 136
    .language:       OpenCL C
    .language_version:
      - 2
      - 0
    .max_flat_workgroup_size: 512
    .name:           _ZN7rocprim17ROCPRIM_400000_NS6detail17trampoline_kernelINS0_14default_configENS1_25partition_config_selectorILNS1_17partition_subalgoE8ElNS0_10empty_typeEbEEZZNS1_14partition_implILS5_8ELb0ES3_jPlPS6_PKS6_NS0_5tupleIJS9_S6_EEENSD_IJSA_SA_EEENS0_18inequality_wrapperIZN2at6native12_GLOBAL__N_124unique_dim_cuda_templateItEESt5tupleIJNSH_6TensorESM_SM_EERKSM_lbbbEUlllE0_EEPmJS6_EEE10hipError_tPvRmT3_T4_T5_T6_T7_T9_mT8_P12ihipStream_tbDpT10_ENKUlT_T0_E_clISt17integral_constantIbLb1EES1C_EEDaS17_S18_EUlS17_E_NS1_11comp_targetILNS1_3genE5ELNS1_11target_archE942ELNS1_3gpuE9ELNS1_3repE0EEENS1_30default_config_static_selectorELNS0_4arch9wavefront6targetE1EEEvT1_
    .private_segment_fixed_size: 0
    .sgpr_count:     6
    .sgpr_spill_count: 0
    .symbol:         _ZN7rocprim17ROCPRIM_400000_NS6detail17trampoline_kernelINS0_14default_configENS1_25partition_config_selectorILNS1_17partition_subalgoE8ElNS0_10empty_typeEbEEZZNS1_14partition_implILS5_8ELb0ES3_jPlPS6_PKS6_NS0_5tupleIJS9_S6_EEENSD_IJSA_SA_EEENS0_18inequality_wrapperIZN2at6native12_GLOBAL__N_124unique_dim_cuda_templateItEESt5tupleIJNSH_6TensorESM_SM_EERKSM_lbbbEUlllE0_EEPmJS6_EEE10hipError_tPvRmT3_T4_T5_T6_T7_T9_mT8_P12ihipStream_tbDpT10_ENKUlT_T0_E_clISt17integral_constantIbLb1EES1C_EEDaS17_S18_EUlS17_E_NS1_11comp_targetILNS1_3genE5ELNS1_11target_archE942ELNS1_3gpuE9ELNS1_3repE0EEENS1_30default_config_static_selectorELNS0_4arch9wavefront6targetE1EEEvT1_.kd
    .uniform_work_group_size: 1
    .uses_dynamic_stack: false
    .vgpr_count:     0
    .vgpr_spill_count: 0
    .wavefront_size: 64
  - .agpr_count:     0
    .args:
      - .offset:         0
        .size:           136
        .value_kind:     by_value
    .group_segment_fixed_size: 0
    .kernarg_segment_align: 8
    .kernarg_segment_size: 136
    .language:       OpenCL C
    .language_version:
      - 2
      - 0
    .max_flat_workgroup_size: 256
    .name:           _ZN7rocprim17ROCPRIM_400000_NS6detail17trampoline_kernelINS0_14default_configENS1_25partition_config_selectorILNS1_17partition_subalgoE8ElNS0_10empty_typeEbEEZZNS1_14partition_implILS5_8ELb0ES3_jPlPS6_PKS6_NS0_5tupleIJS9_S6_EEENSD_IJSA_SA_EEENS0_18inequality_wrapperIZN2at6native12_GLOBAL__N_124unique_dim_cuda_templateItEESt5tupleIJNSH_6TensorESM_SM_EERKSM_lbbbEUlllE0_EEPmJS6_EEE10hipError_tPvRmT3_T4_T5_T6_T7_T9_mT8_P12ihipStream_tbDpT10_ENKUlT_T0_E_clISt17integral_constantIbLb1EES1C_EEDaS17_S18_EUlS17_E_NS1_11comp_targetILNS1_3genE4ELNS1_11target_archE910ELNS1_3gpuE8ELNS1_3repE0EEENS1_30default_config_static_selectorELNS0_4arch9wavefront6targetE1EEEvT1_
    .private_segment_fixed_size: 0
    .sgpr_count:     6
    .sgpr_spill_count: 0
    .symbol:         _ZN7rocprim17ROCPRIM_400000_NS6detail17trampoline_kernelINS0_14default_configENS1_25partition_config_selectorILNS1_17partition_subalgoE8ElNS0_10empty_typeEbEEZZNS1_14partition_implILS5_8ELb0ES3_jPlPS6_PKS6_NS0_5tupleIJS9_S6_EEENSD_IJSA_SA_EEENS0_18inequality_wrapperIZN2at6native12_GLOBAL__N_124unique_dim_cuda_templateItEESt5tupleIJNSH_6TensorESM_SM_EERKSM_lbbbEUlllE0_EEPmJS6_EEE10hipError_tPvRmT3_T4_T5_T6_T7_T9_mT8_P12ihipStream_tbDpT10_ENKUlT_T0_E_clISt17integral_constantIbLb1EES1C_EEDaS17_S18_EUlS17_E_NS1_11comp_targetILNS1_3genE4ELNS1_11target_archE910ELNS1_3gpuE8ELNS1_3repE0EEENS1_30default_config_static_selectorELNS0_4arch9wavefront6targetE1EEEvT1_.kd
    .uniform_work_group_size: 1
    .uses_dynamic_stack: false
    .vgpr_count:     0
    .vgpr_spill_count: 0
    .wavefront_size: 64
  - .agpr_count:     0
    .args:
      - .offset:         0
        .size:           136
        .value_kind:     by_value
    .group_segment_fixed_size: 0
    .kernarg_segment_align: 8
    .kernarg_segment_size: 136
    .language:       OpenCL C
    .language_version:
      - 2
      - 0
    .max_flat_workgroup_size: 512
    .name:           _ZN7rocprim17ROCPRIM_400000_NS6detail17trampoline_kernelINS0_14default_configENS1_25partition_config_selectorILNS1_17partition_subalgoE8ElNS0_10empty_typeEbEEZZNS1_14partition_implILS5_8ELb0ES3_jPlPS6_PKS6_NS0_5tupleIJS9_S6_EEENSD_IJSA_SA_EEENS0_18inequality_wrapperIZN2at6native12_GLOBAL__N_124unique_dim_cuda_templateItEESt5tupleIJNSH_6TensorESM_SM_EERKSM_lbbbEUlllE0_EEPmJS6_EEE10hipError_tPvRmT3_T4_T5_T6_T7_T9_mT8_P12ihipStream_tbDpT10_ENKUlT_T0_E_clISt17integral_constantIbLb1EES1C_EEDaS17_S18_EUlS17_E_NS1_11comp_targetILNS1_3genE3ELNS1_11target_archE908ELNS1_3gpuE7ELNS1_3repE0EEENS1_30default_config_static_selectorELNS0_4arch9wavefront6targetE1EEEvT1_
    .private_segment_fixed_size: 0
    .sgpr_count:     6
    .sgpr_spill_count: 0
    .symbol:         _ZN7rocprim17ROCPRIM_400000_NS6detail17trampoline_kernelINS0_14default_configENS1_25partition_config_selectorILNS1_17partition_subalgoE8ElNS0_10empty_typeEbEEZZNS1_14partition_implILS5_8ELb0ES3_jPlPS6_PKS6_NS0_5tupleIJS9_S6_EEENSD_IJSA_SA_EEENS0_18inequality_wrapperIZN2at6native12_GLOBAL__N_124unique_dim_cuda_templateItEESt5tupleIJNSH_6TensorESM_SM_EERKSM_lbbbEUlllE0_EEPmJS6_EEE10hipError_tPvRmT3_T4_T5_T6_T7_T9_mT8_P12ihipStream_tbDpT10_ENKUlT_T0_E_clISt17integral_constantIbLb1EES1C_EEDaS17_S18_EUlS17_E_NS1_11comp_targetILNS1_3genE3ELNS1_11target_archE908ELNS1_3gpuE7ELNS1_3repE0EEENS1_30default_config_static_selectorELNS0_4arch9wavefront6targetE1EEEvT1_.kd
    .uniform_work_group_size: 1
    .uses_dynamic_stack: false
    .vgpr_count:     0
    .vgpr_spill_count: 0
    .wavefront_size: 64
  - .agpr_count:     0
    .args:
      - .offset:         0
        .size:           136
        .value_kind:     by_value
    .group_segment_fixed_size: 0
    .kernarg_segment_align: 8
    .kernarg_segment_size: 136
    .language:       OpenCL C
    .language_version:
      - 2
      - 0
    .max_flat_workgroup_size: 256
    .name:           _ZN7rocprim17ROCPRIM_400000_NS6detail17trampoline_kernelINS0_14default_configENS1_25partition_config_selectorILNS1_17partition_subalgoE8ElNS0_10empty_typeEbEEZZNS1_14partition_implILS5_8ELb0ES3_jPlPS6_PKS6_NS0_5tupleIJS9_S6_EEENSD_IJSA_SA_EEENS0_18inequality_wrapperIZN2at6native12_GLOBAL__N_124unique_dim_cuda_templateItEESt5tupleIJNSH_6TensorESM_SM_EERKSM_lbbbEUlllE0_EEPmJS6_EEE10hipError_tPvRmT3_T4_T5_T6_T7_T9_mT8_P12ihipStream_tbDpT10_ENKUlT_T0_E_clISt17integral_constantIbLb1EES1C_EEDaS17_S18_EUlS17_E_NS1_11comp_targetILNS1_3genE2ELNS1_11target_archE906ELNS1_3gpuE6ELNS1_3repE0EEENS1_30default_config_static_selectorELNS0_4arch9wavefront6targetE1EEEvT1_
    .private_segment_fixed_size: 0
    .sgpr_count:     6
    .sgpr_spill_count: 0
    .symbol:         _ZN7rocprim17ROCPRIM_400000_NS6detail17trampoline_kernelINS0_14default_configENS1_25partition_config_selectorILNS1_17partition_subalgoE8ElNS0_10empty_typeEbEEZZNS1_14partition_implILS5_8ELb0ES3_jPlPS6_PKS6_NS0_5tupleIJS9_S6_EEENSD_IJSA_SA_EEENS0_18inequality_wrapperIZN2at6native12_GLOBAL__N_124unique_dim_cuda_templateItEESt5tupleIJNSH_6TensorESM_SM_EERKSM_lbbbEUlllE0_EEPmJS6_EEE10hipError_tPvRmT3_T4_T5_T6_T7_T9_mT8_P12ihipStream_tbDpT10_ENKUlT_T0_E_clISt17integral_constantIbLb1EES1C_EEDaS17_S18_EUlS17_E_NS1_11comp_targetILNS1_3genE2ELNS1_11target_archE906ELNS1_3gpuE6ELNS1_3repE0EEENS1_30default_config_static_selectorELNS0_4arch9wavefront6targetE1EEEvT1_.kd
    .uniform_work_group_size: 1
    .uses_dynamic_stack: false
    .vgpr_count:     0
    .vgpr_spill_count: 0
    .wavefront_size: 64
  - .agpr_count:     0
    .args:
      - .offset:         0
        .size:           136
        .value_kind:     by_value
    .group_segment_fixed_size: 0
    .kernarg_segment_align: 8
    .kernarg_segment_size: 136
    .language:       OpenCL C
    .language_version:
      - 2
      - 0
    .max_flat_workgroup_size: 384
    .name:           _ZN7rocprim17ROCPRIM_400000_NS6detail17trampoline_kernelINS0_14default_configENS1_25partition_config_selectorILNS1_17partition_subalgoE8ElNS0_10empty_typeEbEEZZNS1_14partition_implILS5_8ELb0ES3_jPlPS6_PKS6_NS0_5tupleIJS9_S6_EEENSD_IJSA_SA_EEENS0_18inequality_wrapperIZN2at6native12_GLOBAL__N_124unique_dim_cuda_templateItEESt5tupleIJNSH_6TensorESM_SM_EERKSM_lbbbEUlllE0_EEPmJS6_EEE10hipError_tPvRmT3_T4_T5_T6_T7_T9_mT8_P12ihipStream_tbDpT10_ENKUlT_T0_E_clISt17integral_constantIbLb1EES1C_EEDaS17_S18_EUlS17_E_NS1_11comp_targetILNS1_3genE10ELNS1_11target_archE1200ELNS1_3gpuE4ELNS1_3repE0EEENS1_30default_config_static_selectorELNS0_4arch9wavefront6targetE1EEEvT1_
    .private_segment_fixed_size: 0
    .sgpr_count:     6
    .sgpr_spill_count: 0
    .symbol:         _ZN7rocprim17ROCPRIM_400000_NS6detail17trampoline_kernelINS0_14default_configENS1_25partition_config_selectorILNS1_17partition_subalgoE8ElNS0_10empty_typeEbEEZZNS1_14partition_implILS5_8ELb0ES3_jPlPS6_PKS6_NS0_5tupleIJS9_S6_EEENSD_IJSA_SA_EEENS0_18inequality_wrapperIZN2at6native12_GLOBAL__N_124unique_dim_cuda_templateItEESt5tupleIJNSH_6TensorESM_SM_EERKSM_lbbbEUlllE0_EEPmJS6_EEE10hipError_tPvRmT3_T4_T5_T6_T7_T9_mT8_P12ihipStream_tbDpT10_ENKUlT_T0_E_clISt17integral_constantIbLb1EES1C_EEDaS17_S18_EUlS17_E_NS1_11comp_targetILNS1_3genE10ELNS1_11target_archE1200ELNS1_3gpuE4ELNS1_3repE0EEENS1_30default_config_static_selectorELNS0_4arch9wavefront6targetE1EEEvT1_.kd
    .uniform_work_group_size: 1
    .uses_dynamic_stack: false
    .vgpr_count:     0
    .vgpr_spill_count: 0
    .wavefront_size: 64
  - .agpr_count:     0
    .args:
      - .offset:         0
        .size:           136
        .value_kind:     by_value
    .group_segment_fixed_size: 0
    .kernarg_segment_align: 8
    .kernarg_segment_size: 136
    .language:       OpenCL C
    .language_version:
      - 2
      - 0
    .max_flat_workgroup_size: 512
    .name:           _ZN7rocprim17ROCPRIM_400000_NS6detail17trampoline_kernelINS0_14default_configENS1_25partition_config_selectorILNS1_17partition_subalgoE8ElNS0_10empty_typeEbEEZZNS1_14partition_implILS5_8ELb0ES3_jPlPS6_PKS6_NS0_5tupleIJS9_S6_EEENSD_IJSA_SA_EEENS0_18inequality_wrapperIZN2at6native12_GLOBAL__N_124unique_dim_cuda_templateItEESt5tupleIJNSH_6TensorESM_SM_EERKSM_lbbbEUlllE0_EEPmJS6_EEE10hipError_tPvRmT3_T4_T5_T6_T7_T9_mT8_P12ihipStream_tbDpT10_ENKUlT_T0_E_clISt17integral_constantIbLb1EES1C_EEDaS17_S18_EUlS17_E_NS1_11comp_targetILNS1_3genE9ELNS1_11target_archE1100ELNS1_3gpuE3ELNS1_3repE0EEENS1_30default_config_static_selectorELNS0_4arch9wavefront6targetE1EEEvT1_
    .private_segment_fixed_size: 0
    .sgpr_count:     6
    .sgpr_spill_count: 0
    .symbol:         _ZN7rocprim17ROCPRIM_400000_NS6detail17trampoline_kernelINS0_14default_configENS1_25partition_config_selectorILNS1_17partition_subalgoE8ElNS0_10empty_typeEbEEZZNS1_14partition_implILS5_8ELb0ES3_jPlPS6_PKS6_NS0_5tupleIJS9_S6_EEENSD_IJSA_SA_EEENS0_18inequality_wrapperIZN2at6native12_GLOBAL__N_124unique_dim_cuda_templateItEESt5tupleIJNSH_6TensorESM_SM_EERKSM_lbbbEUlllE0_EEPmJS6_EEE10hipError_tPvRmT3_T4_T5_T6_T7_T9_mT8_P12ihipStream_tbDpT10_ENKUlT_T0_E_clISt17integral_constantIbLb1EES1C_EEDaS17_S18_EUlS17_E_NS1_11comp_targetILNS1_3genE9ELNS1_11target_archE1100ELNS1_3gpuE3ELNS1_3repE0EEENS1_30default_config_static_selectorELNS0_4arch9wavefront6targetE1EEEvT1_.kd
    .uniform_work_group_size: 1
    .uses_dynamic_stack: false
    .vgpr_count:     0
    .vgpr_spill_count: 0
    .wavefront_size: 64
  - .agpr_count:     0
    .args:
      - .offset:         0
        .size:           136
        .value_kind:     by_value
    .group_segment_fixed_size: 0
    .kernarg_segment_align: 8
    .kernarg_segment_size: 136
    .language:       OpenCL C
    .language_version:
      - 2
      - 0
    .max_flat_workgroup_size: 512
    .name:           _ZN7rocprim17ROCPRIM_400000_NS6detail17trampoline_kernelINS0_14default_configENS1_25partition_config_selectorILNS1_17partition_subalgoE8ElNS0_10empty_typeEbEEZZNS1_14partition_implILS5_8ELb0ES3_jPlPS6_PKS6_NS0_5tupleIJS9_S6_EEENSD_IJSA_SA_EEENS0_18inequality_wrapperIZN2at6native12_GLOBAL__N_124unique_dim_cuda_templateItEESt5tupleIJNSH_6TensorESM_SM_EERKSM_lbbbEUlllE0_EEPmJS6_EEE10hipError_tPvRmT3_T4_T5_T6_T7_T9_mT8_P12ihipStream_tbDpT10_ENKUlT_T0_E_clISt17integral_constantIbLb1EES1C_EEDaS17_S18_EUlS17_E_NS1_11comp_targetILNS1_3genE8ELNS1_11target_archE1030ELNS1_3gpuE2ELNS1_3repE0EEENS1_30default_config_static_selectorELNS0_4arch9wavefront6targetE1EEEvT1_
    .private_segment_fixed_size: 0
    .sgpr_count:     6
    .sgpr_spill_count: 0
    .symbol:         _ZN7rocprim17ROCPRIM_400000_NS6detail17trampoline_kernelINS0_14default_configENS1_25partition_config_selectorILNS1_17partition_subalgoE8ElNS0_10empty_typeEbEEZZNS1_14partition_implILS5_8ELb0ES3_jPlPS6_PKS6_NS0_5tupleIJS9_S6_EEENSD_IJSA_SA_EEENS0_18inequality_wrapperIZN2at6native12_GLOBAL__N_124unique_dim_cuda_templateItEESt5tupleIJNSH_6TensorESM_SM_EERKSM_lbbbEUlllE0_EEPmJS6_EEE10hipError_tPvRmT3_T4_T5_T6_T7_T9_mT8_P12ihipStream_tbDpT10_ENKUlT_T0_E_clISt17integral_constantIbLb1EES1C_EEDaS17_S18_EUlS17_E_NS1_11comp_targetILNS1_3genE8ELNS1_11target_archE1030ELNS1_3gpuE2ELNS1_3repE0EEENS1_30default_config_static_selectorELNS0_4arch9wavefront6targetE1EEEvT1_.kd
    .uniform_work_group_size: 1
    .uses_dynamic_stack: false
    .vgpr_count:     0
    .vgpr_spill_count: 0
    .wavefront_size: 64
  - .agpr_count:     0
    .args:
      - .offset:         0
        .size:           120
        .value_kind:     by_value
    .group_segment_fixed_size: 0
    .kernarg_segment_align: 8
    .kernarg_segment_size: 120
    .language:       OpenCL C
    .language_version:
      - 2
      - 0
    .max_flat_workgroup_size: 512
    .name:           _ZN7rocprim17ROCPRIM_400000_NS6detail17trampoline_kernelINS0_14default_configENS1_25partition_config_selectorILNS1_17partition_subalgoE8ElNS0_10empty_typeEbEEZZNS1_14partition_implILS5_8ELb0ES3_jPlPS6_PKS6_NS0_5tupleIJS9_S6_EEENSD_IJSA_SA_EEENS0_18inequality_wrapperIZN2at6native12_GLOBAL__N_124unique_dim_cuda_templateItEESt5tupleIJNSH_6TensorESM_SM_EERKSM_lbbbEUlllE0_EEPmJS6_EEE10hipError_tPvRmT3_T4_T5_T6_T7_T9_mT8_P12ihipStream_tbDpT10_ENKUlT_T0_E_clISt17integral_constantIbLb1EES1B_IbLb0EEEEDaS17_S18_EUlS17_E_NS1_11comp_targetILNS1_3genE0ELNS1_11target_archE4294967295ELNS1_3gpuE0ELNS1_3repE0EEENS1_30default_config_static_selectorELNS0_4arch9wavefront6targetE1EEEvT1_
    .private_segment_fixed_size: 0
    .sgpr_count:     6
    .sgpr_spill_count: 0
    .symbol:         _ZN7rocprim17ROCPRIM_400000_NS6detail17trampoline_kernelINS0_14default_configENS1_25partition_config_selectorILNS1_17partition_subalgoE8ElNS0_10empty_typeEbEEZZNS1_14partition_implILS5_8ELb0ES3_jPlPS6_PKS6_NS0_5tupleIJS9_S6_EEENSD_IJSA_SA_EEENS0_18inequality_wrapperIZN2at6native12_GLOBAL__N_124unique_dim_cuda_templateItEESt5tupleIJNSH_6TensorESM_SM_EERKSM_lbbbEUlllE0_EEPmJS6_EEE10hipError_tPvRmT3_T4_T5_T6_T7_T9_mT8_P12ihipStream_tbDpT10_ENKUlT_T0_E_clISt17integral_constantIbLb1EES1B_IbLb0EEEEDaS17_S18_EUlS17_E_NS1_11comp_targetILNS1_3genE0ELNS1_11target_archE4294967295ELNS1_3gpuE0ELNS1_3repE0EEENS1_30default_config_static_selectorELNS0_4arch9wavefront6targetE1EEEvT1_.kd
    .uniform_work_group_size: 1
    .uses_dynamic_stack: false
    .vgpr_count:     0
    .vgpr_spill_count: 0
    .wavefront_size: 64
  - .agpr_count:     0
    .args:
      - .offset:         0
        .size:           120
        .value_kind:     by_value
    .group_segment_fixed_size: 0
    .kernarg_segment_align: 8
    .kernarg_segment_size: 120
    .language:       OpenCL C
    .language_version:
      - 2
      - 0
    .max_flat_workgroup_size: 512
    .name:           _ZN7rocprim17ROCPRIM_400000_NS6detail17trampoline_kernelINS0_14default_configENS1_25partition_config_selectorILNS1_17partition_subalgoE8ElNS0_10empty_typeEbEEZZNS1_14partition_implILS5_8ELb0ES3_jPlPS6_PKS6_NS0_5tupleIJS9_S6_EEENSD_IJSA_SA_EEENS0_18inequality_wrapperIZN2at6native12_GLOBAL__N_124unique_dim_cuda_templateItEESt5tupleIJNSH_6TensorESM_SM_EERKSM_lbbbEUlllE0_EEPmJS6_EEE10hipError_tPvRmT3_T4_T5_T6_T7_T9_mT8_P12ihipStream_tbDpT10_ENKUlT_T0_E_clISt17integral_constantIbLb1EES1B_IbLb0EEEEDaS17_S18_EUlS17_E_NS1_11comp_targetILNS1_3genE5ELNS1_11target_archE942ELNS1_3gpuE9ELNS1_3repE0EEENS1_30default_config_static_selectorELNS0_4arch9wavefront6targetE1EEEvT1_
    .private_segment_fixed_size: 0
    .sgpr_count:     6
    .sgpr_spill_count: 0
    .symbol:         _ZN7rocprim17ROCPRIM_400000_NS6detail17trampoline_kernelINS0_14default_configENS1_25partition_config_selectorILNS1_17partition_subalgoE8ElNS0_10empty_typeEbEEZZNS1_14partition_implILS5_8ELb0ES3_jPlPS6_PKS6_NS0_5tupleIJS9_S6_EEENSD_IJSA_SA_EEENS0_18inequality_wrapperIZN2at6native12_GLOBAL__N_124unique_dim_cuda_templateItEESt5tupleIJNSH_6TensorESM_SM_EERKSM_lbbbEUlllE0_EEPmJS6_EEE10hipError_tPvRmT3_T4_T5_T6_T7_T9_mT8_P12ihipStream_tbDpT10_ENKUlT_T0_E_clISt17integral_constantIbLb1EES1B_IbLb0EEEEDaS17_S18_EUlS17_E_NS1_11comp_targetILNS1_3genE5ELNS1_11target_archE942ELNS1_3gpuE9ELNS1_3repE0EEENS1_30default_config_static_selectorELNS0_4arch9wavefront6targetE1EEEvT1_.kd
    .uniform_work_group_size: 1
    .uses_dynamic_stack: false
    .vgpr_count:     0
    .vgpr_spill_count: 0
    .wavefront_size: 64
  - .agpr_count:     0
    .args:
      - .offset:         0
        .size:           120
        .value_kind:     by_value
    .group_segment_fixed_size: 0
    .kernarg_segment_align: 8
    .kernarg_segment_size: 120
    .language:       OpenCL C
    .language_version:
      - 2
      - 0
    .max_flat_workgroup_size: 256
    .name:           _ZN7rocprim17ROCPRIM_400000_NS6detail17trampoline_kernelINS0_14default_configENS1_25partition_config_selectorILNS1_17partition_subalgoE8ElNS0_10empty_typeEbEEZZNS1_14partition_implILS5_8ELb0ES3_jPlPS6_PKS6_NS0_5tupleIJS9_S6_EEENSD_IJSA_SA_EEENS0_18inequality_wrapperIZN2at6native12_GLOBAL__N_124unique_dim_cuda_templateItEESt5tupleIJNSH_6TensorESM_SM_EERKSM_lbbbEUlllE0_EEPmJS6_EEE10hipError_tPvRmT3_T4_T5_T6_T7_T9_mT8_P12ihipStream_tbDpT10_ENKUlT_T0_E_clISt17integral_constantIbLb1EES1B_IbLb0EEEEDaS17_S18_EUlS17_E_NS1_11comp_targetILNS1_3genE4ELNS1_11target_archE910ELNS1_3gpuE8ELNS1_3repE0EEENS1_30default_config_static_selectorELNS0_4arch9wavefront6targetE1EEEvT1_
    .private_segment_fixed_size: 0
    .sgpr_count:     6
    .sgpr_spill_count: 0
    .symbol:         _ZN7rocprim17ROCPRIM_400000_NS6detail17trampoline_kernelINS0_14default_configENS1_25partition_config_selectorILNS1_17partition_subalgoE8ElNS0_10empty_typeEbEEZZNS1_14partition_implILS5_8ELb0ES3_jPlPS6_PKS6_NS0_5tupleIJS9_S6_EEENSD_IJSA_SA_EEENS0_18inequality_wrapperIZN2at6native12_GLOBAL__N_124unique_dim_cuda_templateItEESt5tupleIJNSH_6TensorESM_SM_EERKSM_lbbbEUlllE0_EEPmJS6_EEE10hipError_tPvRmT3_T4_T5_T6_T7_T9_mT8_P12ihipStream_tbDpT10_ENKUlT_T0_E_clISt17integral_constantIbLb1EES1B_IbLb0EEEEDaS17_S18_EUlS17_E_NS1_11comp_targetILNS1_3genE4ELNS1_11target_archE910ELNS1_3gpuE8ELNS1_3repE0EEENS1_30default_config_static_selectorELNS0_4arch9wavefront6targetE1EEEvT1_.kd
    .uniform_work_group_size: 1
    .uses_dynamic_stack: false
    .vgpr_count:     0
    .vgpr_spill_count: 0
    .wavefront_size: 64
  - .agpr_count:     0
    .args:
      - .offset:         0
        .size:           120
        .value_kind:     by_value
    .group_segment_fixed_size: 0
    .kernarg_segment_align: 8
    .kernarg_segment_size: 120
    .language:       OpenCL C
    .language_version:
      - 2
      - 0
    .max_flat_workgroup_size: 512
    .name:           _ZN7rocprim17ROCPRIM_400000_NS6detail17trampoline_kernelINS0_14default_configENS1_25partition_config_selectorILNS1_17partition_subalgoE8ElNS0_10empty_typeEbEEZZNS1_14partition_implILS5_8ELb0ES3_jPlPS6_PKS6_NS0_5tupleIJS9_S6_EEENSD_IJSA_SA_EEENS0_18inequality_wrapperIZN2at6native12_GLOBAL__N_124unique_dim_cuda_templateItEESt5tupleIJNSH_6TensorESM_SM_EERKSM_lbbbEUlllE0_EEPmJS6_EEE10hipError_tPvRmT3_T4_T5_T6_T7_T9_mT8_P12ihipStream_tbDpT10_ENKUlT_T0_E_clISt17integral_constantIbLb1EES1B_IbLb0EEEEDaS17_S18_EUlS17_E_NS1_11comp_targetILNS1_3genE3ELNS1_11target_archE908ELNS1_3gpuE7ELNS1_3repE0EEENS1_30default_config_static_selectorELNS0_4arch9wavefront6targetE1EEEvT1_
    .private_segment_fixed_size: 0
    .sgpr_count:     6
    .sgpr_spill_count: 0
    .symbol:         _ZN7rocprim17ROCPRIM_400000_NS6detail17trampoline_kernelINS0_14default_configENS1_25partition_config_selectorILNS1_17partition_subalgoE8ElNS0_10empty_typeEbEEZZNS1_14partition_implILS5_8ELb0ES3_jPlPS6_PKS6_NS0_5tupleIJS9_S6_EEENSD_IJSA_SA_EEENS0_18inequality_wrapperIZN2at6native12_GLOBAL__N_124unique_dim_cuda_templateItEESt5tupleIJNSH_6TensorESM_SM_EERKSM_lbbbEUlllE0_EEPmJS6_EEE10hipError_tPvRmT3_T4_T5_T6_T7_T9_mT8_P12ihipStream_tbDpT10_ENKUlT_T0_E_clISt17integral_constantIbLb1EES1B_IbLb0EEEEDaS17_S18_EUlS17_E_NS1_11comp_targetILNS1_3genE3ELNS1_11target_archE908ELNS1_3gpuE7ELNS1_3repE0EEENS1_30default_config_static_selectorELNS0_4arch9wavefront6targetE1EEEvT1_.kd
    .uniform_work_group_size: 1
    .uses_dynamic_stack: false
    .vgpr_count:     0
    .vgpr_spill_count: 0
    .wavefront_size: 64
  - .agpr_count:     0
    .args:
      - .offset:         0
        .size:           120
        .value_kind:     by_value
    .group_segment_fixed_size: 0
    .kernarg_segment_align: 8
    .kernarg_segment_size: 120
    .language:       OpenCL C
    .language_version:
      - 2
      - 0
    .max_flat_workgroup_size: 256
    .name:           _ZN7rocprim17ROCPRIM_400000_NS6detail17trampoline_kernelINS0_14default_configENS1_25partition_config_selectorILNS1_17partition_subalgoE8ElNS0_10empty_typeEbEEZZNS1_14partition_implILS5_8ELb0ES3_jPlPS6_PKS6_NS0_5tupleIJS9_S6_EEENSD_IJSA_SA_EEENS0_18inequality_wrapperIZN2at6native12_GLOBAL__N_124unique_dim_cuda_templateItEESt5tupleIJNSH_6TensorESM_SM_EERKSM_lbbbEUlllE0_EEPmJS6_EEE10hipError_tPvRmT3_T4_T5_T6_T7_T9_mT8_P12ihipStream_tbDpT10_ENKUlT_T0_E_clISt17integral_constantIbLb1EES1B_IbLb0EEEEDaS17_S18_EUlS17_E_NS1_11comp_targetILNS1_3genE2ELNS1_11target_archE906ELNS1_3gpuE6ELNS1_3repE0EEENS1_30default_config_static_selectorELNS0_4arch9wavefront6targetE1EEEvT1_
    .private_segment_fixed_size: 0
    .sgpr_count:     6
    .sgpr_spill_count: 0
    .symbol:         _ZN7rocprim17ROCPRIM_400000_NS6detail17trampoline_kernelINS0_14default_configENS1_25partition_config_selectorILNS1_17partition_subalgoE8ElNS0_10empty_typeEbEEZZNS1_14partition_implILS5_8ELb0ES3_jPlPS6_PKS6_NS0_5tupleIJS9_S6_EEENSD_IJSA_SA_EEENS0_18inequality_wrapperIZN2at6native12_GLOBAL__N_124unique_dim_cuda_templateItEESt5tupleIJNSH_6TensorESM_SM_EERKSM_lbbbEUlllE0_EEPmJS6_EEE10hipError_tPvRmT3_T4_T5_T6_T7_T9_mT8_P12ihipStream_tbDpT10_ENKUlT_T0_E_clISt17integral_constantIbLb1EES1B_IbLb0EEEEDaS17_S18_EUlS17_E_NS1_11comp_targetILNS1_3genE2ELNS1_11target_archE906ELNS1_3gpuE6ELNS1_3repE0EEENS1_30default_config_static_selectorELNS0_4arch9wavefront6targetE1EEEvT1_.kd
    .uniform_work_group_size: 1
    .uses_dynamic_stack: false
    .vgpr_count:     0
    .vgpr_spill_count: 0
    .wavefront_size: 64
  - .agpr_count:     0
    .args:
      - .offset:         0
        .size:           120
        .value_kind:     by_value
    .group_segment_fixed_size: 0
    .kernarg_segment_align: 8
    .kernarg_segment_size: 120
    .language:       OpenCL C
    .language_version:
      - 2
      - 0
    .max_flat_workgroup_size: 384
    .name:           _ZN7rocprim17ROCPRIM_400000_NS6detail17trampoline_kernelINS0_14default_configENS1_25partition_config_selectorILNS1_17partition_subalgoE8ElNS0_10empty_typeEbEEZZNS1_14partition_implILS5_8ELb0ES3_jPlPS6_PKS6_NS0_5tupleIJS9_S6_EEENSD_IJSA_SA_EEENS0_18inequality_wrapperIZN2at6native12_GLOBAL__N_124unique_dim_cuda_templateItEESt5tupleIJNSH_6TensorESM_SM_EERKSM_lbbbEUlllE0_EEPmJS6_EEE10hipError_tPvRmT3_T4_T5_T6_T7_T9_mT8_P12ihipStream_tbDpT10_ENKUlT_T0_E_clISt17integral_constantIbLb1EES1B_IbLb0EEEEDaS17_S18_EUlS17_E_NS1_11comp_targetILNS1_3genE10ELNS1_11target_archE1200ELNS1_3gpuE4ELNS1_3repE0EEENS1_30default_config_static_selectorELNS0_4arch9wavefront6targetE1EEEvT1_
    .private_segment_fixed_size: 0
    .sgpr_count:     6
    .sgpr_spill_count: 0
    .symbol:         _ZN7rocprim17ROCPRIM_400000_NS6detail17trampoline_kernelINS0_14default_configENS1_25partition_config_selectorILNS1_17partition_subalgoE8ElNS0_10empty_typeEbEEZZNS1_14partition_implILS5_8ELb0ES3_jPlPS6_PKS6_NS0_5tupleIJS9_S6_EEENSD_IJSA_SA_EEENS0_18inequality_wrapperIZN2at6native12_GLOBAL__N_124unique_dim_cuda_templateItEESt5tupleIJNSH_6TensorESM_SM_EERKSM_lbbbEUlllE0_EEPmJS6_EEE10hipError_tPvRmT3_T4_T5_T6_T7_T9_mT8_P12ihipStream_tbDpT10_ENKUlT_T0_E_clISt17integral_constantIbLb1EES1B_IbLb0EEEEDaS17_S18_EUlS17_E_NS1_11comp_targetILNS1_3genE10ELNS1_11target_archE1200ELNS1_3gpuE4ELNS1_3repE0EEENS1_30default_config_static_selectorELNS0_4arch9wavefront6targetE1EEEvT1_.kd
    .uniform_work_group_size: 1
    .uses_dynamic_stack: false
    .vgpr_count:     0
    .vgpr_spill_count: 0
    .wavefront_size: 64
  - .agpr_count:     0
    .args:
      - .offset:         0
        .size:           120
        .value_kind:     by_value
    .group_segment_fixed_size: 0
    .kernarg_segment_align: 8
    .kernarg_segment_size: 120
    .language:       OpenCL C
    .language_version:
      - 2
      - 0
    .max_flat_workgroup_size: 512
    .name:           _ZN7rocprim17ROCPRIM_400000_NS6detail17trampoline_kernelINS0_14default_configENS1_25partition_config_selectorILNS1_17partition_subalgoE8ElNS0_10empty_typeEbEEZZNS1_14partition_implILS5_8ELb0ES3_jPlPS6_PKS6_NS0_5tupleIJS9_S6_EEENSD_IJSA_SA_EEENS0_18inequality_wrapperIZN2at6native12_GLOBAL__N_124unique_dim_cuda_templateItEESt5tupleIJNSH_6TensorESM_SM_EERKSM_lbbbEUlllE0_EEPmJS6_EEE10hipError_tPvRmT3_T4_T5_T6_T7_T9_mT8_P12ihipStream_tbDpT10_ENKUlT_T0_E_clISt17integral_constantIbLb1EES1B_IbLb0EEEEDaS17_S18_EUlS17_E_NS1_11comp_targetILNS1_3genE9ELNS1_11target_archE1100ELNS1_3gpuE3ELNS1_3repE0EEENS1_30default_config_static_selectorELNS0_4arch9wavefront6targetE1EEEvT1_
    .private_segment_fixed_size: 0
    .sgpr_count:     6
    .sgpr_spill_count: 0
    .symbol:         _ZN7rocprim17ROCPRIM_400000_NS6detail17trampoline_kernelINS0_14default_configENS1_25partition_config_selectorILNS1_17partition_subalgoE8ElNS0_10empty_typeEbEEZZNS1_14partition_implILS5_8ELb0ES3_jPlPS6_PKS6_NS0_5tupleIJS9_S6_EEENSD_IJSA_SA_EEENS0_18inequality_wrapperIZN2at6native12_GLOBAL__N_124unique_dim_cuda_templateItEESt5tupleIJNSH_6TensorESM_SM_EERKSM_lbbbEUlllE0_EEPmJS6_EEE10hipError_tPvRmT3_T4_T5_T6_T7_T9_mT8_P12ihipStream_tbDpT10_ENKUlT_T0_E_clISt17integral_constantIbLb1EES1B_IbLb0EEEEDaS17_S18_EUlS17_E_NS1_11comp_targetILNS1_3genE9ELNS1_11target_archE1100ELNS1_3gpuE3ELNS1_3repE0EEENS1_30default_config_static_selectorELNS0_4arch9wavefront6targetE1EEEvT1_.kd
    .uniform_work_group_size: 1
    .uses_dynamic_stack: false
    .vgpr_count:     0
    .vgpr_spill_count: 0
    .wavefront_size: 64
  - .agpr_count:     0
    .args:
      - .offset:         0
        .size:           120
        .value_kind:     by_value
    .group_segment_fixed_size: 0
    .kernarg_segment_align: 8
    .kernarg_segment_size: 120
    .language:       OpenCL C
    .language_version:
      - 2
      - 0
    .max_flat_workgroup_size: 512
    .name:           _ZN7rocprim17ROCPRIM_400000_NS6detail17trampoline_kernelINS0_14default_configENS1_25partition_config_selectorILNS1_17partition_subalgoE8ElNS0_10empty_typeEbEEZZNS1_14partition_implILS5_8ELb0ES3_jPlPS6_PKS6_NS0_5tupleIJS9_S6_EEENSD_IJSA_SA_EEENS0_18inequality_wrapperIZN2at6native12_GLOBAL__N_124unique_dim_cuda_templateItEESt5tupleIJNSH_6TensorESM_SM_EERKSM_lbbbEUlllE0_EEPmJS6_EEE10hipError_tPvRmT3_T4_T5_T6_T7_T9_mT8_P12ihipStream_tbDpT10_ENKUlT_T0_E_clISt17integral_constantIbLb1EES1B_IbLb0EEEEDaS17_S18_EUlS17_E_NS1_11comp_targetILNS1_3genE8ELNS1_11target_archE1030ELNS1_3gpuE2ELNS1_3repE0EEENS1_30default_config_static_selectorELNS0_4arch9wavefront6targetE1EEEvT1_
    .private_segment_fixed_size: 0
    .sgpr_count:     6
    .sgpr_spill_count: 0
    .symbol:         _ZN7rocprim17ROCPRIM_400000_NS6detail17trampoline_kernelINS0_14default_configENS1_25partition_config_selectorILNS1_17partition_subalgoE8ElNS0_10empty_typeEbEEZZNS1_14partition_implILS5_8ELb0ES3_jPlPS6_PKS6_NS0_5tupleIJS9_S6_EEENSD_IJSA_SA_EEENS0_18inequality_wrapperIZN2at6native12_GLOBAL__N_124unique_dim_cuda_templateItEESt5tupleIJNSH_6TensorESM_SM_EERKSM_lbbbEUlllE0_EEPmJS6_EEE10hipError_tPvRmT3_T4_T5_T6_T7_T9_mT8_P12ihipStream_tbDpT10_ENKUlT_T0_E_clISt17integral_constantIbLb1EES1B_IbLb0EEEEDaS17_S18_EUlS17_E_NS1_11comp_targetILNS1_3genE8ELNS1_11target_archE1030ELNS1_3gpuE2ELNS1_3repE0EEENS1_30default_config_static_selectorELNS0_4arch9wavefront6targetE1EEEvT1_.kd
    .uniform_work_group_size: 1
    .uses_dynamic_stack: false
    .vgpr_count:     0
    .vgpr_spill_count: 0
    .wavefront_size: 64
  - .agpr_count:     0
    .args:
      - .offset:         0
        .size:           136
        .value_kind:     by_value
    .group_segment_fixed_size: 28680
    .kernarg_segment_align: 8
    .kernarg_segment_size: 136
    .language:       OpenCL C
    .language_version:
      - 2
      - 0
    .max_flat_workgroup_size: 512
    .name:           _ZN7rocprim17ROCPRIM_400000_NS6detail17trampoline_kernelINS0_14default_configENS1_25partition_config_selectorILNS1_17partition_subalgoE8ElNS0_10empty_typeEbEEZZNS1_14partition_implILS5_8ELb0ES3_jPlPS6_PKS6_NS0_5tupleIJS9_S6_EEENSD_IJSA_SA_EEENS0_18inequality_wrapperIZN2at6native12_GLOBAL__N_124unique_dim_cuda_templateItEESt5tupleIJNSH_6TensorESM_SM_EERKSM_lbbbEUlllE0_EEPmJS6_EEE10hipError_tPvRmT3_T4_T5_T6_T7_T9_mT8_P12ihipStream_tbDpT10_ENKUlT_T0_E_clISt17integral_constantIbLb0EES1B_IbLb1EEEEDaS17_S18_EUlS17_E_NS1_11comp_targetILNS1_3genE0ELNS1_11target_archE4294967295ELNS1_3gpuE0ELNS1_3repE0EEENS1_30default_config_static_selectorELNS0_4arch9wavefront6targetE1EEEvT1_
    .private_segment_fixed_size: 0
    .sgpr_count:     60
    .sgpr_spill_count: 0
    .symbol:         _ZN7rocprim17ROCPRIM_400000_NS6detail17trampoline_kernelINS0_14default_configENS1_25partition_config_selectorILNS1_17partition_subalgoE8ElNS0_10empty_typeEbEEZZNS1_14partition_implILS5_8ELb0ES3_jPlPS6_PKS6_NS0_5tupleIJS9_S6_EEENSD_IJSA_SA_EEENS0_18inequality_wrapperIZN2at6native12_GLOBAL__N_124unique_dim_cuda_templateItEESt5tupleIJNSH_6TensorESM_SM_EERKSM_lbbbEUlllE0_EEPmJS6_EEE10hipError_tPvRmT3_T4_T5_T6_T7_T9_mT8_P12ihipStream_tbDpT10_ENKUlT_T0_E_clISt17integral_constantIbLb0EES1B_IbLb1EEEEDaS17_S18_EUlS17_E_NS1_11comp_targetILNS1_3genE0ELNS1_11target_archE4294967295ELNS1_3gpuE0ELNS1_3repE0EEENS1_30default_config_static_selectorELNS0_4arch9wavefront6targetE1EEEvT1_.kd
    .uniform_work_group_size: 1
    .uses_dynamic_stack: false
    .vgpr_count:     58
    .vgpr_spill_count: 0
    .wavefront_size: 64
  - .agpr_count:     0
    .args:
      - .offset:         0
        .size:           136
        .value_kind:     by_value
    .group_segment_fixed_size: 0
    .kernarg_segment_align: 8
    .kernarg_segment_size: 136
    .language:       OpenCL C
    .language_version:
      - 2
      - 0
    .max_flat_workgroup_size: 512
    .name:           _ZN7rocprim17ROCPRIM_400000_NS6detail17trampoline_kernelINS0_14default_configENS1_25partition_config_selectorILNS1_17partition_subalgoE8ElNS0_10empty_typeEbEEZZNS1_14partition_implILS5_8ELb0ES3_jPlPS6_PKS6_NS0_5tupleIJS9_S6_EEENSD_IJSA_SA_EEENS0_18inequality_wrapperIZN2at6native12_GLOBAL__N_124unique_dim_cuda_templateItEESt5tupleIJNSH_6TensorESM_SM_EERKSM_lbbbEUlllE0_EEPmJS6_EEE10hipError_tPvRmT3_T4_T5_T6_T7_T9_mT8_P12ihipStream_tbDpT10_ENKUlT_T0_E_clISt17integral_constantIbLb0EES1B_IbLb1EEEEDaS17_S18_EUlS17_E_NS1_11comp_targetILNS1_3genE5ELNS1_11target_archE942ELNS1_3gpuE9ELNS1_3repE0EEENS1_30default_config_static_selectorELNS0_4arch9wavefront6targetE1EEEvT1_
    .private_segment_fixed_size: 0
    .sgpr_count:     6
    .sgpr_spill_count: 0
    .symbol:         _ZN7rocprim17ROCPRIM_400000_NS6detail17trampoline_kernelINS0_14default_configENS1_25partition_config_selectorILNS1_17partition_subalgoE8ElNS0_10empty_typeEbEEZZNS1_14partition_implILS5_8ELb0ES3_jPlPS6_PKS6_NS0_5tupleIJS9_S6_EEENSD_IJSA_SA_EEENS0_18inequality_wrapperIZN2at6native12_GLOBAL__N_124unique_dim_cuda_templateItEESt5tupleIJNSH_6TensorESM_SM_EERKSM_lbbbEUlllE0_EEPmJS6_EEE10hipError_tPvRmT3_T4_T5_T6_T7_T9_mT8_P12ihipStream_tbDpT10_ENKUlT_T0_E_clISt17integral_constantIbLb0EES1B_IbLb1EEEEDaS17_S18_EUlS17_E_NS1_11comp_targetILNS1_3genE5ELNS1_11target_archE942ELNS1_3gpuE9ELNS1_3repE0EEENS1_30default_config_static_selectorELNS0_4arch9wavefront6targetE1EEEvT1_.kd
    .uniform_work_group_size: 1
    .uses_dynamic_stack: false
    .vgpr_count:     0
    .vgpr_spill_count: 0
    .wavefront_size: 64
  - .agpr_count:     0
    .args:
      - .offset:         0
        .size:           136
        .value_kind:     by_value
    .group_segment_fixed_size: 0
    .kernarg_segment_align: 8
    .kernarg_segment_size: 136
    .language:       OpenCL C
    .language_version:
      - 2
      - 0
    .max_flat_workgroup_size: 256
    .name:           _ZN7rocprim17ROCPRIM_400000_NS6detail17trampoline_kernelINS0_14default_configENS1_25partition_config_selectorILNS1_17partition_subalgoE8ElNS0_10empty_typeEbEEZZNS1_14partition_implILS5_8ELb0ES3_jPlPS6_PKS6_NS0_5tupleIJS9_S6_EEENSD_IJSA_SA_EEENS0_18inequality_wrapperIZN2at6native12_GLOBAL__N_124unique_dim_cuda_templateItEESt5tupleIJNSH_6TensorESM_SM_EERKSM_lbbbEUlllE0_EEPmJS6_EEE10hipError_tPvRmT3_T4_T5_T6_T7_T9_mT8_P12ihipStream_tbDpT10_ENKUlT_T0_E_clISt17integral_constantIbLb0EES1B_IbLb1EEEEDaS17_S18_EUlS17_E_NS1_11comp_targetILNS1_3genE4ELNS1_11target_archE910ELNS1_3gpuE8ELNS1_3repE0EEENS1_30default_config_static_selectorELNS0_4arch9wavefront6targetE1EEEvT1_
    .private_segment_fixed_size: 0
    .sgpr_count:     6
    .sgpr_spill_count: 0
    .symbol:         _ZN7rocprim17ROCPRIM_400000_NS6detail17trampoline_kernelINS0_14default_configENS1_25partition_config_selectorILNS1_17partition_subalgoE8ElNS0_10empty_typeEbEEZZNS1_14partition_implILS5_8ELb0ES3_jPlPS6_PKS6_NS0_5tupleIJS9_S6_EEENSD_IJSA_SA_EEENS0_18inequality_wrapperIZN2at6native12_GLOBAL__N_124unique_dim_cuda_templateItEESt5tupleIJNSH_6TensorESM_SM_EERKSM_lbbbEUlllE0_EEPmJS6_EEE10hipError_tPvRmT3_T4_T5_T6_T7_T9_mT8_P12ihipStream_tbDpT10_ENKUlT_T0_E_clISt17integral_constantIbLb0EES1B_IbLb1EEEEDaS17_S18_EUlS17_E_NS1_11comp_targetILNS1_3genE4ELNS1_11target_archE910ELNS1_3gpuE8ELNS1_3repE0EEENS1_30default_config_static_selectorELNS0_4arch9wavefront6targetE1EEEvT1_.kd
    .uniform_work_group_size: 1
    .uses_dynamic_stack: false
    .vgpr_count:     0
    .vgpr_spill_count: 0
    .wavefront_size: 64
  - .agpr_count:     0
    .args:
      - .offset:         0
        .size:           136
        .value_kind:     by_value
    .group_segment_fixed_size: 0
    .kernarg_segment_align: 8
    .kernarg_segment_size: 136
    .language:       OpenCL C
    .language_version:
      - 2
      - 0
    .max_flat_workgroup_size: 512
    .name:           _ZN7rocprim17ROCPRIM_400000_NS6detail17trampoline_kernelINS0_14default_configENS1_25partition_config_selectorILNS1_17partition_subalgoE8ElNS0_10empty_typeEbEEZZNS1_14partition_implILS5_8ELb0ES3_jPlPS6_PKS6_NS0_5tupleIJS9_S6_EEENSD_IJSA_SA_EEENS0_18inequality_wrapperIZN2at6native12_GLOBAL__N_124unique_dim_cuda_templateItEESt5tupleIJNSH_6TensorESM_SM_EERKSM_lbbbEUlllE0_EEPmJS6_EEE10hipError_tPvRmT3_T4_T5_T6_T7_T9_mT8_P12ihipStream_tbDpT10_ENKUlT_T0_E_clISt17integral_constantIbLb0EES1B_IbLb1EEEEDaS17_S18_EUlS17_E_NS1_11comp_targetILNS1_3genE3ELNS1_11target_archE908ELNS1_3gpuE7ELNS1_3repE0EEENS1_30default_config_static_selectorELNS0_4arch9wavefront6targetE1EEEvT1_
    .private_segment_fixed_size: 0
    .sgpr_count:     6
    .sgpr_spill_count: 0
    .symbol:         _ZN7rocprim17ROCPRIM_400000_NS6detail17trampoline_kernelINS0_14default_configENS1_25partition_config_selectorILNS1_17partition_subalgoE8ElNS0_10empty_typeEbEEZZNS1_14partition_implILS5_8ELb0ES3_jPlPS6_PKS6_NS0_5tupleIJS9_S6_EEENSD_IJSA_SA_EEENS0_18inequality_wrapperIZN2at6native12_GLOBAL__N_124unique_dim_cuda_templateItEESt5tupleIJNSH_6TensorESM_SM_EERKSM_lbbbEUlllE0_EEPmJS6_EEE10hipError_tPvRmT3_T4_T5_T6_T7_T9_mT8_P12ihipStream_tbDpT10_ENKUlT_T0_E_clISt17integral_constantIbLb0EES1B_IbLb1EEEEDaS17_S18_EUlS17_E_NS1_11comp_targetILNS1_3genE3ELNS1_11target_archE908ELNS1_3gpuE7ELNS1_3repE0EEENS1_30default_config_static_selectorELNS0_4arch9wavefront6targetE1EEEvT1_.kd
    .uniform_work_group_size: 1
    .uses_dynamic_stack: false
    .vgpr_count:     0
    .vgpr_spill_count: 0
    .wavefront_size: 64
  - .agpr_count:     0
    .args:
      - .offset:         0
        .size:           136
        .value_kind:     by_value
    .group_segment_fixed_size: 0
    .kernarg_segment_align: 8
    .kernarg_segment_size: 136
    .language:       OpenCL C
    .language_version:
      - 2
      - 0
    .max_flat_workgroup_size: 256
    .name:           _ZN7rocprim17ROCPRIM_400000_NS6detail17trampoline_kernelINS0_14default_configENS1_25partition_config_selectorILNS1_17partition_subalgoE8ElNS0_10empty_typeEbEEZZNS1_14partition_implILS5_8ELb0ES3_jPlPS6_PKS6_NS0_5tupleIJS9_S6_EEENSD_IJSA_SA_EEENS0_18inequality_wrapperIZN2at6native12_GLOBAL__N_124unique_dim_cuda_templateItEESt5tupleIJNSH_6TensorESM_SM_EERKSM_lbbbEUlllE0_EEPmJS6_EEE10hipError_tPvRmT3_T4_T5_T6_T7_T9_mT8_P12ihipStream_tbDpT10_ENKUlT_T0_E_clISt17integral_constantIbLb0EES1B_IbLb1EEEEDaS17_S18_EUlS17_E_NS1_11comp_targetILNS1_3genE2ELNS1_11target_archE906ELNS1_3gpuE6ELNS1_3repE0EEENS1_30default_config_static_selectorELNS0_4arch9wavefront6targetE1EEEvT1_
    .private_segment_fixed_size: 0
    .sgpr_count:     6
    .sgpr_spill_count: 0
    .symbol:         _ZN7rocprim17ROCPRIM_400000_NS6detail17trampoline_kernelINS0_14default_configENS1_25partition_config_selectorILNS1_17partition_subalgoE8ElNS0_10empty_typeEbEEZZNS1_14partition_implILS5_8ELb0ES3_jPlPS6_PKS6_NS0_5tupleIJS9_S6_EEENSD_IJSA_SA_EEENS0_18inequality_wrapperIZN2at6native12_GLOBAL__N_124unique_dim_cuda_templateItEESt5tupleIJNSH_6TensorESM_SM_EERKSM_lbbbEUlllE0_EEPmJS6_EEE10hipError_tPvRmT3_T4_T5_T6_T7_T9_mT8_P12ihipStream_tbDpT10_ENKUlT_T0_E_clISt17integral_constantIbLb0EES1B_IbLb1EEEEDaS17_S18_EUlS17_E_NS1_11comp_targetILNS1_3genE2ELNS1_11target_archE906ELNS1_3gpuE6ELNS1_3repE0EEENS1_30default_config_static_selectorELNS0_4arch9wavefront6targetE1EEEvT1_.kd
    .uniform_work_group_size: 1
    .uses_dynamic_stack: false
    .vgpr_count:     0
    .vgpr_spill_count: 0
    .wavefront_size: 64
  - .agpr_count:     0
    .args:
      - .offset:         0
        .size:           136
        .value_kind:     by_value
    .group_segment_fixed_size: 0
    .kernarg_segment_align: 8
    .kernarg_segment_size: 136
    .language:       OpenCL C
    .language_version:
      - 2
      - 0
    .max_flat_workgroup_size: 384
    .name:           _ZN7rocprim17ROCPRIM_400000_NS6detail17trampoline_kernelINS0_14default_configENS1_25partition_config_selectorILNS1_17partition_subalgoE8ElNS0_10empty_typeEbEEZZNS1_14partition_implILS5_8ELb0ES3_jPlPS6_PKS6_NS0_5tupleIJS9_S6_EEENSD_IJSA_SA_EEENS0_18inequality_wrapperIZN2at6native12_GLOBAL__N_124unique_dim_cuda_templateItEESt5tupleIJNSH_6TensorESM_SM_EERKSM_lbbbEUlllE0_EEPmJS6_EEE10hipError_tPvRmT3_T4_T5_T6_T7_T9_mT8_P12ihipStream_tbDpT10_ENKUlT_T0_E_clISt17integral_constantIbLb0EES1B_IbLb1EEEEDaS17_S18_EUlS17_E_NS1_11comp_targetILNS1_3genE10ELNS1_11target_archE1200ELNS1_3gpuE4ELNS1_3repE0EEENS1_30default_config_static_selectorELNS0_4arch9wavefront6targetE1EEEvT1_
    .private_segment_fixed_size: 0
    .sgpr_count:     6
    .sgpr_spill_count: 0
    .symbol:         _ZN7rocprim17ROCPRIM_400000_NS6detail17trampoline_kernelINS0_14default_configENS1_25partition_config_selectorILNS1_17partition_subalgoE8ElNS0_10empty_typeEbEEZZNS1_14partition_implILS5_8ELb0ES3_jPlPS6_PKS6_NS0_5tupleIJS9_S6_EEENSD_IJSA_SA_EEENS0_18inequality_wrapperIZN2at6native12_GLOBAL__N_124unique_dim_cuda_templateItEESt5tupleIJNSH_6TensorESM_SM_EERKSM_lbbbEUlllE0_EEPmJS6_EEE10hipError_tPvRmT3_T4_T5_T6_T7_T9_mT8_P12ihipStream_tbDpT10_ENKUlT_T0_E_clISt17integral_constantIbLb0EES1B_IbLb1EEEEDaS17_S18_EUlS17_E_NS1_11comp_targetILNS1_3genE10ELNS1_11target_archE1200ELNS1_3gpuE4ELNS1_3repE0EEENS1_30default_config_static_selectorELNS0_4arch9wavefront6targetE1EEEvT1_.kd
    .uniform_work_group_size: 1
    .uses_dynamic_stack: false
    .vgpr_count:     0
    .vgpr_spill_count: 0
    .wavefront_size: 64
  - .agpr_count:     0
    .args:
      - .offset:         0
        .size:           136
        .value_kind:     by_value
    .group_segment_fixed_size: 0
    .kernarg_segment_align: 8
    .kernarg_segment_size: 136
    .language:       OpenCL C
    .language_version:
      - 2
      - 0
    .max_flat_workgroup_size: 512
    .name:           _ZN7rocprim17ROCPRIM_400000_NS6detail17trampoline_kernelINS0_14default_configENS1_25partition_config_selectorILNS1_17partition_subalgoE8ElNS0_10empty_typeEbEEZZNS1_14partition_implILS5_8ELb0ES3_jPlPS6_PKS6_NS0_5tupleIJS9_S6_EEENSD_IJSA_SA_EEENS0_18inequality_wrapperIZN2at6native12_GLOBAL__N_124unique_dim_cuda_templateItEESt5tupleIJNSH_6TensorESM_SM_EERKSM_lbbbEUlllE0_EEPmJS6_EEE10hipError_tPvRmT3_T4_T5_T6_T7_T9_mT8_P12ihipStream_tbDpT10_ENKUlT_T0_E_clISt17integral_constantIbLb0EES1B_IbLb1EEEEDaS17_S18_EUlS17_E_NS1_11comp_targetILNS1_3genE9ELNS1_11target_archE1100ELNS1_3gpuE3ELNS1_3repE0EEENS1_30default_config_static_selectorELNS0_4arch9wavefront6targetE1EEEvT1_
    .private_segment_fixed_size: 0
    .sgpr_count:     6
    .sgpr_spill_count: 0
    .symbol:         _ZN7rocprim17ROCPRIM_400000_NS6detail17trampoline_kernelINS0_14default_configENS1_25partition_config_selectorILNS1_17partition_subalgoE8ElNS0_10empty_typeEbEEZZNS1_14partition_implILS5_8ELb0ES3_jPlPS6_PKS6_NS0_5tupleIJS9_S6_EEENSD_IJSA_SA_EEENS0_18inequality_wrapperIZN2at6native12_GLOBAL__N_124unique_dim_cuda_templateItEESt5tupleIJNSH_6TensorESM_SM_EERKSM_lbbbEUlllE0_EEPmJS6_EEE10hipError_tPvRmT3_T4_T5_T6_T7_T9_mT8_P12ihipStream_tbDpT10_ENKUlT_T0_E_clISt17integral_constantIbLb0EES1B_IbLb1EEEEDaS17_S18_EUlS17_E_NS1_11comp_targetILNS1_3genE9ELNS1_11target_archE1100ELNS1_3gpuE3ELNS1_3repE0EEENS1_30default_config_static_selectorELNS0_4arch9wavefront6targetE1EEEvT1_.kd
    .uniform_work_group_size: 1
    .uses_dynamic_stack: false
    .vgpr_count:     0
    .vgpr_spill_count: 0
    .wavefront_size: 64
  - .agpr_count:     0
    .args:
      - .offset:         0
        .size:           136
        .value_kind:     by_value
    .group_segment_fixed_size: 0
    .kernarg_segment_align: 8
    .kernarg_segment_size: 136
    .language:       OpenCL C
    .language_version:
      - 2
      - 0
    .max_flat_workgroup_size: 512
    .name:           _ZN7rocprim17ROCPRIM_400000_NS6detail17trampoline_kernelINS0_14default_configENS1_25partition_config_selectorILNS1_17partition_subalgoE8ElNS0_10empty_typeEbEEZZNS1_14partition_implILS5_8ELb0ES3_jPlPS6_PKS6_NS0_5tupleIJS9_S6_EEENSD_IJSA_SA_EEENS0_18inequality_wrapperIZN2at6native12_GLOBAL__N_124unique_dim_cuda_templateItEESt5tupleIJNSH_6TensorESM_SM_EERKSM_lbbbEUlllE0_EEPmJS6_EEE10hipError_tPvRmT3_T4_T5_T6_T7_T9_mT8_P12ihipStream_tbDpT10_ENKUlT_T0_E_clISt17integral_constantIbLb0EES1B_IbLb1EEEEDaS17_S18_EUlS17_E_NS1_11comp_targetILNS1_3genE8ELNS1_11target_archE1030ELNS1_3gpuE2ELNS1_3repE0EEENS1_30default_config_static_selectorELNS0_4arch9wavefront6targetE1EEEvT1_
    .private_segment_fixed_size: 0
    .sgpr_count:     6
    .sgpr_spill_count: 0
    .symbol:         _ZN7rocprim17ROCPRIM_400000_NS6detail17trampoline_kernelINS0_14default_configENS1_25partition_config_selectorILNS1_17partition_subalgoE8ElNS0_10empty_typeEbEEZZNS1_14partition_implILS5_8ELb0ES3_jPlPS6_PKS6_NS0_5tupleIJS9_S6_EEENSD_IJSA_SA_EEENS0_18inequality_wrapperIZN2at6native12_GLOBAL__N_124unique_dim_cuda_templateItEESt5tupleIJNSH_6TensorESM_SM_EERKSM_lbbbEUlllE0_EEPmJS6_EEE10hipError_tPvRmT3_T4_T5_T6_T7_T9_mT8_P12ihipStream_tbDpT10_ENKUlT_T0_E_clISt17integral_constantIbLb0EES1B_IbLb1EEEEDaS17_S18_EUlS17_E_NS1_11comp_targetILNS1_3genE8ELNS1_11target_archE1030ELNS1_3gpuE2ELNS1_3repE0EEENS1_30default_config_static_selectorELNS0_4arch9wavefront6targetE1EEEvT1_.kd
    .uniform_work_group_size: 1
    .uses_dynamic_stack: false
    .vgpr_count:     0
    .vgpr_spill_count: 0
    .wavefront_size: 64
  - .agpr_count:     0
    .args:
      - .offset:         0
        .size:           120
        .value_kind:     by_value
    .group_segment_fixed_size: 5128
    .kernarg_segment_align: 8
    .kernarg_segment_size: 120
    .language:       OpenCL C
    .language_version:
      - 2
      - 0
    .max_flat_workgroup_size: 128
    .name:           _ZN7rocprim17ROCPRIM_400000_NS6detail17trampoline_kernelINS0_14default_configENS1_25partition_config_selectorILNS1_17partition_subalgoE9EllbEEZZNS1_14partition_implILS5_9ELb0ES3_jPlS8_PNS0_10empty_typeENS0_5tupleIJS8_S9_EEENSB_IJS8_SA_EEENS0_18inequality_wrapperIZN2at6native12_GLOBAL__N_124unique_dim_cuda_templateItEESt5tupleIJNSF_6TensorESK_SK_EERKSK_lbbbEUlllE0_EEPmJS9_EEE10hipError_tPvRmT3_T4_T5_T6_T7_T9_mT8_P12ihipStream_tbDpT10_ENKUlT_T0_E_clISt17integral_constantIbLb0EES1A_EEDaS15_S16_EUlS15_E_NS1_11comp_targetILNS1_3genE0ELNS1_11target_archE4294967295ELNS1_3gpuE0ELNS1_3repE0EEENS1_30default_config_static_selectorELNS0_4arch9wavefront6targetE1EEEvT1_
    .private_segment_fixed_size: 0
    .sgpr_count:     52
    .sgpr_spill_count: 0
    .symbol:         _ZN7rocprim17ROCPRIM_400000_NS6detail17trampoline_kernelINS0_14default_configENS1_25partition_config_selectorILNS1_17partition_subalgoE9EllbEEZZNS1_14partition_implILS5_9ELb0ES3_jPlS8_PNS0_10empty_typeENS0_5tupleIJS8_S9_EEENSB_IJS8_SA_EEENS0_18inequality_wrapperIZN2at6native12_GLOBAL__N_124unique_dim_cuda_templateItEESt5tupleIJNSF_6TensorESK_SK_EERKSK_lbbbEUlllE0_EEPmJS9_EEE10hipError_tPvRmT3_T4_T5_T6_T7_T9_mT8_P12ihipStream_tbDpT10_ENKUlT_T0_E_clISt17integral_constantIbLb0EES1A_EEDaS15_S16_EUlS15_E_NS1_11comp_targetILNS1_3genE0ELNS1_11target_archE4294967295ELNS1_3gpuE0ELNS1_3repE0EEENS1_30default_config_static_selectorELNS0_4arch9wavefront6targetE1EEEvT1_.kd
    .uniform_work_group_size: 1
    .uses_dynamic_stack: false
    .vgpr_count:     60
    .vgpr_spill_count: 0
    .wavefront_size: 64
  - .agpr_count:     0
    .args:
      - .offset:         0
        .size:           120
        .value_kind:     by_value
    .group_segment_fixed_size: 0
    .kernarg_segment_align: 8
    .kernarg_segment_size: 120
    .language:       OpenCL C
    .language_version:
      - 2
      - 0
    .max_flat_workgroup_size: 512
    .name:           _ZN7rocprim17ROCPRIM_400000_NS6detail17trampoline_kernelINS0_14default_configENS1_25partition_config_selectorILNS1_17partition_subalgoE9EllbEEZZNS1_14partition_implILS5_9ELb0ES3_jPlS8_PNS0_10empty_typeENS0_5tupleIJS8_S9_EEENSB_IJS8_SA_EEENS0_18inequality_wrapperIZN2at6native12_GLOBAL__N_124unique_dim_cuda_templateItEESt5tupleIJNSF_6TensorESK_SK_EERKSK_lbbbEUlllE0_EEPmJS9_EEE10hipError_tPvRmT3_T4_T5_T6_T7_T9_mT8_P12ihipStream_tbDpT10_ENKUlT_T0_E_clISt17integral_constantIbLb0EES1A_EEDaS15_S16_EUlS15_E_NS1_11comp_targetILNS1_3genE5ELNS1_11target_archE942ELNS1_3gpuE9ELNS1_3repE0EEENS1_30default_config_static_selectorELNS0_4arch9wavefront6targetE1EEEvT1_
    .private_segment_fixed_size: 0
    .sgpr_count:     6
    .sgpr_spill_count: 0
    .symbol:         _ZN7rocprim17ROCPRIM_400000_NS6detail17trampoline_kernelINS0_14default_configENS1_25partition_config_selectorILNS1_17partition_subalgoE9EllbEEZZNS1_14partition_implILS5_9ELb0ES3_jPlS8_PNS0_10empty_typeENS0_5tupleIJS8_S9_EEENSB_IJS8_SA_EEENS0_18inequality_wrapperIZN2at6native12_GLOBAL__N_124unique_dim_cuda_templateItEESt5tupleIJNSF_6TensorESK_SK_EERKSK_lbbbEUlllE0_EEPmJS9_EEE10hipError_tPvRmT3_T4_T5_T6_T7_T9_mT8_P12ihipStream_tbDpT10_ENKUlT_T0_E_clISt17integral_constantIbLb0EES1A_EEDaS15_S16_EUlS15_E_NS1_11comp_targetILNS1_3genE5ELNS1_11target_archE942ELNS1_3gpuE9ELNS1_3repE0EEENS1_30default_config_static_selectorELNS0_4arch9wavefront6targetE1EEEvT1_.kd
    .uniform_work_group_size: 1
    .uses_dynamic_stack: false
    .vgpr_count:     0
    .vgpr_spill_count: 0
    .wavefront_size: 64
  - .agpr_count:     0
    .args:
      - .offset:         0
        .size:           120
        .value_kind:     by_value
    .group_segment_fixed_size: 0
    .kernarg_segment_align: 8
    .kernarg_segment_size: 120
    .language:       OpenCL C
    .language_version:
      - 2
      - 0
    .max_flat_workgroup_size: 128
    .name:           _ZN7rocprim17ROCPRIM_400000_NS6detail17trampoline_kernelINS0_14default_configENS1_25partition_config_selectorILNS1_17partition_subalgoE9EllbEEZZNS1_14partition_implILS5_9ELb0ES3_jPlS8_PNS0_10empty_typeENS0_5tupleIJS8_S9_EEENSB_IJS8_SA_EEENS0_18inequality_wrapperIZN2at6native12_GLOBAL__N_124unique_dim_cuda_templateItEESt5tupleIJNSF_6TensorESK_SK_EERKSK_lbbbEUlllE0_EEPmJS9_EEE10hipError_tPvRmT3_T4_T5_T6_T7_T9_mT8_P12ihipStream_tbDpT10_ENKUlT_T0_E_clISt17integral_constantIbLb0EES1A_EEDaS15_S16_EUlS15_E_NS1_11comp_targetILNS1_3genE4ELNS1_11target_archE910ELNS1_3gpuE8ELNS1_3repE0EEENS1_30default_config_static_selectorELNS0_4arch9wavefront6targetE1EEEvT1_
    .private_segment_fixed_size: 0
    .sgpr_count:     6
    .sgpr_spill_count: 0
    .symbol:         _ZN7rocprim17ROCPRIM_400000_NS6detail17trampoline_kernelINS0_14default_configENS1_25partition_config_selectorILNS1_17partition_subalgoE9EllbEEZZNS1_14partition_implILS5_9ELb0ES3_jPlS8_PNS0_10empty_typeENS0_5tupleIJS8_S9_EEENSB_IJS8_SA_EEENS0_18inequality_wrapperIZN2at6native12_GLOBAL__N_124unique_dim_cuda_templateItEESt5tupleIJNSF_6TensorESK_SK_EERKSK_lbbbEUlllE0_EEPmJS9_EEE10hipError_tPvRmT3_T4_T5_T6_T7_T9_mT8_P12ihipStream_tbDpT10_ENKUlT_T0_E_clISt17integral_constantIbLb0EES1A_EEDaS15_S16_EUlS15_E_NS1_11comp_targetILNS1_3genE4ELNS1_11target_archE910ELNS1_3gpuE8ELNS1_3repE0EEENS1_30default_config_static_selectorELNS0_4arch9wavefront6targetE1EEEvT1_.kd
    .uniform_work_group_size: 1
    .uses_dynamic_stack: false
    .vgpr_count:     0
    .vgpr_spill_count: 0
    .wavefront_size: 64
  - .agpr_count:     0
    .args:
      - .offset:         0
        .size:           120
        .value_kind:     by_value
    .group_segment_fixed_size: 0
    .kernarg_segment_align: 8
    .kernarg_segment_size: 120
    .language:       OpenCL C
    .language_version:
      - 2
      - 0
    .max_flat_workgroup_size: 128
    .name:           _ZN7rocprim17ROCPRIM_400000_NS6detail17trampoline_kernelINS0_14default_configENS1_25partition_config_selectorILNS1_17partition_subalgoE9EllbEEZZNS1_14partition_implILS5_9ELb0ES3_jPlS8_PNS0_10empty_typeENS0_5tupleIJS8_S9_EEENSB_IJS8_SA_EEENS0_18inequality_wrapperIZN2at6native12_GLOBAL__N_124unique_dim_cuda_templateItEESt5tupleIJNSF_6TensorESK_SK_EERKSK_lbbbEUlllE0_EEPmJS9_EEE10hipError_tPvRmT3_T4_T5_T6_T7_T9_mT8_P12ihipStream_tbDpT10_ENKUlT_T0_E_clISt17integral_constantIbLb0EES1A_EEDaS15_S16_EUlS15_E_NS1_11comp_targetILNS1_3genE3ELNS1_11target_archE908ELNS1_3gpuE7ELNS1_3repE0EEENS1_30default_config_static_selectorELNS0_4arch9wavefront6targetE1EEEvT1_
    .private_segment_fixed_size: 0
    .sgpr_count:     6
    .sgpr_spill_count: 0
    .symbol:         _ZN7rocprim17ROCPRIM_400000_NS6detail17trampoline_kernelINS0_14default_configENS1_25partition_config_selectorILNS1_17partition_subalgoE9EllbEEZZNS1_14partition_implILS5_9ELb0ES3_jPlS8_PNS0_10empty_typeENS0_5tupleIJS8_S9_EEENSB_IJS8_SA_EEENS0_18inequality_wrapperIZN2at6native12_GLOBAL__N_124unique_dim_cuda_templateItEESt5tupleIJNSF_6TensorESK_SK_EERKSK_lbbbEUlllE0_EEPmJS9_EEE10hipError_tPvRmT3_T4_T5_T6_T7_T9_mT8_P12ihipStream_tbDpT10_ENKUlT_T0_E_clISt17integral_constantIbLb0EES1A_EEDaS15_S16_EUlS15_E_NS1_11comp_targetILNS1_3genE3ELNS1_11target_archE908ELNS1_3gpuE7ELNS1_3repE0EEENS1_30default_config_static_selectorELNS0_4arch9wavefront6targetE1EEEvT1_.kd
    .uniform_work_group_size: 1
    .uses_dynamic_stack: false
    .vgpr_count:     0
    .vgpr_spill_count: 0
    .wavefront_size: 64
  - .agpr_count:     0
    .args:
      - .offset:         0
        .size:           120
        .value_kind:     by_value
    .group_segment_fixed_size: 0
    .kernarg_segment_align: 8
    .kernarg_segment_size: 120
    .language:       OpenCL C
    .language_version:
      - 2
      - 0
    .max_flat_workgroup_size: 192
    .name:           _ZN7rocprim17ROCPRIM_400000_NS6detail17trampoline_kernelINS0_14default_configENS1_25partition_config_selectorILNS1_17partition_subalgoE9EllbEEZZNS1_14partition_implILS5_9ELb0ES3_jPlS8_PNS0_10empty_typeENS0_5tupleIJS8_S9_EEENSB_IJS8_SA_EEENS0_18inequality_wrapperIZN2at6native12_GLOBAL__N_124unique_dim_cuda_templateItEESt5tupleIJNSF_6TensorESK_SK_EERKSK_lbbbEUlllE0_EEPmJS9_EEE10hipError_tPvRmT3_T4_T5_T6_T7_T9_mT8_P12ihipStream_tbDpT10_ENKUlT_T0_E_clISt17integral_constantIbLb0EES1A_EEDaS15_S16_EUlS15_E_NS1_11comp_targetILNS1_3genE2ELNS1_11target_archE906ELNS1_3gpuE6ELNS1_3repE0EEENS1_30default_config_static_selectorELNS0_4arch9wavefront6targetE1EEEvT1_
    .private_segment_fixed_size: 0
    .sgpr_count:     6
    .sgpr_spill_count: 0
    .symbol:         _ZN7rocprim17ROCPRIM_400000_NS6detail17trampoline_kernelINS0_14default_configENS1_25partition_config_selectorILNS1_17partition_subalgoE9EllbEEZZNS1_14partition_implILS5_9ELb0ES3_jPlS8_PNS0_10empty_typeENS0_5tupleIJS8_S9_EEENSB_IJS8_SA_EEENS0_18inequality_wrapperIZN2at6native12_GLOBAL__N_124unique_dim_cuda_templateItEESt5tupleIJNSF_6TensorESK_SK_EERKSK_lbbbEUlllE0_EEPmJS9_EEE10hipError_tPvRmT3_T4_T5_T6_T7_T9_mT8_P12ihipStream_tbDpT10_ENKUlT_T0_E_clISt17integral_constantIbLb0EES1A_EEDaS15_S16_EUlS15_E_NS1_11comp_targetILNS1_3genE2ELNS1_11target_archE906ELNS1_3gpuE6ELNS1_3repE0EEENS1_30default_config_static_selectorELNS0_4arch9wavefront6targetE1EEEvT1_.kd
    .uniform_work_group_size: 1
    .uses_dynamic_stack: false
    .vgpr_count:     0
    .vgpr_spill_count: 0
    .wavefront_size: 64
  - .agpr_count:     0
    .args:
      - .offset:         0
        .size:           120
        .value_kind:     by_value
    .group_segment_fixed_size: 0
    .kernarg_segment_align: 8
    .kernarg_segment_size: 120
    .language:       OpenCL C
    .language_version:
      - 2
      - 0
    .max_flat_workgroup_size: 384
    .name:           _ZN7rocprim17ROCPRIM_400000_NS6detail17trampoline_kernelINS0_14default_configENS1_25partition_config_selectorILNS1_17partition_subalgoE9EllbEEZZNS1_14partition_implILS5_9ELb0ES3_jPlS8_PNS0_10empty_typeENS0_5tupleIJS8_S9_EEENSB_IJS8_SA_EEENS0_18inequality_wrapperIZN2at6native12_GLOBAL__N_124unique_dim_cuda_templateItEESt5tupleIJNSF_6TensorESK_SK_EERKSK_lbbbEUlllE0_EEPmJS9_EEE10hipError_tPvRmT3_T4_T5_T6_T7_T9_mT8_P12ihipStream_tbDpT10_ENKUlT_T0_E_clISt17integral_constantIbLb0EES1A_EEDaS15_S16_EUlS15_E_NS1_11comp_targetILNS1_3genE10ELNS1_11target_archE1200ELNS1_3gpuE4ELNS1_3repE0EEENS1_30default_config_static_selectorELNS0_4arch9wavefront6targetE1EEEvT1_
    .private_segment_fixed_size: 0
    .sgpr_count:     6
    .sgpr_spill_count: 0
    .symbol:         _ZN7rocprim17ROCPRIM_400000_NS6detail17trampoline_kernelINS0_14default_configENS1_25partition_config_selectorILNS1_17partition_subalgoE9EllbEEZZNS1_14partition_implILS5_9ELb0ES3_jPlS8_PNS0_10empty_typeENS0_5tupleIJS8_S9_EEENSB_IJS8_SA_EEENS0_18inequality_wrapperIZN2at6native12_GLOBAL__N_124unique_dim_cuda_templateItEESt5tupleIJNSF_6TensorESK_SK_EERKSK_lbbbEUlllE0_EEPmJS9_EEE10hipError_tPvRmT3_T4_T5_T6_T7_T9_mT8_P12ihipStream_tbDpT10_ENKUlT_T0_E_clISt17integral_constantIbLb0EES1A_EEDaS15_S16_EUlS15_E_NS1_11comp_targetILNS1_3genE10ELNS1_11target_archE1200ELNS1_3gpuE4ELNS1_3repE0EEENS1_30default_config_static_selectorELNS0_4arch9wavefront6targetE1EEEvT1_.kd
    .uniform_work_group_size: 1
    .uses_dynamic_stack: false
    .vgpr_count:     0
    .vgpr_spill_count: 0
    .wavefront_size: 64
  - .agpr_count:     0
    .args:
      - .offset:         0
        .size:           120
        .value_kind:     by_value
    .group_segment_fixed_size: 0
    .kernarg_segment_align: 8
    .kernarg_segment_size: 120
    .language:       OpenCL C
    .language_version:
      - 2
      - 0
    .max_flat_workgroup_size: 512
    .name:           _ZN7rocprim17ROCPRIM_400000_NS6detail17trampoline_kernelINS0_14default_configENS1_25partition_config_selectorILNS1_17partition_subalgoE9EllbEEZZNS1_14partition_implILS5_9ELb0ES3_jPlS8_PNS0_10empty_typeENS0_5tupleIJS8_S9_EEENSB_IJS8_SA_EEENS0_18inequality_wrapperIZN2at6native12_GLOBAL__N_124unique_dim_cuda_templateItEESt5tupleIJNSF_6TensorESK_SK_EERKSK_lbbbEUlllE0_EEPmJS9_EEE10hipError_tPvRmT3_T4_T5_T6_T7_T9_mT8_P12ihipStream_tbDpT10_ENKUlT_T0_E_clISt17integral_constantIbLb0EES1A_EEDaS15_S16_EUlS15_E_NS1_11comp_targetILNS1_3genE9ELNS1_11target_archE1100ELNS1_3gpuE3ELNS1_3repE0EEENS1_30default_config_static_selectorELNS0_4arch9wavefront6targetE1EEEvT1_
    .private_segment_fixed_size: 0
    .sgpr_count:     6
    .sgpr_spill_count: 0
    .symbol:         _ZN7rocprim17ROCPRIM_400000_NS6detail17trampoline_kernelINS0_14default_configENS1_25partition_config_selectorILNS1_17partition_subalgoE9EllbEEZZNS1_14partition_implILS5_9ELb0ES3_jPlS8_PNS0_10empty_typeENS0_5tupleIJS8_S9_EEENSB_IJS8_SA_EEENS0_18inequality_wrapperIZN2at6native12_GLOBAL__N_124unique_dim_cuda_templateItEESt5tupleIJNSF_6TensorESK_SK_EERKSK_lbbbEUlllE0_EEPmJS9_EEE10hipError_tPvRmT3_T4_T5_T6_T7_T9_mT8_P12ihipStream_tbDpT10_ENKUlT_T0_E_clISt17integral_constantIbLb0EES1A_EEDaS15_S16_EUlS15_E_NS1_11comp_targetILNS1_3genE9ELNS1_11target_archE1100ELNS1_3gpuE3ELNS1_3repE0EEENS1_30default_config_static_selectorELNS0_4arch9wavefront6targetE1EEEvT1_.kd
    .uniform_work_group_size: 1
    .uses_dynamic_stack: false
    .vgpr_count:     0
    .vgpr_spill_count: 0
    .wavefront_size: 64
  - .agpr_count:     0
    .args:
      - .offset:         0
        .size:           120
        .value_kind:     by_value
    .group_segment_fixed_size: 0
    .kernarg_segment_align: 8
    .kernarg_segment_size: 120
    .language:       OpenCL C
    .language_version:
      - 2
      - 0
    .max_flat_workgroup_size: 512
    .name:           _ZN7rocprim17ROCPRIM_400000_NS6detail17trampoline_kernelINS0_14default_configENS1_25partition_config_selectorILNS1_17partition_subalgoE9EllbEEZZNS1_14partition_implILS5_9ELb0ES3_jPlS8_PNS0_10empty_typeENS0_5tupleIJS8_S9_EEENSB_IJS8_SA_EEENS0_18inequality_wrapperIZN2at6native12_GLOBAL__N_124unique_dim_cuda_templateItEESt5tupleIJNSF_6TensorESK_SK_EERKSK_lbbbEUlllE0_EEPmJS9_EEE10hipError_tPvRmT3_T4_T5_T6_T7_T9_mT8_P12ihipStream_tbDpT10_ENKUlT_T0_E_clISt17integral_constantIbLb0EES1A_EEDaS15_S16_EUlS15_E_NS1_11comp_targetILNS1_3genE8ELNS1_11target_archE1030ELNS1_3gpuE2ELNS1_3repE0EEENS1_30default_config_static_selectorELNS0_4arch9wavefront6targetE1EEEvT1_
    .private_segment_fixed_size: 0
    .sgpr_count:     6
    .sgpr_spill_count: 0
    .symbol:         _ZN7rocprim17ROCPRIM_400000_NS6detail17trampoline_kernelINS0_14default_configENS1_25partition_config_selectorILNS1_17partition_subalgoE9EllbEEZZNS1_14partition_implILS5_9ELb0ES3_jPlS8_PNS0_10empty_typeENS0_5tupleIJS8_S9_EEENSB_IJS8_SA_EEENS0_18inequality_wrapperIZN2at6native12_GLOBAL__N_124unique_dim_cuda_templateItEESt5tupleIJNSF_6TensorESK_SK_EERKSK_lbbbEUlllE0_EEPmJS9_EEE10hipError_tPvRmT3_T4_T5_T6_T7_T9_mT8_P12ihipStream_tbDpT10_ENKUlT_T0_E_clISt17integral_constantIbLb0EES1A_EEDaS15_S16_EUlS15_E_NS1_11comp_targetILNS1_3genE8ELNS1_11target_archE1030ELNS1_3gpuE2ELNS1_3repE0EEENS1_30default_config_static_selectorELNS0_4arch9wavefront6targetE1EEEvT1_.kd
    .uniform_work_group_size: 1
    .uses_dynamic_stack: false
    .vgpr_count:     0
    .vgpr_spill_count: 0
    .wavefront_size: 64
  - .agpr_count:     0
    .args:
      - .offset:         0
        .size:           136
        .value_kind:     by_value
    .group_segment_fixed_size: 0
    .kernarg_segment_align: 8
    .kernarg_segment_size: 136
    .language:       OpenCL C
    .language_version:
      - 2
      - 0
    .max_flat_workgroup_size: 128
    .name:           _ZN7rocprim17ROCPRIM_400000_NS6detail17trampoline_kernelINS0_14default_configENS1_25partition_config_selectorILNS1_17partition_subalgoE9EllbEEZZNS1_14partition_implILS5_9ELb0ES3_jPlS8_PNS0_10empty_typeENS0_5tupleIJS8_S9_EEENSB_IJS8_SA_EEENS0_18inequality_wrapperIZN2at6native12_GLOBAL__N_124unique_dim_cuda_templateItEESt5tupleIJNSF_6TensorESK_SK_EERKSK_lbbbEUlllE0_EEPmJS9_EEE10hipError_tPvRmT3_T4_T5_T6_T7_T9_mT8_P12ihipStream_tbDpT10_ENKUlT_T0_E_clISt17integral_constantIbLb1EES1A_EEDaS15_S16_EUlS15_E_NS1_11comp_targetILNS1_3genE0ELNS1_11target_archE4294967295ELNS1_3gpuE0ELNS1_3repE0EEENS1_30default_config_static_selectorELNS0_4arch9wavefront6targetE1EEEvT1_
    .private_segment_fixed_size: 0
    .sgpr_count:     6
    .sgpr_spill_count: 0
    .symbol:         _ZN7rocprim17ROCPRIM_400000_NS6detail17trampoline_kernelINS0_14default_configENS1_25partition_config_selectorILNS1_17partition_subalgoE9EllbEEZZNS1_14partition_implILS5_9ELb0ES3_jPlS8_PNS0_10empty_typeENS0_5tupleIJS8_S9_EEENSB_IJS8_SA_EEENS0_18inequality_wrapperIZN2at6native12_GLOBAL__N_124unique_dim_cuda_templateItEESt5tupleIJNSF_6TensorESK_SK_EERKSK_lbbbEUlllE0_EEPmJS9_EEE10hipError_tPvRmT3_T4_T5_T6_T7_T9_mT8_P12ihipStream_tbDpT10_ENKUlT_T0_E_clISt17integral_constantIbLb1EES1A_EEDaS15_S16_EUlS15_E_NS1_11comp_targetILNS1_3genE0ELNS1_11target_archE4294967295ELNS1_3gpuE0ELNS1_3repE0EEENS1_30default_config_static_selectorELNS0_4arch9wavefront6targetE1EEEvT1_.kd
    .uniform_work_group_size: 1
    .uses_dynamic_stack: false
    .vgpr_count:     0
    .vgpr_spill_count: 0
    .wavefront_size: 64
  - .agpr_count:     0
    .args:
      - .offset:         0
        .size:           136
        .value_kind:     by_value
    .group_segment_fixed_size: 0
    .kernarg_segment_align: 8
    .kernarg_segment_size: 136
    .language:       OpenCL C
    .language_version:
      - 2
      - 0
    .max_flat_workgroup_size: 512
    .name:           _ZN7rocprim17ROCPRIM_400000_NS6detail17trampoline_kernelINS0_14default_configENS1_25partition_config_selectorILNS1_17partition_subalgoE9EllbEEZZNS1_14partition_implILS5_9ELb0ES3_jPlS8_PNS0_10empty_typeENS0_5tupleIJS8_S9_EEENSB_IJS8_SA_EEENS0_18inequality_wrapperIZN2at6native12_GLOBAL__N_124unique_dim_cuda_templateItEESt5tupleIJNSF_6TensorESK_SK_EERKSK_lbbbEUlllE0_EEPmJS9_EEE10hipError_tPvRmT3_T4_T5_T6_T7_T9_mT8_P12ihipStream_tbDpT10_ENKUlT_T0_E_clISt17integral_constantIbLb1EES1A_EEDaS15_S16_EUlS15_E_NS1_11comp_targetILNS1_3genE5ELNS1_11target_archE942ELNS1_3gpuE9ELNS1_3repE0EEENS1_30default_config_static_selectorELNS0_4arch9wavefront6targetE1EEEvT1_
    .private_segment_fixed_size: 0
    .sgpr_count:     6
    .sgpr_spill_count: 0
    .symbol:         _ZN7rocprim17ROCPRIM_400000_NS6detail17trampoline_kernelINS0_14default_configENS1_25partition_config_selectorILNS1_17partition_subalgoE9EllbEEZZNS1_14partition_implILS5_9ELb0ES3_jPlS8_PNS0_10empty_typeENS0_5tupleIJS8_S9_EEENSB_IJS8_SA_EEENS0_18inequality_wrapperIZN2at6native12_GLOBAL__N_124unique_dim_cuda_templateItEESt5tupleIJNSF_6TensorESK_SK_EERKSK_lbbbEUlllE0_EEPmJS9_EEE10hipError_tPvRmT3_T4_T5_T6_T7_T9_mT8_P12ihipStream_tbDpT10_ENKUlT_T0_E_clISt17integral_constantIbLb1EES1A_EEDaS15_S16_EUlS15_E_NS1_11comp_targetILNS1_3genE5ELNS1_11target_archE942ELNS1_3gpuE9ELNS1_3repE0EEENS1_30default_config_static_selectorELNS0_4arch9wavefront6targetE1EEEvT1_.kd
    .uniform_work_group_size: 1
    .uses_dynamic_stack: false
    .vgpr_count:     0
    .vgpr_spill_count: 0
    .wavefront_size: 64
  - .agpr_count:     0
    .args:
      - .offset:         0
        .size:           136
        .value_kind:     by_value
    .group_segment_fixed_size: 0
    .kernarg_segment_align: 8
    .kernarg_segment_size: 136
    .language:       OpenCL C
    .language_version:
      - 2
      - 0
    .max_flat_workgroup_size: 128
    .name:           _ZN7rocprim17ROCPRIM_400000_NS6detail17trampoline_kernelINS0_14default_configENS1_25partition_config_selectorILNS1_17partition_subalgoE9EllbEEZZNS1_14partition_implILS5_9ELb0ES3_jPlS8_PNS0_10empty_typeENS0_5tupleIJS8_S9_EEENSB_IJS8_SA_EEENS0_18inequality_wrapperIZN2at6native12_GLOBAL__N_124unique_dim_cuda_templateItEESt5tupleIJNSF_6TensorESK_SK_EERKSK_lbbbEUlllE0_EEPmJS9_EEE10hipError_tPvRmT3_T4_T5_T6_T7_T9_mT8_P12ihipStream_tbDpT10_ENKUlT_T0_E_clISt17integral_constantIbLb1EES1A_EEDaS15_S16_EUlS15_E_NS1_11comp_targetILNS1_3genE4ELNS1_11target_archE910ELNS1_3gpuE8ELNS1_3repE0EEENS1_30default_config_static_selectorELNS0_4arch9wavefront6targetE1EEEvT1_
    .private_segment_fixed_size: 0
    .sgpr_count:     6
    .sgpr_spill_count: 0
    .symbol:         _ZN7rocprim17ROCPRIM_400000_NS6detail17trampoline_kernelINS0_14default_configENS1_25partition_config_selectorILNS1_17partition_subalgoE9EllbEEZZNS1_14partition_implILS5_9ELb0ES3_jPlS8_PNS0_10empty_typeENS0_5tupleIJS8_S9_EEENSB_IJS8_SA_EEENS0_18inequality_wrapperIZN2at6native12_GLOBAL__N_124unique_dim_cuda_templateItEESt5tupleIJNSF_6TensorESK_SK_EERKSK_lbbbEUlllE0_EEPmJS9_EEE10hipError_tPvRmT3_T4_T5_T6_T7_T9_mT8_P12ihipStream_tbDpT10_ENKUlT_T0_E_clISt17integral_constantIbLb1EES1A_EEDaS15_S16_EUlS15_E_NS1_11comp_targetILNS1_3genE4ELNS1_11target_archE910ELNS1_3gpuE8ELNS1_3repE0EEENS1_30default_config_static_selectorELNS0_4arch9wavefront6targetE1EEEvT1_.kd
    .uniform_work_group_size: 1
    .uses_dynamic_stack: false
    .vgpr_count:     0
    .vgpr_spill_count: 0
    .wavefront_size: 64
  - .agpr_count:     0
    .args:
      - .offset:         0
        .size:           136
        .value_kind:     by_value
    .group_segment_fixed_size: 0
    .kernarg_segment_align: 8
    .kernarg_segment_size: 136
    .language:       OpenCL C
    .language_version:
      - 2
      - 0
    .max_flat_workgroup_size: 128
    .name:           _ZN7rocprim17ROCPRIM_400000_NS6detail17trampoline_kernelINS0_14default_configENS1_25partition_config_selectorILNS1_17partition_subalgoE9EllbEEZZNS1_14partition_implILS5_9ELb0ES3_jPlS8_PNS0_10empty_typeENS0_5tupleIJS8_S9_EEENSB_IJS8_SA_EEENS0_18inequality_wrapperIZN2at6native12_GLOBAL__N_124unique_dim_cuda_templateItEESt5tupleIJNSF_6TensorESK_SK_EERKSK_lbbbEUlllE0_EEPmJS9_EEE10hipError_tPvRmT3_T4_T5_T6_T7_T9_mT8_P12ihipStream_tbDpT10_ENKUlT_T0_E_clISt17integral_constantIbLb1EES1A_EEDaS15_S16_EUlS15_E_NS1_11comp_targetILNS1_3genE3ELNS1_11target_archE908ELNS1_3gpuE7ELNS1_3repE0EEENS1_30default_config_static_selectorELNS0_4arch9wavefront6targetE1EEEvT1_
    .private_segment_fixed_size: 0
    .sgpr_count:     6
    .sgpr_spill_count: 0
    .symbol:         _ZN7rocprim17ROCPRIM_400000_NS6detail17trampoline_kernelINS0_14default_configENS1_25partition_config_selectorILNS1_17partition_subalgoE9EllbEEZZNS1_14partition_implILS5_9ELb0ES3_jPlS8_PNS0_10empty_typeENS0_5tupleIJS8_S9_EEENSB_IJS8_SA_EEENS0_18inequality_wrapperIZN2at6native12_GLOBAL__N_124unique_dim_cuda_templateItEESt5tupleIJNSF_6TensorESK_SK_EERKSK_lbbbEUlllE0_EEPmJS9_EEE10hipError_tPvRmT3_T4_T5_T6_T7_T9_mT8_P12ihipStream_tbDpT10_ENKUlT_T0_E_clISt17integral_constantIbLb1EES1A_EEDaS15_S16_EUlS15_E_NS1_11comp_targetILNS1_3genE3ELNS1_11target_archE908ELNS1_3gpuE7ELNS1_3repE0EEENS1_30default_config_static_selectorELNS0_4arch9wavefront6targetE1EEEvT1_.kd
    .uniform_work_group_size: 1
    .uses_dynamic_stack: false
    .vgpr_count:     0
    .vgpr_spill_count: 0
    .wavefront_size: 64
  - .agpr_count:     0
    .args:
      - .offset:         0
        .size:           136
        .value_kind:     by_value
    .group_segment_fixed_size: 0
    .kernarg_segment_align: 8
    .kernarg_segment_size: 136
    .language:       OpenCL C
    .language_version:
      - 2
      - 0
    .max_flat_workgroup_size: 192
    .name:           _ZN7rocprim17ROCPRIM_400000_NS6detail17trampoline_kernelINS0_14default_configENS1_25partition_config_selectorILNS1_17partition_subalgoE9EllbEEZZNS1_14partition_implILS5_9ELb0ES3_jPlS8_PNS0_10empty_typeENS0_5tupleIJS8_S9_EEENSB_IJS8_SA_EEENS0_18inequality_wrapperIZN2at6native12_GLOBAL__N_124unique_dim_cuda_templateItEESt5tupleIJNSF_6TensorESK_SK_EERKSK_lbbbEUlllE0_EEPmJS9_EEE10hipError_tPvRmT3_T4_T5_T6_T7_T9_mT8_P12ihipStream_tbDpT10_ENKUlT_T0_E_clISt17integral_constantIbLb1EES1A_EEDaS15_S16_EUlS15_E_NS1_11comp_targetILNS1_3genE2ELNS1_11target_archE906ELNS1_3gpuE6ELNS1_3repE0EEENS1_30default_config_static_selectorELNS0_4arch9wavefront6targetE1EEEvT1_
    .private_segment_fixed_size: 0
    .sgpr_count:     6
    .sgpr_spill_count: 0
    .symbol:         _ZN7rocprim17ROCPRIM_400000_NS6detail17trampoline_kernelINS0_14default_configENS1_25partition_config_selectorILNS1_17partition_subalgoE9EllbEEZZNS1_14partition_implILS5_9ELb0ES3_jPlS8_PNS0_10empty_typeENS0_5tupleIJS8_S9_EEENSB_IJS8_SA_EEENS0_18inequality_wrapperIZN2at6native12_GLOBAL__N_124unique_dim_cuda_templateItEESt5tupleIJNSF_6TensorESK_SK_EERKSK_lbbbEUlllE0_EEPmJS9_EEE10hipError_tPvRmT3_T4_T5_T6_T7_T9_mT8_P12ihipStream_tbDpT10_ENKUlT_T0_E_clISt17integral_constantIbLb1EES1A_EEDaS15_S16_EUlS15_E_NS1_11comp_targetILNS1_3genE2ELNS1_11target_archE906ELNS1_3gpuE6ELNS1_3repE0EEENS1_30default_config_static_selectorELNS0_4arch9wavefront6targetE1EEEvT1_.kd
    .uniform_work_group_size: 1
    .uses_dynamic_stack: false
    .vgpr_count:     0
    .vgpr_spill_count: 0
    .wavefront_size: 64
  - .agpr_count:     0
    .args:
      - .offset:         0
        .size:           136
        .value_kind:     by_value
    .group_segment_fixed_size: 0
    .kernarg_segment_align: 8
    .kernarg_segment_size: 136
    .language:       OpenCL C
    .language_version:
      - 2
      - 0
    .max_flat_workgroup_size: 384
    .name:           _ZN7rocprim17ROCPRIM_400000_NS6detail17trampoline_kernelINS0_14default_configENS1_25partition_config_selectorILNS1_17partition_subalgoE9EllbEEZZNS1_14partition_implILS5_9ELb0ES3_jPlS8_PNS0_10empty_typeENS0_5tupleIJS8_S9_EEENSB_IJS8_SA_EEENS0_18inequality_wrapperIZN2at6native12_GLOBAL__N_124unique_dim_cuda_templateItEESt5tupleIJNSF_6TensorESK_SK_EERKSK_lbbbEUlllE0_EEPmJS9_EEE10hipError_tPvRmT3_T4_T5_T6_T7_T9_mT8_P12ihipStream_tbDpT10_ENKUlT_T0_E_clISt17integral_constantIbLb1EES1A_EEDaS15_S16_EUlS15_E_NS1_11comp_targetILNS1_3genE10ELNS1_11target_archE1200ELNS1_3gpuE4ELNS1_3repE0EEENS1_30default_config_static_selectorELNS0_4arch9wavefront6targetE1EEEvT1_
    .private_segment_fixed_size: 0
    .sgpr_count:     6
    .sgpr_spill_count: 0
    .symbol:         _ZN7rocprim17ROCPRIM_400000_NS6detail17trampoline_kernelINS0_14default_configENS1_25partition_config_selectorILNS1_17partition_subalgoE9EllbEEZZNS1_14partition_implILS5_9ELb0ES3_jPlS8_PNS0_10empty_typeENS0_5tupleIJS8_S9_EEENSB_IJS8_SA_EEENS0_18inequality_wrapperIZN2at6native12_GLOBAL__N_124unique_dim_cuda_templateItEESt5tupleIJNSF_6TensorESK_SK_EERKSK_lbbbEUlllE0_EEPmJS9_EEE10hipError_tPvRmT3_T4_T5_T6_T7_T9_mT8_P12ihipStream_tbDpT10_ENKUlT_T0_E_clISt17integral_constantIbLb1EES1A_EEDaS15_S16_EUlS15_E_NS1_11comp_targetILNS1_3genE10ELNS1_11target_archE1200ELNS1_3gpuE4ELNS1_3repE0EEENS1_30default_config_static_selectorELNS0_4arch9wavefront6targetE1EEEvT1_.kd
    .uniform_work_group_size: 1
    .uses_dynamic_stack: false
    .vgpr_count:     0
    .vgpr_spill_count: 0
    .wavefront_size: 64
  - .agpr_count:     0
    .args:
      - .offset:         0
        .size:           136
        .value_kind:     by_value
    .group_segment_fixed_size: 0
    .kernarg_segment_align: 8
    .kernarg_segment_size: 136
    .language:       OpenCL C
    .language_version:
      - 2
      - 0
    .max_flat_workgroup_size: 512
    .name:           _ZN7rocprim17ROCPRIM_400000_NS6detail17trampoline_kernelINS0_14default_configENS1_25partition_config_selectorILNS1_17partition_subalgoE9EllbEEZZNS1_14partition_implILS5_9ELb0ES3_jPlS8_PNS0_10empty_typeENS0_5tupleIJS8_S9_EEENSB_IJS8_SA_EEENS0_18inequality_wrapperIZN2at6native12_GLOBAL__N_124unique_dim_cuda_templateItEESt5tupleIJNSF_6TensorESK_SK_EERKSK_lbbbEUlllE0_EEPmJS9_EEE10hipError_tPvRmT3_T4_T5_T6_T7_T9_mT8_P12ihipStream_tbDpT10_ENKUlT_T0_E_clISt17integral_constantIbLb1EES1A_EEDaS15_S16_EUlS15_E_NS1_11comp_targetILNS1_3genE9ELNS1_11target_archE1100ELNS1_3gpuE3ELNS1_3repE0EEENS1_30default_config_static_selectorELNS0_4arch9wavefront6targetE1EEEvT1_
    .private_segment_fixed_size: 0
    .sgpr_count:     6
    .sgpr_spill_count: 0
    .symbol:         _ZN7rocprim17ROCPRIM_400000_NS6detail17trampoline_kernelINS0_14default_configENS1_25partition_config_selectorILNS1_17partition_subalgoE9EllbEEZZNS1_14partition_implILS5_9ELb0ES3_jPlS8_PNS0_10empty_typeENS0_5tupleIJS8_S9_EEENSB_IJS8_SA_EEENS0_18inequality_wrapperIZN2at6native12_GLOBAL__N_124unique_dim_cuda_templateItEESt5tupleIJNSF_6TensorESK_SK_EERKSK_lbbbEUlllE0_EEPmJS9_EEE10hipError_tPvRmT3_T4_T5_T6_T7_T9_mT8_P12ihipStream_tbDpT10_ENKUlT_T0_E_clISt17integral_constantIbLb1EES1A_EEDaS15_S16_EUlS15_E_NS1_11comp_targetILNS1_3genE9ELNS1_11target_archE1100ELNS1_3gpuE3ELNS1_3repE0EEENS1_30default_config_static_selectorELNS0_4arch9wavefront6targetE1EEEvT1_.kd
    .uniform_work_group_size: 1
    .uses_dynamic_stack: false
    .vgpr_count:     0
    .vgpr_spill_count: 0
    .wavefront_size: 64
  - .agpr_count:     0
    .args:
      - .offset:         0
        .size:           136
        .value_kind:     by_value
    .group_segment_fixed_size: 0
    .kernarg_segment_align: 8
    .kernarg_segment_size: 136
    .language:       OpenCL C
    .language_version:
      - 2
      - 0
    .max_flat_workgroup_size: 512
    .name:           _ZN7rocprim17ROCPRIM_400000_NS6detail17trampoline_kernelINS0_14default_configENS1_25partition_config_selectorILNS1_17partition_subalgoE9EllbEEZZNS1_14partition_implILS5_9ELb0ES3_jPlS8_PNS0_10empty_typeENS0_5tupleIJS8_S9_EEENSB_IJS8_SA_EEENS0_18inequality_wrapperIZN2at6native12_GLOBAL__N_124unique_dim_cuda_templateItEESt5tupleIJNSF_6TensorESK_SK_EERKSK_lbbbEUlllE0_EEPmJS9_EEE10hipError_tPvRmT3_T4_T5_T6_T7_T9_mT8_P12ihipStream_tbDpT10_ENKUlT_T0_E_clISt17integral_constantIbLb1EES1A_EEDaS15_S16_EUlS15_E_NS1_11comp_targetILNS1_3genE8ELNS1_11target_archE1030ELNS1_3gpuE2ELNS1_3repE0EEENS1_30default_config_static_selectorELNS0_4arch9wavefront6targetE1EEEvT1_
    .private_segment_fixed_size: 0
    .sgpr_count:     6
    .sgpr_spill_count: 0
    .symbol:         _ZN7rocprim17ROCPRIM_400000_NS6detail17trampoline_kernelINS0_14default_configENS1_25partition_config_selectorILNS1_17partition_subalgoE9EllbEEZZNS1_14partition_implILS5_9ELb0ES3_jPlS8_PNS0_10empty_typeENS0_5tupleIJS8_S9_EEENSB_IJS8_SA_EEENS0_18inequality_wrapperIZN2at6native12_GLOBAL__N_124unique_dim_cuda_templateItEESt5tupleIJNSF_6TensorESK_SK_EERKSK_lbbbEUlllE0_EEPmJS9_EEE10hipError_tPvRmT3_T4_T5_T6_T7_T9_mT8_P12ihipStream_tbDpT10_ENKUlT_T0_E_clISt17integral_constantIbLb1EES1A_EEDaS15_S16_EUlS15_E_NS1_11comp_targetILNS1_3genE8ELNS1_11target_archE1030ELNS1_3gpuE2ELNS1_3repE0EEENS1_30default_config_static_selectorELNS0_4arch9wavefront6targetE1EEEvT1_.kd
    .uniform_work_group_size: 1
    .uses_dynamic_stack: false
    .vgpr_count:     0
    .vgpr_spill_count: 0
    .wavefront_size: 64
  - .agpr_count:     0
    .args:
      - .offset:         0
        .size:           120
        .value_kind:     by_value
    .group_segment_fixed_size: 0
    .kernarg_segment_align: 8
    .kernarg_segment_size: 120
    .language:       OpenCL C
    .language_version:
      - 2
      - 0
    .max_flat_workgroup_size: 128
    .name:           _ZN7rocprim17ROCPRIM_400000_NS6detail17trampoline_kernelINS0_14default_configENS1_25partition_config_selectorILNS1_17partition_subalgoE9EllbEEZZNS1_14partition_implILS5_9ELb0ES3_jPlS8_PNS0_10empty_typeENS0_5tupleIJS8_S9_EEENSB_IJS8_SA_EEENS0_18inequality_wrapperIZN2at6native12_GLOBAL__N_124unique_dim_cuda_templateItEESt5tupleIJNSF_6TensorESK_SK_EERKSK_lbbbEUlllE0_EEPmJS9_EEE10hipError_tPvRmT3_T4_T5_T6_T7_T9_mT8_P12ihipStream_tbDpT10_ENKUlT_T0_E_clISt17integral_constantIbLb1EES19_IbLb0EEEEDaS15_S16_EUlS15_E_NS1_11comp_targetILNS1_3genE0ELNS1_11target_archE4294967295ELNS1_3gpuE0ELNS1_3repE0EEENS1_30default_config_static_selectorELNS0_4arch9wavefront6targetE1EEEvT1_
    .private_segment_fixed_size: 0
    .sgpr_count:     6
    .sgpr_spill_count: 0
    .symbol:         _ZN7rocprim17ROCPRIM_400000_NS6detail17trampoline_kernelINS0_14default_configENS1_25partition_config_selectorILNS1_17partition_subalgoE9EllbEEZZNS1_14partition_implILS5_9ELb0ES3_jPlS8_PNS0_10empty_typeENS0_5tupleIJS8_S9_EEENSB_IJS8_SA_EEENS0_18inequality_wrapperIZN2at6native12_GLOBAL__N_124unique_dim_cuda_templateItEESt5tupleIJNSF_6TensorESK_SK_EERKSK_lbbbEUlllE0_EEPmJS9_EEE10hipError_tPvRmT3_T4_T5_T6_T7_T9_mT8_P12ihipStream_tbDpT10_ENKUlT_T0_E_clISt17integral_constantIbLb1EES19_IbLb0EEEEDaS15_S16_EUlS15_E_NS1_11comp_targetILNS1_3genE0ELNS1_11target_archE4294967295ELNS1_3gpuE0ELNS1_3repE0EEENS1_30default_config_static_selectorELNS0_4arch9wavefront6targetE1EEEvT1_.kd
    .uniform_work_group_size: 1
    .uses_dynamic_stack: false
    .vgpr_count:     0
    .vgpr_spill_count: 0
    .wavefront_size: 64
  - .agpr_count:     0
    .args:
      - .offset:         0
        .size:           120
        .value_kind:     by_value
    .group_segment_fixed_size: 0
    .kernarg_segment_align: 8
    .kernarg_segment_size: 120
    .language:       OpenCL C
    .language_version:
      - 2
      - 0
    .max_flat_workgroup_size: 512
    .name:           _ZN7rocprim17ROCPRIM_400000_NS6detail17trampoline_kernelINS0_14default_configENS1_25partition_config_selectorILNS1_17partition_subalgoE9EllbEEZZNS1_14partition_implILS5_9ELb0ES3_jPlS8_PNS0_10empty_typeENS0_5tupleIJS8_S9_EEENSB_IJS8_SA_EEENS0_18inequality_wrapperIZN2at6native12_GLOBAL__N_124unique_dim_cuda_templateItEESt5tupleIJNSF_6TensorESK_SK_EERKSK_lbbbEUlllE0_EEPmJS9_EEE10hipError_tPvRmT3_T4_T5_T6_T7_T9_mT8_P12ihipStream_tbDpT10_ENKUlT_T0_E_clISt17integral_constantIbLb1EES19_IbLb0EEEEDaS15_S16_EUlS15_E_NS1_11comp_targetILNS1_3genE5ELNS1_11target_archE942ELNS1_3gpuE9ELNS1_3repE0EEENS1_30default_config_static_selectorELNS0_4arch9wavefront6targetE1EEEvT1_
    .private_segment_fixed_size: 0
    .sgpr_count:     6
    .sgpr_spill_count: 0
    .symbol:         _ZN7rocprim17ROCPRIM_400000_NS6detail17trampoline_kernelINS0_14default_configENS1_25partition_config_selectorILNS1_17partition_subalgoE9EllbEEZZNS1_14partition_implILS5_9ELb0ES3_jPlS8_PNS0_10empty_typeENS0_5tupleIJS8_S9_EEENSB_IJS8_SA_EEENS0_18inequality_wrapperIZN2at6native12_GLOBAL__N_124unique_dim_cuda_templateItEESt5tupleIJNSF_6TensorESK_SK_EERKSK_lbbbEUlllE0_EEPmJS9_EEE10hipError_tPvRmT3_T4_T5_T6_T7_T9_mT8_P12ihipStream_tbDpT10_ENKUlT_T0_E_clISt17integral_constantIbLb1EES19_IbLb0EEEEDaS15_S16_EUlS15_E_NS1_11comp_targetILNS1_3genE5ELNS1_11target_archE942ELNS1_3gpuE9ELNS1_3repE0EEENS1_30default_config_static_selectorELNS0_4arch9wavefront6targetE1EEEvT1_.kd
    .uniform_work_group_size: 1
    .uses_dynamic_stack: false
    .vgpr_count:     0
    .vgpr_spill_count: 0
    .wavefront_size: 64
  - .agpr_count:     0
    .args:
      - .offset:         0
        .size:           120
        .value_kind:     by_value
    .group_segment_fixed_size: 0
    .kernarg_segment_align: 8
    .kernarg_segment_size: 120
    .language:       OpenCL C
    .language_version:
      - 2
      - 0
    .max_flat_workgroup_size: 128
    .name:           _ZN7rocprim17ROCPRIM_400000_NS6detail17trampoline_kernelINS0_14default_configENS1_25partition_config_selectorILNS1_17partition_subalgoE9EllbEEZZNS1_14partition_implILS5_9ELb0ES3_jPlS8_PNS0_10empty_typeENS0_5tupleIJS8_S9_EEENSB_IJS8_SA_EEENS0_18inequality_wrapperIZN2at6native12_GLOBAL__N_124unique_dim_cuda_templateItEESt5tupleIJNSF_6TensorESK_SK_EERKSK_lbbbEUlllE0_EEPmJS9_EEE10hipError_tPvRmT3_T4_T5_T6_T7_T9_mT8_P12ihipStream_tbDpT10_ENKUlT_T0_E_clISt17integral_constantIbLb1EES19_IbLb0EEEEDaS15_S16_EUlS15_E_NS1_11comp_targetILNS1_3genE4ELNS1_11target_archE910ELNS1_3gpuE8ELNS1_3repE0EEENS1_30default_config_static_selectorELNS0_4arch9wavefront6targetE1EEEvT1_
    .private_segment_fixed_size: 0
    .sgpr_count:     6
    .sgpr_spill_count: 0
    .symbol:         _ZN7rocprim17ROCPRIM_400000_NS6detail17trampoline_kernelINS0_14default_configENS1_25partition_config_selectorILNS1_17partition_subalgoE9EllbEEZZNS1_14partition_implILS5_9ELb0ES3_jPlS8_PNS0_10empty_typeENS0_5tupleIJS8_S9_EEENSB_IJS8_SA_EEENS0_18inequality_wrapperIZN2at6native12_GLOBAL__N_124unique_dim_cuda_templateItEESt5tupleIJNSF_6TensorESK_SK_EERKSK_lbbbEUlllE0_EEPmJS9_EEE10hipError_tPvRmT3_T4_T5_T6_T7_T9_mT8_P12ihipStream_tbDpT10_ENKUlT_T0_E_clISt17integral_constantIbLb1EES19_IbLb0EEEEDaS15_S16_EUlS15_E_NS1_11comp_targetILNS1_3genE4ELNS1_11target_archE910ELNS1_3gpuE8ELNS1_3repE0EEENS1_30default_config_static_selectorELNS0_4arch9wavefront6targetE1EEEvT1_.kd
    .uniform_work_group_size: 1
    .uses_dynamic_stack: false
    .vgpr_count:     0
    .vgpr_spill_count: 0
    .wavefront_size: 64
  - .agpr_count:     0
    .args:
      - .offset:         0
        .size:           120
        .value_kind:     by_value
    .group_segment_fixed_size: 0
    .kernarg_segment_align: 8
    .kernarg_segment_size: 120
    .language:       OpenCL C
    .language_version:
      - 2
      - 0
    .max_flat_workgroup_size: 128
    .name:           _ZN7rocprim17ROCPRIM_400000_NS6detail17trampoline_kernelINS0_14default_configENS1_25partition_config_selectorILNS1_17partition_subalgoE9EllbEEZZNS1_14partition_implILS5_9ELb0ES3_jPlS8_PNS0_10empty_typeENS0_5tupleIJS8_S9_EEENSB_IJS8_SA_EEENS0_18inequality_wrapperIZN2at6native12_GLOBAL__N_124unique_dim_cuda_templateItEESt5tupleIJNSF_6TensorESK_SK_EERKSK_lbbbEUlllE0_EEPmJS9_EEE10hipError_tPvRmT3_T4_T5_T6_T7_T9_mT8_P12ihipStream_tbDpT10_ENKUlT_T0_E_clISt17integral_constantIbLb1EES19_IbLb0EEEEDaS15_S16_EUlS15_E_NS1_11comp_targetILNS1_3genE3ELNS1_11target_archE908ELNS1_3gpuE7ELNS1_3repE0EEENS1_30default_config_static_selectorELNS0_4arch9wavefront6targetE1EEEvT1_
    .private_segment_fixed_size: 0
    .sgpr_count:     6
    .sgpr_spill_count: 0
    .symbol:         _ZN7rocprim17ROCPRIM_400000_NS6detail17trampoline_kernelINS0_14default_configENS1_25partition_config_selectorILNS1_17partition_subalgoE9EllbEEZZNS1_14partition_implILS5_9ELb0ES3_jPlS8_PNS0_10empty_typeENS0_5tupleIJS8_S9_EEENSB_IJS8_SA_EEENS0_18inequality_wrapperIZN2at6native12_GLOBAL__N_124unique_dim_cuda_templateItEESt5tupleIJNSF_6TensorESK_SK_EERKSK_lbbbEUlllE0_EEPmJS9_EEE10hipError_tPvRmT3_T4_T5_T6_T7_T9_mT8_P12ihipStream_tbDpT10_ENKUlT_T0_E_clISt17integral_constantIbLb1EES19_IbLb0EEEEDaS15_S16_EUlS15_E_NS1_11comp_targetILNS1_3genE3ELNS1_11target_archE908ELNS1_3gpuE7ELNS1_3repE0EEENS1_30default_config_static_selectorELNS0_4arch9wavefront6targetE1EEEvT1_.kd
    .uniform_work_group_size: 1
    .uses_dynamic_stack: false
    .vgpr_count:     0
    .vgpr_spill_count: 0
    .wavefront_size: 64
  - .agpr_count:     0
    .args:
      - .offset:         0
        .size:           120
        .value_kind:     by_value
    .group_segment_fixed_size: 0
    .kernarg_segment_align: 8
    .kernarg_segment_size: 120
    .language:       OpenCL C
    .language_version:
      - 2
      - 0
    .max_flat_workgroup_size: 192
    .name:           _ZN7rocprim17ROCPRIM_400000_NS6detail17trampoline_kernelINS0_14default_configENS1_25partition_config_selectorILNS1_17partition_subalgoE9EllbEEZZNS1_14partition_implILS5_9ELb0ES3_jPlS8_PNS0_10empty_typeENS0_5tupleIJS8_S9_EEENSB_IJS8_SA_EEENS0_18inequality_wrapperIZN2at6native12_GLOBAL__N_124unique_dim_cuda_templateItEESt5tupleIJNSF_6TensorESK_SK_EERKSK_lbbbEUlllE0_EEPmJS9_EEE10hipError_tPvRmT3_T4_T5_T6_T7_T9_mT8_P12ihipStream_tbDpT10_ENKUlT_T0_E_clISt17integral_constantIbLb1EES19_IbLb0EEEEDaS15_S16_EUlS15_E_NS1_11comp_targetILNS1_3genE2ELNS1_11target_archE906ELNS1_3gpuE6ELNS1_3repE0EEENS1_30default_config_static_selectorELNS0_4arch9wavefront6targetE1EEEvT1_
    .private_segment_fixed_size: 0
    .sgpr_count:     6
    .sgpr_spill_count: 0
    .symbol:         _ZN7rocprim17ROCPRIM_400000_NS6detail17trampoline_kernelINS0_14default_configENS1_25partition_config_selectorILNS1_17partition_subalgoE9EllbEEZZNS1_14partition_implILS5_9ELb0ES3_jPlS8_PNS0_10empty_typeENS0_5tupleIJS8_S9_EEENSB_IJS8_SA_EEENS0_18inequality_wrapperIZN2at6native12_GLOBAL__N_124unique_dim_cuda_templateItEESt5tupleIJNSF_6TensorESK_SK_EERKSK_lbbbEUlllE0_EEPmJS9_EEE10hipError_tPvRmT3_T4_T5_T6_T7_T9_mT8_P12ihipStream_tbDpT10_ENKUlT_T0_E_clISt17integral_constantIbLb1EES19_IbLb0EEEEDaS15_S16_EUlS15_E_NS1_11comp_targetILNS1_3genE2ELNS1_11target_archE906ELNS1_3gpuE6ELNS1_3repE0EEENS1_30default_config_static_selectorELNS0_4arch9wavefront6targetE1EEEvT1_.kd
    .uniform_work_group_size: 1
    .uses_dynamic_stack: false
    .vgpr_count:     0
    .vgpr_spill_count: 0
    .wavefront_size: 64
  - .agpr_count:     0
    .args:
      - .offset:         0
        .size:           120
        .value_kind:     by_value
    .group_segment_fixed_size: 0
    .kernarg_segment_align: 8
    .kernarg_segment_size: 120
    .language:       OpenCL C
    .language_version:
      - 2
      - 0
    .max_flat_workgroup_size: 384
    .name:           _ZN7rocprim17ROCPRIM_400000_NS6detail17trampoline_kernelINS0_14default_configENS1_25partition_config_selectorILNS1_17partition_subalgoE9EllbEEZZNS1_14partition_implILS5_9ELb0ES3_jPlS8_PNS0_10empty_typeENS0_5tupleIJS8_S9_EEENSB_IJS8_SA_EEENS0_18inequality_wrapperIZN2at6native12_GLOBAL__N_124unique_dim_cuda_templateItEESt5tupleIJNSF_6TensorESK_SK_EERKSK_lbbbEUlllE0_EEPmJS9_EEE10hipError_tPvRmT3_T4_T5_T6_T7_T9_mT8_P12ihipStream_tbDpT10_ENKUlT_T0_E_clISt17integral_constantIbLb1EES19_IbLb0EEEEDaS15_S16_EUlS15_E_NS1_11comp_targetILNS1_3genE10ELNS1_11target_archE1200ELNS1_3gpuE4ELNS1_3repE0EEENS1_30default_config_static_selectorELNS0_4arch9wavefront6targetE1EEEvT1_
    .private_segment_fixed_size: 0
    .sgpr_count:     6
    .sgpr_spill_count: 0
    .symbol:         _ZN7rocprim17ROCPRIM_400000_NS6detail17trampoline_kernelINS0_14default_configENS1_25partition_config_selectorILNS1_17partition_subalgoE9EllbEEZZNS1_14partition_implILS5_9ELb0ES3_jPlS8_PNS0_10empty_typeENS0_5tupleIJS8_S9_EEENSB_IJS8_SA_EEENS0_18inequality_wrapperIZN2at6native12_GLOBAL__N_124unique_dim_cuda_templateItEESt5tupleIJNSF_6TensorESK_SK_EERKSK_lbbbEUlllE0_EEPmJS9_EEE10hipError_tPvRmT3_T4_T5_T6_T7_T9_mT8_P12ihipStream_tbDpT10_ENKUlT_T0_E_clISt17integral_constantIbLb1EES19_IbLb0EEEEDaS15_S16_EUlS15_E_NS1_11comp_targetILNS1_3genE10ELNS1_11target_archE1200ELNS1_3gpuE4ELNS1_3repE0EEENS1_30default_config_static_selectorELNS0_4arch9wavefront6targetE1EEEvT1_.kd
    .uniform_work_group_size: 1
    .uses_dynamic_stack: false
    .vgpr_count:     0
    .vgpr_spill_count: 0
    .wavefront_size: 64
  - .agpr_count:     0
    .args:
      - .offset:         0
        .size:           120
        .value_kind:     by_value
    .group_segment_fixed_size: 0
    .kernarg_segment_align: 8
    .kernarg_segment_size: 120
    .language:       OpenCL C
    .language_version:
      - 2
      - 0
    .max_flat_workgroup_size: 512
    .name:           _ZN7rocprim17ROCPRIM_400000_NS6detail17trampoline_kernelINS0_14default_configENS1_25partition_config_selectorILNS1_17partition_subalgoE9EllbEEZZNS1_14partition_implILS5_9ELb0ES3_jPlS8_PNS0_10empty_typeENS0_5tupleIJS8_S9_EEENSB_IJS8_SA_EEENS0_18inequality_wrapperIZN2at6native12_GLOBAL__N_124unique_dim_cuda_templateItEESt5tupleIJNSF_6TensorESK_SK_EERKSK_lbbbEUlllE0_EEPmJS9_EEE10hipError_tPvRmT3_T4_T5_T6_T7_T9_mT8_P12ihipStream_tbDpT10_ENKUlT_T0_E_clISt17integral_constantIbLb1EES19_IbLb0EEEEDaS15_S16_EUlS15_E_NS1_11comp_targetILNS1_3genE9ELNS1_11target_archE1100ELNS1_3gpuE3ELNS1_3repE0EEENS1_30default_config_static_selectorELNS0_4arch9wavefront6targetE1EEEvT1_
    .private_segment_fixed_size: 0
    .sgpr_count:     6
    .sgpr_spill_count: 0
    .symbol:         _ZN7rocprim17ROCPRIM_400000_NS6detail17trampoline_kernelINS0_14default_configENS1_25partition_config_selectorILNS1_17partition_subalgoE9EllbEEZZNS1_14partition_implILS5_9ELb0ES3_jPlS8_PNS0_10empty_typeENS0_5tupleIJS8_S9_EEENSB_IJS8_SA_EEENS0_18inequality_wrapperIZN2at6native12_GLOBAL__N_124unique_dim_cuda_templateItEESt5tupleIJNSF_6TensorESK_SK_EERKSK_lbbbEUlllE0_EEPmJS9_EEE10hipError_tPvRmT3_T4_T5_T6_T7_T9_mT8_P12ihipStream_tbDpT10_ENKUlT_T0_E_clISt17integral_constantIbLb1EES19_IbLb0EEEEDaS15_S16_EUlS15_E_NS1_11comp_targetILNS1_3genE9ELNS1_11target_archE1100ELNS1_3gpuE3ELNS1_3repE0EEENS1_30default_config_static_selectorELNS0_4arch9wavefront6targetE1EEEvT1_.kd
    .uniform_work_group_size: 1
    .uses_dynamic_stack: false
    .vgpr_count:     0
    .vgpr_spill_count: 0
    .wavefront_size: 64
  - .agpr_count:     0
    .args:
      - .offset:         0
        .size:           120
        .value_kind:     by_value
    .group_segment_fixed_size: 0
    .kernarg_segment_align: 8
    .kernarg_segment_size: 120
    .language:       OpenCL C
    .language_version:
      - 2
      - 0
    .max_flat_workgroup_size: 512
    .name:           _ZN7rocprim17ROCPRIM_400000_NS6detail17trampoline_kernelINS0_14default_configENS1_25partition_config_selectorILNS1_17partition_subalgoE9EllbEEZZNS1_14partition_implILS5_9ELb0ES3_jPlS8_PNS0_10empty_typeENS0_5tupleIJS8_S9_EEENSB_IJS8_SA_EEENS0_18inequality_wrapperIZN2at6native12_GLOBAL__N_124unique_dim_cuda_templateItEESt5tupleIJNSF_6TensorESK_SK_EERKSK_lbbbEUlllE0_EEPmJS9_EEE10hipError_tPvRmT3_T4_T5_T6_T7_T9_mT8_P12ihipStream_tbDpT10_ENKUlT_T0_E_clISt17integral_constantIbLb1EES19_IbLb0EEEEDaS15_S16_EUlS15_E_NS1_11comp_targetILNS1_3genE8ELNS1_11target_archE1030ELNS1_3gpuE2ELNS1_3repE0EEENS1_30default_config_static_selectorELNS0_4arch9wavefront6targetE1EEEvT1_
    .private_segment_fixed_size: 0
    .sgpr_count:     6
    .sgpr_spill_count: 0
    .symbol:         _ZN7rocprim17ROCPRIM_400000_NS6detail17trampoline_kernelINS0_14default_configENS1_25partition_config_selectorILNS1_17partition_subalgoE9EllbEEZZNS1_14partition_implILS5_9ELb0ES3_jPlS8_PNS0_10empty_typeENS0_5tupleIJS8_S9_EEENSB_IJS8_SA_EEENS0_18inequality_wrapperIZN2at6native12_GLOBAL__N_124unique_dim_cuda_templateItEESt5tupleIJNSF_6TensorESK_SK_EERKSK_lbbbEUlllE0_EEPmJS9_EEE10hipError_tPvRmT3_T4_T5_T6_T7_T9_mT8_P12ihipStream_tbDpT10_ENKUlT_T0_E_clISt17integral_constantIbLb1EES19_IbLb0EEEEDaS15_S16_EUlS15_E_NS1_11comp_targetILNS1_3genE8ELNS1_11target_archE1030ELNS1_3gpuE2ELNS1_3repE0EEENS1_30default_config_static_selectorELNS0_4arch9wavefront6targetE1EEEvT1_.kd
    .uniform_work_group_size: 1
    .uses_dynamic_stack: false
    .vgpr_count:     0
    .vgpr_spill_count: 0
    .wavefront_size: 64
  - .agpr_count:     0
    .args:
      - .offset:         0
        .size:           136
        .value_kind:     by_value
    .group_segment_fixed_size: 5128
    .kernarg_segment_align: 8
    .kernarg_segment_size: 136
    .language:       OpenCL C
    .language_version:
      - 2
      - 0
    .max_flat_workgroup_size: 128
    .name:           _ZN7rocprim17ROCPRIM_400000_NS6detail17trampoline_kernelINS0_14default_configENS1_25partition_config_selectorILNS1_17partition_subalgoE9EllbEEZZNS1_14partition_implILS5_9ELb0ES3_jPlS8_PNS0_10empty_typeENS0_5tupleIJS8_S9_EEENSB_IJS8_SA_EEENS0_18inequality_wrapperIZN2at6native12_GLOBAL__N_124unique_dim_cuda_templateItEESt5tupleIJNSF_6TensorESK_SK_EERKSK_lbbbEUlllE0_EEPmJS9_EEE10hipError_tPvRmT3_T4_T5_T6_T7_T9_mT8_P12ihipStream_tbDpT10_ENKUlT_T0_E_clISt17integral_constantIbLb0EES19_IbLb1EEEEDaS15_S16_EUlS15_E_NS1_11comp_targetILNS1_3genE0ELNS1_11target_archE4294967295ELNS1_3gpuE0ELNS1_3repE0EEENS1_30default_config_static_selectorELNS0_4arch9wavefront6targetE1EEEvT1_
    .private_segment_fixed_size: 0
    .sgpr_count:     58
    .sgpr_spill_count: 0
    .symbol:         _ZN7rocprim17ROCPRIM_400000_NS6detail17trampoline_kernelINS0_14default_configENS1_25partition_config_selectorILNS1_17partition_subalgoE9EllbEEZZNS1_14partition_implILS5_9ELb0ES3_jPlS8_PNS0_10empty_typeENS0_5tupleIJS8_S9_EEENSB_IJS8_SA_EEENS0_18inequality_wrapperIZN2at6native12_GLOBAL__N_124unique_dim_cuda_templateItEESt5tupleIJNSF_6TensorESK_SK_EERKSK_lbbbEUlllE0_EEPmJS9_EEE10hipError_tPvRmT3_T4_T5_T6_T7_T9_mT8_P12ihipStream_tbDpT10_ENKUlT_T0_E_clISt17integral_constantIbLb0EES19_IbLb1EEEEDaS15_S16_EUlS15_E_NS1_11comp_targetILNS1_3genE0ELNS1_11target_archE4294967295ELNS1_3gpuE0ELNS1_3repE0EEENS1_30default_config_static_selectorELNS0_4arch9wavefront6targetE1EEEvT1_.kd
    .uniform_work_group_size: 1
    .uses_dynamic_stack: false
    .vgpr_count:     60
    .vgpr_spill_count: 0
    .wavefront_size: 64
  - .agpr_count:     0
    .args:
      - .offset:         0
        .size:           136
        .value_kind:     by_value
    .group_segment_fixed_size: 0
    .kernarg_segment_align: 8
    .kernarg_segment_size: 136
    .language:       OpenCL C
    .language_version:
      - 2
      - 0
    .max_flat_workgroup_size: 512
    .name:           _ZN7rocprim17ROCPRIM_400000_NS6detail17trampoline_kernelINS0_14default_configENS1_25partition_config_selectorILNS1_17partition_subalgoE9EllbEEZZNS1_14partition_implILS5_9ELb0ES3_jPlS8_PNS0_10empty_typeENS0_5tupleIJS8_S9_EEENSB_IJS8_SA_EEENS0_18inequality_wrapperIZN2at6native12_GLOBAL__N_124unique_dim_cuda_templateItEESt5tupleIJNSF_6TensorESK_SK_EERKSK_lbbbEUlllE0_EEPmJS9_EEE10hipError_tPvRmT3_T4_T5_T6_T7_T9_mT8_P12ihipStream_tbDpT10_ENKUlT_T0_E_clISt17integral_constantIbLb0EES19_IbLb1EEEEDaS15_S16_EUlS15_E_NS1_11comp_targetILNS1_3genE5ELNS1_11target_archE942ELNS1_3gpuE9ELNS1_3repE0EEENS1_30default_config_static_selectorELNS0_4arch9wavefront6targetE1EEEvT1_
    .private_segment_fixed_size: 0
    .sgpr_count:     6
    .sgpr_spill_count: 0
    .symbol:         _ZN7rocprim17ROCPRIM_400000_NS6detail17trampoline_kernelINS0_14default_configENS1_25partition_config_selectorILNS1_17partition_subalgoE9EllbEEZZNS1_14partition_implILS5_9ELb0ES3_jPlS8_PNS0_10empty_typeENS0_5tupleIJS8_S9_EEENSB_IJS8_SA_EEENS0_18inequality_wrapperIZN2at6native12_GLOBAL__N_124unique_dim_cuda_templateItEESt5tupleIJNSF_6TensorESK_SK_EERKSK_lbbbEUlllE0_EEPmJS9_EEE10hipError_tPvRmT3_T4_T5_T6_T7_T9_mT8_P12ihipStream_tbDpT10_ENKUlT_T0_E_clISt17integral_constantIbLb0EES19_IbLb1EEEEDaS15_S16_EUlS15_E_NS1_11comp_targetILNS1_3genE5ELNS1_11target_archE942ELNS1_3gpuE9ELNS1_3repE0EEENS1_30default_config_static_selectorELNS0_4arch9wavefront6targetE1EEEvT1_.kd
    .uniform_work_group_size: 1
    .uses_dynamic_stack: false
    .vgpr_count:     0
    .vgpr_spill_count: 0
    .wavefront_size: 64
  - .agpr_count:     0
    .args:
      - .offset:         0
        .size:           136
        .value_kind:     by_value
    .group_segment_fixed_size: 0
    .kernarg_segment_align: 8
    .kernarg_segment_size: 136
    .language:       OpenCL C
    .language_version:
      - 2
      - 0
    .max_flat_workgroup_size: 128
    .name:           _ZN7rocprim17ROCPRIM_400000_NS6detail17trampoline_kernelINS0_14default_configENS1_25partition_config_selectorILNS1_17partition_subalgoE9EllbEEZZNS1_14partition_implILS5_9ELb0ES3_jPlS8_PNS0_10empty_typeENS0_5tupleIJS8_S9_EEENSB_IJS8_SA_EEENS0_18inequality_wrapperIZN2at6native12_GLOBAL__N_124unique_dim_cuda_templateItEESt5tupleIJNSF_6TensorESK_SK_EERKSK_lbbbEUlllE0_EEPmJS9_EEE10hipError_tPvRmT3_T4_T5_T6_T7_T9_mT8_P12ihipStream_tbDpT10_ENKUlT_T0_E_clISt17integral_constantIbLb0EES19_IbLb1EEEEDaS15_S16_EUlS15_E_NS1_11comp_targetILNS1_3genE4ELNS1_11target_archE910ELNS1_3gpuE8ELNS1_3repE0EEENS1_30default_config_static_selectorELNS0_4arch9wavefront6targetE1EEEvT1_
    .private_segment_fixed_size: 0
    .sgpr_count:     6
    .sgpr_spill_count: 0
    .symbol:         _ZN7rocprim17ROCPRIM_400000_NS6detail17trampoline_kernelINS0_14default_configENS1_25partition_config_selectorILNS1_17partition_subalgoE9EllbEEZZNS1_14partition_implILS5_9ELb0ES3_jPlS8_PNS0_10empty_typeENS0_5tupleIJS8_S9_EEENSB_IJS8_SA_EEENS0_18inequality_wrapperIZN2at6native12_GLOBAL__N_124unique_dim_cuda_templateItEESt5tupleIJNSF_6TensorESK_SK_EERKSK_lbbbEUlllE0_EEPmJS9_EEE10hipError_tPvRmT3_T4_T5_T6_T7_T9_mT8_P12ihipStream_tbDpT10_ENKUlT_T0_E_clISt17integral_constantIbLb0EES19_IbLb1EEEEDaS15_S16_EUlS15_E_NS1_11comp_targetILNS1_3genE4ELNS1_11target_archE910ELNS1_3gpuE8ELNS1_3repE0EEENS1_30default_config_static_selectorELNS0_4arch9wavefront6targetE1EEEvT1_.kd
    .uniform_work_group_size: 1
    .uses_dynamic_stack: false
    .vgpr_count:     0
    .vgpr_spill_count: 0
    .wavefront_size: 64
  - .agpr_count:     0
    .args:
      - .offset:         0
        .size:           136
        .value_kind:     by_value
    .group_segment_fixed_size: 0
    .kernarg_segment_align: 8
    .kernarg_segment_size: 136
    .language:       OpenCL C
    .language_version:
      - 2
      - 0
    .max_flat_workgroup_size: 128
    .name:           _ZN7rocprim17ROCPRIM_400000_NS6detail17trampoline_kernelINS0_14default_configENS1_25partition_config_selectorILNS1_17partition_subalgoE9EllbEEZZNS1_14partition_implILS5_9ELb0ES3_jPlS8_PNS0_10empty_typeENS0_5tupleIJS8_S9_EEENSB_IJS8_SA_EEENS0_18inequality_wrapperIZN2at6native12_GLOBAL__N_124unique_dim_cuda_templateItEESt5tupleIJNSF_6TensorESK_SK_EERKSK_lbbbEUlllE0_EEPmJS9_EEE10hipError_tPvRmT3_T4_T5_T6_T7_T9_mT8_P12ihipStream_tbDpT10_ENKUlT_T0_E_clISt17integral_constantIbLb0EES19_IbLb1EEEEDaS15_S16_EUlS15_E_NS1_11comp_targetILNS1_3genE3ELNS1_11target_archE908ELNS1_3gpuE7ELNS1_3repE0EEENS1_30default_config_static_selectorELNS0_4arch9wavefront6targetE1EEEvT1_
    .private_segment_fixed_size: 0
    .sgpr_count:     6
    .sgpr_spill_count: 0
    .symbol:         _ZN7rocprim17ROCPRIM_400000_NS6detail17trampoline_kernelINS0_14default_configENS1_25partition_config_selectorILNS1_17partition_subalgoE9EllbEEZZNS1_14partition_implILS5_9ELb0ES3_jPlS8_PNS0_10empty_typeENS0_5tupleIJS8_S9_EEENSB_IJS8_SA_EEENS0_18inequality_wrapperIZN2at6native12_GLOBAL__N_124unique_dim_cuda_templateItEESt5tupleIJNSF_6TensorESK_SK_EERKSK_lbbbEUlllE0_EEPmJS9_EEE10hipError_tPvRmT3_T4_T5_T6_T7_T9_mT8_P12ihipStream_tbDpT10_ENKUlT_T0_E_clISt17integral_constantIbLb0EES19_IbLb1EEEEDaS15_S16_EUlS15_E_NS1_11comp_targetILNS1_3genE3ELNS1_11target_archE908ELNS1_3gpuE7ELNS1_3repE0EEENS1_30default_config_static_selectorELNS0_4arch9wavefront6targetE1EEEvT1_.kd
    .uniform_work_group_size: 1
    .uses_dynamic_stack: false
    .vgpr_count:     0
    .vgpr_spill_count: 0
    .wavefront_size: 64
  - .agpr_count:     0
    .args:
      - .offset:         0
        .size:           136
        .value_kind:     by_value
    .group_segment_fixed_size: 0
    .kernarg_segment_align: 8
    .kernarg_segment_size: 136
    .language:       OpenCL C
    .language_version:
      - 2
      - 0
    .max_flat_workgroup_size: 192
    .name:           _ZN7rocprim17ROCPRIM_400000_NS6detail17trampoline_kernelINS0_14default_configENS1_25partition_config_selectorILNS1_17partition_subalgoE9EllbEEZZNS1_14partition_implILS5_9ELb0ES3_jPlS8_PNS0_10empty_typeENS0_5tupleIJS8_S9_EEENSB_IJS8_SA_EEENS0_18inequality_wrapperIZN2at6native12_GLOBAL__N_124unique_dim_cuda_templateItEESt5tupleIJNSF_6TensorESK_SK_EERKSK_lbbbEUlllE0_EEPmJS9_EEE10hipError_tPvRmT3_T4_T5_T6_T7_T9_mT8_P12ihipStream_tbDpT10_ENKUlT_T0_E_clISt17integral_constantIbLb0EES19_IbLb1EEEEDaS15_S16_EUlS15_E_NS1_11comp_targetILNS1_3genE2ELNS1_11target_archE906ELNS1_3gpuE6ELNS1_3repE0EEENS1_30default_config_static_selectorELNS0_4arch9wavefront6targetE1EEEvT1_
    .private_segment_fixed_size: 0
    .sgpr_count:     6
    .sgpr_spill_count: 0
    .symbol:         _ZN7rocprim17ROCPRIM_400000_NS6detail17trampoline_kernelINS0_14default_configENS1_25partition_config_selectorILNS1_17partition_subalgoE9EllbEEZZNS1_14partition_implILS5_9ELb0ES3_jPlS8_PNS0_10empty_typeENS0_5tupleIJS8_S9_EEENSB_IJS8_SA_EEENS0_18inequality_wrapperIZN2at6native12_GLOBAL__N_124unique_dim_cuda_templateItEESt5tupleIJNSF_6TensorESK_SK_EERKSK_lbbbEUlllE0_EEPmJS9_EEE10hipError_tPvRmT3_T4_T5_T6_T7_T9_mT8_P12ihipStream_tbDpT10_ENKUlT_T0_E_clISt17integral_constantIbLb0EES19_IbLb1EEEEDaS15_S16_EUlS15_E_NS1_11comp_targetILNS1_3genE2ELNS1_11target_archE906ELNS1_3gpuE6ELNS1_3repE0EEENS1_30default_config_static_selectorELNS0_4arch9wavefront6targetE1EEEvT1_.kd
    .uniform_work_group_size: 1
    .uses_dynamic_stack: false
    .vgpr_count:     0
    .vgpr_spill_count: 0
    .wavefront_size: 64
  - .agpr_count:     0
    .args:
      - .offset:         0
        .size:           136
        .value_kind:     by_value
    .group_segment_fixed_size: 0
    .kernarg_segment_align: 8
    .kernarg_segment_size: 136
    .language:       OpenCL C
    .language_version:
      - 2
      - 0
    .max_flat_workgroup_size: 384
    .name:           _ZN7rocprim17ROCPRIM_400000_NS6detail17trampoline_kernelINS0_14default_configENS1_25partition_config_selectorILNS1_17partition_subalgoE9EllbEEZZNS1_14partition_implILS5_9ELb0ES3_jPlS8_PNS0_10empty_typeENS0_5tupleIJS8_S9_EEENSB_IJS8_SA_EEENS0_18inequality_wrapperIZN2at6native12_GLOBAL__N_124unique_dim_cuda_templateItEESt5tupleIJNSF_6TensorESK_SK_EERKSK_lbbbEUlllE0_EEPmJS9_EEE10hipError_tPvRmT3_T4_T5_T6_T7_T9_mT8_P12ihipStream_tbDpT10_ENKUlT_T0_E_clISt17integral_constantIbLb0EES19_IbLb1EEEEDaS15_S16_EUlS15_E_NS1_11comp_targetILNS1_3genE10ELNS1_11target_archE1200ELNS1_3gpuE4ELNS1_3repE0EEENS1_30default_config_static_selectorELNS0_4arch9wavefront6targetE1EEEvT1_
    .private_segment_fixed_size: 0
    .sgpr_count:     6
    .sgpr_spill_count: 0
    .symbol:         _ZN7rocprim17ROCPRIM_400000_NS6detail17trampoline_kernelINS0_14default_configENS1_25partition_config_selectorILNS1_17partition_subalgoE9EllbEEZZNS1_14partition_implILS5_9ELb0ES3_jPlS8_PNS0_10empty_typeENS0_5tupleIJS8_S9_EEENSB_IJS8_SA_EEENS0_18inequality_wrapperIZN2at6native12_GLOBAL__N_124unique_dim_cuda_templateItEESt5tupleIJNSF_6TensorESK_SK_EERKSK_lbbbEUlllE0_EEPmJS9_EEE10hipError_tPvRmT3_T4_T5_T6_T7_T9_mT8_P12ihipStream_tbDpT10_ENKUlT_T0_E_clISt17integral_constantIbLb0EES19_IbLb1EEEEDaS15_S16_EUlS15_E_NS1_11comp_targetILNS1_3genE10ELNS1_11target_archE1200ELNS1_3gpuE4ELNS1_3repE0EEENS1_30default_config_static_selectorELNS0_4arch9wavefront6targetE1EEEvT1_.kd
    .uniform_work_group_size: 1
    .uses_dynamic_stack: false
    .vgpr_count:     0
    .vgpr_spill_count: 0
    .wavefront_size: 64
  - .agpr_count:     0
    .args:
      - .offset:         0
        .size:           136
        .value_kind:     by_value
    .group_segment_fixed_size: 0
    .kernarg_segment_align: 8
    .kernarg_segment_size: 136
    .language:       OpenCL C
    .language_version:
      - 2
      - 0
    .max_flat_workgroup_size: 512
    .name:           _ZN7rocprim17ROCPRIM_400000_NS6detail17trampoline_kernelINS0_14default_configENS1_25partition_config_selectorILNS1_17partition_subalgoE9EllbEEZZNS1_14partition_implILS5_9ELb0ES3_jPlS8_PNS0_10empty_typeENS0_5tupleIJS8_S9_EEENSB_IJS8_SA_EEENS0_18inequality_wrapperIZN2at6native12_GLOBAL__N_124unique_dim_cuda_templateItEESt5tupleIJNSF_6TensorESK_SK_EERKSK_lbbbEUlllE0_EEPmJS9_EEE10hipError_tPvRmT3_T4_T5_T6_T7_T9_mT8_P12ihipStream_tbDpT10_ENKUlT_T0_E_clISt17integral_constantIbLb0EES19_IbLb1EEEEDaS15_S16_EUlS15_E_NS1_11comp_targetILNS1_3genE9ELNS1_11target_archE1100ELNS1_3gpuE3ELNS1_3repE0EEENS1_30default_config_static_selectorELNS0_4arch9wavefront6targetE1EEEvT1_
    .private_segment_fixed_size: 0
    .sgpr_count:     6
    .sgpr_spill_count: 0
    .symbol:         _ZN7rocprim17ROCPRIM_400000_NS6detail17trampoline_kernelINS0_14default_configENS1_25partition_config_selectorILNS1_17partition_subalgoE9EllbEEZZNS1_14partition_implILS5_9ELb0ES3_jPlS8_PNS0_10empty_typeENS0_5tupleIJS8_S9_EEENSB_IJS8_SA_EEENS0_18inequality_wrapperIZN2at6native12_GLOBAL__N_124unique_dim_cuda_templateItEESt5tupleIJNSF_6TensorESK_SK_EERKSK_lbbbEUlllE0_EEPmJS9_EEE10hipError_tPvRmT3_T4_T5_T6_T7_T9_mT8_P12ihipStream_tbDpT10_ENKUlT_T0_E_clISt17integral_constantIbLb0EES19_IbLb1EEEEDaS15_S16_EUlS15_E_NS1_11comp_targetILNS1_3genE9ELNS1_11target_archE1100ELNS1_3gpuE3ELNS1_3repE0EEENS1_30default_config_static_selectorELNS0_4arch9wavefront6targetE1EEEvT1_.kd
    .uniform_work_group_size: 1
    .uses_dynamic_stack: false
    .vgpr_count:     0
    .vgpr_spill_count: 0
    .wavefront_size: 64
  - .agpr_count:     0
    .args:
      - .offset:         0
        .size:           136
        .value_kind:     by_value
    .group_segment_fixed_size: 0
    .kernarg_segment_align: 8
    .kernarg_segment_size: 136
    .language:       OpenCL C
    .language_version:
      - 2
      - 0
    .max_flat_workgroup_size: 512
    .name:           _ZN7rocprim17ROCPRIM_400000_NS6detail17trampoline_kernelINS0_14default_configENS1_25partition_config_selectorILNS1_17partition_subalgoE9EllbEEZZNS1_14partition_implILS5_9ELb0ES3_jPlS8_PNS0_10empty_typeENS0_5tupleIJS8_S9_EEENSB_IJS8_SA_EEENS0_18inequality_wrapperIZN2at6native12_GLOBAL__N_124unique_dim_cuda_templateItEESt5tupleIJNSF_6TensorESK_SK_EERKSK_lbbbEUlllE0_EEPmJS9_EEE10hipError_tPvRmT3_T4_T5_T6_T7_T9_mT8_P12ihipStream_tbDpT10_ENKUlT_T0_E_clISt17integral_constantIbLb0EES19_IbLb1EEEEDaS15_S16_EUlS15_E_NS1_11comp_targetILNS1_3genE8ELNS1_11target_archE1030ELNS1_3gpuE2ELNS1_3repE0EEENS1_30default_config_static_selectorELNS0_4arch9wavefront6targetE1EEEvT1_
    .private_segment_fixed_size: 0
    .sgpr_count:     6
    .sgpr_spill_count: 0
    .symbol:         _ZN7rocprim17ROCPRIM_400000_NS6detail17trampoline_kernelINS0_14default_configENS1_25partition_config_selectorILNS1_17partition_subalgoE9EllbEEZZNS1_14partition_implILS5_9ELb0ES3_jPlS8_PNS0_10empty_typeENS0_5tupleIJS8_S9_EEENSB_IJS8_SA_EEENS0_18inequality_wrapperIZN2at6native12_GLOBAL__N_124unique_dim_cuda_templateItEESt5tupleIJNSF_6TensorESK_SK_EERKSK_lbbbEUlllE0_EEPmJS9_EEE10hipError_tPvRmT3_T4_T5_T6_T7_T9_mT8_P12ihipStream_tbDpT10_ENKUlT_T0_E_clISt17integral_constantIbLb0EES19_IbLb1EEEEDaS15_S16_EUlS15_E_NS1_11comp_targetILNS1_3genE8ELNS1_11target_archE1030ELNS1_3gpuE2ELNS1_3repE0EEENS1_30default_config_static_selectorELNS0_4arch9wavefront6targetE1EEEvT1_.kd
    .uniform_work_group_size: 1
    .uses_dynamic_stack: false
    .vgpr_count:     0
    .vgpr_spill_count: 0
    .wavefront_size: 64
  - .agpr_count:     0
    .args:
      - .offset:         0
        .size:           72
        .value_kind:     by_value
      - .offset:         72
        .size:           4
        .value_kind:     hidden_block_count_x
      - .offset:         76
        .size:           4
        .value_kind:     hidden_block_count_y
      - .offset:         80
        .size:           4
        .value_kind:     hidden_block_count_z
      - .offset:         84
        .size:           2
        .value_kind:     hidden_group_size_x
      - .offset:         86
        .size:           2
        .value_kind:     hidden_group_size_y
      - .offset:         88
        .size:           2
        .value_kind:     hidden_group_size_z
      - .offset:         90
        .size:           2
        .value_kind:     hidden_remainder_x
      - .offset:         92
        .size:           2
        .value_kind:     hidden_remainder_y
      - .offset:         94
        .size:           2
        .value_kind:     hidden_remainder_z
      - .offset:         112
        .size:           8
        .value_kind:     hidden_global_offset_x
      - .offset:         120
        .size:           8
        .value_kind:     hidden_global_offset_y
      - .offset:         128
        .size:           8
        .value_kind:     hidden_global_offset_z
      - .offset:         136
        .size:           2
        .value_kind:     hidden_grid_dims
    .group_segment_fixed_size: 16896
    .kernarg_segment_align: 8
    .kernarg_segment_size: 328
    .language:       OpenCL C
    .language_version:
      - 2
      - 0
    .max_flat_workgroup_size: 256
    .name:           _ZN7rocprim17ROCPRIM_400000_NS6detail17trampoline_kernelINS0_14default_configENS1_37merge_sort_block_sort_config_selectorIlNS0_10empty_typeEEEZNS1_21merge_sort_block_sortIS3_PlS8_PS5_S9_ZN2at6native12_GLOBAL__N_124unique_dim_cuda_templateIjEESt5tupleIJNSA_6TensorESF_SF_EERKSF_lbbbEUlllE_EE10hipError_tT0_T1_T2_T3_mRjT4_P12ihipStream_tbNS1_7vsmem_tEEUlT_E_NS1_11comp_targetILNS1_3genE0ELNS1_11target_archE4294967295ELNS1_3gpuE0ELNS1_3repE0EEENS1_30default_config_static_selectorELNS0_4arch9wavefront6targetE1EEEvSM_
    .private_segment_fixed_size: 0
    .sgpr_count:     73
    .sgpr_spill_count: 0
    .symbol:         _ZN7rocprim17ROCPRIM_400000_NS6detail17trampoline_kernelINS0_14default_configENS1_37merge_sort_block_sort_config_selectorIlNS0_10empty_typeEEEZNS1_21merge_sort_block_sortIS3_PlS8_PS5_S9_ZN2at6native12_GLOBAL__N_124unique_dim_cuda_templateIjEESt5tupleIJNSA_6TensorESF_SF_EERKSF_lbbbEUlllE_EE10hipError_tT0_T1_T2_T3_mRjT4_P12ihipStream_tbNS1_7vsmem_tEEUlT_E_NS1_11comp_targetILNS1_3genE0ELNS1_11target_archE4294967295ELNS1_3gpuE0ELNS1_3repE0EEENS1_30default_config_static_selectorELNS0_4arch9wavefront6targetE1EEEvSM_.kd
    .uniform_work_group_size: 1
    .uses_dynamic_stack: false
    .vgpr_count:     55
    .vgpr_spill_count: 0
    .wavefront_size: 64
  - .agpr_count:     0
    .args:
      - .offset:         0
        .size:           72
        .value_kind:     by_value
    .group_segment_fixed_size: 0
    .kernarg_segment_align: 8
    .kernarg_segment_size: 72
    .language:       OpenCL C
    .language_version:
      - 2
      - 0
    .max_flat_workgroup_size: 256
    .name:           _ZN7rocprim17ROCPRIM_400000_NS6detail17trampoline_kernelINS0_14default_configENS1_37merge_sort_block_sort_config_selectorIlNS0_10empty_typeEEEZNS1_21merge_sort_block_sortIS3_PlS8_PS5_S9_ZN2at6native12_GLOBAL__N_124unique_dim_cuda_templateIjEESt5tupleIJNSA_6TensorESF_SF_EERKSF_lbbbEUlllE_EE10hipError_tT0_T1_T2_T3_mRjT4_P12ihipStream_tbNS1_7vsmem_tEEUlT_E_NS1_11comp_targetILNS1_3genE5ELNS1_11target_archE942ELNS1_3gpuE9ELNS1_3repE0EEENS1_30default_config_static_selectorELNS0_4arch9wavefront6targetE1EEEvSM_
    .private_segment_fixed_size: 0
    .sgpr_count:     6
    .sgpr_spill_count: 0
    .symbol:         _ZN7rocprim17ROCPRIM_400000_NS6detail17trampoline_kernelINS0_14default_configENS1_37merge_sort_block_sort_config_selectorIlNS0_10empty_typeEEEZNS1_21merge_sort_block_sortIS3_PlS8_PS5_S9_ZN2at6native12_GLOBAL__N_124unique_dim_cuda_templateIjEESt5tupleIJNSA_6TensorESF_SF_EERKSF_lbbbEUlllE_EE10hipError_tT0_T1_T2_T3_mRjT4_P12ihipStream_tbNS1_7vsmem_tEEUlT_E_NS1_11comp_targetILNS1_3genE5ELNS1_11target_archE942ELNS1_3gpuE9ELNS1_3repE0EEENS1_30default_config_static_selectorELNS0_4arch9wavefront6targetE1EEEvSM_.kd
    .uniform_work_group_size: 1
    .uses_dynamic_stack: false
    .vgpr_count:     0
    .vgpr_spill_count: 0
    .wavefront_size: 64
  - .agpr_count:     0
    .args:
      - .offset:         0
        .size:           72
        .value_kind:     by_value
    .group_segment_fixed_size: 0
    .kernarg_segment_align: 8
    .kernarg_segment_size: 72
    .language:       OpenCL C
    .language_version:
      - 2
      - 0
    .max_flat_workgroup_size: 256
    .name:           _ZN7rocprim17ROCPRIM_400000_NS6detail17trampoline_kernelINS0_14default_configENS1_37merge_sort_block_sort_config_selectorIlNS0_10empty_typeEEEZNS1_21merge_sort_block_sortIS3_PlS8_PS5_S9_ZN2at6native12_GLOBAL__N_124unique_dim_cuda_templateIjEESt5tupleIJNSA_6TensorESF_SF_EERKSF_lbbbEUlllE_EE10hipError_tT0_T1_T2_T3_mRjT4_P12ihipStream_tbNS1_7vsmem_tEEUlT_E_NS1_11comp_targetILNS1_3genE4ELNS1_11target_archE910ELNS1_3gpuE8ELNS1_3repE0EEENS1_30default_config_static_selectorELNS0_4arch9wavefront6targetE1EEEvSM_
    .private_segment_fixed_size: 0
    .sgpr_count:     6
    .sgpr_spill_count: 0
    .symbol:         _ZN7rocprim17ROCPRIM_400000_NS6detail17trampoline_kernelINS0_14default_configENS1_37merge_sort_block_sort_config_selectorIlNS0_10empty_typeEEEZNS1_21merge_sort_block_sortIS3_PlS8_PS5_S9_ZN2at6native12_GLOBAL__N_124unique_dim_cuda_templateIjEESt5tupleIJNSA_6TensorESF_SF_EERKSF_lbbbEUlllE_EE10hipError_tT0_T1_T2_T3_mRjT4_P12ihipStream_tbNS1_7vsmem_tEEUlT_E_NS1_11comp_targetILNS1_3genE4ELNS1_11target_archE910ELNS1_3gpuE8ELNS1_3repE0EEENS1_30default_config_static_selectorELNS0_4arch9wavefront6targetE1EEEvSM_.kd
    .uniform_work_group_size: 1
    .uses_dynamic_stack: false
    .vgpr_count:     0
    .vgpr_spill_count: 0
    .wavefront_size: 64
  - .agpr_count:     0
    .args:
      - .offset:         0
        .size:           72
        .value_kind:     by_value
    .group_segment_fixed_size: 0
    .kernarg_segment_align: 8
    .kernarg_segment_size: 72
    .language:       OpenCL C
    .language_version:
      - 2
      - 0
    .max_flat_workgroup_size: 256
    .name:           _ZN7rocprim17ROCPRIM_400000_NS6detail17trampoline_kernelINS0_14default_configENS1_37merge_sort_block_sort_config_selectorIlNS0_10empty_typeEEEZNS1_21merge_sort_block_sortIS3_PlS8_PS5_S9_ZN2at6native12_GLOBAL__N_124unique_dim_cuda_templateIjEESt5tupleIJNSA_6TensorESF_SF_EERKSF_lbbbEUlllE_EE10hipError_tT0_T1_T2_T3_mRjT4_P12ihipStream_tbNS1_7vsmem_tEEUlT_E_NS1_11comp_targetILNS1_3genE3ELNS1_11target_archE908ELNS1_3gpuE7ELNS1_3repE0EEENS1_30default_config_static_selectorELNS0_4arch9wavefront6targetE1EEEvSM_
    .private_segment_fixed_size: 0
    .sgpr_count:     6
    .sgpr_spill_count: 0
    .symbol:         _ZN7rocprim17ROCPRIM_400000_NS6detail17trampoline_kernelINS0_14default_configENS1_37merge_sort_block_sort_config_selectorIlNS0_10empty_typeEEEZNS1_21merge_sort_block_sortIS3_PlS8_PS5_S9_ZN2at6native12_GLOBAL__N_124unique_dim_cuda_templateIjEESt5tupleIJNSA_6TensorESF_SF_EERKSF_lbbbEUlllE_EE10hipError_tT0_T1_T2_T3_mRjT4_P12ihipStream_tbNS1_7vsmem_tEEUlT_E_NS1_11comp_targetILNS1_3genE3ELNS1_11target_archE908ELNS1_3gpuE7ELNS1_3repE0EEENS1_30default_config_static_selectorELNS0_4arch9wavefront6targetE1EEEvSM_.kd
    .uniform_work_group_size: 1
    .uses_dynamic_stack: false
    .vgpr_count:     0
    .vgpr_spill_count: 0
    .wavefront_size: 64
  - .agpr_count:     0
    .args:
      - .offset:         0
        .size:           72
        .value_kind:     by_value
    .group_segment_fixed_size: 0
    .kernarg_segment_align: 8
    .kernarg_segment_size: 72
    .language:       OpenCL C
    .language_version:
      - 2
      - 0
    .max_flat_workgroup_size: 256
    .name:           _ZN7rocprim17ROCPRIM_400000_NS6detail17trampoline_kernelINS0_14default_configENS1_37merge_sort_block_sort_config_selectorIlNS0_10empty_typeEEEZNS1_21merge_sort_block_sortIS3_PlS8_PS5_S9_ZN2at6native12_GLOBAL__N_124unique_dim_cuda_templateIjEESt5tupleIJNSA_6TensorESF_SF_EERKSF_lbbbEUlllE_EE10hipError_tT0_T1_T2_T3_mRjT4_P12ihipStream_tbNS1_7vsmem_tEEUlT_E_NS1_11comp_targetILNS1_3genE2ELNS1_11target_archE906ELNS1_3gpuE6ELNS1_3repE0EEENS1_30default_config_static_selectorELNS0_4arch9wavefront6targetE1EEEvSM_
    .private_segment_fixed_size: 0
    .sgpr_count:     6
    .sgpr_spill_count: 0
    .symbol:         _ZN7rocprim17ROCPRIM_400000_NS6detail17trampoline_kernelINS0_14default_configENS1_37merge_sort_block_sort_config_selectorIlNS0_10empty_typeEEEZNS1_21merge_sort_block_sortIS3_PlS8_PS5_S9_ZN2at6native12_GLOBAL__N_124unique_dim_cuda_templateIjEESt5tupleIJNSA_6TensorESF_SF_EERKSF_lbbbEUlllE_EE10hipError_tT0_T1_T2_T3_mRjT4_P12ihipStream_tbNS1_7vsmem_tEEUlT_E_NS1_11comp_targetILNS1_3genE2ELNS1_11target_archE906ELNS1_3gpuE6ELNS1_3repE0EEENS1_30default_config_static_selectorELNS0_4arch9wavefront6targetE1EEEvSM_.kd
    .uniform_work_group_size: 1
    .uses_dynamic_stack: false
    .vgpr_count:     0
    .vgpr_spill_count: 0
    .wavefront_size: 64
  - .agpr_count:     0
    .args:
      - .offset:         0
        .size:           72
        .value_kind:     by_value
    .group_segment_fixed_size: 0
    .kernarg_segment_align: 8
    .kernarg_segment_size: 72
    .language:       OpenCL C
    .language_version:
      - 2
      - 0
    .max_flat_workgroup_size: 256
    .name:           _ZN7rocprim17ROCPRIM_400000_NS6detail17trampoline_kernelINS0_14default_configENS1_37merge_sort_block_sort_config_selectorIlNS0_10empty_typeEEEZNS1_21merge_sort_block_sortIS3_PlS8_PS5_S9_ZN2at6native12_GLOBAL__N_124unique_dim_cuda_templateIjEESt5tupleIJNSA_6TensorESF_SF_EERKSF_lbbbEUlllE_EE10hipError_tT0_T1_T2_T3_mRjT4_P12ihipStream_tbNS1_7vsmem_tEEUlT_E_NS1_11comp_targetILNS1_3genE10ELNS1_11target_archE1201ELNS1_3gpuE5ELNS1_3repE0EEENS1_30default_config_static_selectorELNS0_4arch9wavefront6targetE1EEEvSM_
    .private_segment_fixed_size: 0
    .sgpr_count:     6
    .sgpr_spill_count: 0
    .symbol:         _ZN7rocprim17ROCPRIM_400000_NS6detail17trampoline_kernelINS0_14default_configENS1_37merge_sort_block_sort_config_selectorIlNS0_10empty_typeEEEZNS1_21merge_sort_block_sortIS3_PlS8_PS5_S9_ZN2at6native12_GLOBAL__N_124unique_dim_cuda_templateIjEESt5tupleIJNSA_6TensorESF_SF_EERKSF_lbbbEUlllE_EE10hipError_tT0_T1_T2_T3_mRjT4_P12ihipStream_tbNS1_7vsmem_tEEUlT_E_NS1_11comp_targetILNS1_3genE10ELNS1_11target_archE1201ELNS1_3gpuE5ELNS1_3repE0EEENS1_30default_config_static_selectorELNS0_4arch9wavefront6targetE1EEEvSM_.kd
    .uniform_work_group_size: 1
    .uses_dynamic_stack: false
    .vgpr_count:     0
    .vgpr_spill_count: 0
    .wavefront_size: 64
  - .agpr_count:     0
    .args:
      - .offset:         0
        .size:           72
        .value_kind:     by_value
    .group_segment_fixed_size: 0
    .kernarg_segment_align: 8
    .kernarg_segment_size: 72
    .language:       OpenCL C
    .language_version:
      - 2
      - 0
    .max_flat_workgroup_size: 512
    .name:           _ZN7rocprim17ROCPRIM_400000_NS6detail17trampoline_kernelINS0_14default_configENS1_37merge_sort_block_sort_config_selectorIlNS0_10empty_typeEEEZNS1_21merge_sort_block_sortIS3_PlS8_PS5_S9_ZN2at6native12_GLOBAL__N_124unique_dim_cuda_templateIjEESt5tupleIJNSA_6TensorESF_SF_EERKSF_lbbbEUlllE_EE10hipError_tT0_T1_T2_T3_mRjT4_P12ihipStream_tbNS1_7vsmem_tEEUlT_E_NS1_11comp_targetILNS1_3genE10ELNS1_11target_archE1200ELNS1_3gpuE4ELNS1_3repE0EEENS1_30default_config_static_selectorELNS0_4arch9wavefront6targetE1EEEvSM_
    .private_segment_fixed_size: 0
    .sgpr_count:     6
    .sgpr_spill_count: 0
    .symbol:         _ZN7rocprim17ROCPRIM_400000_NS6detail17trampoline_kernelINS0_14default_configENS1_37merge_sort_block_sort_config_selectorIlNS0_10empty_typeEEEZNS1_21merge_sort_block_sortIS3_PlS8_PS5_S9_ZN2at6native12_GLOBAL__N_124unique_dim_cuda_templateIjEESt5tupleIJNSA_6TensorESF_SF_EERKSF_lbbbEUlllE_EE10hipError_tT0_T1_T2_T3_mRjT4_P12ihipStream_tbNS1_7vsmem_tEEUlT_E_NS1_11comp_targetILNS1_3genE10ELNS1_11target_archE1200ELNS1_3gpuE4ELNS1_3repE0EEENS1_30default_config_static_selectorELNS0_4arch9wavefront6targetE1EEEvSM_.kd
    .uniform_work_group_size: 1
    .uses_dynamic_stack: false
    .vgpr_count:     0
    .vgpr_spill_count: 0
    .wavefront_size: 64
  - .agpr_count:     0
    .args:
      - .offset:         0
        .size:           72
        .value_kind:     by_value
    .group_segment_fixed_size: 0
    .kernarg_segment_align: 8
    .kernarg_segment_size: 72
    .language:       OpenCL C
    .language_version:
      - 2
      - 0
    .max_flat_workgroup_size: 256
    .name:           _ZN7rocprim17ROCPRIM_400000_NS6detail17trampoline_kernelINS0_14default_configENS1_37merge_sort_block_sort_config_selectorIlNS0_10empty_typeEEEZNS1_21merge_sort_block_sortIS3_PlS8_PS5_S9_ZN2at6native12_GLOBAL__N_124unique_dim_cuda_templateIjEESt5tupleIJNSA_6TensorESF_SF_EERKSF_lbbbEUlllE_EE10hipError_tT0_T1_T2_T3_mRjT4_P12ihipStream_tbNS1_7vsmem_tEEUlT_E_NS1_11comp_targetILNS1_3genE9ELNS1_11target_archE1100ELNS1_3gpuE3ELNS1_3repE0EEENS1_30default_config_static_selectorELNS0_4arch9wavefront6targetE1EEEvSM_
    .private_segment_fixed_size: 0
    .sgpr_count:     6
    .sgpr_spill_count: 0
    .symbol:         _ZN7rocprim17ROCPRIM_400000_NS6detail17trampoline_kernelINS0_14default_configENS1_37merge_sort_block_sort_config_selectorIlNS0_10empty_typeEEEZNS1_21merge_sort_block_sortIS3_PlS8_PS5_S9_ZN2at6native12_GLOBAL__N_124unique_dim_cuda_templateIjEESt5tupleIJNSA_6TensorESF_SF_EERKSF_lbbbEUlllE_EE10hipError_tT0_T1_T2_T3_mRjT4_P12ihipStream_tbNS1_7vsmem_tEEUlT_E_NS1_11comp_targetILNS1_3genE9ELNS1_11target_archE1100ELNS1_3gpuE3ELNS1_3repE0EEENS1_30default_config_static_selectorELNS0_4arch9wavefront6targetE1EEEvSM_.kd
    .uniform_work_group_size: 1
    .uses_dynamic_stack: false
    .vgpr_count:     0
    .vgpr_spill_count: 0
    .wavefront_size: 64
  - .agpr_count:     0
    .args:
      - .offset:         0
        .size:           72
        .value_kind:     by_value
    .group_segment_fixed_size: 0
    .kernarg_segment_align: 8
    .kernarg_segment_size: 72
    .language:       OpenCL C
    .language_version:
      - 2
      - 0
    .max_flat_workgroup_size: 256
    .name:           _ZN7rocprim17ROCPRIM_400000_NS6detail17trampoline_kernelINS0_14default_configENS1_37merge_sort_block_sort_config_selectorIlNS0_10empty_typeEEEZNS1_21merge_sort_block_sortIS3_PlS8_PS5_S9_ZN2at6native12_GLOBAL__N_124unique_dim_cuda_templateIjEESt5tupleIJNSA_6TensorESF_SF_EERKSF_lbbbEUlllE_EE10hipError_tT0_T1_T2_T3_mRjT4_P12ihipStream_tbNS1_7vsmem_tEEUlT_E_NS1_11comp_targetILNS1_3genE8ELNS1_11target_archE1030ELNS1_3gpuE2ELNS1_3repE0EEENS1_30default_config_static_selectorELNS0_4arch9wavefront6targetE1EEEvSM_
    .private_segment_fixed_size: 0
    .sgpr_count:     6
    .sgpr_spill_count: 0
    .symbol:         _ZN7rocprim17ROCPRIM_400000_NS6detail17trampoline_kernelINS0_14default_configENS1_37merge_sort_block_sort_config_selectorIlNS0_10empty_typeEEEZNS1_21merge_sort_block_sortIS3_PlS8_PS5_S9_ZN2at6native12_GLOBAL__N_124unique_dim_cuda_templateIjEESt5tupleIJNSA_6TensorESF_SF_EERKSF_lbbbEUlllE_EE10hipError_tT0_T1_T2_T3_mRjT4_P12ihipStream_tbNS1_7vsmem_tEEUlT_E_NS1_11comp_targetILNS1_3genE8ELNS1_11target_archE1030ELNS1_3gpuE2ELNS1_3repE0EEENS1_30default_config_static_selectorELNS0_4arch9wavefront6targetE1EEEvSM_.kd
    .uniform_work_group_size: 1
    .uses_dynamic_stack: false
    .vgpr_count:     0
    .vgpr_spill_count: 0
    .wavefront_size: 64
  - .agpr_count:     0
    .args:
      - .offset:         0
        .size:           56
        .value_kind:     by_value
    .group_segment_fixed_size: 0
    .kernarg_segment_align: 8
    .kernarg_segment_size: 56
    .language:       OpenCL C
    .language_version:
      - 2
      - 0
    .max_flat_workgroup_size: 128
    .name:           _ZN7rocprim17ROCPRIM_400000_NS6detail17trampoline_kernelINS0_14default_configENS1_38merge_sort_block_merge_config_selectorIlNS0_10empty_typeEEEZZNS1_27merge_sort_block_merge_implIS3_PlPS5_mZN2at6native12_GLOBAL__N_124unique_dim_cuda_templateIjEESt5tupleIJNSA_6TensorESF_SF_EERKSF_lbbbEUlllE_EE10hipError_tT0_T1_T2_jT3_P12ihipStream_tbPNSt15iterator_traitsISL_E10value_typeEPNSR_ISM_E10value_typeEPSN_NS1_7vsmem_tEENKUlT_SL_SM_SN_E_clIS8_S8_S9_S9_EESK_S10_SL_SM_SN_EUlS10_E_NS1_11comp_targetILNS1_3genE0ELNS1_11target_archE4294967295ELNS1_3gpuE0ELNS1_3repE0EEENS1_48merge_mergepath_partition_config_static_selectorELNS0_4arch9wavefront6targetE1EEEvSM_
    .private_segment_fixed_size: 0
    .sgpr_count:     38
    .sgpr_spill_count: 0
    .symbol:         _ZN7rocprim17ROCPRIM_400000_NS6detail17trampoline_kernelINS0_14default_configENS1_38merge_sort_block_merge_config_selectorIlNS0_10empty_typeEEEZZNS1_27merge_sort_block_merge_implIS3_PlPS5_mZN2at6native12_GLOBAL__N_124unique_dim_cuda_templateIjEESt5tupleIJNSA_6TensorESF_SF_EERKSF_lbbbEUlllE_EE10hipError_tT0_T1_T2_jT3_P12ihipStream_tbPNSt15iterator_traitsISL_E10value_typeEPNSR_ISM_E10value_typeEPSN_NS1_7vsmem_tEENKUlT_SL_SM_SN_E_clIS8_S8_S9_S9_EESK_S10_SL_SM_SN_EUlS10_E_NS1_11comp_targetILNS1_3genE0ELNS1_11target_archE4294967295ELNS1_3gpuE0ELNS1_3repE0EEENS1_48merge_mergepath_partition_config_static_selectorELNS0_4arch9wavefront6targetE1EEEvSM_.kd
    .uniform_work_group_size: 1
    .uses_dynamic_stack: false
    .vgpr_count:     23
    .vgpr_spill_count: 0
    .wavefront_size: 64
  - .agpr_count:     0
    .args:
      - .offset:         0
        .size:           56
        .value_kind:     by_value
    .group_segment_fixed_size: 0
    .kernarg_segment_align: 8
    .kernarg_segment_size: 56
    .language:       OpenCL C
    .language_version:
      - 2
      - 0
    .max_flat_workgroup_size: 128
    .name:           _ZN7rocprim17ROCPRIM_400000_NS6detail17trampoline_kernelINS0_14default_configENS1_38merge_sort_block_merge_config_selectorIlNS0_10empty_typeEEEZZNS1_27merge_sort_block_merge_implIS3_PlPS5_mZN2at6native12_GLOBAL__N_124unique_dim_cuda_templateIjEESt5tupleIJNSA_6TensorESF_SF_EERKSF_lbbbEUlllE_EE10hipError_tT0_T1_T2_jT3_P12ihipStream_tbPNSt15iterator_traitsISL_E10value_typeEPNSR_ISM_E10value_typeEPSN_NS1_7vsmem_tEENKUlT_SL_SM_SN_E_clIS8_S8_S9_S9_EESK_S10_SL_SM_SN_EUlS10_E_NS1_11comp_targetILNS1_3genE10ELNS1_11target_archE1201ELNS1_3gpuE5ELNS1_3repE0EEENS1_48merge_mergepath_partition_config_static_selectorELNS0_4arch9wavefront6targetE1EEEvSM_
    .private_segment_fixed_size: 0
    .sgpr_count:     6
    .sgpr_spill_count: 0
    .symbol:         _ZN7rocprim17ROCPRIM_400000_NS6detail17trampoline_kernelINS0_14default_configENS1_38merge_sort_block_merge_config_selectorIlNS0_10empty_typeEEEZZNS1_27merge_sort_block_merge_implIS3_PlPS5_mZN2at6native12_GLOBAL__N_124unique_dim_cuda_templateIjEESt5tupleIJNSA_6TensorESF_SF_EERKSF_lbbbEUlllE_EE10hipError_tT0_T1_T2_jT3_P12ihipStream_tbPNSt15iterator_traitsISL_E10value_typeEPNSR_ISM_E10value_typeEPSN_NS1_7vsmem_tEENKUlT_SL_SM_SN_E_clIS8_S8_S9_S9_EESK_S10_SL_SM_SN_EUlS10_E_NS1_11comp_targetILNS1_3genE10ELNS1_11target_archE1201ELNS1_3gpuE5ELNS1_3repE0EEENS1_48merge_mergepath_partition_config_static_selectorELNS0_4arch9wavefront6targetE1EEEvSM_.kd
    .uniform_work_group_size: 1
    .uses_dynamic_stack: false
    .vgpr_count:     0
    .vgpr_spill_count: 0
    .wavefront_size: 64
  - .agpr_count:     0
    .args:
      - .offset:         0
        .size:           56
        .value_kind:     by_value
    .group_segment_fixed_size: 0
    .kernarg_segment_align: 8
    .kernarg_segment_size: 56
    .language:       OpenCL C
    .language_version:
      - 2
      - 0
    .max_flat_workgroup_size: 128
    .name:           _ZN7rocprim17ROCPRIM_400000_NS6detail17trampoline_kernelINS0_14default_configENS1_38merge_sort_block_merge_config_selectorIlNS0_10empty_typeEEEZZNS1_27merge_sort_block_merge_implIS3_PlPS5_mZN2at6native12_GLOBAL__N_124unique_dim_cuda_templateIjEESt5tupleIJNSA_6TensorESF_SF_EERKSF_lbbbEUlllE_EE10hipError_tT0_T1_T2_jT3_P12ihipStream_tbPNSt15iterator_traitsISL_E10value_typeEPNSR_ISM_E10value_typeEPSN_NS1_7vsmem_tEENKUlT_SL_SM_SN_E_clIS8_S8_S9_S9_EESK_S10_SL_SM_SN_EUlS10_E_NS1_11comp_targetILNS1_3genE5ELNS1_11target_archE942ELNS1_3gpuE9ELNS1_3repE0EEENS1_48merge_mergepath_partition_config_static_selectorELNS0_4arch9wavefront6targetE1EEEvSM_
    .private_segment_fixed_size: 0
    .sgpr_count:     6
    .sgpr_spill_count: 0
    .symbol:         _ZN7rocprim17ROCPRIM_400000_NS6detail17trampoline_kernelINS0_14default_configENS1_38merge_sort_block_merge_config_selectorIlNS0_10empty_typeEEEZZNS1_27merge_sort_block_merge_implIS3_PlPS5_mZN2at6native12_GLOBAL__N_124unique_dim_cuda_templateIjEESt5tupleIJNSA_6TensorESF_SF_EERKSF_lbbbEUlllE_EE10hipError_tT0_T1_T2_jT3_P12ihipStream_tbPNSt15iterator_traitsISL_E10value_typeEPNSR_ISM_E10value_typeEPSN_NS1_7vsmem_tEENKUlT_SL_SM_SN_E_clIS8_S8_S9_S9_EESK_S10_SL_SM_SN_EUlS10_E_NS1_11comp_targetILNS1_3genE5ELNS1_11target_archE942ELNS1_3gpuE9ELNS1_3repE0EEENS1_48merge_mergepath_partition_config_static_selectorELNS0_4arch9wavefront6targetE1EEEvSM_.kd
    .uniform_work_group_size: 1
    .uses_dynamic_stack: false
    .vgpr_count:     0
    .vgpr_spill_count: 0
    .wavefront_size: 64
  - .agpr_count:     0
    .args:
      - .offset:         0
        .size:           56
        .value_kind:     by_value
    .group_segment_fixed_size: 0
    .kernarg_segment_align: 8
    .kernarg_segment_size: 56
    .language:       OpenCL C
    .language_version:
      - 2
      - 0
    .max_flat_workgroup_size: 128
    .name:           _ZN7rocprim17ROCPRIM_400000_NS6detail17trampoline_kernelINS0_14default_configENS1_38merge_sort_block_merge_config_selectorIlNS0_10empty_typeEEEZZNS1_27merge_sort_block_merge_implIS3_PlPS5_mZN2at6native12_GLOBAL__N_124unique_dim_cuda_templateIjEESt5tupleIJNSA_6TensorESF_SF_EERKSF_lbbbEUlllE_EE10hipError_tT0_T1_T2_jT3_P12ihipStream_tbPNSt15iterator_traitsISL_E10value_typeEPNSR_ISM_E10value_typeEPSN_NS1_7vsmem_tEENKUlT_SL_SM_SN_E_clIS8_S8_S9_S9_EESK_S10_SL_SM_SN_EUlS10_E_NS1_11comp_targetILNS1_3genE4ELNS1_11target_archE910ELNS1_3gpuE8ELNS1_3repE0EEENS1_48merge_mergepath_partition_config_static_selectorELNS0_4arch9wavefront6targetE1EEEvSM_
    .private_segment_fixed_size: 0
    .sgpr_count:     6
    .sgpr_spill_count: 0
    .symbol:         _ZN7rocprim17ROCPRIM_400000_NS6detail17trampoline_kernelINS0_14default_configENS1_38merge_sort_block_merge_config_selectorIlNS0_10empty_typeEEEZZNS1_27merge_sort_block_merge_implIS3_PlPS5_mZN2at6native12_GLOBAL__N_124unique_dim_cuda_templateIjEESt5tupleIJNSA_6TensorESF_SF_EERKSF_lbbbEUlllE_EE10hipError_tT0_T1_T2_jT3_P12ihipStream_tbPNSt15iterator_traitsISL_E10value_typeEPNSR_ISM_E10value_typeEPSN_NS1_7vsmem_tEENKUlT_SL_SM_SN_E_clIS8_S8_S9_S9_EESK_S10_SL_SM_SN_EUlS10_E_NS1_11comp_targetILNS1_3genE4ELNS1_11target_archE910ELNS1_3gpuE8ELNS1_3repE0EEENS1_48merge_mergepath_partition_config_static_selectorELNS0_4arch9wavefront6targetE1EEEvSM_.kd
    .uniform_work_group_size: 1
    .uses_dynamic_stack: false
    .vgpr_count:     0
    .vgpr_spill_count: 0
    .wavefront_size: 64
  - .agpr_count:     0
    .args:
      - .offset:         0
        .size:           56
        .value_kind:     by_value
    .group_segment_fixed_size: 0
    .kernarg_segment_align: 8
    .kernarg_segment_size: 56
    .language:       OpenCL C
    .language_version:
      - 2
      - 0
    .max_flat_workgroup_size: 128
    .name:           _ZN7rocprim17ROCPRIM_400000_NS6detail17trampoline_kernelINS0_14default_configENS1_38merge_sort_block_merge_config_selectorIlNS0_10empty_typeEEEZZNS1_27merge_sort_block_merge_implIS3_PlPS5_mZN2at6native12_GLOBAL__N_124unique_dim_cuda_templateIjEESt5tupleIJNSA_6TensorESF_SF_EERKSF_lbbbEUlllE_EE10hipError_tT0_T1_T2_jT3_P12ihipStream_tbPNSt15iterator_traitsISL_E10value_typeEPNSR_ISM_E10value_typeEPSN_NS1_7vsmem_tEENKUlT_SL_SM_SN_E_clIS8_S8_S9_S9_EESK_S10_SL_SM_SN_EUlS10_E_NS1_11comp_targetILNS1_3genE3ELNS1_11target_archE908ELNS1_3gpuE7ELNS1_3repE0EEENS1_48merge_mergepath_partition_config_static_selectorELNS0_4arch9wavefront6targetE1EEEvSM_
    .private_segment_fixed_size: 0
    .sgpr_count:     6
    .sgpr_spill_count: 0
    .symbol:         _ZN7rocprim17ROCPRIM_400000_NS6detail17trampoline_kernelINS0_14default_configENS1_38merge_sort_block_merge_config_selectorIlNS0_10empty_typeEEEZZNS1_27merge_sort_block_merge_implIS3_PlPS5_mZN2at6native12_GLOBAL__N_124unique_dim_cuda_templateIjEESt5tupleIJNSA_6TensorESF_SF_EERKSF_lbbbEUlllE_EE10hipError_tT0_T1_T2_jT3_P12ihipStream_tbPNSt15iterator_traitsISL_E10value_typeEPNSR_ISM_E10value_typeEPSN_NS1_7vsmem_tEENKUlT_SL_SM_SN_E_clIS8_S8_S9_S9_EESK_S10_SL_SM_SN_EUlS10_E_NS1_11comp_targetILNS1_3genE3ELNS1_11target_archE908ELNS1_3gpuE7ELNS1_3repE0EEENS1_48merge_mergepath_partition_config_static_selectorELNS0_4arch9wavefront6targetE1EEEvSM_.kd
    .uniform_work_group_size: 1
    .uses_dynamic_stack: false
    .vgpr_count:     0
    .vgpr_spill_count: 0
    .wavefront_size: 64
  - .agpr_count:     0
    .args:
      - .offset:         0
        .size:           56
        .value_kind:     by_value
    .group_segment_fixed_size: 0
    .kernarg_segment_align: 8
    .kernarg_segment_size: 56
    .language:       OpenCL C
    .language_version:
      - 2
      - 0
    .max_flat_workgroup_size: 128
    .name:           _ZN7rocprim17ROCPRIM_400000_NS6detail17trampoline_kernelINS0_14default_configENS1_38merge_sort_block_merge_config_selectorIlNS0_10empty_typeEEEZZNS1_27merge_sort_block_merge_implIS3_PlPS5_mZN2at6native12_GLOBAL__N_124unique_dim_cuda_templateIjEESt5tupleIJNSA_6TensorESF_SF_EERKSF_lbbbEUlllE_EE10hipError_tT0_T1_T2_jT3_P12ihipStream_tbPNSt15iterator_traitsISL_E10value_typeEPNSR_ISM_E10value_typeEPSN_NS1_7vsmem_tEENKUlT_SL_SM_SN_E_clIS8_S8_S9_S9_EESK_S10_SL_SM_SN_EUlS10_E_NS1_11comp_targetILNS1_3genE2ELNS1_11target_archE906ELNS1_3gpuE6ELNS1_3repE0EEENS1_48merge_mergepath_partition_config_static_selectorELNS0_4arch9wavefront6targetE1EEEvSM_
    .private_segment_fixed_size: 0
    .sgpr_count:     6
    .sgpr_spill_count: 0
    .symbol:         _ZN7rocprim17ROCPRIM_400000_NS6detail17trampoline_kernelINS0_14default_configENS1_38merge_sort_block_merge_config_selectorIlNS0_10empty_typeEEEZZNS1_27merge_sort_block_merge_implIS3_PlPS5_mZN2at6native12_GLOBAL__N_124unique_dim_cuda_templateIjEESt5tupleIJNSA_6TensorESF_SF_EERKSF_lbbbEUlllE_EE10hipError_tT0_T1_T2_jT3_P12ihipStream_tbPNSt15iterator_traitsISL_E10value_typeEPNSR_ISM_E10value_typeEPSN_NS1_7vsmem_tEENKUlT_SL_SM_SN_E_clIS8_S8_S9_S9_EESK_S10_SL_SM_SN_EUlS10_E_NS1_11comp_targetILNS1_3genE2ELNS1_11target_archE906ELNS1_3gpuE6ELNS1_3repE0EEENS1_48merge_mergepath_partition_config_static_selectorELNS0_4arch9wavefront6targetE1EEEvSM_.kd
    .uniform_work_group_size: 1
    .uses_dynamic_stack: false
    .vgpr_count:     0
    .vgpr_spill_count: 0
    .wavefront_size: 64
  - .agpr_count:     0
    .args:
      - .offset:         0
        .size:           56
        .value_kind:     by_value
    .group_segment_fixed_size: 0
    .kernarg_segment_align: 8
    .kernarg_segment_size: 56
    .language:       OpenCL C
    .language_version:
      - 2
      - 0
    .max_flat_workgroup_size: 128
    .name:           _ZN7rocprim17ROCPRIM_400000_NS6detail17trampoline_kernelINS0_14default_configENS1_38merge_sort_block_merge_config_selectorIlNS0_10empty_typeEEEZZNS1_27merge_sort_block_merge_implIS3_PlPS5_mZN2at6native12_GLOBAL__N_124unique_dim_cuda_templateIjEESt5tupleIJNSA_6TensorESF_SF_EERKSF_lbbbEUlllE_EE10hipError_tT0_T1_T2_jT3_P12ihipStream_tbPNSt15iterator_traitsISL_E10value_typeEPNSR_ISM_E10value_typeEPSN_NS1_7vsmem_tEENKUlT_SL_SM_SN_E_clIS8_S8_S9_S9_EESK_S10_SL_SM_SN_EUlS10_E_NS1_11comp_targetILNS1_3genE9ELNS1_11target_archE1100ELNS1_3gpuE3ELNS1_3repE0EEENS1_48merge_mergepath_partition_config_static_selectorELNS0_4arch9wavefront6targetE1EEEvSM_
    .private_segment_fixed_size: 0
    .sgpr_count:     6
    .sgpr_spill_count: 0
    .symbol:         _ZN7rocprim17ROCPRIM_400000_NS6detail17trampoline_kernelINS0_14default_configENS1_38merge_sort_block_merge_config_selectorIlNS0_10empty_typeEEEZZNS1_27merge_sort_block_merge_implIS3_PlPS5_mZN2at6native12_GLOBAL__N_124unique_dim_cuda_templateIjEESt5tupleIJNSA_6TensorESF_SF_EERKSF_lbbbEUlllE_EE10hipError_tT0_T1_T2_jT3_P12ihipStream_tbPNSt15iterator_traitsISL_E10value_typeEPNSR_ISM_E10value_typeEPSN_NS1_7vsmem_tEENKUlT_SL_SM_SN_E_clIS8_S8_S9_S9_EESK_S10_SL_SM_SN_EUlS10_E_NS1_11comp_targetILNS1_3genE9ELNS1_11target_archE1100ELNS1_3gpuE3ELNS1_3repE0EEENS1_48merge_mergepath_partition_config_static_selectorELNS0_4arch9wavefront6targetE1EEEvSM_.kd
    .uniform_work_group_size: 1
    .uses_dynamic_stack: false
    .vgpr_count:     0
    .vgpr_spill_count: 0
    .wavefront_size: 64
  - .agpr_count:     0
    .args:
      - .offset:         0
        .size:           56
        .value_kind:     by_value
    .group_segment_fixed_size: 0
    .kernarg_segment_align: 8
    .kernarg_segment_size: 56
    .language:       OpenCL C
    .language_version:
      - 2
      - 0
    .max_flat_workgroup_size: 128
    .name:           _ZN7rocprim17ROCPRIM_400000_NS6detail17trampoline_kernelINS0_14default_configENS1_38merge_sort_block_merge_config_selectorIlNS0_10empty_typeEEEZZNS1_27merge_sort_block_merge_implIS3_PlPS5_mZN2at6native12_GLOBAL__N_124unique_dim_cuda_templateIjEESt5tupleIJNSA_6TensorESF_SF_EERKSF_lbbbEUlllE_EE10hipError_tT0_T1_T2_jT3_P12ihipStream_tbPNSt15iterator_traitsISL_E10value_typeEPNSR_ISM_E10value_typeEPSN_NS1_7vsmem_tEENKUlT_SL_SM_SN_E_clIS8_S8_S9_S9_EESK_S10_SL_SM_SN_EUlS10_E_NS1_11comp_targetILNS1_3genE8ELNS1_11target_archE1030ELNS1_3gpuE2ELNS1_3repE0EEENS1_48merge_mergepath_partition_config_static_selectorELNS0_4arch9wavefront6targetE1EEEvSM_
    .private_segment_fixed_size: 0
    .sgpr_count:     6
    .sgpr_spill_count: 0
    .symbol:         _ZN7rocprim17ROCPRIM_400000_NS6detail17trampoline_kernelINS0_14default_configENS1_38merge_sort_block_merge_config_selectorIlNS0_10empty_typeEEEZZNS1_27merge_sort_block_merge_implIS3_PlPS5_mZN2at6native12_GLOBAL__N_124unique_dim_cuda_templateIjEESt5tupleIJNSA_6TensorESF_SF_EERKSF_lbbbEUlllE_EE10hipError_tT0_T1_T2_jT3_P12ihipStream_tbPNSt15iterator_traitsISL_E10value_typeEPNSR_ISM_E10value_typeEPSN_NS1_7vsmem_tEENKUlT_SL_SM_SN_E_clIS8_S8_S9_S9_EESK_S10_SL_SM_SN_EUlS10_E_NS1_11comp_targetILNS1_3genE8ELNS1_11target_archE1030ELNS1_3gpuE2ELNS1_3repE0EEENS1_48merge_mergepath_partition_config_static_selectorELNS0_4arch9wavefront6targetE1EEEvSM_.kd
    .uniform_work_group_size: 1
    .uses_dynamic_stack: false
    .vgpr_count:     0
    .vgpr_spill_count: 0
    .wavefront_size: 64
  - .agpr_count:     0
    .args:
      - .offset:         0
        .size:           88
        .value_kind:     by_value
      - .offset:         88
        .size:           4
        .value_kind:     hidden_block_count_x
      - .offset:         92
        .size:           4
        .value_kind:     hidden_block_count_y
      - .offset:         96
        .size:           4
        .value_kind:     hidden_block_count_z
      - .offset:         100
        .size:           2
        .value_kind:     hidden_group_size_x
      - .offset:         102
        .size:           2
        .value_kind:     hidden_group_size_y
      - .offset:         104
        .size:           2
        .value_kind:     hidden_group_size_z
      - .offset:         106
        .size:           2
        .value_kind:     hidden_remainder_x
      - .offset:         108
        .size:           2
        .value_kind:     hidden_remainder_y
      - .offset:         110
        .size:           2
        .value_kind:     hidden_remainder_z
      - .offset:         128
        .size:           8
        .value_kind:     hidden_global_offset_x
      - .offset:         136
        .size:           8
        .value_kind:     hidden_global_offset_y
      - .offset:         144
        .size:           8
        .value_kind:     hidden_global_offset_z
      - .offset:         152
        .size:           2
        .value_kind:     hidden_grid_dims
    .group_segment_fixed_size: 8448
    .kernarg_segment_align: 8
    .kernarg_segment_size: 344
    .language:       OpenCL C
    .language_version:
      - 2
      - 0
    .max_flat_workgroup_size: 128
    .name:           _ZN7rocprim17ROCPRIM_400000_NS6detail17trampoline_kernelINS0_14default_configENS1_38merge_sort_block_merge_config_selectorIlNS0_10empty_typeEEEZZNS1_27merge_sort_block_merge_implIS3_PlPS5_mZN2at6native12_GLOBAL__N_124unique_dim_cuda_templateIjEESt5tupleIJNSA_6TensorESF_SF_EERKSF_lbbbEUlllE_EE10hipError_tT0_T1_T2_jT3_P12ihipStream_tbPNSt15iterator_traitsISL_E10value_typeEPNSR_ISM_E10value_typeEPSN_NS1_7vsmem_tEENKUlT_SL_SM_SN_E_clIS8_S8_S9_S9_EESK_S10_SL_SM_SN_EUlS10_E0_NS1_11comp_targetILNS1_3genE0ELNS1_11target_archE4294967295ELNS1_3gpuE0ELNS1_3repE0EEENS1_38merge_mergepath_config_static_selectorELNS0_4arch9wavefront6targetE1EEEvSM_
    .private_segment_fixed_size: 0
    .sgpr_count:     58
    .sgpr_spill_count: 0
    .symbol:         _ZN7rocprim17ROCPRIM_400000_NS6detail17trampoline_kernelINS0_14default_configENS1_38merge_sort_block_merge_config_selectorIlNS0_10empty_typeEEEZZNS1_27merge_sort_block_merge_implIS3_PlPS5_mZN2at6native12_GLOBAL__N_124unique_dim_cuda_templateIjEESt5tupleIJNSA_6TensorESF_SF_EERKSF_lbbbEUlllE_EE10hipError_tT0_T1_T2_jT3_P12ihipStream_tbPNSt15iterator_traitsISL_E10value_typeEPNSR_ISM_E10value_typeEPSN_NS1_7vsmem_tEENKUlT_SL_SM_SN_E_clIS8_S8_S9_S9_EESK_S10_SL_SM_SN_EUlS10_E0_NS1_11comp_targetILNS1_3genE0ELNS1_11target_archE4294967295ELNS1_3gpuE0ELNS1_3repE0EEENS1_38merge_mergepath_config_static_selectorELNS0_4arch9wavefront6targetE1EEEvSM_.kd
    .uniform_work_group_size: 1
    .uses_dynamic_stack: false
    .vgpr_count:     38
    .vgpr_spill_count: 0
    .wavefront_size: 64
  - .agpr_count:     0
    .args:
      - .offset:         0
        .size:           88
        .value_kind:     by_value
    .group_segment_fixed_size: 0
    .kernarg_segment_align: 8
    .kernarg_segment_size: 88
    .language:       OpenCL C
    .language_version:
      - 2
      - 0
    .max_flat_workgroup_size: 512
    .name:           _ZN7rocprim17ROCPRIM_400000_NS6detail17trampoline_kernelINS0_14default_configENS1_38merge_sort_block_merge_config_selectorIlNS0_10empty_typeEEEZZNS1_27merge_sort_block_merge_implIS3_PlPS5_mZN2at6native12_GLOBAL__N_124unique_dim_cuda_templateIjEESt5tupleIJNSA_6TensorESF_SF_EERKSF_lbbbEUlllE_EE10hipError_tT0_T1_T2_jT3_P12ihipStream_tbPNSt15iterator_traitsISL_E10value_typeEPNSR_ISM_E10value_typeEPSN_NS1_7vsmem_tEENKUlT_SL_SM_SN_E_clIS8_S8_S9_S9_EESK_S10_SL_SM_SN_EUlS10_E0_NS1_11comp_targetILNS1_3genE10ELNS1_11target_archE1201ELNS1_3gpuE5ELNS1_3repE0EEENS1_38merge_mergepath_config_static_selectorELNS0_4arch9wavefront6targetE1EEEvSM_
    .private_segment_fixed_size: 0
    .sgpr_count:     6
    .sgpr_spill_count: 0
    .symbol:         _ZN7rocprim17ROCPRIM_400000_NS6detail17trampoline_kernelINS0_14default_configENS1_38merge_sort_block_merge_config_selectorIlNS0_10empty_typeEEEZZNS1_27merge_sort_block_merge_implIS3_PlPS5_mZN2at6native12_GLOBAL__N_124unique_dim_cuda_templateIjEESt5tupleIJNSA_6TensorESF_SF_EERKSF_lbbbEUlllE_EE10hipError_tT0_T1_T2_jT3_P12ihipStream_tbPNSt15iterator_traitsISL_E10value_typeEPNSR_ISM_E10value_typeEPSN_NS1_7vsmem_tEENKUlT_SL_SM_SN_E_clIS8_S8_S9_S9_EESK_S10_SL_SM_SN_EUlS10_E0_NS1_11comp_targetILNS1_3genE10ELNS1_11target_archE1201ELNS1_3gpuE5ELNS1_3repE0EEENS1_38merge_mergepath_config_static_selectorELNS0_4arch9wavefront6targetE1EEEvSM_.kd
    .uniform_work_group_size: 1
    .uses_dynamic_stack: false
    .vgpr_count:     0
    .vgpr_spill_count: 0
    .wavefront_size: 64
  - .agpr_count:     0
    .args:
      - .offset:         0
        .size:           88
        .value_kind:     by_value
    .group_segment_fixed_size: 0
    .kernarg_segment_align: 8
    .kernarg_segment_size: 88
    .language:       OpenCL C
    .language_version:
      - 2
      - 0
    .max_flat_workgroup_size: 128
    .name:           _ZN7rocprim17ROCPRIM_400000_NS6detail17trampoline_kernelINS0_14default_configENS1_38merge_sort_block_merge_config_selectorIlNS0_10empty_typeEEEZZNS1_27merge_sort_block_merge_implIS3_PlPS5_mZN2at6native12_GLOBAL__N_124unique_dim_cuda_templateIjEESt5tupleIJNSA_6TensorESF_SF_EERKSF_lbbbEUlllE_EE10hipError_tT0_T1_T2_jT3_P12ihipStream_tbPNSt15iterator_traitsISL_E10value_typeEPNSR_ISM_E10value_typeEPSN_NS1_7vsmem_tEENKUlT_SL_SM_SN_E_clIS8_S8_S9_S9_EESK_S10_SL_SM_SN_EUlS10_E0_NS1_11comp_targetILNS1_3genE5ELNS1_11target_archE942ELNS1_3gpuE9ELNS1_3repE0EEENS1_38merge_mergepath_config_static_selectorELNS0_4arch9wavefront6targetE1EEEvSM_
    .private_segment_fixed_size: 0
    .sgpr_count:     6
    .sgpr_spill_count: 0
    .symbol:         _ZN7rocprim17ROCPRIM_400000_NS6detail17trampoline_kernelINS0_14default_configENS1_38merge_sort_block_merge_config_selectorIlNS0_10empty_typeEEEZZNS1_27merge_sort_block_merge_implIS3_PlPS5_mZN2at6native12_GLOBAL__N_124unique_dim_cuda_templateIjEESt5tupleIJNSA_6TensorESF_SF_EERKSF_lbbbEUlllE_EE10hipError_tT0_T1_T2_jT3_P12ihipStream_tbPNSt15iterator_traitsISL_E10value_typeEPNSR_ISM_E10value_typeEPSN_NS1_7vsmem_tEENKUlT_SL_SM_SN_E_clIS8_S8_S9_S9_EESK_S10_SL_SM_SN_EUlS10_E0_NS1_11comp_targetILNS1_3genE5ELNS1_11target_archE942ELNS1_3gpuE9ELNS1_3repE0EEENS1_38merge_mergepath_config_static_selectorELNS0_4arch9wavefront6targetE1EEEvSM_.kd
    .uniform_work_group_size: 1
    .uses_dynamic_stack: false
    .vgpr_count:     0
    .vgpr_spill_count: 0
    .wavefront_size: 64
  - .agpr_count:     0
    .args:
      - .offset:         0
        .size:           88
        .value_kind:     by_value
    .group_segment_fixed_size: 0
    .kernarg_segment_align: 8
    .kernarg_segment_size: 88
    .language:       OpenCL C
    .language_version:
      - 2
      - 0
    .max_flat_workgroup_size: 256
    .name:           _ZN7rocprim17ROCPRIM_400000_NS6detail17trampoline_kernelINS0_14default_configENS1_38merge_sort_block_merge_config_selectorIlNS0_10empty_typeEEEZZNS1_27merge_sort_block_merge_implIS3_PlPS5_mZN2at6native12_GLOBAL__N_124unique_dim_cuda_templateIjEESt5tupleIJNSA_6TensorESF_SF_EERKSF_lbbbEUlllE_EE10hipError_tT0_T1_T2_jT3_P12ihipStream_tbPNSt15iterator_traitsISL_E10value_typeEPNSR_ISM_E10value_typeEPSN_NS1_7vsmem_tEENKUlT_SL_SM_SN_E_clIS8_S8_S9_S9_EESK_S10_SL_SM_SN_EUlS10_E0_NS1_11comp_targetILNS1_3genE4ELNS1_11target_archE910ELNS1_3gpuE8ELNS1_3repE0EEENS1_38merge_mergepath_config_static_selectorELNS0_4arch9wavefront6targetE1EEEvSM_
    .private_segment_fixed_size: 0
    .sgpr_count:     6
    .sgpr_spill_count: 0
    .symbol:         _ZN7rocprim17ROCPRIM_400000_NS6detail17trampoline_kernelINS0_14default_configENS1_38merge_sort_block_merge_config_selectorIlNS0_10empty_typeEEEZZNS1_27merge_sort_block_merge_implIS3_PlPS5_mZN2at6native12_GLOBAL__N_124unique_dim_cuda_templateIjEESt5tupleIJNSA_6TensorESF_SF_EERKSF_lbbbEUlllE_EE10hipError_tT0_T1_T2_jT3_P12ihipStream_tbPNSt15iterator_traitsISL_E10value_typeEPNSR_ISM_E10value_typeEPSN_NS1_7vsmem_tEENKUlT_SL_SM_SN_E_clIS8_S8_S9_S9_EESK_S10_SL_SM_SN_EUlS10_E0_NS1_11comp_targetILNS1_3genE4ELNS1_11target_archE910ELNS1_3gpuE8ELNS1_3repE0EEENS1_38merge_mergepath_config_static_selectorELNS0_4arch9wavefront6targetE1EEEvSM_.kd
    .uniform_work_group_size: 1
    .uses_dynamic_stack: false
    .vgpr_count:     0
    .vgpr_spill_count: 0
    .wavefront_size: 64
  - .agpr_count:     0
    .args:
      - .offset:         0
        .size:           88
        .value_kind:     by_value
    .group_segment_fixed_size: 0
    .kernarg_segment_align: 8
    .kernarg_segment_size: 88
    .language:       OpenCL C
    .language_version:
      - 2
      - 0
    .max_flat_workgroup_size: 128
    .name:           _ZN7rocprim17ROCPRIM_400000_NS6detail17trampoline_kernelINS0_14default_configENS1_38merge_sort_block_merge_config_selectorIlNS0_10empty_typeEEEZZNS1_27merge_sort_block_merge_implIS3_PlPS5_mZN2at6native12_GLOBAL__N_124unique_dim_cuda_templateIjEESt5tupleIJNSA_6TensorESF_SF_EERKSF_lbbbEUlllE_EE10hipError_tT0_T1_T2_jT3_P12ihipStream_tbPNSt15iterator_traitsISL_E10value_typeEPNSR_ISM_E10value_typeEPSN_NS1_7vsmem_tEENKUlT_SL_SM_SN_E_clIS8_S8_S9_S9_EESK_S10_SL_SM_SN_EUlS10_E0_NS1_11comp_targetILNS1_3genE3ELNS1_11target_archE908ELNS1_3gpuE7ELNS1_3repE0EEENS1_38merge_mergepath_config_static_selectorELNS0_4arch9wavefront6targetE1EEEvSM_
    .private_segment_fixed_size: 0
    .sgpr_count:     6
    .sgpr_spill_count: 0
    .symbol:         _ZN7rocprim17ROCPRIM_400000_NS6detail17trampoline_kernelINS0_14default_configENS1_38merge_sort_block_merge_config_selectorIlNS0_10empty_typeEEEZZNS1_27merge_sort_block_merge_implIS3_PlPS5_mZN2at6native12_GLOBAL__N_124unique_dim_cuda_templateIjEESt5tupleIJNSA_6TensorESF_SF_EERKSF_lbbbEUlllE_EE10hipError_tT0_T1_T2_jT3_P12ihipStream_tbPNSt15iterator_traitsISL_E10value_typeEPNSR_ISM_E10value_typeEPSN_NS1_7vsmem_tEENKUlT_SL_SM_SN_E_clIS8_S8_S9_S9_EESK_S10_SL_SM_SN_EUlS10_E0_NS1_11comp_targetILNS1_3genE3ELNS1_11target_archE908ELNS1_3gpuE7ELNS1_3repE0EEENS1_38merge_mergepath_config_static_selectorELNS0_4arch9wavefront6targetE1EEEvSM_.kd
    .uniform_work_group_size: 1
    .uses_dynamic_stack: false
    .vgpr_count:     0
    .vgpr_spill_count: 0
    .wavefront_size: 64
  - .agpr_count:     0
    .args:
      - .offset:         0
        .size:           88
        .value_kind:     by_value
    .group_segment_fixed_size: 0
    .kernarg_segment_align: 8
    .kernarg_segment_size: 88
    .language:       OpenCL C
    .language_version:
      - 2
      - 0
    .max_flat_workgroup_size: 256
    .name:           _ZN7rocprim17ROCPRIM_400000_NS6detail17trampoline_kernelINS0_14default_configENS1_38merge_sort_block_merge_config_selectorIlNS0_10empty_typeEEEZZNS1_27merge_sort_block_merge_implIS3_PlPS5_mZN2at6native12_GLOBAL__N_124unique_dim_cuda_templateIjEESt5tupleIJNSA_6TensorESF_SF_EERKSF_lbbbEUlllE_EE10hipError_tT0_T1_T2_jT3_P12ihipStream_tbPNSt15iterator_traitsISL_E10value_typeEPNSR_ISM_E10value_typeEPSN_NS1_7vsmem_tEENKUlT_SL_SM_SN_E_clIS8_S8_S9_S9_EESK_S10_SL_SM_SN_EUlS10_E0_NS1_11comp_targetILNS1_3genE2ELNS1_11target_archE906ELNS1_3gpuE6ELNS1_3repE0EEENS1_38merge_mergepath_config_static_selectorELNS0_4arch9wavefront6targetE1EEEvSM_
    .private_segment_fixed_size: 0
    .sgpr_count:     6
    .sgpr_spill_count: 0
    .symbol:         _ZN7rocprim17ROCPRIM_400000_NS6detail17trampoline_kernelINS0_14default_configENS1_38merge_sort_block_merge_config_selectorIlNS0_10empty_typeEEEZZNS1_27merge_sort_block_merge_implIS3_PlPS5_mZN2at6native12_GLOBAL__N_124unique_dim_cuda_templateIjEESt5tupleIJNSA_6TensorESF_SF_EERKSF_lbbbEUlllE_EE10hipError_tT0_T1_T2_jT3_P12ihipStream_tbPNSt15iterator_traitsISL_E10value_typeEPNSR_ISM_E10value_typeEPSN_NS1_7vsmem_tEENKUlT_SL_SM_SN_E_clIS8_S8_S9_S9_EESK_S10_SL_SM_SN_EUlS10_E0_NS1_11comp_targetILNS1_3genE2ELNS1_11target_archE906ELNS1_3gpuE6ELNS1_3repE0EEENS1_38merge_mergepath_config_static_selectorELNS0_4arch9wavefront6targetE1EEEvSM_.kd
    .uniform_work_group_size: 1
    .uses_dynamic_stack: false
    .vgpr_count:     0
    .vgpr_spill_count: 0
    .wavefront_size: 64
  - .agpr_count:     0
    .args:
      - .offset:         0
        .size:           88
        .value_kind:     by_value
    .group_segment_fixed_size: 0
    .kernarg_segment_align: 8
    .kernarg_segment_size: 88
    .language:       OpenCL C
    .language_version:
      - 2
      - 0
    .max_flat_workgroup_size: 512
    .name:           _ZN7rocprim17ROCPRIM_400000_NS6detail17trampoline_kernelINS0_14default_configENS1_38merge_sort_block_merge_config_selectorIlNS0_10empty_typeEEEZZNS1_27merge_sort_block_merge_implIS3_PlPS5_mZN2at6native12_GLOBAL__N_124unique_dim_cuda_templateIjEESt5tupleIJNSA_6TensorESF_SF_EERKSF_lbbbEUlllE_EE10hipError_tT0_T1_T2_jT3_P12ihipStream_tbPNSt15iterator_traitsISL_E10value_typeEPNSR_ISM_E10value_typeEPSN_NS1_7vsmem_tEENKUlT_SL_SM_SN_E_clIS8_S8_S9_S9_EESK_S10_SL_SM_SN_EUlS10_E0_NS1_11comp_targetILNS1_3genE9ELNS1_11target_archE1100ELNS1_3gpuE3ELNS1_3repE0EEENS1_38merge_mergepath_config_static_selectorELNS0_4arch9wavefront6targetE1EEEvSM_
    .private_segment_fixed_size: 0
    .sgpr_count:     6
    .sgpr_spill_count: 0
    .symbol:         _ZN7rocprim17ROCPRIM_400000_NS6detail17trampoline_kernelINS0_14default_configENS1_38merge_sort_block_merge_config_selectorIlNS0_10empty_typeEEEZZNS1_27merge_sort_block_merge_implIS3_PlPS5_mZN2at6native12_GLOBAL__N_124unique_dim_cuda_templateIjEESt5tupleIJNSA_6TensorESF_SF_EERKSF_lbbbEUlllE_EE10hipError_tT0_T1_T2_jT3_P12ihipStream_tbPNSt15iterator_traitsISL_E10value_typeEPNSR_ISM_E10value_typeEPSN_NS1_7vsmem_tEENKUlT_SL_SM_SN_E_clIS8_S8_S9_S9_EESK_S10_SL_SM_SN_EUlS10_E0_NS1_11comp_targetILNS1_3genE9ELNS1_11target_archE1100ELNS1_3gpuE3ELNS1_3repE0EEENS1_38merge_mergepath_config_static_selectorELNS0_4arch9wavefront6targetE1EEEvSM_.kd
    .uniform_work_group_size: 1
    .uses_dynamic_stack: false
    .vgpr_count:     0
    .vgpr_spill_count: 0
    .wavefront_size: 64
  - .agpr_count:     0
    .args:
      - .offset:         0
        .size:           88
        .value_kind:     by_value
    .group_segment_fixed_size: 0
    .kernarg_segment_align: 8
    .kernarg_segment_size: 88
    .language:       OpenCL C
    .language_version:
      - 2
      - 0
    .max_flat_workgroup_size: 1024
    .name:           _ZN7rocprim17ROCPRIM_400000_NS6detail17trampoline_kernelINS0_14default_configENS1_38merge_sort_block_merge_config_selectorIlNS0_10empty_typeEEEZZNS1_27merge_sort_block_merge_implIS3_PlPS5_mZN2at6native12_GLOBAL__N_124unique_dim_cuda_templateIjEESt5tupleIJNSA_6TensorESF_SF_EERKSF_lbbbEUlllE_EE10hipError_tT0_T1_T2_jT3_P12ihipStream_tbPNSt15iterator_traitsISL_E10value_typeEPNSR_ISM_E10value_typeEPSN_NS1_7vsmem_tEENKUlT_SL_SM_SN_E_clIS8_S8_S9_S9_EESK_S10_SL_SM_SN_EUlS10_E0_NS1_11comp_targetILNS1_3genE8ELNS1_11target_archE1030ELNS1_3gpuE2ELNS1_3repE0EEENS1_38merge_mergepath_config_static_selectorELNS0_4arch9wavefront6targetE1EEEvSM_
    .private_segment_fixed_size: 0
    .sgpr_count:     6
    .sgpr_spill_count: 0
    .symbol:         _ZN7rocprim17ROCPRIM_400000_NS6detail17trampoline_kernelINS0_14default_configENS1_38merge_sort_block_merge_config_selectorIlNS0_10empty_typeEEEZZNS1_27merge_sort_block_merge_implIS3_PlPS5_mZN2at6native12_GLOBAL__N_124unique_dim_cuda_templateIjEESt5tupleIJNSA_6TensorESF_SF_EERKSF_lbbbEUlllE_EE10hipError_tT0_T1_T2_jT3_P12ihipStream_tbPNSt15iterator_traitsISL_E10value_typeEPNSR_ISM_E10value_typeEPSN_NS1_7vsmem_tEENKUlT_SL_SM_SN_E_clIS8_S8_S9_S9_EESK_S10_SL_SM_SN_EUlS10_E0_NS1_11comp_targetILNS1_3genE8ELNS1_11target_archE1030ELNS1_3gpuE2ELNS1_3repE0EEENS1_38merge_mergepath_config_static_selectorELNS0_4arch9wavefront6targetE1EEEvSM_.kd
    .uniform_work_group_size: 1
    .uses_dynamic_stack: false
    .vgpr_count:     0
    .vgpr_spill_count: 0
    .wavefront_size: 64
  - .agpr_count:     0
    .args:
      - .offset:         0
        .size:           64
        .value_kind:     by_value
    .group_segment_fixed_size: 0
    .kernarg_segment_align: 8
    .kernarg_segment_size: 64
    .language:       OpenCL C
    .language_version:
      - 2
      - 0
    .max_flat_workgroup_size: 256
    .name:           _ZN7rocprim17ROCPRIM_400000_NS6detail17trampoline_kernelINS0_14default_configENS1_38merge_sort_block_merge_config_selectorIlNS0_10empty_typeEEEZZNS1_27merge_sort_block_merge_implIS3_PlPS5_mZN2at6native12_GLOBAL__N_124unique_dim_cuda_templateIjEESt5tupleIJNSA_6TensorESF_SF_EERKSF_lbbbEUlllE_EE10hipError_tT0_T1_T2_jT3_P12ihipStream_tbPNSt15iterator_traitsISL_E10value_typeEPNSR_ISM_E10value_typeEPSN_NS1_7vsmem_tEENKUlT_SL_SM_SN_E_clIS8_S8_S9_S9_EESK_S10_SL_SM_SN_EUlS10_E1_NS1_11comp_targetILNS1_3genE0ELNS1_11target_archE4294967295ELNS1_3gpuE0ELNS1_3repE0EEENS1_36merge_oddeven_config_static_selectorELNS0_4arch9wavefront6targetE1EEEvSM_
    .private_segment_fixed_size: 0
    .sgpr_count:     52
    .sgpr_spill_count: 0
    .symbol:         _ZN7rocprim17ROCPRIM_400000_NS6detail17trampoline_kernelINS0_14default_configENS1_38merge_sort_block_merge_config_selectorIlNS0_10empty_typeEEEZZNS1_27merge_sort_block_merge_implIS3_PlPS5_mZN2at6native12_GLOBAL__N_124unique_dim_cuda_templateIjEESt5tupleIJNSA_6TensorESF_SF_EERKSF_lbbbEUlllE_EE10hipError_tT0_T1_T2_jT3_P12ihipStream_tbPNSt15iterator_traitsISL_E10value_typeEPNSR_ISM_E10value_typeEPSN_NS1_7vsmem_tEENKUlT_SL_SM_SN_E_clIS8_S8_S9_S9_EESK_S10_SL_SM_SN_EUlS10_E1_NS1_11comp_targetILNS1_3genE0ELNS1_11target_archE4294967295ELNS1_3gpuE0ELNS1_3repE0EEENS1_36merge_oddeven_config_static_selectorELNS0_4arch9wavefront6targetE1EEEvSM_.kd
    .uniform_work_group_size: 1
    .uses_dynamic_stack: false
    .vgpr_count:     19
    .vgpr_spill_count: 0
    .wavefront_size: 64
  - .agpr_count:     0
    .args:
      - .offset:         0
        .size:           64
        .value_kind:     by_value
    .group_segment_fixed_size: 0
    .kernarg_segment_align: 8
    .kernarg_segment_size: 64
    .language:       OpenCL C
    .language_version:
      - 2
      - 0
    .max_flat_workgroup_size: 256
    .name:           _ZN7rocprim17ROCPRIM_400000_NS6detail17trampoline_kernelINS0_14default_configENS1_38merge_sort_block_merge_config_selectorIlNS0_10empty_typeEEEZZNS1_27merge_sort_block_merge_implIS3_PlPS5_mZN2at6native12_GLOBAL__N_124unique_dim_cuda_templateIjEESt5tupleIJNSA_6TensorESF_SF_EERKSF_lbbbEUlllE_EE10hipError_tT0_T1_T2_jT3_P12ihipStream_tbPNSt15iterator_traitsISL_E10value_typeEPNSR_ISM_E10value_typeEPSN_NS1_7vsmem_tEENKUlT_SL_SM_SN_E_clIS8_S8_S9_S9_EESK_S10_SL_SM_SN_EUlS10_E1_NS1_11comp_targetILNS1_3genE10ELNS1_11target_archE1201ELNS1_3gpuE5ELNS1_3repE0EEENS1_36merge_oddeven_config_static_selectorELNS0_4arch9wavefront6targetE1EEEvSM_
    .private_segment_fixed_size: 0
    .sgpr_count:     6
    .sgpr_spill_count: 0
    .symbol:         _ZN7rocprim17ROCPRIM_400000_NS6detail17trampoline_kernelINS0_14default_configENS1_38merge_sort_block_merge_config_selectorIlNS0_10empty_typeEEEZZNS1_27merge_sort_block_merge_implIS3_PlPS5_mZN2at6native12_GLOBAL__N_124unique_dim_cuda_templateIjEESt5tupleIJNSA_6TensorESF_SF_EERKSF_lbbbEUlllE_EE10hipError_tT0_T1_T2_jT3_P12ihipStream_tbPNSt15iterator_traitsISL_E10value_typeEPNSR_ISM_E10value_typeEPSN_NS1_7vsmem_tEENKUlT_SL_SM_SN_E_clIS8_S8_S9_S9_EESK_S10_SL_SM_SN_EUlS10_E1_NS1_11comp_targetILNS1_3genE10ELNS1_11target_archE1201ELNS1_3gpuE5ELNS1_3repE0EEENS1_36merge_oddeven_config_static_selectorELNS0_4arch9wavefront6targetE1EEEvSM_.kd
    .uniform_work_group_size: 1
    .uses_dynamic_stack: false
    .vgpr_count:     0
    .vgpr_spill_count: 0
    .wavefront_size: 64
  - .agpr_count:     0
    .args:
      - .offset:         0
        .size:           64
        .value_kind:     by_value
    .group_segment_fixed_size: 0
    .kernarg_segment_align: 8
    .kernarg_segment_size: 64
    .language:       OpenCL C
    .language_version:
      - 2
      - 0
    .max_flat_workgroup_size: 256
    .name:           _ZN7rocprim17ROCPRIM_400000_NS6detail17trampoline_kernelINS0_14default_configENS1_38merge_sort_block_merge_config_selectorIlNS0_10empty_typeEEEZZNS1_27merge_sort_block_merge_implIS3_PlPS5_mZN2at6native12_GLOBAL__N_124unique_dim_cuda_templateIjEESt5tupleIJNSA_6TensorESF_SF_EERKSF_lbbbEUlllE_EE10hipError_tT0_T1_T2_jT3_P12ihipStream_tbPNSt15iterator_traitsISL_E10value_typeEPNSR_ISM_E10value_typeEPSN_NS1_7vsmem_tEENKUlT_SL_SM_SN_E_clIS8_S8_S9_S9_EESK_S10_SL_SM_SN_EUlS10_E1_NS1_11comp_targetILNS1_3genE5ELNS1_11target_archE942ELNS1_3gpuE9ELNS1_3repE0EEENS1_36merge_oddeven_config_static_selectorELNS0_4arch9wavefront6targetE1EEEvSM_
    .private_segment_fixed_size: 0
    .sgpr_count:     6
    .sgpr_spill_count: 0
    .symbol:         _ZN7rocprim17ROCPRIM_400000_NS6detail17trampoline_kernelINS0_14default_configENS1_38merge_sort_block_merge_config_selectorIlNS0_10empty_typeEEEZZNS1_27merge_sort_block_merge_implIS3_PlPS5_mZN2at6native12_GLOBAL__N_124unique_dim_cuda_templateIjEESt5tupleIJNSA_6TensorESF_SF_EERKSF_lbbbEUlllE_EE10hipError_tT0_T1_T2_jT3_P12ihipStream_tbPNSt15iterator_traitsISL_E10value_typeEPNSR_ISM_E10value_typeEPSN_NS1_7vsmem_tEENKUlT_SL_SM_SN_E_clIS8_S8_S9_S9_EESK_S10_SL_SM_SN_EUlS10_E1_NS1_11comp_targetILNS1_3genE5ELNS1_11target_archE942ELNS1_3gpuE9ELNS1_3repE0EEENS1_36merge_oddeven_config_static_selectorELNS0_4arch9wavefront6targetE1EEEvSM_.kd
    .uniform_work_group_size: 1
    .uses_dynamic_stack: false
    .vgpr_count:     0
    .vgpr_spill_count: 0
    .wavefront_size: 64
  - .agpr_count:     0
    .args:
      - .offset:         0
        .size:           64
        .value_kind:     by_value
    .group_segment_fixed_size: 0
    .kernarg_segment_align: 8
    .kernarg_segment_size: 64
    .language:       OpenCL C
    .language_version:
      - 2
      - 0
    .max_flat_workgroup_size: 256
    .name:           _ZN7rocprim17ROCPRIM_400000_NS6detail17trampoline_kernelINS0_14default_configENS1_38merge_sort_block_merge_config_selectorIlNS0_10empty_typeEEEZZNS1_27merge_sort_block_merge_implIS3_PlPS5_mZN2at6native12_GLOBAL__N_124unique_dim_cuda_templateIjEESt5tupleIJNSA_6TensorESF_SF_EERKSF_lbbbEUlllE_EE10hipError_tT0_T1_T2_jT3_P12ihipStream_tbPNSt15iterator_traitsISL_E10value_typeEPNSR_ISM_E10value_typeEPSN_NS1_7vsmem_tEENKUlT_SL_SM_SN_E_clIS8_S8_S9_S9_EESK_S10_SL_SM_SN_EUlS10_E1_NS1_11comp_targetILNS1_3genE4ELNS1_11target_archE910ELNS1_3gpuE8ELNS1_3repE0EEENS1_36merge_oddeven_config_static_selectorELNS0_4arch9wavefront6targetE1EEEvSM_
    .private_segment_fixed_size: 0
    .sgpr_count:     6
    .sgpr_spill_count: 0
    .symbol:         _ZN7rocprim17ROCPRIM_400000_NS6detail17trampoline_kernelINS0_14default_configENS1_38merge_sort_block_merge_config_selectorIlNS0_10empty_typeEEEZZNS1_27merge_sort_block_merge_implIS3_PlPS5_mZN2at6native12_GLOBAL__N_124unique_dim_cuda_templateIjEESt5tupleIJNSA_6TensorESF_SF_EERKSF_lbbbEUlllE_EE10hipError_tT0_T1_T2_jT3_P12ihipStream_tbPNSt15iterator_traitsISL_E10value_typeEPNSR_ISM_E10value_typeEPSN_NS1_7vsmem_tEENKUlT_SL_SM_SN_E_clIS8_S8_S9_S9_EESK_S10_SL_SM_SN_EUlS10_E1_NS1_11comp_targetILNS1_3genE4ELNS1_11target_archE910ELNS1_3gpuE8ELNS1_3repE0EEENS1_36merge_oddeven_config_static_selectorELNS0_4arch9wavefront6targetE1EEEvSM_.kd
    .uniform_work_group_size: 1
    .uses_dynamic_stack: false
    .vgpr_count:     0
    .vgpr_spill_count: 0
    .wavefront_size: 64
  - .agpr_count:     0
    .args:
      - .offset:         0
        .size:           64
        .value_kind:     by_value
    .group_segment_fixed_size: 0
    .kernarg_segment_align: 8
    .kernarg_segment_size: 64
    .language:       OpenCL C
    .language_version:
      - 2
      - 0
    .max_flat_workgroup_size: 256
    .name:           _ZN7rocprim17ROCPRIM_400000_NS6detail17trampoline_kernelINS0_14default_configENS1_38merge_sort_block_merge_config_selectorIlNS0_10empty_typeEEEZZNS1_27merge_sort_block_merge_implIS3_PlPS5_mZN2at6native12_GLOBAL__N_124unique_dim_cuda_templateIjEESt5tupleIJNSA_6TensorESF_SF_EERKSF_lbbbEUlllE_EE10hipError_tT0_T1_T2_jT3_P12ihipStream_tbPNSt15iterator_traitsISL_E10value_typeEPNSR_ISM_E10value_typeEPSN_NS1_7vsmem_tEENKUlT_SL_SM_SN_E_clIS8_S8_S9_S9_EESK_S10_SL_SM_SN_EUlS10_E1_NS1_11comp_targetILNS1_3genE3ELNS1_11target_archE908ELNS1_3gpuE7ELNS1_3repE0EEENS1_36merge_oddeven_config_static_selectorELNS0_4arch9wavefront6targetE1EEEvSM_
    .private_segment_fixed_size: 0
    .sgpr_count:     6
    .sgpr_spill_count: 0
    .symbol:         _ZN7rocprim17ROCPRIM_400000_NS6detail17trampoline_kernelINS0_14default_configENS1_38merge_sort_block_merge_config_selectorIlNS0_10empty_typeEEEZZNS1_27merge_sort_block_merge_implIS3_PlPS5_mZN2at6native12_GLOBAL__N_124unique_dim_cuda_templateIjEESt5tupleIJNSA_6TensorESF_SF_EERKSF_lbbbEUlllE_EE10hipError_tT0_T1_T2_jT3_P12ihipStream_tbPNSt15iterator_traitsISL_E10value_typeEPNSR_ISM_E10value_typeEPSN_NS1_7vsmem_tEENKUlT_SL_SM_SN_E_clIS8_S8_S9_S9_EESK_S10_SL_SM_SN_EUlS10_E1_NS1_11comp_targetILNS1_3genE3ELNS1_11target_archE908ELNS1_3gpuE7ELNS1_3repE0EEENS1_36merge_oddeven_config_static_selectorELNS0_4arch9wavefront6targetE1EEEvSM_.kd
    .uniform_work_group_size: 1
    .uses_dynamic_stack: false
    .vgpr_count:     0
    .vgpr_spill_count: 0
    .wavefront_size: 64
  - .agpr_count:     0
    .args:
      - .offset:         0
        .size:           64
        .value_kind:     by_value
    .group_segment_fixed_size: 0
    .kernarg_segment_align: 8
    .kernarg_segment_size: 64
    .language:       OpenCL C
    .language_version:
      - 2
      - 0
    .max_flat_workgroup_size: 256
    .name:           _ZN7rocprim17ROCPRIM_400000_NS6detail17trampoline_kernelINS0_14default_configENS1_38merge_sort_block_merge_config_selectorIlNS0_10empty_typeEEEZZNS1_27merge_sort_block_merge_implIS3_PlPS5_mZN2at6native12_GLOBAL__N_124unique_dim_cuda_templateIjEESt5tupleIJNSA_6TensorESF_SF_EERKSF_lbbbEUlllE_EE10hipError_tT0_T1_T2_jT3_P12ihipStream_tbPNSt15iterator_traitsISL_E10value_typeEPNSR_ISM_E10value_typeEPSN_NS1_7vsmem_tEENKUlT_SL_SM_SN_E_clIS8_S8_S9_S9_EESK_S10_SL_SM_SN_EUlS10_E1_NS1_11comp_targetILNS1_3genE2ELNS1_11target_archE906ELNS1_3gpuE6ELNS1_3repE0EEENS1_36merge_oddeven_config_static_selectorELNS0_4arch9wavefront6targetE1EEEvSM_
    .private_segment_fixed_size: 0
    .sgpr_count:     6
    .sgpr_spill_count: 0
    .symbol:         _ZN7rocprim17ROCPRIM_400000_NS6detail17trampoline_kernelINS0_14default_configENS1_38merge_sort_block_merge_config_selectorIlNS0_10empty_typeEEEZZNS1_27merge_sort_block_merge_implIS3_PlPS5_mZN2at6native12_GLOBAL__N_124unique_dim_cuda_templateIjEESt5tupleIJNSA_6TensorESF_SF_EERKSF_lbbbEUlllE_EE10hipError_tT0_T1_T2_jT3_P12ihipStream_tbPNSt15iterator_traitsISL_E10value_typeEPNSR_ISM_E10value_typeEPSN_NS1_7vsmem_tEENKUlT_SL_SM_SN_E_clIS8_S8_S9_S9_EESK_S10_SL_SM_SN_EUlS10_E1_NS1_11comp_targetILNS1_3genE2ELNS1_11target_archE906ELNS1_3gpuE6ELNS1_3repE0EEENS1_36merge_oddeven_config_static_selectorELNS0_4arch9wavefront6targetE1EEEvSM_.kd
    .uniform_work_group_size: 1
    .uses_dynamic_stack: false
    .vgpr_count:     0
    .vgpr_spill_count: 0
    .wavefront_size: 64
  - .agpr_count:     0
    .args:
      - .offset:         0
        .size:           64
        .value_kind:     by_value
    .group_segment_fixed_size: 0
    .kernarg_segment_align: 8
    .kernarg_segment_size: 64
    .language:       OpenCL C
    .language_version:
      - 2
      - 0
    .max_flat_workgroup_size: 256
    .name:           _ZN7rocprim17ROCPRIM_400000_NS6detail17trampoline_kernelINS0_14default_configENS1_38merge_sort_block_merge_config_selectorIlNS0_10empty_typeEEEZZNS1_27merge_sort_block_merge_implIS3_PlPS5_mZN2at6native12_GLOBAL__N_124unique_dim_cuda_templateIjEESt5tupleIJNSA_6TensorESF_SF_EERKSF_lbbbEUlllE_EE10hipError_tT0_T1_T2_jT3_P12ihipStream_tbPNSt15iterator_traitsISL_E10value_typeEPNSR_ISM_E10value_typeEPSN_NS1_7vsmem_tEENKUlT_SL_SM_SN_E_clIS8_S8_S9_S9_EESK_S10_SL_SM_SN_EUlS10_E1_NS1_11comp_targetILNS1_3genE9ELNS1_11target_archE1100ELNS1_3gpuE3ELNS1_3repE0EEENS1_36merge_oddeven_config_static_selectorELNS0_4arch9wavefront6targetE1EEEvSM_
    .private_segment_fixed_size: 0
    .sgpr_count:     6
    .sgpr_spill_count: 0
    .symbol:         _ZN7rocprim17ROCPRIM_400000_NS6detail17trampoline_kernelINS0_14default_configENS1_38merge_sort_block_merge_config_selectorIlNS0_10empty_typeEEEZZNS1_27merge_sort_block_merge_implIS3_PlPS5_mZN2at6native12_GLOBAL__N_124unique_dim_cuda_templateIjEESt5tupleIJNSA_6TensorESF_SF_EERKSF_lbbbEUlllE_EE10hipError_tT0_T1_T2_jT3_P12ihipStream_tbPNSt15iterator_traitsISL_E10value_typeEPNSR_ISM_E10value_typeEPSN_NS1_7vsmem_tEENKUlT_SL_SM_SN_E_clIS8_S8_S9_S9_EESK_S10_SL_SM_SN_EUlS10_E1_NS1_11comp_targetILNS1_3genE9ELNS1_11target_archE1100ELNS1_3gpuE3ELNS1_3repE0EEENS1_36merge_oddeven_config_static_selectorELNS0_4arch9wavefront6targetE1EEEvSM_.kd
    .uniform_work_group_size: 1
    .uses_dynamic_stack: false
    .vgpr_count:     0
    .vgpr_spill_count: 0
    .wavefront_size: 64
  - .agpr_count:     0
    .args:
      - .offset:         0
        .size:           64
        .value_kind:     by_value
    .group_segment_fixed_size: 0
    .kernarg_segment_align: 8
    .kernarg_segment_size: 64
    .language:       OpenCL C
    .language_version:
      - 2
      - 0
    .max_flat_workgroup_size: 256
    .name:           _ZN7rocprim17ROCPRIM_400000_NS6detail17trampoline_kernelINS0_14default_configENS1_38merge_sort_block_merge_config_selectorIlNS0_10empty_typeEEEZZNS1_27merge_sort_block_merge_implIS3_PlPS5_mZN2at6native12_GLOBAL__N_124unique_dim_cuda_templateIjEESt5tupleIJNSA_6TensorESF_SF_EERKSF_lbbbEUlllE_EE10hipError_tT0_T1_T2_jT3_P12ihipStream_tbPNSt15iterator_traitsISL_E10value_typeEPNSR_ISM_E10value_typeEPSN_NS1_7vsmem_tEENKUlT_SL_SM_SN_E_clIS8_S8_S9_S9_EESK_S10_SL_SM_SN_EUlS10_E1_NS1_11comp_targetILNS1_3genE8ELNS1_11target_archE1030ELNS1_3gpuE2ELNS1_3repE0EEENS1_36merge_oddeven_config_static_selectorELNS0_4arch9wavefront6targetE1EEEvSM_
    .private_segment_fixed_size: 0
    .sgpr_count:     6
    .sgpr_spill_count: 0
    .symbol:         _ZN7rocprim17ROCPRIM_400000_NS6detail17trampoline_kernelINS0_14default_configENS1_38merge_sort_block_merge_config_selectorIlNS0_10empty_typeEEEZZNS1_27merge_sort_block_merge_implIS3_PlPS5_mZN2at6native12_GLOBAL__N_124unique_dim_cuda_templateIjEESt5tupleIJNSA_6TensorESF_SF_EERKSF_lbbbEUlllE_EE10hipError_tT0_T1_T2_jT3_P12ihipStream_tbPNSt15iterator_traitsISL_E10value_typeEPNSR_ISM_E10value_typeEPSN_NS1_7vsmem_tEENKUlT_SL_SM_SN_E_clIS8_S8_S9_S9_EESK_S10_SL_SM_SN_EUlS10_E1_NS1_11comp_targetILNS1_3genE8ELNS1_11target_archE1030ELNS1_3gpuE2ELNS1_3repE0EEENS1_36merge_oddeven_config_static_selectorELNS0_4arch9wavefront6targetE1EEEvSM_.kd
    .uniform_work_group_size: 1
    .uses_dynamic_stack: false
    .vgpr_count:     0
    .vgpr_spill_count: 0
    .wavefront_size: 64
  - .agpr_count:     0
    .args:
      - .offset:         0
        .size:           64
        .value_kind:     by_value
    .group_segment_fixed_size: 2048
    .kernarg_segment_align: 8
    .kernarg_segment_size: 64
    .language:       OpenCL C
    .language_version:
      - 2
      - 0
    .max_flat_workgroup_size: 128
    .name:           _ZN7rocprim17ROCPRIM_400000_NS6detail17trampoline_kernelINS0_14default_configENS1_35adjacent_difference_config_selectorILb0ElEEZNS1_24adjacent_difference_implIS3_Lb0ELb0EPlS7_ZN2at6native12_GLOBAL__N_124unique_dim_cuda_templateIjEESt5tupleIJNS8_6TensorESD_SD_EERKSD_lbbbEUlllE1_EE10hipError_tPvRmT2_T3_mT4_P12ihipStream_tbEUlT_E_NS1_11comp_targetILNS1_3genE0ELNS1_11target_archE4294967295ELNS1_3gpuE0ELNS1_3repE0EEENS1_30default_config_static_selectorELNS0_4arch9wavefront6targetE1EEEvT1_
    .private_segment_fixed_size: 0
    .sgpr_count:     38
    .sgpr_spill_count: 0
    .symbol:         _ZN7rocprim17ROCPRIM_400000_NS6detail17trampoline_kernelINS0_14default_configENS1_35adjacent_difference_config_selectorILb0ElEEZNS1_24adjacent_difference_implIS3_Lb0ELb0EPlS7_ZN2at6native12_GLOBAL__N_124unique_dim_cuda_templateIjEESt5tupleIJNS8_6TensorESD_SD_EERKSD_lbbbEUlllE1_EE10hipError_tPvRmT2_T3_mT4_P12ihipStream_tbEUlT_E_NS1_11comp_targetILNS1_3genE0ELNS1_11target_archE4294967295ELNS1_3gpuE0ELNS1_3repE0EEENS1_30default_config_static_selectorELNS0_4arch9wavefront6targetE1EEEvT1_.kd
    .uniform_work_group_size: 1
    .uses_dynamic_stack: false
    .vgpr_count:     11
    .vgpr_spill_count: 0
    .wavefront_size: 64
  - .agpr_count:     0
    .args:
      - .offset:         0
        .size:           64
        .value_kind:     by_value
    .group_segment_fixed_size: 0
    .kernarg_segment_align: 8
    .kernarg_segment_size: 64
    .language:       OpenCL C
    .language_version:
      - 2
      - 0
    .max_flat_workgroup_size: 128
    .name:           _ZN7rocprim17ROCPRIM_400000_NS6detail17trampoline_kernelINS0_14default_configENS1_35adjacent_difference_config_selectorILb0ElEEZNS1_24adjacent_difference_implIS3_Lb0ELb0EPlS7_ZN2at6native12_GLOBAL__N_124unique_dim_cuda_templateIjEESt5tupleIJNS8_6TensorESD_SD_EERKSD_lbbbEUlllE1_EE10hipError_tPvRmT2_T3_mT4_P12ihipStream_tbEUlT_E_NS1_11comp_targetILNS1_3genE10ELNS1_11target_archE1201ELNS1_3gpuE5ELNS1_3repE0EEENS1_30default_config_static_selectorELNS0_4arch9wavefront6targetE1EEEvT1_
    .private_segment_fixed_size: 0
    .sgpr_count:     6
    .sgpr_spill_count: 0
    .symbol:         _ZN7rocprim17ROCPRIM_400000_NS6detail17trampoline_kernelINS0_14default_configENS1_35adjacent_difference_config_selectorILb0ElEEZNS1_24adjacent_difference_implIS3_Lb0ELb0EPlS7_ZN2at6native12_GLOBAL__N_124unique_dim_cuda_templateIjEESt5tupleIJNS8_6TensorESD_SD_EERKSD_lbbbEUlllE1_EE10hipError_tPvRmT2_T3_mT4_P12ihipStream_tbEUlT_E_NS1_11comp_targetILNS1_3genE10ELNS1_11target_archE1201ELNS1_3gpuE5ELNS1_3repE0EEENS1_30default_config_static_selectorELNS0_4arch9wavefront6targetE1EEEvT1_.kd
    .uniform_work_group_size: 1
    .uses_dynamic_stack: false
    .vgpr_count:     0
    .vgpr_spill_count: 0
    .wavefront_size: 64
  - .agpr_count:     0
    .args:
      - .offset:         0
        .size:           64
        .value_kind:     by_value
    .group_segment_fixed_size: 0
    .kernarg_segment_align: 8
    .kernarg_segment_size: 64
    .language:       OpenCL C
    .language_version:
      - 2
      - 0
    .max_flat_workgroup_size: 64
    .name:           _ZN7rocprim17ROCPRIM_400000_NS6detail17trampoline_kernelINS0_14default_configENS1_35adjacent_difference_config_selectorILb0ElEEZNS1_24adjacent_difference_implIS3_Lb0ELb0EPlS7_ZN2at6native12_GLOBAL__N_124unique_dim_cuda_templateIjEESt5tupleIJNS8_6TensorESD_SD_EERKSD_lbbbEUlllE1_EE10hipError_tPvRmT2_T3_mT4_P12ihipStream_tbEUlT_E_NS1_11comp_targetILNS1_3genE5ELNS1_11target_archE942ELNS1_3gpuE9ELNS1_3repE0EEENS1_30default_config_static_selectorELNS0_4arch9wavefront6targetE1EEEvT1_
    .private_segment_fixed_size: 0
    .sgpr_count:     6
    .sgpr_spill_count: 0
    .symbol:         _ZN7rocprim17ROCPRIM_400000_NS6detail17trampoline_kernelINS0_14default_configENS1_35adjacent_difference_config_selectorILb0ElEEZNS1_24adjacent_difference_implIS3_Lb0ELb0EPlS7_ZN2at6native12_GLOBAL__N_124unique_dim_cuda_templateIjEESt5tupleIJNS8_6TensorESD_SD_EERKSD_lbbbEUlllE1_EE10hipError_tPvRmT2_T3_mT4_P12ihipStream_tbEUlT_E_NS1_11comp_targetILNS1_3genE5ELNS1_11target_archE942ELNS1_3gpuE9ELNS1_3repE0EEENS1_30default_config_static_selectorELNS0_4arch9wavefront6targetE1EEEvT1_.kd
    .uniform_work_group_size: 1
    .uses_dynamic_stack: false
    .vgpr_count:     0
    .vgpr_spill_count: 0
    .wavefront_size: 64
  - .agpr_count:     0
    .args:
      - .offset:         0
        .size:           64
        .value_kind:     by_value
    .group_segment_fixed_size: 0
    .kernarg_segment_align: 8
    .kernarg_segment_size: 64
    .language:       OpenCL C
    .language_version:
      - 2
      - 0
    .max_flat_workgroup_size: 256
    .name:           _ZN7rocprim17ROCPRIM_400000_NS6detail17trampoline_kernelINS0_14default_configENS1_35adjacent_difference_config_selectorILb0ElEEZNS1_24adjacent_difference_implIS3_Lb0ELb0EPlS7_ZN2at6native12_GLOBAL__N_124unique_dim_cuda_templateIjEESt5tupleIJNS8_6TensorESD_SD_EERKSD_lbbbEUlllE1_EE10hipError_tPvRmT2_T3_mT4_P12ihipStream_tbEUlT_E_NS1_11comp_targetILNS1_3genE4ELNS1_11target_archE910ELNS1_3gpuE8ELNS1_3repE0EEENS1_30default_config_static_selectorELNS0_4arch9wavefront6targetE1EEEvT1_
    .private_segment_fixed_size: 0
    .sgpr_count:     6
    .sgpr_spill_count: 0
    .symbol:         _ZN7rocprim17ROCPRIM_400000_NS6detail17trampoline_kernelINS0_14default_configENS1_35adjacent_difference_config_selectorILb0ElEEZNS1_24adjacent_difference_implIS3_Lb0ELb0EPlS7_ZN2at6native12_GLOBAL__N_124unique_dim_cuda_templateIjEESt5tupleIJNS8_6TensorESD_SD_EERKSD_lbbbEUlllE1_EE10hipError_tPvRmT2_T3_mT4_P12ihipStream_tbEUlT_E_NS1_11comp_targetILNS1_3genE4ELNS1_11target_archE910ELNS1_3gpuE8ELNS1_3repE0EEENS1_30default_config_static_selectorELNS0_4arch9wavefront6targetE1EEEvT1_.kd
    .uniform_work_group_size: 1
    .uses_dynamic_stack: false
    .vgpr_count:     0
    .vgpr_spill_count: 0
    .wavefront_size: 64
  - .agpr_count:     0
    .args:
      - .offset:         0
        .size:           64
        .value_kind:     by_value
    .group_segment_fixed_size: 0
    .kernarg_segment_align: 8
    .kernarg_segment_size: 64
    .language:       OpenCL C
    .language_version:
      - 2
      - 0
    .max_flat_workgroup_size: 128
    .name:           _ZN7rocprim17ROCPRIM_400000_NS6detail17trampoline_kernelINS0_14default_configENS1_35adjacent_difference_config_selectorILb0ElEEZNS1_24adjacent_difference_implIS3_Lb0ELb0EPlS7_ZN2at6native12_GLOBAL__N_124unique_dim_cuda_templateIjEESt5tupleIJNS8_6TensorESD_SD_EERKSD_lbbbEUlllE1_EE10hipError_tPvRmT2_T3_mT4_P12ihipStream_tbEUlT_E_NS1_11comp_targetILNS1_3genE3ELNS1_11target_archE908ELNS1_3gpuE7ELNS1_3repE0EEENS1_30default_config_static_selectorELNS0_4arch9wavefront6targetE1EEEvT1_
    .private_segment_fixed_size: 0
    .sgpr_count:     6
    .sgpr_spill_count: 0
    .symbol:         _ZN7rocprim17ROCPRIM_400000_NS6detail17trampoline_kernelINS0_14default_configENS1_35adjacent_difference_config_selectorILb0ElEEZNS1_24adjacent_difference_implIS3_Lb0ELb0EPlS7_ZN2at6native12_GLOBAL__N_124unique_dim_cuda_templateIjEESt5tupleIJNS8_6TensorESD_SD_EERKSD_lbbbEUlllE1_EE10hipError_tPvRmT2_T3_mT4_P12ihipStream_tbEUlT_E_NS1_11comp_targetILNS1_3genE3ELNS1_11target_archE908ELNS1_3gpuE7ELNS1_3repE0EEENS1_30default_config_static_selectorELNS0_4arch9wavefront6targetE1EEEvT1_.kd
    .uniform_work_group_size: 1
    .uses_dynamic_stack: false
    .vgpr_count:     0
    .vgpr_spill_count: 0
    .wavefront_size: 64
  - .agpr_count:     0
    .args:
      - .offset:         0
        .size:           64
        .value_kind:     by_value
    .group_segment_fixed_size: 0
    .kernarg_segment_align: 8
    .kernarg_segment_size: 64
    .language:       OpenCL C
    .language_version:
      - 2
      - 0
    .max_flat_workgroup_size: 128
    .name:           _ZN7rocprim17ROCPRIM_400000_NS6detail17trampoline_kernelINS0_14default_configENS1_35adjacent_difference_config_selectorILb0ElEEZNS1_24adjacent_difference_implIS3_Lb0ELb0EPlS7_ZN2at6native12_GLOBAL__N_124unique_dim_cuda_templateIjEESt5tupleIJNS8_6TensorESD_SD_EERKSD_lbbbEUlllE1_EE10hipError_tPvRmT2_T3_mT4_P12ihipStream_tbEUlT_E_NS1_11comp_targetILNS1_3genE2ELNS1_11target_archE906ELNS1_3gpuE6ELNS1_3repE0EEENS1_30default_config_static_selectorELNS0_4arch9wavefront6targetE1EEEvT1_
    .private_segment_fixed_size: 0
    .sgpr_count:     6
    .sgpr_spill_count: 0
    .symbol:         _ZN7rocprim17ROCPRIM_400000_NS6detail17trampoline_kernelINS0_14default_configENS1_35adjacent_difference_config_selectorILb0ElEEZNS1_24adjacent_difference_implIS3_Lb0ELb0EPlS7_ZN2at6native12_GLOBAL__N_124unique_dim_cuda_templateIjEESt5tupleIJNS8_6TensorESD_SD_EERKSD_lbbbEUlllE1_EE10hipError_tPvRmT2_T3_mT4_P12ihipStream_tbEUlT_E_NS1_11comp_targetILNS1_3genE2ELNS1_11target_archE906ELNS1_3gpuE6ELNS1_3repE0EEENS1_30default_config_static_selectorELNS0_4arch9wavefront6targetE1EEEvT1_.kd
    .uniform_work_group_size: 1
    .uses_dynamic_stack: false
    .vgpr_count:     0
    .vgpr_spill_count: 0
    .wavefront_size: 64
  - .agpr_count:     0
    .args:
      - .offset:         0
        .size:           64
        .value_kind:     by_value
    .group_segment_fixed_size: 0
    .kernarg_segment_align: 8
    .kernarg_segment_size: 64
    .language:       OpenCL C
    .language_version:
      - 2
      - 0
    .max_flat_workgroup_size: 512
    .name:           _ZN7rocprim17ROCPRIM_400000_NS6detail17trampoline_kernelINS0_14default_configENS1_35adjacent_difference_config_selectorILb0ElEEZNS1_24adjacent_difference_implIS3_Lb0ELb0EPlS7_ZN2at6native12_GLOBAL__N_124unique_dim_cuda_templateIjEESt5tupleIJNS8_6TensorESD_SD_EERKSD_lbbbEUlllE1_EE10hipError_tPvRmT2_T3_mT4_P12ihipStream_tbEUlT_E_NS1_11comp_targetILNS1_3genE9ELNS1_11target_archE1100ELNS1_3gpuE3ELNS1_3repE0EEENS1_30default_config_static_selectorELNS0_4arch9wavefront6targetE1EEEvT1_
    .private_segment_fixed_size: 0
    .sgpr_count:     6
    .sgpr_spill_count: 0
    .symbol:         _ZN7rocprim17ROCPRIM_400000_NS6detail17trampoline_kernelINS0_14default_configENS1_35adjacent_difference_config_selectorILb0ElEEZNS1_24adjacent_difference_implIS3_Lb0ELb0EPlS7_ZN2at6native12_GLOBAL__N_124unique_dim_cuda_templateIjEESt5tupleIJNS8_6TensorESD_SD_EERKSD_lbbbEUlllE1_EE10hipError_tPvRmT2_T3_mT4_P12ihipStream_tbEUlT_E_NS1_11comp_targetILNS1_3genE9ELNS1_11target_archE1100ELNS1_3gpuE3ELNS1_3repE0EEENS1_30default_config_static_selectorELNS0_4arch9wavefront6targetE1EEEvT1_.kd
    .uniform_work_group_size: 1
    .uses_dynamic_stack: false
    .vgpr_count:     0
    .vgpr_spill_count: 0
    .wavefront_size: 64
  - .agpr_count:     0
    .args:
      - .offset:         0
        .size:           64
        .value_kind:     by_value
    .group_segment_fixed_size: 0
    .kernarg_segment_align: 8
    .kernarg_segment_size: 64
    .language:       OpenCL C
    .language_version:
      - 2
      - 0
    .max_flat_workgroup_size: 1024
    .name:           _ZN7rocprim17ROCPRIM_400000_NS6detail17trampoline_kernelINS0_14default_configENS1_35adjacent_difference_config_selectorILb0ElEEZNS1_24adjacent_difference_implIS3_Lb0ELb0EPlS7_ZN2at6native12_GLOBAL__N_124unique_dim_cuda_templateIjEESt5tupleIJNS8_6TensorESD_SD_EERKSD_lbbbEUlllE1_EE10hipError_tPvRmT2_T3_mT4_P12ihipStream_tbEUlT_E_NS1_11comp_targetILNS1_3genE8ELNS1_11target_archE1030ELNS1_3gpuE2ELNS1_3repE0EEENS1_30default_config_static_selectorELNS0_4arch9wavefront6targetE1EEEvT1_
    .private_segment_fixed_size: 0
    .sgpr_count:     6
    .sgpr_spill_count: 0
    .symbol:         _ZN7rocprim17ROCPRIM_400000_NS6detail17trampoline_kernelINS0_14default_configENS1_35adjacent_difference_config_selectorILb0ElEEZNS1_24adjacent_difference_implIS3_Lb0ELb0EPlS7_ZN2at6native12_GLOBAL__N_124unique_dim_cuda_templateIjEESt5tupleIJNS8_6TensorESD_SD_EERKSD_lbbbEUlllE1_EE10hipError_tPvRmT2_T3_mT4_P12ihipStream_tbEUlT_E_NS1_11comp_targetILNS1_3genE8ELNS1_11target_archE1030ELNS1_3gpuE2ELNS1_3repE0EEENS1_30default_config_static_selectorELNS0_4arch9wavefront6targetE1EEEvT1_.kd
    .uniform_work_group_size: 1
    .uses_dynamic_stack: false
    .vgpr_count:     0
    .vgpr_spill_count: 0
    .wavefront_size: 64
  - .agpr_count:     0
    .args:
      - .offset:         0
        .size:           56
        .value_kind:     by_value
      - .offset:         56
        .size:           4
        .value_kind:     hidden_block_count_x
      - .offset:         60
        .size:           4
        .value_kind:     hidden_block_count_y
      - .offset:         64
        .size:           4
        .value_kind:     hidden_block_count_z
      - .offset:         68
        .size:           2
        .value_kind:     hidden_group_size_x
      - .offset:         70
        .size:           2
        .value_kind:     hidden_group_size_y
      - .offset:         72
        .size:           2
        .value_kind:     hidden_group_size_z
      - .offset:         74
        .size:           2
        .value_kind:     hidden_remainder_x
      - .offset:         76
        .size:           2
        .value_kind:     hidden_remainder_y
      - .offset:         78
        .size:           2
        .value_kind:     hidden_remainder_z
      - .offset:         96
        .size:           8
        .value_kind:     hidden_global_offset_x
      - .offset:         104
        .size:           8
        .value_kind:     hidden_global_offset_y
      - .offset:         112
        .size:           8
        .value_kind:     hidden_global_offset_z
      - .offset:         120
        .size:           2
        .value_kind:     hidden_grid_dims
    .group_segment_fixed_size: 0
    .kernarg_segment_align: 8
    .kernarg_segment_size: 312
    .language:       OpenCL C
    .language_version:
      - 2
      - 0
    .max_flat_workgroup_size: 128
    .name:           _ZN7rocprim17ROCPRIM_400000_NS6detail17trampoline_kernelINS0_14default_configENS1_25transform_config_selectorIlLb0EEEZNS1_14transform_implILb0ES3_S5_NS0_18transform_iteratorINS0_17counting_iteratorImlEEZNS1_24adjacent_difference_implIS3_Lb1ELb0EPlSB_ZN2at6native12_GLOBAL__N_124unique_dim_cuda_templateIjEESt5tupleIJNSC_6TensorESH_SH_EERKSH_lbbbEUlllE1_EE10hipError_tPvRmT2_T3_mT4_P12ihipStream_tbEUlmE_lEESB_NS0_8identityIvEEEESM_SP_SQ_mSR_ST_bEUlT_E_NS1_11comp_targetILNS1_3genE0ELNS1_11target_archE4294967295ELNS1_3gpuE0ELNS1_3repE0EEENS1_30default_config_static_selectorELNS0_4arch9wavefront6targetE1EEEvT1_
    .private_segment_fixed_size: 0
    .sgpr_count:     18
    .sgpr_spill_count: 0
    .symbol:         _ZN7rocprim17ROCPRIM_400000_NS6detail17trampoline_kernelINS0_14default_configENS1_25transform_config_selectorIlLb0EEEZNS1_14transform_implILb0ES3_S5_NS0_18transform_iteratorINS0_17counting_iteratorImlEEZNS1_24adjacent_difference_implIS3_Lb1ELb0EPlSB_ZN2at6native12_GLOBAL__N_124unique_dim_cuda_templateIjEESt5tupleIJNSC_6TensorESH_SH_EERKSH_lbbbEUlllE1_EE10hipError_tPvRmT2_T3_mT4_P12ihipStream_tbEUlmE_lEESB_NS0_8identityIvEEEESM_SP_SQ_mSR_ST_bEUlT_E_NS1_11comp_targetILNS1_3genE0ELNS1_11target_archE4294967295ELNS1_3gpuE0ELNS1_3repE0EEENS1_30default_config_static_selectorELNS0_4arch9wavefront6targetE1EEEvT1_.kd
    .uniform_work_group_size: 1
    .uses_dynamic_stack: false
    .vgpr_count:     8
    .vgpr_spill_count: 0
    .wavefront_size: 64
  - .agpr_count:     0
    .args:
      - .offset:         0
        .size:           56
        .value_kind:     by_value
    .group_segment_fixed_size: 0
    .kernarg_segment_align: 8
    .kernarg_segment_size: 56
    .language:       OpenCL C
    .language_version:
      - 2
      - 0
    .max_flat_workgroup_size: 512
    .name:           _ZN7rocprim17ROCPRIM_400000_NS6detail17trampoline_kernelINS0_14default_configENS1_25transform_config_selectorIlLb0EEEZNS1_14transform_implILb0ES3_S5_NS0_18transform_iteratorINS0_17counting_iteratorImlEEZNS1_24adjacent_difference_implIS3_Lb1ELb0EPlSB_ZN2at6native12_GLOBAL__N_124unique_dim_cuda_templateIjEESt5tupleIJNSC_6TensorESH_SH_EERKSH_lbbbEUlllE1_EE10hipError_tPvRmT2_T3_mT4_P12ihipStream_tbEUlmE_lEESB_NS0_8identityIvEEEESM_SP_SQ_mSR_ST_bEUlT_E_NS1_11comp_targetILNS1_3genE5ELNS1_11target_archE942ELNS1_3gpuE9ELNS1_3repE0EEENS1_30default_config_static_selectorELNS0_4arch9wavefront6targetE1EEEvT1_
    .private_segment_fixed_size: 0
    .sgpr_count:     6
    .sgpr_spill_count: 0
    .symbol:         _ZN7rocprim17ROCPRIM_400000_NS6detail17trampoline_kernelINS0_14default_configENS1_25transform_config_selectorIlLb0EEEZNS1_14transform_implILb0ES3_S5_NS0_18transform_iteratorINS0_17counting_iteratorImlEEZNS1_24adjacent_difference_implIS3_Lb1ELb0EPlSB_ZN2at6native12_GLOBAL__N_124unique_dim_cuda_templateIjEESt5tupleIJNSC_6TensorESH_SH_EERKSH_lbbbEUlllE1_EE10hipError_tPvRmT2_T3_mT4_P12ihipStream_tbEUlmE_lEESB_NS0_8identityIvEEEESM_SP_SQ_mSR_ST_bEUlT_E_NS1_11comp_targetILNS1_3genE5ELNS1_11target_archE942ELNS1_3gpuE9ELNS1_3repE0EEENS1_30default_config_static_selectorELNS0_4arch9wavefront6targetE1EEEvT1_.kd
    .uniform_work_group_size: 1
    .uses_dynamic_stack: false
    .vgpr_count:     0
    .vgpr_spill_count: 0
    .wavefront_size: 64
  - .agpr_count:     0
    .args:
      - .offset:         0
        .size:           56
        .value_kind:     by_value
    .group_segment_fixed_size: 0
    .kernarg_segment_align: 8
    .kernarg_segment_size: 56
    .language:       OpenCL C
    .language_version:
      - 2
      - 0
    .max_flat_workgroup_size: 256
    .name:           _ZN7rocprim17ROCPRIM_400000_NS6detail17trampoline_kernelINS0_14default_configENS1_25transform_config_selectorIlLb0EEEZNS1_14transform_implILb0ES3_S5_NS0_18transform_iteratorINS0_17counting_iteratorImlEEZNS1_24adjacent_difference_implIS3_Lb1ELb0EPlSB_ZN2at6native12_GLOBAL__N_124unique_dim_cuda_templateIjEESt5tupleIJNSC_6TensorESH_SH_EERKSH_lbbbEUlllE1_EE10hipError_tPvRmT2_T3_mT4_P12ihipStream_tbEUlmE_lEESB_NS0_8identityIvEEEESM_SP_SQ_mSR_ST_bEUlT_E_NS1_11comp_targetILNS1_3genE4ELNS1_11target_archE910ELNS1_3gpuE8ELNS1_3repE0EEENS1_30default_config_static_selectorELNS0_4arch9wavefront6targetE1EEEvT1_
    .private_segment_fixed_size: 0
    .sgpr_count:     6
    .sgpr_spill_count: 0
    .symbol:         _ZN7rocprim17ROCPRIM_400000_NS6detail17trampoline_kernelINS0_14default_configENS1_25transform_config_selectorIlLb0EEEZNS1_14transform_implILb0ES3_S5_NS0_18transform_iteratorINS0_17counting_iteratorImlEEZNS1_24adjacent_difference_implIS3_Lb1ELb0EPlSB_ZN2at6native12_GLOBAL__N_124unique_dim_cuda_templateIjEESt5tupleIJNSC_6TensorESH_SH_EERKSH_lbbbEUlllE1_EE10hipError_tPvRmT2_T3_mT4_P12ihipStream_tbEUlmE_lEESB_NS0_8identityIvEEEESM_SP_SQ_mSR_ST_bEUlT_E_NS1_11comp_targetILNS1_3genE4ELNS1_11target_archE910ELNS1_3gpuE8ELNS1_3repE0EEENS1_30default_config_static_selectorELNS0_4arch9wavefront6targetE1EEEvT1_.kd
    .uniform_work_group_size: 1
    .uses_dynamic_stack: false
    .vgpr_count:     0
    .vgpr_spill_count: 0
    .wavefront_size: 64
  - .agpr_count:     0
    .args:
      - .offset:         0
        .size:           56
        .value_kind:     by_value
    .group_segment_fixed_size: 0
    .kernarg_segment_align: 8
    .kernarg_segment_size: 56
    .language:       OpenCL C
    .language_version:
      - 2
      - 0
    .max_flat_workgroup_size: 128
    .name:           _ZN7rocprim17ROCPRIM_400000_NS6detail17trampoline_kernelINS0_14default_configENS1_25transform_config_selectorIlLb0EEEZNS1_14transform_implILb0ES3_S5_NS0_18transform_iteratorINS0_17counting_iteratorImlEEZNS1_24adjacent_difference_implIS3_Lb1ELb0EPlSB_ZN2at6native12_GLOBAL__N_124unique_dim_cuda_templateIjEESt5tupleIJNSC_6TensorESH_SH_EERKSH_lbbbEUlllE1_EE10hipError_tPvRmT2_T3_mT4_P12ihipStream_tbEUlmE_lEESB_NS0_8identityIvEEEESM_SP_SQ_mSR_ST_bEUlT_E_NS1_11comp_targetILNS1_3genE3ELNS1_11target_archE908ELNS1_3gpuE7ELNS1_3repE0EEENS1_30default_config_static_selectorELNS0_4arch9wavefront6targetE1EEEvT1_
    .private_segment_fixed_size: 0
    .sgpr_count:     6
    .sgpr_spill_count: 0
    .symbol:         _ZN7rocprim17ROCPRIM_400000_NS6detail17trampoline_kernelINS0_14default_configENS1_25transform_config_selectorIlLb0EEEZNS1_14transform_implILb0ES3_S5_NS0_18transform_iteratorINS0_17counting_iteratorImlEEZNS1_24adjacent_difference_implIS3_Lb1ELb0EPlSB_ZN2at6native12_GLOBAL__N_124unique_dim_cuda_templateIjEESt5tupleIJNSC_6TensorESH_SH_EERKSH_lbbbEUlllE1_EE10hipError_tPvRmT2_T3_mT4_P12ihipStream_tbEUlmE_lEESB_NS0_8identityIvEEEESM_SP_SQ_mSR_ST_bEUlT_E_NS1_11comp_targetILNS1_3genE3ELNS1_11target_archE908ELNS1_3gpuE7ELNS1_3repE0EEENS1_30default_config_static_selectorELNS0_4arch9wavefront6targetE1EEEvT1_.kd
    .uniform_work_group_size: 1
    .uses_dynamic_stack: false
    .vgpr_count:     0
    .vgpr_spill_count: 0
    .wavefront_size: 64
  - .agpr_count:     0
    .args:
      - .offset:         0
        .size:           56
        .value_kind:     by_value
    .group_segment_fixed_size: 0
    .kernarg_segment_align: 8
    .kernarg_segment_size: 56
    .language:       OpenCL C
    .language_version:
      - 2
      - 0
    .max_flat_workgroup_size: 512
    .name:           _ZN7rocprim17ROCPRIM_400000_NS6detail17trampoline_kernelINS0_14default_configENS1_25transform_config_selectorIlLb0EEEZNS1_14transform_implILb0ES3_S5_NS0_18transform_iteratorINS0_17counting_iteratorImlEEZNS1_24adjacent_difference_implIS3_Lb1ELb0EPlSB_ZN2at6native12_GLOBAL__N_124unique_dim_cuda_templateIjEESt5tupleIJNSC_6TensorESH_SH_EERKSH_lbbbEUlllE1_EE10hipError_tPvRmT2_T3_mT4_P12ihipStream_tbEUlmE_lEESB_NS0_8identityIvEEEESM_SP_SQ_mSR_ST_bEUlT_E_NS1_11comp_targetILNS1_3genE2ELNS1_11target_archE906ELNS1_3gpuE6ELNS1_3repE0EEENS1_30default_config_static_selectorELNS0_4arch9wavefront6targetE1EEEvT1_
    .private_segment_fixed_size: 0
    .sgpr_count:     6
    .sgpr_spill_count: 0
    .symbol:         _ZN7rocprim17ROCPRIM_400000_NS6detail17trampoline_kernelINS0_14default_configENS1_25transform_config_selectorIlLb0EEEZNS1_14transform_implILb0ES3_S5_NS0_18transform_iteratorINS0_17counting_iteratorImlEEZNS1_24adjacent_difference_implIS3_Lb1ELb0EPlSB_ZN2at6native12_GLOBAL__N_124unique_dim_cuda_templateIjEESt5tupleIJNSC_6TensorESH_SH_EERKSH_lbbbEUlllE1_EE10hipError_tPvRmT2_T3_mT4_P12ihipStream_tbEUlmE_lEESB_NS0_8identityIvEEEESM_SP_SQ_mSR_ST_bEUlT_E_NS1_11comp_targetILNS1_3genE2ELNS1_11target_archE906ELNS1_3gpuE6ELNS1_3repE0EEENS1_30default_config_static_selectorELNS0_4arch9wavefront6targetE1EEEvT1_.kd
    .uniform_work_group_size: 1
    .uses_dynamic_stack: false
    .vgpr_count:     0
    .vgpr_spill_count: 0
    .wavefront_size: 64
  - .agpr_count:     0
    .args:
      - .offset:         0
        .size:           56
        .value_kind:     by_value
    .group_segment_fixed_size: 0
    .kernarg_segment_align: 8
    .kernarg_segment_size: 56
    .language:       OpenCL C
    .language_version:
      - 2
      - 0
    .max_flat_workgroup_size: 1024
    .name:           _ZN7rocprim17ROCPRIM_400000_NS6detail17trampoline_kernelINS0_14default_configENS1_25transform_config_selectorIlLb0EEEZNS1_14transform_implILb0ES3_S5_NS0_18transform_iteratorINS0_17counting_iteratorImlEEZNS1_24adjacent_difference_implIS3_Lb1ELb0EPlSB_ZN2at6native12_GLOBAL__N_124unique_dim_cuda_templateIjEESt5tupleIJNSC_6TensorESH_SH_EERKSH_lbbbEUlllE1_EE10hipError_tPvRmT2_T3_mT4_P12ihipStream_tbEUlmE_lEESB_NS0_8identityIvEEEESM_SP_SQ_mSR_ST_bEUlT_E_NS1_11comp_targetILNS1_3genE10ELNS1_11target_archE1201ELNS1_3gpuE5ELNS1_3repE0EEENS1_30default_config_static_selectorELNS0_4arch9wavefront6targetE1EEEvT1_
    .private_segment_fixed_size: 0
    .sgpr_count:     6
    .sgpr_spill_count: 0
    .symbol:         _ZN7rocprim17ROCPRIM_400000_NS6detail17trampoline_kernelINS0_14default_configENS1_25transform_config_selectorIlLb0EEEZNS1_14transform_implILb0ES3_S5_NS0_18transform_iteratorINS0_17counting_iteratorImlEEZNS1_24adjacent_difference_implIS3_Lb1ELb0EPlSB_ZN2at6native12_GLOBAL__N_124unique_dim_cuda_templateIjEESt5tupleIJNSC_6TensorESH_SH_EERKSH_lbbbEUlllE1_EE10hipError_tPvRmT2_T3_mT4_P12ihipStream_tbEUlmE_lEESB_NS0_8identityIvEEEESM_SP_SQ_mSR_ST_bEUlT_E_NS1_11comp_targetILNS1_3genE10ELNS1_11target_archE1201ELNS1_3gpuE5ELNS1_3repE0EEENS1_30default_config_static_selectorELNS0_4arch9wavefront6targetE1EEEvT1_.kd
    .uniform_work_group_size: 1
    .uses_dynamic_stack: false
    .vgpr_count:     0
    .vgpr_spill_count: 0
    .wavefront_size: 64
  - .agpr_count:     0
    .args:
      - .offset:         0
        .size:           56
        .value_kind:     by_value
    .group_segment_fixed_size: 0
    .kernarg_segment_align: 8
    .kernarg_segment_size: 56
    .language:       OpenCL C
    .language_version:
      - 2
      - 0
    .max_flat_workgroup_size: 512
    .name:           _ZN7rocprim17ROCPRIM_400000_NS6detail17trampoline_kernelINS0_14default_configENS1_25transform_config_selectorIlLb0EEEZNS1_14transform_implILb0ES3_S5_NS0_18transform_iteratorINS0_17counting_iteratorImlEEZNS1_24adjacent_difference_implIS3_Lb1ELb0EPlSB_ZN2at6native12_GLOBAL__N_124unique_dim_cuda_templateIjEESt5tupleIJNSC_6TensorESH_SH_EERKSH_lbbbEUlllE1_EE10hipError_tPvRmT2_T3_mT4_P12ihipStream_tbEUlmE_lEESB_NS0_8identityIvEEEESM_SP_SQ_mSR_ST_bEUlT_E_NS1_11comp_targetILNS1_3genE10ELNS1_11target_archE1200ELNS1_3gpuE4ELNS1_3repE0EEENS1_30default_config_static_selectorELNS0_4arch9wavefront6targetE1EEEvT1_
    .private_segment_fixed_size: 0
    .sgpr_count:     6
    .sgpr_spill_count: 0
    .symbol:         _ZN7rocprim17ROCPRIM_400000_NS6detail17trampoline_kernelINS0_14default_configENS1_25transform_config_selectorIlLb0EEEZNS1_14transform_implILb0ES3_S5_NS0_18transform_iteratorINS0_17counting_iteratorImlEEZNS1_24adjacent_difference_implIS3_Lb1ELb0EPlSB_ZN2at6native12_GLOBAL__N_124unique_dim_cuda_templateIjEESt5tupleIJNSC_6TensorESH_SH_EERKSH_lbbbEUlllE1_EE10hipError_tPvRmT2_T3_mT4_P12ihipStream_tbEUlmE_lEESB_NS0_8identityIvEEEESM_SP_SQ_mSR_ST_bEUlT_E_NS1_11comp_targetILNS1_3genE10ELNS1_11target_archE1200ELNS1_3gpuE4ELNS1_3repE0EEENS1_30default_config_static_selectorELNS0_4arch9wavefront6targetE1EEEvT1_.kd
    .uniform_work_group_size: 1
    .uses_dynamic_stack: false
    .vgpr_count:     0
    .vgpr_spill_count: 0
    .wavefront_size: 64
  - .agpr_count:     0
    .args:
      - .offset:         0
        .size:           56
        .value_kind:     by_value
    .group_segment_fixed_size: 0
    .kernarg_segment_align: 8
    .kernarg_segment_size: 56
    .language:       OpenCL C
    .language_version:
      - 2
      - 0
    .max_flat_workgroup_size: 512
    .name:           _ZN7rocprim17ROCPRIM_400000_NS6detail17trampoline_kernelINS0_14default_configENS1_25transform_config_selectorIlLb0EEEZNS1_14transform_implILb0ES3_S5_NS0_18transform_iteratorINS0_17counting_iteratorImlEEZNS1_24adjacent_difference_implIS3_Lb1ELb0EPlSB_ZN2at6native12_GLOBAL__N_124unique_dim_cuda_templateIjEESt5tupleIJNSC_6TensorESH_SH_EERKSH_lbbbEUlllE1_EE10hipError_tPvRmT2_T3_mT4_P12ihipStream_tbEUlmE_lEESB_NS0_8identityIvEEEESM_SP_SQ_mSR_ST_bEUlT_E_NS1_11comp_targetILNS1_3genE9ELNS1_11target_archE1100ELNS1_3gpuE3ELNS1_3repE0EEENS1_30default_config_static_selectorELNS0_4arch9wavefront6targetE1EEEvT1_
    .private_segment_fixed_size: 0
    .sgpr_count:     6
    .sgpr_spill_count: 0
    .symbol:         _ZN7rocprim17ROCPRIM_400000_NS6detail17trampoline_kernelINS0_14default_configENS1_25transform_config_selectorIlLb0EEEZNS1_14transform_implILb0ES3_S5_NS0_18transform_iteratorINS0_17counting_iteratorImlEEZNS1_24adjacent_difference_implIS3_Lb1ELb0EPlSB_ZN2at6native12_GLOBAL__N_124unique_dim_cuda_templateIjEESt5tupleIJNSC_6TensorESH_SH_EERKSH_lbbbEUlllE1_EE10hipError_tPvRmT2_T3_mT4_P12ihipStream_tbEUlmE_lEESB_NS0_8identityIvEEEESM_SP_SQ_mSR_ST_bEUlT_E_NS1_11comp_targetILNS1_3genE9ELNS1_11target_archE1100ELNS1_3gpuE3ELNS1_3repE0EEENS1_30default_config_static_selectorELNS0_4arch9wavefront6targetE1EEEvT1_.kd
    .uniform_work_group_size: 1
    .uses_dynamic_stack: false
    .vgpr_count:     0
    .vgpr_spill_count: 0
    .wavefront_size: 64
  - .agpr_count:     0
    .args:
      - .offset:         0
        .size:           56
        .value_kind:     by_value
    .group_segment_fixed_size: 0
    .kernarg_segment_align: 8
    .kernarg_segment_size: 56
    .language:       OpenCL C
    .language_version:
      - 2
      - 0
    .max_flat_workgroup_size: 512
    .name:           _ZN7rocprim17ROCPRIM_400000_NS6detail17trampoline_kernelINS0_14default_configENS1_25transform_config_selectorIlLb0EEEZNS1_14transform_implILb0ES3_S5_NS0_18transform_iteratorINS0_17counting_iteratorImlEEZNS1_24adjacent_difference_implIS3_Lb1ELb0EPlSB_ZN2at6native12_GLOBAL__N_124unique_dim_cuda_templateIjEESt5tupleIJNSC_6TensorESH_SH_EERKSH_lbbbEUlllE1_EE10hipError_tPvRmT2_T3_mT4_P12ihipStream_tbEUlmE_lEESB_NS0_8identityIvEEEESM_SP_SQ_mSR_ST_bEUlT_E_NS1_11comp_targetILNS1_3genE8ELNS1_11target_archE1030ELNS1_3gpuE2ELNS1_3repE0EEENS1_30default_config_static_selectorELNS0_4arch9wavefront6targetE1EEEvT1_
    .private_segment_fixed_size: 0
    .sgpr_count:     6
    .sgpr_spill_count: 0
    .symbol:         _ZN7rocprim17ROCPRIM_400000_NS6detail17trampoline_kernelINS0_14default_configENS1_25transform_config_selectorIlLb0EEEZNS1_14transform_implILb0ES3_S5_NS0_18transform_iteratorINS0_17counting_iteratorImlEEZNS1_24adjacent_difference_implIS3_Lb1ELb0EPlSB_ZN2at6native12_GLOBAL__N_124unique_dim_cuda_templateIjEESt5tupleIJNSC_6TensorESH_SH_EERKSH_lbbbEUlllE1_EE10hipError_tPvRmT2_T3_mT4_P12ihipStream_tbEUlmE_lEESB_NS0_8identityIvEEEESM_SP_SQ_mSR_ST_bEUlT_E_NS1_11comp_targetILNS1_3genE8ELNS1_11target_archE1030ELNS1_3gpuE2ELNS1_3repE0EEENS1_30default_config_static_selectorELNS0_4arch9wavefront6targetE1EEEvT1_.kd
    .uniform_work_group_size: 1
    .uses_dynamic_stack: false
    .vgpr_count:     0
    .vgpr_spill_count: 0
    .wavefront_size: 64
  - .agpr_count:     0
    .args:
      - .offset:         0
        .size:           64
        .value_kind:     by_value
    .group_segment_fixed_size: 8448
    .kernarg_segment_align: 8
    .kernarg_segment_size: 64
    .language:       OpenCL C
    .language_version:
      - 2
      - 0
    .max_flat_workgroup_size: 512
    .name:           _ZN7rocprim17ROCPRIM_400000_NS6detail17trampoline_kernelINS0_14default_configENS1_35adjacent_difference_config_selectorILb1ElEEZNS1_24adjacent_difference_implIS3_Lb1ELb0EPlS7_ZN2at6native12_GLOBAL__N_124unique_dim_cuda_templateIjEESt5tupleIJNS8_6TensorESD_SD_EERKSD_lbbbEUlllE1_EE10hipError_tPvRmT2_T3_mT4_P12ihipStream_tbEUlT_E_NS1_11comp_targetILNS1_3genE0ELNS1_11target_archE4294967295ELNS1_3gpuE0ELNS1_3repE0EEENS1_30default_config_static_selectorELNS0_4arch9wavefront6targetE1EEEvT1_
    .private_segment_fixed_size: 0
    .sgpr_count:     42
    .sgpr_spill_count: 0
    .symbol:         _ZN7rocprim17ROCPRIM_400000_NS6detail17trampoline_kernelINS0_14default_configENS1_35adjacent_difference_config_selectorILb1ElEEZNS1_24adjacent_difference_implIS3_Lb1ELb0EPlS7_ZN2at6native12_GLOBAL__N_124unique_dim_cuda_templateIjEESt5tupleIJNS8_6TensorESD_SD_EERKSD_lbbbEUlllE1_EE10hipError_tPvRmT2_T3_mT4_P12ihipStream_tbEUlT_E_NS1_11comp_targetILNS1_3genE0ELNS1_11target_archE4294967295ELNS1_3gpuE0ELNS1_3repE0EEENS1_30default_config_static_selectorELNS0_4arch9wavefront6targetE1EEEvT1_.kd
    .uniform_work_group_size: 1
    .uses_dynamic_stack: false
    .vgpr_count:     16
    .vgpr_spill_count: 0
    .wavefront_size: 64
  - .agpr_count:     0
    .args:
      - .offset:         0
        .size:           64
        .value_kind:     by_value
    .group_segment_fixed_size: 0
    .kernarg_segment_align: 8
    .kernarg_segment_size: 64
    .language:       OpenCL C
    .language_version:
      - 2
      - 0
    .max_flat_workgroup_size: 32
    .name:           _ZN7rocprim17ROCPRIM_400000_NS6detail17trampoline_kernelINS0_14default_configENS1_35adjacent_difference_config_selectorILb1ElEEZNS1_24adjacent_difference_implIS3_Lb1ELb0EPlS7_ZN2at6native12_GLOBAL__N_124unique_dim_cuda_templateIjEESt5tupleIJNS8_6TensorESD_SD_EERKSD_lbbbEUlllE1_EE10hipError_tPvRmT2_T3_mT4_P12ihipStream_tbEUlT_E_NS1_11comp_targetILNS1_3genE10ELNS1_11target_archE1201ELNS1_3gpuE5ELNS1_3repE0EEENS1_30default_config_static_selectorELNS0_4arch9wavefront6targetE1EEEvT1_
    .private_segment_fixed_size: 0
    .sgpr_count:     6
    .sgpr_spill_count: 0
    .symbol:         _ZN7rocprim17ROCPRIM_400000_NS6detail17trampoline_kernelINS0_14default_configENS1_35adjacent_difference_config_selectorILb1ElEEZNS1_24adjacent_difference_implIS3_Lb1ELb0EPlS7_ZN2at6native12_GLOBAL__N_124unique_dim_cuda_templateIjEESt5tupleIJNS8_6TensorESD_SD_EERKSD_lbbbEUlllE1_EE10hipError_tPvRmT2_T3_mT4_P12ihipStream_tbEUlT_E_NS1_11comp_targetILNS1_3genE10ELNS1_11target_archE1201ELNS1_3gpuE5ELNS1_3repE0EEENS1_30default_config_static_selectorELNS0_4arch9wavefront6targetE1EEEvT1_.kd
    .uniform_work_group_size: 1
    .uses_dynamic_stack: false
    .vgpr_count:     0
    .vgpr_spill_count: 0
    .wavefront_size: 64
  - .agpr_count:     0
    .args:
      - .offset:         0
        .size:           64
        .value_kind:     by_value
    .group_segment_fixed_size: 0
    .kernarg_segment_align: 8
    .kernarg_segment_size: 64
    .language:       OpenCL C
    .language_version:
      - 2
      - 0
    .max_flat_workgroup_size: 256
    .name:           _ZN7rocprim17ROCPRIM_400000_NS6detail17trampoline_kernelINS0_14default_configENS1_35adjacent_difference_config_selectorILb1ElEEZNS1_24adjacent_difference_implIS3_Lb1ELb0EPlS7_ZN2at6native12_GLOBAL__N_124unique_dim_cuda_templateIjEESt5tupleIJNS8_6TensorESD_SD_EERKSD_lbbbEUlllE1_EE10hipError_tPvRmT2_T3_mT4_P12ihipStream_tbEUlT_E_NS1_11comp_targetILNS1_3genE5ELNS1_11target_archE942ELNS1_3gpuE9ELNS1_3repE0EEENS1_30default_config_static_selectorELNS0_4arch9wavefront6targetE1EEEvT1_
    .private_segment_fixed_size: 0
    .sgpr_count:     6
    .sgpr_spill_count: 0
    .symbol:         _ZN7rocprim17ROCPRIM_400000_NS6detail17trampoline_kernelINS0_14default_configENS1_35adjacent_difference_config_selectorILb1ElEEZNS1_24adjacent_difference_implIS3_Lb1ELb0EPlS7_ZN2at6native12_GLOBAL__N_124unique_dim_cuda_templateIjEESt5tupleIJNS8_6TensorESD_SD_EERKSD_lbbbEUlllE1_EE10hipError_tPvRmT2_T3_mT4_P12ihipStream_tbEUlT_E_NS1_11comp_targetILNS1_3genE5ELNS1_11target_archE942ELNS1_3gpuE9ELNS1_3repE0EEENS1_30default_config_static_selectorELNS0_4arch9wavefront6targetE1EEEvT1_.kd
    .uniform_work_group_size: 1
    .uses_dynamic_stack: false
    .vgpr_count:     0
    .vgpr_spill_count: 0
    .wavefront_size: 64
  - .agpr_count:     0
    .args:
      - .offset:         0
        .size:           64
        .value_kind:     by_value
    .group_segment_fixed_size: 0
    .kernarg_segment_align: 8
    .kernarg_segment_size: 64
    .language:       OpenCL C
    .language_version:
      - 2
      - 0
    .max_flat_workgroup_size: 512
    .name:           _ZN7rocprim17ROCPRIM_400000_NS6detail17trampoline_kernelINS0_14default_configENS1_35adjacent_difference_config_selectorILb1ElEEZNS1_24adjacent_difference_implIS3_Lb1ELb0EPlS7_ZN2at6native12_GLOBAL__N_124unique_dim_cuda_templateIjEESt5tupleIJNS8_6TensorESD_SD_EERKSD_lbbbEUlllE1_EE10hipError_tPvRmT2_T3_mT4_P12ihipStream_tbEUlT_E_NS1_11comp_targetILNS1_3genE4ELNS1_11target_archE910ELNS1_3gpuE8ELNS1_3repE0EEENS1_30default_config_static_selectorELNS0_4arch9wavefront6targetE1EEEvT1_
    .private_segment_fixed_size: 0
    .sgpr_count:     6
    .sgpr_spill_count: 0
    .symbol:         _ZN7rocprim17ROCPRIM_400000_NS6detail17trampoline_kernelINS0_14default_configENS1_35adjacent_difference_config_selectorILb1ElEEZNS1_24adjacent_difference_implIS3_Lb1ELb0EPlS7_ZN2at6native12_GLOBAL__N_124unique_dim_cuda_templateIjEESt5tupleIJNS8_6TensorESD_SD_EERKSD_lbbbEUlllE1_EE10hipError_tPvRmT2_T3_mT4_P12ihipStream_tbEUlT_E_NS1_11comp_targetILNS1_3genE4ELNS1_11target_archE910ELNS1_3gpuE8ELNS1_3repE0EEENS1_30default_config_static_selectorELNS0_4arch9wavefront6targetE1EEEvT1_.kd
    .uniform_work_group_size: 1
    .uses_dynamic_stack: false
    .vgpr_count:     0
    .vgpr_spill_count: 0
    .wavefront_size: 64
  - .agpr_count:     0
    .args:
      - .offset:         0
        .size:           64
        .value_kind:     by_value
    .group_segment_fixed_size: 0
    .kernarg_segment_align: 8
    .kernarg_segment_size: 64
    .language:       OpenCL C
    .language_version:
      - 2
      - 0
    .max_flat_workgroup_size: 512
    .name:           _ZN7rocprim17ROCPRIM_400000_NS6detail17trampoline_kernelINS0_14default_configENS1_35adjacent_difference_config_selectorILb1ElEEZNS1_24adjacent_difference_implIS3_Lb1ELb0EPlS7_ZN2at6native12_GLOBAL__N_124unique_dim_cuda_templateIjEESt5tupleIJNS8_6TensorESD_SD_EERKSD_lbbbEUlllE1_EE10hipError_tPvRmT2_T3_mT4_P12ihipStream_tbEUlT_E_NS1_11comp_targetILNS1_3genE3ELNS1_11target_archE908ELNS1_3gpuE7ELNS1_3repE0EEENS1_30default_config_static_selectorELNS0_4arch9wavefront6targetE1EEEvT1_
    .private_segment_fixed_size: 0
    .sgpr_count:     6
    .sgpr_spill_count: 0
    .symbol:         _ZN7rocprim17ROCPRIM_400000_NS6detail17trampoline_kernelINS0_14default_configENS1_35adjacent_difference_config_selectorILb1ElEEZNS1_24adjacent_difference_implIS3_Lb1ELb0EPlS7_ZN2at6native12_GLOBAL__N_124unique_dim_cuda_templateIjEESt5tupleIJNS8_6TensorESD_SD_EERKSD_lbbbEUlllE1_EE10hipError_tPvRmT2_T3_mT4_P12ihipStream_tbEUlT_E_NS1_11comp_targetILNS1_3genE3ELNS1_11target_archE908ELNS1_3gpuE7ELNS1_3repE0EEENS1_30default_config_static_selectorELNS0_4arch9wavefront6targetE1EEEvT1_.kd
    .uniform_work_group_size: 1
    .uses_dynamic_stack: false
    .vgpr_count:     0
    .vgpr_spill_count: 0
    .wavefront_size: 64
  - .agpr_count:     0
    .args:
      - .offset:         0
        .size:           64
        .value_kind:     by_value
    .group_segment_fixed_size: 0
    .kernarg_segment_align: 8
    .kernarg_segment_size: 64
    .language:       OpenCL C
    .language_version:
      - 2
      - 0
    .max_flat_workgroup_size: 128
    .name:           _ZN7rocprim17ROCPRIM_400000_NS6detail17trampoline_kernelINS0_14default_configENS1_35adjacent_difference_config_selectorILb1ElEEZNS1_24adjacent_difference_implIS3_Lb1ELb0EPlS7_ZN2at6native12_GLOBAL__N_124unique_dim_cuda_templateIjEESt5tupleIJNS8_6TensorESD_SD_EERKSD_lbbbEUlllE1_EE10hipError_tPvRmT2_T3_mT4_P12ihipStream_tbEUlT_E_NS1_11comp_targetILNS1_3genE2ELNS1_11target_archE906ELNS1_3gpuE6ELNS1_3repE0EEENS1_30default_config_static_selectorELNS0_4arch9wavefront6targetE1EEEvT1_
    .private_segment_fixed_size: 0
    .sgpr_count:     6
    .sgpr_spill_count: 0
    .symbol:         _ZN7rocprim17ROCPRIM_400000_NS6detail17trampoline_kernelINS0_14default_configENS1_35adjacent_difference_config_selectorILb1ElEEZNS1_24adjacent_difference_implIS3_Lb1ELb0EPlS7_ZN2at6native12_GLOBAL__N_124unique_dim_cuda_templateIjEESt5tupleIJNS8_6TensorESD_SD_EERKSD_lbbbEUlllE1_EE10hipError_tPvRmT2_T3_mT4_P12ihipStream_tbEUlT_E_NS1_11comp_targetILNS1_3genE2ELNS1_11target_archE906ELNS1_3gpuE6ELNS1_3repE0EEENS1_30default_config_static_selectorELNS0_4arch9wavefront6targetE1EEEvT1_.kd
    .uniform_work_group_size: 1
    .uses_dynamic_stack: false
    .vgpr_count:     0
    .vgpr_spill_count: 0
    .wavefront_size: 64
  - .agpr_count:     0
    .args:
      - .offset:         0
        .size:           64
        .value_kind:     by_value
    .group_segment_fixed_size: 0
    .kernarg_segment_align: 8
    .kernarg_segment_size: 64
    .language:       OpenCL C
    .language_version:
      - 2
      - 0
    .max_flat_workgroup_size: 128
    .name:           _ZN7rocprim17ROCPRIM_400000_NS6detail17trampoline_kernelINS0_14default_configENS1_35adjacent_difference_config_selectorILb1ElEEZNS1_24adjacent_difference_implIS3_Lb1ELb0EPlS7_ZN2at6native12_GLOBAL__N_124unique_dim_cuda_templateIjEESt5tupleIJNS8_6TensorESD_SD_EERKSD_lbbbEUlllE1_EE10hipError_tPvRmT2_T3_mT4_P12ihipStream_tbEUlT_E_NS1_11comp_targetILNS1_3genE9ELNS1_11target_archE1100ELNS1_3gpuE3ELNS1_3repE0EEENS1_30default_config_static_selectorELNS0_4arch9wavefront6targetE1EEEvT1_
    .private_segment_fixed_size: 0
    .sgpr_count:     6
    .sgpr_spill_count: 0
    .symbol:         _ZN7rocprim17ROCPRIM_400000_NS6detail17trampoline_kernelINS0_14default_configENS1_35adjacent_difference_config_selectorILb1ElEEZNS1_24adjacent_difference_implIS3_Lb1ELb0EPlS7_ZN2at6native12_GLOBAL__N_124unique_dim_cuda_templateIjEESt5tupleIJNS8_6TensorESD_SD_EERKSD_lbbbEUlllE1_EE10hipError_tPvRmT2_T3_mT4_P12ihipStream_tbEUlT_E_NS1_11comp_targetILNS1_3genE9ELNS1_11target_archE1100ELNS1_3gpuE3ELNS1_3repE0EEENS1_30default_config_static_selectorELNS0_4arch9wavefront6targetE1EEEvT1_.kd
    .uniform_work_group_size: 1
    .uses_dynamic_stack: false
    .vgpr_count:     0
    .vgpr_spill_count: 0
    .wavefront_size: 64
  - .agpr_count:     0
    .args:
      - .offset:         0
        .size:           64
        .value_kind:     by_value
    .group_segment_fixed_size: 0
    .kernarg_segment_align: 8
    .kernarg_segment_size: 64
    .language:       OpenCL C
    .language_version:
      - 2
      - 0
    .max_flat_workgroup_size: 32
    .name:           _ZN7rocprim17ROCPRIM_400000_NS6detail17trampoline_kernelINS0_14default_configENS1_35adjacent_difference_config_selectorILb1ElEEZNS1_24adjacent_difference_implIS3_Lb1ELb0EPlS7_ZN2at6native12_GLOBAL__N_124unique_dim_cuda_templateIjEESt5tupleIJNS8_6TensorESD_SD_EERKSD_lbbbEUlllE1_EE10hipError_tPvRmT2_T3_mT4_P12ihipStream_tbEUlT_E_NS1_11comp_targetILNS1_3genE8ELNS1_11target_archE1030ELNS1_3gpuE2ELNS1_3repE0EEENS1_30default_config_static_selectorELNS0_4arch9wavefront6targetE1EEEvT1_
    .private_segment_fixed_size: 0
    .sgpr_count:     6
    .sgpr_spill_count: 0
    .symbol:         _ZN7rocprim17ROCPRIM_400000_NS6detail17trampoline_kernelINS0_14default_configENS1_35adjacent_difference_config_selectorILb1ElEEZNS1_24adjacent_difference_implIS3_Lb1ELb0EPlS7_ZN2at6native12_GLOBAL__N_124unique_dim_cuda_templateIjEESt5tupleIJNS8_6TensorESD_SD_EERKSD_lbbbEUlllE1_EE10hipError_tPvRmT2_T3_mT4_P12ihipStream_tbEUlT_E_NS1_11comp_targetILNS1_3genE8ELNS1_11target_archE1030ELNS1_3gpuE2ELNS1_3repE0EEENS1_30default_config_static_selectorELNS0_4arch9wavefront6targetE1EEEvT1_.kd
    .uniform_work_group_size: 1
    .uses_dynamic_stack: false
    .vgpr_count:     0
    .vgpr_spill_count: 0
    .wavefront_size: 64
  - .agpr_count:     0
    .args:
      - .offset:         0
        .size:           120
        .value_kind:     by_value
    .group_segment_fixed_size: 28680
    .kernarg_segment_align: 8
    .kernarg_segment_size: 120
    .language:       OpenCL C
    .language_version:
      - 2
      - 0
    .max_flat_workgroup_size: 512
    .name:           _ZN7rocprim17ROCPRIM_400000_NS6detail17trampoline_kernelINS0_14default_configENS1_25partition_config_selectorILNS1_17partition_subalgoE8ElNS0_10empty_typeEbEEZZNS1_14partition_implILS5_8ELb0ES3_jPlPS6_PKS6_NS0_5tupleIJS9_S6_EEENSD_IJSA_SA_EEENS0_18inequality_wrapperIZN2at6native12_GLOBAL__N_124unique_dim_cuda_templateIjEESt5tupleIJNSH_6TensorESM_SM_EERKSM_lbbbEUlllE0_EEPmJS6_EEE10hipError_tPvRmT3_T4_T5_T6_T7_T9_mT8_P12ihipStream_tbDpT10_ENKUlT_T0_E_clISt17integral_constantIbLb0EES1C_EEDaS17_S18_EUlS17_E_NS1_11comp_targetILNS1_3genE0ELNS1_11target_archE4294967295ELNS1_3gpuE0ELNS1_3repE0EEENS1_30default_config_static_selectorELNS0_4arch9wavefront6targetE1EEEvT1_
    .private_segment_fixed_size: 0
    .sgpr_count:     56
    .sgpr_spill_count: 0
    .symbol:         _ZN7rocprim17ROCPRIM_400000_NS6detail17trampoline_kernelINS0_14default_configENS1_25partition_config_selectorILNS1_17partition_subalgoE8ElNS0_10empty_typeEbEEZZNS1_14partition_implILS5_8ELb0ES3_jPlPS6_PKS6_NS0_5tupleIJS9_S6_EEENSD_IJSA_SA_EEENS0_18inequality_wrapperIZN2at6native12_GLOBAL__N_124unique_dim_cuda_templateIjEESt5tupleIJNSH_6TensorESM_SM_EERKSM_lbbbEUlllE0_EEPmJS6_EEE10hipError_tPvRmT3_T4_T5_T6_T7_T9_mT8_P12ihipStream_tbDpT10_ENKUlT_T0_E_clISt17integral_constantIbLb0EES1C_EEDaS17_S18_EUlS17_E_NS1_11comp_targetILNS1_3genE0ELNS1_11target_archE4294967295ELNS1_3gpuE0ELNS1_3repE0EEENS1_30default_config_static_selectorELNS0_4arch9wavefront6targetE1EEEvT1_.kd
    .uniform_work_group_size: 1
    .uses_dynamic_stack: false
    .vgpr_count:     58
    .vgpr_spill_count: 0
    .wavefront_size: 64
  - .agpr_count:     0
    .args:
      - .offset:         0
        .size:           120
        .value_kind:     by_value
    .group_segment_fixed_size: 0
    .kernarg_segment_align: 8
    .kernarg_segment_size: 120
    .language:       OpenCL C
    .language_version:
      - 2
      - 0
    .max_flat_workgroup_size: 512
    .name:           _ZN7rocprim17ROCPRIM_400000_NS6detail17trampoline_kernelINS0_14default_configENS1_25partition_config_selectorILNS1_17partition_subalgoE8ElNS0_10empty_typeEbEEZZNS1_14partition_implILS5_8ELb0ES3_jPlPS6_PKS6_NS0_5tupleIJS9_S6_EEENSD_IJSA_SA_EEENS0_18inequality_wrapperIZN2at6native12_GLOBAL__N_124unique_dim_cuda_templateIjEESt5tupleIJNSH_6TensorESM_SM_EERKSM_lbbbEUlllE0_EEPmJS6_EEE10hipError_tPvRmT3_T4_T5_T6_T7_T9_mT8_P12ihipStream_tbDpT10_ENKUlT_T0_E_clISt17integral_constantIbLb0EES1C_EEDaS17_S18_EUlS17_E_NS1_11comp_targetILNS1_3genE5ELNS1_11target_archE942ELNS1_3gpuE9ELNS1_3repE0EEENS1_30default_config_static_selectorELNS0_4arch9wavefront6targetE1EEEvT1_
    .private_segment_fixed_size: 0
    .sgpr_count:     6
    .sgpr_spill_count: 0
    .symbol:         _ZN7rocprim17ROCPRIM_400000_NS6detail17trampoline_kernelINS0_14default_configENS1_25partition_config_selectorILNS1_17partition_subalgoE8ElNS0_10empty_typeEbEEZZNS1_14partition_implILS5_8ELb0ES3_jPlPS6_PKS6_NS0_5tupleIJS9_S6_EEENSD_IJSA_SA_EEENS0_18inequality_wrapperIZN2at6native12_GLOBAL__N_124unique_dim_cuda_templateIjEESt5tupleIJNSH_6TensorESM_SM_EERKSM_lbbbEUlllE0_EEPmJS6_EEE10hipError_tPvRmT3_T4_T5_T6_T7_T9_mT8_P12ihipStream_tbDpT10_ENKUlT_T0_E_clISt17integral_constantIbLb0EES1C_EEDaS17_S18_EUlS17_E_NS1_11comp_targetILNS1_3genE5ELNS1_11target_archE942ELNS1_3gpuE9ELNS1_3repE0EEENS1_30default_config_static_selectorELNS0_4arch9wavefront6targetE1EEEvT1_.kd
    .uniform_work_group_size: 1
    .uses_dynamic_stack: false
    .vgpr_count:     0
    .vgpr_spill_count: 0
    .wavefront_size: 64
  - .agpr_count:     0
    .args:
      - .offset:         0
        .size:           120
        .value_kind:     by_value
    .group_segment_fixed_size: 0
    .kernarg_segment_align: 8
    .kernarg_segment_size: 120
    .language:       OpenCL C
    .language_version:
      - 2
      - 0
    .max_flat_workgroup_size: 256
    .name:           _ZN7rocprim17ROCPRIM_400000_NS6detail17trampoline_kernelINS0_14default_configENS1_25partition_config_selectorILNS1_17partition_subalgoE8ElNS0_10empty_typeEbEEZZNS1_14partition_implILS5_8ELb0ES3_jPlPS6_PKS6_NS0_5tupleIJS9_S6_EEENSD_IJSA_SA_EEENS0_18inequality_wrapperIZN2at6native12_GLOBAL__N_124unique_dim_cuda_templateIjEESt5tupleIJNSH_6TensorESM_SM_EERKSM_lbbbEUlllE0_EEPmJS6_EEE10hipError_tPvRmT3_T4_T5_T6_T7_T9_mT8_P12ihipStream_tbDpT10_ENKUlT_T0_E_clISt17integral_constantIbLb0EES1C_EEDaS17_S18_EUlS17_E_NS1_11comp_targetILNS1_3genE4ELNS1_11target_archE910ELNS1_3gpuE8ELNS1_3repE0EEENS1_30default_config_static_selectorELNS0_4arch9wavefront6targetE1EEEvT1_
    .private_segment_fixed_size: 0
    .sgpr_count:     6
    .sgpr_spill_count: 0
    .symbol:         _ZN7rocprim17ROCPRIM_400000_NS6detail17trampoline_kernelINS0_14default_configENS1_25partition_config_selectorILNS1_17partition_subalgoE8ElNS0_10empty_typeEbEEZZNS1_14partition_implILS5_8ELb0ES3_jPlPS6_PKS6_NS0_5tupleIJS9_S6_EEENSD_IJSA_SA_EEENS0_18inequality_wrapperIZN2at6native12_GLOBAL__N_124unique_dim_cuda_templateIjEESt5tupleIJNSH_6TensorESM_SM_EERKSM_lbbbEUlllE0_EEPmJS6_EEE10hipError_tPvRmT3_T4_T5_T6_T7_T9_mT8_P12ihipStream_tbDpT10_ENKUlT_T0_E_clISt17integral_constantIbLb0EES1C_EEDaS17_S18_EUlS17_E_NS1_11comp_targetILNS1_3genE4ELNS1_11target_archE910ELNS1_3gpuE8ELNS1_3repE0EEENS1_30default_config_static_selectorELNS0_4arch9wavefront6targetE1EEEvT1_.kd
    .uniform_work_group_size: 1
    .uses_dynamic_stack: false
    .vgpr_count:     0
    .vgpr_spill_count: 0
    .wavefront_size: 64
  - .agpr_count:     0
    .args:
      - .offset:         0
        .size:           120
        .value_kind:     by_value
    .group_segment_fixed_size: 0
    .kernarg_segment_align: 8
    .kernarg_segment_size: 120
    .language:       OpenCL C
    .language_version:
      - 2
      - 0
    .max_flat_workgroup_size: 512
    .name:           _ZN7rocprim17ROCPRIM_400000_NS6detail17trampoline_kernelINS0_14default_configENS1_25partition_config_selectorILNS1_17partition_subalgoE8ElNS0_10empty_typeEbEEZZNS1_14partition_implILS5_8ELb0ES3_jPlPS6_PKS6_NS0_5tupleIJS9_S6_EEENSD_IJSA_SA_EEENS0_18inequality_wrapperIZN2at6native12_GLOBAL__N_124unique_dim_cuda_templateIjEESt5tupleIJNSH_6TensorESM_SM_EERKSM_lbbbEUlllE0_EEPmJS6_EEE10hipError_tPvRmT3_T4_T5_T6_T7_T9_mT8_P12ihipStream_tbDpT10_ENKUlT_T0_E_clISt17integral_constantIbLb0EES1C_EEDaS17_S18_EUlS17_E_NS1_11comp_targetILNS1_3genE3ELNS1_11target_archE908ELNS1_3gpuE7ELNS1_3repE0EEENS1_30default_config_static_selectorELNS0_4arch9wavefront6targetE1EEEvT1_
    .private_segment_fixed_size: 0
    .sgpr_count:     6
    .sgpr_spill_count: 0
    .symbol:         _ZN7rocprim17ROCPRIM_400000_NS6detail17trampoline_kernelINS0_14default_configENS1_25partition_config_selectorILNS1_17partition_subalgoE8ElNS0_10empty_typeEbEEZZNS1_14partition_implILS5_8ELb0ES3_jPlPS6_PKS6_NS0_5tupleIJS9_S6_EEENSD_IJSA_SA_EEENS0_18inequality_wrapperIZN2at6native12_GLOBAL__N_124unique_dim_cuda_templateIjEESt5tupleIJNSH_6TensorESM_SM_EERKSM_lbbbEUlllE0_EEPmJS6_EEE10hipError_tPvRmT3_T4_T5_T6_T7_T9_mT8_P12ihipStream_tbDpT10_ENKUlT_T0_E_clISt17integral_constantIbLb0EES1C_EEDaS17_S18_EUlS17_E_NS1_11comp_targetILNS1_3genE3ELNS1_11target_archE908ELNS1_3gpuE7ELNS1_3repE0EEENS1_30default_config_static_selectorELNS0_4arch9wavefront6targetE1EEEvT1_.kd
    .uniform_work_group_size: 1
    .uses_dynamic_stack: false
    .vgpr_count:     0
    .vgpr_spill_count: 0
    .wavefront_size: 64
  - .agpr_count:     0
    .args:
      - .offset:         0
        .size:           120
        .value_kind:     by_value
    .group_segment_fixed_size: 0
    .kernarg_segment_align: 8
    .kernarg_segment_size: 120
    .language:       OpenCL C
    .language_version:
      - 2
      - 0
    .max_flat_workgroup_size: 256
    .name:           _ZN7rocprim17ROCPRIM_400000_NS6detail17trampoline_kernelINS0_14default_configENS1_25partition_config_selectorILNS1_17partition_subalgoE8ElNS0_10empty_typeEbEEZZNS1_14partition_implILS5_8ELb0ES3_jPlPS6_PKS6_NS0_5tupleIJS9_S6_EEENSD_IJSA_SA_EEENS0_18inequality_wrapperIZN2at6native12_GLOBAL__N_124unique_dim_cuda_templateIjEESt5tupleIJNSH_6TensorESM_SM_EERKSM_lbbbEUlllE0_EEPmJS6_EEE10hipError_tPvRmT3_T4_T5_T6_T7_T9_mT8_P12ihipStream_tbDpT10_ENKUlT_T0_E_clISt17integral_constantIbLb0EES1C_EEDaS17_S18_EUlS17_E_NS1_11comp_targetILNS1_3genE2ELNS1_11target_archE906ELNS1_3gpuE6ELNS1_3repE0EEENS1_30default_config_static_selectorELNS0_4arch9wavefront6targetE1EEEvT1_
    .private_segment_fixed_size: 0
    .sgpr_count:     6
    .sgpr_spill_count: 0
    .symbol:         _ZN7rocprim17ROCPRIM_400000_NS6detail17trampoline_kernelINS0_14default_configENS1_25partition_config_selectorILNS1_17partition_subalgoE8ElNS0_10empty_typeEbEEZZNS1_14partition_implILS5_8ELb0ES3_jPlPS6_PKS6_NS0_5tupleIJS9_S6_EEENSD_IJSA_SA_EEENS0_18inequality_wrapperIZN2at6native12_GLOBAL__N_124unique_dim_cuda_templateIjEESt5tupleIJNSH_6TensorESM_SM_EERKSM_lbbbEUlllE0_EEPmJS6_EEE10hipError_tPvRmT3_T4_T5_T6_T7_T9_mT8_P12ihipStream_tbDpT10_ENKUlT_T0_E_clISt17integral_constantIbLb0EES1C_EEDaS17_S18_EUlS17_E_NS1_11comp_targetILNS1_3genE2ELNS1_11target_archE906ELNS1_3gpuE6ELNS1_3repE0EEENS1_30default_config_static_selectorELNS0_4arch9wavefront6targetE1EEEvT1_.kd
    .uniform_work_group_size: 1
    .uses_dynamic_stack: false
    .vgpr_count:     0
    .vgpr_spill_count: 0
    .wavefront_size: 64
  - .agpr_count:     0
    .args:
      - .offset:         0
        .size:           120
        .value_kind:     by_value
    .group_segment_fixed_size: 0
    .kernarg_segment_align: 8
    .kernarg_segment_size: 120
    .language:       OpenCL C
    .language_version:
      - 2
      - 0
    .max_flat_workgroup_size: 384
    .name:           _ZN7rocprim17ROCPRIM_400000_NS6detail17trampoline_kernelINS0_14default_configENS1_25partition_config_selectorILNS1_17partition_subalgoE8ElNS0_10empty_typeEbEEZZNS1_14partition_implILS5_8ELb0ES3_jPlPS6_PKS6_NS0_5tupleIJS9_S6_EEENSD_IJSA_SA_EEENS0_18inequality_wrapperIZN2at6native12_GLOBAL__N_124unique_dim_cuda_templateIjEESt5tupleIJNSH_6TensorESM_SM_EERKSM_lbbbEUlllE0_EEPmJS6_EEE10hipError_tPvRmT3_T4_T5_T6_T7_T9_mT8_P12ihipStream_tbDpT10_ENKUlT_T0_E_clISt17integral_constantIbLb0EES1C_EEDaS17_S18_EUlS17_E_NS1_11comp_targetILNS1_3genE10ELNS1_11target_archE1200ELNS1_3gpuE4ELNS1_3repE0EEENS1_30default_config_static_selectorELNS0_4arch9wavefront6targetE1EEEvT1_
    .private_segment_fixed_size: 0
    .sgpr_count:     6
    .sgpr_spill_count: 0
    .symbol:         _ZN7rocprim17ROCPRIM_400000_NS6detail17trampoline_kernelINS0_14default_configENS1_25partition_config_selectorILNS1_17partition_subalgoE8ElNS0_10empty_typeEbEEZZNS1_14partition_implILS5_8ELb0ES3_jPlPS6_PKS6_NS0_5tupleIJS9_S6_EEENSD_IJSA_SA_EEENS0_18inequality_wrapperIZN2at6native12_GLOBAL__N_124unique_dim_cuda_templateIjEESt5tupleIJNSH_6TensorESM_SM_EERKSM_lbbbEUlllE0_EEPmJS6_EEE10hipError_tPvRmT3_T4_T5_T6_T7_T9_mT8_P12ihipStream_tbDpT10_ENKUlT_T0_E_clISt17integral_constantIbLb0EES1C_EEDaS17_S18_EUlS17_E_NS1_11comp_targetILNS1_3genE10ELNS1_11target_archE1200ELNS1_3gpuE4ELNS1_3repE0EEENS1_30default_config_static_selectorELNS0_4arch9wavefront6targetE1EEEvT1_.kd
    .uniform_work_group_size: 1
    .uses_dynamic_stack: false
    .vgpr_count:     0
    .vgpr_spill_count: 0
    .wavefront_size: 64
  - .agpr_count:     0
    .args:
      - .offset:         0
        .size:           120
        .value_kind:     by_value
    .group_segment_fixed_size: 0
    .kernarg_segment_align: 8
    .kernarg_segment_size: 120
    .language:       OpenCL C
    .language_version:
      - 2
      - 0
    .max_flat_workgroup_size: 512
    .name:           _ZN7rocprim17ROCPRIM_400000_NS6detail17trampoline_kernelINS0_14default_configENS1_25partition_config_selectorILNS1_17partition_subalgoE8ElNS0_10empty_typeEbEEZZNS1_14partition_implILS5_8ELb0ES3_jPlPS6_PKS6_NS0_5tupleIJS9_S6_EEENSD_IJSA_SA_EEENS0_18inequality_wrapperIZN2at6native12_GLOBAL__N_124unique_dim_cuda_templateIjEESt5tupleIJNSH_6TensorESM_SM_EERKSM_lbbbEUlllE0_EEPmJS6_EEE10hipError_tPvRmT3_T4_T5_T6_T7_T9_mT8_P12ihipStream_tbDpT10_ENKUlT_T0_E_clISt17integral_constantIbLb0EES1C_EEDaS17_S18_EUlS17_E_NS1_11comp_targetILNS1_3genE9ELNS1_11target_archE1100ELNS1_3gpuE3ELNS1_3repE0EEENS1_30default_config_static_selectorELNS0_4arch9wavefront6targetE1EEEvT1_
    .private_segment_fixed_size: 0
    .sgpr_count:     6
    .sgpr_spill_count: 0
    .symbol:         _ZN7rocprim17ROCPRIM_400000_NS6detail17trampoline_kernelINS0_14default_configENS1_25partition_config_selectorILNS1_17partition_subalgoE8ElNS0_10empty_typeEbEEZZNS1_14partition_implILS5_8ELb0ES3_jPlPS6_PKS6_NS0_5tupleIJS9_S6_EEENSD_IJSA_SA_EEENS0_18inequality_wrapperIZN2at6native12_GLOBAL__N_124unique_dim_cuda_templateIjEESt5tupleIJNSH_6TensorESM_SM_EERKSM_lbbbEUlllE0_EEPmJS6_EEE10hipError_tPvRmT3_T4_T5_T6_T7_T9_mT8_P12ihipStream_tbDpT10_ENKUlT_T0_E_clISt17integral_constantIbLb0EES1C_EEDaS17_S18_EUlS17_E_NS1_11comp_targetILNS1_3genE9ELNS1_11target_archE1100ELNS1_3gpuE3ELNS1_3repE0EEENS1_30default_config_static_selectorELNS0_4arch9wavefront6targetE1EEEvT1_.kd
    .uniform_work_group_size: 1
    .uses_dynamic_stack: false
    .vgpr_count:     0
    .vgpr_spill_count: 0
    .wavefront_size: 64
  - .agpr_count:     0
    .args:
      - .offset:         0
        .size:           120
        .value_kind:     by_value
    .group_segment_fixed_size: 0
    .kernarg_segment_align: 8
    .kernarg_segment_size: 120
    .language:       OpenCL C
    .language_version:
      - 2
      - 0
    .max_flat_workgroup_size: 512
    .name:           _ZN7rocprim17ROCPRIM_400000_NS6detail17trampoline_kernelINS0_14default_configENS1_25partition_config_selectorILNS1_17partition_subalgoE8ElNS0_10empty_typeEbEEZZNS1_14partition_implILS5_8ELb0ES3_jPlPS6_PKS6_NS0_5tupleIJS9_S6_EEENSD_IJSA_SA_EEENS0_18inequality_wrapperIZN2at6native12_GLOBAL__N_124unique_dim_cuda_templateIjEESt5tupleIJNSH_6TensorESM_SM_EERKSM_lbbbEUlllE0_EEPmJS6_EEE10hipError_tPvRmT3_T4_T5_T6_T7_T9_mT8_P12ihipStream_tbDpT10_ENKUlT_T0_E_clISt17integral_constantIbLb0EES1C_EEDaS17_S18_EUlS17_E_NS1_11comp_targetILNS1_3genE8ELNS1_11target_archE1030ELNS1_3gpuE2ELNS1_3repE0EEENS1_30default_config_static_selectorELNS0_4arch9wavefront6targetE1EEEvT1_
    .private_segment_fixed_size: 0
    .sgpr_count:     6
    .sgpr_spill_count: 0
    .symbol:         _ZN7rocprim17ROCPRIM_400000_NS6detail17trampoline_kernelINS0_14default_configENS1_25partition_config_selectorILNS1_17partition_subalgoE8ElNS0_10empty_typeEbEEZZNS1_14partition_implILS5_8ELb0ES3_jPlPS6_PKS6_NS0_5tupleIJS9_S6_EEENSD_IJSA_SA_EEENS0_18inequality_wrapperIZN2at6native12_GLOBAL__N_124unique_dim_cuda_templateIjEESt5tupleIJNSH_6TensorESM_SM_EERKSM_lbbbEUlllE0_EEPmJS6_EEE10hipError_tPvRmT3_T4_T5_T6_T7_T9_mT8_P12ihipStream_tbDpT10_ENKUlT_T0_E_clISt17integral_constantIbLb0EES1C_EEDaS17_S18_EUlS17_E_NS1_11comp_targetILNS1_3genE8ELNS1_11target_archE1030ELNS1_3gpuE2ELNS1_3repE0EEENS1_30default_config_static_selectorELNS0_4arch9wavefront6targetE1EEEvT1_.kd
    .uniform_work_group_size: 1
    .uses_dynamic_stack: false
    .vgpr_count:     0
    .vgpr_spill_count: 0
    .wavefront_size: 64
  - .agpr_count:     0
    .args:
      - .offset:         0
        .size:           136
        .value_kind:     by_value
    .group_segment_fixed_size: 0
    .kernarg_segment_align: 8
    .kernarg_segment_size: 136
    .language:       OpenCL C
    .language_version:
      - 2
      - 0
    .max_flat_workgroup_size: 512
    .name:           _ZN7rocprim17ROCPRIM_400000_NS6detail17trampoline_kernelINS0_14default_configENS1_25partition_config_selectorILNS1_17partition_subalgoE8ElNS0_10empty_typeEbEEZZNS1_14partition_implILS5_8ELb0ES3_jPlPS6_PKS6_NS0_5tupleIJS9_S6_EEENSD_IJSA_SA_EEENS0_18inequality_wrapperIZN2at6native12_GLOBAL__N_124unique_dim_cuda_templateIjEESt5tupleIJNSH_6TensorESM_SM_EERKSM_lbbbEUlllE0_EEPmJS6_EEE10hipError_tPvRmT3_T4_T5_T6_T7_T9_mT8_P12ihipStream_tbDpT10_ENKUlT_T0_E_clISt17integral_constantIbLb1EES1C_EEDaS17_S18_EUlS17_E_NS1_11comp_targetILNS1_3genE0ELNS1_11target_archE4294967295ELNS1_3gpuE0ELNS1_3repE0EEENS1_30default_config_static_selectorELNS0_4arch9wavefront6targetE1EEEvT1_
    .private_segment_fixed_size: 0
    .sgpr_count:     6
    .sgpr_spill_count: 0
    .symbol:         _ZN7rocprim17ROCPRIM_400000_NS6detail17trampoline_kernelINS0_14default_configENS1_25partition_config_selectorILNS1_17partition_subalgoE8ElNS0_10empty_typeEbEEZZNS1_14partition_implILS5_8ELb0ES3_jPlPS6_PKS6_NS0_5tupleIJS9_S6_EEENSD_IJSA_SA_EEENS0_18inequality_wrapperIZN2at6native12_GLOBAL__N_124unique_dim_cuda_templateIjEESt5tupleIJNSH_6TensorESM_SM_EERKSM_lbbbEUlllE0_EEPmJS6_EEE10hipError_tPvRmT3_T4_T5_T6_T7_T9_mT8_P12ihipStream_tbDpT10_ENKUlT_T0_E_clISt17integral_constantIbLb1EES1C_EEDaS17_S18_EUlS17_E_NS1_11comp_targetILNS1_3genE0ELNS1_11target_archE4294967295ELNS1_3gpuE0ELNS1_3repE0EEENS1_30default_config_static_selectorELNS0_4arch9wavefront6targetE1EEEvT1_.kd
    .uniform_work_group_size: 1
    .uses_dynamic_stack: false
    .vgpr_count:     0
    .vgpr_spill_count: 0
    .wavefront_size: 64
  - .agpr_count:     0
    .args:
      - .offset:         0
        .size:           136
        .value_kind:     by_value
    .group_segment_fixed_size: 0
    .kernarg_segment_align: 8
    .kernarg_segment_size: 136
    .language:       OpenCL C
    .language_version:
      - 2
      - 0
    .max_flat_workgroup_size: 512
    .name:           _ZN7rocprim17ROCPRIM_400000_NS6detail17trampoline_kernelINS0_14default_configENS1_25partition_config_selectorILNS1_17partition_subalgoE8ElNS0_10empty_typeEbEEZZNS1_14partition_implILS5_8ELb0ES3_jPlPS6_PKS6_NS0_5tupleIJS9_S6_EEENSD_IJSA_SA_EEENS0_18inequality_wrapperIZN2at6native12_GLOBAL__N_124unique_dim_cuda_templateIjEESt5tupleIJNSH_6TensorESM_SM_EERKSM_lbbbEUlllE0_EEPmJS6_EEE10hipError_tPvRmT3_T4_T5_T6_T7_T9_mT8_P12ihipStream_tbDpT10_ENKUlT_T0_E_clISt17integral_constantIbLb1EES1C_EEDaS17_S18_EUlS17_E_NS1_11comp_targetILNS1_3genE5ELNS1_11target_archE942ELNS1_3gpuE9ELNS1_3repE0EEENS1_30default_config_static_selectorELNS0_4arch9wavefront6targetE1EEEvT1_
    .private_segment_fixed_size: 0
    .sgpr_count:     6
    .sgpr_spill_count: 0
    .symbol:         _ZN7rocprim17ROCPRIM_400000_NS6detail17trampoline_kernelINS0_14default_configENS1_25partition_config_selectorILNS1_17partition_subalgoE8ElNS0_10empty_typeEbEEZZNS1_14partition_implILS5_8ELb0ES3_jPlPS6_PKS6_NS0_5tupleIJS9_S6_EEENSD_IJSA_SA_EEENS0_18inequality_wrapperIZN2at6native12_GLOBAL__N_124unique_dim_cuda_templateIjEESt5tupleIJNSH_6TensorESM_SM_EERKSM_lbbbEUlllE0_EEPmJS6_EEE10hipError_tPvRmT3_T4_T5_T6_T7_T9_mT8_P12ihipStream_tbDpT10_ENKUlT_T0_E_clISt17integral_constantIbLb1EES1C_EEDaS17_S18_EUlS17_E_NS1_11comp_targetILNS1_3genE5ELNS1_11target_archE942ELNS1_3gpuE9ELNS1_3repE0EEENS1_30default_config_static_selectorELNS0_4arch9wavefront6targetE1EEEvT1_.kd
    .uniform_work_group_size: 1
    .uses_dynamic_stack: false
    .vgpr_count:     0
    .vgpr_spill_count: 0
    .wavefront_size: 64
  - .agpr_count:     0
    .args:
      - .offset:         0
        .size:           136
        .value_kind:     by_value
    .group_segment_fixed_size: 0
    .kernarg_segment_align: 8
    .kernarg_segment_size: 136
    .language:       OpenCL C
    .language_version:
      - 2
      - 0
    .max_flat_workgroup_size: 256
    .name:           _ZN7rocprim17ROCPRIM_400000_NS6detail17trampoline_kernelINS0_14default_configENS1_25partition_config_selectorILNS1_17partition_subalgoE8ElNS0_10empty_typeEbEEZZNS1_14partition_implILS5_8ELb0ES3_jPlPS6_PKS6_NS0_5tupleIJS9_S6_EEENSD_IJSA_SA_EEENS0_18inequality_wrapperIZN2at6native12_GLOBAL__N_124unique_dim_cuda_templateIjEESt5tupleIJNSH_6TensorESM_SM_EERKSM_lbbbEUlllE0_EEPmJS6_EEE10hipError_tPvRmT3_T4_T5_T6_T7_T9_mT8_P12ihipStream_tbDpT10_ENKUlT_T0_E_clISt17integral_constantIbLb1EES1C_EEDaS17_S18_EUlS17_E_NS1_11comp_targetILNS1_3genE4ELNS1_11target_archE910ELNS1_3gpuE8ELNS1_3repE0EEENS1_30default_config_static_selectorELNS0_4arch9wavefront6targetE1EEEvT1_
    .private_segment_fixed_size: 0
    .sgpr_count:     6
    .sgpr_spill_count: 0
    .symbol:         _ZN7rocprim17ROCPRIM_400000_NS6detail17trampoline_kernelINS0_14default_configENS1_25partition_config_selectorILNS1_17partition_subalgoE8ElNS0_10empty_typeEbEEZZNS1_14partition_implILS5_8ELb0ES3_jPlPS6_PKS6_NS0_5tupleIJS9_S6_EEENSD_IJSA_SA_EEENS0_18inequality_wrapperIZN2at6native12_GLOBAL__N_124unique_dim_cuda_templateIjEESt5tupleIJNSH_6TensorESM_SM_EERKSM_lbbbEUlllE0_EEPmJS6_EEE10hipError_tPvRmT3_T4_T5_T6_T7_T9_mT8_P12ihipStream_tbDpT10_ENKUlT_T0_E_clISt17integral_constantIbLb1EES1C_EEDaS17_S18_EUlS17_E_NS1_11comp_targetILNS1_3genE4ELNS1_11target_archE910ELNS1_3gpuE8ELNS1_3repE0EEENS1_30default_config_static_selectorELNS0_4arch9wavefront6targetE1EEEvT1_.kd
    .uniform_work_group_size: 1
    .uses_dynamic_stack: false
    .vgpr_count:     0
    .vgpr_spill_count: 0
    .wavefront_size: 64
  - .agpr_count:     0
    .args:
      - .offset:         0
        .size:           136
        .value_kind:     by_value
    .group_segment_fixed_size: 0
    .kernarg_segment_align: 8
    .kernarg_segment_size: 136
    .language:       OpenCL C
    .language_version:
      - 2
      - 0
    .max_flat_workgroup_size: 512
    .name:           _ZN7rocprim17ROCPRIM_400000_NS6detail17trampoline_kernelINS0_14default_configENS1_25partition_config_selectorILNS1_17partition_subalgoE8ElNS0_10empty_typeEbEEZZNS1_14partition_implILS5_8ELb0ES3_jPlPS6_PKS6_NS0_5tupleIJS9_S6_EEENSD_IJSA_SA_EEENS0_18inequality_wrapperIZN2at6native12_GLOBAL__N_124unique_dim_cuda_templateIjEESt5tupleIJNSH_6TensorESM_SM_EERKSM_lbbbEUlllE0_EEPmJS6_EEE10hipError_tPvRmT3_T4_T5_T6_T7_T9_mT8_P12ihipStream_tbDpT10_ENKUlT_T0_E_clISt17integral_constantIbLb1EES1C_EEDaS17_S18_EUlS17_E_NS1_11comp_targetILNS1_3genE3ELNS1_11target_archE908ELNS1_3gpuE7ELNS1_3repE0EEENS1_30default_config_static_selectorELNS0_4arch9wavefront6targetE1EEEvT1_
    .private_segment_fixed_size: 0
    .sgpr_count:     6
    .sgpr_spill_count: 0
    .symbol:         _ZN7rocprim17ROCPRIM_400000_NS6detail17trampoline_kernelINS0_14default_configENS1_25partition_config_selectorILNS1_17partition_subalgoE8ElNS0_10empty_typeEbEEZZNS1_14partition_implILS5_8ELb0ES3_jPlPS6_PKS6_NS0_5tupleIJS9_S6_EEENSD_IJSA_SA_EEENS0_18inequality_wrapperIZN2at6native12_GLOBAL__N_124unique_dim_cuda_templateIjEESt5tupleIJNSH_6TensorESM_SM_EERKSM_lbbbEUlllE0_EEPmJS6_EEE10hipError_tPvRmT3_T4_T5_T6_T7_T9_mT8_P12ihipStream_tbDpT10_ENKUlT_T0_E_clISt17integral_constantIbLb1EES1C_EEDaS17_S18_EUlS17_E_NS1_11comp_targetILNS1_3genE3ELNS1_11target_archE908ELNS1_3gpuE7ELNS1_3repE0EEENS1_30default_config_static_selectorELNS0_4arch9wavefront6targetE1EEEvT1_.kd
    .uniform_work_group_size: 1
    .uses_dynamic_stack: false
    .vgpr_count:     0
    .vgpr_spill_count: 0
    .wavefront_size: 64
  - .agpr_count:     0
    .args:
      - .offset:         0
        .size:           136
        .value_kind:     by_value
    .group_segment_fixed_size: 0
    .kernarg_segment_align: 8
    .kernarg_segment_size: 136
    .language:       OpenCL C
    .language_version:
      - 2
      - 0
    .max_flat_workgroup_size: 256
    .name:           _ZN7rocprim17ROCPRIM_400000_NS6detail17trampoline_kernelINS0_14default_configENS1_25partition_config_selectorILNS1_17partition_subalgoE8ElNS0_10empty_typeEbEEZZNS1_14partition_implILS5_8ELb0ES3_jPlPS6_PKS6_NS0_5tupleIJS9_S6_EEENSD_IJSA_SA_EEENS0_18inequality_wrapperIZN2at6native12_GLOBAL__N_124unique_dim_cuda_templateIjEESt5tupleIJNSH_6TensorESM_SM_EERKSM_lbbbEUlllE0_EEPmJS6_EEE10hipError_tPvRmT3_T4_T5_T6_T7_T9_mT8_P12ihipStream_tbDpT10_ENKUlT_T0_E_clISt17integral_constantIbLb1EES1C_EEDaS17_S18_EUlS17_E_NS1_11comp_targetILNS1_3genE2ELNS1_11target_archE906ELNS1_3gpuE6ELNS1_3repE0EEENS1_30default_config_static_selectorELNS0_4arch9wavefront6targetE1EEEvT1_
    .private_segment_fixed_size: 0
    .sgpr_count:     6
    .sgpr_spill_count: 0
    .symbol:         _ZN7rocprim17ROCPRIM_400000_NS6detail17trampoline_kernelINS0_14default_configENS1_25partition_config_selectorILNS1_17partition_subalgoE8ElNS0_10empty_typeEbEEZZNS1_14partition_implILS5_8ELb0ES3_jPlPS6_PKS6_NS0_5tupleIJS9_S6_EEENSD_IJSA_SA_EEENS0_18inequality_wrapperIZN2at6native12_GLOBAL__N_124unique_dim_cuda_templateIjEESt5tupleIJNSH_6TensorESM_SM_EERKSM_lbbbEUlllE0_EEPmJS6_EEE10hipError_tPvRmT3_T4_T5_T6_T7_T9_mT8_P12ihipStream_tbDpT10_ENKUlT_T0_E_clISt17integral_constantIbLb1EES1C_EEDaS17_S18_EUlS17_E_NS1_11comp_targetILNS1_3genE2ELNS1_11target_archE906ELNS1_3gpuE6ELNS1_3repE0EEENS1_30default_config_static_selectorELNS0_4arch9wavefront6targetE1EEEvT1_.kd
    .uniform_work_group_size: 1
    .uses_dynamic_stack: false
    .vgpr_count:     0
    .vgpr_spill_count: 0
    .wavefront_size: 64
  - .agpr_count:     0
    .args:
      - .offset:         0
        .size:           136
        .value_kind:     by_value
    .group_segment_fixed_size: 0
    .kernarg_segment_align: 8
    .kernarg_segment_size: 136
    .language:       OpenCL C
    .language_version:
      - 2
      - 0
    .max_flat_workgroup_size: 384
    .name:           _ZN7rocprim17ROCPRIM_400000_NS6detail17trampoline_kernelINS0_14default_configENS1_25partition_config_selectorILNS1_17partition_subalgoE8ElNS0_10empty_typeEbEEZZNS1_14partition_implILS5_8ELb0ES3_jPlPS6_PKS6_NS0_5tupleIJS9_S6_EEENSD_IJSA_SA_EEENS0_18inequality_wrapperIZN2at6native12_GLOBAL__N_124unique_dim_cuda_templateIjEESt5tupleIJNSH_6TensorESM_SM_EERKSM_lbbbEUlllE0_EEPmJS6_EEE10hipError_tPvRmT3_T4_T5_T6_T7_T9_mT8_P12ihipStream_tbDpT10_ENKUlT_T0_E_clISt17integral_constantIbLb1EES1C_EEDaS17_S18_EUlS17_E_NS1_11comp_targetILNS1_3genE10ELNS1_11target_archE1200ELNS1_3gpuE4ELNS1_3repE0EEENS1_30default_config_static_selectorELNS0_4arch9wavefront6targetE1EEEvT1_
    .private_segment_fixed_size: 0
    .sgpr_count:     6
    .sgpr_spill_count: 0
    .symbol:         _ZN7rocprim17ROCPRIM_400000_NS6detail17trampoline_kernelINS0_14default_configENS1_25partition_config_selectorILNS1_17partition_subalgoE8ElNS0_10empty_typeEbEEZZNS1_14partition_implILS5_8ELb0ES3_jPlPS6_PKS6_NS0_5tupleIJS9_S6_EEENSD_IJSA_SA_EEENS0_18inequality_wrapperIZN2at6native12_GLOBAL__N_124unique_dim_cuda_templateIjEESt5tupleIJNSH_6TensorESM_SM_EERKSM_lbbbEUlllE0_EEPmJS6_EEE10hipError_tPvRmT3_T4_T5_T6_T7_T9_mT8_P12ihipStream_tbDpT10_ENKUlT_T0_E_clISt17integral_constantIbLb1EES1C_EEDaS17_S18_EUlS17_E_NS1_11comp_targetILNS1_3genE10ELNS1_11target_archE1200ELNS1_3gpuE4ELNS1_3repE0EEENS1_30default_config_static_selectorELNS0_4arch9wavefront6targetE1EEEvT1_.kd
    .uniform_work_group_size: 1
    .uses_dynamic_stack: false
    .vgpr_count:     0
    .vgpr_spill_count: 0
    .wavefront_size: 64
  - .agpr_count:     0
    .args:
      - .offset:         0
        .size:           136
        .value_kind:     by_value
    .group_segment_fixed_size: 0
    .kernarg_segment_align: 8
    .kernarg_segment_size: 136
    .language:       OpenCL C
    .language_version:
      - 2
      - 0
    .max_flat_workgroup_size: 512
    .name:           _ZN7rocprim17ROCPRIM_400000_NS6detail17trampoline_kernelINS0_14default_configENS1_25partition_config_selectorILNS1_17partition_subalgoE8ElNS0_10empty_typeEbEEZZNS1_14partition_implILS5_8ELb0ES3_jPlPS6_PKS6_NS0_5tupleIJS9_S6_EEENSD_IJSA_SA_EEENS0_18inequality_wrapperIZN2at6native12_GLOBAL__N_124unique_dim_cuda_templateIjEESt5tupleIJNSH_6TensorESM_SM_EERKSM_lbbbEUlllE0_EEPmJS6_EEE10hipError_tPvRmT3_T4_T5_T6_T7_T9_mT8_P12ihipStream_tbDpT10_ENKUlT_T0_E_clISt17integral_constantIbLb1EES1C_EEDaS17_S18_EUlS17_E_NS1_11comp_targetILNS1_3genE9ELNS1_11target_archE1100ELNS1_3gpuE3ELNS1_3repE0EEENS1_30default_config_static_selectorELNS0_4arch9wavefront6targetE1EEEvT1_
    .private_segment_fixed_size: 0
    .sgpr_count:     6
    .sgpr_spill_count: 0
    .symbol:         _ZN7rocprim17ROCPRIM_400000_NS6detail17trampoline_kernelINS0_14default_configENS1_25partition_config_selectorILNS1_17partition_subalgoE8ElNS0_10empty_typeEbEEZZNS1_14partition_implILS5_8ELb0ES3_jPlPS6_PKS6_NS0_5tupleIJS9_S6_EEENSD_IJSA_SA_EEENS0_18inequality_wrapperIZN2at6native12_GLOBAL__N_124unique_dim_cuda_templateIjEESt5tupleIJNSH_6TensorESM_SM_EERKSM_lbbbEUlllE0_EEPmJS6_EEE10hipError_tPvRmT3_T4_T5_T6_T7_T9_mT8_P12ihipStream_tbDpT10_ENKUlT_T0_E_clISt17integral_constantIbLb1EES1C_EEDaS17_S18_EUlS17_E_NS1_11comp_targetILNS1_3genE9ELNS1_11target_archE1100ELNS1_3gpuE3ELNS1_3repE0EEENS1_30default_config_static_selectorELNS0_4arch9wavefront6targetE1EEEvT1_.kd
    .uniform_work_group_size: 1
    .uses_dynamic_stack: false
    .vgpr_count:     0
    .vgpr_spill_count: 0
    .wavefront_size: 64
  - .agpr_count:     0
    .args:
      - .offset:         0
        .size:           136
        .value_kind:     by_value
    .group_segment_fixed_size: 0
    .kernarg_segment_align: 8
    .kernarg_segment_size: 136
    .language:       OpenCL C
    .language_version:
      - 2
      - 0
    .max_flat_workgroup_size: 512
    .name:           _ZN7rocprim17ROCPRIM_400000_NS6detail17trampoline_kernelINS0_14default_configENS1_25partition_config_selectorILNS1_17partition_subalgoE8ElNS0_10empty_typeEbEEZZNS1_14partition_implILS5_8ELb0ES3_jPlPS6_PKS6_NS0_5tupleIJS9_S6_EEENSD_IJSA_SA_EEENS0_18inequality_wrapperIZN2at6native12_GLOBAL__N_124unique_dim_cuda_templateIjEESt5tupleIJNSH_6TensorESM_SM_EERKSM_lbbbEUlllE0_EEPmJS6_EEE10hipError_tPvRmT3_T4_T5_T6_T7_T9_mT8_P12ihipStream_tbDpT10_ENKUlT_T0_E_clISt17integral_constantIbLb1EES1C_EEDaS17_S18_EUlS17_E_NS1_11comp_targetILNS1_3genE8ELNS1_11target_archE1030ELNS1_3gpuE2ELNS1_3repE0EEENS1_30default_config_static_selectorELNS0_4arch9wavefront6targetE1EEEvT1_
    .private_segment_fixed_size: 0
    .sgpr_count:     6
    .sgpr_spill_count: 0
    .symbol:         _ZN7rocprim17ROCPRIM_400000_NS6detail17trampoline_kernelINS0_14default_configENS1_25partition_config_selectorILNS1_17partition_subalgoE8ElNS0_10empty_typeEbEEZZNS1_14partition_implILS5_8ELb0ES3_jPlPS6_PKS6_NS0_5tupleIJS9_S6_EEENSD_IJSA_SA_EEENS0_18inequality_wrapperIZN2at6native12_GLOBAL__N_124unique_dim_cuda_templateIjEESt5tupleIJNSH_6TensorESM_SM_EERKSM_lbbbEUlllE0_EEPmJS6_EEE10hipError_tPvRmT3_T4_T5_T6_T7_T9_mT8_P12ihipStream_tbDpT10_ENKUlT_T0_E_clISt17integral_constantIbLb1EES1C_EEDaS17_S18_EUlS17_E_NS1_11comp_targetILNS1_3genE8ELNS1_11target_archE1030ELNS1_3gpuE2ELNS1_3repE0EEENS1_30default_config_static_selectorELNS0_4arch9wavefront6targetE1EEEvT1_.kd
    .uniform_work_group_size: 1
    .uses_dynamic_stack: false
    .vgpr_count:     0
    .vgpr_spill_count: 0
    .wavefront_size: 64
  - .agpr_count:     0
    .args:
      - .offset:         0
        .size:           120
        .value_kind:     by_value
    .group_segment_fixed_size: 0
    .kernarg_segment_align: 8
    .kernarg_segment_size: 120
    .language:       OpenCL C
    .language_version:
      - 2
      - 0
    .max_flat_workgroup_size: 512
    .name:           _ZN7rocprim17ROCPRIM_400000_NS6detail17trampoline_kernelINS0_14default_configENS1_25partition_config_selectorILNS1_17partition_subalgoE8ElNS0_10empty_typeEbEEZZNS1_14partition_implILS5_8ELb0ES3_jPlPS6_PKS6_NS0_5tupleIJS9_S6_EEENSD_IJSA_SA_EEENS0_18inequality_wrapperIZN2at6native12_GLOBAL__N_124unique_dim_cuda_templateIjEESt5tupleIJNSH_6TensorESM_SM_EERKSM_lbbbEUlllE0_EEPmJS6_EEE10hipError_tPvRmT3_T4_T5_T6_T7_T9_mT8_P12ihipStream_tbDpT10_ENKUlT_T0_E_clISt17integral_constantIbLb1EES1B_IbLb0EEEEDaS17_S18_EUlS17_E_NS1_11comp_targetILNS1_3genE0ELNS1_11target_archE4294967295ELNS1_3gpuE0ELNS1_3repE0EEENS1_30default_config_static_selectorELNS0_4arch9wavefront6targetE1EEEvT1_
    .private_segment_fixed_size: 0
    .sgpr_count:     6
    .sgpr_spill_count: 0
    .symbol:         _ZN7rocprim17ROCPRIM_400000_NS6detail17trampoline_kernelINS0_14default_configENS1_25partition_config_selectorILNS1_17partition_subalgoE8ElNS0_10empty_typeEbEEZZNS1_14partition_implILS5_8ELb0ES3_jPlPS6_PKS6_NS0_5tupleIJS9_S6_EEENSD_IJSA_SA_EEENS0_18inequality_wrapperIZN2at6native12_GLOBAL__N_124unique_dim_cuda_templateIjEESt5tupleIJNSH_6TensorESM_SM_EERKSM_lbbbEUlllE0_EEPmJS6_EEE10hipError_tPvRmT3_T4_T5_T6_T7_T9_mT8_P12ihipStream_tbDpT10_ENKUlT_T0_E_clISt17integral_constantIbLb1EES1B_IbLb0EEEEDaS17_S18_EUlS17_E_NS1_11comp_targetILNS1_3genE0ELNS1_11target_archE4294967295ELNS1_3gpuE0ELNS1_3repE0EEENS1_30default_config_static_selectorELNS0_4arch9wavefront6targetE1EEEvT1_.kd
    .uniform_work_group_size: 1
    .uses_dynamic_stack: false
    .vgpr_count:     0
    .vgpr_spill_count: 0
    .wavefront_size: 64
  - .agpr_count:     0
    .args:
      - .offset:         0
        .size:           120
        .value_kind:     by_value
    .group_segment_fixed_size: 0
    .kernarg_segment_align: 8
    .kernarg_segment_size: 120
    .language:       OpenCL C
    .language_version:
      - 2
      - 0
    .max_flat_workgroup_size: 512
    .name:           _ZN7rocprim17ROCPRIM_400000_NS6detail17trampoline_kernelINS0_14default_configENS1_25partition_config_selectorILNS1_17partition_subalgoE8ElNS0_10empty_typeEbEEZZNS1_14partition_implILS5_8ELb0ES3_jPlPS6_PKS6_NS0_5tupleIJS9_S6_EEENSD_IJSA_SA_EEENS0_18inequality_wrapperIZN2at6native12_GLOBAL__N_124unique_dim_cuda_templateIjEESt5tupleIJNSH_6TensorESM_SM_EERKSM_lbbbEUlllE0_EEPmJS6_EEE10hipError_tPvRmT3_T4_T5_T6_T7_T9_mT8_P12ihipStream_tbDpT10_ENKUlT_T0_E_clISt17integral_constantIbLb1EES1B_IbLb0EEEEDaS17_S18_EUlS17_E_NS1_11comp_targetILNS1_3genE5ELNS1_11target_archE942ELNS1_3gpuE9ELNS1_3repE0EEENS1_30default_config_static_selectorELNS0_4arch9wavefront6targetE1EEEvT1_
    .private_segment_fixed_size: 0
    .sgpr_count:     6
    .sgpr_spill_count: 0
    .symbol:         _ZN7rocprim17ROCPRIM_400000_NS6detail17trampoline_kernelINS0_14default_configENS1_25partition_config_selectorILNS1_17partition_subalgoE8ElNS0_10empty_typeEbEEZZNS1_14partition_implILS5_8ELb0ES3_jPlPS6_PKS6_NS0_5tupleIJS9_S6_EEENSD_IJSA_SA_EEENS0_18inequality_wrapperIZN2at6native12_GLOBAL__N_124unique_dim_cuda_templateIjEESt5tupleIJNSH_6TensorESM_SM_EERKSM_lbbbEUlllE0_EEPmJS6_EEE10hipError_tPvRmT3_T4_T5_T6_T7_T9_mT8_P12ihipStream_tbDpT10_ENKUlT_T0_E_clISt17integral_constantIbLb1EES1B_IbLb0EEEEDaS17_S18_EUlS17_E_NS1_11comp_targetILNS1_3genE5ELNS1_11target_archE942ELNS1_3gpuE9ELNS1_3repE0EEENS1_30default_config_static_selectorELNS0_4arch9wavefront6targetE1EEEvT1_.kd
    .uniform_work_group_size: 1
    .uses_dynamic_stack: false
    .vgpr_count:     0
    .vgpr_spill_count: 0
    .wavefront_size: 64
  - .agpr_count:     0
    .args:
      - .offset:         0
        .size:           120
        .value_kind:     by_value
    .group_segment_fixed_size: 0
    .kernarg_segment_align: 8
    .kernarg_segment_size: 120
    .language:       OpenCL C
    .language_version:
      - 2
      - 0
    .max_flat_workgroup_size: 256
    .name:           _ZN7rocprim17ROCPRIM_400000_NS6detail17trampoline_kernelINS0_14default_configENS1_25partition_config_selectorILNS1_17partition_subalgoE8ElNS0_10empty_typeEbEEZZNS1_14partition_implILS5_8ELb0ES3_jPlPS6_PKS6_NS0_5tupleIJS9_S6_EEENSD_IJSA_SA_EEENS0_18inequality_wrapperIZN2at6native12_GLOBAL__N_124unique_dim_cuda_templateIjEESt5tupleIJNSH_6TensorESM_SM_EERKSM_lbbbEUlllE0_EEPmJS6_EEE10hipError_tPvRmT3_T4_T5_T6_T7_T9_mT8_P12ihipStream_tbDpT10_ENKUlT_T0_E_clISt17integral_constantIbLb1EES1B_IbLb0EEEEDaS17_S18_EUlS17_E_NS1_11comp_targetILNS1_3genE4ELNS1_11target_archE910ELNS1_3gpuE8ELNS1_3repE0EEENS1_30default_config_static_selectorELNS0_4arch9wavefront6targetE1EEEvT1_
    .private_segment_fixed_size: 0
    .sgpr_count:     6
    .sgpr_spill_count: 0
    .symbol:         _ZN7rocprim17ROCPRIM_400000_NS6detail17trampoline_kernelINS0_14default_configENS1_25partition_config_selectorILNS1_17partition_subalgoE8ElNS0_10empty_typeEbEEZZNS1_14partition_implILS5_8ELb0ES3_jPlPS6_PKS6_NS0_5tupleIJS9_S6_EEENSD_IJSA_SA_EEENS0_18inequality_wrapperIZN2at6native12_GLOBAL__N_124unique_dim_cuda_templateIjEESt5tupleIJNSH_6TensorESM_SM_EERKSM_lbbbEUlllE0_EEPmJS6_EEE10hipError_tPvRmT3_T4_T5_T6_T7_T9_mT8_P12ihipStream_tbDpT10_ENKUlT_T0_E_clISt17integral_constantIbLb1EES1B_IbLb0EEEEDaS17_S18_EUlS17_E_NS1_11comp_targetILNS1_3genE4ELNS1_11target_archE910ELNS1_3gpuE8ELNS1_3repE0EEENS1_30default_config_static_selectorELNS0_4arch9wavefront6targetE1EEEvT1_.kd
    .uniform_work_group_size: 1
    .uses_dynamic_stack: false
    .vgpr_count:     0
    .vgpr_spill_count: 0
    .wavefront_size: 64
  - .agpr_count:     0
    .args:
      - .offset:         0
        .size:           120
        .value_kind:     by_value
    .group_segment_fixed_size: 0
    .kernarg_segment_align: 8
    .kernarg_segment_size: 120
    .language:       OpenCL C
    .language_version:
      - 2
      - 0
    .max_flat_workgroup_size: 512
    .name:           _ZN7rocprim17ROCPRIM_400000_NS6detail17trampoline_kernelINS0_14default_configENS1_25partition_config_selectorILNS1_17partition_subalgoE8ElNS0_10empty_typeEbEEZZNS1_14partition_implILS5_8ELb0ES3_jPlPS6_PKS6_NS0_5tupleIJS9_S6_EEENSD_IJSA_SA_EEENS0_18inequality_wrapperIZN2at6native12_GLOBAL__N_124unique_dim_cuda_templateIjEESt5tupleIJNSH_6TensorESM_SM_EERKSM_lbbbEUlllE0_EEPmJS6_EEE10hipError_tPvRmT3_T4_T5_T6_T7_T9_mT8_P12ihipStream_tbDpT10_ENKUlT_T0_E_clISt17integral_constantIbLb1EES1B_IbLb0EEEEDaS17_S18_EUlS17_E_NS1_11comp_targetILNS1_3genE3ELNS1_11target_archE908ELNS1_3gpuE7ELNS1_3repE0EEENS1_30default_config_static_selectorELNS0_4arch9wavefront6targetE1EEEvT1_
    .private_segment_fixed_size: 0
    .sgpr_count:     6
    .sgpr_spill_count: 0
    .symbol:         _ZN7rocprim17ROCPRIM_400000_NS6detail17trampoline_kernelINS0_14default_configENS1_25partition_config_selectorILNS1_17partition_subalgoE8ElNS0_10empty_typeEbEEZZNS1_14partition_implILS5_8ELb0ES3_jPlPS6_PKS6_NS0_5tupleIJS9_S6_EEENSD_IJSA_SA_EEENS0_18inequality_wrapperIZN2at6native12_GLOBAL__N_124unique_dim_cuda_templateIjEESt5tupleIJNSH_6TensorESM_SM_EERKSM_lbbbEUlllE0_EEPmJS6_EEE10hipError_tPvRmT3_T4_T5_T6_T7_T9_mT8_P12ihipStream_tbDpT10_ENKUlT_T0_E_clISt17integral_constantIbLb1EES1B_IbLb0EEEEDaS17_S18_EUlS17_E_NS1_11comp_targetILNS1_3genE3ELNS1_11target_archE908ELNS1_3gpuE7ELNS1_3repE0EEENS1_30default_config_static_selectorELNS0_4arch9wavefront6targetE1EEEvT1_.kd
    .uniform_work_group_size: 1
    .uses_dynamic_stack: false
    .vgpr_count:     0
    .vgpr_spill_count: 0
    .wavefront_size: 64
  - .agpr_count:     0
    .args:
      - .offset:         0
        .size:           120
        .value_kind:     by_value
    .group_segment_fixed_size: 0
    .kernarg_segment_align: 8
    .kernarg_segment_size: 120
    .language:       OpenCL C
    .language_version:
      - 2
      - 0
    .max_flat_workgroup_size: 256
    .name:           _ZN7rocprim17ROCPRIM_400000_NS6detail17trampoline_kernelINS0_14default_configENS1_25partition_config_selectorILNS1_17partition_subalgoE8ElNS0_10empty_typeEbEEZZNS1_14partition_implILS5_8ELb0ES3_jPlPS6_PKS6_NS0_5tupleIJS9_S6_EEENSD_IJSA_SA_EEENS0_18inequality_wrapperIZN2at6native12_GLOBAL__N_124unique_dim_cuda_templateIjEESt5tupleIJNSH_6TensorESM_SM_EERKSM_lbbbEUlllE0_EEPmJS6_EEE10hipError_tPvRmT3_T4_T5_T6_T7_T9_mT8_P12ihipStream_tbDpT10_ENKUlT_T0_E_clISt17integral_constantIbLb1EES1B_IbLb0EEEEDaS17_S18_EUlS17_E_NS1_11comp_targetILNS1_3genE2ELNS1_11target_archE906ELNS1_3gpuE6ELNS1_3repE0EEENS1_30default_config_static_selectorELNS0_4arch9wavefront6targetE1EEEvT1_
    .private_segment_fixed_size: 0
    .sgpr_count:     6
    .sgpr_spill_count: 0
    .symbol:         _ZN7rocprim17ROCPRIM_400000_NS6detail17trampoline_kernelINS0_14default_configENS1_25partition_config_selectorILNS1_17partition_subalgoE8ElNS0_10empty_typeEbEEZZNS1_14partition_implILS5_8ELb0ES3_jPlPS6_PKS6_NS0_5tupleIJS9_S6_EEENSD_IJSA_SA_EEENS0_18inequality_wrapperIZN2at6native12_GLOBAL__N_124unique_dim_cuda_templateIjEESt5tupleIJNSH_6TensorESM_SM_EERKSM_lbbbEUlllE0_EEPmJS6_EEE10hipError_tPvRmT3_T4_T5_T6_T7_T9_mT8_P12ihipStream_tbDpT10_ENKUlT_T0_E_clISt17integral_constantIbLb1EES1B_IbLb0EEEEDaS17_S18_EUlS17_E_NS1_11comp_targetILNS1_3genE2ELNS1_11target_archE906ELNS1_3gpuE6ELNS1_3repE0EEENS1_30default_config_static_selectorELNS0_4arch9wavefront6targetE1EEEvT1_.kd
    .uniform_work_group_size: 1
    .uses_dynamic_stack: false
    .vgpr_count:     0
    .vgpr_spill_count: 0
    .wavefront_size: 64
  - .agpr_count:     0
    .args:
      - .offset:         0
        .size:           120
        .value_kind:     by_value
    .group_segment_fixed_size: 0
    .kernarg_segment_align: 8
    .kernarg_segment_size: 120
    .language:       OpenCL C
    .language_version:
      - 2
      - 0
    .max_flat_workgroup_size: 384
    .name:           _ZN7rocprim17ROCPRIM_400000_NS6detail17trampoline_kernelINS0_14default_configENS1_25partition_config_selectorILNS1_17partition_subalgoE8ElNS0_10empty_typeEbEEZZNS1_14partition_implILS5_8ELb0ES3_jPlPS6_PKS6_NS0_5tupleIJS9_S6_EEENSD_IJSA_SA_EEENS0_18inequality_wrapperIZN2at6native12_GLOBAL__N_124unique_dim_cuda_templateIjEESt5tupleIJNSH_6TensorESM_SM_EERKSM_lbbbEUlllE0_EEPmJS6_EEE10hipError_tPvRmT3_T4_T5_T6_T7_T9_mT8_P12ihipStream_tbDpT10_ENKUlT_T0_E_clISt17integral_constantIbLb1EES1B_IbLb0EEEEDaS17_S18_EUlS17_E_NS1_11comp_targetILNS1_3genE10ELNS1_11target_archE1200ELNS1_3gpuE4ELNS1_3repE0EEENS1_30default_config_static_selectorELNS0_4arch9wavefront6targetE1EEEvT1_
    .private_segment_fixed_size: 0
    .sgpr_count:     6
    .sgpr_spill_count: 0
    .symbol:         _ZN7rocprim17ROCPRIM_400000_NS6detail17trampoline_kernelINS0_14default_configENS1_25partition_config_selectorILNS1_17partition_subalgoE8ElNS0_10empty_typeEbEEZZNS1_14partition_implILS5_8ELb0ES3_jPlPS6_PKS6_NS0_5tupleIJS9_S6_EEENSD_IJSA_SA_EEENS0_18inequality_wrapperIZN2at6native12_GLOBAL__N_124unique_dim_cuda_templateIjEESt5tupleIJNSH_6TensorESM_SM_EERKSM_lbbbEUlllE0_EEPmJS6_EEE10hipError_tPvRmT3_T4_T5_T6_T7_T9_mT8_P12ihipStream_tbDpT10_ENKUlT_T0_E_clISt17integral_constantIbLb1EES1B_IbLb0EEEEDaS17_S18_EUlS17_E_NS1_11comp_targetILNS1_3genE10ELNS1_11target_archE1200ELNS1_3gpuE4ELNS1_3repE0EEENS1_30default_config_static_selectorELNS0_4arch9wavefront6targetE1EEEvT1_.kd
    .uniform_work_group_size: 1
    .uses_dynamic_stack: false
    .vgpr_count:     0
    .vgpr_spill_count: 0
    .wavefront_size: 64
  - .agpr_count:     0
    .args:
      - .offset:         0
        .size:           120
        .value_kind:     by_value
    .group_segment_fixed_size: 0
    .kernarg_segment_align: 8
    .kernarg_segment_size: 120
    .language:       OpenCL C
    .language_version:
      - 2
      - 0
    .max_flat_workgroup_size: 512
    .name:           _ZN7rocprim17ROCPRIM_400000_NS6detail17trampoline_kernelINS0_14default_configENS1_25partition_config_selectorILNS1_17partition_subalgoE8ElNS0_10empty_typeEbEEZZNS1_14partition_implILS5_8ELb0ES3_jPlPS6_PKS6_NS0_5tupleIJS9_S6_EEENSD_IJSA_SA_EEENS0_18inequality_wrapperIZN2at6native12_GLOBAL__N_124unique_dim_cuda_templateIjEESt5tupleIJNSH_6TensorESM_SM_EERKSM_lbbbEUlllE0_EEPmJS6_EEE10hipError_tPvRmT3_T4_T5_T6_T7_T9_mT8_P12ihipStream_tbDpT10_ENKUlT_T0_E_clISt17integral_constantIbLb1EES1B_IbLb0EEEEDaS17_S18_EUlS17_E_NS1_11comp_targetILNS1_3genE9ELNS1_11target_archE1100ELNS1_3gpuE3ELNS1_3repE0EEENS1_30default_config_static_selectorELNS0_4arch9wavefront6targetE1EEEvT1_
    .private_segment_fixed_size: 0
    .sgpr_count:     6
    .sgpr_spill_count: 0
    .symbol:         _ZN7rocprim17ROCPRIM_400000_NS6detail17trampoline_kernelINS0_14default_configENS1_25partition_config_selectorILNS1_17partition_subalgoE8ElNS0_10empty_typeEbEEZZNS1_14partition_implILS5_8ELb0ES3_jPlPS6_PKS6_NS0_5tupleIJS9_S6_EEENSD_IJSA_SA_EEENS0_18inequality_wrapperIZN2at6native12_GLOBAL__N_124unique_dim_cuda_templateIjEESt5tupleIJNSH_6TensorESM_SM_EERKSM_lbbbEUlllE0_EEPmJS6_EEE10hipError_tPvRmT3_T4_T5_T6_T7_T9_mT8_P12ihipStream_tbDpT10_ENKUlT_T0_E_clISt17integral_constantIbLb1EES1B_IbLb0EEEEDaS17_S18_EUlS17_E_NS1_11comp_targetILNS1_3genE9ELNS1_11target_archE1100ELNS1_3gpuE3ELNS1_3repE0EEENS1_30default_config_static_selectorELNS0_4arch9wavefront6targetE1EEEvT1_.kd
    .uniform_work_group_size: 1
    .uses_dynamic_stack: false
    .vgpr_count:     0
    .vgpr_spill_count: 0
    .wavefront_size: 64
  - .agpr_count:     0
    .args:
      - .offset:         0
        .size:           120
        .value_kind:     by_value
    .group_segment_fixed_size: 0
    .kernarg_segment_align: 8
    .kernarg_segment_size: 120
    .language:       OpenCL C
    .language_version:
      - 2
      - 0
    .max_flat_workgroup_size: 512
    .name:           _ZN7rocprim17ROCPRIM_400000_NS6detail17trampoline_kernelINS0_14default_configENS1_25partition_config_selectorILNS1_17partition_subalgoE8ElNS0_10empty_typeEbEEZZNS1_14partition_implILS5_8ELb0ES3_jPlPS6_PKS6_NS0_5tupleIJS9_S6_EEENSD_IJSA_SA_EEENS0_18inequality_wrapperIZN2at6native12_GLOBAL__N_124unique_dim_cuda_templateIjEESt5tupleIJNSH_6TensorESM_SM_EERKSM_lbbbEUlllE0_EEPmJS6_EEE10hipError_tPvRmT3_T4_T5_T6_T7_T9_mT8_P12ihipStream_tbDpT10_ENKUlT_T0_E_clISt17integral_constantIbLb1EES1B_IbLb0EEEEDaS17_S18_EUlS17_E_NS1_11comp_targetILNS1_3genE8ELNS1_11target_archE1030ELNS1_3gpuE2ELNS1_3repE0EEENS1_30default_config_static_selectorELNS0_4arch9wavefront6targetE1EEEvT1_
    .private_segment_fixed_size: 0
    .sgpr_count:     6
    .sgpr_spill_count: 0
    .symbol:         _ZN7rocprim17ROCPRIM_400000_NS6detail17trampoline_kernelINS0_14default_configENS1_25partition_config_selectorILNS1_17partition_subalgoE8ElNS0_10empty_typeEbEEZZNS1_14partition_implILS5_8ELb0ES3_jPlPS6_PKS6_NS0_5tupleIJS9_S6_EEENSD_IJSA_SA_EEENS0_18inequality_wrapperIZN2at6native12_GLOBAL__N_124unique_dim_cuda_templateIjEESt5tupleIJNSH_6TensorESM_SM_EERKSM_lbbbEUlllE0_EEPmJS6_EEE10hipError_tPvRmT3_T4_T5_T6_T7_T9_mT8_P12ihipStream_tbDpT10_ENKUlT_T0_E_clISt17integral_constantIbLb1EES1B_IbLb0EEEEDaS17_S18_EUlS17_E_NS1_11comp_targetILNS1_3genE8ELNS1_11target_archE1030ELNS1_3gpuE2ELNS1_3repE0EEENS1_30default_config_static_selectorELNS0_4arch9wavefront6targetE1EEEvT1_.kd
    .uniform_work_group_size: 1
    .uses_dynamic_stack: false
    .vgpr_count:     0
    .vgpr_spill_count: 0
    .wavefront_size: 64
  - .agpr_count:     0
    .args:
      - .offset:         0
        .size:           136
        .value_kind:     by_value
    .group_segment_fixed_size: 28680
    .kernarg_segment_align: 8
    .kernarg_segment_size: 136
    .language:       OpenCL C
    .language_version:
      - 2
      - 0
    .max_flat_workgroup_size: 512
    .name:           _ZN7rocprim17ROCPRIM_400000_NS6detail17trampoline_kernelINS0_14default_configENS1_25partition_config_selectorILNS1_17partition_subalgoE8ElNS0_10empty_typeEbEEZZNS1_14partition_implILS5_8ELb0ES3_jPlPS6_PKS6_NS0_5tupleIJS9_S6_EEENSD_IJSA_SA_EEENS0_18inequality_wrapperIZN2at6native12_GLOBAL__N_124unique_dim_cuda_templateIjEESt5tupleIJNSH_6TensorESM_SM_EERKSM_lbbbEUlllE0_EEPmJS6_EEE10hipError_tPvRmT3_T4_T5_T6_T7_T9_mT8_P12ihipStream_tbDpT10_ENKUlT_T0_E_clISt17integral_constantIbLb0EES1B_IbLb1EEEEDaS17_S18_EUlS17_E_NS1_11comp_targetILNS1_3genE0ELNS1_11target_archE4294967295ELNS1_3gpuE0ELNS1_3repE0EEENS1_30default_config_static_selectorELNS0_4arch9wavefront6targetE1EEEvT1_
    .private_segment_fixed_size: 0
    .sgpr_count:     60
    .sgpr_spill_count: 0
    .symbol:         _ZN7rocprim17ROCPRIM_400000_NS6detail17trampoline_kernelINS0_14default_configENS1_25partition_config_selectorILNS1_17partition_subalgoE8ElNS0_10empty_typeEbEEZZNS1_14partition_implILS5_8ELb0ES3_jPlPS6_PKS6_NS0_5tupleIJS9_S6_EEENSD_IJSA_SA_EEENS0_18inequality_wrapperIZN2at6native12_GLOBAL__N_124unique_dim_cuda_templateIjEESt5tupleIJNSH_6TensorESM_SM_EERKSM_lbbbEUlllE0_EEPmJS6_EEE10hipError_tPvRmT3_T4_T5_T6_T7_T9_mT8_P12ihipStream_tbDpT10_ENKUlT_T0_E_clISt17integral_constantIbLb0EES1B_IbLb1EEEEDaS17_S18_EUlS17_E_NS1_11comp_targetILNS1_3genE0ELNS1_11target_archE4294967295ELNS1_3gpuE0ELNS1_3repE0EEENS1_30default_config_static_selectorELNS0_4arch9wavefront6targetE1EEEvT1_.kd
    .uniform_work_group_size: 1
    .uses_dynamic_stack: false
    .vgpr_count:     58
    .vgpr_spill_count: 0
    .wavefront_size: 64
  - .agpr_count:     0
    .args:
      - .offset:         0
        .size:           136
        .value_kind:     by_value
    .group_segment_fixed_size: 0
    .kernarg_segment_align: 8
    .kernarg_segment_size: 136
    .language:       OpenCL C
    .language_version:
      - 2
      - 0
    .max_flat_workgroup_size: 512
    .name:           _ZN7rocprim17ROCPRIM_400000_NS6detail17trampoline_kernelINS0_14default_configENS1_25partition_config_selectorILNS1_17partition_subalgoE8ElNS0_10empty_typeEbEEZZNS1_14partition_implILS5_8ELb0ES3_jPlPS6_PKS6_NS0_5tupleIJS9_S6_EEENSD_IJSA_SA_EEENS0_18inequality_wrapperIZN2at6native12_GLOBAL__N_124unique_dim_cuda_templateIjEESt5tupleIJNSH_6TensorESM_SM_EERKSM_lbbbEUlllE0_EEPmJS6_EEE10hipError_tPvRmT3_T4_T5_T6_T7_T9_mT8_P12ihipStream_tbDpT10_ENKUlT_T0_E_clISt17integral_constantIbLb0EES1B_IbLb1EEEEDaS17_S18_EUlS17_E_NS1_11comp_targetILNS1_3genE5ELNS1_11target_archE942ELNS1_3gpuE9ELNS1_3repE0EEENS1_30default_config_static_selectorELNS0_4arch9wavefront6targetE1EEEvT1_
    .private_segment_fixed_size: 0
    .sgpr_count:     6
    .sgpr_spill_count: 0
    .symbol:         _ZN7rocprim17ROCPRIM_400000_NS6detail17trampoline_kernelINS0_14default_configENS1_25partition_config_selectorILNS1_17partition_subalgoE8ElNS0_10empty_typeEbEEZZNS1_14partition_implILS5_8ELb0ES3_jPlPS6_PKS6_NS0_5tupleIJS9_S6_EEENSD_IJSA_SA_EEENS0_18inequality_wrapperIZN2at6native12_GLOBAL__N_124unique_dim_cuda_templateIjEESt5tupleIJNSH_6TensorESM_SM_EERKSM_lbbbEUlllE0_EEPmJS6_EEE10hipError_tPvRmT3_T4_T5_T6_T7_T9_mT8_P12ihipStream_tbDpT10_ENKUlT_T0_E_clISt17integral_constantIbLb0EES1B_IbLb1EEEEDaS17_S18_EUlS17_E_NS1_11comp_targetILNS1_3genE5ELNS1_11target_archE942ELNS1_3gpuE9ELNS1_3repE0EEENS1_30default_config_static_selectorELNS0_4arch9wavefront6targetE1EEEvT1_.kd
    .uniform_work_group_size: 1
    .uses_dynamic_stack: false
    .vgpr_count:     0
    .vgpr_spill_count: 0
    .wavefront_size: 64
  - .agpr_count:     0
    .args:
      - .offset:         0
        .size:           136
        .value_kind:     by_value
    .group_segment_fixed_size: 0
    .kernarg_segment_align: 8
    .kernarg_segment_size: 136
    .language:       OpenCL C
    .language_version:
      - 2
      - 0
    .max_flat_workgroup_size: 256
    .name:           _ZN7rocprim17ROCPRIM_400000_NS6detail17trampoline_kernelINS0_14default_configENS1_25partition_config_selectorILNS1_17partition_subalgoE8ElNS0_10empty_typeEbEEZZNS1_14partition_implILS5_8ELb0ES3_jPlPS6_PKS6_NS0_5tupleIJS9_S6_EEENSD_IJSA_SA_EEENS0_18inequality_wrapperIZN2at6native12_GLOBAL__N_124unique_dim_cuda_templateIjEESt5tupleIJNSH_6TensorESM_SM_EERKSM_lbbbEUlllE0_EEPmJS6_EEE10hipError_tPvRmT3_T4_T5_T6_T7_T9_mT8_P12ihipStream_tbDpT10_ENKUlT_T0_E_clISt17integral_constantIbLb0EES1B_IbLb1EEEEDaS17_S18_EUlS17_E_NS1_11comp_targetILNS1_3genE4ELNS1_11target_archE910ELNS1_3gpuE8ELNS1_3repE0EEENS1_30default_config_static_selectorELNS0_4arch9wavefront6targetE1EEEvT1_
    .private_segment_fixed_size: 0
    .sgpr_count:     6
    .sgpr_spill_count: 0
    .symbol:         _ZN7rocprim17ROCPRIM_400000_NS6detail17trampoline_kernelINS0_14default_configENS1_25partition_config_selectorILNS1_17partition_subalgoE8ElNS0_10empty_typeEbEEZZNS1_14partition_implILS5_8ELb0ES3_jPlPS6_PKS6_NS0_5tupleIJS9_S6_EEENSD_IJSA_SA_EEENS0_18inequality_wrapperIZN2at6native12_GLOBAL__N_124unique_dim_cuda_templateIjEESt5tupleIJNSH_6TensorESM_SM_EERKSM_lbbbEUlllE0_EEPmJS6_EEE10hipError_tPvRmT3_T4_T5_T6_T7_T9_mT8_P12ihipStream_tbDpT10_ENKUlT_T0_E_clISt17integral_constantIbLb0EES1B_IbLb1EEEEDaS17_S18_EUlS17_E_NS1_11comp_targetILNS1_3genE4ELNS1_11target_archE910ELNS1_3gpuE8ELNS1_3repE0EEENS1_30default_config_static_selectorELNS0_4arch9wavefront6targetE1EEEvT1_.kd
    .uniform_work_group_size: 1
    .uses_dynamic_stack: false
    .vgpr_count:     0
    .vgpr_spill_count: 0
    .wavefront_size: 64
  - .agpr_count:     0
    .args:
      - .offset:         0
        .size:           136
        .value_kind:     by_value
    .group_segment_fixed_size: 0
    .kernarg_segment_align: 8
    .kernarg_segment_size: 136
    .language:       OpenCL C
    .language_version:
      - 2
      - 0
    .max_flat_workgroup_size: 512
    .name:           _ZN7rocprim17ROCPRIM_400000_NS6detail17trampoline_kernelINS0_14default_configENS1_25partition_config_selectorILNS1_17partition_subalgoE8ElNS0_10empty_typeEbEEZZNS1_14partition_implILS5_8ELb0ES3_jPlPS6_PKS6_NS0_5tupleIJS9_S6_EEENSD_IJSA_SA_EEENS0_18inequality_wrapperIZN2at6native12_GLOBAL__N_124unique_dim_cuda_templateIjEESt5tupleIJNSH_6TensorESM_SM_EERKSM_lbbbEUlllE0_EEPmJS6_EEE10hipError_tPvRmT3_T4_T5_T6_T7_T9_mT8_P12ihipStream_tbDpT10_ENKUlT_T0_E_clISt17integral_constantIbLb0EES1B_IbLb1EEEEDaS17_S18_EUlS17_E_NS1_11comp_targetILNS1_3genE3ELNS1_11target_archE908ELNS1_3gpuE7ELNS1_3repE0EEENS1_30default_config_static_selectorELNS0_4arch9wavefront6targetE1EEEvT1_
    .private_segment_fixed_size: 0
    .sgpr_count:     6
    .sgpr_spill_count: 0
    .symbol:         _ZN7rocprim17ROCPRIM_400000_NS6detail17trampoline_kernelINS0_14default_configENS1_25partition_config_selectorILNS1_17partition_subalgoE8ElNS0_10empty_typeEbEEZZNS1_14partition_implILS5_8ELb0ES3_jPlPS6_PKS6_NS0_5tupleIJS9_S6_EEENSD_IJSA_SA_EEENS0_18inequality_wrapperIZN2at6native12_GLOBAL__N_124unique_dim_cuda_templateIjEESt5tupleIJNSH_6TensorESM_SM_EERKSM_lbbbEUlllE0_EEPmJS6_EEE10hipError_tPvRmT3_T4_T5_T6_T7_T9_mT8_P12ihipStream_tbDpT10_ENKUlT_T0_E_clISt17integral_constantIbLb0EES1B_IbLb1EEEEDaS17_S18_EUlS17_E_NS1_11comp_targetILNS1_3genE3ELNS1_11target_archE908ELNS1_3gpuE7ELNS1_3repE0EEENS1_30default_config_static_selectorELNS0_4arch9wavefront6targetE1EEEvT1_.kd
    .uniform_work_group_size: 1
    .uses_dynamic_stack: false
    .vgpr_count:     0
    .vgpr_spill_count: 0
    .wavefront_size: 64
  - .agpr_count:     0
    .args:
      - .offset:         0
        .size:           136
        .value_kind:     by_value
    .group_segment_fixed_size: 0
    .kernarg_segment_align: 8
    .kernarg_segment_size: 136
    .language:       OpenCL C
    .language_version:
      - 2
      - 0
    .max_flat_workgroup_size: 256
    .name:           _ZN7rocprim17ROCPRIM_400000_NS6detail17trampoline_kernelINS0_14default_configENS1_25partition_config_selectorILNS1_17partition_subalgoE8ElNS0_10empty_typeEbEEZZNS1_14partition_implILS5_8ELb0ES3_jPlPS6_PKS6_NS0_5tupleIJS9_S6_EEENSD_IJSA_SA_EEENS0_18inequality_wrapperIZN2at6native12_GLOBAL__N_124unique_dim_cuda_templateIjEESt5tupleIJNSH_6TensorESM_SM_EERKSM_lbbbEUlllE0_EEPmJS6_EEE10hipError_tPvRmT3_T4_T5_T6_T7_T9_mT8_P12ihipStream_tbDpT10_ENKUlT_T0_E_clISt17integral_constantIbLb0EES1B_IbLb1EEEEDaS17_S18_EUlS17_E_NS1_11comp_targetILNS1_3genE2ELNS1_11target_archE906ELNS1_3gpuE6ELNS1_3repE0EEENS1_30default_config_static_selectorELNS0_4arch9wavefront6targetE1EEEvT1_
    .private_segment_fixed_size: 0
    .sgpr_count:     6
    .sgpr_spill_count: 0
    .symbol:         _ZN7rocprim17ROCPRIM_400000_NS6detail17trampoline_kernelINS0_14default_configENS1_25partition_config_selectorILNS1_17partition_subalgoE8ElNS0_10empty_typeEbEEZZNS1_14partition_implILS5_8ELb0ES3_jPlPS6_PKS6_NS0_5tupleIJS9_S6_EEENSD_IJSA_SA_EEENS0_18inequality_wrapperIZN2at6native12_GLOBAL__N_124unique_dim_cuda_templateIjEESt5tupleIJNSH_6TensorESM_SM_EERKSM_lbbbEUlllE0_EEPmJS6_EEE10hipError_tPvRmT3_T4_T5_T6_T7_T9_mT8_P12ihipStream_tbDpT10_ENKUlT_T0_E_clISt17integral_constantIbLb0EES1B_IbLb1EEEEDaS17_S18_EUlS17_E_NS1_11comp_targetILNS1_3genE2ELNS1_11target_archE906ELNS1_3gpuE6ELNS1_3repE0EEENS1_30default_config_static_selectorELNS0_4arch9wavefront6targetE1EEEvT1_.kd
    .uniform_work_group_size: 1
    .uses_dynamic_stack: false
    .vgpr_count:     0
    .vgpr_spill_count: 0
    .wavefront_size: 64
  - .agpr_count:     0
    .args:
      - .offset:         0
        .size:           136
        .value_kind:     by_value
    .group_segment_fixed_size: 0
    .kernarg_segment_align: 8
    .kernarg_segment_size: 136
    .language:       OpenCL C
    .language_version:
      - 2
      - 0
    .max_flat_workgroup_size: 384
    .name:           _ZN7rocprim17ROCPRIM_400000_NS6detail17trampoline_kernelINS0_14default_configENS1_25partition_config_selectorILNS1_17partition_subalgoE8ElNS0_10empty_typeEbEEZZNS1_14partition_implILS5_8ELb0ES3_jPlPS6_PKS6_NS0_5tupleIJS9_S6_EEENSD_IJSA_SA_EEENS0_18inequality_wrapperIZN2at6native12_GLOBAL__N_124unique_dim_cuda_templateIjEESt5tupleIJNSH_6TensorESM_SM_EERKSM_lbbbEUlllE0_EEPmJS6_EEE10hipError_tPvRmT3_T4_T5_T6_T7_T9_mT8_P12ihipStream_tbDpT10_ENKUlT_T0_E_clISt17integral_constantIbLb0EES1B_IbLb1EEEEDaS17_S18_EUlS17_E_NS1_11comp_targetILNS1_3genE10ELNS1_11target_archE1200ELNS1_3gpuE4ELNS1_3repE0EEENS1_30default_config_static_selectorELNS0_4arch9wavefront6targetE1EEEvT1_
    .private_segment_fixed_size: 0
    .sgpr_count:     6
    .sgpr_spill_count: 0
    .symbol:         _ZN7rocprim17ROCPRIM_400000_NS6detail17trampoline_kernelINS0_14default_configENS1_25partition_config_selectorILNS1_17partition_subalgoE8ElNS0_10empty_typeEbEEZZNS1_14partition_implILS5_8ELb0ES3_jPlPS6_PKS6_NS0_5tupleIJS9_S6_EEENSD_IJSA_SA_EEENS0_18inequality_wrapperIZN2at6native12_GLOBAL__N_124unique_dim_cuda_templateIjEESt5tupleIJNSH_6TensorESM_SM_EERKSM_lbbbEUlllE0_EEPmJS6_EEE10hipError_tPvRmT3_T4_T5_T6_T7_T9_mT8_P12ihipStream_tbDpT10_ENKUlT_T0_E_clISt17integral_constantIbLb0EES1B_IbLb1EEEEDaS17_S18_EUlS17_E_NS1_11comp_targetILNS1_3genE10ELNS1_11target_archE1200ELNS1_3gpuE4ELNS1_3repE0EEENS1_30default_config_static_selectorELNS0_4arch9wavefront6targetE1EEEvT1_.kd
    .uniform_work_group_size: 1
    .uses_dynamic_stack: false
    .vgpr_count:     0
    .vgpr_spill_count: 0
    .wavefront_size: 64
  - .agpr_count:     0
    .args:
      - .offset:         0
        .size:           136
        .value_kind:     by_value
    .group_segment_fixed_size: 0
    .kernarg_segment_align: 8
    .kernarg_segment_size: 136
    .language:       OpenCL C
    .language_version:
      - 2
      - 0
    .max_flat_workgroup_size: 512
    .name:           _ZN7rocprim17ROCPRIM_400000_NS6detail17trampoline_kernelINS0_14default_configENS1_25partition_config_selectorILNS1_17partition_subalgoE8ElNS0_10empty_typeEbEEZZNS1_14partition_implILS5_8ELb0ES3_jPlPS6_PKS6_NS0_5tupleIJS9_S6_EEENSD_IJSA_SA_EEENS0_18inequality_wrapperIZN2at6native12_GLOBAL__N_124unique_dim_cuda_templateIjEESt5tupleIJNSH_6TensorESM_SM_EERKSM_lbbbEUlllE0_EEPmJS6_EEE10hipError_tPvRmT3_T4_T5_T6_T7_T9_mT8_P12ihipStream_tbDpT10_ENKUlT_T0_E_clISt17integral_constantIbLb0EES1B_IbLb1EEEEDaS17_S18_EUlS17_E_NS1_11comp_targetILNS1_3genE9ELNS1_11target_archE1100ELNS1_3gpuE3ELNS1_3repE0EEENS1_30default_config_static_selectorELNS0_4arch9wavefront6targetE1EEEvT1_
    .private_segment_fixed_size: 0
    .sgpr_count:     6
    .sgpr_spill_count: 0
    .symbol:         _ZN7rocprim17ROCPRIM_400000_NS6detail17trampoline_kernelINS0_14default_configENS1_25partition_config_selectorILNS1_17partition_subalgoE8ElNS0_10empty_typeEbEEZZNS1_14partition_implILS5_8ELb0ES3_jPlPS6_PKS6_NS0_5tupleIJS9_S6_EEENSD_IJSA_SA_EEENS0_18inequality_wrapperIZN2at6native12_GLOBAL__N_124unique_dim_cuda_templateIjEESt5tupleIJNSH_6TensorESM_SM_EERKSM_lbbbEUlllE0_EEPmJS6_EEE10hipError_tPvRmT3_T4_T5_T6_T7_T9_mT8_P12ihipStream_tbDpT10_ENKUlT_T0_E_clISt17integral_constantIbLb0EES1B_IbLb1EEEEDaS17_S18_EUlS17_E_NS1_11comp_targetILNS1_3genE9ELNS1_11target_archE1100ELNS1_3gpuE3ELNS1_3repE0EEENS1_30default_config_static_selectorELNS0_4arch9wavefront6targetE1EEEvT1_.kd
    .uniform_work_group_size: 1
    .uses_dynamic_stack: false
    .vgpr_count:     0
    .vgpr_spill_count: 0
    .wavefront_size: 64
  - .agpr_count:     0
    .args:
      - .offset:         0
        .size:           136
        .value_kind:     by_value
    .group_segment_fixed_size: 0
    .kernarg_segment_align: 8
    .kernarg_segment_size: 136
    .language:       OpenCL C
    .language_version:
      - 2
      - 0
    .max_flat_workgroup_size: 512
    .name:           _ZN7rocprim17ROCPRIM_400000_NS6detail17trampoline_kernelINS0_14default_configENS1_25partition_config_selectorILNS1_17partition_subalgoE8ElNS0_10empty_typeEbEEZZNS1_14partition_implILS5_8ELb0ES3_jPlPS6_PKS6_NS0_5tupleIJS9_S6_EEENSD_IJSA_SA_EEENS0_18inequality_wrapperIZN2at6native12_GLOBAL__N_124unique_dim_cuda_templateIjEESt5tupleIJNSH_6TensorESM_SM_EERKSM_lbbbEUlllE0_EEPmJS6_EEE10hipError_tPvRmT3_T4_T5_T6_T7_T9_mT8_P12ihipStream_tbDpT10_ENKUlT_T0_E_clISt17integral_constantIbLb0EES1B_IbLb1EEEEDaS17_S18_EUlS17_E_NS1_11comp_targetILNS1_3genE8ELNS1_11target_archE1030ELNS1_3gpuE2ELNS1_3repE0EEENS1_30default_config_static_selectorELNS0_4arch9wavefront6targetE1EEEvT1_
    .private_segment_fixed_size: 0
    .sgpr_count:     6
    .sgpr_spill_count: 0
    .symbol:         _ZN7rocprim17ROCPRIM_400000_NS6detail17trampoline_kernelINS0_14default_configENS1_25partition_config_selectorILNS1_17partition_subalgoE8ElNS0_10empty_typeEbEEZZNS1_14partition_implILS5_8ELb0ES3_jPlPS6_PKS6_NS0_5tupleIJS9_S6_EEENSD_IJSA_SA_EEENS0_18inequality_wrapperIZN2at6native12_GLOBAL__N_124unique_dim_cuda_templateIjEESt5tupleIJNSH_6TensorESM_SM_EERKSM_lbbbEUlllE0_EEPmJS6_EEE10hipError_tPvRmT3_T4_T5_T6_T7_T9_mT8_P12ihipStream_tbDpT10_ENKUlT_T0_E_clISt17integral_constantIbLb0EES1B_IbLb1EEEEDaS17_S18_EUlS17_E_NS1_11comp_targetILNS1_3genE8ELNS1_11target_archE1030ELNS1_3gpuE2ELNS1_3repE0EEENS1_30default_config_static_selectorELNS0_4arch9wavefront6targetE1EEEvT1_.kd
    .uniform_work_group_size: 1
    .uses_dynamic_stack: false
    .vgpr_count:     0
    .vgpr_spill_count: 0
    .wavefront_size: 64
  - .agpr_count:     0
    .args:
      - .offset:         0
        .size:           120
        .value_kind:     by_value
    .group_segment_fixed_size: 5128
    .kernarg_segment_align: 8
    .kernarg_segment_size: 120
    .language:       OpenCL C
    .language_version:
      - 2
      - 0
    .max_flat_workgroup_size: 128
    .name:           _ZN7rocprim17ROCPRIM_400000_NS6detail17trampoline_kernelINS0_14default_configENS1_25partition_config_selectorILNS1_17partition_subalgoE9EllbEEZZNS1_14partition_implILS5_9ELb0ES3_jPlS8_PNS0_10empty_typeENS0_5tupleIJS8_S9_EEENSB_IJS8_SA_EEENS0_18inequality_wrapperIZN2at6native12_GLOBAL__N_124unique_dim_cuda_templateIjEESt5tupleIJNSF_6TensorESK_SK_EERKSK_lbbbEUlllE0_EEPmJS9_EEE10hipError_tPvRmT3_T4_T5_T6_T7_T9_mT8_P12ihipStream_tbDpT10_ENKUlT_T0_E_clISt17integral_constantIbLb0EES1A_EEDaS15_S16_EUlS15_E_NS1_11comp_targetILNS1_3genE0ELNS1_11target_archE4294967295ELNS1_3gpuE0ELNS1_3repE0EEENS1_30default_config_static_selectorELNS0_4arch9wavefront6targetE1EEEvT1_
    .private_segment_fixed_size: 0
    .sgpr_count:     52
    .sgpr_spill_count: 0
    .symbol:         _ZN7rocprim17ROCPRIM_400000_NS6detail17trampoline_kernelINS0_14default_configENS1_25partition_config_selectorILNS1_17partition_subalgoE9EllbEEZZNS1_14partition_implILS5_9ELb0ES3_jPlS8_PNS0_10empty_typeENS0_5tupleIJS8_S9_EEENSB_IJS8_SA_EEENS0_18inequality_wrapperIZN2at6native12_GLOBAL__N_124unique_dim_cuda_templateIjEESt5tupleIJNSF_6TensorESK_SK_EERKSK_lbbbEUlllE0_EEPmJS9_EEE10hipError_tPvRmT3_T4_T5_T6_T7_T9_mT8_P12ihipStream_tbDpT10_ENKUlT_T0_E_clISt17integral_constantIbLb0EES1A_EEDaS15_S16_EUlS15_E_NS1_11comp_targetILNS1_3genE0ELNS1_11target_archE4294967295ELNS1_3gpuE0ELNS1_3repE0EEENS1_30default_config_static_selectorELNS0_4arch9wavefront6targetE1EEEvT1_.kd
    .uniform_work_group_size: 1
    .uses_dynamic_stack: false
    .vgpr_count:     60
    .vgpr_spill_count: 0
    .wavefront_size: 64
  - .agpr_count:     0
    .args:
      - .offset:         0
        .size:           120
        .value_kind:     by_value
    .group_segment_fixed_size: 0
    .kernarg_segment_align: 8
    .kernarg_segment_size: 120
    .language:       OpenCL C
    .language_version:
      - 2
      - 0
    .max_flat_workgroup_size: 512
    .name:           _ZN7rocprim17ROCPRIM_400000_NS6detail17trampoline_kernelINS0_14default_configENS1_25partition_config_selectorILNS1_17partition_subalgoE9EllbEEZZNS1_14partition_implILS5_9ELb0ES3_jPlS8_PNS0_10empty_typeENS0_5tupleIJS8_S9_EEENSB_IJS8_SA_EEENS0_18inequality_wrapperIZN2at6native12_GLOBAL__N_124unique_dim_cuda_templateIjEESt5tupleIJNSF_6TensorESK_SK_EERKSK_lbbbEUlllE0_EEPmJS9_EEE10hipError_tPvRmT3_T4_T5_T6_T7_T9_mT8_P12ihipStream_tbDpT10_ENKUlT_T0_E_clISt17integral_constantIbLb0EES1A_EEDaS15_S16_EUlS15_E_NS1_11comp_targetILNS1_3genE5ELNS1_11target_archE942ELNS1_3gpuE9ELNS1_3repE0EEENS1_30default_config_static_selectorELNS0_4arch9wavefront6targetE1EEEvT1_
    .private_segment_fixed_size: 0
    .sgpr_count:     6
    .sgpr_spill_count: 0
    .symbol:         _ZN7rocprim17ROCPRIM_400000_NS6detail17trampoline_kernelINS0_14default_configENS1_25partition_config_selectorILNS1_17partition_subalgoE9EllbEEZZNS1_14partition_implILS5_9ELb0ES3_jPlS8_PNS0_10empty_typeENS0_5tupleIJS8_S9_EEENSB_IJS8_SA_EEENS0_18inequality_wrapperIZN2at6native12_GLOBAL__N_124unique_dim_cuda_templateIjEESt5tupleIJNSF_6TensorESK_SK_EERKSK_lbbbEUlllE0_EEPmJS9_EEE10hipError_tPvRmT3_T4_T5_T6_T7_T9_mT8_P12ihipStream_tbDpT10_ENKUlT_T0_E_clISt17integral_constantIbLb0EES1A_EEDaS15_S16_EUlS15_E_NS1_11comp_targetILNS1_3genE5ELNS1_11target_archE942ELNS1_3gpuE9ELNS1_3repE0EEENS1_30default_config_static_selectorELNS0_4arch9wavefront6targetE1EEEvT1_.kd
    .uniform_work_group_size: 1
    .uses_dynamic_stack: false
    .vgpr_count:     0
    .vgpr_spill_count: 0
    .wavefront_size: 64
  - .agpr_count:     0
    .args:
      - .offset:         0
        .size:           120
        .value_kind:     by_value
    .group_segment_fixed_size: 0
    .kernarg_segment_align: 8
    .kernarg_segment_size: 120
    .language:       OpenCL C
    .language_version:
      - 2
      - 0
    .max_flat_workgroup_size: 128
    .name:           _ZN7rocprim17ROCPRIM_400000_NS6detail17trampoline_kernelINS0_14default_configENS1_25partition_config_selectorILNS1_17partition_subalgoE9EllbEEZZNS1_14partition_implILS5_9ELb0ES3_jPlS8_PNS0_10empty_typeENS0_5tupleIJS8_S9_EEENSB_IJS8_SA_EEENS0_18inequality_wrapperIZN2at6native12_GLOBAL__N_124unique_dim_cuda_templateIjEESt5tupleIJNSF_6TensorESK_SK_EERKSK_lbbbEUlllE0_EEPmJS9_EEE10hipError_tPvRmT3_T4_T5_T6_T7_T9_mT8_P12ihipStream_tbDpT10_ENKUlT_T0_E_clISt17integral_constantIbLb0EES1A_EEDaS15_S16_EUlS15_E_NS1_11comp_targetILNS1_3genE4ELNS1_11target_archE910ELNS1_3gpuE8ELNS1_3repE0EEENS1_30default_config_static_selectorELNS0_4arch9wavefront6targetE1EEEvT1_
    .private_segment_fixed_size: 0
    .sgpr_count:     6
    .sgpr_spill_count: 0
    .symbol:         _ZN7rocprim17ROCPRIM_400000_NS6detail17trampoline_kernelINS0_14default_configENS1_25partition_config_selectorILNS1_17partition_subalgoE9EllbEEZZNS1_14partition_implILS5_9ELb0ES3_jPlS8_PNS0_10empty_typeENS0_5tupleIJS8_S9_EEENSB_IJS8_SA_EEENS0_18inequality_wrapperIZN2at6native12_GLOBAL__N_124unique_dim_cuda_templateIjEESt5tupleIJNSF_6TensorESK_SK_EERKSK_lbbbEUlllE0_EEPmJS9_EEE10hipError_tPvRmT3_T4_T5_T6_T7_T9_mT8_P12ihipStream_tbDpT10_ENKUlT_T0_E_clISt17integral_constantIbLb0EES1A_EEDaS15_S16_EUlS15_E_NS1_11comp_targetILNS1_3genE4ELNS1_11target_archE910ELNS1_3gpuE8ELNS1_3repE0EEENS1_30default_config_static_selectorELNS0_4arch9wavefront6targetE1EEEvT1_.kd
    .uniform_work_group_size: 1
    .uses_dynamic_stack: false
    .vgpr_count:     0
    .vgpr_spill_count: 0
    .wavefront_size: 64
  - .agpr_count:     0
    .args:
      - .offset:         0
        .size:           120
        .value_kind:     by_value
    .group_segment_fixed_size: 0
    .kernarg_segment_align: 8
    .kernarg_segment_size: 120
    .language:       OpenCL C
    .language_version:
      - 2
      - 0
    .max_flat_workgroup_size: 128
    .name:           _ZN7rocprim17ROCPRIM_400000_NS6detail17trampoline_kernelINS0_14default_configENS1_25partition_config_selectorILNS1_17partition_subalgoE9EllbEEZZNS1_14partition_implILS5_9ELb0ES3_jPlS8_PNS0_10empty_typeENS0_5tupleIJS8_S9_EEENSB_IJS8_SA_EEENS0_18inequality_wrapperIZN2at6native12_GLOBAL__N_124unique_dim_cuda_templateIjEESt5tupleIJNSF_6TensorESK_SK_EERKSK_lbbbEUlllE0_EEPmJS9_EEE10hipError_tPvRmT3_T4_T5_T6_T7_T9_mT8_P12ihipStream_tbDpT10_ENKUlT_T0_E_clISt17integral_constantIbLb0EES1A_EEDaS15_S16_EUlS15_E_NS1_11comp_targetILNS1_3genE3ELNS1_11target_archE908ELNS1_3gpuE7ELNS1_3repE0EEENS1_30default_config_static_selectorELNS0_4arch9wavefront6targetE1EEEvT1_
    .private_segment_fixed_size: 0
    .sgpr_count:     6
    .sgpr_spill_count: 0
    .symbol:         _ZN7rocprim17ROCPRIM_400000_NS6detail17trampoline_kernelINS0_14default_configENS1_25partition_config_selectorILNS1_17partition_subalgoE9EllbEEZZNS1_14partition_implILS5_9ELb0ES3_jPlS8_PNS0_10empty_typeENS0_5tupleIJS8_S9_EEENSB_IJS8_SA_EEENS0_18inequality_wrapperIZN2at6native12_GLOBAL__N_124unique_dim_cuda_templateIjEESt5tupleIJNSF_6TensorESK_SK_EERKSK_lbbbEUlllE0_EEPmJS9_EEE10hipError_tPvRmT3_T4_T5_T6_T7_T9_mT8_P12ihipStream_tbDpT10_ENKUlT_T0_E_clISt17integral_constantIbLb0EES1A_EEDaS15_S16_EUlS15_E_NS1_11comp_targetILNS1_3genE3ELNS1_11target_archE908ELNS1_3gpuE7ELNS1_3repE0EEENS1_30default_config_static_selectorELNS0_4arch9wavefront6targetE1EEEvT1_.kd
    .uniform_work_group_size: 1
    .uses_dynamic_stack: false
    .vgpr_count:     0
    .vgpr_spill_count: 0
    .wavefront_size: 64
  - .agpr_count:     0
    .args:
      - .offset:         0
        .size:           120
        .value_kind:     by_value
    .group_segment_fixed_size: 0
    .kernarg_segment_align: 8
    .kernarg_segment_size: 120
    .language:       OpenCL C
    .language_version:
      - 2
      - 0
    .max_flat_workgroup_size: 192
    .name:           _ZN7rocprim17ROCPRIM_400000_NS6detail17trampoline_kernelINS0_14default_configENS1_25partition_config_selectorILNS1_17partition_subalgoE9EllbEEZZNS1_14partition_implILS5_9ELb0ES3_jPlS8_PNS0_10empty_typeENS0_5tupleIJS8_S9_EEENSB_IJS8_SA_EEENS0_18inequality_wrapperIZN2at6native12_GLOBAL__N_124unique_dim_cuda_templateIjEESt5tupleIJNSF_6TensorESK_SK_EERKSK_lbbbEUlllE0_EEPmJS9_EEE10hipError_tPvRmT3_T4_T5_T6_T7_T9_mT8_P12ihipStream_tbDpT10_ENKUlT_T0_E_clISt17integral_constantIbLb0EES1A_EEDaS15_S16_EUlS15_E_NS1_11comp_targetILNS1_3genE2ELNS1_11target_archE906ELNS1_3gpuE6ELNS1_3repE0EEENS1_30default_config_static_selectorELNS0_4arch9wavefront6targetE1EEEvT1_
    .private_segment_fixed_size: 0
    .sgpr_count:     6
    .sgpr_spill_count: 0
    .symbol:         _ZN7rocprim17ROCPRIM_400000_NS6detail17trampoline_kernelINS0_14default_configENS1_25partition_config_selectorILNS1_17partition_subalgoE9EllbEEZZNS1_14partition_implILS5_9ELb0ES3_jPlS8_PNS0_10empty_typeENS0_5tupleIJS8_S9_EEENSB_IJS8_SA_EEENS0_18inequality_wrapperIZN2at6native12_GLOBAL__N_124unique_dim_cuda_templateIjEESt5tupleIJNSF_6TensorESK_SK_EERKSK_lbbbEUlllE0_EEPmJS9_EEE10hipError_tPvRmT3_T4_T5_T6_T7_T9_mT8_P12ihipStream_tbDpT10_ENKUlT_T0_E_clISt17integral_constantIbLb0EES1A_EEDaS15_S16_EUlS15_E_NS1_11comp_targetILNS1_3genE2ELNS1_11target_archE906ELNS1_3gpuE6ELNS1_3repE0EEENS1_30default_config_static_selectorELNS0_4arch9wavefront6targetE1EEEvT1_.kd
    .uniform_work_group_size: 1
    .uses_dynamic_stack: false
    .vgpr_count:     0
    .vgpr_spill_count: 0
    .wavefront_size: 64
  - .agpr_count:     0
    .args:
      - .offset:         0
        .size:           120
        .value_kind:     by_value
    .group_segment_fixed_size: 0
    .kernarg_segment_align: 8
    .kernarg_segment_size: 120
    .language:       OpenCL C
    .language_version:
      - 2
      - 0
    .max_flat_workgroup_size: 384
    .name:           _ZN7rocprim17ROCPRIM_400000_NS6detail17trampoline_kernelINS0_14default_configENS1_25partition_config_selectorILNS1_17partition_subalgoE9EllbEEZZNS1_14partition_implILS5_9ELb0ES3_jPlS8_PNS0_10empty_typeENS0_5tupleIJS8_S9_EEENSB_IJS8_SA_EEENS0_18inequality_wrapperIZN2at6native12_GLOBAL__N_124unique_dim_cuda_templateIjEESt5tupleIJNSF_6TensorESK_SK_EERKSK_lbbbEUlllE0_EEPmJS9_EEE10hipError_tPvRmT3_T4_T5_T6_T7_T9_mT8_P12ihipStream_tbDpT10_ENKUlT_T0_E_clISt17integral_constantIbLb0EES1A_EEDaS15_S16_EUlS15_E_NS1_11comp_targetILNS1_3genE10ELNS1_11target_archE1200ELNS1_3gpuE4ELNS1_3repE0EEENS1_30default_config_static_selectorELNS0_4arch9wavefront6targetE1EEEvT1_
    .private_segment_fixed_size: 0
    .sgpr_count:     6
    .sgpr_spill_count: 0
    .symbol:         _ZN7rocprim17ROCPRIM_400000_NS6detail17trampoline_kernelINS0_14default_configENS1_25partition_config_selectorILNS1_17partition_subalgoE9EllbEEZZNS1_14partition_implILS5_9ELb0ES3_jPlS8_PNS0_10empty_typeENS0_5tupleIJS8_S9_EEENSB_IJS8_SA_EEENS0_18inequality_wrapperIZN2at6native12_GLOBAL__N_124unique_dim_cuda_templateIjEESt5tupleIJNSF_6TensorESK_SK_EERKSK_lbbbEUlllE0_EEPmJS9_EEE10hipError_tPvRmT3_T4_T5_T6_T7_T9_mT8_P12ihipStream_tbDpT10_ENKUlT_T0_E_clISt17integral_constantIbLb0EES1A_EEDaS15_S16_EUlS15_E_NS1_11comp_targetILNS1_3genE10ELNS1_11target_archE1200ELNS1_3gpuE4ELNS1_3repE0EEENS1_30default_config_static_selectorELNS0_4arch9wavefront6targetE1EEEvT1_.kd
    .uniform_work_group_size: 1
    .uses_dynamic_stack: false
    .vgpr_count:     0
    .vgpr_spill_count: 0
    .wavefront_size: 64
  - .agpr_count:     0
    .args:
      - .offset:         0
        .size:           120
        .value_kind:     by_value
    .group_segment_fixed_size: 0
    .kernarg_segment_align: 8
    .kernarg_segment_size: 120
    .language:       OpenCL C
    .language_version:
      - 2
      - 0
    .max_flat_workgroup_size: 512
    .name:           _ZN7rocprim17ROCPRIM_400000_NS6detail17trampoline_kernelINS0_14default_configENS1_25partition_config_selectorILNS1_17partition_subalgoE9EllbEEZZNS1_14partition_implILS5_9ELb0ES3_jPlS8_PNS0_10empty_typeENS0_5tupleIJS8_S9_EEENSB_IJS8_SA_EEENS0_18inequality_wrapperIZN2at6native12_GLOBAL__N_124unique_dim_cuda_templateIjEESt5tupleIJNSF_6TensorESK_SK_EERKSK_lbbbEUlllE0_EEPmJS9_EEE10hipError_tPvRmT3_T4_T5_T6_T7_T9_mT8_P12ihipStream_tbDpT10_ENKUlT_T0_E_clISt17integral_constantIbLb0EES1A_EEDaS15_S16_EUlS15_E_NS1_11comp_targetILNS1_3genE9ELNS1_11target_archE1100ELNS1_3gpuE3ELNS1_3repE0EEENS1_30default_config_static_selectorELNS0_4arch9wavefront6targetE1EEEvT1_
    .private_segment_fixed_size: 0
    .sgpr_count:     6
    .sgpr_spill_count: 0
    .symbol:         _ZN7rocprim17ROCPRIM_400000_NS6detail17trampoline_kernelINS0_14default_configENS1_25partition_config_selectorILNS1_17partition_subalgoE9EllbEEZZNS1_14partition_implILS5_9ELb0ES3_jPlS8_PNS0_10empty_typeENS0_5tupleIJS8_S9_EEENSB_IJS8_SA_EEENS0_18inequality_wrapperIZN2at6native12_GLOBAL__N_124unique_dim_cuda_templateIjEESt5tupleIJNSF_6TensorESK_SK_EERKSK_lbbbEUlllE0_EEPmJS9_EEE10hipError_tPvRmT3_T4_T5_T6_T7_T9_mT8_P12ihipStream_tbDpT10_ENKUlT_T0_E_clISt17integral_constantIbLb0EES1A_EEDaS15_S16_EUlS15_E_NS1_11comp_targetILNS1_3genE9ELNS1_11target_archE1100ELNS1_3gpuE3ELNS1_3repE0EEENS1_30default_config_static_selectorELNS0_4arch9wavefront6targetE1EEEvT1_.kd
    .uniform_work_group_size: 1
    .uses_dynamic_stack: false
    .vgpr_count:     0
    .vgpr_spill_count: 0
    .wavefront_size: 64
  - .agpr_count:     0
    .args:
      - .offset:         0
        .size:           120
        .value_kind:     by_value
    .group_segment_fixed_size: 0
    .kernarg_segment_align: 8
    .kernarg_segment_size: 120
    .language:       OpenCL C
    .language_version:
      - 2
      - 0
    .max_flat_workgroup_size: 512
    .name:           _ZN7rocprim17ROCPRIM_400000_NS6detail17trampoline_kernelINS0_14default_configENS1_25partition_config_selectorILNS1_17partition_subalgoE9EllbEEZZNS1_14partition_implILS5_9ELb0ES3_jPlS8_PNS0_10empty_typeENS0_5tupleIJS8_S9_EEENSB_IJS8_SA_EEENS0_18inequality_wrapperIZN2at6native12_GLOBAL__N_124unique_dim_cuda_templateIjEESt5tupleIJNSF_6TensorESK_SK_EERKSK_lbbbEUlllE0_EEPmJS9_EEE10hipError_tPvRmT3_T4_T5_T6_T7_T9_mT8_P12ihipStream_tbDpT10_ENKUlT_T0_E_clISt17integral_constantIbLb0EES1A_EEDaS15_S16_EUlS15_E_NS1_11comp_targetILNS1_3genE8ELNS1_11target_archE1030ELNS1_3gpuE2ELNS1_3repE0EEENS1_30default_config_static_selectorELNS0_4arch9wavefront6targetE1EEEvT1_
    .private_segment_fixed_size: 0
    .sgpr_count:     6
    .sgpr_spill_count: 0
    .symbol:         _ZN7rocprim17ROCPRIM_400000_NS6detail17trampoline_kernelINS0_14default_configENS1_25partition_config_selectorILNS1_17partition_subalgoE9EllbEEZZNS1_14partition_implILS5_9ELb0ES3_jPlS8_PNS0_10empty_typeENS0_5tupleIJS8_S9_EEENSB_IJS8_SA_EEENS0_18inequality_wrapperIZN2at6native12_GLOBAL__N_124unique_dim_cuda_templateIjEESt5tupleIJNSF_6TensorESK_SK_EERKSK_lbbbEUlllE0_EEPmJS9_EEE10hipError_tPvRmT3_T4_T5_T6_T7_T9_mT8_P12ihipStream_tbDpT10_ENKUlT_T0_E_clISt17integral_constantIbLb0EES1A_EEDaS15_S16_EUlS15_E_NS1_11comp_targetILNS1_3genE8ELNS1_11target_archE1030ELNS1_3gpuE2ELNS1_3repE0EEENS1_30default_config_static_selectorELNS0_4arch9wavefront6targetE1EEEvT1_.kd
    .uniform_work_group_size: 1
    .uses_dynamic_stack: false
    .vgpr_count:     0
    .vgpr_spill_count: 0
    .wavefront_size: 64
  - .agpr_count:     0
    .args:
      - .offset:         0
        .size:           136
        .value_kind:     by_value
    .group_segment_fixed_size: 0
    .kernarg_segment_align: 8
    .kernarg_segment_size: 136
    .language:       OpenCL C
    .language_version:
      - 2
      - 0
    .max_flat_workgroup_size: 128
    .name:           _ZN7rocprim17ROCPRIM_400000_NS6detail17trampoline_kernelINS0_14default_configENS1_25partition_config_selectorILNS1_17partition_subalgoE9EllbEEZZNS1_14partition_implILS5_9ELb0ES3_jPlS8_PNS0_10empty_typeENS0_5tupleIJS8_S9_EEENSB_IJS8_SA_EEENS0_18inequality_wrapperIZN2at6native12_GLOBAL__N_124unique_dim_cuda_templateIjEESt5tupleIJNSF_6TensorESK_SK_EERKSK_lbbbEUlllE0_EEPmJS9_EEE10hipError_tPvRmT3_T4_T5_T6_T7_T9_mT8_P12ihipStream_tbDpT10_ENKUlT_T0_E_clISt17integral_constantIbLb1EES1A_EEDaS15_S16_EUlS15_E_NS1_11comp_targetILNS1_3genE0ELNS1_11target_archE4294967295ELNS1_3gpuE0ELNS1_3repE0EEENS1_30default_config_static_selectorELNS0_4arch9wavefront6targetE1EEEvT1_
    .private_segment_fixed_size: 0
    .sgpr_count:     6
    .sgpr_spill_count: 0
    .symbol:         _ZN7rocprim17ROCPRIM_400000_NS6detail17trampoline_kernelINS0_14default_configENS1_25partition_config_selectorILNS1_17partition_subalgoE9EllbEEZZNS1_14partition_implILS5_9ELb0ES3_jPlS8_PNS0_10empty_typeENS0_5tupleIJS8_S9_EEENSB_IJS8_SA_EEENS0_18inequality_wrapperIZN2at6native12_GLOBAL__N_124unique_dim_cuda_templateIjEESt5tupleIJNSF_6TensorESK_SK_EERKSK_lbbbEUlllE0_EEPmJS9_EEE10hipError_tPvRmT3_T4_T5_T6_T7_T9_mT8_P12ihipStream_tbDpT10_ENKUlT_T0_E_clISt17integral_constantIbLb1EES1A_EEDaS15_S16_EUlS15_E_NS1_11comp_targetILNS1_3genE0ELNS1_11target_archE4294967295ELNS1_3gpuE0ELNS1_3repE0EEENS1_30default_config_static_selectorELNS0_4arch9wavefront6targetE1EEEvT1_.kd
    .uniform_work_group_size: 1
    .uses_dynamic_stack: false
    .vgpr_count:     0
    .vgpr_spill_count: 0
    .wavefront_size: 64
  - .agpr_count:     0
    .args:
      - .offset:         0
        .size:           136
        .value_kind:     by_value
    .group_segment_fixed_size: 0
    .kernarg_segment_align: 8
    .kernarg_segment_size: 136
    .language:       OpenCL C
    .language_version:
      - 2
      - 0
    .max_flat_workgroup_size: 512
    .name:           _ZN7rocprim17ROCPRIM_400000_NS6detail17trampoline_kernelINS0_14default_configENS1_25partition_config_selectorILNS1_17partition_subalgoE9EllbEEZZNS1_14partition_implILS5_9ELb0ES3_jPlS8_PNS0_10empty_typeENS0_5tupleIJS8_S9_EEENSB_IJS8_SA_EEENS0_18inequality_wrapperIZN2at6native12_GLOBAL__N_124unique_dim_cuda_templateIjEESt5tupleIJNSF_6TensorESK_SK_EERKSK_lbbbEUlllE0_EEPmJS9_EEE10hipError_tPvRmT3_T4_T5_T6_T7_T9_mT8_P12ihipStream_tbDpT10_ENKUlT_T0_E_clISt17integral_constantIbLb1EES1A_EEDaS15_S16_EUlS15_E_NS1_11comp_targetILNS1_3genE5ELNS1_11target_archE942ELNS1_3gpuE9ELNS1_3repE0EEENS1_30default_config_static_selectorELNS0_4arch9wavefront6targetE1EEEvT1_
    .private_segment_fixed_size: 0
    .sgpr_count:     6
    .sgpr_spill_count: 0
    .symbol:         _ZN7rocprim17ROCPRIM_400000_NS6detail17trampoline_kernelINS0_14default_configENS1_25partition_config_selectorILNS1_17partition_subalgoE9EllbEEZZNS1_14partition_implILS5_9ELb0ES3_jPlS8_PNS0_10empty_typeENS0_5tupleIJS8_S9_EEENSB_IJS8_SA_EEENS0_18inequality_wrapperIZN2at6native12_GLOBAL__N_124unique_dim_cuda_templateIjEESt5tupleIJNSF_6TensorESK_SK_EERKSK_lbbbEUlllE0_EEPmJS9_EEE10hipError_tPvRmT3_T4_T5_T6_T7_T9_mT8_P12ihipStream_tbDpT10_ENKUlT_T0_E_clISt17integral_constantIbLb1EES1A_EEDaS15_S16_EUlS15_E_NS1_11comp_targetILNS1_3genE5ELNS1_11target_archE942ELNS1_3gpuE9ELNS1_3repE0EEENS1_30default_config_static_selectorELNS0_4arch9wavefront6targetE1EEEvT1_.kd
    .uniform_work_group_size: 1
    .uses_dynamic_stack: false
    .vgpr_count:     0
    .vgpr_spill_count: 0
    .wavefront_size: 64
  - .agpr_count:     0
    .args:
      - .offset:         0
        .size:           136
        .value_kind:     by_value
    .group_segment_fixed_size: 0
    .kernarg_segment_align: 8
    .kernarg_segment_size: 136
    .language:       OpenCL C
    .language_version:
      - 2
      - 0
    .max_flat_workgroup_size: 128
    .name:           _ZN7rocprim17ROCPRIM_400000_NS6detail17trampoline_kernelINS0_14default_configENS1_25partition_config_selectorILNS1_17partition_subalgoE9EllbEEZZNS1_14partition_implILS5_9ELb0ES3_jPlS8_PNS0_10empty_typeENS0_5tupleIJS8_S9_EEENSB_IJS8_SA_EEENS0_18inequality_wrapperIZN2at6native12_GLOBAL__N_124unique_dim_cuda_templateIjEESt5tupleIJNSF_6TensorESK_SK_EERKSK_lbbbEUlllE0_EEPmJS9_EEE10hipError_tPvRmT3_T4_T5_T6_T7_T9_mT8_P12ihipStream_tbDpT10_ENKUlT_T0_E_clISt17integral_constantIbLb1EES1A_EEDaS15_S16_EUlS15_E_NS1_11comp_targetILNS1_3genE4ELNS1_11target_archE910ELNS1_3gpuE8ELNS1_3repE0EEENS1_30default_config_static_selectorELNS0_4arch9wavefront6targetE1EEEvT1_
    .private_segment_fixed_size: 0
    .sgpr_count:     6
    .sgpr_spill_count: 0
    .symbol:         _ZN7rocprim17ROCPRIM_400000_NS6detail17trampoline_kernelINS0_14default_configENS1_25partition_config_selectorILNS1_17partition_subalgoE9EllbEEZZNS1_14partition_implILS5_9ELb0ES3_jPlS8_PNS0_10empty_typeENS0_5tupleIJS8_S9_EEENSB_IJS8_SA_EEENS0_18inequality_wrapperIZN2at6native12_GLOBAL__N_124unique_dim_cuda_templateIjEESt5tupleIJNSF_6TensorESK_SK_EERKSK_lbbbEUlllE0_EEPmJS9_EEE10hipError_tPvRmT3_T4_T5_T6_T7_T9_mT8_P12ihipStream_tbDpT10_ENKUlT_T0_E_clISt17integral_constantIbLb1EES1A_EEDaS15_S16_EUlS15_E_NS1_11comp_targetILNS1_3genE4ELNS1_11target_archE910ELNS1_3gpuE8ELNS1_3repE0EEENS1_30default_config_static_selectorELNS0_4arch9wavefront6targetE1EEEvT1_.kd
    .uniform_work_group_size: 1
    .uses_dynamic_stack: false
    .vgpr_count:     0
    .vgpr_spill_count: 0
    .wavefront_size: 64
  - .agpr_count:     0
    .args:
      - .offset:         0
        .size:           136
        .value_kind:     by_value
    .group_segment_fixed_size: 0
    .kernarg_segment_align: 8
    .kernarg_segment_size: 136
    .language:       OpenCL C
    .language_version:
      - 2
      - 0
    .max_flat_workgroup_size: 128
    .name:           _ZN7rocprim17ROCPRIM_400000_NS6detail17trampoline_kernelINS0_14default_configENS1_25partition_config_selectorILNS1_17partition_subalgoE9EllbEEZZNS1_14partition_implILS5_9ELb0ES3_jPlS8_PNS0_10empty_typeENS0_5tupleIJS8_S9_EEENSB_IJS8_SA_EEENS0_18inequality_wrapperIZN2at6native12_GLOBAL__N_124unique_dim_cuda_templateIjEESt5tupleIJNSF_6TensorESK_SK_EERKSK_lbbbEUlllE0_EEPmJS9_EEE10hipError_tPvRmT3_T4_T5_T6_T7_T9_mT8_P12ihipStream_tbDpT10_ENKUlT_T0_E_clISt17integral_constantIbLb1EES1A_EEDaS15_S16_EUlS15_E_NS1_11comp_targetILNS1_3genE3ELNS1_11target_archE908ELNS1_3gpuE7ELNS1_3repE0EEENS1_30default_config_static_selectorELNS0_4arch9wavefront6targetE1EEEvT1_
    .private_segment_fixed_size: 0
    .sgpr_count:     6
    .sgpr_spill_count: 0
    .symbol:         _ZN7rocprim17ROCPRIM_400000_NS6detail17trampoline_kernelINS0_14default_configENS1_25partition_config_selectorILNS1_17partition_subalgoE9EllbEEZZNS1_14partition_implILS5_9ELb0ES3_jPlS8_PNS0_10empty_typeENS0_5tupleIJS8_S9_EEENSB_IJS8_SA_EEENS0_18inequality_wrapperIZN2at6native12_GLOBAL__N_124unique_dim_cuda_templateIjEESt5tupleIJNSF_6TensorESK_SK_EERKSK_lbbbEUlllE0_EEPmJS9_EEE10hipError_tPvRmT3_T4_T5_T6_T7_T9_mT8_P12ihipStream_tbDpT10_ENKUlT_T0_E_clISt17integral_constantIbLb1EES1A_EEDaS15_S16_EUlS15_E_NS1_11comp_targetILNS1_3genE3ELNS1_11target_archE908ELNS1_3gpuE7ELNS1_3repE0EEENS1_30default_config_static_selectorELNS0_4arch9wavefront6targetE1EEEvT1_.kd
    .uniform_work_group_size: 1
    .uses_dynamic_stack: false
    .vgpr_count:     0
    .vgpr_spill_count: 0
    .wavefront_size: 64
  - .agpr_count:     0
    .args:
      - .offset:         0
        .size:           136
        .value_kind:     by_value
    .group_segment_fixed_size: 0
    .kernarg_segment_align: 8
    .kernarg_segment_size: 136
    .language:       OpenCL C
    .language_version:
      - 2
      - 0
    .max_flat_workgroup_size: 192
    .name:           _ZN7rocprim17ROCPRIM_400000_NS6detail17trampoline_kernelINS0_14default_configENS1_25partition_config_selectorILNS1_17partition_subalgoE9EllbEEZZNS1_14partition_implILS5_9ELb0ES3_jPlS8_PNS0_10empty_typeENS0_5tupleIJS8_S9_EEENSB_IJS8_SA_EEENS0_18inequality_wrapperIZN2at6native12_GLOBAL__N_124unique_dim_cuda_templateIjEESt5tupleIJNSF_6TensorESK_SK_EERKSK_lbbbEUlllE0_EEPmJS9_EEE10hipError_tPvRmT3_T4_T5_T6_T7_T9_mT8_P12ihipStream_tbDpT10_ENKUlT_T0_E_clISt17integral_constantIbLb1EES1A_EEDaS15_S16_EUlS15_E_NS1_11comp_targetILNS1_3genE2ELNS1_11target_archE906ELNS1_3gpuE6ELNS1_3repE0EEENS1_30default_config_static_selectorELNS0_4arch9wavefront6targetE1EEEvT1_
    .private_segment_fixed_size: 0
    .sgpr_count:     6
    .sgpr_spill_count: 0
    .symbol:         _ZN7rocprim17ROCPRIM_400000_NS6detail17trampoline_kernelINS0_14default_configENS1_25partition_config_selectorILNS1_17partition_subalgoE9EllbEEZZNS1_14partition_implILS5_9ELb0ES3_jPlS8_PNS0_10empty_typeENS0_5tupleIJS8_S9_EEENSB_IJS8_SA_EEENS0_18inequality_wrapperIZN2at6native12_GLOBAL__N_124unique_dim_cuda_templateIjEESt5tupleIJNSF_6TensorESK_SK_EERKSK_lbbbEUlllE0_EEPmJS9_EEE10hipError_tPvRmT3_T4_T5_T6_T7_T9_mT8_P12ihipStream_tbDpT10_ENKUlT_T0_E_clISt17integral_constantIbLb1EES1A_EEDaS15_S16_EUlS15_E_NS1_11comp_targetILNS1_3genE2ELNS1_11target_archE906ELNS1_3gpuE6ELNS1_3repE0EEENS1_30default_config_static_selectorELNS0_4arch9wavefront6targetE1EEEvT1_.kd
    .uniform_work_group_size: 1
    .uses_dynamic_stack: false
    .vgpr_count:     0
    .vgpr_spill_count: 0
    .wavefront_size: 64
  - .agpr_count:     0
    .args:
      - .offset:         0
        .size:           136
        .value_kind:     by_value
    .group_segment_fixed_size: 0
    .kernarg_segment_align: 8
    .kernarg_segment_size: 136
    .language:       OpenCL C
    .language_version:
      - 2
      - 0
    .max_flat_workgroup_size: 384
    .name:           _ZN7rocprim17ROCPRIM_400000_NS6detail17trampoline_kernelINS0_14default_configENS1_25partition_config_selectorILNS1_17partition_subalgoE9EllbEEZZNS1_14partition_implILS5_9ELb0ES3_jPlS8_PNS0_10empty_typeENS0_5tupleIJS8_S9_EEENSB_IJS8_SA_EEENS0_18inequality_wrapperIZN2at6native12_GLOBAL__N_124unique_dim_cuda_templateIjEESt5tupleIJNSF_6TensorESK_SK_EERKSK_lbbbEUlllE0_EEPmJS9_EEE10hipError_tPvRmT3_T4_T5_T6_T7_T9_mT8_P12ihipStream_tbDpT10_ENKUlT_T0_E_clISt17integral_constantIbLb1EES1A_EEDaS15_S16_EUlS15_E_NS1_11comp_targetILNS1_3genE10ELNS1_11target_archE1200ELNS1_3gpuE4ELNS1_3repE0EEENS1_30default_config_static_selectorELNS0_4arch9wavefront6targetE1EEEvT1_
    .private_segment_fixed_size: 0
    .sgpr_count:     6
    .sgpr_spill_count: 0
    .symbol:         _ZN7rocprim17ROCPRIM_400000_NS6detail17trampoline_kernelINS0_14default_configENS1_25partition_config_selectorILNS1_17partition_subalgoE9EllbEEZZNS1_14partition_implILS5_9ELb0ES3_jPlS8_PNS0_10empty_typeENS0_5tupleIJS8_S9_EEENSB_IJS8_SA_EEENS0_18inequality_wrapperIZN2at6native12_GLOBAL__N_124unique_dim_cuda_templateIjEESt5tupleIJNSF_6TensorESK_SK_EERKSK_lbbbEUlllE0_EEPmJS9_EEE10hipError_tPvRmT3_T4_T5_T6_T7_T9_mT8_P12ihipStream_tbDpT10_ENKUlT_T0_E_clISt17integral_constantIbLb1EES1A_EEDaS15_S16_EUlS15_E_NS1_11comp_targetILNS1_3genE10ELNS1_11target_archE1200ELNS1_3gpuE4ELNS1_3repE0EEENS1_30default_config_static_selectorELNS0_4arch9wavefront6targetE1EEEvT1_.kd
    .uniform_work_group_size: 1
    .uses_dynamic_stack: false
    .vgpr_count:     0
    .vgpr_spill_count: 0
    .wavefront_size: 64
  - .agpr_count:     0
    .args:
      - .offset:         0
        .size:           136
        .value_kind:     by_value
    .group_segment_fixed_size: 0
    .kernarg_segment_align: 8
    .kernarg_segment_size: 136
    .language:       OpenCL C
    .language_version:
      - 2
      - 0
    .max_flat_workgroup_size: 512
    .name:           _ZN7rocprim17ROCPRIM_400000_NS6detail17trampoline_kernelINS0_14default_configENS1_25partition_config_selectorILNS1_17partition_subalgoE9EllbEEZZNS1_14partition_implILS5_9ELb0ES3_jPlS8_PNS0_10empty_typeENS0_5tupleIJS8_S9_EEENSB_IJS8_SA_EEENS0_18inequality_wrapperIZN2at6native12_GLOBAL__N_124unique_dim_cuda_templateIjEESt5tupleIJNSF_6TensorESK_SK_EERKSK_lbbbEUlllE0_EEPmJS9_EEE10hipError_tPvRmT3_T4_T5_T6_T7_T9_mT8_P12ihipStream_tbDpT10_ENKUlT_T0_E_clISt17integral_constantIbLb1EES1A_EEDaS15_S16_EUlS15_E_NS1_11comp_targetILNS1_3genE9ELNS1_11target_archE1100ELNS1_3gpuE3ELNS1_3repE0EEENS1_30default_config_static_selectorELNS0_4arch9wavefront6targetE1EEEvT1_
    .private_segment_fixed_size: 0
    .sgpr_count:     6
    .sgpr_spill_count: 0
    .symbol:         _ZN7rocprim17ROCPRIM_400000_NS6detail17trampoline_kernelINS0_14default_configENS1_25partition_config_selectorILNS1_17partition_subalgoE9EllbEEZZNS1_14partition_implILS5_9ELb0ES3_jPlS8_PNS0_10empty_typeENS0_5tupleIJS8_S9_EEENSB_IJS8_SA_EEENS0_18inequality_wrapperIZN2at6native12_GLOBAL__N_124unique_dim_cuda_templateIjEESt5tupleIJNSF_6TensorESK_SK_EERKSK_lbbbEUlllE0_EEPmJS9_EEE10hipError_tPvRmT3_T4_T5_T6_T7_T9_mT8_P12ihipStream_tbDpT10_ENKUlT_T0_E_clISt17integral_constantIbLb1EES1A_EEDaS15_S16_EUlS15_E_NS1_11comp_targetILNS1_3genE9ELNS1_11target_archE1100ELNS1_3gpuE3ELNS1_3repE0EEENS1_30default_config_static_selectorELNS0_4arch9wavefront6targetE1EEEvT1_.kd
    .uniform_work_group_size: 1
    .uses_dynamic_stack: false
    .vgpr_count:     0
    .vgpr_spill_count: 0
    .wavefront_size: 64
  - .agpr_count:     0
    .args:
      - .offset:         0
        .size:           136
        .value_kind:     by_value
    .group_segment_fixed_size: 0
    .kernarg_segment_align: 8
    .kernarg_segment_size: 136
    .language:       OpenCL C
    .language_version:
      - 2
      - 0
    .max_flat_workgroup_size: 512
    .name:           _ZN7rocprim17ROCPRIM_400000_NS6detail17trampoline_kernelINS0_14default_configENS1_25partition_config_selectorILNS1_17partition_subalgoE9EllbEEZZNS1_14partition_implILS5_9ELb0ES3_jPlS8_PNS0_10empty_typeENS0_5tupleIJS8_S9_EEENSB_IJS8_SA_EEENS0_18inequality_wrapperIZN2at6native12_GLOBAL__N_124unique_dim_cuda_templateIjEESt5tupleIJNSF_6TensorESK_SK_EERKSK_lbbbEUlllE0_EEPmJS9_EEE10hipError_tPvRmT3_T4_T5_T6_T7_T9_mT8_P12ihipStream_tbDpT10_ENKUlT_T0_E_clISt17integral_constantIbLb1EES1A_EEDaS15_S16_EUlS15_E_NS1_11comp_targetILNS1_3genE8ELNS1_11target_archE1030ELNS1_3gpuE2ELNS1_3repE0EEENS1_30default_config_static_selectorELNS0_4arch9wavefront6targetE1EEEvT1_
    .private_segment_fixed_size: 0
    .sgpr_count:     6
    .sgpr_spill_count: 0
    .symbol:         _ZN7rocprim17ROCPRIM_400000_NS6detail17trampoline_kernelINS0_14default_configENS1_25partition_config_selectorILNS1_17partition_subalgoE9EllbEEZZNS1_14partition_implILS5_9ELb0ES3_jPlS8_PNS0_10empty_typeENS0_5tupleIJS8_S9_EEENSB_IJS8_SA_EEENS0_18inequality_wrapperIZN2at6native12_GLOBAL__N_124unique_dim_cuda_templateIjEESt5tupleIJNSF_6TensorESK_SK_EERKSK_lbbbEUlllE0_EEPmJS9_EEE10hipError_tPvRmT3_T4_T5_T6_T7_T9_mT8_P12ihipStream_tbDpT10_ENKUlT_T0_E_clISt17integral_constantIbLb1EES1A_EEDaS15_S16_EUlS15_E_NS1_11comp_targetILNS1_3genE8ELNS1_11target_archE1030ELNS1_3gpuE2ELNS1_3repE0EEENS1_30default_config_static_selectorELNS0_4arch9wavefront6targetE1EEEvT1_.kd
    .uniform_work_group_size: 1
    .uses_dynamic_stack: false
    .vgpr_count:     0
    .vgpr_spill_count: 0
    .wavefront_size: 64
  - .agpr_count:     0
    .args:
      - .offset:         0
        .size:           120
        .value_kind:     by_value
    .group_segment_fixed_size: 0
    .kernarg_segment_align: 8
    .kernarg_segment_size: 120
    .language:       OpenCL C
    .language_version:
      - 2
      - 0
    .max_flat_workgroup_size: 128
    .name:           _ZN7rocprim17ROCPRIM_400000_NS6detail17trampoline_kernelINS0_14default_configENS1_25partition_config_selectorILNS1_17partition_subalgoE9EllbEEZZNS1_14partition_implILS5_9ELb0ES3_jPlS8_PNS0_10empty_typeENS0_5tupleIJS8_S9_EEENSB_IJS8_SA_EEENS0_18inequality_wrapperIZN2at6native12_GLOBAL__N_124unique_dim_cuda_templateIjEESt5tupleIJNSF_6TensorESK_SK_EERKSK_lbbbEUlllE0_EEPmJS9_EEE10hipError_tPvRmT3_T4_T5_T6_T7_T9_mT8_P12ihipStream_tbDpT10_ENKUlT_T0_E_clISt17integral_constantIbLb1EES19_IbLb0EEEEDaS15_S16_EUlS15_E_NS1_11comp_targetILNS1_3genE0ELNS1_11target_archE4294967295ELNS1_3gpuE0ELNS1_3repE0EEENS1_30default_config_static_selectorELNS0_4arch9wavefront6targetE1EEEvT1_
    .private_segment_fixed_size: 0
    .sgpr_count:     6
    .sgpr_spill_count: 0
    .symbol:         _ZN7rocprim17ROCPRIM_400000_NS6detail17trampoline_kernelINS0_14default_configENS1_25partition_config_selectorILNS1_17partition_subalgoE9EllbEEZZNS1_14partition_implILS5_9ELb0ES3_jPlS8_PNS0_10empty_typeENS0_5tupleIJS8_S9_EEENSB_IJS8_SA_EEENS0_18inequality_wrapperIZN2at6native12_GLOBAL__N_124unique_dim_cuda_templateIjEESt5tupleIJNSF_6TensorESK_SK_EERKSK_lbbbEUlllE0_EEPmJS9_EEE10hipError_tPvRmT3_T4_T5_T6_T7_T9_mT8_P12ihipStream_tbDpT10_ENKUlT_T0_E_clISt17integral_constantIbLb1EES19_IbLb0EEEEDaS15_S16_EUlS15_E_NS1_11comp_targetILNS1_3genE0ELNS1_11target_archE4294967295ELNS1_3gpuE0ELNS1_3repE0EEENS1_30default_config_static_selectorELNS0_4arch9wavefront6targetE1EEEvT1_.kd
    .uniform_work_group_size: 1
    .uses_dynamic_stack: false
    .vgpr_count:     0
    .vgpr_spill_count: 0
    .wavefront_size: 64
  - .agpr_count:     0
    .args:
      - .offset:         0
        .size:           120
        .value_kind:     by_value
    .group_segment_fixed_size: 0
    .kernarg_segment_align: 8
    .kernarg_segment_size: 120
    .language:       OpenCL C
    .language_version:
      - 2
      - 0
    .max_flat_workgroup_size: 512
    .name:           _ZN7rocprim17ROCPRIM_400000_NS6detail17trampoline_kernelINS0_14default_configENS1_25partition_config_selectorILNS1_17partition_subalgoE9EllbEEZZNS1_14partition_implILS5_9ELb0ES3_jPlS8_PNS0_10empty_typeENS0_5tupleIJS8_S9_EEENSB_IJS8_SA_EEENS0_18inequality_wrapperIZN2at6native12_GLOBAL__N_124unique_dim_cuda_templateIjEESt5tupleIJNSF_6TensorESK_SK_EERKSK_lbbbEUlllE0_EEPmJS9_EEE10hipError_tPvRmT3_T4_T5_T6_T7_T9_mT8_P12ihipStream_tbDpT10_ENKUlT_T0_E_clISt17integral_constantIbLb1EES19_IbLb0EEEEDaS15_S16_EUlS15_E_NS1_11comp_targetILNS1_3genE5ELNS1_11target_archE942ELNS1_3gpuE9ELNS1_3repE0EEENS1_30default_config_static_selectorELNS0_4arch9wavefront6targetE1EEEvT1_
    .private_segment_fixed_size: 0
    .sgpr_count:     6
    .sgpr_spill_count: 0
    .symbol:         _ZN7rocprim17ROCPRIM_400000_NS6detail17trampoline_kernelINS0_14default_configENS1_25partition_config_selectorILNS1_17partition_subalgoE9EllbEEZZNS1_14partition_implILS5_9ELb0ES3_jPlS8_PNS0_10empty_typeENS0_5tupleIJS8_S9_EEENSB_IJS8_SA_EEENS0_18inequality_wrapperIZN2at6native12_GLOBAL__N_124unique_dim_cuda_templateIjEESt5tupleIJNSF_6TensorESK_SK_EERKSK_lbbbEUlllE0_EEPmJS9_EEE10hipError_tPvRmT3_T4_T5_T6_T7_T9_mT8_P12ihipStream_tbDpT10_ENKUlT_T0_E_clISt17integral_constantIbLb1EES19_IbLb0EEEEDaS15_S16_EUlS15_E_NS1_11comp_targetILNS1_3genE5ELNS1_11target_archE942ELNS1_3gpuE9ELNS1_3repE0EEENS1_30default_config_static_selectorELNS0_4arch9wavefront6targetE1EEEvT1_.kd
    .uniform_work_group_size: 1
    .uses_dynamic_stack: false
    .vgpr_count:     0
    .vgpr_spill_count: 0
    .wavefront_size: 64
  - .agpr_count:     0
    .args:
      - .offset:         0
        .size:           120
        .value_kind:     by_value
    .group_segment_fixed_size: 0
    .kernarg_segment_align: 8
    .kernarg_segment_size: 120
    .language:       OpenCL C
    .language_version:
      - 2
      - 0
    .max_flat_workgroup_size: 128
    .name:           _ZN7rocprim17ROCPRIM_400000_NS6detail17trampoline_kernelINS0_14default_configENS1_25partition_config_selectorILNS1_17partition_subalgoE9EllbEEZZNS1_14partition_implILS5_9ELb0ES3_jPlS8_PNS0_10empty_typeENS0_5tupleIJS8_S9_EEENSB_IJS8_SA_EEENS0_18inequality_wrapperIZN2at6native12_GLOBAL__N_124unique_dim_cuda_templateIjEESt5tupleIJNSF_6TensorESK_SK_EERKSK_lbbbEUlllE0_EEPmJS9_EEE10hipError_tPvRmT3_T4_T5_T6_T7_T9_mT8_P12ihipStream_tbDpT10_ENKUlT_T0_E_clISt17integral_constantIbLb1EES19_IbLb0EEEEDaS15_S16_EUlS15_E_NS1_11comp_targetILNS1_3genE4ELNS1_11target_archE910ELNS1_3gpuE8ELNS1_3repE0EEENS1_30default_config_static_selectorELNS0_4arch9wavefront6targetE1EEEvT1_
    .private_segment_fixed_size: 0
    .sgpr_count:     6
    .sgpr_spill_count: 0
    .symbol:         _ZN7rocprim17ROCPRIM_400000_NS6detail17trampoline_kernelINS0_14default_configENS1_25partition_config_selectorILNS1_17partition_subalgoE9EllbEEZZNS1_14partition_implILS5_9ELb0ES3_jPlS8_PNS0_10empty_typeENS0_5tupleIJS8_S9_EEENSB_IJS8_SA_EEENS0_18inequality_wrapperIZN2at6native12_GLOBAL__N_124unique_dim_cuda_templateIjEESt5tupleIJNSF_6TensorESK_SK_EERKSK_lbbbEUlllE0_EEPmJS9_EEE10hipError_tPvRmT3_T4_T5_T6_T7_T9_mT8_P12ihipStream_tbDpT10_ENKUlT_T0_E_clISt17integral_constantIbLb1EES19_IbLb0EEEEDaS15_S16_EUlS15_E_NS1_11comp_targetILNS1_3genE4ELNS1_11target_archE910ELNS1_3gpuE8ELNS1_3repE0EEENS1_30default_config_static_selectorELNS0_4arch9wavefront6targetE1EEEvT1_.kd
    .uniform_work_group_size: 1
    .uses_dynamic_stack: false
    .vgpr_count:     0
    .vgpr_spill_count: 0
    .wavefront_size: 64
  - .agpr_count:     0
    .args:
      - .offset:         0
        .size:           120
        .value_kind:     by_value
    .group_segment_fixed_size: 0
    .kernarg_segment_align: 8
    .kernarg_segment_size: 120
    .language:       OpenCL C
    .language_version:
      - 2
      - 0
    .max_flat_workgroup_size: 128
    .name:           _ZN7rocprim17ROCPRIM_400000_NS6detail17trampoline_kernelINS0_14default_configENS1_25partition_config_selectorILNS1_17partition_subalgoE9EllbEEZZNS1_14partition_implILS5_9ELb0ES3_jPlS8_PNS0_10empty_typeENS0_5tupleIJS8_S9_EEENSB_IJS8_SA_EEENS0_18inequality_wrapperIZN2at6native12_GLOBAL__N_124unique_dim_cuda_templateIjEESt5tupleIJNSF_6TensorESK_SK_EERKSK_lbbbEUlllE0_EEPmJS9_EEE10hipError_tPvRmT3_T4_T5_T6_T7_T9_mT8_P12ihipStream_tbDpT10_ENKUlT_T0_E_clISt17integral_constantIbLb1EES19_IbLb0EEEEDaS15_S16_EUlS15_E_NS1_11comp_targetILNS1_3genE3ELNS1_11target_archE908ELNS1_3gpuE7ELNS1_3repE0EEENS1_30default_config_static_selectorELNS0_4arch9wavefront6targetE1EEEvT1_
    .private_segment_fixed_size: 0
    .sgpr_count:     6
    .sgpr_spill_count: 0
    .symbol:         _ZN7rocprim17ROCPRIM_400000_NS6detail17trampoline_kernelINS0_14default_configENS1_25partition_config_selectorILNS1_17partition_subalgoE9EllbEEZZNS1_14partition_implILS5_9ELb0ES3_jPlS8_PNS0_10empty_typeENS0_5tupleIJS8_S9_EEENSB_IJS8_SA_EEENS0_18inequality_wrapperIZN2at6native12_GLOBAL__N_124unique_dim_cuda_templateIjEESt5tupleIJNSF_6TensorESK_SK_EERKSK_lbbbEUlllE0_EEPmJS9_EEE10hipError_tPvRmT3_T4_T5_T6_T7_T9_mT8_P12ihipStream_tbDpT10_ENKUlT_T0_E_clISt17integral_constantIbLb1EES19_IbLb0EEEEDaS15_S16_EUlS15_E_NS1_11comp_targetILNS1_3genE3ELNS1_11target_archE908ELNS1_3gpuE7ELNS1_3repE0EEENS1_30default_config_static_selectorELNS0_4arch9wavefront6targetE1EEEvT1_.kd
    .uniform_work_group_size: 1
    .uses_dynamic_stack: false
    .vgpr_count:     0
    .vgpr_spill_count: 0
    .wavefront_size: 64
  - .agpr_count:     0
    .args:
      - .offset:         0
        .size:           120
        .value_kind:     by_value
    .group_segment_fixed_size: 0
    .kernarg_segment_align: 8
    .kernarg_segment_size: 120
    .language:       OpenCL C
    .language_version:
      - 2
      - 0
    .max_flat_workgroup_size: 192
    .name:           _ZN7rocprim17ROCPRIM_400000_NS6detail17trampoline_kernelINS0_14default_configENS1_25partition_config_selectorILNS1_17partition_subalgoE9EllbEEZZNS1_14partition_implILS5_9ELb0ES3_jPlS8_PNS0_10empty_typeENS0_5tupleIJS8_S9_EEENSB_IJS8_SA_EEENS0_18inequality_wrapperIZN2at6native12_GLOBAL__N_124unique_dim_cuda_templateIjEESt5tupleIJNSF_6TensorESK_SK_EERKSK_lbbbEUlllE0_EEPmJS9_EEE10hipError_tPvRmT3_T4_T5_T6_T7_T9_mT8_P12ihipStream_tbDpT10_ENKUlT_T0_E_clISt17integral_constantIbLb1EES19_IbLb0EEEEDaS15_S16_EUlS15_E_NS1_11comp_targetILNS1_3genE2ELNS1_11target_archE906ELNS1_3gpuE6ELNS1_3repE0EEENS1_30default_config_static_selectorELNS0_4arch9wavefront6targetE1EEEvT1_
    .private_segment_fixed_size: 0
    .sgpr_count:     6
    .sgpr_spill_count: 0
    .symbol:         _ZN7rocprim17ROCPRIM_400000_NS6detail17trampoline_kernelINS0_14default_configENS1_25partition_config_selectorILNS1_17partition_subalgoE9EllbEEZZNS1_14partition_implILS5_9ELb0ES3_jPlS8_PNS0_10empty_typeENS0_5tupleIJS8_S9_EEENSB_IJS8_SA_EEENS0_18inequality_wrapperIZN2at6native12_GLOBAL__N_124unique_dim_cuda_templateIjEESt5tupleIJNSF_6TensorESK_SK_EERKSK_lbbbEUlllE0_EEPmJS9_EEE10hipError_tPvRmT3_T4_T5_T6_T7_T9_mT8_P12ihipStream_tbDpT10_ENKUlT_T0_E_clISt17integral_constantIbLb1EES19_IbLb0EEEEDaS15_S16_EUlS15_E_NS1_11comp_targetILNS1_3genE2ELNS1_11target_archE906ELNS1_3gpuE6ELNS1_3repE0EEENS1_30default_config_static_selectorELNS0_4arch9wavefront6targetE1EEEvT1_.kd
    .uniform_work_group_size: 1
    .uses_dynamic_stack: false
    .vgpr_count:     0
    .vgpr_spill_count: 0
    .wavefront_size: 64
  - .agpr_count:     0
    .args:
      - .offset:         0
        .size:           120
        .value_kind:     by_value
    .group_segment_fixed_size: 0
    .kernarg_segment_align: 8
    .kernarg_segment_size: 120
    .language:       OpenCL C
    .language_version:
      - 2
      - 0
    .max_flat_workgroup_size: 384
    .name:           _ZN7rocprim17ROCPRIM_400000_NS6detail17trampoline_kernelINS0_14default_configENS1_25partition_config_selectorILNS1_17partition_subalgoE9EllbEEZZNS1_14partition_implILS5_9ELb0ES3_jPlS8_PNS0_10empty_typeENS0_5tupleIJS8_S9_EEENSB_IJS8_SA_EEENS0_18inequality_wrapperIZN2at6native12_GLOBAL__N_124unique_dim_cuda_templateIjEESt5tupleIJNSF_6TensorESK_SK_EERKSK_lbbbEUlllE0_EEPmJS9_EEE10hipError_tPvRmT3_T4_T5_T6_T7_T9_mT8_P12ihipStream_tbDpT10_ENKUlT_T0_E_clISt17integral_constantIbLb1EES19_IbLb0EEEEDaS15_S16_EUlS15_E_NS1_11comp_targetILNS1_3genE10ELNS1_11target_archE1200ELNS1_3gpuE4ELNS1_3repE0EEENS1_30default_config_static_selectorELNS0_4arch9wavefront6targetE1EEEvT1_
    .private_segment_fixed_size: 0
    .sgpr_count:     6
    .sgpr_spill_count: 0
    .symbol:         _ZN7rocprim17ROCPRIM_400000_NS6detail17trampoline_kernelINS0_14default_configENS1_25partition_config_selectorILNS1_17partition_subalgoE9EllbEEZZNS1_14partition_implILS5_9ELb0ES3_jPlS8_PNS0_10empty_typeENS0_5tupleIJS8_S9_EEENSB_IJS8_SA_EEENS0_18inequality_wrapperIZN2at6native12_GLOBAL__N_124unique_dim_cuda_templateIjEESt5tupleIJNSF_6TensorESK_SK_EERKSK_lbbbEUlllE0_EEPmJS9_EEE10hipError_tPvRmT3_T4_T5_T6_T7_T9_mT8_P12ihipStream_tbDpT10_ENKUlT_T0_E_clISt17integral_constantIbLb1EES19_IbLb0EEEEDaS15_S16_EUlS15_E_NS1_11comp_targetILNS1_3genE10ELNS1_11target_archE1200ELNS1_3gpuE4ELNS1_3repE0EEENS1_30default_config_static_selectorELNS0_4arch9wavefront6targetE1EEEvT1_.kd
    .uniform_work_group_size: 1
    .uses_dynamic_stack: false
    .vgpr_count:     0
    .vgpr_spill_count: 0
    .wavefront_size: 64
  - .agpr_count:     0
    .args:
      - .offset:         0
        .size:           120
        .value_kind:     by_value
    .group_segment_fixed_size: 0
    .kernarg_segment_align: 8
    .kernarg_segment_size: 120
    .language:       OpenCL C
    .language_version:
      - 2
      - 0
    .max_flat_workgroup_size: 512
    .name:           _ZN7rocprim17ROCPRIM_400000_NS6detail17trampoline_kernelINS0_14default_configENS1_25partition_config_selectorILNS1_17partition_subalgoE9EllbEEZZNS1_14partition_implILS5_9ELb0ES3_jPlS8_PNS0_10empty_typeENS0_5tupleIJS8_S9_EEENSB_IJS8_SA_EEENS0_18inequality_wrapperIZN2at6native12_GLOBAL__N_124unique_dim_cuda_templateIjEESt5tupleIJNSF_6TensorESK_SK_EERKSK_lbbbEUlllE0_EEPmJS9_EEE10hipError_tPvRmT3_T4_T5_T6_T7_T9_mT8_P12ihipStream_tbDpT10_ENKUlT_T0_E_clISt17integral_constantIbLb1EES19_IbLb0EEEEDaS15_S16_EUlS15_E_NS1_11comp_targetILNS1_3genE9ELNS1_11target_archE1100ELNS1_3gpuE3ELNS1_3repE0EEENS1_30default_config_static_selectorELNS0_4arch9wavefront6targetE1EEEvT1_
    .private_segment_fixed_size: 0
    .sgpr_count:     6
    .sgpr_spill_count: 0
    .symbol:         _ZN7rocprim17ROCPRIM_400000_NS6detail17trampoline_kernelINS0_14default_configENS1_25partition_config_selectorILNS1_17partition_subalgoE9EllbEEZZNS1_14partition_implILS5_9ELb0ES3_jPlS8_PNS0_10empty_typeENS0_5tupleIJS8_S9_EEENSB_IJS8_SA_EEENS0_18inequality_wrapperIZN2at6native12_GLOBAL__N_124unique_dim_cuda_templateIjEESt5tupleIJNSF_6TensorESK_SK_EERKSK_lbbbEUlllE0_EEPmJS9_EEE10hipError_tPvRmT3_T4_T5_T6_T7_T9_mT8_P12ihipStream_tbDpT10_ENKUlT_T0_E_clISt17integral_constantIbLb1EES19_IbLb0EEEEDaS15_S16_EUlS15_E_NS1_11comp_targetILNS1_3genE9ELNS1_11target_archE1100ELNS1_3gpuE3ELNS1_3repE0EEENS1_30default_config_static_selectorELNS0_4arch9wavefront6targetE1EEEvT1_.kd
    .uniform_work_group_size: 1
    .uses_dynamic_stack: false
    .vgpr_count:     0
    .vgpr_spill_count: 0
    .wavefront_size: 64
  - .agpr_count:     0
    .args:
      - .offset:         0
        .size:           120
        .value_kind:     by_value
    .group_segment_fixed_size: 0
    .kernarg_segment_align: 8
    .kernarg_segment_size: 120
    .language:       OpenCL C
    .language_version:
      - 2
      - 0
    .max_flat_workgroup_size: 512
    .name:           _ZN7rocprim17ROCPRIM_400000_NS6detail17trampoline_kernelINS0_14default_configENS1_25partition_config_selectorILNS1_17partition_subalgoE9EllbEEZZNS1_14partition_implILS5_9ELb0ES3_jPlS8_PNS0_10empty_typeENS0_5tupleIJS8_S9_EEENSB_IJS8_SA_EEENS0_18inequality_wrapperIZN2at6native12_GLOBAL__N_124unique_dim_cuda_templateIjEESt5tupleIJNSF_6TensorESK_SK_EERKSK_lbbbEUlllE0_EEPmJS9_EEE10hipError_tPvRmT3_T4_T5_T6_T7_T9_mT8_P12ihipStream_tbDpT10_ENKUlT_T0_E_clISt17integral_constantIbLb1EES19_IbLb0EEEEDaS15_S16_EUlS15_E_NS1_11comp_targetILNS1_3genE8ELNS1_11target_archE1030ELNS1_3gpuE2ELNS1_3repE0EEENS1_30default_config_static_selectorELNS0_4arch9wavefront6targetE1EEEvT1_
    .private_segment_fixed_size: 0
    .sgpr_count:     6
    .sgpr_spill_count: 0
    .symbol:         _ZN7rocprim17ROCPRIM_400000_NS6detail17trampoline_kernelINS0_14default_configENS1_25partition_config_selectorILNS1_17partition_subalgoE9EllbEEZZNS1_14partition_implILS5_9ELb0ES3_jPlS8_PNS0_10empty_typeENS0_5tupleIJS8_S9_EEENSB_IJS8_SA_EEENS0_18inequality_wrapperIZN2at6native12_GLOBAL__N_124unique_dim_cuda_templateIjEESt5tupleIJNSF_6TensorESK_SK_EERKSK_lbbbEUlllE0_EEPmJS9_EEE10hipError_tPvRmT3_T4_T5_T6_T7_T9_mT8_P12ihipStream_tbDpT10_ENKUlT_T0_E_clISt17integral_constantIbLb1EES19_IbLb0EEEEDaS15_S16_EUlS15_E_NS1_11comp_targetILNS1_3genE8ELNS1_11target_archE1030ELNS1_3gpuE2ELNS1_3repE0EEENS1_30default_config_static_selectorELNS0_4arch9wavefront6targetE1EEEvT1_.kd
    .uniform_work_group_size: 1
    .uses_dynamic_stack: false
    .vgpr_count:     0
    .vgpr_spill_count: 0
    .wavefront_size: 64
  - .agpr_count:     0
    .args:
      - .offset:         0
        .size:           136
        .value_kind:     by_value
    .group_segment_fixed_size: 5128
    .kernarg_segment_align: 8
    .kernarg_segment_size: 136
    .language:       OpenCL C
    .language_version:
      - 2
      - 0
    .max_flat_workgroup_size: 128
    .name:           _ZN7rocprim17ROCPRIM_400000_NS6detail17trampoline_kernelINS0_14default_configENS1_25partition_config_selectorILNS1_17partition_subalgoE9EllbEEZZNS1_14partition_implILS5_9ELb0ES3_jPlS8_PNS0_10empty_typeENS0_5tupleIJS8_S9_EEENSB_IJS8_SA_EEENS0_18inequality_wrapperIZN2at6native12_GLOBAL__N_124unique_dim_cuda_templateIjEESt5tupleIJNSF_6TensorESK_SK_EERKSK_lbbbEUlllE0_EEPmJS9_EEE10hipError_tPvRmT3_T4_T5_T6_T7_T9_mT8_P12ihipStream_tbDpT10_ENKUlT_T0_E_clISt17integral_constantIbLb0EES19_IbLb1EEEEDaS15_S16_EUlS15_E_NS1_11comp_targetILNS1_3genE0ELNS1_11target_archE4294967295ELNS1_3gpuE0ELNS1_3repE0EEENS1_30default_config_static_selectorELNS0_4arch9wavefront6targetE1EEEvT1_
    .private_segment_fixed_size: 0
    .sgpr_count:     58
    .sgpr_spill_count: 0
    .symbol:         _ZN7rocprim17ROCPRIM_400000_NS6detail17trampoline_kernelINS0_14default_configENS1_25partition_config_selectorILNS1_17partition_subalgoE9EllbEEZZNS1_14partition_implILS5_9ELb0ES3_jPlS8_PNS0_10empty_typeENS0_5tupleIJS8_S9_EEENSB_IJS8_SA_EEENS0_18inequality_wrapperIZN2at6native12_GLOBAL__N_124unique_dim_cuda_templateIjEESt5tupleIJNSF_6TensorESK_SK_EERKSK_lbbbEUlllE0_EEPmJS9_EEE10hipError_tPvRmT3_T4_T5_T6_T7_T9_mT8_P12ihipStream_tbDpT10_ENKUlT_T0_E_clISt17integral_constantIbLb0EES19_IbLb1EEEEDaS15_S16_EUlS15_E_NS1_11comp_targetILNS1_3genE0ELNS1_11target_archE4294967295ELNS1_3gpuE0ELNS1_3repE0EEENS1_30default_config_static_selectorELNS0_4arch9wavefront6targetE1EEEvT1_.kd
    .uniform_work_group_size: 1
    .uses_dynamic_stack: false
    .vgpr_count:     60
    .vgpr_spill_count: 0
    .wavefront_size: 64
  - .agpr_count:     0
    .args:
      - .offset:         0
        .size:           136
        .value_kind:     by_value
    .group_segment_fixed_size: 0
    .kernarg_segment_align: 8
    .kernarg_segment_size: 136
    .language:       OpenCL C
    .language_version:
      - 2
      - 0
    .max_flat_workgroup_size: 512
    .name:           _ZN7rocprim17ROCPRIM_400000_NS6detail17trampoline_kernelINS0_14default_configENS1_25partition_config_selectorILNS1_17partition_subalgoE9EllbEEZZNS1_14partition_implILS5_9ELb0ES3_jPlS8_PNS0_10empty_typeENS0_5tupleIJS8_S9_EEENSB_IJS8_SA_EEENS0_18inequality_wrapperIZN2at6native12_GLOBAL__N_124unique_dim_cuda_templateIjEESt5tupleIJNSF_6TensorESK_SK_EERKSK_lbbbEUlllE0_EEPmJS9_EEE10hipError_tPvRmT3_T4_T5_T6_T7_T9_mT8_P12ihipStream_tbDpT10_ENKUlT_T0_E_clISt17integral_constantIbLb0EES19_IbLb1EEEEDaS15_S16_EUlS15_E_NS1_11comp_targetILNS1_3genE5ELNS1_11target_archE942ELNS1_3gpuE9ELNS1_3repE0EEENS1_30default_config_static_selectorELNS0_4arch9wavefront6targetE1EEEvT1_
    .private_segment_fixed_size: 0
    .sgpr_count:     6
    .sgpr_spill_count: 0
    .symbol:         _ZN7rocprim17ROCPRIM_400000_NS6detail17trampoline_kernelINS0_14default_configENS1_25partition_config_selectorILNS1_17partition_subalgoE9EllbEEZZNS1_14partition_implILS5_9ELb0ES3_jPlS8_PNS0_10empty_typeENS0_5tupleIJS8_S9_EEENSB_IJS8_SA_EEENS0_18inequality_wrapperIZN2at6native12_GLOBAL__N_124unique_dim_cuda_templateIjEESt5tupleIJNSF_6TensorESK_SK_EERKSK_lbbbEUlllE0_EEPmJS9_EEE10hipError_tPvRmT3_T4_T5_T6_T7_T9_mT8_P12ihipStream_tbDpT10_ENKUlT_T0_E_clISt17integral_constantIbLb0EES19_IbLb1EEEEDaS15_S16_EUlS15_E_NS1_11comp_targetILNS1_3genE5ELNS1_11target_archE942ELNS1_3gpuE9ELNS1_3repE0EEENS1_30default_config_static_selectorELNS0_4arch9wavefront6targetE1EEEvT1_.kd
    .uniform_work_group_size: 1
    .uses_dynamic_stack: false
    .vgpr_count:     0
    .vgpr_spill_count: 0
    .wavefront_size: 64
  - .agpr_count:     0
    .args:
      - .offset:         0
        .size:           136
        .value_kind:     by_value
    .group_segment_fixed_size: 0
    .kernarg_segment_align: 8
    .kernarg_segment_size: 136
    .language:       OpenCL C
    .language_version:
      - 2
      - 0
    .max_flat_workgroup_size: 128
    .name:           _ZN7rocprim17ROCPRIM_400000_NS6detail17trampoline_kernelINS0_14default_configENS1_25partition_config_selectorILNS1_17partition_subalgoE9EllbEEZZNS1_14partition_implILS5_9ELb0ES3_jPlS8_PNS0_10empty_typeENS0_5tupleIJS8_S9_EEENSB_IJS8_SA_EEENS0_18inequality_wrapperIZN2at6native12_GLOBAL__N_124unique_dim_cuda_templateIjEESt5tupleIJNSF_6TensorESK_SK_EERKSK_lbbbEUlllE0_EEPmJS9_EEE10hipError_tPvRmT3_T4_T5_T6_T7_T9_mT8_P12ihipStream_tbDpT10_ENKUlT_T0_E_clISt17integral_constantIbLb0EES19_IbLb1EEEEDaS15_S16_EUlS15_E_NS1_11comp_targetILNS1_3genE4ELNS1_11target_archE910ELNS1_3gpuE8ELNS1_3repE0EEENS1_30default_config_static_selectorELNS0_4arch9wavefront6targetE1EEEvT1_
    .private_segment_fixed_size: 0
    .sgpr_count:     6
    .sgpr_spill_count: 0
    .symbol:         _ZN7rocprim17ROCPRIM_400000_NS6detail17trampoline_kernelINS0_14default_configENS1_25partition_config_selectorILNS1_17partition_subalgoE9EllbEEZZNS1_14partition_implILS5_9ELb0ES3_jPlS8_PNS0_10empty_typeENS0_5tupleIJS8_S9_EEENSB_IJS8_SA_EEENS0_18inequality_wrapperIZN2at6native12_GLOBAL__N_124unique_dim_cuda_templateIjEESt5tupleIJNSF_6TensorESK_SK_EERKSK_lbbbEUlllE0_EEPmJS9_EEE10hipError_tPvRmT3_T4_T5_T6_T7_T9_mT8_P12ihipStream_tbDpT10_ENKUlT_T0_E_clISt17integral_constantIbLb0EES19_IbLb1EEEEDaS15_S16_EUlS15_E_NS1_11comp_targetILNS1_3genE4ELNS1_11target_archE910ELNS1_3gpuE8ELNS1_3repE0EEENS1_30default_config_static_selectorELNS0_4arch9wavefront6targetE1EEEvT1_.kd
    .uniform_work_group_size: 1
    .uses_dynamic_stack: false
    .vgpr_count:     0
    .vgpr_spill_count: 0
    .wavefront_size: 64
  - .agpr_count:     0
    .args:
      - .offset:         0
        .size:           136
        .value_kind:     by_value
    .group_segment_fixed_size: 0
    .kernarg_segment_align: 8
    .kernarg_segment_size: 136
    .language:       OpenCL C
    .language_version:
      - 2
      - 0
    .max_flat_workgroup_size: 128
    .name:           _ZN7rocprim17ROCPRIM_400000_NS6detail17trampoline_kernelINS0_14default_configENS1_25partition_config_selectorILNS1_17partition_subalgoE9EllbEEZZNS1_14partition_implILS5_9ELb0ES3_jPlS8_PNS0_10empty_typeENS0_5tupleIJS8_S9_EEENSB_IJS8_SA_EEENS0_18inequality_wrapperIZN2at6native12_GLOBAL__N_124unique_dim_cuda_templateIjEESt5tupleIJNSF_6TensorESK_SK_EERKSK_lbbbEUlllE0_EEPmJS9_EEE10hipError_tPvRmT3_T4_T5_T6_T7_T9_mT8_P12ihipStream_tbDpT10_ENKUlT_T0_E_clISt17integral_constantIbLb0EES19_IbLb1EEEEDaS15_S16_EUlS15_E_NS1_11comp_targetILNS1_3genE3ELNS1_11target_archE908ELNS1_3gpuE7ELNS1_3repE0EEENS1_30default_config_static_selectorELNS0_4arch9wavefront6targetE1EEEvT1_
    .private_segment_fixed_size: 0
    .sgpr_count:     6
    .sgpr_spill_count: 0
    .symbol:         _ZN7rocprim17ROCPRIM_400000_NS6detail17trampoline_kernelINS0_14default_configENS1_25partition_config_selectorILNS1_17partition_subalgoE9EllbEEZZNS1_14partition_implILS5_9ELb0ES3_jPlS8_PNS0_10empty_typeENS0_5tupleIJS8_S9_EEENSB_IJS8_SA_EEENS0_18inequality_wrapperIZN2at6native12_GLOBAL__N_124unique_dim_cuda_templateIjEESt5tupleIJNSF_6TensorESK_SK_EERKSK_lbbbEUlllE0_EEPmJS9_EEE10hipError_tPvRmT3_T4_T5_T6_T7_T9_mT8_P12ihipStream_tbDpT10_ENKUlT_T0_E_clISt17integral_constantIbLb0EES19_IbLb1EEEEDaS15_S16_EUlS15_E_NS1_11comp_targetILNS1_3genE3ELNS1_11target_archE908ELNS1_3gpuE7ELNS1_3repE0EEENS1_30default_config_static_selectorELNS0_4arch9wavefront6targetE1EEEvT1_.kd
    .uniform_work_group_size: 1
    .uses_dynamic_stack: false
    .vgpr_count:     0
    .vgpr_spill_count: 0
    .wavefront_size: 64
  - .agpr_count:     0
    .args:
      - .offset:         0
        .size:           136
        .value_kind:     by_value
    .group_segment_fixed_size: 0
    .kernarg_segment_align: 8
    .kernarg_segment_size: 136
    .language:       OpenCL C
    .language_version:
      - 2
      - 0
    .max_flat_workgroup_size: 192
    .name:           _ZN7rocprim17ROCPRIM_400000_NS6detail17trampoline_kernelINS0_14default_configENS1_25partition_config_selectorILNS1_17partition_subalgoE9EllbEEZZNS1_14partition_implILS5_9ELb0ES3_jPlS8_PNS0_10empty_typeENS0_5tupleIJS8_S9_EEENSB_IJS8_SA_EEENS0_18inequality_wrapperIZN2at6native12_GLOBAL__N_124unique_dim_cuda_templateIjEESt5tupleIJNSF_6TensorESK_SK_EERKSK_lbbbEUlllE0_EEPmJS9_EEE10hipError_tPvRmT3_T4_T5_T6_T7_T9_mT8_P12ihipStream_tbDpT10_ENKUlT_T0_E_clISt17integral_constantIbLb0EES19_IbLb1EEEEDaS15_S16_EUlS15_E_NS1_11comp_targetILNS1_3genE2ELNS1_11target_archE906ELNS1_3gpuE6ELNS1_3repE0EEENS1_30default_config_static_selectorELNS0_4arch9wavefront6targetE1EEEvT1_
    .private_segment_fixed_size: 0
    .sgpr_count:     6
    .sgpr_spill_count: 0
    .symbol:         _ZN7rocprim17ROCPRIM_400000_NS6detail17trampoline_kernelINS0_14default_configENS1_25partition_config_selectorILNS1_17partition_subalgoE9EllbEEZZNS1_14partition_implILS5_9ELb0ES3_jPlS8_PNS0_10empty_typeENS0_5tupleIJS8_S9_EEENSB_IJS8_SA_EEENS0_18inequality_wrapperIZN2at6native12_GLOBAL__N_124unique_dim_cuda_templateIjEESt5tupleIJNSF_6TensorESK_SK_EERKSK_lbbbEUlllE0_EEPmJS9_EEE10hipError_tPvRmT3_T4_T5_T6_T7_T9_mT8_P12ihipStream_tbDpT10_ENKUlT_T0_E_clISt17integral_constantIbLb0EES19_IbLb1EEEEDaS15_S16_EUlS15_E_NS1_11comp_targetILNS1_3genE2ELNS1_11target_archE906ELNS1_3gpuE6ELNS1_3repE0EEENS1_30default_config_static_selectorELNS0_4arch9wavefront6targetE1EEEvT1_.kd
    .uniform_work_group_size: 1
    .uses_dynamic_stack: false
    .vgpr_count:     0
    .vgpr_spill_count: 0
    .wavefront_size: 64
  - .agpr_count:     0
    .args:
      - .offset:         0
        .size:           136
        .value_kind:     by_value
    .group_segment_fixed_size: 0
    .kernarg_segment_align: 8
    .kernarg_segment_size: 136
    .language:       OpenCL C
    .language_version:
      - 2
      - 0
    .max_flat_workgroup_size: 384
    .name:           _ZN7rocprim17ROCPRIM_400000_NS6detail17trampoline_kernelINS0_14default_configENS1_25partition_config_selectorILNS1_17partition_subalgoE9EllbEEZZNS1_14partition_implILS5_9ELb0ES3_jPlS8_PNS0_10empty_typeENS0_5tupleIJS8_S9_EEENSB_IJS8_SA_EEENS0_18inequality_wrapperIZN2at6native12_GLOBAL__N_124unique_dim_cuda_templateIjEESt5tupleIJNSF_6TensorESK_SK_EERKSK_lbbbEUlllE0_EEPmJS9_EEE10hipError_tPvRmT3_T4_T5_T6_T7_T9_mT8_P12ihipStream_tbDpT10_ENKUlT_T0_E_clISt17integral_constantIbLb0EES19_IbLb1EEEEDaS15_S16_EUlS15_E_NS1_11comp_targetILNS1_3genE10ELNS1_11target_archE1200ELNS1_3gpuE4ELNS1_3repE0EEENS1_30default_config_static_selectorELNS0_4arch9wavefront6targetE1EEEvT1_
    .private_segment_fixed_size: 0
    .sgpr_count:     6
    .sgpr_spill_count: 0
    .symbol:         _ZN7rocprim17ROCPRIM_400000_NS6detail17trampoline_kernelINS0_14default_configENS1_25partition_config_selectorILNS1_17partition_subalgoE9EllbEEZZNS1_14partition_implILS5_9ELb0ES3_jPlS8_PNS0_10empty_typeENS0_5tupleIJS8_S9_EEENSB_IJS8_SA_EEENS0_18inequality_wrapperIZN2at6native12_GLOBAL__N_124unique_dim_cuda_templateIjEESt5tupleIJNSF_6TensorESK_SK_EERKSK_lbbbEUlllE0_EEPmJS9_EEE10hipError_tPvRmT3_T4_T5_T6_T7_T9_mT8_P12ihipStream_tbDpT10_ENKUlT_T0_E_clISt17integral_constantIbLb0EES19_IbLb1EEEEDaS15_S16_EUlS15_E_NS1_11comp_targetILNS1_3genE10ELNS1_11target_archE1200ELNS1_3gpuE4ELNS1_3repE0EEENS1_30default_config_static_selectorELNS0_4arch9wavefront6targetE1EEEvT1_.kd
    .uniform_work_group_size: 1
    .uses_dynamic_stack: false
    .vgpr_count:     0
    .vgpr_spill_count: 0
    .wavefront_size: 64
  - .agpr_count:     0
    .args:
      - .offset:         0
        .size:           136
        .value_kind:     by_value
    .group_segment_fixed_size: 0
    .kernarg_segment_align: 8
    .kernarg_segment_size: 136
    .language:       OpenCL C
    .language_version:
      - 2
      - 0
    .max_flat_workgroup_size: 512
    .name:           _ZN7rocprim17ROCPRIM_400000_NS6detail17trampoline_kernelINS0_14default_configENS1_25partition_config_selectorILNS1_17partition_subalgoE9EllbEEZZNS1_14partition_implILS5_9ELb0ES3_jPlS8_PNS0_10empty_typeENS0_5tupleIJS8_S9_EEENSB_IJS8_SA_EEENS0_18inequality_wrapperIZN2at6native12_GLOBAL__N_124unique_dim_cuda_templateIjEESt5tupleIJNSF_6TensorESK_SK_EERKSK_lbbbEUlllE0_EEPmJS9_EEE10hipError_tPvRmT3_T4_T5_T6_T7_T9_mT8_P12ihipStream_tbDpT10_ENKUlT_T0_E_clISt17integral_constantIbLb0EES19_IbLb1EEEEDaS15_S16_EUlS15_E_NS1_11comp_targetILNS1_3genE9ELNS1_11target_archE1100ELNS1_3gpuE3ELNS1_3repE0EEENS1_30default_config_static_selectorELNS0_4arch9wavefront6targetE1EEEvT1_
    .private_segment_fixed_size: 0
    .sgpr_count:     6
    .sgpr_spill_count: 0
    .symbol:         _ZN7rocprim17ROCPRIM_400000_NS6detail17trampoline_kernelINS0_14default_configENS1_25partition_config_selectorILNS1_17partition_subalgoE9EllbEEZZNS1_14partition_implILS5_9ELb0ES3_jPlS8_PNS0_10empty_typeENS0_5tupleIJS8_S9_EEENSB_IJS8_SA_EEENS0_18inequality_wrapperIZN2at6native12_GLOBAL__N_124unique_dim_cuda_templateIjEESt5tupleIJNSF_6TensorESK_SK_EERKSK_lbbbEUlllE0_EEPmJS9_EEE10hipError_tPvRmT3_T4_T5_T6_T7_T9_mT8_P12ihipStream_tbDpT10_ENKUlT_T0_E_clISt17integral_constantIbLb0EES19_IbLb1EEEEDaS15_S16_EUlS15_E_NS1_11comp_targetILNS1_3genE9ELNS1_11target_archE1100ELNS1_3gpuE3ELNS1_3repE0EEENS1_30default_config_static_selectorELNS0_4arch9wavefront6targetE1EEEvT1_.kd
    .uniform_work_group_size: 1
    .uses_dynamic_stack: false
    .vgpr_count:     0
    .vgpr_spill_count: 0
    .wavefront_size: 64
  - .agpr_count:     0
    .args:
      - .offset:         0
        .size:           136
        .value_kind:     by_value
    .group_segment_fixed_size: 0
    .kernarg_segment_align: 8
    .kernarg_segment_size: 136
    .language:       OpenCL C
    .language_version:
      - 2
      - 0
    .max_flat_workgroup_size: 512
    .name:           _ZN7rocprim17ROCPRIM_400000_NS6detail17trampoline_kernelINS0_14default_configENS1_25partition_config_selectorILNS1_17partition_subalgoE9EllbEEZZNS1_14partition_implILS5_9ELb0ES3_jPlS8_PNS0_10empty_typeENS0_5tupleIJS8_S9_EEENSB_IJS8_SA_EEENS0_18inequality_wrapperIZN2at6native12_GLOBAL__N_124unique_dim_cuda_templateIjEESt5tupleIJNSF_6TensorESK_SK_EERKSK_lbbbEUlllE0_EEPmJS9_EEE10hipError_tPvRmT3_T4_T5_T6_T7_T9_mT8_P12ihipStream_tbDpT10_ENKUlT_T0_E_clISt17integral_constantIbLb0EES19_IbLb1EEEEDaS15_S16_EUlS15_E_NS1_11comp_targetILNS1_3genE8ELNS1_11target_archE1030ELNS1_3gpuE2ELNS1_3repE0EEENS1_30default_config_static_selectorELNS0_4arch9wavefront6targetE1EEEvT1_
    .private_segment_fixed_size: 0
    .sgpr_count:     6
    .sgpr_spill_count: 0
    .symbol:         _ZN7rocprim17ROCPRIM_400000_NS6detail17trampoline_kernelINS0_14default_configENS1_25partition_config_selectorILNS1_17partition_subalgoE9EllbEEZZNS1_14partition_implILS5_9ELb0ES3_jPlS8_PNS0_10empty_typeENS0_5tupleIJS8_S9_EEENSB_IJS8_SA_EEENS0_18inequality_wrapperIZN2at6native12_GLOBAL__N_124unique_dim_cuda_templateIjEESt5tupleIJNSF_6TensorESK_SK_EERKSK_lbbbEUlllE0_EEPmJS9_EEE10hipError_tPvRmT3_T4_T5_T6_T7_T9_mT8_P12ihipStream_tbDpT10_ENKUlT_T0_E_clISt17integral_constantIbLb0EES19_IbLb1EEEEDaS15_S16_EUlS15_E_NS1_11comp_targetILNS1_3genE8ELNS1_11target_archE1030ELNS1_3gpuE2ELNS1_3repE0EEENS1_30default_config_static_selectorELNS0_4arch9wavefront6targetE1EEEvT1_.kd
    .uniform_work_group_size: 1
    .uses_dynamic_stack: false
    .vgpr_count:     0
    .vgpr_spill_count: 0
    .wavefront_size: 64
  - .agpr_count:     0
    .args:
      - .offset:         0
        .size:           72
        .value_kind:     by_value
      - .offset:         72
        .size:           4
        .value_kind:     hidden_block_count_x
      - .offset:         76
        .size:           4
        .value_kind:     hidden_block_count_y
      - .offset:         80
        .size:           4
        .value_kind:     hidden_block_count_z
      - .offset:         84
        .size:           2
        .value_kind:     hidden_group_size_x
      - .offset:         86
        .size:           2
        .value_kind:     hidden_group_size_y
      - .offset:         88
        .size:           2
        .value_kind:     hidden_group_size_z
      - .offset:         90
        .size:           2
        .value_kind:     hidden_remainder_x
      - .offset:         92
        .size:           2
        .value_kind:     hidden_remainder_y
      - .offset:         94
        .size:           2
        .value_kind:     hidden_remainder_z
      - .offset:         112
        .size:           8
        .value_kind:     hidden_global_offset_x
      - .offset:         120
        .size:           8
        .value_kind:     hidden_global_offset_y
      - .offset:         128
        .size:           8
        .value_kind:     hidden_global_offset_z
      - .offset:         136
        .size:           2
        .value_kind:     hidden_grid_dims
    .group_segment_fixed_size: 16896
    .kernarg_segment_align: 8
    .kernarg_segment_size: 328
    .language:       OpenCL C
    .language_version:
      - 2
      - 0
    .max_flat_workgroup_size: 256
    .name:           _ZN7rocprim17ROCPRIM_400000_NS6detail17trampoline_kernelINS0_14default_configENS1_37merge_sort_block_sort_config_selectorIlNS0_10empty_typeEEEZNS1_21merge_sort_block_sortIS3_PlS8_PS5_S9_ZN2at6native12_GLOBAL__N_124unique_dim_cuda_templateImEESt5tupleIJNSA_6TensorESF_SF_EERKSF_lbbbEUlllE_EE10hipError_tT0_T1_T2_T3_mRjT4_P12ihipStream_tbNS1_7vsmem_tEEUlT_E_NS1_11comp_targetILNS1_3genE0ELNS1_11target_archE4294967295ELNS1_3gpuE0ELNS1_3repE0EEENS1_30default_config_static_selectorELNS0_4arch9wavefront6targetE1EEEvSM_
    .private_segment_fixed_size: 0
    .sgpr_count:     73
    .sgpr_spill_count: 0
    .symbol:         _ZN7rocprim17ROCPRIM_400000_NS6detail17trampoline_kernelINS0_14default_configENS1_37merge_sort_block_sort_config_selectorIlNS0_10empty_typeEEEZNS1_21merge_sort_block_sortIS3_PlS8_PS5_S9_ZN2at6native12_GLOBAL__N_124unique_dim_cuda_templateImEESt5tupleIJNSA_6TensorESF_SF_EERKSF_lbbbEUlllE_EE10hipError_tT0_T1_T2_T3_mRjT4_P12ihipStream_tbNS1_7vsmem_tEEUlT_E_NS1_11comp_targetILNS1_3genE0ELNS1_11target_archE4294967295ELNS1_3gpuE0ELNS1_3repE0EEENS1_30default_config_static_selectorELNS0_4arch9wavefront6targetE1EEEvSM_.kd
    .uniform_work_group_size: 1
    .uses_dynamic_stack: false
    .vgpr_count:     58
    .vgpr_spill_count: 0
    .wavefront_size: 64
  - .agpr_count:     0
    .args:
      - .offset:         0
        .size:           72
        .value_kind:     by_value
    .group_segment_fixed_size: 0
    .kernarg_segment_align: 8
    .kernarg_segment_size: 72
    .language:       OpenCL C
    .language_version:
      - 2
      - 0
    .max_flat_workgroup_size: 256
    .name:           _ZN7rocprim17ROCPRIM_400000_NS6detail17trampoline_kernelINS0_14default_configENS1_37merge_sort_block_sort_config_selectorIlNS0_10empty_typeEEEZNS1_21merge_sort_block_sortIS3_PlS8_PS5_S9_ZN2at6native12_GLOBAL__N_124unique_dim_cuda_templateImEESt5tupleIJNSA_6TensorESF_SF_EERKSF_lbbbEUlllE_EE10hipError_tT0_T1_T2_T3_mRjT4_P12ihipStream_tbNS1_7vsmem_tEEUlT_E_NS1_11comp_targetILNS1_3genE5ELNS1_11target_archE942ELNS1_3gpuE9ELNS1_3repE0EEENS1_30default_config_static_selectorELNS0_4arch9wavefront6targetE1EEEvSM_
    .private_segment_fixed_size: 0
    .sgpr_count:     6
    .sgpr_spill_count: 0
    .symbol:         _ZN7rocprim17ROCPRIM_400000_NS6detail17trampoline_kernelINS0_14default_configENS1_37merge_sort_block_sort_config_selectorIlNS0_10empty_typeEEEZNS1_21merge_sort_block_sortIS3_PlS8_PS5_S9_ZN2at6native12_GLOBAL__N_124unique_dim_cuda_templateImEESt5tupleIJNSA_6TensorESF_SF_EERKSF_lbbbEUlllE_EE10hipError_tT0_T1_T2_T3_mRjT4_P12ihipStream_tbNS1_7vsmem_tEEUlT_E_NS1_11comp_targetILNS1_3genE5ELNS1_11target_archE942ELNS1_3gpuE9ELNS1_3repE0EEENS1_30default_config_static_selectorELNS0_4arch9wavefront6targetE1EEEvSM_.kd
    .uniform_work_group_size: 1
    .uses_dynamic_stack: false
    .vgpr_count:     0
    .vgpr_spill_count: 0
    .wavefront_size: 64
  - .agpr_count:     0
    .args:
      - .offset:         0
        .size:           72
        .value_kind:     by_value
    .group_segment_fixed_size: 0
    .kernarg_segment_align: 8
    .kernarg_segment_size: 72
    .language:       OpenCL C
    .language_version:
      - 2
      - 0
    .max_flat_workgroup_size: 256
    .name:           _ZN7rocprim17ROCPRIM_400000_NS6detail17trampoline_kernelINS0_14default_configENS1_37merge_sort_block_sort_config_selectorIlNS0_10empty_typeEEEZNS1_21merge_sort_block_sortIS3_PlS8_PS5_S9_ZN2at6native12_GLOBAL__N_124unique_dim_cuda_templateImEESt5tupleIJNSA_6TensorESF_SF_EERKSF_lbbbEUlllE_EE10hipError_tT0_T1_T2_T3_mRjT4_P12ihipStream_tbNS1_7vsmem_tEEUlT_E_NS1_11comp_targetILNS1_3genE4ELNS1_11target_archE910ELNS1_3gpuE8ELNS1_3repE0EEENS1_30default_config_static_selectorELNS0_4arch9wavefront6targetE1EEEvSM_
    .private_segment_fixed_size: 0
    .sgpr_count:     6
    .sgpr_spill_count: 0
    .symbol:         _ZN7rocprim17ROCPRIM_400000_NS6detail17trampoline_kernelINS0_14default_configENS1_37merge_sort_block_sort_config_selectorIlNS0_10empty_typeEEEZNS1_21merge_sort_block_sortIS3_PlS8_PS5_S9_ZN2at6native12_GLOBAL__N_124unique_dim_cuda_templateImEESt5tupleIJNSA_6TensorESF_SF_EERKSF_lbbbEUlllE_EE10hipError_tT0_T1_T2_T3_mRjT4_P12ihipStream_tbNS1_7vsmem_tEEUlT_E_NS1_11comp_targetILNS1_3genE4ELNS1_11target_archE910ELNS1_3gpuE8ELNS1_3repE0EEENS1_30default_config_static_selectorELNS0_4arch9wavefront6targetE1EEEvSM_.kd
    .uniform_work_group_size: 1
    .uses_dynamic_stack: false
    .vgpr_count:     0
    .vgpr_spill_count: 0
    .wavefront_size: 64
  - .agpr_count:     0
    .args:
      - .offset:         0
        .size:           72
        .value_kind:     by_value
    .group_segment_fixed_size: 0
    .kernarg_segment_align: 8
    .kernarg_segment_size: 72
    .language:       OpenCL C
    .language_version:
      - 2
      - 0
    .max_flat_workgroup_size: 256
    .name:           _ZN7rocprim17ROCPRIM_400000_NS6detail17trampoline_kernelINS0_14default_configENS1_37merge_sort_block_sort_config_selectorIlNS0_10empty_typeEEEZNS1_21merge_sort_block_sortIS3_PlS8_PS5_S9_ZN2at6native12_GLOBAL__N_124unique_dim_cuda_templateImEESt5tupleIJNSA_6TensorESF_SF_EERKSF_lbbbEUlllE_EE10hipError_tT0_T1_T2_T3_mRjT4_P12ihipStream_tbNS1_7vsmem_tEEUlT_E_NS1_11comp_targetILNS1_3genE3ELNS1_11target_archE908ELNS1_3gpuE7ELNS1_3repE0EEENS1_30default_config_static_selectorELNS0_4arch9wavefront6targetE1EEEvSM_
    .private_segment_fixed_size: 0
    .sgpr_count:     6
    .sgpr_spill_count: 0
    .symbol:         _ZN7rocprim17ROCPRIM_400000_NS6detail17trampoline_kernelINS0_14default_configENS1_37merge_sort_block_sort_config_selectorIlNS0_10empty_typeEEEZNS1_21merge_sort_block_sortIS3_PlS8_PS5_S9_ZN2at6native12_GLOBAL__N_124unique_dim_cuda_templateImEESt5tupleIJNSA_6TensorESF_SF_EERKSF_lbbbEUlllE_EE10hipError_tT0_T1_T2_T3_mRjT4_P12ihipStream_tbNS1_7vsmem_tEEUlT_E_NS1_11comp_targetILNS1_3genE3ELNS1_11target_archE908ELNS1_3gpuE7ELNS1_3repE0EEENS1_30default_config_static_selectorELNS0_4arch9wavefront6targetE1EEEvSM_.kd
    .uniform_work_group_size: 1
    .uses_dynamic_stack: false
    .vgpr_count:     0
    .vgpr_spill_count: 0
    .wavefront_size: 64
  - .agpr_count:     0
    .args:
      - .offset:         0
        .size:           72
        .value_kind:     by_value
    .group_segment_fixed_size: 0
    .kernarg_segment_align: 8
    .kernarg_segment_size: 72
    .language:       OpenCL C
    .language_version:
      - 2
      - 0
    .max_flat_workgroup_size: 256
    .name:           _ZN7rocprim17ROCPRIM_400000_NS6detail17trampoline_kernelINS0_14default_configENS1_37merge_sort_block_sort_config_selectorIlNS0_10empty_typeEEEZNS1_21merge_sort_block_sortIS3_PlS8_PS5_S9_ZN2at6native12_GLOBAL__N_124unique_dim_cuda_templateImEESt5tupleIJNSA_6TensorESF_SF_EERKSF_lbbbEUlllE_EE10hipError_tT0_T1_T2_T3_mRjT4_P12ihipStream_tbNS1_7vsmem_tEEUlT_E_NS1_11comp_targetILNS1_3genE2ELNS1_11target_archE906ELNS1_3gpuE6ELNS1_3repE0EEENS1_30default_config_static_selectorELNS0_4arch9wavefront6targetE1EEEvSM_
    .private_segment_fixed_size: 0
    .sgpr_count:     6
    .sgpr_spill_count: 0
    .symbol:         _ZN7rocprim17ROCPRIM_400000_NS6detail17trampoline_kernelINS0_14default_configENS1_37merge_sort_block_sort_config_selectorIlNS0_10empty_typeEEEZNS1_21merge_sort_block_sortIS3_PlS8_PS5_S9_ZN2at6native12_GLOBAL__N_124unique_dim_cuda_templateImEESt5tupleIJNSA_6TensorESF_SF_EERKSF_lbbbEUlllE_EE10hipError_tT0_T1_T2_T3_mRjT4_P12ihipStream_tbNS1_7vsmem_tEEUlT_E_NS1_11comp_targetILNS1_3genE2ELNS1_11target_archE906ELNS1_3gpuE6ELNS1_3repE0EEENS1_30default_config_static_selectorELNS0_4arch9wavefront6targetE1EEEvSM_.kd
    .uniform_work_group_size: 1
    .uses_dynamic_stack: false
    .vgpr_count:     0
    .vgpr_spill_count: 0
    .wavefront_size: 64
  - .agpr_count:     0
    .args:
      - .offset:         0
        .size:           72
        .value_kind:     by_value
    .group_segment_fixed_size: 0
    .kernarg_segment_align: 8
    .kernarg_segment_size: 72
    .language:       OpenCL C
    .language_version:
      - 2
      - 0
    .max_flat_workgroup_size: 256
    .name:           _ZN7rocprim17ROCPRIM_400000_NS6detail17trampoline_kernelINS0_14default_configENS1_37merge_sort_block_sort_config_selectorIlNS0_10empty_typeEEEZNS1_21merge_sort_block_sortIS3_PlS8_PS5_S9_ZN2at6native12_GLOBAL__N_124unique_dim_cuda_templateImEESt5tupleIJNSA_6TensorESF_SF_EERKSF_lbbbEUlllE_EE10hipError_tT0_T1_T2_T3_mRjT4_P12ihipStream_tbNS1_7vsmem_tEEUlT_E_NS1_11comp_targetILNS1_3genE10ELNS1_11target_archE1201ELNS1_3gpuE5ELNS1_3repE0EEENS1_30default_config_static_selectorELNS0_4arch9wavefront6targetE1EEEvSM_
    .private_segment_fixed_size: 0
    .sgpr_count:     6
    .sgpr_spill_count: 0
    .symbol:         _ZN7rocprim17ROCPRIM_400000_NS6detail17trampoline_kernelINS0_14default_configENS1_37merge_sort_block_sort_config_selectorIlNS0_10empty_typeEEEZNS1_21merge_sort_block_sortIS3_PlS8_PS5_S9_ZN2at6native12_GLOBAL__N_124unique_dim_cuda_templateImEESt5tupleIJNSA_6TensorESF_SF_EERKSF_lbbbEUlllE_EE10hipError_tT0_T1_T2_T3_mRjT4_P12ihipStream_tbNS1_7vsmem_tEEUlT_E_NS1_11comp_targetILNS1_3genE10ELNS1_11target_archE1201ELNS1_3gpuE5ELNS1_3repE0EEENS1_30default_config_static_selectorELNS0_4arch9wavefront6targetE1EEEvSM_.kd
    .uniform_work_group_size: 1
    .uses_dynamic_stack: false
    .vgpr_count:     0
    .vgpr_spill_count: 0
    .wavefront_size: 64
  - .agpr_count:     0
    .args:
      - .offset:         0
        .size:           72
        .value_kind:     by_value
    .group_segment_fixed_size: 0
    .kernarg_segment_align: 8
    .kernarg_segment_size: 72
    .language:       OpenCL C
    .language_version:
      - 2
      - 0
    .max_flat_workgroup_size: 512
    .name:           _ZN7rocprim17ROCPRIM_400000_NS6detail17trampoline_kernelINS0_14default_configENS1_37merge_sort_block_sort_config_selectorIlNS0_10empty_typeEEEZNS1_21merge_sort_block_sortIS3_PlS8_PS5_S9_ZN2at6native12_GLOBAL__N_124unique_dim_cuda_templateImEESt5tupleIJNSA_6TensorESF_SF_EERKSF_lbbbEUlllE_EE10hipError_tT0_T1_T2_T3_mRjT4_P12ihipStream_tbNS1_7vsmem_tEEUlT_E_NS1_11comp_targetILNS1_3genE10ELNS1_11target_archE1200ELNS1_3gpuE4ELNS1_3repE0EEENS1_30default_config_static_selectorELNS0_4arch9wavefront6targetE1EEEvSM_
    .private_segment_fixed_size: 0
    .sgpr_count:     6
    .sgpr_spill_count: 0
    .symbol:         _ZN7rocprim17ROCPRIM_400000_NS6detail17trampoline_kernelINS0_14default_configENS1_37merge_sort_block_sort_config_selectorIlNS0_10empty_typeEEEZNS1_21merge_sort_block_sortIS3_PlS8_PS5_S9_ZN2at6native12_GLOBAL__N_124unique_dim_cuda_templateImEESt5tupleIJNSA_6TensorESF_SF_EERKSF_lbbbEUlllE_EE10hipError_tT0_T1_T2_T3_mRjT4_P12ihipStream_tbNS1_7vsmem_tEEUlT_E_NS1_11comp_targetILNS1_3genE10ELNS1_11target_archE1200ELNS1_3gpuE4ELNS1_3repE0EEENS1_30default_config_static_selectorELNS0_4arch9wavefront6targetE1EEEvSM_.kd
    .uniform_work_group_size: 1
    .uses_dynamic_stack: false
    .vgpr_count:     0
    .vgpr_spill_count: 0
    .wavefront_size: 64
  - .agpr_count:     0
    .args:
      - .offset:         0
        .size:           72
        .value_kind:     by_value
    .group_segment_fixed_size: 0
    .kernarg_segment_align: 8
    .kernarg_segment_size: 72
    .language:       OpenCL C
    .language_version:
      - 2
      - 0
    .max_flat_workgroup_size: 256
    .name:           _ZN7rocprim17ROCPRIM_400000_NS6detail17trampoline_kernelINS0_14default_configENS1_37merge_sort_block_sort_config_selectorIlNS0_10empty_typeEEEZNS1_21merge_sort_block_sortIS3_PlS8_PS5_S9_ZN2at6native12_GLOBAL__N_124unique_dim_cuda_templateImEESt5tupleIJNSA_6TensorESF_SF_EERKSF_lbbbEUlllE_EE10hipError_tT0_T1_T2_T3_mRjT4_P12ihipStream_tbNS1_7vsmem_tEEUlT_E_NS1_11comp_targetILNS1_3genE9ELNS1_11target_archE1100ELNS1_3gpuE3ELNS1_3repE0EEENS1_30default_config_static_selectorELNS0_4arch9wavefront6targetE1EEEvSM_
    .private_segment_fixed_size: 0
    .sgpr_count:     6
    .sgpr_spill_count: 0
    .symbol:         _ZN7rocprim17ROCPRIM_400000_NS6detail17trampoline_kernelINS0_14default_configENS1_37merge_sort_block_sort_config_selectorIlNS0_10empty_typeEEEZNS1_21merge_sort_block_sortIS3_PlS8_PS5_S9_ZN2at6native12_GLOBAL__N_124unique_dim_cuda_templateImEESt5tupleIJNSA_6TensorESF_SF_EERKSF_lbbbEUlllE_EE10hipError_tT0_T1_T2_T3_mRjT4_P12ihipStream_tbNS1_7vsmem_tEEUlT_E_NS1_11comp_targetILNS1_3genE9ELNS1_11target_archE1100ELNS1_3gpuE3ELNS1_3repE0EEENS1_30default_config_static_selectorELNS0_4arch9wavefront6targetE1EEEvSM_.kd
    .uniform_work_group_size: 1
    .uses_dynamic_stack: false
    .vgpr_count:     0
    .vgpr_spill_count: 0
    .wavefront_size: 64
  - .agpr_count:     0
    .args:
      - .offset:         0
        .size:           72
        .value_kind:     by_value
    .group_segment_fixed_size: 0
    .kernarg_segment_align: 8
    .kernarg_segment_size: 72
    .language:       OpenCL C
    .language_version:
      - 2
      - 0
    .max_flat_workgroup_size: 256
    .name:           _ZN7rocprim17ROCPRIM_400000_NS6detail17trampoline_kernelINS0_14default_configENS1_37merge_sort_block_sort_config_selectorIlNS0_10empty_typeEEEZNS1_21merge_sort_block_sortIS3_PlS8_PS5_S9_ZN2at6native12_GLOBAL__N_124unique_dim_cuda_templateImEESt5tupleIJNSA_6TensorESF_SF_EERKSF_lbbbEUlllE_EE10hipError_tT0_T1_T2_T3_mRjT4_P12ihipStream_tbNS1_7vsmem_tEEUlT_E_NS1_11comp_targetILNS1_3genE8ELNS1_11target_archE1030ELNS1_3gpuE2ELNS1_3repE0EEENS1_30default_config_static_selectorELNS0_4arch9wavefront6targetE1EEEvSM_
    .private_segment_fixed_size: 0
    .sgpr_count:     6
    .sgpr_spill_count: 0
    .symbol:         _ZN7rocprim17ROCPRIM_400000_NS6detail17trampoline_kernelINS0_14default_configENS1_37merge_sort_block_sort_config_selectorIlNS0_10empty_typeEEEZNS1_21merge_sort_block_sortIS3_PlS8_PS5_S9_ZN2at6native12_GLOBAL__N_124unique_dim_cuda_templateImEESt5tupleIJNSA_6TensorESF_SF_EERKSF_lbbbEUlllE_EE10hipError_tT0_T1_T2_T3_mRjT4_P12ihipStream_tbNS1_7vsmem_tEEUlT_E_NS1_11comp_targetILNS1_3genE8ELNS1_11target_archE1030ELNS1_3gpuE2ELNS1_3repE0EEENS1_30default_config_static_selectorELNS0_4arch9wavefront6targetE1EEEvSM_.kd
    .uniform_work_group_size: 1
    .uses_dynamic_stack: false
    .vgpr_count:     0
    .vgpr_spill_count: 0
    .wavefront_size: 64
  - .agpr_count:     0
    .args:
      - .offset:         0
        .size:           56
        .value_kind:     by_value
    .group_segment_fixed_size: 0
    .kernarg_segment_align: 8
    .kernarg_segment_size: 56
    .language:       OpenCL C
    .language_version:
      - 2
      - 0
    .max_flat_workgroup_size: 128
    .name:           _ZN7rocprim17ROCPRIM_400000_NS6detail17trampoline_kernelINS0_14default_configENS1_38merge_sort_block_merge_config_selectorIlNS0_10empty_typeEEEZZNS1_27merge_sort_block_merge_implIS3_PlPS5_mZN2at6native12_GLOBAL__N_124unique_dim_cuda_templateImEESt5tupleIJNSA_6TensorESF_SF_EERKSF_lbbbEUlllE_EE10hipError_tT0_T1_T2_jT3_P12ihipStream_tbPNSt15iterator_traitsISL_E10value_typeEPNSR_ISM_E10value_typeEPSN_NS1_7vsmem_tEENKUlT_SL_SM_SN_E_clIS8_S8_S9_S9_EESK_S10_SL_SM_SN_EUlS10_E_NS1_11comp_targetILNS1_3genE0ELNS1_11target_archE4294967295ELNS1_3gpuE0ELNS1_3repE0EEENS1_48merge_mergepath_partition_config_static_selectorELNS0_4arch9wavefront6targetE1EEEvSM_
    .private_segment_fixed_size: 0
    .sgpr_count:     38
    .sgpr_spill_count: 0
    .symbol:         _ZN7rocprim17ROCPRIM_400000_NS6detail17trampoline_kernelINS0_14default_configENS1_38merge_sort_block_merge_config_selectorIlNS0_10empty_typeEEEZZNS1_27merge_sort_block_merge_implIS3_PlPS5_mZN2at6native12_GLOBAL__N_124unique_dim_cuda_templateImEESt5tupleIJNSA_6TensorESF_SF_EERKSF_lbbbEUlllE_EE10hipError_tT0_T1_T2_jT3_P12ihipStream_tbPNSt15iterator_traitsISL_E10value_typeEPNSR_ISM_E10value_typeEPSN_NS1_7vsmem_tEENKUlT_SL_SM_SN_E_clIS8_S8_S9_S9_EESK_S10_SL_SM_SN_EUlS10_E_NS1_11comp_targetILNS1_3genE0ELNS1_11target_archE4294967295ELNS1_3gpuE0ELNS1_3repE0EEENS1_48merge_mergepath_partition_config_static_selectorELNS0_4arch9wavefront6targetE1EEEvSM_.kd
    .uniform_work_group_size: 1
    .uses_dynamic_stack: false
    .vgpr_count:     23
    .vgpr_spill_count: 0
    .wavefront_size: 64
  - .agpr_count:     0
    .args:
      - .offset:         0
        .size:           56
        .value_kind:     by_value
    .group_segment_fixed_size: 0
    .kernarg_segment_align: 8
    .kernarg_segment_size: 56
    .language:       OpenCL C
    .language_version:
      - 2
      - 0
    .max_flat_workgroup_size: 128
    .name:           _ZN7rocprim17ROCPRIM_400000_NS6detail17trampoline_kernelINS0_14default_configENS1_38merge_sort_block_merge_config_selectorIlNS0_10empty_typeEEEZZNS1_27merge_sort_block_merge_implIS3_PlPS5_mZN2at6native12_GLOBAL__N_124unique_dim_cuda_templateImEESt5tupleIJNSA_6TensorESF_SF_EERKSF_lbbbEUlllE_EE10hipError_tT0_T1_T2_jT3_P12ihipStream_tbPNSt15iterator_traitsISL_E10value_typeEPNSR_ISM_E10value_typeEPSN_NS1_7vsmem_tEENKUlT_SL_SM_SN_E_clIS8_S8_S9_S9_EESK_S10_SL_SM_SN_EUlS10_E_NS1_11comp_targetILNS1_3genE10ELNS1_11target_archE1201ELNS1_3gpuE5ELNS1_3repE0EEENS1_48merge_mergepath_partition_config_static_selectorELNS0_4arch9wavefront6targetE1EEEvSM_
    .private_segment_fixed_size: 0
    .sgpr_count:     6
    .sgpr_spill_count: 0
    .symbol:         _ZN7rocprim17ROCPRIM_400000_NS6detail17trampoline_kernelINS0_14default_configENS1_38merge_sort_block_merge_config_selectorIlNS0_10empty_typeEEEZZNS1_27merge_sort_block_merge_implIS3_PlPS5_mZN2at6native12_GLOBAL__N_124unique_dim_cuda_templateImEESt5tupleIJNSA_6TensorESF_SF_EERKSF_lbbbEUlllE_EE10hipError_tT0_T1_T2_jT3_P12ihipStream_tbPNSt15iterator_traitsISL_E10value_typeEPNSR_ISM_E10value_typeEPSN_NS1_7vsmem_tEENKUlT_SL_SM_SN_E_clIS8_S8_S9_S9_EESK_S10_SL_SM_SN_EUlS10_E_NS1_11comp_targetILNS1_3genE10ELNS1_11target_archE1201ELNS1_3gpuE5ELNS1_3repE0EEENS1_48merge_mergepath_partition_config_static_selectorELNS0_4arch9wavefront6targetE1EEEvSM_.kd
    .uniform_work_group_size: 1
    .uses_dynamic_stack: false
    .vgpr_count:     0
    .vgpr_spill_count: 0
    .wavefront_size: 64
  - .agpr_count:     0
    .args:
      - .offset:         0
        .size:           56
        .value_kind:     by_value
    .group_segment_fixed_size: 0
    .kernarg_segment_align: 8
    .kernarg_segment_size: 56
    .language:       OpenCL C
    .language_version:
      - 2
      - 0
    .max_flat_workgroup_size: 128
    .name:           _ZN7rocprim17ROCPRIM_400000_NS6detail17trampoline_kernelINS0_14default_configENS1_38merge_sort_block_merge_config_selectorIlNS0_10empty_typeEEEZZNS1_27merge_sort_block_merge_implIS3_PlPS5_mZN2at6native12_GLOBAL__N_124unique_dim_cuda_templateImEESt5tupleIJNSA_6TensorESF_SF_EERKSF_lbbbEUlllE_EE10hipError_tT0_T1_T2_jT3_P12ihipStream_tbPNSt15iterator_traitsISL_E10value_typeEPNSR_ISM_E10value_typeEPSN_NS1_7vsmem_tEENKUlT_SL_SM_SN_E_clIS8_S8_S9_S9_EESK_S10_SL_SM_SN_EUlS10_E_NS1_11comp_targetILNS1_3genE5ELNS1_11target_archE942ELNS1_3gpuE9ELNS1_3repE0EEENS1_48merge_mergepath_partition_config_static_selectorELNS0_4arch9wavefront6targetE1EEEvSM_
    .private_segment_fixed_size: 0
    .sgpr_count:     6
    .sgpr_spill_count: 0
    .symbol:         _ZN7rocprim17ROCPRIM_400000_NS6detail17trampoline_kernelINS0_14default_configENS1_38merge_sort_block_merge_config_selectorIlNS0_10empty_typeEEEZZNS1_27merge_sort_block_merge_implIS3_PlPS5_mZN2at6native12_GLOBAL__N_124unique_dim_cuda_templateImEESt5tupleIJNSA_6TensorESF_SF_EERKSF_lbbbEUlllE_EE10hipError_tT0_T1_T2_jT3_P12ihipStream_tbPNSt15iterator_traitsISL_E10value_typeEPNSR_ISM_E10value_typeEPSN_NS1_7vsmem_tEENKUlT_SL_SM_SN_E_clIS8_S8_S9_S9_EESK_S10_SL_SM_SN_EUlS10_E_NS1_11comp_targetILNS1_3genE5ELNS1_11target_archE942ELNS1_3gpuE9ELNS1_3repE0EEENS1_48merge_mergepath_partition_config_static_selectorELNS0_4arch9wavefront6targetE1EEEvSM_.kd
    .uniform_work_group_size: 1
    .uses_dynamic_stack: false
    .vgpr_count:     0
    .vgpr_spill_count: 0
    .wavefront_size: 64
  - .agpr_count:     0
    .args:
      - .offset:         0
        .size:           56
        .value_kind:     by_value
    .group_segment_fixed_size: 0
    .kernarg_segment_align: 8
    .kernarg_segment_size: 56
    .language:       OpenCL C
    .language_version:
      - 2
      - 0
    .max_flat_workgroup_size: 128
    .name:           _ZN7rocprim17ROCPRIM_400000_NS6detail17trampoline_kernelINS0_14default_configENS1_38merge_sort_block_merge_config_selectorIlNS0_10empty_typeEEEZZNS1_27merge_sort_block_merge_implIS3_PlPS5_mZN2at6native12_GLOBAL__N_124unique_dim_cuda_templateImEESt5tupleIJNSA_6TensorESF_SF_EERKSF_lbbbEUlllE_EE10hipError_tT0_T1_T2_jT3_P12ihipStream_tbPNSt15iterator_traitsISL_E10value_typeEPNSR_ISM_E10value_typeEPSN_NS1_7vsmem_tEENKUlT_SL_SM_SN_E_clIS8_S8_S9_S9_EESK_S10_SL_SM_SN_EUlS10_E_NS1_11comp_targetILNS1_3genE4ELNS1_11target_archE910ELNS1_3gpuE8ELNS1_3repE0EEENS1_48merge_mergepath_partition_config_static_selectorELNS0_4arch9wavefront6targetE1EEEvSM_
    .private_segment_fixed_size: 0
    .sgpr_count:     6
    .sgpr_spill_count: 0
    .symbol:         _ZN7rocprim17ROCPRIM_400000_NS6detail17trampoline_kernelINS0_14default_configENS1_38merge_sort_block_merge_config_selectorIlNS0_10empty_typeEEEZZNS1_27merge_sort_block_merge_implIS3_PlPS5_mZN2at6native12_GLOBAL__N_124unique_dim_cuda_templateImEESt5tupleIJNSA_6TensorESF_SF_EERKSF_lbbbEUlllE_EE10hipError_tT0_T1_T2_jT3_P12ihipStream_tbPNSt15iterator_traitsISL_E10value_typeEPNSR_ISM_E10value_typeEPSN_NS1_7vsmem_tEENKUlT_SL_SM_SN_E_clIS8_S8_S9_S9_EESK_S10_SL_SM_SN_EUlS10_E_NS1_11comp_targetILNS1_3genE4ELNS1_11target_archE910ELNS1_3gpuE8ELNS1_3repE0EEENS1_48merge_mergepath_partition_config_static_selectorELNS0_4arch9wavefront6targetE1EEEvSM_.kd
    .uniform_work_group_size: 1
    .uses_dynamic_stack: false
    .vgpr_count:     0
    .vgpr_spill_count: 0
    .wavefront_size: 64
  - .agpr_count:     0
    .args:
      - .offset:         0
        .size:           56
        .value_kind:     by_value
    .group_segment_fixed_size: 0
    .kernarg_segment_align: 8
    .kernarg_segment_size: 56
    .language:       OpenCL C
    .language_version:
      - 2
      - 0
    .max_flat_workgroup_size: 128
    .name:           _ZN7rocprim17ROCPRIM_400000_NS6detail17trampoline_kernelINS0_14default_configENS1_38merge_sort_block_merge_config_selectorIlNS0_10empty_typeEEEZZNS1_27merge_sort_block_merge_implIS3_PlPS5_mZN2at6native12_GLOBAL__N_124unique_dim_cuda_templateImEESt5tupleIJNSA_6TensorESF_SF_EERKSF_lbbbEUlllE_EE10hipError_tT0_T1_T2_jT3_P12ihipStream_tbPNSt15iterator_traitsISL_E10value_typeEPNSR_ISM_E10value_typeEPSN_NS1_7vsmem_tEENKUlT_SL_SM_SN_E_clIS8_S8_S9_S9_EESK_S10_SL_SM_SN_EUlS10_E_NS1_11comp_targetILNS1_3genE3ELNS1_11target_archE908ELNS1_3gpuE7ELNS1_3repE0EEENS1_48merge_mergepath_partition_config_static_selectorELNS0_4arch9wavefront6targetE1EEEvSM_
    .private_segment_fixed_size: 0
    .sgpr_count:     6
    .sgpr_spill_count: 0
    .symbol:         _ZN7rocprim17ROCPRIM_400000_NS6detail17trampoline_kernelINS0_14default_configENS1_38merge_sort_block_merge_config_selectorIlNS0_10empty_typeEEEZZNS1_27merge_sort_block_merge_implIS3_PlPS5_mZN2at6native12_GLOBAL__N_124unique_dim_cuda_templateImEESt5tupleIJNSA_6TensorESF_SF_EERKSF_lbbbEUlllE_EE10hipError_tT0_T1_T2_jT3_P12ihipStream_tbPNSt15iterator_traitsISL_E10value_typeEPNSR_ISM_E10value_typeEPSN_NS1_7vsmem_tEENKUlT_SL_SM_SN_E_clIS8_S8_S9_S9_EESK_S10_SL_SM_SN_EUlS10_E_NS1_11comp_targetILNS1_3genE3ELNS1_11target_archE908ELNS1_3gpuE7ELNS1_3repE0EEENS1_48merge_mergepath_partition_config_static_selectorELNS0_4arch9wavefront6targetE1EEEvSM_.kd
    .uniform_work_group_size: 1
    .uses_dynamic_stack: false
    .vgpr_count:     0
    .vgpr_spill_count: 0
    .wavefront_size: 64
  - .agpr_count:     0
    .args:
      - .offset:         0
        .size:           56
        .value_kind:     by_value
    .group_segment_fixed_size: 0
    .kernarg_segment_align: 8
    .kernarg_segment_size: 56
    .language:       OpenCL C
    .language_version:
      - 2
      - 0
    .max_flat_workgroup_size: 128
    .name:           _ZN7rocprim17ROCPRIM_400000_NS6detail17trampoline_kernelINS0_14default_configENS1_38merge_sort_block_merge_config_selectorIlNS0_10empty_typeEEEZZNS1_27merge_sort_block_merge_implIS3_PlPS5_mZN2at6native12_GLOBAL__N_124unique_dim_cuda_templateImEESt5tupleIJNSA_6TensorESF_SF_EERKSF_lbbbEUlllE_EE10hipError_tT0_T1_T2_jT3_P12ihipStream_tbPNSt15iterator_traitsISL_E10value_typeEPNSR_ISM_E10value_typeEPSN_NS1_7vsmem_tEENKUlT_SL_SM_SN_E_clIS8_S8_S9_S9_EESK_S10_SL_SM_SN_EUlS10_E_NS1_11comp_targetILNS1_3genE2ELNS1_11target_archE906ELNS1_3gpuE6ELNS1_3repE0EEENS1_48merge_mergepath_partition_config_static_selectorELNS0_4arch9wavefront6targetE1EEEvSM_
    .private_segment_fixed_size: 0
    .sgpr_count:     6
    .sgpr_spill_count: 0
    .symbol:         _ZN7rocprim17ROCPRIM_400000_NS6detail17trampoline_kernelINS0_14default_configENS1_38merge_sort_block_merge_config_selectorIlNS0_10empty_typeEEEZZNS1_27merge_sort_block_merge_implIS3_PlPS5_mZN2at6native12_GLOBAL__N_124unique_dim_cuda_templateImEESt5tupleIJNSA_6TensorESF_SF_EERKSF_lbbbEUlllE_EE10hipError_tT0_T1_T2_jT3_P12ihipStream_tbPNSt15iterator_traitsISL_E10value_typeEPNSR_ISM_E10value_typeEPSN_NS1_7vsmem_tEENKUlT_SL_SM_SN_E_clIS8_S8_S9_S9_EESK_S10_SL_SM_SN_EUlS10_E_NS1_11comp_targetILNS1_3genE2ELNS1_11target_archE906ELNS1_3gpuE6ELNS1_3repE0EEENS1_48merge_mergepath_partition_config_static_selectorELNS0_4arch9wavefront6targetE1EEEvSM_.kd
    .uniform_work_group_size: 1
    .uses_dynamic_stack: false
    .vgpr_count:     0
    .vgpr_spill_count: 0
    .wavefront_size: 64
  - .agpr_count:     0
    .args:
      - .offset:         0
        .size:           56
        .value_kind:     by_value
    .group_segment_fixed_size: 0
    .kernarg_segment_align: 8
    .kernarg_segment_size: 56
    .language:       OpenCL C
    .language_version:
      - 2
      - 0
    .max_flat_workgroup_size: 128
    .name:           _ZN7rocprim17ROCPRIM_400000_NS6detail17trampoline_kernelINS0_14default_configENS1_38merge_sort_block_merge_config_selectorIlNS0_10empty_typeEEEZZNS1_27merge_sort_block_merge_implIS3_PlPS5_mZN2at6native12_GLOBAL__N_124unique_dim_cuda_templateImEESt5tupleIJNSA_6TensorESF_SF_EERKSF_lbbbEUlllE_EE10hipError_tT0_T1_T2_jT3_P12ihipStream_tbPNSt15iterator_traitsISL_E10value_typeEPNSR_ISM_E10value_typeEPSN_NS1_7vsmem_tEENKUlT_SL_SM_SN_E_clIS8_S8_S9_S9_EESK_S10_SL_SM_SN_EUlS10_E_NS1_11comp_targetILNS1_3genE9ELNS1_11target_archE1100ELNS1_3gpuE3ELNS1_3repE0EEENS1_48merge_mergepath_partition_config_static_selectorELNS0_4arch9wavefront6targetE1EEEvSM_
    .private_segment_fixed_size: 0
    .sgpr_count:     6
    .sgpr_spill_count: 0
    .symbol:         _ZN7rocprim17ROCPRIM_400000_NS6detail17trampoline_kernelINS0_14default_configENS1_38merge_sort_block_merge_config_selectorIlNS0_10empty_typeEEEZZNS1_27merge_sort_block_merge_implIS3_PlPS5_mZN2at6native12_GLOBAL__N_124unique_dim_cuda_templateImEESt5tupleIJNSA_6TensorESF_SF_EERKSF_lbbbEUlllE_EE10hipError_tT0_T1_T2_jT3_P12ihipStream_tbPNSt15iterator_traitsISL_E10value_typeEPNSR_ISM_E10value_typeEPSN_NS1_7vsmem_tEENKUlT_SL_SM_SN_E_clIS8_S8_S9_S9_EESK_S10_SL_SM_SN_EUlS10_E_NS1_11comp_targetILNS1_3genE9ELNS1_11target_archE1100ELNS1_3gpuE3ELNS1_3repE0EEENS1_48merge_mergepath_partition_config_static_selectorELNS0_4arch9wavefront6targetE1EEEvSM_.kd
    .uniform_work_group_size: 1
    .uses_dynamic_stack: false
    .vgpr_count:     0
    .vgpr_spill_count: 0
    .wavefront_size: 64
  - .agpr_count:     0
    .args:
      - .offset:         0
        .size:           56
        .value_kind:     by_value
    .group_segment_fixed_size: 0
    .kernarg_segment_align: 8
    .kernarg_segment_size: 56
    .language:       OpenCL C
    .language_version:
      - 2
      - 0
    .max_flat_workgroup_size: 128
    .name:           _ZN7rocprim17ROCPRIM_400000_NS6detail17trampoline_kernelINS0_14default_configENS1_38merge_sort_block_merge_config_selectorIlNS0_10empty_typeEEEZZNS1_27merge_sort_block_merge_implIS3_PlPS5_mZN2at6native12_GLOBAL__N_124unique_dim_cuda_templateImEESt5tupleIJNSA_6TensorESF_SF_EERKSF_lbbbEUlllE_EE10hipError_tT0_T1_T2_jT3_P12ihipStream_tbPNSt15iterator_traitsISL_E10value_typeEPNSR_ISM_E10value_typeEPSN_NS1_7vsmem_tEENKUlT_SL_SM_SN_E_clIS8_S8_S9_S9_EESK_S10_SL_SM_SN_EUlS10_E_NS1_11comp_targetILNS1_3genE8ELNS1_11target_archE1030ELNS1_3gpuE2ELNS1_3repE0EEENS1_48merge_mergepath_partition_config_static_selectorELNS0_4arch9wavefront6targetE1EEEvSM_
    .private_segment_fixed_size: 0
    .sgpr_count:     6
    .sgpr_spill_count: 0
    .symbol:         _ZN7rocprim17ROCPRIM_400000_NS6detail17trampoline_kernelINS0_14default_configENS1_38merge_sort_block_merge_config_selectorIlNS0_10empty_typeEEEZZNS1_27merge_sort_block_merge_implIS3_PlPS5_mZN2at6native12_GLOBAL__N_124unique_dim_cuda_templateImEESt5tupleIJNSA_6TensorESF_SF_EERKSF_lbbbEUlllE_EE10hipError_tT0_T1_T2_jT3_P12ihipStream_tbPNSt15iterator_traitsISL_E10value_typeEPNSR_ISM_E10value_typeEPSN_NS1_7vsmem_tEENKUlT_SL_SM_SN_E_clIS8_S8_S9_S9_EESK_S10_SL_SM_SN_EUlS10_E_NS1_11comp_targetILNS1_3genE8ELNS1_11target_archE1030ELNS1_3gpuE2ELNS1_3repE0EEENS1_48merge_mergepath_partition_config_static_selectorELNS0_4arch9wavefront6targetE1EEEvSM_.kd
    .uniform_work_group_size: 1
    .uses_dynamic_stack: false
    .vgpr_count:     0
    .vgpr_spill_count: 0
    .wavefront_size: 64
  - .agpr_count:     0
    .args:
      - .offset:         0
        .size:           88
        .value_kind:     by_value
      - .offset:         88
        .size:           4
        .value_kind:     hidden_block_count_x
      - .offset:         92
        .size:           4
        .value_kind:     hidden_block_count_y
      - .offset:         96
        .size:           4
        .value_kind:     hidden_block_count_z
      - .offset:         100
        .size:           2
        .value_kind:     hidden_group_size_x
      - .offset:         102
        .size:           2
        .value_kind:     hidden_group_size_y
      - .offset:         104
        .size:           2
        .value_kind:     hidden_group_size_z
      - .offset:         106
        .size:           2
        .value_kind:     hidden_remainder_x
      - .offset:         108
        .size:           2
        .value_kind:     hidden_remainder_y
      - .offset:         110
        .size:           2
        .value_kind:     hidden_remainder_z
      - .offset:         128
        .size:           8
        .value_kind:     hidden_global_offset_x
      - .offset:         136
        .size:           8
        .value_kind:     hidden_global_offset_y
      - .offset:         144
        .size:           8
        .value_kind:     hidden_global_offset_z
      - .offset:         152
        .size:           2
        .value_kind:     hidden_grid_dims
    .group_segment_fixed_size: 8448
    .kernarg_segment_align: 8
    .kernarg_segment_size: 344
    .language:       OpenCL C
    .language_version:
      - 2
      - 0
    .max_flat_workgroup_size: 128
    .name:           _ZN7rocprim17ROCPRIM_400000_NS6detail17trampoline_kernelINS0_14default_configENS1_38merge_sort_block_merge_config_selectorIlNS0_10empty_typeEEEZZNS1_27merge_sort_block_merge_implIS3_PlPS5_mZN2at6native12_GLOBAL__N_124unique_dim_cuda_templateImEESt5tupleIJNSA_6TensorESF_SF_EERKSF_lbbbEUlllE_EE10hipError_tT0_T1_T2_jT3_P12ihipStream_tbPNSt15iterator_traitsISL_E10value_typeEPNSR_ISM_E10value_typeEPSN_NS1_7vsmem_tEENKUlT_SL_SM_SN_E_clIS8_S8_S9_S9_EESK_S10_SL_SM_SN_EUlS10_E0_NS1_11comp_targetILNS1_3genE0ELNS1_11target_archE4294967295ELNS1_3gpuE0ELNS1_3repE0EEENS1_38merge_mergepath_config_static_selectorELNS0_4arch9wavefront6targetE1EEEvSM_
    .private_segment_fixed_size: 0
    .sgpr_count:     58
    .sgpr_spill_count: 0
    .symbol:         _ZN7rocprim17ROCPRIM_400000_NS6detail17trampoline_kernelINS0_14default_configENS1_38merge_sort_block_merge_config_selectorIlNS0_10empty_typeEEEZZNS1_27merge_sort_block_merge_implIS3_PlPS5_mZN2at6native12_GLOBAL__N_124unique_dim_cuda_templateImEESt5tupleIJNSA_6TensorESF_SF_EERKSF_lbbbEUlllE_EE10hipError_tT0_T1_T2_jT3_P12ihipStream_tbPNSt15iterator_traitsISL_E10value_typeEPNSR_ISM_E10value_typeEPSN_NS1_7vsmem_tEENKUlT_SL_SM_SN_E_clIS8_S8_S9_S9_EESK_S10_SL_SM_SN_EUlS10_E0_NS1_11comp_targetILNS1_3genE0ELNS1_11target_archE4294967295ELNS1_3gpuE0ELNS1_3repE0EEENS1_38merge_mergepath_config_static_selectorELNS0_4arch9wavefront6targetE1EEEvSM_.kd
    .uniform_work_group_size: 1
    .uses_dynamic_stack: false
    .vgpr_count:     40
    .vgpr_spill_count: 0
    .wavefront_size: 64
  - .agpr_count:     0
    .args:
      - .offset:         0
        .size:           88
        .value_kind:     by_value
    .group_segment_fixed_size: 0
    .kernarg_segment_align: 8
    .kernarg_segment_size: 88
    .language:       OpenCL C
    .language_version:
      - 2
      - 0
    .max_flat_workgroup_size: 512
    .name:           _ZN7rocprim17ROCPRIM_400000_NS6detail17trampoline_kernelINS0_14default_configENS1_38merge_sort_block_merge_config_selectorIlNS0_10empty_typeEEEZZNS1_27merge_sort_block_merge_implIS3_PlPS5_mZN2at6native12_GLOBAL__N_124unique_dim_cuda_templateImEESt5tupleIJNSA_6TensorESF_SF_EERKSF_lbbbEUlllE_EE10hipError_tT0_T1_T2_jT3_P12ihipStream_tbPNSt15iterator_traitsISL_E10value_typeEPNSR_ISM_E10value_typeEPSN_NS1_7vsmem_tEENKUlT_SL_SM_SN_E_clIS8_S8_S9_S9_EESK_S10_SL_SM_SN_EUlS10_E0_NS1_11comp_targetILNS1_3genE10ELNS1_11target_archE1201ELNS1_3gpuE5ELNS1_3repE0EEENS1_38merge_mergepath_config_static_selectorELNS0_4arch9wavefront6targetE1EEEvSM_
    .private_segment_fixed_size: 0
    .sgpr_count:     6
    .sgpr_spill_count: 0
    .symbol:         _ZN7rocprim17ROCPRIM_400000_NS6detail17trampoline_kernelINS0_14default_configENS1_38merge_sort_block_merge_config_selectorIlNS0_10empty_typeEEEZZNS1_27merge_sort_block_merge_implIS3_PlPS5_mZN2at6native12_GLOBAL__N_124unique_dim_cuda_templateImEESt5tupleIJNSA_6TensorESF_SF_EERKSF_lbbbEUlllE_EE10hipError_tT0_T1_T2_jT3_P12ihipStream_tbPNSt15iterator_traitsISL_E10value_typeEPNSR_ISM_E10value_typeEPSN_NS1_7vsmem_tEENKUlT_SL_SM_SN_E_clIS8_S8_S9_S9_EESK_S10_SL_SM_SN_EUlS10_E0_NS1_11comp_targetILNS1_3genE10ELNS1_11target_archE1201ELNS1_3gpuE5ELNS1_3repE0EEENS1_38merge_mergepath_config_static_selectorELNS0_4arch9wavefront6targetE1EEEvSM_.kd
    .uniform_work_group_size: 1
    .uses_dynamic_stack: false
    .vgpr_count:     0
    .vgpr_spill_count: 0
    .wavefront_size: 64
  - .agpr_count:     0
    .args:
      - .offset:         0
        .size:           88
        .value_kind:     by_value
    .group_segment_fixed_size: 0
    .kernarg_segment_align: 8
    .kernarg_segment_size: 88
    .language:       OpenCL C
    .language_version:
      - 2
      - 0
    .max_flat_workgroup_size: 128
    .name:           _ZN7rocprim17ROCPRIM_400000_NS6detail17trampoline_kernelINS0_14default_configENS1_38merge_sort_block_merge_config_selectorIlNS0_10empty_typeEEEZZNS1_27merge_sort_block_merge_implIS3_PlPS5_mZN2at6native12_GLOBAL__N_124unique_dim_cuda_templateImEESt5tupleIJNSA_6TensorESF_SF_EERKSF_lbbbEUlllE_EE10hipError_tT0_T1_T2_jT3_P12ihipStream_tbPNSt15iterator_traitsISL_E10value_typeEPNSR_ISM_E10value_typeEPSN_NS1_7vsmem_tEENKUlT_SL_SM_SN_E_clIS8_S8_S9_S9_EESK_S10_SL_SM_SN_EUlS10_E0_NS1_11comp_targetILNS1_3genE5ELNS1_11target_archE942ELNS1_3gpuE9ELNS1_3repE0EEENS1_38merge_mergepath_config_static_selectorELNS0_4arch9wavefront6targetE1EEEvSM_
    .private_segment_fixed_size: 0
    .sgpr_count:     6
    .sgpr_spill_count: 0
    .symbol:         _ZN7rocprim17ROCPRIM_400000_NS6detail17trampoline_kernelINS0_14default_configENS1_38merge_sort_block_merge_config_selectorIlNS0_10empty_typeEEEZZNS1_27merge_sort_block_merge_implIS3_PlPS5_mZN2at6native12_GLOBAL__N_124unique_dim_cuda_templateImEESt5tupleIJNSA_6TensorESF_SF_EERKSF_lbbbEUlllE_EE10hipError_tT0_T1_T2_jT3_P12ihipStream_tbPNSt15iterator_traitsISL_E10value_typeEPNSR_ISM_E10value_typeEPSN_NS1_7vsmem_tEENKUlT_SL_SM_SN_E_clIS8_S8_S9_S9_EESK_S10_SL_SM_SN_EUlS10_E0_NS1_11comp_targetILNS1_3genE5ELNS1_11target_archE942ELNS1_3gpuE9ELNS1_3repE0EEENS1_38merge_mergepath_config_static_selectorELNS0_4arch9wavefront6targetE1EEEvSM_.kd
    .uniform_work_group_size: 1
    .uses_dynamic_stack: false
    .vgpr_count:     0
    .vgpr_spill_count: 0
    .wavefront_size: 64
  - .agpr_count:     0
    .args:
      - .offset:         0
        .size:           88
        .value_kind:     by_value
    .group_segment_fixed_size: 0
    .kernarg_segment_align: 8
    .kernarg_segment_size: 88
    .language:       OpenCL C
    .language_version:
      - 2
      - 0
    .max_flat_workgroup_size: 256
    .name:           _ZN7rocprim17ROCPRIM_400000_NS6detail17trampoline_kernelINS0_14default_configENS1_38merge_sort_block_merge_config_selectorIlNS0_10empty_typeEEEZZNS1_27merge_sort_block_merge_implIS3_PlPS5_mZN2at6native12_GLOBAL__N_124unique_dim_cuda_templateImEESt5tupleIJNSA_6TensorESF_SF_EERKSF_lbbbEUlllE_EE10hipError_tT0_T1_T2_jT3_P12ihipStream_tbPNSt15iterator_traitsISL_E10value_typeEPNSR_ISM_E10value_typeEPSN_NS1_7vsmem_tEENKUlT_SL_SM_SN_E_clIS8_S8_S9_S9_EESK_S10_SL_SM_SN_EUlS10_E0_NS1_11comp_targetILNS1_3genE4ELNS1_11target_archE910ELNS1_3gpuE8ELNS1_3repE0EEENS1_38merge_mergepath_config_static_selectorELNS0_4arch9wavefront6targetE1EEEvSM_
    .private_segment_fixed_size: 0
    .sgpr_count:     6
    .sgpr_spill_count: 0
    .symbol:         _ZN7rocprim17ROCPRIM_400000_NS6detail17trampoline_kernelINS0_14default_configENS1_38merge_sort_block_merge_config_selectorIlNS0_10empty_typeEEEZZNS1_27merge_sort_block_merge_implIS3_PlPS5_mZN2at6native12_GLOBAL__N_124unique_dim_cuda_templateImEESt5tupleIJNSA_6TensorESF_SF_EERKSF_lbbbEUlllE_EE10hipError_tT0_T1_T2_jT3_P12ihipStream_tbPNSt15iterator_traitsISL_E10value_typeEPNSR_ISM_E10value_typeEPSN_NS1_7vsmem_tEENKUlT_SL_SM_SN_E_clIS8_S8_S9_S9_EESK_S10_SL_SM_SN_EUlS10_E0_NS1_11comp_targetILNS1_3genE4ELNS1_11target_archE910ELNS1_3gpuE8ELNS1_3repE0EEENS1_38merge_mergepath_config_static_selectorELNS0_4arch9wavefront6targetE1EEEvSM_.kd
    .uniform_work_group_size: 1
    .uses_dynamic_stack: false
    .vgpr_count:     0
    .vgpr_spill_count: 0
    .wavefront_size: 64
  - .agpr_count:     0
    .args:
      - .offset:         0
        .size:           88
        .value_kind:     by_value
    .group_segment_fixed_size: 0
    .kernarg_segment_align: 8
    .kernarg_segment_size: 88
    .language:       OpenCL C
    .language_version:
      - 2
      - 0
    .max_flat_workgroup_size: 128
    .name:           _ZN7rocprim17ROCPRIM_400000_NS6detail17trampoline_kernelINS0_14default_configENS1_38merge_sort_block_merge_config_selectorIlNS0_10empty_typeEEEZZNS1_27merge_sort_block_merge_implIS3_PlPS5_mZN2at6native12_GLOBAL__N_124unique_dim_cuda_templateImEESt5tupleIJNSA_6TensorESF_SF_EERKSF_lbbbEUlllE_EE10hipError_tT0_T1_T2_jT3_P12ihipStream_tbPNSt15iterator_traitsISL_E10value_typeEPNSR_ISM_E10value_typeEPSN_NS1_7vsmem_tEENKUlT_SL_SM_SN_E_clIS8_S8_S9_S9_EESK_S10_SL_SM_SN_EUlS10_E0_NS1_11comp_targetILNS1_3genE3ELNS1_11target_archE908ELNS1_3gpuE7ELNS1_3repE0EEENS1_38merge_mergepath_config_static_selectorELNS0_4arch9wavefront6targetE1EEEvSM_
    .private_segment_fixed_size: 0
    .sgpr_count:     6
    .sgpr_spill_count: 0
    .symbol:         _ZN7rocprim17ROCPRIM_400000_NS6detail17trampoline_kernelINS0_14default_configENS1_38merge_sort_block_merge_config_selectorIlNS0_10empty_typeEEEZZNS1_27merge_sort_block_merge_implIS3_PlPS5_mZN2at6native12_GLOBAL__N_124unique_dim_cuda_templateImEESt5tupleIJNSA_6TensorESF_SF_EERKSF_lbbbEUlllE_EE10hipError_tT0_T1_T2_jT3_P12ihipStream_tbPNSt15iterator_traitsISL_E10value_typeEPNSR_ISM_E10value_typeEPSN_NS1_7vsmem_tEENKUlT_SL_SM_SN_E_clIS8_S8_S9_S9_EESK_S10_SL_SM_SN_EUlS10_E0_NS1_11comp_targetILNS1_3genE3ELNS1_11target_archE908ELNS1_3gpuE7ELNS1_3repE0EEENS1_38merge_mergepath_config_static_selectorELNS0_4arch9wavefront6targetE1EEEvSM_.kd
    .uniform_work_group_size: 1
    .uses_dynamic_stack: false
    .vgpr_count:     0
    .vgpr_spill_count: 0
    .wavefront_size: 64
  - .agpr_count:     0
    .args:
      - .offset:         0
        .size:           88
        .value_kind:     by_value
    .group_segment_fixed_size: 0
    .kernarg_segment_align: 8
    .kernarg_segment_size: 88
    .language:       OpenCL C
    .language_version:
      - 2
      - 0
    .max_flat_workgroup_size: 256
    .name:           _ZN7rocprim17ROCPRIM_400000_NS6detail17trampoline_kernelINS0_14default_configENS1_38merge_sort_block_merge_config_selectorIlNS0_10empty_typeEEEZZNS1_27merge_sort_block_merge_implIS3_PlPS5_mZN2at6native12_GLOBAL__N_124unique_dim_cuda_templateImEESt5tupleIJNSA_6TensorESF_SF_EERKSF_lbbbEUlllE_EE10hipError_tT0_T1_T2_jT3_P12ihipStream_tbPNSt15iterator_traitsISL_E10value_typeEPNSR_ISM_E10value_typeEPSN_NS1_7vsmem_tEENKUlT_SL_SM_SN_E_clIS8_S8_S9_S9_EESK_S10_SL_SM_SN_EUlS10_E0_NS1_11comp_targetILNS1_3genE2ELNS1_11target_archE906ELNS1_3gpuE6ELNS1_3repE0EEENS1_38merge_mergepath_config_static_selectorELNS0_4arch9wavefront6targetE1EEEvSM_
    .private_segment_fixed_size: 0
    .sgpr_count:     6
    .sgpr_spill_count: 0
    .symbol:         _ZN7rocprim17ROCPRIM_400000_NS6detail17trampoline_kernelINS0_14default_configENS1_38merge_sort_block_merge_config_selectorIlNS0_10empty_typeEEEZZNS1_27merge_sort_block_merge_implIS3_PlPS5_mZN2at6native12_GLOBAL__N_124unique_dim_cuda_templateImEESt5tupleIJNSA_6TensorESF_SF_EERKSF_lbbbEUlllE_EE10hipError_tT0_T1_T2_jT3_P12ihipStream_tbPNSt15iterator_traitsISL_E10value_typeEPNSR_ISM_E10value_typeEPSN_NS1_7vsmem_tEENKUlT_SL_SM_SN_E_clIS8_S8_S9_S9_EESK_S10_SL_SM_SN_EUlS10_E0_NS1_11comp_targetILNS1_3genE2ELNS1_11target_archE906ELNS1_3gpuE6ELNS1_3repE0EEENS1_38merge_mergepath_config_static_selectorELNS0_4arch9wavefront6targetE1EEEvSM_.kd
    .uniform_work_group_size: 1
    .uses_dynamic_stack: false
    .vgpr_count:     0
    .vgpr_spill_count: 0
    .wavefront_size: 64
  - .agpr_count:     0
    .args:
      - .offset:         0
        .size:           88
        .value_kind:     by_value
    .group_segment_fixed_size: 0
    .kernarg_segment_align: 8
    .kernarg_segment_size: 88
    .language:       OpenCL C
    .language_version:
      - 2
      - 0
    .max_flat_workgroup_size: 512
    .name:           _ZN7rocprim17ROCPRIM_400000_NS6detail17trampoline_kernelINS0_14default_configENS1_38merge_sort_block_merge_config_selectorIlNS0_10empty_typeEEEZZNS1_27merge_sort_block_merge_implIS3_PlPS5_mZN2at6native12_GLOBAL__N_124unique_dim_cuda_templateImEESt5tupleIJNSA_6TensorESF_SF_EERKSF_lbbbEUlllE_EE10hipError_tT0_T1_T2_jT3_P12ihipStream_tbPNSt15iterator_traitsISL_E10value_typeEPNSR_ISM_E10value_typeEPSN_NS1_7vsmem_tEENKUlT_SL_SM_SN_E_clIS8_S8_S9_S9_EESK_S10_SL_SM_SN_EUlS10_E0_NS1_11comp_targetILNS1_3genE9ELNS1_11target_archE1100ELNS1_3gpuE3ELNS1_3repE0EEENS1_38merge_mergepath_config_static_selectorELNS0_4arch9wavefront6targetE1EEEvSM_
    .private_segment_fixed_size: 0
    .sgpr_count:     6
    .sgpr_spill_count: 0
    .symbol:         _ZN7rocprim17ROCPRIM_400000_NS6detail17trampoline_kernelINS0_14default_configENS1_38merge_sort_block_merge_config_selectorIlNS0_10empty_typeEEEZZNS1_27merge_sort_block_merge_implIS3_PlPS5_mZN2at6native12_GLOBAL__N_124unique_dim_cuda_templateImEESt5tupleIJNSA_6TensorESF_SF_EERKSF_lbbbEUlllE_EE10hipError_tT0_T1_T2_jT3_P12ihipStream_tbPNSt15iterator_traitsISL_E10value_typeEPNSR_ISM_E10value_typeEPSN_NS1_7vsmem_tEENKUlT_SL_SM_SN_E_clIS8_S8_S9_S9_EESK_S10_SL_SM_SN_EUlS10_E0_NS1_11comp_targetILNS1_3genE9ELNS1_11target_archE1100ELNS1_3gpuE3ELNS1_3repE0EEENS1_38merge_mergepath_config_static_selectorELNS0_4arch9wavefront6targetE1EEEvSM_.kd
    .uniform_work_group_size: 1
    .uses_dynamic_stack: false
    .vgpr_count:     0
    .vgpr_spill_count: 0
    .wavefront_size: 64
  - .agpr_count:     0
    .args:
      - .offset:         0
        .size:           88
        .value_kind:     by_value
    .group_segment_fixed_size: 0
    .kernarg_segment_align: 8
    .kernarg_segment_size: 88
    .language:       OpenCL C
    .language_version:
      - 2
      - 0
    .max_flat_workgroup_size: 1024
    .name:           _ZN7rocprim17ROCPRIM_400000_NS6detail17trampoline_kernelINS0_14default_configENS1_38merge_sort_block_merge_config_selectorIlNS0_10empty_typeEEEZZNS1_27merge_sort_block_merge_implIS3_PlPS5_mZN2at6native12_GLOBAL__N_124unique_dim_cuda_templateImEESt5tupleIJNSA_6TensorESF_SF_EERKSF_lbbbEUlllE_EE10hipError_tT0_T1_T2_jT3_P12ihipStream_tbPNSt15iterator_traitsISL_E10value_typeEPNSR_ISM_E10value_typeEPSN_NS1_7vsmem_tEENKUlT_SL_SM_SN_E_clIS8_S8_S9_S9_EESK_S10_SL_SM_SN_EUlS10_E0_NS1_11comp_targetILNS1_3genE8ELNS1_11target_archE1030ELNS1_3gpuE2ELNS1_3repE0EEENS1_38merge_mergepath_config_static_selectorELNS0_4arch9wavefront6targetE1EEEvSM_
    .private_segment_fixed_size: 0
    .sgpr_count:     6
    .sgpr_spill_count: 0
    .symbol:         _ZN7rocprim17ROCPRIM_400000_NS6detail17trampoline_kernelINS0_14default_configENS1_38merge_sort_block_merge_config_selectorIlNS0_10empty_typeEEEZZNS1_27merge_sort_block_merge_implIS3_PlPS5_mZN2at6native12_GLOBAL__N_124unique_dim_cuda_templateImEESt5tupleIJNSA_6TensorESF_SF_EERKSF_lbbbEUlllE_EE10hipError_tT0_T1_T2_jT3_P12ihipStream_tbPNSt15iterator_traitsISL_E10value_typeEPNSR_ISM_E10value_typeEPSN_NS1_7vsmem_tEENKUlT_SL_SM_SN_E_clIS8_S8_S9_S9_EESK_S10_SL_SM_SN_EUlS10_E0_NS1_11comp_targetILNS1_3genE8ELNS1_11target_archE1030ELNS1_3gpuE2ELNS1_3repE0EEENS1_38merge_mergepath_config_static_selectorELNS0_4arch9wavefront6targetE1EEEvSM_.kd
    .uniform_work_group_size: 1
    .uses_dynamic_stack: false
    .vgpr_count:     0
    .vgpr_spill_count: 0
    .wavefront_size: 64
  - .agpr_count:     0
    .args:
      - .offset:         0
        .size:           64
        .value_kind:     by_value
    .group_segment_fixed_size: 0
    .kernarg_segment_align: 8
    .kernarg_segment_size: 64
    .language:       OpenCL C
    .language_version:
      - 2
      - 0
    .max_flat_workgroup_size: 256
    .name:           _ZN7rocprim17ROCPRIM_400000_NS6detail17trampoline_kernelINS0_14default_configENS1_38merge_sort_block_merge_config_selectorIlNS0_10empty_typeEEEZZNS1_27merge_sort_block_merge_implIS3_PlPS5_mZN2at6native12_GLOBAL__N_124unique_dim_cuda_templateImEESt5tupleIJNSA_6TensorESF_SF_EERKSF_lbbbEUlllE_EE10hipError_tT0_T1_T2_jT3_P12ihipStream_tbPNSt15iterator_traitsISL_E10value_typeEPNSR_ISM_E10value_typeEPSN_NS1_7vsmem_tEENKUlT_SL_SM_SN_E_clIS8_S8_S9_S9_EESK_S10_SL_SM_SN_EUlS10_E1_NS1_11comp_targetILNS1_3genE0ELNS1_11target_archE4294967295ELNS1_3gpuE0ELNS1_3repE0EEENS1_36merge_oddeven_config_static_selectorELNS0_4arch9wavefront6targetE1EEEvSM_
    .private_segment_fixed_size: 0
    .sgpr_count:     52
    .sgpr_spill_count: 0
    .symbol:         _ZN7rocprim17ROCPRIM_400000_NS6detail17trampoline_kernelINS0_14default_configENS1_38merge_sort_block_merge_config_selectorIlNS0_10empty_typeEEEZZNS1_27merge_sort_block_merge_implIS3_PlPS5_mZN2at6native12_GLOBAL__N_124unique_dim_cuda_templateImEESt5tupleIJNSA_6TensorESF_SF_EERKSF_lbbbEUlllE_EE10hipError_tT0_T1_T2_jT3_P12ihipStream_tbPNSt15iterator_traitsISL_E10value_typeEPNSR_ISM_E10value_typeEPSN_NS1_7vsmem_tEENKUlT_SL_SM_SN_E_clIS8_S8_S9_S9_EESK_S10_SL_SM_SN_EUlS10_E1_NS1_11comp_targetILNS1_3genE0ELNS1_11target_archE4294967295ELNS1_3gpuE0ELNS1_3repE0EEENS1_36merge_oddeven_config_static_selectorELNS0_4arch9wavefront6targetE1EEEvSM_.kd
    .uniform_work_group_size: 1
    .uses_dynamic_stack: false
    .vgpr_count:     22
    .vgpr_spill_count: 0
    .wavefront_size: 64
  - .agpr_count:     0
    .args:
      - .offset:         0
        .size:           64
        .value_kind:     by_value
    .group_segment_fixed_size: 0
    .kernarg_segment_align: 8
    .kernarg_segment_size: 64
    .language:       OpenCL C
    .language_version:
      - 2
      - 0
    .max_flat_workgroup_size: 256
    .name:           _ZN7rocprim17ROCPRIM_400000_NS6detail17trampoline_kernelINS0_14default_configENS1_38merge_sort_block_merge_config_selectorIlNS0_10empty_typeEEEZZNS1_27merge_sort_block_merge_implIS3_PlPS5_mZN2at6native12_GLOBAL__N_124unique_dim_cuda_templateImEESt5tupleIJNSA_6TensorESF_SF_EERKSF_lbbbEUlllE_EE10hipError_tT0_T1_T2_jT3_P12ihipStream_tbPNSt15iterator_traitsISL_E10value_typeEPNSR_ISM_E10value_typeEPSN_NS1_7vsmem_tEENKUlT_SL_SM_SN_E_clIS8_S8_S9_S9_EESK_S10_SL_SM_SN_EUlS10_E1_NS1_11comp_targetILNS1_3genE10ELNS1_11target_archE1201ELNS1_3gpuE5ELNS1_3repE0EEENS1_36merge_oddeven_config_static_selectorELNS0_4arch9wavefront6targetE1EEEvSM_
    .private_segment_fixed_size: 0
    .sgpr_count:     6
    .sgpr_spill_count: 0
    .symbol:         _ZN7rocprim17ROCPRIM_400000_NS6detail17trampoline_kernelINS0_14default_configENS1_38merge_sort_block_merge_config_selectorIlNS0_10empty_typeEEEZZNS1_27merge_sort_block_merge_implIS3_PlPS5_mZN2at6native12_GLOBAL__N_124unique_dim_cuda_templateImEESt5tupleIJNSA_6TensorESF_SF_EERKSF_lbbbEUlllE_EE10hipError_tT0_T1_T2_jT3_P12ihipStream_tbPNSt15iterator_traitsISL_E10value_typeEPNSR_ISM_E10value_typeEPSN_NS1_7vsmem_tEENKUlT_SL_SM_SN_E_clIS8_S8_S9_S9_EESK_S10_SL_SM_SN_EUlS10_E1_NS1_11comp_targetILNS1_3genE10ELNS1_11target_archE1201ELNS1_3gpuE5ELNS1_3repE0EEENS1_36merge_oddeven_config_static_selectorELNS0_4arch9wavefront6targetE1EEEvSM_.kd
    .uniform_work_group_size: 1
    .uses_dynamic_stack: false
    .vgpr_count:     0
    .vgpr_spill_count: 0
    .wavefront_size: 64
  - .agpr_count:     0
    .args:
      - .offset:         0
        .size:           64
        .value_kind:     by_value
    .group_segment_fixed_size: 0
    .kernarg_segment_align: 8
    .kernarg_segment_size: 64
    .language:       OpenCL C
    .language_version:
      - 2
      - 0
    .max_flat_workgroup_size: 256
    .name:           _ZN7rocprim17ROCPRIM_400000_NS6detail17trampoline_kernelINS0_14default_configENS1_38merge_sort_block_merge_config_selectorIlNS0_10empty_typeEEEZZNS1_27merge_sort_block_merge_implIS3_PlPS5_mZN2at6native12_GLOBAL__N_124unique_dim_cuda_templateImEESt5tupleIJNSA_6TensorESF_SF_EERKSF_lbbbEUlllE_EE10hipError_tT0_T1_T2_jT3_P12ihipStream_tbPNSt15iterator_traitsISL_E10value_typeEPNSR_ISM_E10value_typeEPSN_NS1_7vsmem_tEENKUlT_SL_SM_SN_E_clIS8_S8_S9_S9_EESK_S10_SL_SM_SN_EUlS10_E1_NS1_11comp_targetILNS1_3genE5ELNS1_11target_archE942ELNS1_3gpuE9ELNS1_3repE0EEENS1_36merge_oddeven_config_static_selectorELNS0_4arch9wavefront6targetE1EEEvSM_
    .private_segment_fixed_size: 0
    .sgpr_count:     6
    .sgpr_spill_count: 0
    .symbol:         _ZN7rocprim17ROCPRIM_400000_NS6detail17trampoline_kernelINS0_14default_configENS1_38merge_sort_block_merge_config_selectorIlNS0_10empty_typeEEEZZNS1_27merge_sort_block_merge_implIS3_PlPS5_mZN2at6native12_GLOBAL__N_124unique_dim_cuda_templateImEESt5tupleIJNSA_6TensorESF_SF_EERKSF_lbbbEUlllE_EE10hipError_tT0_T1_T2_jT3_P12ihipStream_tbPNSt15iterator_traitsISL_E10value_typeEPNSR_ISM_E10value_typeEPSN_NS1_7vsmem_tEENKUlT_SL_SM_SN_E_clIS8_S8_S9_S9_EESK_S10_SL_SM_SN_EUlS10_E1_NS1_11comp_targetILNS1_3genE5ELNS1_11target_archE942ELNS1_3gpuE9ELNS1_3repE0EEENS1_36merge_oddeven_config_static_selectorELNS0_4arch9wavefront6targetE1EEEvSM_.kd
    .uniform_work_group_size: 1
    .uses_dynamic_stack: false
    .vgpr_count:     0
    .vgpr_spill_count: 0
    .wavefront_size: 64
  - .agpr_count:     0
    .args:
      - .offset:         0
        .size:           64
        .value_kind:     by_value
    .group_segment_fixed_size: 0
    .kernarg_segment_align: 8
    .kernarg_segment_size: 64
    .language:       OpenCL C
    .language_version:
      - 2
      - 0
    .max_flat_workgroup_size: 256
    .name:           _ZN7rocprim17ROCPRIM_400000_NS6detail17trampoline_kernelINS0_14default_configENS1_38merge_sort_block_merge_config_selectorIlNS0_10empty_typeEEEZZNS1_27merge_sort_block_merge_implIS3_PlPS5_mZN2at6native12_GLOBAL__N_124unique_dim_cuda_templateImEESt5tupleIJNSA_6TensorESF_SF_EERKSF_lbbbEUlllE_EE10hipError_tT0_T1_T2_jT3_P12ihipStream_tbPNSt15iterator_traitsISL_E10value_typeEPNSR_ISM_E10value_typeEPSN_NS1_7vsmem_tEENKUlT_SL_SM_SN_E_clIS8_S8_S9_S9_EESK_S10_SL_SM_SN_EUlS10_E1_NS1_11comp_targetILNS1_3genE4ELNS1_11target_archE910ELNS1_3gpuE8ELNS1_3repE0EEENS1_36merge_oddeven_config_static_selectorELNS0_4arch9wavefront6targetE1EEEvSM_
    .private_segment_fixed_size: 0
    .sgpr_count:     6
    .sgpr_spill_count: 0
    .symbol:         _ZN7rocprim17ROCPRIM_400000_NS6detail17trampoline_kernelINS0_14default_configENS1_38merge_sort_block_merge_config_selectorIlNS0_10empty_typeEEEZZNS1_27merge_sort_block_merge_implIS3_PlPS5_mZN2at6native12_GLOBAL__N_124unique_dim_cuda_templateImEESt5tupleIJNSA_6TensorESF_SF_EERKSF_lbbbEUlllE_EE10hipError_tT0_T1_T2_jT3_P12ihipStream_tbPNSt15iterator_traitsISL_E10value_typeEPNSR_ISM_E10value_typeEPSN_NS1_7vsmem_tEENKUlT_SL_SM_SN_E_clIS8_S8_S9_S9_EESK_S10_SL_SM_SN_EUlS10_E1_NS1_11comp_targetILNS1_3genE4ELNS1_11target_archE910ELNS1_3gpuE8ELNS1_3repE0EEENS1_36merge_oddeven_config_static_selectorELNS0_4arch9wavefront6targetE1EEEvSM_.kd
    .uniform_work_group_size: 1
    .uses_dynamic_stack: false
    .vgpr_count:     0
    .vgpr_spill_count: 0
    .wavefront_size: 64
  - .agpr_count:     0
    .args:
      - .offset:         0
        .size:           64
        .value_kind:     by_value
    .group_segment_fixed_size: 0
    .kernarg_segment_align: 8
    .kernarg_segment_size: 64
    .language:       OpenCL C
    .language_version:
      - 2
      - 0
    .max_flat_workgroup_size: 256
    .name:           _ZN7rocprim17ROCPRIM_400000_NS6detail17trampoline_kernelINS0_14default_configENS1_38merge_sort_block_merge_config_selectorIlNS0_10empty_typeEEEZZNS1_27merge_sort_block_merge_implIS3_PlPS5_mZN2at6native12_GLOBAL__N_124unique_dim_cuda_templateImEESt5tupleIJNSA_6TensorESF_SF_EERKSF_lbbbEUlllE_EE10hipError_tT0_T1_T2_jT3_P12ihipStream_tbPNSt15iterator_traitsISL_E10value_typeEPNSR_ISM_E10value_typeEPSN_NS1_7vsmem_tEENKUlT_SL_SM_SN_E_clIS8_S8_S9_S9_EESK_S10_SL_SM_SN_EUlS10_E1_NS1_11comp_targetILNS1_3genE3ELNS1_11target_archE908ELNS1_3gpuE7ELNS1_3repE0EEENS1_36merge_oddeven_config_static_selectorELNS0_4arch9wavefront6targetE1EEEvSM_
    .private_segment_fixed_size: 0
    .sgpr_count:     6
    .sgpr_spill_count: 0
    .symbol:         _ZN7rocprim17ROCPRIM_400000_NS6detail17trampoline_kernelINS0_14default_configENS1_38merge_sort_block_merge_config_selectorIlNS0_10empty_typeEEEZZNS1_27merge_sort_block_merge_implIS3_PlPS5_mZN2at6native12_GLOBAL__N_124unique_dim_cuda_templateImEESt5tupleIJNSA_6TensorESF_SF_EERKSF_lbbbEUlllE_EE10hipError_tT0_T1_T2_jT3_P12ihipStream_tbPNSt15iterator_traitsISL_E10value_typeEPNSR_ISM_E10value_typeEPSN_NS1_7vsmem_tEENKUlT_SL_SM_SN_E_clIS8_S8_S9_S9_EESK_S10_SL_SM_SN_EUlS10_E1_NS1_11comp_targetILNS1_3genE3ELNS1_11target_archE908ELNS1_3gpuE7ELNS1_3repE0EEENS1_36merge_oddeven_config_static_selectorELNS0_4arch9wavefront6targetE1EEEvSM_.kd
    .uniform_work_group_size: 1
    .uses_dynamic_stack: false
    .vgpr_count:     0
    .vgpr_spill_count: 0
    .wavefront_size: 64
  - .agpr_count:     0
    .args:
      - .offset:         0
        .size:           64
        .value_kind:     by_value
    .group_segment_fixed_size: 0
    .kernarg_segment_align: 8
    .kernarg_segment_size: 64
    .language:       OpenCL C
    .language_version:
      - 2
      - 0
    .max_flat_workgroup_size: 256
    .name:           _ZN7rocprim17ROCPRIM_400000_NS6detail17trampoline_kernelINS0_14default_configENS1_38merge_sort_block_merge_config_selectorIlNS0_10empty_typeEEEZZNS1_27merge_sort_block_merge_implIS3_PlPS5_mZN2at6native12_GLOBAL__N_124unique_dim_cuda_templateImEESt5tupleIJNSA_6TensorESF_SF_EERKSF_lbbbEUlllE_EE10hipError_tT0_T1_T2_jT3_P12ihipStream_tbPNSt15iterator_traitsISL_E10value_typeEPNSR_ISM_E10value_typeEPSN_NS1_7vsmem_tEENKUlT_SL_SM_SN_E_clIS8_S8_S9_S9_EESK_S10_SL_SM_SN_EUlS10_E1_NS1_11comp_targetILNS1_3genE2ELNS1_11target_archE906ELNS1_3gpuE6ELNS1_3repE0EEENS1_36merge_oddeven_config_static_selectorELNS0_4arch9wavefront6targetE1EEEvSM_
    .private_segment_fixed_size: 0
    .sgpr_count:     6
    .sgpr_spill_count: 0
    .symbol:         _ZN7rocprim17ROCPRIM_400000_NS6detail17trampoline_kernelINS0_14default_configENS1_38merge_sort_block_merge_config_selectorIlNS0_10empty_typeEEEZZNS1_27merge_sort_block_merge_implIS3_PlPS5_mZN2at6native12_GLOBAL__N_124unique_dim_cuda_templateImEESt5tupleIJNSA_6TensorESF_SF_EERKSF_lbbbEUlllE_EE10hipError_tT0_T1_T2_jT3_P12ihipStream_tbPNSt15iterator_traitsISL_E10value_typeEPNSR_ISM_E10value_typeEPSN_NS1_7vsmem_tEENKUlT_SL_SM_SN_E_clIS8_S8_S9_S9_EESK_S10_SL_SM_SN_EUlS10_E1_NS1_11comp_targetILNS1_3genE2ELNS1_11target_archE906ELNS1_3gpuE6ELNS1_3repE0EEENS1_36merge_oddeven_config_static_selectorELNS0_4arch9wavefront6targetE1EEEvSM_.kd
    .uniform_work_group_size: 1
    .uses_dynamic_stack: false
    .vgpr_count:     0
    .vgpr_spill_count: 0
    .wavefront_size: 64
  - .agpr_count:     0
    .args:
      - .offset:         0
        .size:           64
        .value_kind:     by_value
    .group_segment_fixed_size: 0
    .kernarg_segment_align: 8
    .kernarg_segment_size: 64
    .language:       OpenCL C
    .language_version:
      - 2
      - 0
    .max_flat_workgroup_size: 256
    .name:           _ZN7rocprim17ROCPRIM_400000_NS6detail17trampoline_kernelINS0_14default_configENS1_38merge_sort_block_merge_config_selectorIlNS0_10empty_typeEEEZZNS1_27merge_sort_block_merge_implIS3_PlPS5_mZN2at6native12_GLOBAL__N_124unique_dim_cuda_templateImEESt5tupleIJNSA_6TensorESF_SF_EERKSF_lbbbEUlllE_EE10hipError_tT0_T1_T2_jT3_P12ihipStream_tbPNSt15iterator_traitsISL_E10value_typeEPNSR_ISM_E10value_typeEPSN_NS1_7vsmem_tEENKUlT_SL_SM_SN_E_clIS8_S8_S9_S9_EESK_S10_SL_SM_SN_EUlS10_E1_NS1_11comp_targetILNS1_3genE9ELNS1_11target_archE1100ELNS1_3gpuE3ELNS1_3repE0EEENS1_36merge_oddeven_config_static_selectorELNS0_4arch9wavefront6targetE1EEEvSM_
    .private_segment_fixed_size: 0
    .sgpr_count:     6
    .sgpr_spill_count: 0
    .symbol:         _ZN7rocprim17ROCPRIM_400000_NS6detail17trampoline_kernelINS0_14default_configENS1_38merge_sort_block_merge_config_selectorIlNS0_10empty_typeEEEZZNS1_27merge_sort_block_merge_implIS3_PlPS5_mZN2at6native12_GLOBAL__N_124unique_dim_cuda_templateImEESt5tupleIJNSA_6TensorESF_SF_EERKSF_lbbbEUlllE_EE10hipError_tT0_T1_T2_jT3_P12ihipStream_tbPNSt15iterator_traitsISL_E10value_typeEPNSR_ISM_E10value_typeEPSN_NS1_7vsmem_tEENKUlT_SL_SM_SN_E_clIS8_S8_S9_S9_EESK_S10_SL_SM_SN_EUlS10_E1_NS1_11comp_targetILNS1_3genE9ELNS1_11target_archE1100ELNS1_3gpuE3ELNS1_3repE0EEENS1_36merge_oddeven_config_static_selectorELNS0_4arch9wavefront6targetE1EEEvSM_.kd
    .uniform_work_group_size: 1
    .uses_dynamic_stack: false
    .vgpr_count:     0
    .vgpr_spill_count: 0
    .wavefront_size: 64
  - .agpr_count:     0
    .args:
      - .offset:         0
        .size:           64
        .value_kind:     by_value
    .group_segment_fixed_size: 0
    .kernarg_segment_align: 8
    .kernarg_segment_size: 64
    .language:       OpenCL C
    .language_version:
      - 2
      - 0
    .max_flat_workgroup_size: 256
    .name:           _ZN7rocprim17ROCPRIM_400000_NS6detail17trampoline_kernelINS0_14default_configENS1_38merge_sort_block_merge_config_selectorIlNS0_10empty_typeEEEZZNS1_27merge_sort_block_merge_implIS3_PlPS5_mZN2at6native12_GLOBAL__N_124unique_dim_cuda_templateImEESt5tupleIJNSA_6TensorESF_SF_EERKSF_lbbbEUlllE_EE10hipError_tT0_T1_T2_jT3_P12ihipStream_tbPNSt15iterator_traitsISL_E10value_typeEPNSR_ISM_E10value_typeEPSN_NS1_7vsmem_tEENKUlT_SL_SM_SN_E_clIS8_S8_S9_S9_EESK_S10_SL_SM_SN_EUlS10_E1_NS1_11comp_targetILNS1_3genE8ELNS1_11target_archE1030ELNS1_3gpuE2ELNS1_3repE0EEENS1_36merge_oddeven_config_static_selectorELNS0_4arch9wavefront6targetE1EEEvSM_
    .private_segment_fixed_size: 0
    .sgpr_count:     6
    .sgpr_spill_count: 0
    .symbol:         _ZN7rocprim17ROCPRIM_400000_NS6detail17trampoline_kernelINS0_14default_configENS1_38merge_sort_block_merge_config_selectorIlNS0_10empty_typeEEEZZNS1_27merge_sort_block_merge_implIS3_PlPS5_mZN2at6native12_GLOBAL__N_124unique_dim_cuda_templateImEESt5tupleIJNSA_6TensorESF_SF_EERKSF_lbbbEUlllE_EE10hipError_tT0_T1_T2_jT3_P12ihipStream_tbPNSt15iterator_traitsISL_E10value_typeEPNSR_ISM_E10value_typeEPSN_NS1_7vsmem_tEENKUlT_SL_SM_SN_E_clIS8_S8_S9_S9_EESK_S10_SL_SM_SN_EUlS10_E1_NS1_11comp_targetILNS1_3genE8ELNS1_11target_archE1030ELNS1_3gpuE2ELNS1_3repE0EEENS1_36merge_oddeven_config_static_selectorELNS0_4arch9wavefront6targetE1EEEvSM_.kd
    .uniform_work_group_size: 1
    .uses_dynamic_stack: false
    .vgpr_count:     0
    .vgpr_spill_count: 0
    .wavefront_size: 64
  - .agpr_count:     0
    .args:
      - .offset:         0
        .size:           64
        .value_kind:     by_value
    .group_segment_fixed_size: 2048
    .kernarg_segment_align: 8
    .kernarg_segment_size: 64
    .language:       OpenCL C
    .language_version:
      - 2
      - 0
    .max_flat_workgroup_size: 128
    .name:           _ZN7rocprim17ROCPRIM_400000_NS6detail17trampoline_kernelINS0_14default_configENS1_35adjacent_difference_config_selectorILb0ElEEZNS1_24adjacent_difference_implIS3_Lb0ELb0EPlS7_ZN2at6native12_GLOBAL__N_124unique_dim_cuda_templateImEESt5tupleIJNS8_6TensorESD_SD_EERKSD_lbbbEUlllE1_EE10hipError_tPvRmT2_T3_mT4_P12ihipStream_tbEUlT_E_NS1_11comp_targetILNS1_3genE0ELNS1_11target_archE4294967295ELNS1_3gpuE0ELNS1_3repE0EEENS1_30default_config_static_selectorELNS0_4arch9wavefront6targetE1EEEvT1_
    .private_segment_fixed_size: 0
    .sgpr_count:     38
    .sgpr_spill_count: 0
    .symbol:         _ZN7rocprim17ROCPRIM_400000_NS6detail17trampoline_kernelINS0_14default_configENS1_35adjacent_difference_config_selectorILb0ElEEZNS1_24adjacent_difference_implIS3_Lb0ELb0EPlS7_ZN2at6native12_GLOBAL__N_124unique_dim_cuda_templateImEESt5tupleIJNS8_6TensorESD_SD_EERKSD_lbbbEUlllE1_EE10hipError_tPvRmT2_T3_mT4_P12ihipStream_tbEUlT_E_NS1_11comp_targetILNS1_3genE0ELNS1_11target_archE4294967295ELNS1_3gpuE0ELNS1_3repE0EEENS1_30default_config_static_selectorELNS0_4arch9wavefront6targetE1EEEvT1_.kd
    .uniform_work_group_size: 1
    .uses_dynamic_stack: false
    .vgpr_count:     14
    .vgpr_spill_count: 0
    .wavefront_size: 64
  - .agpr_count:     0
    .args:
      - .offset:         0
        .size:           64
        .value_kind:     by_value
    .group_segment_fixed_size: 0
    .kernarg_segment_align: 8
    .kernarg_segment_size: 64
    .language:       OpenCL C
    .language_version:
      - 2
      - 0
    .max_flat_workgroup_size: 128
    .name:           _ZN7rocprim17ROCPRIM_400000_NS6detail17trampoline_kernelINS0_14default_configENS1_35adjacent_difference_config_selectorILb0ElEEZNS1_24adjacent_difference_implIS3_Lb0ELb0EPlS7_ZN2at6native12_GLOBAL__N_124unique_dim_cuda_templateImEESt5tupleIJNS8_6TensorESD_SD_EERKSD_lbbbEUlllE1_EE10hipError_tPvRmT2_T3_mT4_P12ihipStream_tbEUlT_E_NS1_11comp_targetILNS1_3genE10ELNS1_11target_archE1201ELNS1_3gpuE5ELNS1_3repE0EEENS1_30default_config_static_selectorELNS0_4arch9wavefront6targetE1EEEvT1_
    .private_segment_fixed_size: 0
    .sgpr_count:     6
    .sgpr_spill_count: 0
    .symbol:         _ZN7rocprim17ROCPRIM_400000_NS6detail17trampoline_kernelINS0_14default_configENS1_35adjacent_difference_config_selectorILb0ElEEZNS1_24adjacent_difference_implIS3_Lb0ELb0EPlS7_ZN2at6native12_GLOBAL__N_124unique_dim_cuda_templateImEESt5tupleIJNS8_6TensorESD_SD_EERKSD_lbbbEUlllE1_EE10hipError_tPvRmT2_T3_mT4_P12ihipStream_tbEUlT_E_NS1_11comp_targetILNS1_3genE10ELNS1_11target_archE1201ELNS1_3gpuE5ELNS1_3repE0EEENS1_30default_config_static_selectorELNS0_4arch9wavefront6targetE1EEEvT1_.kd
    .uniform_work_group_size: 1
    .uses_dynamic_stack: false
    .vgpr_count:     0
    .vgpr_spill_count: 0
    .wavefront_size: 64
  - .agpr_count:     0
    .args:
      - .offset:         0
        .size:           64
        .value_kind:     by_value
    .group_segment_fixed_size: 0
    .kernarg_segment_align: 8
    .kernarg_segment_size: 64
    .language:       OpenCL C
    .language_version:
      - 2
      - 0
    .max_flat_workgroup_size: 64
    .name:           _ZN7rocprim17ROCPRIM_400000_NS6detail17trampoline_kernelINS0_14default_configENS1_35adjacent_difference_config_selectorILb0ElEEZNS1_24adjacent_difference_implIS3_Lb0ELb0EPlS7_ZN2at6native12_GLOBAL__N_124unique_dim_cuda_templateImEESt5tupleIJNS8_6TensorESD_SD_EERKSD_lbbbEUlllE1_EE10hipError_tPvRmT2_T3_mT4_P12ihipStream_tbEUlT_E_NS1_11comp_targetILNS1_3genE5ELNS1_11target_archE942ELNS1_3gpuE9ELNS1_3repE0EEENS1_30default_config_static_selectorELNS0_4arch9wavefront6targetE1EEEvT1_
    .private_segment_fixed_size: 0
    .sgpr_count:     6
    .sgpr_spill_count: 0
    .symbol:         _ZN7rocprim17ROCPRIM_400000_NS6detail17trampoline_kernelINS0_14default_configENS1_35adjacent_difference_config_selectorILb0ElEEZNS1_24adjacent_difference_implIS3_Lb0ELb0EPlS7_ZN2at6native12_GLOBAL__N_124unique_dim_cuda_templateImEESt5tupleIJNS8_6TensorESD_SD_EERKSD_lbbbEUlllE1_EE10hipError_tPvRmT2_T3_mT4_P12ihipStream_tbEUlT_E_NS1_11comp_targetILNS1_3genE5ELNS1_11target_archE942ELNS1_3gpuE9ELNS1_3repE0EEENS1_30default_config_static_selectorELNS0_4arch9wavefront6targetE1EEEvT1_.kd
    .uniform_work_group_size: 1
    .uses_dynamic_stack: false
    .vgpr_count:     0
    .vgpr_spill_count: 0
    .wavefront_size: 64
  - .agpr_count:     0
    .args:
      - .offset:         0
        .size:           64
        .value_kind:     by_value
    .group_segment_fixed_size: 0
    .kernarg_segment_align: 8
    .kernarg_segment_size: 64
    .language:       OpenCL C
    .language_version:
      - 2
      - 0
    .max_flat_workgroup_size: 256
    .name:           _ZN7rocprim17ROCPRIM_400000_NS6detail17trampoline_kernelINS0_14default_configENS1_35adjacent_difference_config_selectorILb0ElEEZNS1_24adjacent_difference_implIS3_Lb0ELb0EPlS7_ZN2at6native12_GLOBAL__N_124unique_dim_cuda_templateImEESt5tupleIJNS8_6TensorESD_SD_EERKSD_lbbbEUlllE1_EE10hipError_tPvRmT2_T3_mT4_P12ihipStream_tbEUlT_E_NS1_11comp_targetILNS1_3genE4ELNS1_11target_archE910ELNS1_3gpuE8ELNS1_3repE0EEENS1_30default_config_static_selectorELNS0_4arch9wavefront6targetE1EEEvT1_
    .private_segment_fixed_size: 0
    .sgpr_count:     6
    .sgpr_spill_count: 0
    .symbol:         _ZN7rocprim17ROCPRIM_400000_NS6detail17trampoline_kernelINS0_14default_configENS1_35adjacent_difference_config_selectorILb0ElEEZNS1_24adjacent_difference_implIS3_Lb0ELb0EPlS7_ZN2at6native12_GLOBAL__N_124unique_dim_cuda_templateImEESt5tupleIJNS8_6TensorESD_SD_EERKSD_lbbbEUlllE1_EE10hipError_tPvRmT2_T3_mT4_P12ihipStream_tbEUlT_E_NS1_11comp_targetILNS1_3genE4ELNS1_11target_archE910ELNS1_3gpuE8ELNS1_3repE0EEENS1_30default_config_static_selectorELNS0_4arch9wavefront6targetE1EEEvT1_.kd
    .uniform_work_group_size: 1
    .uses_dynamic_stack: false
    .vgpr_count:     0
    .vgpr_spill_count: 0
    .wavefront_size: 64
  - .agpr_count:     0
    .args:
      - .offset:         0
        .size:           64
        .value_kind:     by_value
    .group_segment_fixed_size: 0
    .kernarg_segment_align: 8
    .kernarg_segment_size: 64
    .language:       OpenCL C
    .language_version:
      - 2
      - 0
    .max_flat_workgroup_size: 128
    .name:           _ZN7rocprim17ROCPRIM_400000_NS6detail17trampoline_kernelINS0_14default_configENS1_35adjacent_difference_config_selectorILb0ElEEZNS1_24adjacent_difference_implIS3_Lb0ELb0EPlS7_ZN2at6native12_GLOBAL__N_124unique_dim_cuda_templateImEESt5tupleIJNS8_6TensorESD_SD_EERKSD_lbbbEUlllE1_EE10hipError_tPvRmT2_T3_mT4_P12ihipStream_tbEUlT_E_NS1_11comp_targetILNS1_3genE3ELNS1_11target_archE908ELNS1_3gpuE7ELNS1_3repE0EEENS1_30default_config_static_selectorELNS0_4arch9wavefront6targetE1EEEvT1_
    .private_segment_fixed_size: 0
    .sgpr_count:     6
    .sgpr_spill_count: 0
    .symbol:         _ZN7rocprim17ROCPRIM_400000_NS6detail17trampoline_kernelINS0_14default_configENS1_35adjacent_difference_config_selectorILb0ElEEZNS1_24adjacent_difference_implIS3_Lb0ELb0EPlS7_ZN2at6native12_GLOBAL__N_124unique_dim_cuda_templateImEESt5tupleIJNS8_6TensorESD_SD_EERKSD_lbbbEUlllE1_EE10hipError_tPvRmT2_T3_mT4_P12ihipStream_tbEUlT_E_NS1_11comp_targetILNS1_3genE3ELNS1_11target_archE908ELNS1_3gpuE7ELNS1_3repE0EEENS1_30default_config_static_selectorELNS0_4arch9wavefront6targetE1EEEvT1_.kd
    .uniform_work_group_size: 1
    .uses_dynamic_stack: false
    .vgpr_count:     0
    .vgpr_spill_count: 0
    .wavefront_size: 64
  - .agpr_count:     0
    .args:
      - .offset:         0
        .size:           64
        .value_kind:     by_value
    .group_segment_fixed_size: 0
    .kernarg_segment_align: 8
    .kernarg_segment_size: 64
    .language:       OpenCL C
    .language_version:
      - 2
      - 0
    .max_flat_workgroup_size: 128
    .name:           _ZN7rocprim17ROCPRIM_400000_NS6detail17trampoline_kernelINS0_14default_configENS1_35adjacent_difference_config_selectorILb0ElEEZNS1_24adjacent_difference_implIS3_Lb0ELb0EPlS7_ZN2at6native12_GLOBAL__N_124unique_dim_cuda_templateImEESt5tupleIJNS8_6TensorESD_SD_EERKSD_lbbbEUlllE1_EE10hipError_tPvRmT2_T3_mT4_P12ihipStream_tbEUlT_E_NS1_11comp_targetILNS1_3genE2ELNS1_11target_archE906ELNS1_3gpuE6ELNS1_3repE0EEENS1_30default_config_static_selectorELNS0_4arch9wavefront6targetE1EEEvT1_
    .private_segment_fixed_size: 0
    .sgpr_count:     6
    .sgpr_spill_count: 0
    .symbol:         _ZN7rocprim17ROCPRIM_400000_NS6detail17trampoline_kernelINS0_14default_configENS1_35adjacent_difference_config_selectorILb0ElEEZNS1_24adjacent_difference_implIS3_Lb0ELb0EPlS7_ZN2at6native12_GLOBAL__N_124unique_dim_cuda_templateImEESt5tupleIJNS8_6TensorESD_SD_EERKSD_lbbbEUlllE1_EE10hipError_tPvRmT2_T3_mT4_P12ihipStream_tbEUlT_E_NS1_11comp_targetILNS1_3genE2ELNS1_11target_archE906ELNS1_3gpuE6ELNS1_3repE0EEENS1_30default_config_static_selectorELNS0_4arch9wavefront6targetE1EEEvT1_.kd
    .uniform_work_group_size: 1
    .uses_dynamic_stack: false
    .vgpr_count:     0
    .vgpr_spill_count: 0
    .wavefront_size: 64
  - .agpr_count:     0
    .args:
      - .offset:         0
        .size:           64
        .value_kind:     by_value
    .group_segment_fixed_size: 0
    .kernarg_segment_align: 8
    .kernarg_segment_size: 64
    .language:       OpenCL C
    .language_version:
      - 2
      - 0
    .max_flat_workgroup_size: 512
    .name:           _ZN7rocprim17ROCPRIM_400000_NS6detail17trampoline_kernelINS0_14default_configENS1_35adjacent_difference_config_selectorILb0ElEEZNS1_24adjacent_difference_implIS3_Lb0ELb0EPlS7_ZN2at6native12_GLOBAL__N_124unique_dim_cuda_templateImEESt5tupleIJNS8_6TensorESD_SD_EERKSD_lbbbEUlllE1_EE10hipError_tPvRmT2_T3_mT4_P12ihipStream_tbEUlT_E_NS1_11comp_targetILNS1_3genE9ELNS1_11target_archE1100ELNS1_3gpuE3ELNS1_3repE0EEENS1_30default_config_static_selectorELNS0_4arch9wavefront6targetE1EEEvT1_
    .private_segment_fixed_size: 0
    .sgpr_count:     6
    .sgpr_spill_count: 0
    .symbol:         _ZN7rocprim17ROCPRIM_400000_NS6detail17trampoline_kernelINS0_14default_configENS1_35adjacent_difference_config_selectorILb0ElEEZNS1_24adjacent_difference_implIS3_Lb0ELb0EPlS7_ZN2at6native12_GLOBAL__N_124unique_dim_cuda_templateImEESt5tupleIJNS8_6TensorESD_SD_EERKSD_lbbbEUlllE1_EE10hipError_tPvRmT2_T3_mT4_P12ihipStream_tbEUlT_E_NS1_11comp_targetILNS1_3genE9ELNS1_11target_archE1100ELNS1_3gpuE3ELNS1_3repE0EEENS1_30default_config_static_selectorELNS0_4arch9wavefront6targetE1EEEvT1_.kd
    .uniform_work_group_size: 1
    .uses_dynamic_stack: false
    .vgpr_count:     0
    .vgpr_spill_count: 0
    .wavefront_size: 64
  - .agpr_count:     0
    .args:
      - .offset:         0
        .size:           64
        .value_kind:     by_value
    .group_segment_fixed_size: 0
    .kernarg_segment_align: 8
    .kernarg_segment_size: 64
    .language:       OpenCL C
    .language_version:
      - 2
      - 0
    .max_flat_workgroup_size: 1024
    .name:           _ZN7rocprim17ROCPRIM_400000_NS6detail17trampoline_kernelINS0_14default_configENS1_35adjacent_difference_config_selectorILb0ElEEZNS1_24adjacent_difference_implIS3_Lb0ELb0EPlS7_ZN2at6native12_GLOBAL__N_124unique_dim_cuda_templateImEESt5tupleIJNS8_6TensorESD_SD_EERKSD_lbbbEUlllE1_EE10hipError_tPvRmT2_T3_mT4_P12ihipStream_tbEUlT_E_NS1_11comp_targetILNS1_3genE8ELNS1_11target_archE1030ELNS1_3gpuE2ELNS1_3repE0EEENS1_30default_config_static_selectorELNS0_4arch9wavefront6targetE1EEEvT1_
    .private_segment_fixed_size: 0
    .sgpr_count:     6
    .sgpr_spill_count: 0
    .symbol:         _ZN7rocprim17ROCPRIM_400000_NS6detail17trampoline_kernelINS0_14default_configENS1_35adjacent_difference_config_selectorILb0ElEEZNS1_24adjacent_difference_implIS3_Lb0ELb0EPlS7_ZN2at6native12_GLOBAL__N_124unique_dim_cuda_templateImEESt5tupleIJNS8_6TensorESD_SD_EERKSD_lbbbEUlllE1_EE10hipError_tPvRmT2_T3_mT4_P12ihipStream_tbEUlT_E_NS1_11comp_targetILNS1_3genE8ELNS1_11target_archE1030ELNS1_3gpuE2ELNS1_3repE0EEENS1_30default_config_static_selectorELNS0_4arch9wavefront6targetE1EEEvT1_.kd
    .uniform_work_group_size: 1
    .uses_dynamic_stack: false
    .vgpr_count:     0
    .vgpr_spill_count: 0
    .wavefront_size: 64
  - .agpr_count:     0
    .args:
      - .offset:         0
        .size:           56
        .value_kind:     by_value
      - .offset:         56
        .size:           4
        .value_kind:     hidden_block_count_x
      - .offset:         60
        .size:           4
        .value_kind:     hidden_block_count_y
      - .offset:         64
        .size:           4
        .value_kind:     hidden_block_count_z
      - .offset:         68
        .size:           2
        .value_kind:     hidden_group_size_x
      - .offset:         70
        .size:           2
        .value_kind:     hidden_group_size_y
      - .offset:         72
        .size:           2
        .value_kind:     hidden_group_size_z
      - .offset:         74
        .size:           2
        .value_kind:     hidden_remainder_x
      - .offset:         76
        .size:           2
        .value_kind:     hidden_remainder_y
      - .offset:         78
        .size:           2
        .value_kind:     hidden_remainder_z
      - .offset:         96
        .size:           8
        .value_kind:     hidden_global_offset_x
      - .offset:         104
        .size:           8
        .value_kind:     hidden_global_offset_y
      - .offset:         112
        .size:           8
        .value_kind:     hidden_global_offset_z
      - .offset:         120
        .size:           2
        .value_kind:     hidden_grid_dims
    .group_segment_fixed_size: 0
    .kernarg_segment_align: 8
    .kernarg_segment_size: 312
    .language:       OpenCL C
    .language_version:
      - 2
      - 0
    .max_flat_workgroup_size: 128
    .name:           _ZN7rocprim17ROCPRIM_400000_NS6detail17trampoline_kernelINS0_14default_configENS1_25transform_config_selectorIlLb0EEEZNS1_14transform_implILb0ES3_S5_NS0_18transform_iteratorINS0_17counting_iteratorImlEEZNS1_24adjacent_difference_implIS3_Lb1ELb0EPlSB_ZN2at6native12_GLOBAL__N_124unique_dim_cuda_templateImEESt5tupleIJNSC_6TensorESH_SH_EERKSH_lbbbEUlllE1_EE10hipError_tPvRmT2_T3_mT4_P12ihipStream_tbEUlmE_lEESB_NS0_8identityIvEEEESM_SP_SQ_mSR_ST_bEUlT_E_NS1_11comp_targetILNS1_3genE0ELNS1_11target_archE4294967295ELNS1_3gpuE0ELNS1_3repE0EEENS1_30default_config_static_selectorELNS0_4arch9wavefront6targetE1EEEvT1_
    .private_segment_fixed_size: 0
    .sgpr_count:     18
    .sgpr_spill_count: 0
    .symbol:         _ZN7rocprim17ROCPRIM_400000_NS6detail17trampoline_kernelINS0_14default_configENS1_25transform_config_selectorIlLb0EEEZNS1_14transform_implILb0ES3_S5_NS0_18transform_iteratorINS0_17counting_iteratorImlEEZNS1_24adjacent_difference_implIS3_Lb1ELb0EPlSB_ZN2at6native12_GLOBAL__N_124unique_dim_cuda_templateImEESt5tupleIJNSC_6TensorESH_SH_EERKSH_lbbbEUlllE1_EE10hipError_tPvRmT2_T3_mT4_P12ihipStream_tbEUlmE_lEESB_NS0_8identityIvEEEESM_SP_SQ_mSR_ST_bEUlT_E_NS1_11comp_targetILNS1_3genE0ELNS1_11target_archE4294967295ELNS1_3gpuE0ELNS1_3repE0EEENS1_30default_config_static_selectorELNS0_4arch9wavefront6targetE1EEEvT1_.kd
    .uniform_work_group_size: 1
    .uses_dynamic_stack: false
    .vgpr_count:     8
    .vgpr_spill_count: 0
    .wavefront_size: 64
  - .agpr_count:     0
    .args:
      - .offset:         0
        .size:           56
        .value_kind:     by_value
    .group_segment_fixed_size: 0
    .kernarg_segment_align: 8
    .kernarg_segment_size: 56
    .language:       OpenCL C
    .language_version:
      - 2
      - 0
    .max_flat_workgroup_size: 512
    .name:           _ZN7rocprim17ROCPRIM_400000_NS6detail17trampoline_kernelINS0_14default_configENS1_25transform_config_selectorIlLb0EEEZNS1_14transform_implILb0ES3_S5_NS0_18transform_iteratorINS0_17counting_iteratorImlEEZNS1_24adjacent_difference_implIS3_Lb1ELb0EPlSB_ZN2at6native12_GLOBAL__N_124unique_dim_cuda_templateImEESt5tupleIJNSC_6TensorESH_SH_EERKSH_lbbbEUlllE1_EE10hipError_tPvRmT2_T3_mT4_P12ihipStream_tbEUlmE_lEESB_NS0_8identityIvEEEESM_SP_SQ_mSR_ST_bEUlT_E_NS1_11comp_targetILNS1_3genE5ELNS1_11target_archE942ELNS1_3gpuE9ELNS1_3repE0EEENS1_30default_config_static_selectorELNS0_4arch9wavefront6targetE1EEEvT1_
    .private_segment_fixed_size: 0
    .sgpr_count:     6
    .sgpr_spill_count: 0
    .symbol:         _ZN7rocprim17ROCPRIM_400000_NS6detail17trampoline_kernelINS0_14default_configENS1_25transform_config_selectorIlLb0EEEZNS1_14transform_implILb0ES3_S5_NS0_18transform_iteratorINS0_17counting_iteratorImlEEZNS1_24adjacent_difference_implIS3_Lb1ELb0EPlSB_ZN2at6native12_GLOBAL__N_124unique_dim_cuda_templateImEESt5tupleIJNSC_6TensorESH_SH_EERKSH_lbbbEUlllE1_EE10hipError_tPvRmT2_T3_mT4_P12ihipStream_tbEUlmE_lEESB_NS0_8identityIvEEEESM_SP_SQ_mSR_ST_bEUlT_E_NS1_11comp_targetILNS1_3genE5ELNS1_11target_archE942ELNS1_3gpuE9ELNS1_3repE0EEENS1_30default_config_static_selectorELNS0_4arch9wavefront6targetE1EEEvT1_.kd
    .uniform_work_group_size: 1
    .uses_dynamic_stack: false
    .vgpr_count:     0
    .vgpr_spill_count: 0
    .wavefront_size: 64
  - .agpr_count:     0
    .args:
      - .offset:         0
        .size:           56
        .value_kind:     by_value
    .group_segment_fixed_size: 0
    .kernarg_segment_align: 8
    .kernarg_segment_size: 56
    .language:       OpenCL C
    .language_version:
      - 2
      - 0
    .max_flat_workgroup_size: 256
    .name:           _ZN7rocprim17ROCPRIM_400000_NS6detail17trampoline_kernelINS0_14default_configENS1_25transform_config_selectorIlLb0EEEZNS1_14transform_implILb0ES3_S5_NS0_18transform_iteratorINS0_17counting_iteratorImlEEZNS1_24adjacent_difference_implIS3_Lb1ELb0EPlSB_ZN2at6native12_GLOBAL__N_124unique_dim_cuda_templateImEESt5tupleIJNSC_6TensorESH_SH_EERKSH_lbbbEUlllE1_EE10hipError_tPvRmT2_T3_mT4_P12ihipStream_tbEUlmE_lEESB_NS0_8identityIvEEEESM_SP_SQ_mSR_ST_bEUlT_E_NS1_11comp_targetILNS1_3genE4ELNS1_11target_archE910ELNS1_3gpuE8ELNS1_3repE0EEENS1_30default_config_static_selectorELNS0_4arch9wavefront6targetE1EEEvT1_
    .private_segment_fixed_size: 0
    .sgpr_count:     6
    .sgpr_spill_count: 0
    .symbol:         _ZN7rocprim17ROCPRIM_400000_NS6detail17trampoline_kernelINS0_14default_configENS1_25transform_config_selectorIlLb0EEEZNS1_14transform_implILb0ES3_S5_NS0_18transform_iteratorINS0_17counting_iteratorImlEEZNS1_24adjacent_difference_implIS3_Lb1ELb0EPlSB_ZN2at6native12_GLOBAL__N_124unique_dim_cuda_templateImEESt5tupleIJNSC_6TensorESH_SH_EERKSH_lbbbEUlllE1_EE10hipError_tPvRmT2_T3_mT4_P12ihipStream_tbEUlmE_lEESB_NS0_8identityIvEEEESM_SP_SQ_mSR_ST_bEUlT_E_NS1_11comp_targetILNS1_3genE4ELNS1_11target_archE910ELNS1_3gpuE8ELNS1_3repE0EEENS1_30default_config_static_selectorELNS0_4arch9wavefront6targetE1EEEvT1_.kd
    .uniform_work_group_size: 1
    .uses_dynamic_stack: false
    .vgpr_count:     0
    .vgpr_spill_count: 0
    .wavefront_size: 64
  - .agpr_count:     0
    .args:
      - .offset:         0
        .size:           56
        .value_kind:     by_value
    .group_segment_fixed_size: 0
    .kernarg_segment_align: 8
    .kernarg_segment_size: 56
    .language:       OpenCL C
    .language_version:
      - 2
      - 0
    .max_flat_workgroup_size: 128
    .name:           _ZN7rocprim17ROCPRIM_400000_NS6detail17trampoline_kernelINS0_14default_configENS1_25transform_config_selectorIlLb0EEEZNS1_14transform_implILb0ES3_S5_NS0_18transform_iteratorINS0_17counting_iteratorImlEEZNS1_24adjacent_difference_implIS3_Lb1ELb0EPlSB_ZN2at6native12_GLOBAL__N_124unique_dim_cuda_templateImEESt5tupleIJNSC_6TensorESH_SH_EERKSH_lbbbEUlllE1_EE10hipError_tPvRmT2_T3_mT4_P12ihipStream_tbEUlmE_lEESB_NS0_8identityIvEEEESM_SP_SQ_mSR_ST_bEUlT_E_NS1_11comp_targetILNS1_3genE3ELNS1_11target_archE908ELNS1_3gpuE7ELNS1_3repE0EEENS1_30default_config_static_selectorELNS0_4arch9wavefront6targetE1EEEvT1_
    .private_segment_fixed_size: 0
    .sgpr_count:     6
    .sgpr_spill_count: 0
    .symbol:         _ZN7rocprim17ROCPRIM_400000_NS6detail17trampoline_kernelINS0_14default_configENS1_25transform_config_selectorIlLb0EEEZNS1_14transform_implILb0ES3_S5_NS0_18transform_iteratorINS0_17counting_iteratorImlEEZNS1_24adjacent_difference_implIS3_Lb1ELb0EPlSB_ZN2at6native12_GLOBAL__N_124unique_dim_cuda_templateImEESt5tupleIJNSC_6TensorESH_SH_EERKSH_lbbbEUlllE1_EE10hipError_tPvRmT2_T3_mT4_P12ihipStream_tbEUlmE_lEESB_NS0_8identityIvEEEESM_SP_SQ_mSR_ST_bEUlT_E_NS1_11comp_targetILNS1_3genE3ELNS1_11target_archE908ELNS1_3gpuE7ELNS1_3repE0EEENS1_30default_config_static_selectorELNS0_4arch9wavefront6targetE1EEEvT1_.kd
    .uniform_work_group_size: 1
    .uses_dynamic_stack: false
    .vgpr_count:     0
    .vgpr_spill_count: 0
    .wavefront_size: 64
  - .agpr_count:     0
    .args:
      - .offset:         0
        .size:           56
        .value_kind:     by_value
    .group_segment_fixed_size: 0
    .kernarg_segment_align: 8
    .kernarg_segment_size: 56
    .language:       OpenCL C
    .language_version:
      - 2
      - 0
    .max_flat_workgroup_size: 512
    .name:           _ZN7rocprim17ROCPRIM_400000_NS6detail17trampoline_kernelINS0_14default_configENS1_25transform_config_selectorIlLb0EEEZNS1_14transform_implILb0ES3_S5_NS0_18transform_iteratorINS0_17counting_iteratorImlEEZNS1_24adjacent_difference_implIS3_Lb1ELb0EPlSB_ZN2at6native12_GLOBAL__N_124unique_dim_cuda_templateImEESt5tupleIJNSC_6TensorESH_SH_EERKSH_lbbbEUlllE1_EE10hipError_tPvRmT2_T3_mT4_P12ihipStream_tbEUlmE_lEESB_NS0_8identityIvEEEESM_SP_SQ_mSR_ST_bEUlT_E_NS1_11comp_targetILNS1_3genE2ELNS1_11target_archE906ELNS1_3gpuE6ELNS1_3repE0EEENS1_30default_config_static_selectorELNS0_4arch9wavefront6targetE1EEEvT1_
    .private_segment_fixed_size: 0
    .sgpr_count:     6
    .sgpr_spill_count: 0
    .symbol:         _ZN7rocprim17ROCPRIM_400000_NS6detail17trampoline_kernelINS0_14default_configENS1_25transform_config_selectorIlLb0EEEZNS1_14transform_implILb0ES3_S5_NS0_18transform_iteratorINS0_17counting_iteratorImlEEZNS1_24adjacent_difference_implIS3_Lb1ELb0EPlSB_ZN2at6native12_GLOBAL__N_124unique_dim_cuda_templateImEESt5tupleIJNSC_6TensorESH_SH_EERKSH_lbbbEUlllE1_EE10hipError_tPvRmT2_T3_mT4_P12ihipStream_tbEUlmE_lEESB_NS0_8identityIvEEEESM_SP_SQ_mSR_ST_bEUlT_E_NS1_11comp_targetILNS1_3genE2ELNS1_11target_archE906ELNS1_3gpuE6ELNS1_3repE0EEENS1_30default_config_static_selectorELNS0_4arch9wavefront6targetE1EEEvT1_.kd
    .uniform_work_group_size: 1
    .uses_dynamic_stack: false
    .vgpr_count:     0
    .vgpr_spill_count: 0
    .wavefront_size: 64
  - .agpr_count:     0
    .args:
      - .offset:         0
        .size:           56
        .value_kind:     by_value
    .group_segment_fixed_size: 0
    .kernarg_segment_align: 8
    .kernarg_segment_size: 56
    .language:       OpenCL C
    .language_version:
      - 2
      - 0
    .max_flat_workgroup_size: 1024
    .name:           _ZN7rocprim17ROCPRIM_400000_NS6detail17trampoline_kernelINS0_14default_configENS1_25transform_config_selectorIlLb0EEEZNS1_14transform_implILb0ES3_S5_NS0_18transform_iteratorINS0_17counting_iteratorImlEEZNS1_24adjacent_difference_implIS3_Lb1ELb0EPlSB_ZN2at6native12_GLOBAL__N_124unique_dim_cuda_templateImEESt5tupleIJNSC_6TensorESH_SH_EERKSH_lbbbEUlllE1_EE10hipError_tPvRmT2_T3_mT4_P12ihipStream_tbEUlmE_lEESB_NS0_8identityIvEEEESM_SP_SQ_mSR_ST_bEUlT_E_NS1_11comp_targetILNS1_3genE10ELNS1_11target_archE1201ELNS1_3gpuE5ELNS1_3repE0EEENS1_30default_config_static_selectorELNS0_4arch9wavefront6targetE1EEEvT1_
    .private_segment_fixed_size: 0
    .sgpr_count:     6
    .sgpr_spill_count: 0
    .symbol:         _ZN7rocprim17ROCPRIM_400000_NS6detail17trampoline_kernelINS0_14default_configENS1_25transform_config_selectorIlLb0EEEZNS1_14transform_implILb0ES3_S5_NS0_18transform_iteratorINS0_17counting_iteratorImlEEZNS1_24adjacent_difference_implIS3_Lb1ELb0EPlSB_ZN2at6native12_GLOBAL__N_124unique_dim_cuda_templateImEESt5tupleIJNSC_6TensorESH_SH_EERKSH_lbbbEUlllE1_EE10hipError_tPvRmT2_T3_mT4_P12ihipStream_tbEUlmE_lEESB_NS0_8identityIvEEEESM_SP_SQ_mSR_ST_bEUlT_E_NS1_11comp_targetILNS1_3genE10ELNS1_11target_archE1201ELNS1_3gpuE5ELNS1_3repE0EEENS1_30default_config_static_selectorELNS0_4arch9wavefront6targetE1EEEvT1_.kd
    .uniform_work_group_size: 1
    .uses_dynamic_stack: false
    .vgpr_count:     0
    .vgpr_spill_count: 0
    .wavefront_size: 64
  - .agpr_count:     0
    .args:
      - .offset:         0
        .size:           56
        .value_kind:     by_value
    .group_segment_fixed_size: 0
    .kernarg_segment_align: 8
    .kernarg_segment_size: 56
    .language:       OpenCL C
    .language_version:
      - 2
      - 0
    .max_flat_workgroup_size: 512
    .name:           _ZN7rocprim17ROCPRIM_400000_NS6detail17trampoline_kernelINS0_14default_configENS1_25transform_config_selectorIlLb0EEEZNS1_14transform_implILb0ES3_S5_NS0_18transform_iteratorINS0_17counting_iteratorImlEEZNS1_24adjacent_difference_implIS3_Lb1ELb0EPlSB_ZN2at6native12_GLOBAL__N_124unique_dim_cuda_templateImEESt5tupleIJNSC_6TensorESH_SH_EERKSH_lbbbEUlllE1_EE10hipError_tPvRmT2_T3_mT4_P12ihipStream_tbEUlmE_lEESB_NS0_8identityIvEEEESM_SP_SQ_mSR_ST_bEUlT_E_NS1_11comp_targetILNS1_3genE10ELNS1_11target_archE1200ELNS1_3gpuE4ELNS1_3repE0EEENS1_30default_config_static_selectorELNS0_4arch9wavefront6targetE1EEEvT1_
    .private_segment_fixed_size: 0
    .sgpr_count:     6
    .sgpr_spill_count: 0
    .symbol:         _ZN7rocprim17ROCPRIM_400000_NS6detail17trampoline_kernelINS0_14default_configENS1_25transform_config_selectorIlLb0EEEZNS1_14transform_implILb0ES3_S5_NS0_18transform_iteratorINS0_17counting_iteratorImlEEZNS1_24adjacent_difference_implIS3_Lb1ELb0EPlSB_ZN2at6native12_GLOBAL__N_124unique_dim_cuda_templateImEESt5tupleIJNSC_6TensorESH_SH_EERKSH_lbbbEUlllE1_EE10hipError_tPvRmT2_T3_mT4_P12ihipStream_tbEUlmE_lEESB_NS0_8identityIvEEEESM_SP_SQ_mSR_ST_bEUlT_E_NS1_11comp_targetILNS1_3genE10ELNS1_11target_archE1200ELNS1_3gpuE4ELNS1_3repE0EEENS1_30default_config_static_selectorELNS0_4arch9wavefront6targetE1EEEvT1_.kd
    .uniform_work_group_size: 1
    .uses_dynamic_stack: false
    .vgpr_count:     0
    .vgpr_spill_count: 0
    .wavefront_size: 64
  - .agpr_count:     0
    .args:
      - .offset:         0
        .size:           56
        .value_kind:     by_value
    .group_segment_fixed_size: 0
    .kernarg_segment_align: 8
    .kernarg_segment_size: 56
    .language:       OpenCL C
    .language_version:
      - 2
      - 0
    .max_flat_workgroup_size: 512
    .name:           _ZN7rocprim17ROCPRIM_400000_NS6detail17trampoline_kernelINS0_14default_configENS1_25transform_config_selectorIlLb0EEEZNS1_14transform_implILb0ES3_S5_NS0_18transform_iteratorINS0_17counting_iteratorImlEEZNS1_24adjacent_difference_implIS3_Lb1ELb0EPlSB_ZN2at6native12_GLOBAL__N_124unique_dim_cuda_templateImEESt5tupleIJNSC_6TensorESH_SH_EERKSH_lbbbEUlllE1_EE10hipError_tPvRmT2_T3_mT4_P12ihipStream_tbEUlmE_lEESB_NS0_8identityIvEEEESM_SP_SQ_mSR_ST_bEUlT_E_NS1_11comp_targetILNS1_3genE9ELNS1_11target_archE1100ELNS1_3gpuE3ELNS1_3repE0EEENS1_30default_config_static_selectorELNS0_4arch9wavefront6targetE1EEEvT1_
    .private_segment_fixed_size: 0
    .sgpr_count:     6
    .sgpr_spill_count: 0
    .symbol:         _ZN7rocprim17ROCPRIM_400000_NS6detail17trampoline_kernelINS0_14default_configENS1_25transform_config_selectorIlLb0EEEZNS1_14transform_implILb0ES3_S5_NS0_18transform_iteratorINS0_17counting_iteratorImlEEZNS1_24adjacent_difference_implIS3_Lb1ELb0EPlSB_ZN2at6native12_GLOBAL__N_124unique_dim_cuda_templateImEESt5tupleIJNSC_6TensorESH_SH_EERKSH_lbbbEUlllE1_EE10hipError_tPvRmT2_T3_mT4_P12ihipStream_tbEUlmE_lEESB_NS0_8identityIvEEEESM_SP_SQ_mSR_ST_bEUlT_E_NS1_11comp_targetILNS1_3genE9ELNS1_11target_archE1100ELNS1_3gpuE3ELNS1_3repE0EEENS1_30default_config_static_selectorELNS0_4arch9wavefront6targetE1EEEvT1_.kd
    .uniform_work_group_size: 1
    .uses_dynamic_stack: false
    .vgpr_count:     0
    .vgpr_spill_count: 0
    .wavefront_size: 64
  - .agpr_count:     0
    .args:
      - .offset:         0
        .size:           56
        .value_kind:     by_value
    .group_segment_fixed_size: 0
    .kernarg_segment_align: 8
    .kernarg_segment_size: 56
    .language:       OpenCL C
    .language_version:
      - 2
      - 0
    .max_flat_workgroup_size: 512
    .name:           _ZN7rocprim17ROCPRIM_400000_NS6detail17trampoline_kernelINS0_14default_configENS1_25transform_config_selectorIlLb0EEEZNS1_14transform_implILb0ES3_S5_NS0_18transform_iteratorINS0_17counting_iteratorImlEEZNS1_24adjacent_difference_implIS3_Lb1ELb0EPlSB_ZN2at6native12_GLOBAL__N_124unique_dim_cuda_templateImEESt5tupleIJNSC_6TensorESH_SH_EERKSH_lbbbEUlllE1_EE10hipError_tPvRmT2_T3_mT4_P12ihipStream_tbEUlmE_lEESB_NS0_8identityIvEEEESM_SP_SQ_mSR_ST_bEUlT_E_NS1_11comp_targetILNS1_3genE8ELNS1_11target_archE1030ELNS1_3gpuE2ELNS1_3repE0EEENS1_30default_config_static_selectorELNS0_4arch9wavefront6targetE1EEEvT1_
    .private_segment_fixed_size: 0
    .sgpr_count:     6
    .sgpr_spill_count: 0
    .symbol:         _ZN7rocprim17ROCPRIM_400000_NS6detail17trampoline_kernelINS0_14default_configENS1_25transform_config_selectorIlLb0EEEZNS1_14transform_implILb0ES3_S5_NS0_18transform_iteratorINS0_17counting_iteratorImlEEZNS1_24adjacent_difference_implIS3_Lb1ELb0EPlSB_ZN2at6native12_GLOBAL__N_124unique_dim_cuda_templateImEESt5tupleIJNSC_6TensorESH_SH_EERKSH_lbbbEUlllE1_EE10hipError_tPvRmT2_T3_mT4_P12ihipStream_tbEUlmE_lEESB_NS0_8identityIvEEEESM_SP_SQ_mSR_ST_bEUlT_E_NS1_11comp_targetILNS1_3genE8ELNS1_11target_archE1030ELNS1_3gpuE2ELNS1_3repE0EEENS1_30default_config_static_selectorELNS0_4arch9wavefront6targetE1EEEvT1_.kd
    .uniform_work_group_size: 1
    .uses_dynamic_stack: false
    .vgpr_count:     0
    .vgpr_spill_count: 0
    .wavefront_size: 64
  - .agpr_count:     0
    .args:
      - .offset:         0
        .size:           64
        .value_kind:     by_value
    .group_segment_fixed_size: 8448
    .kernarg_segment_align: 8
    .kernarg_segment_size: 64
    .language:       OpenCL C
    .language_version:
      - 2
      - 0
    .max_flat_workgroup_size: 512
    .name:           _ZN7rocprim17ROCPRIM_400000_NS6detail17trampoline_kernelINS0_14default_configENS1_35adjacent_difference_config_selectorILb1ElEEZNS1_24adjacent_difference_implIS3_Lb1ELb0EPlS7_ZN2at6native12_GLOBAL__N_124unique_dim_cuda_templateImEESt5tupleIJNS8_6TensorESD_SD_EERKSD_lbbbEUlllE1_EE10hipError_tPvRmT2_T3_mT4_P12ihipStream_tbEUlT_E_NS1_11comp_targetILNS1_3genE0ELNS1_11target_archE4294967295ELNS1_3gpuE0ELNS1_3repE0EEENS1_30default_config_static_selectorELNS0_4arch9wavefront6targetE1EEEvT1_
    .private_segment_fixed_size: 0
    .sgpr_count:     42
    .sgpr_spill_count: 0
    .symbol:         _ZN7rocprim17ROCPRIM_400000_NS6detail17trampoline_kernelINS0_14default_configENS1_35adjacent_difference_config_selectorILb1ElEEZNS1_24adjacent_difference_implIS3_Lb1ELb0EPlS7_ZN2at6native12_GLOBAL__N_124unique_dim_cuda_templateImEESt5tupleIJNS8_6TensorESD_SD_EERKSD_lbbbEUlllE1_EE10hipError_tPvRmT2_T3_mT4_P12ihipStream_tbEUlT_E_NS1_11comp_targetILNS1_3genE0ELNS1_11target_archE4294967295ELNS1_3gpuE0ELNS1_3repE0EEENS1_30default_config_static_selectorELNS0_4arch9wavefront6targetE1EEEvT1_.kd
    .uniform_work_group_size: 1
    .uses_dynamic_stack: false
    .vgpr_count:     18
    .vgpr_spill_count: 0
    .wavefront_size: 64
  - .agpr_count:     0
    .args:
      - .offset:         0
        .size:           64
        .value_kind:     by_value
    .group_segment_fixed_size: 0
    .kernarg_segment_align: 8
    .kernarg_segment_size: 64
    .language:       OpenCL C
    .language_version:
      - 2
      - 0
    .max_flat_workgroup_size: 32
    .name:           _ZN7rocprim17ROCPRIM_400000_NS6detail17trampoline_kernelINS0_14default_configENS1_35adjacent_difference_config_selectorILb1ElEEZNS1_24adjacent_difference_implIS3_Lb1ELb0EPlS7_ZN2at6native12_GLOBAL__N_124unique_dim_cuda_templateImEESt5tupleIJNS8_6TensorESD_SD_EERKSD_lbbbEUlllE1_EE10hipError_tPvRmT2_T3_mT4_P12ihipStream_tbEUlT_E_NS1_11comp_targetILNS1_3genE10ELNS1_11target_archE1201ELNS1_3gpuE5ELNS1_3repE0EEENS1_30default_config_static_selectorELNS0_4arch9wavefront6targetE1EEEvT1_
    .private_segment_fixed_size: 0
    .sgpr_count:     6
    .sgpr_spill_count: 0
    .symbol:         _ZN7rocprim17ROCPRIM_400000_NS6detail17trampoline_kernelINS0_14default_configENS1_35adjacent_difference_config_selectorILb1ElEEZNS1_24adjacent_difference_implIS3_Lb1ELb0EPlS7_ZN2at6native12_GLOBAL__N_124unique_dim_cuda_templateImEESt5tupleIJNS8_6TensorESD_SD_EERKSD_lbbbEUlllE1_EE10hipError_tPvRmT2_T3_mT4_P12ihipStream_tbEUlT_E_NS1_11comp_targetILNS1_3genE10ELNS1_11target_archE1201ELNS1_3gpuE5ELNS1_3repE0EEENS1_30default_config_static_selectorELNS0_4arch9wavefront6targetE1EEEvT1_.kd
    .uniform_work_group_size: 1
    .uses_dynamic_stack: false
    .vgpr_count:     0
    .vgpr_spill_count: 0
    .wavefront_size: 64
  - .agpr_count:     0
    .args:
      - .offset:         0
        .size:           64
        .value_kind:     by_value
    .group_segment_fixed_size: 0
    .kernarg_segment_align: 8
    .kernarg_segment_size: 64
    .language:       OpenCL C
    .language_version:
      - 2
      - 0
    .max_flat_workgroup_size: 256
    .name:           _ZN7rocprim17ROCPRIM_400000_NS6detail17trampoline_kernelINS0_14default_configENS1_35adjacent_difference_config_selectorILb1ElEEZNS1_24adjacent_difference_implIS3_Lb1ELb0EPlS7_ZN2at6native12_GLOBAL__N_124unique_dim_cuda_templateImEESt5tupleIJNS8_6TensorESD_SD_EERKSD_lbbbEUlllE1_EE10hipError_tPvRmT2_T3_mT4_P12ihipStream_tbEUlT_E_NS1_11comp_targetILNS1_3genE5ELNS1_11target_archE942ELNS1_3gpuE9ELNS1_3repE0EEENS1_30default_config_static_selectorELNS0_4arch9wavefront6targetE1EEEvT1_
    .private_segment_fixed_size: 0
    .sgpr_count:     6
    .sgpr_spill_count: 0
    .symbol:         _ZN7rocprim17ROCPRIM_400000_NS6detail17trampoline_kernelINS0_14default_configENS1_35adjacent_difference_config_selectorILb1ElEEZNS1_24adjacent_difference_implIS3_Lb1ELb0EPlS7_ZN2at6native12_GLOBAL__N_124unique_dim_cuda_templateImEESt5tupleIJNS8_6TensorESD_SD_EERKSD_lbbbEUlllE1_EE10hipError_tPvRmT2_T3_mT4_P12ihipStream_tbEUlT_E_NS1_11comp_targetILNS1_3genE5ELNS1_11target_archE942ELNS1_3gpuE9ELNS1_3repE0EEENS1_30default_config_static_selectorELNS0_4arch9wavefront6targetE1EEEvT1_.kd
    .uniform_work_group_size: 1
    .uses_dynamic_stack: false
    .vgpr_count:     0
    .vgpr_spill_count: 0
    .wavefront_size: 64
  - .agpr_count:     0
    .args:
      - .offset:         0
        .size:           64
        .value_kind:     by_value
    .group_segment_fixed_size: 0
    .kernarg_segment_align: 8
    .kernarg_segment_size: 64
    .language:       OpenCL C
    .language_version:
      - 2
      - 0
    .max_flat_workgroup_size: 512
    .name:           _ZN7rocprim17ROCPRIM_400000_NS6detail17trampoline_kernelINS0_14default_configENS1_35adjacent_difference_config_selectorILb1ElEEZNS1_24adjacent_difference_implIS3_Lb1ELb0EPlS7_ZN2at6native12_GLOBAL__N_124unique_dim_cuda_templateImEESt5tupleIJNS8_6TensorESD_SD_EERKSD_lbbbEUlllE1_EE10hipError_tPvRmT2_T3_mT4_P12ihipStream_tbEUlT_E_NS1_11comp_targetILNS1_3genE4ELNS1_11target_archE910ELNS1_3gpuE8ELNS1_3repE0EEENS1_30default_config_static_selectorELNS0_4arch9wavefront6targetE1EEEvT1_
    .private_segment_fixed_size: 0
    .sgpr_count:     6
    .sgpr_spill_count: 0
    .symbol:         _ZN7rocprim17ROCPRIM_400000_NS6detail17trampoline_kernelINS0_14default_configENS1_35adjacent_difference_config_selectorILb1ElEEZNS1_24adjacent_difference_implIS3_Lb1ELb0EPlS7_ZN2at6native12_GLOBAL__N_124unique_dim_cuda_templateImEESt5tupleIJNS8_6TensorESD_SD_EERKSD_lbbbEUlllE1_EE10hipError_tPvRmT2_T3_mT4_P12ihipStream_tbEUlT_E_NS1_11comp_targetILNS1_3genE4ELNS1_11target_archE910ELNS1_3gpuE8ELNS1_3repE0EEENS1_30default_config_static_selectorELNS0_4arch9wavefront6targetE1EEEvT1_.kd
    .uniform_work_group_size: 1
    .uses_dynamic_stack: false
    .vgpr_count:     0
    .vgpr_spill_count: 0
    .wavefront_size: 64
  - .agpr_count:     0
    .args:
      - .offset:         0
        .size:           64
        .value_kind:     by_value
    .group_segment_fixed_size: 0
    .kernarg_segment_align: 8
    .kernarg_segment_size: 64
    .language:       OpenCL C
    .language_version:
      - 2
      - 0
    .max_flat_workgroup_size: 512
    .name:           _ZN7rocprim17ROCPRIM_400000_NS6detail17trampoline_kernelINS0_14default_configENS1_35adjacent_difference_config_selectorILb1ElEEZNS1_24adjacent_difference_implIS3_Lb1ELb0EPlS7_ZN2at6native12_GLOBAL__N_124unique_dim_cuda_templateImEESt5tupleIJNS8_6TensorESD_SD_EERKSD_lbbbEUlllE1_EE10hipError_tPvRmT2_T3_mT4_P12ihipStream_tbEUlT_E_NS1_11comp_targetILNS1_3genE3ELNS1_11target_archE908ELNS1_3gpuE7ELNS1_3repE0EEENS1_30default_config_static_selectorELNS0_4arch9wavefront6targetE1EEEvT1_
    .private_segment_fixed_size: 0
    .sgpr_count:     6
    .sgpr_spill_count: 0
    .symbol:         _ZN7rocprim17ROCPRIM_400000_NS6detail17trampoline_kernelINS0_14default_configENS1_35adjacent_difference_config_selectorILb1ElEEZNS1_24adjacent_difference_implIS3_Lb1ELb0EPlS7_ZN2at6native12_GLOBAL__N_124unique_dim_cuda_templateImEESt5tupleIJNS8_6TensorESD_SD_EERKSD_lbbbEUlllE1_EE10hipError_tPvRmT2_T3_mT4_P12ihipStream_tbEUlT_E_NS1_11comp_targetILNS1_3genE3ELNS1_11target_archE908ELNS1_3gpuE7ELNS1_3repE0EEENS1_30default_config_static_selectorELNS0_4arch9wavefront6targetE1EEEvT1_.kd
    .uniform_work_group_size: 1
    .uses_dynamic_stack: false
    .vgpr_count:     0
    .vgpr_spill_count: 0
    .wavefront_size: 64
  - .agpr_count:     0
    .args:
      - .offset:         0
        .size:           64
        .value_kind:     by_value
    .group_segment_fixed_size: 0
    .kernarg_segment_align: 8
    .kernarg_segment_size: 64
    .language:       OpenCL C
    .language_version:
      - 2
      - 0
    .max_flat_workgroup_size: 128
    .name:           _ZN7rocprim17ROCPRIM_400000_NS6detail17trampoline_kernelINS0_14default_configENS1_35adjacent_difference_config_selectorILb1ElEEZNS1_24adjacent_difference_implIS3_Lb1ELb0EPlS7_ZN2at6native12_GLOBAL__N_124unique_dim_cuda_templateImEESt5tupleIJNS8_6TensorESD_SD_EERKSD_lbbbEUlllE1_EE10hipError_tPvRmT2_T3_mT4_P12ihipStream_tbEUlT_E_NS1_11comp_targetILNS1_3genE2ELNS1_11target_archE906ELNS1_3gpuE6ELNS1_3repE0EEENS1_30default_config_static_selectorELNS0_4arch9wavefront6targetE1EEEvT1_
    .private_segment_fixed_size: 0
    .sgpr_count:     6
    .sgpr_spill_count: 0
    .symbol:         _ZN7rocprim17ROCPRIM_400000_NS6detail17trampoline_kernelINS0_14default_configENS1_35adjacent_difference_config_selectorILb1ElEEZNS1_24adjacent_difference_implIS3_Lb1ELb0EPlS7_ZN2at6native12_GLOBAL__N_124unique_dim_cuda_templateImEESt5tupleIJNS8_6TensorESD_SD_EERKSD_lbbbEUlllE1_EE10hipError_tPvRmT2_T3_mT4_P12ihipStream_tbEUlT_E_NS1_11comp_targetILNS1_3genE2ELNS1_11target_archE906ELNS1_3gpuE6ELNS1_3repE0EEENS1_30default_config_static_selectorELNS0_4arch9wavefront6targetE1EEEvT1_.kd
    .uniform_work_group_size: 1
    .uses_dynamic_stack: false
    .vgpr_count:     0
    .vgpr_spill_count: 0
    .wavefront_size: 64
  - .agpr_count:     0
    .args:
      - .offset:         0
        .size:           64
        .value_kind:     by_value
    .group_segment_fixed_size: 0
    .kernarg_segment_align: 8
    .kernarg_segment_size: 64
    .language:       OpenCL C
    .language_version:
      - 2
      - 0
    .max_flat_workgroup_size: 128
    .name:           _ZN7rocprim17ROCPRIM_400000_NS6detail17trampoline_kernelINS0_14default_configENS1_35adjacent_difference_config_selectorILb1ElEEZNS1_24adjacent_difference_implIS3_Lb1ELb0EPlS7_ZN2at6native12_GLOBAL__N_124unique_dim_cuda_templateImEESt5tupleIJNS8_6TensorESD_SD_EERKSD_lbbbEUlllE1_EE10hipError_tPvRmT2_T3_mT4_P12ihipStream_tbEUlT_E_NS1_11comp_targetILNS1_3genE9ELNS1_11target_archE1100ELNS1_3gpuE3ELNS1_3repE0EEENS1_30default_config_static_selectorELNS0_4arch9wavefront6targetE1EEEvT1_
    .private_segment_fixed_size: 0
    .sgpr_count:     6
    .sgpr_spill_count: 0
    .symbol:         _ZN7rocprim17ROCPRIM_400000_NS6detail17trampoline_kernelINS0_14default_configENS1_35adjacent_difference_config_selectorILb1ElEEZNS1_24adjacent_difference_implIS3_Lb1ELb0EPlS7_ZN2at6native12_GLOBAL__N_124unique_dim_cuda_templateImEESt5tupleIJNS8_6TensorESD_SD_EERKSD_lbbbEUlllE1_EE10hipError_tPvRmT2_T3_mT4_P12ihipStream_tbEUlT_E_NS1_11comp_targetILNS1_3genE9ELNS1_11target_archE1100ELNS1_3gpuE3ELNS1_3repE0EEENS1_30default_config_static_selectorELNS0_4arch9wavefront6targetE1EEEvT1_.kd
    .uniform_work_group_size: 1
    .uses_dynamic_stack: false
    .vgpr_count:     0
    .vgpr_spill_count: 0
    .wavefront_size: 64
  - .agpr_count:     0
    .args:
      - .offset:         0
        .size:           64
        .value_kind:     by_value
    .group_segment_fixed_size: 0
    .kernarg_segment_align: 8
    .kernarg_segment_size: 64
    .language:       OpenCL C
    .language_version:
      - 2
      - 0
    .max_flat_workgroup_size: 32
    .name:           _ZN7rocprim17ROCPRIM_400000_NS6detail17trampoline_kernelINS0_14default_configENS1_35adjacent_difference_config_selectorILb1ElEEZNS1_24adjacent_difference_implIS3_Lb1ELb0EPlS7_ZN2at6native12_GLOBAL__N_124unique_dim_cuda_templateImEESt5tupleIJNS8_6TensorESD_SD_EERKSD_lbbbEUlllE1_EE10hipError_tPvRmT2_T3_mT4_P12ihipStream_tbEUlT_E_NS1_11comp_targetILNS1_3genE8ELNS1_11target_archE1030ELNS1_3gpuE2ELNS1_3repE0EEENS1_30default_config_static_selectorELNS0_4arch9wavefront6targetE1EEEvT1_
    .private_segment_fixed_size: 0
    .sgpr_count:     6
    .sgpr_spill_count: 0
    .symbol:         _ZN7rocprim17ROCPRIM_400000_NS6detail17trampoline_kernelINS0_14default_configENS1_35adjacent_difference_config_selectorILb1ElEEZNS1_24adjacent_difference_implIS3_Lb1ELb0EPlS7_ZN2at6native12_GLOBAL__N_124unique_dim_cuda_templateImEESt5tupleIJNS8_6TensorESD_SD_EERKSD_lbbbEUlllE1_EE10hipError_tPvRmT2_T3_mT4_P12ihipStream_tbEUlT_E_NS1_11comp_targetILNS1_3genE8ELNS1_11target_archE1030ELNS1_3gpuE2ELNS1_3repE0EEENS1_30default_config_static_selectorELNS0_4arch9wavefront6targetE1EEEvT1_.kd
    .uniform_work_group_size: 1
    .uses_dynamic_stack: false
    .vgpr_count:     0
    .vgpr_spill_count: 0
    .wavefront_size: 64
  - .agpr_count:     0
    .args:
      - .offset:         0
        .size:           120
        .value_kind:     by_value
    .group_segment_fixed_size: 28680
    .kernarg_segment_align: 8
    .kernarg_segment_size: 120
    .language:       OpenCL C
    .language_version:
      - 2
      - 0
    .max_flat_workgroup_size: 512
    .name:           _ZN7rocprim17ROCPRIM_400000_NS6detail17trampoline_kernelINS0_14default_configENS1_25partition_config_selectorILNS1_17partition_subalgoE8ElNS0_10empty_typeEbEEZZNS1_14partition_implILS5_8ELb0ES3_jPlPS6_PKS6_NS0_5tupleIJS9_S6_EEENSD_IJSA_SA_EEENS0_18inequality_wrapperIZN2at6native12_GLOBAL__N_124unique_dim_cuda_templateImEESt5tupleIJNSH_6TensorESM_SM_EERKSM_lbbbEUlllE0_EEPmJS6_EEE10hipError_tPvRmT3_T4_T5_T6_T7_T9_mT8_P12ihipStream_tbDpT10_ENKUlT_T0_E_clISt17integral_constantIbLb0EES1C_EEDaS17_S18_EUlS17_E_NS1_11comp_targetILNS1_3genE0ELNS1_11target_archE4294967295ELNS1_3gpuE0ELNS1_3repE0EEENS1_30default_config_static_selectorELNS0_4arch9wavefront6targetE1EEEvT1_
    .private_segment_fixed_size: 0
    .sgpr_count:     56
    .sgpr_spill_count: 0
    .symbol:         _ZN7rocprim17ROCPRIM_400000_NS6detail17trampoline_kernelINS0_14default_configENS1_25partition_config_selectorILNS1_17partition_subalgoE8ElNS0_10empty_typeEbEEZZNS1_14partition_implILS5_8ELb0ES3_jPlPS6_PKS6_NS0_5tupleIJS9_S6_EEENSD_IJSA_SA_EEENS0_18inequality_wrapperIZN2at6native12_GLOBAL__N_124unique_dim_cuda_templateImEESt5tupleIJNSH_6TensorESM_SM_EERKSM_lbbbEUlllE0_EEPmJS6_EEE10hipError_tPvRmT3_T4_T5_T6_T7_T9_mT8_P12ihipStream_tbDpT10_ENKUlT_T0_E_clISt17integral_constantIbLb0EES1C_EEDaS17_S18_EUlS17_E_NS1_11comp_targetILNS1_3genE0ELNS1_11target_archE4294967295ELNS1_3gpuE0ELNS1_3repE0EEENS1_30default_config_static_selectorELNS0_4arch9wavefront6targetE1EEEvT1_.kd
    .uniform_work_group_size: 1
    .uses_dynamic_stack: false
    .vgpr_count:     58
    .vgpr_spill_count: 0
    .wavefront_size: 64
  - .agpr_count:     0
    .args:
      - .offset:         0
        .size:           120
        .value_kind:     by_value
    .group_segment_fixed_size: 0
    .kernarg_segment_align: 8
    .kernarg_segment_size: 120
    .language:       OpenCL C
    .language_version:
      - 2
      - 0
    .max_flat_workgroup_size: 512
    .name:           _ZN7rocprim17ROCPRIM_400000_NS6detail17trampoline_kernelINS0_14default_configENS1_25partition_config_selectorILNS1_17partition_subalgoE8ElNS0_10empty_typeEbEEZZNS1_14partition_implILS5_8ELb0ES3_jPlPS6_PKS6_NS0_5tupleIJS9_S6_EEENSD_IJSA_SA_EEENS0_18inequality_wrapperIZN2at6native12_GLOBAL__N_124unique_dim_cuda_templateImEESt5tupleIJNSH_6TensorESM_SM_EERKSM_lbbbEUlllE0_EEPmJS6_EEE10hipError_tPvRmT3_T4_T5_T6_T7_T9_mT8_P12ihipStream_tbDpT10_ENKUlT_T0_E_clISt17integral_constantIbLb0EES1C_EEDaS17_S18_EUlS17_E_NS1_11comp_targetILNS1_3genE5ELNS1_11target_archE942ELNS1_3gpuE9ELNS1_3repE0EEENS1_30default_config_static_selectorELNS0_4arch9wavefront6targetE1EEEvT1_
    .private_segment_fixed_size: 0
    .sgpr_count:     6
    .sgpr_spill_count: 0
    .symbol:         _ZN7rocprim17ROCPRIM_400000_NS6detail17trampoline_kernelINS0_14default_configENS1_25partition_config_selectorILNS1_17partition_subalgoE8ElNS0_10empty_typeEbEEZZNS1_14partition_implILS5_8ELb0ES3_jPlPS6_PKS6_NS0_5tupleIJS9_S6_EEENSD_IJSA_SA_EEENS0_18inequality_wrapperIZN2at6native12_GLOBAL__N_124unique_dim_cuda_templateImEESt5tupleIJNSH_6TensorESM_SM_EERKSM_lbbbEUlllE0_EEPmJS6_EEE10hipError_tPvRmT3_T4_T5_T6_T7_T9_mT8_P12ihipStream_tbDpT10_ENKUlT_T0_E_clISt17integral_constantIbLb0EES1C_EEDaS17_S18_EUlS17_E_NS1_11comp_targetILNS1_3genE5ELNS1_11target_archE942ELNS1_3gpuE9ELNS1_3repE0EEENS1_30default_config_static_selectorELNS0_4arch9wavefront6targetE1EEEvT1_.kd
    .uniform_work_group_size: 1
    .uses_dynamic_stack: false
    .vgpr_count:     0
    .vgpr_spill_count: 0
    .wavefront_size: 64
  - .agpr_count:     0
    .args:
      - .offset:         0
        .size:           120
        .value_kind:     by_value
    .group_segment_fixed_size: 0
    .kernarg_segment_align: 8
    .kernarg_segment_size: 120
    .language:       OpenCL C
    .language_version:
      - 2
      - 0
    .max_flat_workgroup_size: 256
    .name:           _ZN7rocprim17ROCPRIM_400000_NS6detail17trampoline_kernelINS0_14default_configENS1_25partition_config_selectorILNS1_17partition_subalgoE8ElNS0_10empty_typeEbEEZZNS1_14partition_implILS5_8ELb0ES3_jPlPS6_PKS6_NS0_5tupleIJS9_S6_EEENSD_IJSA_SA_EEENS0_18inequality_wrapperIZN2at6native12_GLOBAL__N_124unique_dim_cuda_templateImEESt5tupleIJNSH_6TensorESM_SM_EERKSM_lbbbEUlllE0_EEPmJS6_EEE10hipError_tPvRmT3_T4_T5_T6_T7_T9_mT8_P12ihipStream_tbDpT10_ENKUlT_T0_E_clISt17integral_constantIbLb0EES1C_EEDaS17_S18_EUlS17_E_NS1_11comp_targetILNS1_3genE4ELNS1_11target_archE910ELNS1_3gpuE8ELNS1_3repE0EEENS1_30default_config_static_selectorELNS0_4arch9wavefront6targetE1EEEvT1_
    .private_segment_fixed_size: 0
    .sgpr_count:     6
    .sgpr_spill_count: 0
    .symbol:         _ZN7rocprim17ROCPRIM_400000_NS6detail17trampoline_kernelINS0_14default_configENS1_25partition_config_selectorILNS1_17partition_subalgoE8ElNS0_10empty_typeEbEEZZNS1_14partition_implILS5_8ELb0ES3_jPlPS6_PKS6_NS0_5tupleIJS9_S6_EEENSD_IJSA_SA_EEENS0_18inequality_wrapperIZN2at6native12_GLOBAL__N_124unique_dim_cuda_templateImEESt5tupleIJNSH_6TensorESM_SM_EERKSM_lbbbEUlllE0_EEPmJS6_EEE10hipError_tPvRmT3_T4_T5_T6_T7_T9_mT8_P12ihipStream_tbDpT10_ENKUlT_T0_E_clISt17integral_constantIbLb0EES1C_EEDaS17_S18_EUlS17_E_NS1_11comp_targetILNS1_3genE4ELNS1_11target_archE910ELNS1_3gpuE8ELNS1_3repE0EEENS1_30default_config_static_selectorELNS0_4arch9wavefront6targetE1EEEvT1_.kd
    .uniform_work_group_size: 1
    .uses_dynamic_stack: false
    .vgpr_count:     0
    .vgpr_spill_count: 0
    .wavefront_size: 64
  - .agpr_count:     0
    .args:
      - .offset:         0
        .size:           120
        .value_kind:     by_value
    .group_segment_fixed_size: 0
    .kernarg_segment_align: 8
    .kernarg_segment_size: 120
    .language:       OpenCL C
    .language_version:
      - 2
      - 0
    .max_flat_workgroup_size: 512
    .name:           _ZN7rocprim17ROCPRIM_400000_NS6detail17trampoline_kernelINS0_14default_configENS1_25partition_config_selectorILNS1_17partition_subalgoE8ElNS0_10empty_typeEbEEZZNS1_14partition_implILS5_8ELb0ES3_jPlPS6_PKS6_NS0_5tupleIJS9_S6_EEENSD_IJSA_SA_EEENS0_18inequality_wrapperIZN2at6native12_GLOBAL__N_124unique_dim_cuda_templateImEESt5tupleIJNSH_6TensorESM_SM_EERKSM_lbbbEUlllE0_EEPmJS6_EEE10hipError_tPvRmT3_T4_T5_T6_T7_T9_mT8_P12ihipStream_tbDpT10_ENKUlT_T0_E_clISt17integral_constantIbLb0EES1C_EEDaS17_S18_EUlS17_E_NS1_11comp_targetILNS1_3genE3ELNS1_11target_archE908ELNS1_3gpuE7ELNS1_3repE0EEENS1_30default_config_static_selectorELNS0_4arch9wavefront6targetE1EEEvT1_
    .private_segment_fixed_size: 0
    .sgpr_count:     6
    .sgpr_spill_count: 0
    .symbol:         _ZN7rocprim17ROCPRIM_400000_NS6detail17trampoline_kernelINS0_14default_configENS1_25partition_config_selectorILNS1_17partition_subalgoE8ElNS0_10empty_typeEbEEZZNS1_14partition_implILS5_8ELb0ES3_jPlPS6_PKS6_NS0_5tupleIJS9_S6_EEENSD_IJSA_SA_EEENS0_18inequality_wrapperIZN2at6native12_GLOBAL__N_124unique_dim_cuda_templateImEESt5tupleIJNSH_6TensorESM_SM_EERKSM_lbbbEUlllE0_EEPmJS6_EEE10hipError_tPvRmT3_T4_T5_T6_T7_T9_mT8_P12ihipStream_tbDpT10_ENKUlT_T0_E_clISt17integral_constantIbLb0EES1C_EEDaS17_S18_EUlS17_E_NS1_11comp_targetILNS1_3genE3ELNS1_11target_archE908ELNS1_3gpuE7ELNS1_3repE0EEENS1_30default_config_static_selectorELNS0_4arch9wavefront6targetE1EEEvT1_.kd
    .uniform_work_group_size: 1
    .uses_dynamic_stack: false
    .vgpr_count:     0
    .vgpr_spill_count: 0
    .wavefront_size: 64
  - .agpr_count:     0
    .args:
      - .offset:         0
        .size:           120
        .value_kind:     by_value
    .group_segment_fixed_size: 0
    .kernarg_segment_align: 8
    .kernarg_segment_size: 120
    .language:       OpenCL C
    .language_version:
      - 2
      - 0
    .max_flat_workgroup_size: 256
    .name:           _ZN7rocprim17ROCPRIM_400000_NS6detail17trampoline_kernelINS0_14default_configENS1_25partition_config_selectorILNS1_17partition_subalgoE8ElNS0_10empty_typeEbEEZZNS1_14partition_implILS5_8ELb0ES3_jPlPS6_PKS6_NS0_5tupleIJS9_S6_EEENSD_IJSA_SA_EEENS0_18inequality_wrapperIZN2at6native12_GLOBAL__N_124unique_dim_cuda_templateImEESt5tupleIJNSH_6TensorESM_SM_EERKSM_lbbbEUlllE0_EEPmJS6_EEE10hipError_tPvRmT3_T4_T5_T6_T7_T9_mT8_P12ihipStream_tbDpT10_ENKUlT_T0_E_clISt17integral_constantIbLb0EES1C_EEDaS17_S18_EUlS17_E_NS1_11comp_targetILNS1_3genE2ELNS1_11target_archE906ELNS1_3gpuE6ELNS1_3repE0EEENS1_30default_config_static_selectorELNS0_4arch9wavefront6targetE1EEEvT1_
    .private_segment_fixed_size: 0
    .sgpr_count:     6
    .sgpr_spill_count: 0
    .symbol:         _ZN7rocprim17ROCPRIM_400000_NS6detail17trampoline_kernelINS0_14default_configENS1_25partition_config_selectorILNS1_17partition_subalgoE8ElNS0_10empty_typeEbEEZZNS1_14partition_implILS5_8ELb0ES3_jPlPS6_PKS6_NS0_5tupleIJS9_S6_EEENSD_IJSA_SA_EEENS0_18inequality_wrapperIZN2at6native12_GLOBAL__N_124unique_dim_cuda_templateImEESt5tupleIJNSH_6TensorESM_SM_EERKSM_lbbbEUlllE0_EEPmJS6_EEE10hipError_tPvRmT3_T4_T5_T6_T7_T9_mT8_P12ihipStream_tbDpT10_ENKUlT_T0_E_clISt17integral_constantIbLb0EES1C_EEDaS17_S18_EUlS17_E_NS1_11comp_targetILNS1_3genE2ELNS1_11target_archE906ELNS1_3gpuE6ELNS1_3repE0EEENS1_30default_config_static_selectorELNS0_4arch9wavefront6targetE1EEEvT1_.kd
    .uniform_work_group_size: 1
    .uses_dynamic_stack: false
    .vgpr_count:     0
    .vgpr_spill_count: 0
    .wavefront_size: 64
  - .agpr_count:     0
    .args:
      - .offset:         0
        .size:           120
        .value_kind:     by_value
    .group_segment_fixed_size: 0
    .kernarg_segment_align: 8
    .kernarg_segment_size: 120
    .language:       OpenCL C
    .language_version:
      - 2
      - 0
    .max_flat_workgroup_size: 384
    .name:           _ZN7rocprim17ROCPRIM_400000_NS6detail17trampoline_kernelINS0_14default_configENS1_25partition_config_selectorILNS1_17partition_subalgoE8ElNS0_10empty_typeEbEEZZNS1_14partition_implILS5_8ELb0ES3_jPlPS6_PKS6_NS0_5tupleIJS9_S6_EEENSD_IJSA_SA_EEENS0_18inequality_wrapperIZN2at6native12_GLOBAL__N_124unique_dim_cuda_templateImEESt5tupleIJNSH_6TensorESM_SM_EERKSM_lbbbEUlllE0_EEPmJS6_EEE10hipError_tPvRmT3_T4_T5_T6_T7_T9_mT8_P12ihipStream_tbDpT10_ENKUlT_T0_E_clISt17integral_constantIbLb0EES1C_EEDaS17_S18_EUlS17_E_NS1_11comp_targetILNS1_3genE10ELNS1_11target_archE1200ELNS1_3gpuE4ELNS1_3repE0EEENS1_30default_config_static_selectorELNS0_4arch9wavefront6targetE1EEEvT1_
    .private_segment_fixed_size: 0
    .sgpr_count:     6
    .sgpr_spill_count: 0
    .symbol:         _ZN7rocprim17ROCPRIM_400000_NS6detail17trampoline_kernelINS0_14default_configENS1_25partition_config_selectorILNS1_17partition_subalgoE8ElNS0_10empty_typeEbEEZZNS1_14partition_implILS5_8ELb0ES3_jPlPS6_PKS6_NS0_5tupleIJS9_S6_EEENSD_IJSA_SA_EEENS0_18inequality_wrapperIZN2at6native12_GLOBAL__N_124unique_dim_cuda_templateImEESt5tupleIJNSH_6TensorESM_SM_EERKSM_lbbbEUlllE0_EEPmJS6_EEE10hipError_tPvRmT3_T4_T5_T6_T7_T9_mT8_P12ihipStream_tbDpT10_ENKUlT_T0_E_clISt17integral_constantIbLb0EES1C_EEDaS17_S18_EUlS17_E_NS1_11comp_targetILNS1_3genE10ELNS1_11target_archE1200ELNS1_3gpuE4ELNS1_3repE0EEENS1_30default_config_static_selectorELNS0_4arch9wavefront6targetE1EEEvT1_.kd
    .uniform_work_group_size: 1
    .uses_dynamic_stack: false
    .vgpr_count:     0
    .vgpr_spill_count: 0
    .wavefront_size: 64
  - .agpr_count:     0
    .args:
      - .offset:         0
        .size:           120
        .value_kind:     by_value
    .group_segment_fixed_size: 0
    .kernarg_segment_align: 8
    .kernarg_segment_size: 120
    .language:       OpenCL C
    .language_version:
      - 2
      - 0
    .max_flat_workgroup_size: 512
    .name:           _ZN7rocprim17ROCPRIM_400000_NS6detail17trampoline_kernelINS0_14default_configENS1_25partition_config_selectorILNS1_17partition_subalgoE8ElNS0_10empty_typeEbEEZZNS1_14partition_implILS5_8ELb0ES3_jPlPS6_PKS6_NS0_5tupleIJS9_S6_EEENSD_IJSA_SA_EEENS0_18inequality_wrapperIZN2at6native12_GLOBAL__N_124unique_dim_cuda_templateImEESt5tupleIJNSH_6TensorESM_SM_EERKSM_lbbbEUlllE0_EEPmJS6_EEE10hipError_tPvRmT3_T4_T5_T6_T7_T9_mT8_P12ihipStream_tbDpT10_ENKUlT_T0_E_clISt17integral_constantIbLb0EES1C_EEDaS17_S18_EUlS17_E_NS1_11comp_targetILNS1_3genE9ELNS1_11target_archE1100ELNS1_3gpuE3ELNS1_3repE0EEENS1_30default_config_static_selectorELNS0_4arch9wavefront6targetE1EEEvT1_
    .private_segment_fixed_size: 0
    .sgpr_count:     6
    .sgpr_spill_count: 0
    .symbol:         _ZN7rocprim17ROCPRIM_400000_NS6detail17trampoline_kernelINS0_14default_configENS1_25partition_config_selectorILNS1_17partition_subalgoE8ElNS0_10empty_typeEbEEZZNS1_14partition_implILS5_8ELb0ES3_jPlPS6_PKS6_NS0_5tupleIJS9_S6_EEENSD_IJSA_SA_EEENS0_18inequality_wrapperIZN2at6native12_GLOBAL__N_124unique_dim_cuda_templateImEESt5tupleIJNSH_6TensorESM_SM_EERKSM_lbbbEUlllE0_EEPmJS6_EEE10hipError_tPvRmT3_T4_T5_T6_T7_T9_mT8_P12ihipStream_tbDpT10_ENKUlT_T0_E_clISt17integral_constantIbLb0EES1C_EEDaS17_S18_EUlS17_E_NS1_11comp_targetILNS1_3genE9ELNS1_11target_archE1100ELNS1_3gpuE3ELNS1_3repE0EEENS1_30default_config_static_selectorELNS0_4arch9wavefront6targetE1EEEvT1_.kd
    .uniform_work_group_size: 1
    .uses_dynamic_stack: false
    .vgpr_count:     0
    .vgpr_spill_count: 0
    .wavefront_size: 64
  - .agpr_count:     0
    .args:
      - .offset:         0
        .size:           120
        .value_kind:     by_value
    .group_segment_fixed_size: 0
    .kernarg_segment_align: 8
    .kernarg_segment_size: 120
    .language:       OpenCL C
    .language_version:
      - 2
      - 0
    .max_flat_workgroup_size: 512
    .name:           _ZN7rocprim17ROCPRIM_400000_NS6detail17trampoline_kernelINS0_14default_configENS1_25partition_config_selectorILNS1_17partition_subalgoE8ElNS0_10empty_typeEbEEZZNS1_14partition_implILS5_8ELb0ES3_jPlPS6_PKS6_NS0_5tupleIJS9_S6_EEENSD_IJSA_SA_EEENS0_18inequality_wrapperIZN2at6native12_GLOBAL__N_124unique_dim_cuda_templateImEESt5tupleIJNSH_6TensorESM_SM_EERKSM_lbbbEUlllE0_EEPmJS6_EEE10hipError_tPvRmT3_T4_T5_T6_T7_T9_mT8_P12ihipStream_tbDpT10_ENKUlT_T0_E_clISt17integral_constantIbLb0EES1C_EEDaS17_S18_EUlS17_E_NS1_11comp_targetILNS1_3genE8ELNS1_11target_archE1030ELNS1_3gpuE2ELNS1_3repE0EEENS1_30default_config_static_selectorELNS0_4arch9wavefront6targetE1EEEvT1_
    .private_segment_fixed_size: 0
    .sgpr_count:     6
    .sgpr_spill_count: 0
    .symbol:         _ZN7rocprim17ROCPRIM_400000_NS6detail17trampoline_kernelINS0_14default_configENS1_25partition_config_selectorILNS1_17partition_subalgoE8ElNS0_10empty_typeEbEEZZNS1_14partition_implILS5_8ELb0ES3_jPlPS6_PKS6_NS0_5tupleIJS9_S6_EEENSD_IJSA_SA_EEENS0_18inequality_wrapperIZN2at6native12_GLOBAL__N_124unique_dim_cuda_templateImEESt5tupleIJNSH_6TensorESM_SM_EERKSM_lbbbEUlllE0_EEPmJS6_EEE10hipError_tPvRmT3_T4_T5_T6_T7_T9_mT8_P12ihipStream_tbDpT10_ENKUlT_T0_E_clISt17integral_constantIbLb0EES1C_EEDaS17_S18_EUlS17_E_NS1_11comp_targetILNS1_3genE8ELNS1_11target_archE1030ELNS1_3gpuE2ELNS1_3repE0EEENS1_30default_config_static_selectorELNS0_4arch9wavefront6targetE1EEEvT1_.kd
    .uniform_work_group_size: 1
    .uses_dynamic_stack: false
    .vgpr_count:     0
    .vgpr_spill_count: 0
    .wavefront_size: 64
  - .agpr_count:     0
    .args:
      - .offset:         0
        .size:           136
        .value_kind:     by_value
    .group_segment_fixed_size: 0
    .kernarg_segment_align: 8
    .kernarg_segment_size: 136
    .language:       OpenCL C
    .language_version:
      - 2
      - 0
    .max_flat_workgroup_size: 512
    .name:           _ZN7rocprim17ROCPRIM_400000_NS6detail17trampoline_kernelINS0_14default_configENS1_25partition_config_selectorILNS1_17partition_subalgoE8ElNS0_10empty_typeEbEEZZNS1_14partition_implILS5_8ELb0ES3_jPlPS6_PKS6_NS0_5tupleIJS9_S6_EEENSD_IJSA_SA_EEENS0_18inequality_wrapperIZN2at6native12_GLOBAL__N_124unique_dim_cuda_templateImEESt5tupleIJNSH_6TensorESM_SM_EERKSM_lbbbEUlllE0_EEPmJS6_EEE10hipError_tPvRmT3_T4_T5_T6_T7_T9_mT8_P12ihipStream_tbDpT10_ENKUlT_T0_E_clISt17integral_constantIbLb1EES1C_EEDaS17_S18_EUlS17_E_NS1_11comp_targetILNS1_3genE0ELNS1_11target_archE4294967295ELNS1_3gpuE0ELNS1_3repE0EEENS1_30default_config_static_selectorELNS0_4arch9wavefront6targetE1EEEvT1_
    .private_segment_fixed_size: 0
    .sgpr_count:     6
    .sgpr_spill_count: 0
    .symbol:         _ZN7rocprim17ROCPRIM_400000_NS6detail17trampoline_kernelINS0_14default_configENS1_25partition_config_selectorILNS1_17partition_subalgoE8ElNS0_10empty_typeEbEEZZNS1_14partition_implILS5_8ELb0ES3_jPlPS6_PKS6_NS0_5tupleIJS9_S6_EEENSD_IJSA_SA_EEENS0_18inequality_wrapperIZN2at6native12_GLOBAL__N_124unique_dim_cuda_templateImEESt5tupleIJNSH_6TensorESM_SM_EERKSM_lbbbEUlllE0_EEPmJS6_EEE10hipError_tPvRmT3_T4_T5_T6_T7_T9_mT8_P12ihipStream_tbDpT10_ENKUlT_T0_E_clISt17integral_constantIbLb1EES1C_EEDaS17_S18_EUlS17_E_NS1_11comp_targetILNS1_3genE0ELNS1_11target_archE4294967295ELNS1_3gpuE0ELNS1_3repE0EEENS1_30default_config_static_selectorELNS0_4arch9wavefront6targetE1EEEvT1_.kd
    .uniform_work_group_size: 1
    .uses_dynamic_stack: false
    .vgpr_count:     0
    .vgpr_spill_count: 0
    .wavefront_size: 64
  - .agpr_count:     0
    .args:
      - .offset:         0
        .size:           136
        .value_kind:     by_value
    .group_segment_fixed_size: 0
    .kernarg_segment_align: 8
    .kernarg_segment_size: 136
    .language:       OpenCL C
    .language_version:
      - 2
      - 0
    .max_flat_workgroup_size: 512
    .name:           _ZN7rocprim17ROCPRIM_400000_NS6detail17trampoline_kernelINS0_14default_configENS1_25partition_config_selectorILNS1_17partition_subalgoE8ElNS0_10empty_typeEbEEZZNS1_14partition_implILS5_8ELb0ES3_jPlPS6_PKS6_NS0_5tupleIJS9_S6_EEENSD_IJSA_SA_EEENS0_18inequality_wrapperIZN2at6native12_GLOBAL__N_124unique_dim_cuda_templateImEESt5tupleIJNSH_6TensorESM_SM_EERKSM_lbbbEUlllE0_EEPmJS6_EEE10hipError_tPvRmT3_T4_T5_T6_T7_T9_mT8_P12ihipStream_tbDpT10_ENKUlT_T0_E_clISt17integral_constantIbLb1EES1C_EEDaS17_S18_EUlS17_E_NS1_11comp_targetILNS1_3genE5ELNS1_11target_archE942ELNS1_3gpuE9ELNS1_3repE0EEENS1_30default_config_static_selectorELNS0_4arch9wavefront6targetE1EEEvT1_
    .private_segment_fixed_size: 0
    .sgpr_count:     6
    .sgpr_spill_count: 0
    .symbol:         _ZN7rocprim17ROCPRIM_400000_NS6detail17trampoline_kernelINS0_14default_configENS1_25partition_config_selectorILNS1_17partition_subalgoE8ElNS0_10empty_typeEbEEZZNS1_14partition_implILS5_8ELb0ES3_jPlPS6_PKS6_NS0_5tupleIJS9_S6_EEENSD_IJSA_SA_EEENS0_18inequality_wrapperIZN2at6native12_GLOBAL__N_124unique_dim_cuda_templateImEESt5tupleIJNSH_6TensorESM_SM_EERKSM_lbbbEUlllE0_EEPmJS6_EEE10hipError_tPvRmT3_T4_T5_T6_T7_T9_mT8_P12ihipStream_tbDpT10_ENKUlT_T0_E_clISt17integral_constantIbLb1EES1C_EEDaS17_S18_EUlS17_E_NS1_11comp_targetILNS1_3genE5ELNS1_11target_archE942ELNS1_3gpuE9ELNS1_3repE0EEENS1_30default_config_static_selectorELNS0_4arch9wavefront6targetE1EEEvT1_.kd
    .uniform_work_group_size: 1
    .uses_dynamic_stack: false
    .vgpr_count:     0
    .vgpr_spill_count: 0
    .wavefront_size: 64
  - .agpr_count:     0
    .args:
      - .offset:         0
        .size:           136
        .value_kind:     by_value
    .group_segment_fixed_size: 0
    .kernarg_segment_align: 8
    .kernarg_segment_size: 136
    .language:       OpenCL C
    .language_version:
      - 2
      - 0
    .max_flat_workgroup_size: 256
    .name:           _ZN7rocprim17ROCPRIM_400000_NS6detail17trampoline_kernelINS0_14default_configENS1_25partition_config_selectorILNS1_17partition_subalgoE8ElNS0_10empty_typeEbEEZZNS1_14partition_implILS5_8ELb0ES3_jPlPS6_PKS6_NS0_5tupleIJS9_S6_EEENSD_IJSA_SA_EEENS0_18inequality_wrapperIZN2at6native12_GLOBAL__N_124unique_dim_cuda_templateImEESt5tupleIJNSH_6TensorESM_SM_EERKSM_lbbbEUlllE0_EEPmJS6_EEE10hipError_tPvRmT3_T4_T5_T6_T7_T9_mT8_P12ihipStream_tbDpT10_ENKUlT_T0_E_clISt17integral_constantIbLb1EES1C_EEDaS17_S18_EUlS17_E_NS1_11comp_targetILNS1_3genE4ELNS1_11target_archE910ELNS1_3gpuE8ELNS1_3repE0EEENS1_30default_config_static_selectorELNS0_4arch9wavefront6targetE1EEEvT1_
    .private_segment_fixed_size: 0
    .sgpr_count:     6
    .sgpr_spill_count: 0
    .symbol:         _ZN7rocprim17ROCPRIM_400000_NS6detail17trampoline_kernelINS0_14default_configENS1_25partition_config_selectorILNS1_17partition_subalgoE8ElNS0_10empty_typeEbEEZZNS1_14partition_implILS5_8ELb0ES3_jPlPS6_PKS6_NS0_5tupleIJS9_S6_EEENSD_IJSA_SA_EEENS0_18inequality_wrapperIZN2at6native12_GLOBAL__N_124unique_dim_cuda_templateImEESt5tupleIJNSH_6TensorESM_SM_EERKSM_lbbbEUlllE0_EEPmJS6_EEE10hipError_tPvRmT3_T4_T5_T6_T7_T9_mT8_P12ihipStream_tbDpT10_ENKUlT_T0_E_clISt17integral_constantIbLb1EES1C_EEDaS17_S18_EUlS17_E_NS1_11comp_targetILNS1_3genE4ELNS1_11target_archE910ELNS1_3gpuE8ELNS1_3repE0EEENS1_30default_config_static_selectorELNS0_4arch9wavefront6targetE1EEEvT1_.kd
    .uniform_work_group_size: 1
    .uses_dynamic_stack: false
    .vgpr_count:     0
    .vgpr_spill_count: 0
    .wavefront_size: 64
  - .agpr_count:     0
    .args:
      - .offset:         0
        .size:           136
        .value_kind:     by_value
    .group_segment_fixed_size: 0
    .kernarg_segment_align: 8
    .kernarg_segment_size: 136
    .language:       OpenCL C
    .language_version:
      - 2
      - 0
    .max_flat_workgroup_size: 512
    .name:           _ZN7rocprim17ROCPRIM_400000_NS6detail17trampoline_kernelINS0_14default_configENS1_25partition_config_selectorILNS1_17partition_subalgoE8ElNS0_10empty_typeEbEEZZNS1_14partition_implILS5_8ELb0ES3_jPlPS6_PKS6_NS0_5tupleIJS9_S6_EEENSD_IJSA_SA_EEENS0_18inequality_wrapperIZN2at6native12_GLOBAL__N_124unique_dim_cuda_templateImEESt5tupleIJNSH_6TensorESM_SM_EERKSM_lbbbEUlllE0_EEPmJS6_EEE10hipError_tPvRmT3_T4_T5_T6_T7_T9_mT8_P12ihipStream_tbDpT10_ENKUlT_T0_E_clISt17integral_constantIbLb1EES1C_EEDaS17_S18_EUlS17_E_NS1_11comp_targetILNS1_3genE3ELNS1_11target_archE908ELNS1_3gpuE7ELNS1_3repE0EEENS1_30default_config_static_selectorELNS0_4arch9wavefront6targetE1EEEvT1_
    .private_segment_fixed_size: 0
    .sgpr_count:     6
    .sgpr_spill_count: 0
    .symbol:         _ZN7rocprim17ROCPRIM_400000_NS6detail17trampoline_kernelINS0_14default_configENS1_25partition_config_selectorILNS1_17partition_subalgoE8ElNS0_10empty_typeEbEEZZNS1_14partition_implILS5_8ELb0ES3_jPlPS6_PKS6_NS0_5tupleIJS9_S6_EEENSD_IJSA_SA_EEENS0_18inequality_wrapperIZN2at6native12_GLOBAL__N_124unique_dim_cuda_templateImEESt5tupleIJNSH_6TensorESM_SM_EERKSM_lbbbEUlllE0_EEPmJS6_EEE10hipError_tPvRmT3_T4_T5_T6_T7_T9_mT8_P12ihipStream_tbDpT10_ENKUlT_T0_E_clISt17integral_constantIbLb1EES1C_EEDaS17_S18_EUlS17_E_NS1_11comp_targetILNS1_3genE3ELNS1_11target_archE908ELNS1_3gpuE7ELNS1_3repE0EEENS1_30default_config_static_selectorELNS0_4arch9wavefront6targetE1EEEvT1_.kd
    .uniform_work_group_size: 1
    .uses_dynamic_stack: false
    .vgpr_count:     0
    .vgpr_spill_count: 0
    .wavefront_size: 64
  - .agpr_count:     0
    .args:
      - .offset:         0
        .size:           136
        .value_kind:     by_value
    .group_segment_fixed_size: 0
    .kernarg_segment_align: 8
    .kernarg_segment_size: 136
    .language:       OpenCL C
    .language_version:
      - 2
      - 0
    .max_flat_workgroup_size: 256
    .name:           _ZN7rocprim17ROCPRIM_400000_NS6detail17trampoline_kernelINS0_14default_configENS1_25partition_config_selectorILNS1_17partition_subalgoE8ElNS0_10empty_typeEbEEZZNS1_14partition_implILS5_8ELb0ES3_jPlPS6_PKS6_NS0_5tupleIJS9_S6_EEENSD_IJSA_SA_EEENS0_18inequality_wrapperIZN2at6native12_GLOBAL__N_124unique_dim_cuda_templateImEESt5tupleIJNSH_6TensorESM_SM_EERKSM_lbbbEUlllE0_EEPmJS6_EEE10hipError_tPvRmT3_T4_T5_T6_T7_T9_mT8_P12ihipStream_tbDpT10_ENKUlT_T0_E_clISt17integral_constantIbLb1EES1C_EEDaS17_S18_EUlS17_E_NS1_11comp_targetILNS1_3genE2ELNS1_11target_archE906ELNS1_3gpuE6ELNS1_3repE0EEENS1_30default_config_static_selectorELNS0_4arch9wavefront6targetE1EEEvT1_
    .private_segment_fixed_size: 0
    .sgpr_count:     6
    .sgpr_spill_count: 0
    .symbol:         _ZN7rocprim17ROCPRIM_400000_NS6detail17trampoline_kernelINS0_14default_configENS1_25partition_config_selectorILNS1_17partition_subalgoE8ElNS0_10empty_typeEbEEZZNS1_14partition_implILS5_8ELb0ES3_jPlPS6_PKS6_NS0_5tupleIJS9_S6_EEENSD_IJSA_SA_EEENS0_18inequality_wrapperIZN2at6native12_GLOBAL__N_124unique_dim_cuda_templateImEESt5tupleIJNSH_6TensorESM_SM_EERKSM_lbbbEUlllE0_EEPmJS6_EEE10hipError_tPvRmT3_T4_T5_T6_T7_T9_mT8_P12ihipStream_tbDpT10_ENKUlT_T0_E_clISt17integral_constantIbLb1EES1C_EEDaS17_S18_EUlS17_E_NS1_11comp_targetILNS1_3genE2ELNS1_11target_archE906ELNS1_3gpuE6ELNS1_3repE0EEENS1_30default_config_static_selectorELNS0_4arch9wavefront6targetE1EEEvT1_.kd
    .uniform_work_group_size: 1
    .uses_dynamic_stack: false
    .vgpr_count:     0
    .vgpr_spill_count: 0
    .wavefront_size: 64
  - .agpr_count:     0
    .args:
      - .offset:         0
        .size:           136
        .value_kind:     by_value
    .group_segment_fixed_size: 0
    .kernarg_segment_align: 8
    .kernarg_segment_size: 136
    .language:       OpenCL C
    .language_version:
      - 2
      - 0
    .max_flat_workgroup_size: 384
    .name:           _ZN7rocprim17ROCPRIM_400000_NS6detail17trampoline_kernelINS0_14default_configENS1_25partition_config_selectorILNS1_17partition_subalgoE8ElNS0_10empty_typeEbEEZZNS1_14partition_implILS5_8ELb0ES3_jPlPS6_PKS6_NS0_5tupleIJS9_S6_EEENSD_IJSA_SA_EEENS0_18inequality_wrapperIZN2at6native12_GLOBAL__N_124unique_dim_cuda_templateImEESt5tupleIJNSH_6TensorESM_SM_EERKSM_lbbbEUlllE0_EEPmJS6_EEE10hipError_tPvRmT3_T4_T5_T6_T7_T9_mT8_P12ihipStream_tbDpT10_ENKUlT_T0_E_clISt17integral_constantIbLb1EES1C_EEDaS17_S18_EUlS17_E_NS1_11comp_targetILNS1_3genE10ELNS1_11target_archE1200ELNS1_3gpuE4ELNS1_3repE0EEENS1_30default_config_static_selectorELNS0_4arch9wavefront6targetE1EEEvT1_
    .private_segment_fixed_size: 0
    .sgpr_count:     6
    .sgpr_spill_count: 0
    .symbol:         _ZN7rocprim17ROCPRIM_400000_NS6detail17trampoline_kernelINS0_14default_configENS1_25partition_config_selectorILNS1_17partition_subalgoE8ElNS0_10empty_typeEbEEZZNS1_14partition_implILS5_8ELb0ES3_jPlPS6_PKS6_NS0_5tupleIJS9_S6_EEENSD_IJSA_SA_EEENS0_18inequality_wrapperIZN2at6native12_GLOBAL__N_124unique_dim_cuda_templateImEESt5tupleIJNSH_6TensorESM_SM_EERKSM_lbbbEUlllE0_EEPmJS6_EEE10hipError_tPvRmT3_T4_T5_T6_T7_T9_mT8_P12ihipStream_tbDpT10_ENKUlT_T0_E_clISt17integral_constantIbLb1EES1C_EEDaS17_S18_EUlS17_E_NS1_11comp_targetILNS1_3genE10ELNS1_11target_archE1200ELNS1_3gpuE4ELNS1_3repE0EEENS1_30default_config_static_selectorELNS0_4arch9wavefront6targetE1EEEvT1_.kd
    .uniform_work_group_size: 1
    .uses_dynamic_stack: false
    .vgpr_count:     0
    .vgpr_spill_count: 0
    .wavefront_size: 64
  - .agpr_count:     0
    .args:
      - .offset:         0
        .size:           136
        .value_kind:     by_value
    .group_segment_fixed_size: 0
    .kernarg_segment_align: 8
    .kernarg_segment_size: 136
    .language:       OpenCL C
    .language_version:
      - 2
      - 0
    .max_flat_workgroup_size: 512
    .name:           _ZN7rocprim17ROCPRIM_400000_NS6detail17trampoline_kernelINS0_14default_configENS1_25partition_config_selectorILNS1_17partition_subalgoE8ElNS0_10empty_typeEbEEZZNS1_14partition_implILS5_8ELb0ES3_jPlPS6_PKS6_NS0_5tupleIJS9_S6_EEENSD_IJSA_SA_EEENS0_18inequality_wrapperIZN2at6native12_GLOBAL__N_124unique_dim_cuda_templateImEESt5tupleIJNSH_6TensorESM_SM_EERKSM_lbbbEUlllE0_EEPmJS6_EEE10hipError_tPvRmT3_T4_T5_T6_T7_T9_mT8_P12ihipStream_tbDpT10_ENKUlT_T0_E_clISt17integral_constantIbLb1EES1C_EEDaS17_S18_EUlS17_E_NS1_11comp_targetILNS1_3genE9ELNS1_11target_archE1100ELNS1_3gpuE3ELNS1_3repE0EEENS1_30default_config_static_selectorELNS0_4arch9wavefront6targetE1EEEvT1_
    .private_segment_fixed_size: 0
    .sgpr_count:     6
    .sgpr_spill_count: 0
    .symbol:         _ZN7rocprim17ROCPRIM_400000_NS6detail17trampoline_kernelINS0_14default_configENS1_25partition_config_selectorILNS1_17partition_subalgoE8ElNS0_10empty_typeEbEEZZNS1_14partition_implILS5_8ELb0ES3_jPlPS6_PKS6_NS0_5tupleIJS9_S6_EEENSD_IJSA_SA_EEENS0_18inequality_wrapperIZN2at6native12_GLOBAL__N_124unique_dim_cuda_templateImEESt5tupleIJNSH_6TensorESM_SM_EERKSM_lbbbEUlllE0_EEPmJS6_EEE10hipError_tPvRmT3_T4_T5_T6_T7_T9_mT8_P12ihipStream_tbDpT10_ENKUlT_T0_E_clISt17integral_constantIbLb1EES1C_EEDaS17_S18_EUlS17_E_NS1_11comp_targetILNS1_3genE9ELNS1_11target_archE1100ELNS1_3gpuE3ELNS1_3repE0EEENS1_30default_config_static_selectorELNS0_4arch9wavefront6targetE1EEEvT1_.kd
    .uniform_work_group_size: 1
    .uses_dynamic_stack: false
    .vgpr_count:     0
    .vgpr_spill_count: 0
    .wavefront_size: 64
  - .agpr_count:     0
    .args:
      - .offset:         0
        .size:           136
        .value_kind:     by_value
    .group_segment_fixed_size: 0
    .kernarg_segment_align: 8
    .kernarg_segment_size: 136
    .language:       OpenCL C
    .language_version:
      - 2
      - 0
    .max_flat_workgroup_size: 512
    .name:           _ZN7rocprim17ROCPRIM_400000_NS6detail17trampoline_kernelINS0_14default_configENS1_25partition_config_selectorILNS1_17partition_subalgoE8ElNS0_10empty_typeEbEEZZNS1_14partition_implILS5_8ELb0ES3_jPlPS6_PKS6_NS0_5tupleIJS9_S6_EEENSD_IJSA_SA_EEENS0_18inequality_wrapperIZN2at6native12_GLOBAL__N_124unique_dim_cuda_templateImEESt5tupleIJNSH_6TensorESM_SM_EERKSM_lbbbEUlllE0_EEPmJS6_EEE10hipError_tPvRmT3_T4_T5_T6_T7_T9_mT8_P12ihipStream_tbDpT10_ENKUlT_T0_E_clISt17integral_constantIbLb1EES1C_EEDaS17_S18_EUlS17_E_NS1_11comp_targetILNS1_3genE8ELNS1_11target_archE1030ELNS1_3gpuE2ELNS1_3repE0EEENS1_30default_config_static_selectorELNS0_4arch9wavefront6targetE1EEEvT1_
    .private_segment_fixed_size: 0
    .sgpr_count:     6
    .sgpr_spill_count: 0
    .symbol:         _ZN7rocprim17ROCPRIM_400000_NS6detail17trampoline_kernelINS0_14default_configENS1_25partition_config_selectorILNS1_17partition_subalgoE8ElNS0_10empty_typeEbEEZZNS1_14partition_implILS5_8ELb0ES3_jPlPS6_PKS6_NS0_5tupleIJS9_S6_EEENSD_IJSA_SA_EEENS0_18inequality_wrapperIZN2at6native12_GLOBAL__N_124unique_dim_cuda_templateImEESt5tupleIJNSH_6TensorESM_SM_EERKSM_lbbbEUlllE0_EEPmJS6_EEE10hipError_tPvRmT3_T4_T5_T6_T7_T9_mT8_P12ihipStream_tbDpT10_ENKUlT_T0_E_clISt17integral_constantIbLb1EES1C_EEDaS17_S18_EUlS17_E_NS1_11comp_targetILNS1_3genE8ELNS1_11target_archE1030ELNS1_3gpuE2ELNS1_3repE0EEENS1_30default_config_static_selectorELNS0_4arch9wavefront6targetE1EEEvT1_.kd
    .uniform_work_group_size: 1
    .uses_dynamic_stack: false
    .vgpr_count:     0
    .vgpr_spill_count: 0
    .wavefront_size: 64
  - .agpr_count:     0
    .args:
      - .offset:         0
        .size:           120
        .value_kind:     by_value
    .group_segment_fixed_size: 0
    .kernarg_segment_align: 8
    .kernarg_segment_size: 120
    .language:       OpenCL C
    .language_version:
      - 2
      - 0
    .max_flat_workgroup_size: 512
    .name:           _ZN7rocprim17ROCPRIM_400000_NS6detail17trampoline_kernelINS0_14default_configENS1_25partition_config_selectorILNS1_17partition_subalgoE8ElNS0_10empty_typeEbEEZZNS1_14partition_implILS5_8ELb0ES3_jPlPS6_PKS6_NS0_5tupleIJS9_S6_EEENSD_IJSA_SA_EEENS0_18inequality_wrapperIZN2at6native12_GLOBAL__N_124unique_dim_cuda_templateImEESt5tupleIJNSH_6TensorESM_SM_EERKSM_lbbbEUlllE0_EEPmJS6_EEE10hipError_tPvRmT3_T4_T5_T6_T7_T9_mT8_P12ihipStream_tbDpT10_ENKUlT_T0_E_clISt17integral_constantIbLb1EES1B_IbLb0EEEEDaS17_S18_EUlS17_E_NS1_11comp_targetILNS1_3genE0ELNS1_11target_archE4294967295ELNS1_3gpuE0ELNS1_3repE0EEENS1_30default_config_static_selectorELNS0_4arch9wavefront6targetE1EEEvT1_
    .private_segment_fixed_size: 0
    .sgpr_count:     6
    .sgpr_spill_count: 0
    .symbol:         _ZN7rocprim17ROCPRIM_400000_NS6detail17trampoline_kernelINS0_14default_configENS1_25partition_config_selectorILNS1_17partition_subalgoE8ElNS0_10empty_typeEbEEZZNS1_14partition_implILS5_8ELb0ES3_jPlPS6_PKS6_NS0_5tupleIJS9_S6_EEENSD_IJSA_SA_EEENS0_18inequality_wrapperIZN2at6native12_GLOBAL__N_124unique_dim_cuda_templateImEESt5tupleIJNSH_6TensorESM_SM_EERKSM_lbbbEUlllE0_EEPmJS6_EEE10hipError_tPvRmT3_T4_T5_T6_T7_T9_mT8_P12ihipStream_tbDpT10_ENKUlT_T0_E_clISt17integral_constantIbLb1EES1B_IbLb0EEEEDaS17_S18_EUlS17_E_NS1_11comp_targetILNS1_3genE0ELNS1_11target_archE4294967295ELNS1_3gpuE0ELNS1_3repE0EEENS1_30default_config_static_selectorELNS0_4arch9wavefront6targetE1EEEvT1_.kd
    .uniform_work_group_size: 1
    .uses_dynamic_stack: false
    .vgpr_count:     0
    .vgpr_spill_count: 0
    .wavefront_size: 64
  - .agpr_count:     0
    .args:
      - .offset:         0
        .size:           120
        .value_kind:     by_value
    .group_segment_fixed_size: 0
    .kernarg_segment_align: 8
    .kernarg_segment_size: 120
    .language:       OpenCL C
    .language_version:
      - 2
      - 0
    .max_flat_workgroup_size: 512
    .name:           _ZN7rocprim17ROCPRIM_400000_NS6detail17trampoline_kernelINS0_14default_configENS1_25partition_config_selectorILNS1_17partition_subalgoE8ElNS0_10empty_typeEbEEZZNS1_14partition_implILS5_8ELb0ES3_jPlPS6_PKS6_NS0_5tupleIJS9_S6_EEENSD_IJSA_SA_EEENS0_18inequality_wrapperIZN2at6native12_GLOBAL__N_124unique_dim_cuda_templateImEESt5tupleIJNSH_6TensorESM_SM_EERKSM_lbbbEUlllE0_EEPmJS6_EEE10hipError_tPvRmT3_T4_T5_T6_T7_T9_mT8_P12ihipStream_tbDpT10_ENKUlT_T0_E_clISt17integral_constantIbLb1EES1B_IbLb0EEEEDaS17_S18_EUlS17_E_NS1_11comp_targetILNS1_3genE5ELNS1_11target_archE942ELNS1_3gpuE9ELNS1_3repE0EEENS1_30default_config_static_selectorELNS0_4arch9wavefront6targetE1EEEvT1_
    .private_segment_fixed_size: 0
    .sgpr_count:     6
    .sgpr_spill_count: 0
    .symbol:         _ZN7rocprim17ROCPRIM_400000_NS6detail17trampoline_kernelINS0_14default_configENS1_25partition_config_selectorILNS1_17partition_subalgoE8ElNS0_10empty_typeEbEEZZNS1_14partition_implILS5_8ELb0ES3_jPlPS6_PKS6_NS0_5tupleIJS9_S6_EEENSD_IJSA_SA_EEENS0_18inequality_wrapperIZN2at6native12_GLOBAL__N_124unique_dim_cuda_templateImEESt5tupleIJNSH_6TensorESM_SM_EERKSM_lbbbEUlllE0_EEPmJS6_EEE10hipError_tPvRmT3_T4_T5_T6_T7_T9_mT8_P12ihipStream_tbDpT10_ENKUlT_T0_E_clISt17integral_constantIbLb1EES1B_IbLb0EEEEDaS17_S18_EUlS17_E_NS1_11comp_targetILNS1_3genE5ELNS1_11target_archE942ELNS1_3gpuE9ELNS1_3repE0EEENS1_30default_config_static_selectorELNS0_4arch9wavefront6targetE1EEEvT1_.kd
    .uniform_work_group_size: 1
    .uses_dynamic_stack: false
    .vgpr_count:     0
    .vgpr_spill_count: 0
    .wavefront_size: 64
  - .agpr_count:     0
    .args:
      - .offset:         0
        .size:           120
        .value_kind:     by_value
    .group_segment_fixed_size: 0
    .kernarg_segment_align: 8
    .kernarg_segment_size: 120
    .language:       OpenCL C
    .language_version:
      - 2
      - 0
    .max_flat_workgroup_size: 256
    .name:           _ZN7rocprim17ROCPRIM_400000_NS6detail17trampoline_kernelINS0_14default_configENS1_25partition_config_selectorILNS1_17partition_subalgoE8ElNS0_10empty_typeEbEEZZNS1_14partition_implILS5_8ELb0ES3_jPlPS6_PKS6_NS0_5tupleIJS9_S6_EEENSD_IJSA_SA_EEENS0_18inequality_wrapperIZN2at6native12_GLOBAL__N_124unique_dim_cuda_templateImEESt5tupleIJNSH_6TensorESM_SM_EERKSM_lbbbEUlllE0_EEPmJS6_EEE10hipError_tPvRmT3_T4_T5_T6_T7_T9_mT8_P12ihipStream_tbDpT10_ENKUlT_T0_E_clISt17integral_constantIbLb1EES1B_IbLb0EEEEDaS17_S18_EUlS17_E_NS1_11comp_targetILNS1_3genE4ELNS1_11target_archE910ELNS1_3gpuE8ELNS1_3repE0EEENS1_30default_config_static_selectorELNS0_4arch9wavefront6targetE1EEEvT1_
    .private_segment_fixed_size: 0
    .sgpr_count:     6
    .sgpr_spill_count: 0
    .symbol:         _ZN7rocprim17ROCPRIM_400000_NS6detail17trampoline_kernelINS0_14default_configENS1_25partition_config_selectorILNS1_17partition_subalgoE8ElNS0_10empty_typeEbEEZZNS1_14partition_implILS5_8ELb0ES3_jPlPS6_PKS6_NS0_5tupleIJS9_S6_EEENSD_IJSA_SA_EEENS0_18inequality_wrapperIZN2at6native12_GLOBAL__N_124unique_dim_cuda_templateImEESt5tupleIJNSH_6TensorESM_SM_EERKSM_lbbbEUlllE0_EEPmJS6_EEE10hipError_tPvRmT3_T4_T5_T6_T7_T9_mT8_P12ihipStream_tbDpT10_ENKUlT_T0_E_clISt17integral_constantIbLb1EES1B_IbLb0EEEEDaS17_S18_EUlS17_E_NS1_11comp_targetILNS1_3genE4ELNS1_11target_archE910ELNS1_3gpuE8ELNS1_3repE0EEENS1_30default_config_static_selectorELNS0_4arch9wavefront6targetE1EEEvT1_.kd
    .uniform_work_group_size: 1
    .uses_dynamic_stack: false
    .vgpr_count:     0
    .vgpr_spill_count: 0
    .wavefront_size: 64
  - .agpr_count:     0
    .args:
      - .offset:         0
        .size:           120
        .value_kind:     by_value
    .group_segment_fixed_size: 0
    .kernarg_segment_align: 8
    .kernarg_segment_size: 120
    .language:       OpenCL C
    .language_version:
      - 2
      - 0
    .max_flat_workgroup_size: 512
    .name:           _ZN7rocprim17ROCPRIM_400000_NS6detail17trampoline_kernelINS0_14default_configENS1_25partition_config_selectorILNS1_17partition_subalgoE8ElNS0_10empty_typeEbEEZZNS1_14partition_implILS5_8ELb0ES3_jPlPS6_PKS6_NS0_5tupleIJS9_S6_EEENSD_IJSA_SA_EEENS0_18inequality_wrapperIZN2at6native12_GLOBAL__N_124unique_dim_cuda_templateImEESt5tupleIJNSH_6TensorESM_SM_EERKSM_lbbbEUlllE0_EEPmJS6_EEE10hipError_tPvRmT3_T4_T5_T6_T7_T9_mT8_P12ihipStream_tbDpT10_ENKUlT_T0_E_clISt17integral_constantIbLb1EES1B_IbLb0EEEEDaS17_S18_EUlS17_E_NS1_11comp_targetILNS1_3genE3ELNS1_11target_archE908ELNS1_3gpuE7ELNS1_3repE0EEENS1_30default_config_static_selectorELNS0_4arch9wavefront6targetE1EEEvT1_
    .private_segment_fixed_size: 0
    .sgpr_count:     6
    .sgpr_spill_count: 0
    .symbol:         _ZN7rocprim17ROCPRIM_400000_NS6detail17trampoline_kernelINS0_14default_configENS1_25partition_config_selectorILNS1_17partition_subalgoE8ElNS0_10empty_typeEbEEZZNS1_14partition_implILS5_8ELb0ES3_jPlPS6_PKS6_NS0_5tupleIJS9_S6_EEENSD_IJSA_SA_EEENS0_18inequality_wrapperIZN2at6native12_GLOBAL__N_124unique_dim_cuda_templateImEESt5tupleIJNSH_6TensorESM_SM_EERKSM_lbbbEUlllE0_EEPmJS6_EEE10hipError_tPvRmT3_T4_T5_T6_T7_T9_mT8_P12ihipStream_tbDpT10_ENKUlT_T0_E_clISt17integral_constantIbLb1EES1B_IbLb0EEEEDaS17_S18_EUlS17_E_NS1_11comp_targetILNS1_3genE3ELNS1_11target_archE908ELNS1_3gpuE7ELNS1_3repE0EEENS1_30default_config_static_selectorELNS0_4arch9wavefront6targetE1EEEvT1_.kd
    .uniform_work_group_size: 1
    .uses_dynamic_stack: false
    .vgpr_count:     0
    .vgpr_spill_count: 0
    .wavefront_size: 64
  - .agpr_count:     0
    .args:
      - .offset:         0
        .size:           120
        .value_kind:     by_value
    .group_segment_fixed_size: 0
    .kernarg_segment_align: 8
    .kernarg_segment_size: 120
    .language:       OpenCL C
    .language_version:
      - 2
      - 0
    .max_flat_workgroup_size: 256
    .name:           _ZN7rocprim17ROCPRIM_400000_NS6detail17trampoline_kernelINS0_14default_configENS1_25partition_config_selectorILNS1_17partition_subalgoE8ElNS0_10empty_typeEbEEZZNS1_14partition_implILS5_8ELb0ES3_jPlPS6_PKS6_NS0_5tupleIJS9_S6_EEENSD_IJSA_SA_EEENS0_18inequality_wrapperIZN2at6native12_GLOBAL__N_124unique_dim_cuda_templateImEESt5tupleIJNSH_6TensorESM_SM_EERKSM_lbbbEUlllE0_EEPmJS6_EEE10hipError_tPvRmT3_T4_T5_T6_T7_T9_mT8_P12ihipStream_tbDpT10_ENKUlT_T0_E_clISt17integral_constantIbLb1EES1B_IbLb0EEEEDaS17_S18_EUlS17_E_NS1_11comp_targetILNS1_3genE2ELNS1_11target_archE906ELNS1_3gpuE6ELNS1_3repE0EEENS1_30default_config_static_selectorELNS0_4arch9wavefront6targetE1EEEvT1_
    .private_segment_fixed_size: 0
    .sgpr_count:     6
    .sgpr_spill_count: 0
    .symbol:         _ZN7rocprim17ROCPRIM_400000_NS6detail17trampoline_kernelINS0_14default_configENS1_25partition_config_selectorILNS1_17partition_subalgoE8ElNS0_10empty_typeEbEEZZNS1_14partition_implILS5_8ELb0ES3_jPlPS6_PKS6_NS0_5tupleIJS9_S6_EEENSD_IJSA_SA_EEENS0_18inequality_wrapperIZN2at6native12_GLOBAL__N_124unique_dim_cuda_templateImEESt5tupleIJNSH_6TensorESM_SM_EERKSM_lbbbEUlllE0_EEPmJS6_EEE10hipError_tPvRmT3_T4_T5_T6_T7_T9_mT8_P12ihipStream_tbDpT10_ENKUlT_T0_E_clISt17integral_constantIbLb1EES1B_IbLb0EEEEDaS17_S18_EUlS17_E_NS1_11comp_targetILNS1_3genE2ELNS1_11target_archE906ELNS1_3gpuE6ELNS1_3repE0EEENS1_30default_config_static_selectorELNS0_4arch9wavefront6targetE1EEEvT1_.kd
    .uniform_work_group_size: 1
    .uses_dynamic_stack: false
    .vgpr_count:     0
    .vgpr_spill_count: 0
    .wavefront_size: 64
  - .agpr_count:     0
    .args:
      - .offset:         0
        .size:           120
        .value_kind:     by_value
    .group_segment_fixed_size: 0
    .kernarg_segment_align: 8
    .kernarg_segment_size: 120
    .language:       OpenCL C
    .language_version:
      - 2
      - 0
    .max_flat_workgroup_size: 384
    .name:           _ZN7rocprim17ROCPRIM_400000_NS6detail17trampoline_kernelINS0_14default_configENS1_25partition_config_selectorILNS1_17partition_subalgoE8ElNS0_10empty_typeEbEEZZNS1_14partition_implILS5_8ELb0ES3_jPlPS6_PKS6_NS0_5tupleIJS9_S6_EEENSD_IJSA_SA_EEENS0_18inequality_wrapperIZN2at6native12_GLOBAL__N_124unique_dim_cuda_templateImEESt5tupleIJNSH_6TensorESM_SM_EERKSM_lbbbEUlllE0_EEPmJS6_EEE10hipError_tPvRmT3_T4_T5_T6_T7_T9_mT8_P12ihipStream_tbDpT10_ENKUlT_T0_E_clISt17integral_constantIbLb1EES1B_IbLb0EEEEDaS17_S18_EUlS17_E_NS1_11comp_targetILNS1_3genE10ELNS1_11target_archE1200ELNS1_3gpuE4ELNS1_3repE0EEENS1_30default_config_static_selectorELNS0_4arch9wavefront6targetE1EEEvT1_
    .private_segment_fixed_size: 0
    .sgpr_count:     6
    .sgpr_spill_count: 0
    .symbol:         _ZN7rocprim17ROCPRIM_400000_NS6detail17trampoline_kernelINS0_14default_configENS1_25partition_config_selectorILNS1_17partition_subalgoE8ElNS0_10empty_typeEbEEZZNS1_14partition_implILS5_8ELb0ES3_jPlPS6_PKS6_NS0_5tupleIJS9_S6_EEENSD_IJSA_SA_EEENS0_18inequality_wrapperIZN2at6native12_GLOBAL__N_124unique_dim_cuda_templateImEESt5tupleIJNSH_6TensorESM_SM_EERKSM_lbbbEUlllE0_EEPmJS6_EEE10hipError_tPvRmT3_T4_T5_T6_T7_T9_mT8_P12ihipStream_tbDpT10_ENKUlT_T0_E_clISt17integral_constantIbLb1EES1B_IbLb0EEEEDaS17_S18_EUlS17_E_NS1_11comp_targetILNS1_3genE10ELNS1_11target_archE1200ELNS1_3gpuE4ELNS1_3repE0EEENS1_30default_config_static_selectorELNS0_4arch9wavefront6targetE1EEEvT1_.kd
    .uniform_work_group_size: 1
    .uses_dynamic_stack: false
    .vgpr_count:     0
    .vgpr_spill_count: 0
    .wavefront_size: 64
  - .agpr_count:     0
    .args:
      - .offset:         0
        .size:           120
        .value_kind:     by_value
    .group_segment_fixed_size: 0
    .kernarg_segment_align: 8
    .kernarg_segment_size: 120
    .language:       OpenCL C
    .language_version:
      - 2
      - 0
    .max_flat_workgroup_size: 512
    .name:           _ZN7rocprim17ROCPRIM_400000_NS6detail17trampoline_kernelINS0_14default_configENS1_25partition_config_selectorILNS1_17partition_subalgoE8ElNS0_10empty_typeEbEEZZNS1_14partition_implILS5_8ELb0ES3_jPlPS6_PKS6_NS0_5tupleIJS9_S6_EEENSD_IJSA_SA_EEENS0_18inequality_wrapperIZN2at6native12_GLOBAL__N_124unique_dim_cuda_templateImEESt5tupleIJNSH_6TensorESM_SM_EERKSM_lbbbEUlllE0_EEPmJS6_EEE10hipError_tPvRmT3_T4_T5_T6_T7_T9_mT8_P12ihipStream_tbDpT10_ENKUlT_T0_E_clISt17integral_constantIbLb1EES1B_IbLb0EEEEDaS17_S18_EUlS17_E_NS1_11comp_targetILNS1_3genE9ELNS1_11target_archE1100ELNS1_3gpuE3ELNS1_3repE0EEENS1_30default_config_static_selectorELNS0_4arch9wavefront6targetE1EEEvT1_
    .private_segment_fixed_size: 0
    .sgpr_count:     6
    .sgpr_spill_count: 0
    .symbol:         _ZN7rocprim17ROCPRIM_400000_NS6detail17trampoline_kernelINS0_14default_configENS1_25partition_config_selectorILNS1_17partition_subalgoE8ElNS0_10empty_typeEbEEZZNS1_14partition_implILS5_8ELb0ES3_jPlPS6_PKS6_NS0_5tupleIJS9_S6_EEENSD_IJSA_SA_EEENS0_18inequality_wrapperIZN2at6native12_GLOBAL__N_124unique_dim_cuda_templateImEESt5tupleIJNSH_6TensorESM_SM_EERKSM_lbbbEUlllE0_EEPmJS6_EEE10hipError_tPvRmT3_T4_T5_T6_T7_T9_mT8_P12ihipStream_tbDpT10_ENKUlT_T0_E_clISt17integral_constantIbLb1EES1B_IbLb0EEEEDaS17_S18_EUlS17_E_NS1_11comp_targetILNS1_3genE9ELNS1_11target_archE1100ELNS1_3gpuE3ELNS1_3repE0EEENS1_30default_config_static_selectorELNS0_4arch9wavefront6targetE1EEEvT1_.kd
    .uniform_work_group_size: 1
    .uses_dynamic_stack: false
    .vgpr_count:     0
    .vgpr_spill_count: 0
    .wavefront_size: 64
  - .agpr_count:     0
    .args:
      - .offset:         0
        .size:           120
        .value_kind:     by_value
    .group_segment_fixed_size: 0
    .kernarg_segment_align: 8
    .kernarg_segment_size: 120
    .language:       OpenCL C
    .language_version:
      - 2
      - 0
    .max_flat_workgroup_size: 512
    .name:           _ZN7rocprim17ROCPRIM_400000_NS6detail17trampoline_kernelINS0_14default_configENS1_25partition_config_selectorILNS1_17partition_subalgoE8ElNS0_10empty_typeEbEEZZNS1_14partition_implILS5_8ELb0ES3_jPlPS6_PKS6_NS0_5tupleIJS9_S6_EEENSD_IJSA_SA_EEENS0_18inequality_wrapperIZN2at6native12_GLOBAL__N_124unique_dim_cuda_templateImEESt5tupleIJNSH_6TensorESM_SM_EERKSM_lbbbEUlllE0_EEPmJS6_EEE10hipError_tPvRmT3_T4_T5_T6_T7_T9_mT8_P12ihipStream_tbDpT10_ENKUlT_T0_E_clISt17integral_constantIbLb1EES1B_IbLb0EEEEDaS17_S18_EUlS17_E_NS1_11comp_targetILNS1_3genE8ELNS1_11target_archE1030ELNS1_3gpuE2ELNS1_3repE0EEENS1_30default_config_static_selectorELNS0_4arch9wavefront6targetE1EEEvT1_
    .private_segment_fixed_size: 0
    .sgpr_count:     6
    .sgpr_spill_count: 0
    .symbol:         _ZN7rocprim17ROCPRIM_400000_NS6detail17trampoline_kernelINS0_14default_configENS1_25partition_config_selectorILNS1_17partition_subalgoE8ElNS0_10empty_typeEbEEZZNS1_14partition_implILS5_8ELb0ES3_jPlPS6_PKS6_NS0_5tupleIJS9_S6_EEENSD_IJSA_SA_EEENS0_18inequality_wrapperIZN2at6native12_GLOBAL__N_124unique_dim_cuda_templateImEESt5tupleIJNSH_6TensorESM_SM_EERKSM_lbbbEUlllE0_EEPmJS6_EEE10hipError_tPvRmT3_T4_T5_T6_T7_T9_mT8_P12ihipStream_tbDpT10_ENKUlT_T0_E_clISt17integral_constantIbLb1EES1B_IbLb0EEEEDaS17_S18_EUlS17_E_NS1_11comp_targetILNS1_3genE8ELNS1_11target_archE1030ELNS1_3gpuE2ELNS1_3repE0EEENS1_30default_config_static_selectorELNS0_4arch9wavefront6targetE1EEEvT1_.kd
    .uniform_work_group_size: 1
    .uses_dynamic_stack: false
    .vgpr_count:     0
    .vgpr_spill_count: 0
    .wavefront_size: 64
  - .agpr_count:     0
    .args:
      - .offset:         0
        .size:           136
        .value_kind:     by_value
    .group_segment_fixed_size: 28680
    .kernarg_segment_align: 8
    .kernarg_segment_size: 136
    .language:       OpenCL C
    .language_version:
      - 2
      - 0
    .max_flat_workgroup_size: 512
    .name:           _ZN7rocprim17ROCPRIM_400000_NS6detail17trampoline_kernelINS0_14default_configENS1_25partition_config_selectorILNS1_17partition_subalgoE8ElNS0_10empty_typeEbEEZZNS1_14partition_implILS5_8ELb0ES3_jPlPS6_PKS6_NS0_5tupleIJS9_S6_EEENSD_IJSA_SA_EEENS0_18inequality_wrapperIZN2at6native12_GLOBAL__N_124unique_dim_cuda_templateImEESt5tupleIJNSH_6TensorESM_SM_EERKSM_lbbbEUlllE0_EEPmJS6_EEE10hipError_tPvRmT3_T4_T5_T6_T7_T9_mT8_P12ihipStream_tbDpT10_ENKUlT_T0_E_clISt17integral_constantIbLb0EES1B_IbLb1EEEEDaS17_S18_EUlS17_E_NS1_11comp_targetILNS1_3genE0ELNS1_11target_archE4294967295ELNS1_3gpuE0ELNS1_3repE0EEENS1_30default_config_static_selectorELNS0_4arch9wavefront6targetE1EEEvT1_
    .private_segment_fixed_size: 0
    .sgpr_count:     60
    .sgpr_spill_count: 0
    .symbol:         _ZN7rocprim17ROCPRIM_400000_NS6detail17trampoline_kernelINS0_14default_configENS1_25partition_config_selectorILNS1_17partition_subalgoE8ElNS0_10empty_typeEbEEZZNS1_14partition_implILS5_8ELb0ES3_jPlPS6_PKS6_NS0_5tupleIJS9_S6_EEENSD_IJSA_SA_EEENS0_18inequality_wrapperIZN2at6native12_GLOBAL__N_124unique_dim_cuda_templateImEESt5tupleIJNSH_6TensorESM_SM_EERKSM_lbbbEUlllE0_EEPmJS6_EEE10hipError_tPvRmT3_T4_T5_T6_T7_T9_mT8_P12ihipStream_tbDpT10_ENKUlT_T0_E_clISt17integral_constantIbLb0EES1B_IbLb1EEEEDaS17_S18_EUlS17_E_NS1_11comp_targetILNS1_3genE0ELNS1_11target_archE4294967295ELNS1_3gpuE0ELNS1_3repE0EEENS1_30default_config_static_selectorELNS0_4arch9wavefront6targetE1EEEvT1_.kd
    .uniform_work_group_size: 1
    .uses_dynamic_stack: false
    .vgpr_count:     58
    .vgpr_spill_count: 0
    .wavefront_size: 64
  - .agpr_count:     0
    .args:
      - .offset:         0
        .size:           136
        .value_kind:     by_value
    .group_segment_fixed_size: 0
    .kernarg_segment_align: 8
    .kernarg_segment_size: 136
    .language:       OpenCL C
    .language_version:
      - 2
      - 0
    .max_flat_workgroup_size: 512
    .name:           _ZN7rocprim17ROCPRIM_400000_NS6detail17trampoline_kernelINS0_14default_configENS1_25partition_config_selectorILNS1_17partition_subalgoE8ElNS0_10empty_typeEbEEZZNS1_14partition_implILS5_8ELb0ES3_jPlPS6_PKS6_NS0_5tupleIJS9_S6_EEENSD_IJSA_SA_EEENS0_18inequality_wrapperIZN2at6native12_GLOBAL__N_124unique_dim_cuda_templateImEESt5tupleIJNSH_6TensorESM_SM_EERKSM_lbbbEUlllE0_EEPmJS6_EEE10hipError_tPvRmT3_T4_T5_T6_T7_T9_mT8_P12ihipStream_tbDpT10_ENKUlT_T0_E_clISt17integral_constantIbLb0EES1B_IbLb1EEEEDaS17_S18_EUlS17_E_NS1_11comp_targetILNS1_3genE5ELNS1_11target_archE942ELNS1_3gpuE9ELNS1_3repE0EEENS1_30default_config_static_selectorELNS0_4arch9wavefront6targetE1EEEvT1_
    .private_segment_fixed_size: 0
    .sgpr_count:     6
    .sgpr_spill_count: 0
    .symbol:         _ZN7rocprim17ROCPRIM_400000_NS6detail17trampoline_kernelINS0_14default_configENS1_25partition_config_selectorILNS1_17partition_subalgoE8ElNS0_10empty_typeEbEEZZNS1_14partition_implILS5_8ELb0ES3_jPlPS6_PKS6_NS0_5tupleIJS9_S6_EEENSD_IJSA_SA_EEENS0_18inequality_wrapperIZN2at6native12_GLOBAL__N_124unique_dim_cuda_templateImEESt5tupleIJNSH_6TensorESM_SM_EERKSM_lbbbEUlllE0_EEPmJS6_EEE10hipError_tPvRmT3_T4_T5_T6_T7_T9_mT8_P12ihipStream_tbDpT10_ENKUlT_T0_E_clISt17integral_constantIbLb0EES1B_IbLb1EEEEDaS17_S18_EUlS17_E_NS1_11comp_targetILNS1_3genE5ELNS1_11target_archE942ELNS1_3gpuE9ELNS1_3repE0EEENS1_30default_config_static_selectorELNS0_4arch9wavefront6targetE1EEEvT1_.kd
    .uniform_work_group_size: 1
    .uses_dynamic_stack: false
    .vgpr_count:     0
    .vgpr_spill_count: 0
    .wavefront_size: 64
  - .agpr_count:     0
    .args:
      - .offset:         0
        .size:           136
        .value_kind:     by_value
    .group_segment_fixed_size: 0
    .kernarg_segment_align: 8
    .kernarg_segment_size: 136
    .language:       OpenCL C
    .language_version:
      - 2
      - 0
    .max_flat_workgroup_size: 256
    .name:           _ZN7rocprim17ROCPRIM_400000_NS6detail17trampoline_kernelINS0_14default_configENS1_25partition_config_selectorILNS1_17partition_subalgoE8ElNS0_10empty_typeEbEEZZNS1_14partition_implILS5_8ELb0ES3_jPlPS6_PKS6_NS0_5tupleIJS9_S6_EEENSD_IJSA_SA_EEENS0_18inequality_wrapperIZN2at6native12_GLOBAL__N_124unique_dim_cuda_templateImEESt5tupleIJNSH_6TensorESM_SM_EERKSM_lbbbEUlllE0_EEPmJS6_EEE10hipError_tPvRmT3_T4_T5_T6_T7_T9_mT8_P12ihipStream_tbDpT10_ENKUlT_T0_E_clISt17integral_constantIbLb0EES1B_IbLb1EEEEDaS17_S18_EUlS17_E_NS1_11comp_targetILNS1_3genE4ELNS1_11target_archE910ELNS1_3gpuE8ELNS1_3repE0EEENS1_30default_config_static_selectorELNS0_4arch9wavefront6targetE1EEEvT1_
    .private_segment_fixed_size: 0
    .sgpr_count:     6
    .sgpr_spill_count: 0
    .symbol:         _ZN7rocprim17ROCPRIM_400000_NS6detail17trampoline_kernelINS0_14default_configENS1_25partition_config_selectorILNS1_17partition_subalgoE8ElNS0_10empty_typeEbEEZZNS1_14partition_implILS5_8ELb0ES3_jPlPS6_PKS6_NS0_5tupleIJS9_S6_EEENSD_IJSA_SA_EEENS0_18inequality_wrapperIZN2at6native12_GLOBAL__N_124unique_dim_cuda_templateImEESt5tupleIJNSH_6TensorESM_SM_EERKSM_lbbbEUlllE0_EEPmJS6_EEE10hipError_tPvRmT3_T4_T5_T6_T7_T9_mT8_P12ihipStream_tbDpT10_ENKUlT_T0_E_clISt17integral_constantIbLb0EES1B_IbLb1EEEEDaS17_S18_EUlS17_E_NS1_11comp_targetILNS1_3genE4ELNS1_11target_archE910ELNS1_3gpuE8ELNS1_3repE0EEENS1_30default_config_static_selectorELNS0_4arch9wavefront6targetE1EEEvT1_.kd
    .uniform_work_group_size: 1
    .uses_dynamic_stack: false
    .vgpr_count:     0
    .vgpr_spill_count: 0
    .wavefront_size: 64
  - .agpr_count:     0
    .args:
      - .offset:         0
        .size:           136
        .value_kind:     by_value
    .group_segment_fixed_size: 0
    .kernarg_segment_align: 8
    .kernarg_segment_size: 136
    .language:       OpenCL C
    .language_version:
      - 2
      - 0
    .max_flat_workgroup_size: 512
    .name:           _ZN7rocprim17ROCPRIM_400000_NS6detail17trampoline_kernelINS0_14default_configENS1_25partition_config_selectorILNS1_17partition_subalgoE8ElNS0_10empty_typeEbEEZZNS1_14partition_implILS5_8ELb0ES3_jPlPS6_PKS6_NS0_5tupleIJS9_S6_EEENSD_IJSA_SA_EEENS0_18inequality_wrapperIZN2at6native12_GLOBAL__N_124unique_dim_cuda_templateImEESt5tupleIJNSH_6TensorESM_SM_EERKSM_lbbbEUlllE0_EEPmJS6_EEE10hipError_tPvRmT3_T4_T5_T6_T7_T9_mT8_P12ihipStream_tbDpT10_ENKUlT_T0_E_clISt17integral_constantIbLb0EES1B_IbLb1EEEEDaS17_S18_EUlS17_E_NS1_11comp_targetILNS1_3genE3ELNS1_11target_archE908ELNS1_3gpuE7ELNS1_3repE0EEENS1_30default_config_static_selectorELNS0_4arch9wavefront6targetE1EEEvT1_
    .private_segment_fixed_size: 0
    .sgpr_count:     6
    .sgpr_spill_count: 0
    .symbol:         _ZN7rocprim17ROCPRIM_400000_NS6detail17trampoline_kernelINS0_14default_configENS1_25partition_config_selectorILNS1_17partition_subalgoE8ElNS0_10empty_typeEbEEZZNS1_14partition_implILS5_8ELb0ES3_jPlPS6_PKS6_NS0_5tupleIJS9_S6_EEENSD_IJSA_SA_EEENS0_18inequality_wrapperIZN2at6native12_GLOBAL__N_124unique_dim_cuda_templateImEESt5tupleIJNSH_6TensorESM_SM_EERKSM_lbbbEUlllE0_EEPmJS6_EEE10hipError_tPvRmT3_T4_T5_T6_T7_T9_mT8_P12ihipStream_tbDpT10_ENKUlT_T0_E_clISt17integral_constantIbLb0EES1B_IbLb1EEEEDaS17_S18_EUlS17_E_NS1_11comp_targetILNS1_3genE3ELNS1_11target_archE908ELNS1_3gpuE7ELNS1_3repE0EEENS1_30default_config_static_selectorELNS0_4arch9wavefront6targetE1EEEvT1_.kd
    .uniform_work_group_size: 1
    .uses_dynamic_stack: false
    .vgpr_count:     0
    .vgpr_spill_count: 0
    .wavefront_size: 64
  - .agpr_count:     0
    .args:
      - .offset:         0
        .size:           136
        .value_kind:     by_value
    .group_segment_fixed_size: 0
    .kernarg_segment_align: 8
    .kernarg_segment_size: 136
    .language:       OpenCL C
    .language_version:
      - 2
      - 0
    .max_flat_workgroup_size: 256
    .name:           _ZN7rocprim17ROCPRIM_400000_NS6detail17trampoline_kernelINS0_14default_configENS1_25partition_config_selectorILNS1_17partition_subalgoE8ElNS0_10empty_typeEbEEZZNS1_14partition_implILS5_8ELb0ES3_jPlPS6_PKS6_NS0_5tupleIJS9_S6_EEENSD_IJSA_SA_EEENS0_18inequality_wrapperIZN2at6native12_GLOBAL__N_124unique_dim_cuda_templateImEESt5tupleIJNSH_6TensorESM_SM_EERKSM_lbbbEUlllE0_EEPmJS6_EEE10hipError_tPvRmT3_T4_T5_T6_T7_T9_mT8_P12ihipStream_tbDpT10_ENKUlT_T0_E_clISt17integral_constantIbLb0EES1B_IbLb1EEEEDaS17_S18_EUlS17_E_NS1_11comp_targetILNS1_3genE2ELNS1_11target_archE906ELNS1_3gpuE6ELNS1_3repE0EEENS1_30default_config_static_selectorELNS0_4arch9wavefront6targetE1EEEvT1_
    .private_segment_fixed_size: 0
    .sgpr_count:     6
    .sgpr_spill_count: 0
    .symbol:         _ZN7rocprim17ROCPRIM_400000_NS6detail17trampoline_kernelINS0_14default_configENS1_25partition_config_selectorILNS1_17partition_subalgoE8ElNS0_10empty_typeEbEEZZNS1_14partition_implILS5_8ELb0ES3_jPlPS6_PKS6_NS0_5tupleIJS9_S6_EEENSD_IJSA_SA_EEENS0_18inequality_wrapperIZN2at6native12_GLOBAL__N_124unique_dim_cuda_templateImEESt5tupleIJNSH_6TensorESM_SM_EERKSM_lbbbEUlllE0_EEPmJS6_EEE10hipError_tPvRmT3_T4_T5_T6_T7_T9_mT8_P12ihipStream_tbDpT10_ENKUlT_T0_E_clISt17integral_constantIbLb0EES1B_IbLb1EEEEDaS17_S18_EUlS17_E_NS1_11comp_targetILNS1_3genE2ELNS1_11target_archE906ELNS1_3gpuE6ELNS1_3repE0EEENS1_30default_config_static_selectorELNS0_4arch9wavefront6targetE1EEEvT1_.kd
    .uniform_work_group_size: 1
    .uses_dynamic_stack: false
    .vgpr_count:     0
    .vgpr_spill_count: 0
    .wavefront_size: 64
  - .agpr_count:     0
    .args:
      - .offset:         0
        .size:           136
        .value_kind:     by_value
    .group_segment_fixed_size: 0
    .kernarg_segment_align: 8
    .kernarg_segment_size: 136
    .language:       OpenCL C
    .language_version:
      - 2
      - 0
    .max_flat_workgroup_size: 384
    .name:           _ZN7rocprim17ROCPRIM_400000_NS6detail17trampoline_kernelINS0_14default_configENS1_25partition_config_selectorILNS1_17partition_subalgoE8ElNS0_10empty_typeEbEEZZNS1_14partition_implILS5_8ELb0ES3_jPlPS6_PKS6_NS0_5tupleIJS9_S6_EEENSD_IJSA_SA_EEENS0_18inequality_wrapperIZN2at6native12_GLOBAL__N_124unique_dim_cuda_templateImEESt5tupleIJNSH_6TensorESM_SM_EERKSM_lbbbEUlllE0_EEPmJS6_EEE10hipError_tPvRmT3_T4_T5_T6_T7_T9_mT8_P12ihipStream_tbDpT10_ENKUlT_T0_E_clISt17integral_constantIbLb0EES1B_IbLb1EEEEDaS17_S18_EUlS17_E_NS1_11comp_targetILNS1_3genE10ELNS1_11target_archE1200ELNS1_3gpuE4ELNS1_3repE0EEENS1_30default_config_static_selectorELNS0_4arch9wavefront6targetE1EEEvT1_
    .private_segment_fixed_size: 0
    .sgpr_count:     6
    .sgpr_spill_count: 0
    .symbol:         _ZN7rocprim17ROCPRIM_400000_NS6detail17trampoline_kernelINS0_14default_configENS1_25partition_config_selectorILNS1_17partition_subalgoE8ElNS0_10empty_typeEbEEZZNS1_14partition_implILS5_8ELb0ES3_jPlPS6_PKS6_NS0_5tupleIJS9_S6_EEENSD_IJSA_SA_EEENS0_18inequality_wrapperIZN2at6native12_GLOBAL__N_124unique_dim_cuda_templateImEESt5tupleIJNSH_6TensorESM_SM_EERKSM_lbbbEUlllE0_EEPmJS6_EEE10hipError_tPvRmT3_T4_T5_T6_T7_T9_mT8_P12ihipStream_tbDpT10_ENKUlT_T0_E_clISt17integral_constantIbLb0EES1B_IbLb1EEEEDaS17_S18_EUlS17_E_NS1_11comp_targetILNS1_3genE10ELNS1_11target_archE1200ELNS1_3gpuE4ELNS1_3repE0EEENS1_30default_config_static_selectorELNS0_4arch9wavefront6targetE1EEEvT1_.kd
    .uniform_work_group_size: 1
    .uses_dynamic_stack: false
    .vgpr_count:     0
    .vgpr_spill_count: 0
    .wavefront_size: 64
  - .agpr_count:     0
    .args:
      - .offset:         0
        .size:           136
        .value_kind:     by_value
    .group_segment_fixed_size: 0
    .kernarg_segment_align: 8
    .kernarg_segment_size: 136
    .language:       OpenCL C
    .language_version:
      - 2
      - 0
    .max_flat_workgroup_size: 512
    .name:           _ZN7rocprim17ROCPRIM_400000_NS6detail17trampoline_kernelINS0_14default_configENS1_25partition_config_selectorILNS1_17partition_subalgoE8ElNS0_10empty_typeEbEEZZNS1_14partition_implILS5_8ELb0ES3_jPlPS6_PKS6_NS0_5tupleIJS9_S6_EEENSD_IJSA_SA_EEENS0_18inequality_wrapperIZN2at6native12_GLOBAL__N_124unique_dim_cuda_templateImEESt5tupleIJNSH_6TensorESM_SM_EERKSM_lbbbEUlllE0_EEPmJS6_EEE10hipError_tPvRmT3_T4_T5_T6_T7_T9_mT8_P12ihipStream_tbDpT10_ENKUlT_T0_E_clISt17integral_constantIbLb0EES1B_IbLb1EEEEDaS17_S18_EUlS17_E_NS1_11comp_targetILNS1_3genE9ELNS1_11target_archE1100ELNS1_3gpuE3ELNS1_3repE0EEENS1_30default_config_static_selectorELNS0_4arch9wavefront6targetE1EEEvT1_
    .private_segment_fixed_size: 0
    .sgpr_count:     6
    .sgpr_spill_count: 0
    .symbol:         _ZN7rocprim17ROCPRIM_400000_NS6detail17trampoline_kernelINS0_14default_configENS1_25partition_config_selectorILNS1_17partition_subalgoE8ElNS0_10empty_typeEbEEZZNS1_14partition_implILS5_8ELb0ES3_jPlPS6_PKS6_NS0_5tupleIJS9_S6_EEENSD_IJSA_SA_EEENS0_18inequality_wrapperIZN2at6native12_GLOBAL__N_124unique_dim_cuda_templateImEESt5tupleIJNSH_6TensorESM_SM_EERKSM_lbbbEUlllE0_EEPmJS6_EEE10hipError_tPvRmT3_T4_T5_T6_T7_T9_mT8_P12ihipStream_tbDpT10_ENKUlT_T0_E_clISt17integral_constantIbLb0EES1B_IbLb1EEEEDaS17_S18_EUlS17_E_NS1_11comp_targetILNS1_3genE9ELNS1_11target_archE1100ELNS1_3gpuE3ELNS1_3repE0EEENS1_30default_config_static_selectorELNS0_4arch9wavefront6targetE1EEEvT1_.kd
    .uniform_work_group_size: 1
    .uses_dynamic_stack: false
    .vgpr_count:     0
    .vgpr_spill_count: 0
    .wavefront_size: 64
  - .agpr_count:     0
    .args:
      - .offset:         0
        .size:           136
        .value_kind:     by_value
    .group_segment_fixed_size: 0
    .kernarg_segment_align: 8
    .kernarg_segment_size: 136
    .language:       OpenCL C
    .language_version:
      - 2
      - 0
    .max_flat_workgroup_size: 512
    .name:           _ZN7rocprim17ROCPRIM_400000_NS6detail17trampoline_kernelINS0_14default_configENS1_25partition_config_selectorILNS1_17partition_subalgoE8ElNS0_10empty_typeEbEEZZNS1_14partition_implILS5_8ELb0ES3_jPlPS6_PKS6_NS0_5tupleIJS9_S6_EEENSD_IJSA_SA_EEENS0_18inequality_wrapperIZN2at6native12_GLOBAL__N_124unique_dim_cuda_templateImEESt5tupleIJNSH_6TensorESM_SM_EERKSM_lbbbEUlllE0_EEPmJS6_EEE10hipError_tPvRmT3_T4_T5_T6_T7_T9_mT8_P12ihipStream_tbDpT10_ENKUlT_T0_E_clISt17integral_constantIbLb0EES1B_IbLb1EEEEDaS17_S18_EUlS17_E_NS1_11comp_targetILNS1_3genE8ELNS1_11target_archE1030ELNS1_3gpuE2ELNS1_3repE0EEENS1_30default_config_static_selectorELNS0_4arch9wavefront6targetE1EEEvT1_
    .private_segment_fixed_size: 0
    .sgpr_count:     6
    .sgpr_spill_count: 0
    .symbol:         _ZN7rocprim17ROCPRIM_400000_NS6detail17trampoline_kernelINS0_14default_configENS1_25partition_config_selectorILNS1_17partition_subalgoE8ElNS0_10empty_typeEbEEZZNS1_14partition_implILS5_8ELb0ES3_jPlPS6_PKS6_NS0_5tupleIJS9_S6_EEENSD_IJSA_SA_EEENS0_18inequality_wrapperIZN2at6native12_GLOBAL__N_124unique_dim_cuda_templateImEESt5tupleIJNSH_6TensorESM_SM_EERKSM_lbbbEUlllE0_EEPmJS6_EEE10hipError_tPvRmT3_T4_T5_T6_T7_T9_mT8_P12ihipStream_tbDpT10_ENKUlT_T0_E_clISt17integral_constantIbLb0EES1B_IbLb1EEEEDaS17_S18_EUlS17_E_NS1_11comp_targetILNS1_3genE8ELNS1_11target_archE1030ELNS1_3gpuE2ELNS1_3repE0EEENS1_30default_config_static_selectorELNS0_4arch9wavefront6targetE1EEEvT1_.kd
    .uniform_work_group_size: 1
    .uses_dynamic_stack: false
    .vgpr_count:     0
    .vgpr_spill_count: 0
    .wavefront_size: 64
  - .agpr_count:     0
    .args:
      - .offset:         0
        .size:           120
        .value_kind:     by_value
    .group_segment_fixed_size: 5128
    .kernarg_segment_align: 8
    .kernarg_segment_size: 120
    .language:       OpenCL C
    .language_version:
      - 2
      - 0
    .max_flat_workgroup_size: 128
    .name:           _ZN7rocprim17ROCPRIM_400000_NS6detail17trampoline_kernelINS0_14default_configENS1_25partition_config_selectorILNS1_17partition_subalgoE9EllbEEZZNS1_14partition_implILS5_9ELb0ES3_jPlS8_PNS0_10empty_typeENS0_5tupleIJS8_S9_EEENSB_IJS8_SA_EEENS0_18inequality_wrapperIZN2at6native12_GLOBAL__N_124unique_dim_cuda_templateImEESt5tupleIJNSF_6TensorESK_SK_EERKSK_lbbbEUlllE0_EEPmJS9_EEE10hipError_tPvRmT3_T4_T5_T6_T7_T9_mT8_P12ihipStream_tbDpT10_ENKUlT_T0_E_clISt17integral_constantIbLb0EES1A_EEDaS15_S16_EUlS15_E_NS1_11comp_targetILNS1_3genE0ELNS1_11target_archE4294967295ELNS1_3gpuE0ELNS1_3repE0EEENS1_30default_config_static_selectorELNS0_4arch9wavefront6targetE1EEEvT1_
    .private_segment_fixed_size: 0
    .sgpr_count:     52
    .sgpr_spill_count: 0
    .symbol:         _ZN7rocprim17ROCPRIM_400000_NS6detail17trampoline_kernelINS0_14default_configENS1_25partition_config_selectorILNS1_17partition_subalgoE9EllbEEZZNS1_14partition_implILS5_9ELb0ES3_jPlS8_PNS0_10empty_typeENS0_5tupleIJS8_S9_EEENSB_IJS8_SA_EEENS0_18inequality_wrapperIZN2at6native12_GLOBAL__N_124unique_dim_cuda_templateImEESt5tupleIJNSF_6TensorESK_SK_EERKSK_lbbbEUlllE0_EEPmJS9_EEE10hipError_tPvRmT3_T4_T5_T6_T7_T9_mT8_P12ihipStream_tbDpT10_ENKUlT_T0_E_clISt17integral_constantIbLb0EES1A_EEDaS15_S16_EUlS15_E_NS1_11comp_targetILNS1_3genE0ELNS1_11target_archE4294967295ELNS1_3gpuE0ELNS1_3repE0EEENS1_30default_config_static_selectorELNS0_4arch9wavefront6targetE1EEEvT1_.kd
    .uniform_work_group_size: 1
    .uses_dynamic_stack: false
    .vgpr_count:     60
    .vgpr_spill_count: 0
    .wavefront_size: 64
  - .agpr_count:     0
    .args:
      - .offset:         0
        .size:           120
        .value_kind:     by_value
    .group_segment_fixed_size: 0
    .kernarg_segment_align: 8
    .kernarg_segment_size: 120
    .language:       OpenCL C
    .language_version:
      - 2
      - 0
    .max_flat_workgroup_size: 512
    .name:           _ZN7rocprim17ROCPRIM_400000_NS6detail17trampoline_kernelINS0_14default_configENS1_25partition_config_selectorILNS1_17partition_subalgoE9EllbEEZZNS1_14partition_implILS5_9ELb0ES3_jPlS8_PNS0_10empty_typeENS0_5tupleIJS8_S9_EEENSB_IJS8_SA_EEENS0_18inequality_wrapperIZN2at6native12_GLOBAL__N_124unique_dim_cuda_templateImEESt5tupleIJNSF_6TensorESK_SK_EERKSK_lbbbEUlllE0_EEPmJS9_EEE10hipError_tPvRmT3_T4_T5_T6_T7_T9_mT8_P12ihipStream_tbDpT10_ENKUlT_T0_E_clISt17integral_constantIbLb0EES1A_EEDaS15_S16_EUlS15_E_NS1_11comp_targetILNS1_3genE5ELNS1_11target_archE942ELNS1_3gpuE9ELNS1_3repE0EEENS1_30default_config_static_selectorELNS0_4arch9wavefront6targetE1EEEvT1_
    .private_segment_fixed_size: 0
    .sgpr_count:     6
    .sgpr_spill_count: 0
    .symbol:         _ZN7rocprim17ROCPRIM_400000_NS6detail17trampoline_kernelINS0_14default_configENS1_25partition_config_selectorILNS1_17partition_subalgoE9EllbEEZZNS1_14partition_implILS5_9ELb0ES3_jPlS8_PNS0_10empty_typeENS0_5tupleIJS8_S9_EEENSB_IJS8_SA_EEENS0_18inequality_wrapperIZN2at6native12_GLOBAL__N_124unique_dim_cuda_templateImEESt5tupleIJNSF_6TensorESK_SK_EERKSK_lbbbEUlllE0_EEPmJS9_EEE10hipError_tPvRmT3_T4_T5_T6_T7_T9_mT8_P12ihipStream_tbDpT10_ENKUlT_T0_E_clISt17integral_constantIbLb0EES1A_EEDaS15_S16_EUlS15_E_NS1_11comp_targetILNS1_3genE5ELNS1_11target_archE942ELNS1_3gpuE9ELNS1_3repE0EEENS1_30default_config_static_selectorELNS0_4arch9wavefront6targetE1EEEvT1_.kd
    .uniform_work_group_size: 1
    .uses_dynamic_stack: false
    .vgpr_count:     0
    .vgpr_spill_count: 0
    .wavefront_size: 64
  - .agpr_count:     0
    .args:
      - .offset:         0
        .size:           120
        .value_kind:     by_value
    .group_segment_fixed_size: 0
    .kernarg_segment_align: 8
    .kernarg_segment_size: 120
    .language:       OpenCL C
    .language_version:
      - 2
      - 0
    .max_flat_workgroup_size: 128
    .name:           _ZN7rocprim17ROCPRIM_400000_NS6detail17trampoline_kernelINS0_14default_configENS1_25partition_config_selectorILNS1_17partition_subalgoE9EllbEEZZNS1_14partition_implILS5_9ELb0ES3_jPlS8_PNS0_10empty_typeENS0_5tupleIJS8_S9_EEENSB_IJS8_SA_EEENS0_18inequality_wrapperIZN2at6native12_GLOBAL__N_124unique_dim_cuda_templateImEESt5tupleIJNSF_6TensorESK_SK_EERKSK_lbbbEUlllE0_EEPmJS9_EEE10hipError_tPvRmT3_T4_T5_T6_T7_T9_mT8_P12ihipStream_tbDpT10_ENKUlT_T0_E_clISt17integral_constantIbLb0EES1A_EEDaS15_S16_EUlS15_E_NS1_11comp_targetILNS1_3genE4ELNS1_11target_archE910ELNS1_3gpuE8ELNS1_3repE0EEENS1_30default_config_static_selectorELNS0_4arch9wavefront6targetE1EEEvT1_
    .private_segment_fixed_size: 0
    .sgpr_count:     6
    .sgpr_spill_count: 0
    .symbol:         _ZN7rocprim17ROCPRIM_400000_NS6detail17trampoline_kernelINS0_14default_configENS1_25partition_config_selectorILNS1_17partition_subalgoE9EllbEEZZNS1_14partition_implILS5_9ELb0ES3_jPlS8_PNS0_10empty_typeENS0_5tupleIJS8_S9_EEENSB_IJS8_SA_EEENS0_18inequality_wrapperIZN2at6native12_GLOBAL__N_124unique_dim_cuda_templateImEESt5tupleIJNSF_6TensorESK_SK_EERKSK_lbbbEUlllE0_EEPmJS9_EEE10hipError_tPvRmT3_T4_T5_T6_T7_T9_mT8_P12ihipStream_tbDpT10_ENKUlT_T0_E_clISt17integral_constantIbLb0EES1A_EEDaS15_S16_EUlS15_E_NS1_11comp_targetILNS1_3genE4ELNS1_11target_archE910ELNS1_3gpuE8ELNS1_3repE0EEENS1_30default_config_static_selectorELNS0_4arch9wavefront6targetE1EEEvT1_.kd
    .uniform_work_group_size: 1
    .uses_dynamic_stack: false
    .vgpr_count:     0
    .vgpr_spill_count: 0
    .wavefront_size: 64
  - .agpr_count:     0
    .args:
      - .offset:         0
        .size:           120
        .value_kind:     by_value
    .group_segment_fixed_size: 0
    .kernarg_segment_align: 8
    .kernarg_segment_size: 120
    .language:       OpenCL C
    .language_version:
      - 2
      - 0
    .max_flat_workgroup_size: 128
    .name:           _ZN7rocprim17ROCPRIM_400000_NS6detail17trampoline_kernelINS0_14default_configENS1_25partition_config_selectorILNS1_17partition_subalgoE9EllbEEZZNS1_14partition_implILS5_9ELb0ES3_jPlS8_PNS0_10empty_typeENS0_5tupleIJS8_S9_EEENSB_IJS8_SA_EEENS0_18inequality_wrapperIZN2at6native12_GLOBAL__N_124unique_dim_cuda_templateImEESt5tupleIJNSF_6TensorESK_SK_EERKSK_lbbbEUlllE0_EEPmJS9_EEE10hipError_tPvRmT3_T4_T5_T6_T7_T9_mT8_P12ihipStream_tbDpT10_ENKUlT_T0_E_clISt17integral_constantIbLb0EES1A_EEDaS15_S16_EUlS15_E_NS1_11comp_targetILNS1_3genE3ELNS1_11target_archE908ELNS1_3gpuE7ELNS1_3repE0EEENS1_30default_config_static_selectorELNS0_4arch9wavefront6targetE1EEEvT1_
    .private_segment_fixed_size: 0
    .sgpr_count:     6
    .sgpr_spill_count: 0
    .symbol:         _ZN7rocprim17ROCPRIM_400000_NS6detail17trampoline_kernelINS0_14default_configENS1_25partition_config_selectorILNS1_17partition_subalgoE9EllbEEZZNS1_14partition_implILS5_9ELb0ES3_jPlS8_PNS0_10empty_typeENS0_5tupleIJS8_S9_EEENSB_IJS8_SA_EEENS0_18inequality_wrapperIZN2at6native12_GLOBAL__N_124unique_dim_cuda_templateImEESt5tupleIJNSF_6TensorESK_SK_EERKSK_lbbbEUlllE0_EEPmJS9_EEE10hipError_tPvRmT3_T4_T5_T6_T7_T9_mT8_P12ihipStream_tbDpT10_ENKUlT_T0_E_clISt17integral_constantIbLb0EES1A_EEDaS15_S16_EUlS15_E_NS1_11comp_targetILNS1_3genE3ELNS1_11target_archE908ELNS1_3gpuE7ELNS1_3repE0EEENS1_30default_config_static_selectorELNS0_4arch9wavefront6targetE1EEEvT1_.kd
    .uniform_work_group_size: 1
    .uses_dynamic_stack: false
    .vgpr_count:     0
    .vgpr_spill_count: 0
    .wavefront_size: 64
  - .agpr_count:     0
    .args:
      - .offset:         0
        .size:           120
        .value_kind:     by_value
    .group_segment_fixed_size: 0
    .kernarg_segment_align: 8
    .kernarg_segment_size: 120
    .language:       OpenCL C
    .language_version:
      - 2
      - 0
    .max_flat_workgroup_size: 192
    .name:           _ZN7rocprim17ROCPRIM_400000_NS6detail17trampoline_kernelINS0_14default_configENS1_25partition_config_selectorILNS1_17partition_subalgoE9EllbEEZZNS1_14partition_implILS5_9ELb0ES3_jPlS8_PNS0_10empty_typeENS0_5tupleIJS8_S9_EEENSB_IJS8_SA_EEENS0_18inequality_wrapperIZN2at6native12_GLOBAL__N_124unique_dim_cuda_templateImEESt5tupleIJNSF_6TensorESK_SK_EERKSK_lbbbEUlllE0_EEPmJS9_EEE10hipError_tPvRmT3_T4_T5_T6_T7_T9_mT8_P12ihipStream_tbDpT10_ENKUlT_T0_E_clISt17integral_constantIbLb0EES1A_EEDaS15_S16_EUlS15_E_NS1_11comp_targetILNS1_3genE2ELNS1_11target_archE906ELNS1_3gpuE6ELNS1_3repE0EEENS1_30default_config_static_selectorELNS0_4arch9wavefront6targetE1EEEvT1_
    .private_segment_fixed_size: 0
    .sgpr_count:     6
    .sgpr_spill_count: 0
    .symbol:         _ZN7rocprim17ROCPRIM_400000_NS6detail17trampoline_kernelINS0_14default_configENS1_25partition_config_selectorILNS1_17partition_subalgoE9EllbEEZZNS1_14partition_implILS5_9ELb0ES3_jPlS8_PNS0_10empty_typeENS0_5tupleIJS8_S9_EEENSB_IJS8_SA_EEENS0_18inequality_wrapperIZN2at6native12_GLOBAL__N_124unique_dim_cuda_templateImEESt5tupleIJNSF_6TensorESK_SK_EERKSK_lbbbEUlllE0_EEPmJS9_EEE10hipError_tPvRmT3_T4_T5_T6_T7_T9_mT8_P12ihipStream_tbDpT10_ENKUlT_T0_E_clISt17integral_constantIbLb0EES1A_EEDaS15_S16_EUlS15_E_NS1_11comp_targetILNS1_3genE2ELNS1_11target_archE906ELNS1_3gpuE6ELNS1_3repE0EEENS1_30default_config_static_selectorELNS0_4arch9wavefront6targetE1EEEvT1_.kd
    .uniform_work_group_size: 1
    .uses_dynamic_stack: false
    .vgpr_count:     0
    .vgpr_spill_count: 0
    .wavefront_size: 64
  - .agpr_count:     0
    .args:
      - .offset:         0
        .size:           120
        .value_kind:     by_value
    .group_segment_fixed_size: 0
    .kernarg_segment_align: 8
    .kernarg_segment_size: 120
    .language:       OpenCL C
    .language_version:
      - 2
      - 0
    .max_flat_workgroup_size: 384
    .name:           _ZN7rocprim17ROCPRIM_400000_NS6detail17trampoline_kernelINS0_14default_configENS1_25partition_config_selectorILNS1_17partition_subalgoE9EllbEEZZNS1_14partition_implILS5_9ELb0ES3_jPlS8_PNS0_10empty_typeENS0_5tupleIJS8_S9_EEENSB_IJS8_SA_EEENS0_18inequality_wrapperIZN2at6native12_GLOBAL__N_124unique_dim_cuda_templateImEESt5tupleIJNSF_6TensorESK_SK_EERKSK_lbbbEUlllE0_EEPmJS9_EEE10hipError_tPvRmT3_T4_T5_T6_T7_T9_mT8_P12ihipStream_tbDpT10_ENKUlT_T0_E_clISt17integral_constantIbLb0EES1A_EEDaS15_S16_EUlS15_E_NS1_11comp_targetILNS1_3genE10ELNS1_11target_archE1200ELNS1_3gpuE4ELNS1_3repE0EEENS1_30default_config_static_selectorELNS0_4arch9wavefront6targetE1EEEvT1_
    .private_segment_fixed_size: 0
    .sgpr_count:     6
    .sgpr_spill_count: 0
    .symbol:         _ZN7rocprim17ROCPRIM_400000_NS6detail17trampoline_kernelINS0_14default_configENS1_25partition_config_selectorILNS1_17partition_subalgoE9EllbEEZZNS1_14partition_implILS5_9ELb0ES3_jPlS8_PNS0_10empty_typeENS0_5tupleIJS8_S9_EEENSB_IJS8_SA_EEENS0_18inequality_wrapperIZN2at6native12_GLOBAL__N_124unique_dim_cuda_templateImEESt5tupleIJNSF_6TensorESK_SK_EERKSK_lbbbEUlllE0_EEPmJS9_EEE10hipError_tPvRmT3_T4_T5_T6_T7_T9_mT8_P12ihipStream_tbDpT10_ENKUlT_T0_E_clISt17integral_constantIbLb0EES1A_EEDaS15_S16_EUlS15_E_NS1_11comp_targetILNS1_3genE10ELNS1_11target_archE1200ELNS1_3gpuE4ELNS1_3repE0EEENS1_30default_config_static_selectorELNS0_4arch9wavefront6targetE1EEEvT1_.kd
    .uniform_work_group_size: 1
    .uses_dynamic_stack: false
    .vgpr_count:     0
    .vgpr_spill_count: 0
    .wavefront_size: 64
  - .agpr_count:     0
    .args:
      - .offset:         0
        .size:           120
        .value_kind:     by_value
    .group_segment_fixed_size: 0
    .kernarg_segment_align: 8
    .kernarg_segment_size: 120
    .language:       OpenCL C
    .language_version:
      - 2
      - 0
    .max_flat_workgroup_size: 512
    .name:           _ZN7rocprim17ROCPRIM_400000_NS6detail17trampoline_kernelINS0_14default_configENS1_25partition_config_selectorILNS1_17partition_subalgoE9EllbEEZZNS1_14partition_implILS5_9ELb0ES3_jPlS8_PNS0_10empty_typeENS0_5tupleIJS8_S9_EEENSB_IJS8_SA_EEENS0_18inequality_wrapperIZN2at6native12_GLOBAL__N_124unique_dim_cuda_templateImEESt5tupleIJNSF_6TensorESK_SK_EERKSK_lbbbEUlllE0_EEPmJS9_EEE10hipError_tPvRmT3_T4_T5_T6_T7_T9_mT8_P12ihipStream_tbDpT10_ENKUlT_T0_E_clISt17integral_constantIbLb0EES1A_EEDaS15_S16_EUlS15_E_NS1_11comp_targetILNS1_3genE9ELNS1_11target_archE1100ELNS1_3gpuE3ELNS1_3repE0EEENS1_30default_config_static_selectorELNS0_4arch9wavefront6targetE1EEEvT1_
    .private_segment_fixed_size: 0
    .sgpr_count:     6
    .sgpr_spill_count: 0
    .symbol:         _ZN7rocprim17ROCPRIM_400000_NS6detail17trampoline_kernelINS0_14default_configENS1_25partition_config_selectorILNS1_17partition_subalgoE9EllbEEZZNS1_14partition_implILS5_9ELb0ES3_jPlS8_PNS0_10empty_typeENS0_5tupleIJS8_S9_EEENSB_IJS8_SA_EEENS0_18inequality_wrapperIZN2at6native12_GLOBAL__N_124unique_dim_cuda_templateImEESt5tupleIJNSF_6TensorESK_SK_EERKSK_lbbbEUlllE0_EEPmJS9_EEE10hipError_tPvRmT3_T4_T5_T6_T7_T9_mT8_P12ihipStream_tbDpT10_ENKUlT_T0_E_clISt17integral_constantIbLb0EES1A_EEDaS15_S16_EUlS15_E_NS1_11comp_targetILNS1_3genE9ELNS1_11target_archE1100ELNS1_3gpuE3ELNS1_3repE0EEENS1_30default_config_static_selectorELNS0_4arch9wavefront6targetE1EEEvT1_.kd
    .uniform_work_group_size: 1
    .uses_dynamic_stack: false
    .vgpr_count:     0
    .vgpr_spill_count: 0
    .wavefront_size: 64
  - .agpr_count:     0
    .args:
      - .offset:         0
        .size:           120
        .value_kind:     by_value
    .group_segment_fixed_size: 0
    .kernarg_segment_align: 8
    .kernarg_segment_size: 120
    .language:       OpenCL C
    .language_version:
      - 2
      - 0
    .max_flat_workgroup_size: 512
    .name:           _ZN7rocprim17ROCPRIM_400000_NS6detail17trampoline_kernelINS0_14default_configENS1_25partition_config_selectorILNS1_17partition_subalgoE9EllbEEZZNS1_14partition_implILS5_9ELb0ES3_jPlS8_PNS0_10empty_typeENS0_5tupleIJS8_S9_EEENSB_IJS8_SA_EEENS0_18inequality_wrapperIZN2at6native12_GLOBAL__N_124unique_dim_cuda_templateImEESt5tupleIJNSF_6TensorESK_SK_EERKSK_lbbbEUlllE0_EEPmJS9_EEE10hipError_tPvRmT3_T4_T5_T6_T7_T9_mT8_P12ihipStream_tbDpT10_ENKUlT_T0_E_clISt17integral_constantIbLb0EES1A_EEDaS15_S16_EUlS15_E_NS1_11comp_targetILNS1_3genE8ELNS1_11target_archE1030ELNS1_3gpuE2ELNS1_3repE0EEENS1_30default_config_static_selectorELNS0_4arch9wavefront6targetE1EEEvT1_
    .private_segment_fixed_size: 0
    .sgpr_count:     6
    .sgpr_spill_count: 0
    .symbol:         _ZN7rocprim17ROCPRIM_400000_NS6detail17trampoline_kernelINS0_14default_configENS1_25partition_config_selectorILNS1_17partition_subalgoE9EllbEEZZNS1_14partition_implILS5_9ELb0ES3_jPlS8_PNS0_10empty_typeENS0_5tupleIJS8_S9_EEENSB_IJS8_SA_EEENS0_18inequality_wrapperIZN2at6native12_GLOBAL__N_124unique_dim_cuda_templateImEESt5tupleIJNSF_6TensorESK_SK_EERKSK_lbbbEUlllE0_EEPmJS9_EEE10hipError_tPvRmT3_T4_T5_T6_T7_T9_mT8_P12ihipStream_tbDpT10_ENKUlT_T0_E_clISt17integral_constantIbLb0EES1A_EEDaS15_S16_EUlS15_E_NS1_11comp_targetILNS1_3genE8ELNS1_11target_archE1030ELNS1_3gpuE2ELNS1_3repE0EEENS1_30default_config_static_selectorELNS0_4arch9wavefront6targetE1EEEvT1_.kd
    .uniform_work_group_size: 1
    .uses_dynamic_stack: false
    .vgpr_count:     0
    .vgpr_spill_count: 0
    .wavefront_size: 64
  - .agpr_count:     0
    .args:
      - .offset:         0
        .size:           136
        .value_kind:     by_value
    .group_segment_fixed_size: 0
    .kernarg_segment_align: 8
    .kernarg_segment_size: 136
    .language:       OpenCL C
    .language_version:
      - 2
      - 0
    .max_flat_workgroup_size: 128
    .name:           _ZN7rocprim17ROCPRIM_400000_NS6detail17trampoline_kernelINS0_14default_configENS1_25partition_config_selectorILNS1_17partition_subalgoE9EllbEEZZNS1_14partition_implILS5_9ELb0ES3_jPlS8_PNS0_10empty_typeENS0_5tupleIJS8_S9_EEENSB_IJS8_SA_EEENS0_18inequality_wrapperIZN2at6native12_GLOBAL__N_124unique_dim_cuda_templateImEESt5tupleIJNSF_6TensorESK_SK_EERKSK_lbbbEUlllE0_EEPmJS9_EEE10hipError_tPvRmT3_T4_T5_T6_T7_T9_mT8_P12ihipStream_tbDpT10_ENKUlT_T0_E_clISt17integral_constantIbLb1EES1A_EEDaS15_S16_EUlS15_E_NS1_11comp_targetILNS1_3genE0ELNS1_11target_archE4294967295ELNS1_3gpuE0ELNS1_3repE0EEENS1_30default_config_static_selectorELNS0_4arch9wavefront6targetE1EEEvT1_
    .private_segment_fixed_size: 0
    .sgpr_count:     6
    .sgpr_spill_count: 0
    .symbol:         _ZN7rocprim17ROCPRIM_400000_NS6detail17trampoline_kernelINS0_14default_configENS1_25partition_config_selectorILNS1_17partition_subalgoE9EllbEEZZNS1_14partition_implILS5_9ELb0ES3_jPlS8_PNS0_10empty_typeENS0_5tupleIJS8_S9_EEENSB_IJS8_SA_EEENS0_18inequality_wrapperIZN2at6native12_GLOBAL__N_124unique_dim_cuda_templateImEESt5tupleIJNSF_6TensorESK_SK_EERKSK_lbbbEUlllE0_EEPmJS9_EEE10hipError_tPvRmT3_T4_T5_T6_T7_T9_mT8_P12ihipStream_tbDpT10_ENKUlT_T0_E_clISt17integral_constantIbLb1EES1A_EEDaS15_S16_EUlS15_E_NS1_11comp_targetILNS1_3genE0ELNS1_11target_archE4294967295ELNS1_3gpuE0ELNS1_3repE0EEENS1_30default_config_static_selectorELNS0_4arch9wavefront6targetE1EEEvT1_.kd
    .uniform_work_group_size: 1
    .uses_dynamic_stack: false
    .vgpr_count:     0
    .vgpr_spill_count: 0
    .wavefront_size: 64
  - .agpr_count:     0
    .args:
      - .offset:         0
        .size:           136
        .value_kind:     by_value
    .group_segment_fixed_size: 0
    .kernarg_segment_align: 8
    .kernarg_segment_size: 136
    .language:       OpenCL C
    .language_version:
      - 2
      - 0
    .max_flat_workgroup_size: 512
    .name:           _ZN7rocprim17ROCPRIM_400000_NS6detail17trampoline_kernelINS0_14default_configENS1_25partition_config_selectorILNS1_17partition_subalgoE9EllbEEZZNS1_14partition_implILS5_9ELb0ES3_jPlS8_PNS0_10empty_typeENS0_5tupleIJS8_S9_EEENSB_IJS8_SA_EEENS0_18inequality_wrapperIZN2at6native12_GLOBAL__N_124unique_dim_cuda_templateImEESt5tupleIJNSF_6TensorESK_SK_EERKSK_lbbbEUlllE0_EEPmJS9_EEE10hipError_tPvRmT3_T4_T5_T6_T7_T9_mT8_P12ihipStream_tbDpT10_ENKUlT_T0_E_clISt17integral_constantIbLb1EES1A_EEDaS15_S16_EUlS15_E_NS1_11comp_targetILNS1_3genE5ELNS1_11target_archE942ELNS1_3gpuE9ELNS1_3repE0EEENS1_30default_config_static_selectorELNS0_4arch9wavefront6targetE1EEEvT1_
    .private_segment_fixed_size: 0
    .sgpr_count:     6
    .sgpr_spill_count: 0
    .symbol:         _ZN7rocprim17ROCPRIM_400000_NS6detail17trampoline_kernelINS0_14default_configENS1_25partition_config_selectorILNS1_17partition_subalgoE9EllbEEZZNS1_14partition_implILS5_9ELb0ES3_jPlS8_PNS0_10empty_typeENS0_5tupleIJS8_S9_EEENSB_IJS8_SA_EEENS0_18inequality_wrapperIZN2at6native12_GLOBAL__N_124unique_dim_cuda_templateImEESt5tupleIJNSF_6TensorESK_SK_EERKSK_lbbbEUlllE0_EEPmJS9_EEE10hipError_tPvRmT3_T4_T5_T6_T7_T9_mT8_P12ihipStream_tbDpT10_ENKUlT_T0_E_clISt17integral_constantIbLb1EES1A_EEDaS15_S16_EUlS15_E_NS1_11comp_targetILNS1_3genE5ELNS1_11target_archE942ELNS1_3gpuE9ELNS1_3repE0EEENS1_30default_config_static_selectorELNS0_4arch9wavefront6targetE1EEEvT1_.kd
    .uniform_work_group_size: 1
    .uses_dynamic_stack: false
    .vgpr_count:     0
    .vgpr_spill_count: 0
    .wavefront_size: 64
  - .agpr_count:     0
    .args:
      - .offset:         0
        .size:           136
        .value_kind:     by_value
    .group_segment_fixed_size: 0
    .kernarg_segment_align: 8
    .kernarg_segment_size: 136
    .language:       OpenCL C
    .language_version:
      - 2
      - 0
    .max_flat_workgroup_size: 128
    .name:           _ZN7rocprim17ROCPRIM_400000_NS6detail17trampoline_kernelINS0_14default_configENS1_25partition_config_selectorILNS1_17partition_subalgoE9EllbEEZZNS1_14partition_implILS5_9ELb0ES3_jPlS8_PNS0_10empty_typeENS0_5tupleIJS8_S9_EEENSB_IJS8_SA_EEENS0_18inequality_wrapperIZN2at6native12_GLOBAL__N_124unique_dim_cuda_templateImEESt5tupleIJNSF_6TensorESK_SK_EERKSK_lbbbEUlllE0_EEPmJS9_EEE10hipError_tPvRmT3_T4_T5_T6_T7_T9_mT8_P12ihipStream_tbDpT10_ENKUlT_T0_E_clISt17integral_constantIbLb1EES1A_EEDaS15_S16_EUlS15_E_NS1_11comp_targetILNS1_3genE4ELNS1_11target_archE910ELNS1_3gpuE8ELNS1_3repE0EEENS1_30default_config_static_selectorELNS0_4arch9wavefront6targetE1EEEvT1_
    .private_segment_fixed_size: 0
    .sgpr_count:     6
    .sgpr_spill_count: 0
    .symbol:         _ZN7rocprim17ROCPRIM_400000_NS6detail17trampoline_kernelINS0_14default_configENS1_25partition_config_selectorILNS1_17partition_subalgoE9EllbEEZZNS1_14partition_implILS5_9ELb0ES3_jPlS8_PNS0_10empty_typeENS0_5tupleIJS8_S9_EEENSB_IJS8_SA_EEENS0_18inequality_wrapperIZN2at6native12_GLOBAL__N_124unique_dim_cuda_templateImEESt5tupleIJNSF_6TensorESK_SK_EERKSK_lbbbEUlllE0_EEPmJS9_EEE10hipError_tPvRmT3_T4_T5_T6_T7_T9_mT8_P12ihipStream_tbDpT10_ENKUlT_T0_E_clISt17integral_constantIbLb1EES1A_EEDaS15_S16_EUlS15_E_NS1_11comp_targetILNS1_3genE4ELNS1_11target_archE910ELNS1_3gpuE8ELNS1_3repE0EEENS1_30default_config_static_selectorELNS0_4arch9wavefront6targetE1EEEvT1_.kd
    .uniform_work_group_size: 1
    .uses_dynamic_stack: false
    .vgpr_count:     0
    .vgpr_spill_count: 0
    .wavefront_size: 64
  - .agpr_count:     0
    .args:
      - .offset:         0
        .size:           136
        .value_kind:     by_value
    .group_segment_fixed_size: 0
    .kernarg_segment_align: 8
    .kernarg_segment_size: 136
    .language:       OpenCL C
    .language_version:
      - 2
      - 0
    .max_flat_workgroup_size: 128
    .name:           _ZN7rocprim17ROCPRIM_400000_NS6detail17trampoline_kernelINS0_14default_configENS1_25partition_config_selectorILNS1_17partition_subalgoE9EllbEEZZNS1_14partition_implILS5_9ELb0ES3_jPlS8_PNS0_10empty_typeENS0_5tupleIJS8_S9_EEENSB_IJS8_SA_EEENS0_18inequality_wrapperIZN2at6native12_GLOBAL__N_124unique_dim_cuda_templateImEESt5tupleIJNSF_6TensorESK_SK_EERKSK_lbbbEUlllE0_EEPmJS9_EEE10hipError_tPvRmT3_T4_T5_T6_T7_T9_mT8_P12ihipStream_tbDpT10_ENKUlT_T0_E_clISt17integral_constantIbLb1EES1A_EEDaS15_S16_EUlS15_E_NS1_11comp_targetILNS1_3genE3ELNS1_11target_archE908ELNS1_3gpuE7ELNS1_3repE0EEENS1_30default_config_static_selectorELNS0_4arch9wavefront6targetE1EEEvT1_
    .private_segment_fixed_size: 0
    .sgpr_count:     6
    .sgpr_spill_count: 0
    .symbol:         _ZN7rocprim17ROCPRIM_400000_NS6detail17trampoline_kernelINS0_14default_configENS1_25partition_config_selectorILNS1_17partition_subalgoE9EllbEEZZNS1_14partition_implILS5_9ELb0ES3_jPlS8_PNS0_10empty_typeENS0_5tupleIJS8_S9_EEENSB_IJS8_SA_EEENS0_18inequality_wrapperIZN2at6native12_GLOBAL__N_124unique_dim_cuda_templateImEESt5tupleIJNSF_6TensorESK_SK_EERKSK_lbbbEUlllE0_EEPmJS9_EEE10hipError_tPvRmT3_T4_T5_T6_T7_T9_mT8_P12ihipStream_tbDpT10_ENKUlT_T0_E_clISt17integral_constantIbLb1EES1A_EEDaS15_S16_EUlS15_E_NS1_11comp_targetILNS1_3genE3ELNS1_11target_archE908ELNS1_3gpuE7ELNS1_3repE0EEENS1_30default_config_static_selectorELNS0_4arch9wavefront6targetE1EEEvT1_.kd
    .uniform_work_group_size: 1
    .uses_dynamic_stack: false
    .vgpr_count:     0
    .vgpr_spill_count: 0
    .wavefront_size: 64
  - .agpr_count:     0
    .args:
      - .offset:         0
        .size:           136
        .value_kind:     by_value
    .group_segment_fixed_size: 0
    .kernarg_segment_align: 8
    .kernarg_segment_size: 136
    .language:       OpenCL C
    .language_version:
      - 2
      - 0
    .max_flat_workgroup_size: 192
    .name:           _ZN7rocprim17ROCPRIM_400000_NS6detail17trampoline_kernelINS0_14default_configENS1_25partition_config_selectorILNS1_17partition_subalgoE9EllbEEZZNS1_14partition_implILS5_9ELb0ES3_jPlS8_PNS0_10empty_typeENS0_5tupleIJS8_S9_EEENSB_IJS8_SA_EEENS0_18inequality_wrapperIZN2at6native12_GLOBAL__N_124unique_dim_cuda_templateImEESt5tupleIJNSF_6TensorESK_SK_EERKSK_lbbbEUlllE0_EEPmJS9_EEE10hipError_tPvRmT3_T4_T5_T6_T7_T9_mT8_P12ihipStream_tbDpT10_ENKUlT_T0_E_clISt17integral_constantIbLb1EES1A_EEDaS15_S16_EUlS15_E_NS1_11comp_targetILNS1_3genE2ELNS1_11target_archE906ELNS1_3gpuE6ELNS1_3repE0EEENS1_30default_config_static_selectorELNS0_4arch9wavefront6targetE1EEEvT1_
    .private_segment_fixed_size: 0
    .sgpr_count:     6
    .sgpr_spill_count: 0
    .symbol:         _ZN7rocprim17ROCPRIM_400000_NS6detail17trampoline_kernelINS0_14default_configENS1_25partition_config_selectorILNS1_17partition_subalgoE9EllbEEZZNS1_14partition_implILS5_9ELb0ES3_jPlS8_PNS0_10empty_typeENS0_5tupleIJS8_S9_EEENSB_IJS8_SA_EEENS0_18inequality_wrapperIZN2at6native12_GLOBAL__N_124unique_dim_cuda_templateImEESt5tupleIJNSF_6TensorESK_SK_EERKSK_lbbbEUlllE0_EEPmJS9_EEE10hipError_tPvRmT3_T4_T5_T6_T7_T9_mT8_P12ihipStream_tbDpT10_ENKUlT_T0_E_clISt17integral_constantIbLb1EES1A_EEDaS15_S16_EUlS15_E_NS1_11comp_targetILNS1_3genE2ELNS1_11target_archE906ELNS1_3gpuE6ELNS1_3repE0EEENS1_30default_config_static_selectorELNS0_4arch9wavefront6targetE1EEEvT1_.kd
    .uniform_work_group_size: 1
    .uses_dynamic_stack: false
    .vgpr_count:     0
    .vgpr_spill_count: 0
    .wavefront_size: 64
  - .agpr_count:     0
    .args:
      - .offset:         0
        .size:           136
        .value_kind:     by_value
    .group_segment_fixed_size: 0
    .kernarg_segment_align: 8
    .kernarg_segment_size: 136
    .language:       OpenCL C
    .language_version:
      - 2
      - 0
    .max_flat_workgroup_size: 384
    .name:           _ZN7rocprim17ROCPRIM_400000_NS6detail17trampoline_kernelINS0_14default_configENS1_25partition_config_selectorILNS1_17partition_subalgoE9EllbEEZZNS1_14partition_implILS5_9ELb0ES3_jPlS8_PNS0_10empty_typeENS0_5tupleIJS8_S9_EEENSB_IJS8_SA_EEENS0_18inequality_wrapperIZN2at6native12_GLOBAL__N_124unique_dim_cuda_templateImEESt5tupleIJNSF_6TensorESK_SK_EERKSK_lbbbEUlllE0_EEPmJS9_EEE10hipError_tPvRmT3_T4_T5_T6_T7_T9_mT8_P12ihipStream_tbDpT10_ENKUlT_T0_E_clISt17integral_constantIbLb1EES1A_EEDaS15_S16_EUlS15_E_NS1_11comp_targetILNS1_3genE10ELNS1_11target_archE1200ELNS1_3gpuE4ELNS1_3repE0EEENS1_30default_config_static_selectorELNS0_4arch9wavefront6targetE1EEEvT1_
    .private_segment_fixed_size: 0
    .sgpr_count:     6
    .sgpr_spill_count: 0
    .symbol:         _ZN7rocprim17ROCPRIM_400000_NS6detail17trampoline_kernelINS0_14default_configENS1_25partition_config_selectorILNS1_17partition_subalgoE9EllbEEZZNS1_14partition_implILS5_9ELb0ES3_jPlS8_PNS0_10empty_typeENS0_5tupleIJS8_S9_EEENSB_IJS8_SA_EEENS0_18inequality_wrapperIZN2at6native12_GLOBAL__N_124unique_dim_cuda_templateImEESt5tupleIJNSF_6TensorESK_SK_EERKSK_lbbbEUlllE0_EEPmJS9_EEE10hipError_tPvRmT3_T4_T5_T6_T7_T9_mT8_P12ihipStream_tbDpT10_ENKUlT_T0_E_clISt17integral_constantIbLb1EES1A_EEDaS15_S16_EUlS15_E_NS1_11comp_targetILNS1_3genE10ELNS1_11target_archE1200ELNS1_3gpuE4ELNS1_3repE0EEENS1_30default_config_static_selectorELNS0_4arch9wavefront6targetE1EEEvT1_.kd
    .uniform_work_group_size: 1
    .uses_dynamic_stack: false
    .vgpr_count:     0
    .vgpr_spill_count: 0
    .wavefront_size: 64
  - .agpr_count:     0
    .args:
      - .offset:         0
        .size:           136
        .value_kind:     by_value
    .group_segment_fixed_size: 0
    .kernarg_segment_align: 8
    .kernarg_segment_size: 136
    .language:       OpenCL C
    .language_version:
      - 2
      - 0
    .max_flat_workgroup_size: 512
    .name:           _ZN7rocprim17ROCPRIM_400000_NS6detail17trampoline_kernelINS0_14default_configENS1_25partition_config_selectorILNS1_17partition_subalgoE9EllbEEZZNS1_14partition_implILS5_9ELb0ES3_jPlS8_PNS0_10empty_typeENS0_5tupleIJS8_S9_EEENSB_IJS8_SA_EEENS0_18inequality_wrapperIZN2at6native12_GLOBAL__N_124unique_dim_cuda_templateImEESt5tupleIJNSF_6TensorESK_SK_EERKSK_lbbbEUlllE0_EEPmJS9_EEE10hipError_tPvRmT3_T4_T5_T6_T7_T9_mT8_P12ihipStream_tbDpT10_ENKUlT_T0_E_clISt17integral_constantIbLb1EES1A_EEDaS15_S16_EUlS15_E_NS1_11comp_targetILNS1_3genE9ELNS1_11target_archE1100ELNS1_3gpuE3ELNS1_3repE0EEENS1_30default_config_static_selectorELNS0_4arch9wavefront6targetE1EEEvT1_
    .private_segment_fixed_size: 0
    .sgpr_count:     6
    .sgpr_spill_count: 0
    .symbol:         _ZN7rocprim17ROCPRIM_400000_NS6detail17trampoline_kernelINS0_14default_configENS1_25partition_config_selectorILNS1_17partition_subalgoE9EllbEEZZNS1_14partition_implILS5_9ELb0ES3_jPlS8_PNS0_10empty_typeENS0_5tupleIJS8_S9_EEENSB_IJS8_SA_EEENS0_18inequality_wrapperIZN2at6native12_GLOBAL__N_124unique_dim_cuda_templateImEESt5tupleIJNSF_6TensorESK_SK_EERKSK_lbbbEUlllE0_EEPmJS9_EEE10hipError_tPvRmT3_T4_T5_T6_T7_T9_mT8_P12ihipStream_tbDpT10_ENKUlT_T0_E_clISt17integral_constantIbLb1EES1A_EEDaS15_S16_EUlS15_E_NS1_11comp_targetILNS1_3genE9ELNS1_11target_archE1100ELNS1_3gpuE3ELNS1_3repE0EEENS1_30default_config_static_selectorELNS0_4arch9wavefront6targetE1EEEvT1_.kd
    .uniform_work_group_size: 1
    .uses_dynamic_stack: false
    .vgpr_count:     0
    .vgpr_spill_count: 0
    .wavefront_size: 64
  - .agpr_count:     0
    .args:
      - .offset:         0
        .size:           136
        .value_kind:     by_value
    .group_segment_fixed_size: 0
    .kernarg_segment_align: 8
    .kernarg_segment_size: 136
    .language:       OpenCL C
    .language_version:
      - 2
      - 0
    .max_flat_workgroup_size: 512
    .name:           _ZN7rocprim17ROCPRIM_400000_NS6detail17trampoline_kernelINS0_14default_configENS1_25partition_config_selectorILNS1_17partition_subalgoE9EllbEEZZNS1_14partition_implILS5_9ELb0ES3_jPlS8_PNS0_10empty_typeENS0_5tupleIJS8_S9_EEENSB_IJS8_SA_EEENS0_18inequality_wrapperIZN2at6native12_GLOBAL__N_124unique_dim_cuda_templateImEESt5tupleIJNSF_6TensorESK_SK_EERKSK_lbbbEUlllE0_EEPmJS9_EEE10hipError_tPvRmT3_T4_T5_T6_T7_T9_mT8_P12ihipStream_tbDpT10_ENKUlT_T0_E_clISt17integral_constantIbLb1EES1A_EEDaS15_S16_EUlS15_E_NS1_11comp_targetILNS1_3genE8ELNS1_11target_archE1030ELNS1_3gpuE2ELNS1_3repE0EEENS1_30default_config_static_selectorELNS0_4arch9wavefront6targetE1EEEvT1_
    .private_segment_fixed_size: 0
    .sgpr_count:     6
    .sgpr_spill_count: 0
    .symbol:         _ZN7rocprim17ROCPRIM_400000_NS6detail17trampoline_kernelINS0_14default_configENS1_25partition_config_selectorILNS1_17partition_subalgoE9EllbEEZZNS1_14partition_implILS5_9ELb0ES3_jPlS8_PNS0_10empty_typeENS0_5tupleIJS8_S9_EEENSB_IJS8_SA_EEENS0_18inequality_wrapperIZN2at6native12_GLOBAL__N_124unique_dim_cuda_templateImEESt5tupleIJNSF_6TensorESK_SK_EERKSK_lbbbEUlllE0_EEPmJS9_EEE10hipError_tPvRmT3_T4_T5_T6_T7_T9_mT8_P12ihipStream_tbDpT10_ENKUlT_T0_E_clISt17integral_constantIbLb1EES1A_EEDaS15_S16_EUlS15_E_NS1_11comp_targetILNS1_3genE8ELNS1_11target_archE1030ELNS1_3gpuE2ELNS1_3repE0EEENS1_30default_config_static_selectorELNS0_4arch9wavefront6targetE1EEEvT1_.kd
    .uniform_work_group_size: 1
    .uses_dynamic_stack: false
    .vgpr_count:     0
    .vgpr_spill_count: 0
    .wavefront_size: 64
  - .agpr_count:     0
    .args:
      - .offset:         0
        .size:           120
        .value_kind:     by_value
    .group_segment_fixed_size: 0
    .kernarg_segment_align: 8
    .kernarg_segment_size: 120
    .language:       OpenCL C
    .language_version:
      - 2
      - 0
    .max_flat_workgroup_size: 128
    .name:           _ZN7rocprim17ROCPRIM_400000_NS6detail17trampoline_kernelINS0_14default_configENS1_25partition_config_selectorILNS1_17partition_subalgoE9EllbEEZZNS1_14partition_implILS5_9ELb0ES3_jPlS8_PNS0_10empty_typeENS0_5tupleIJS8_S9_EEENSB_IJS8_SA_EEENS0_18inequality_wrapperIZN2at6native12_GLOBAL__N_124unique_dim_cuda_templateImEESt5tupleIJNSF_6TensorESK_SK_EERKSK_lbbbEUlllE0_EEPmJS9_EEE10hipError_tPvRmT3_T4_T5_T6_T7_T9_mT8_P12ihipStream_tbDpT10_ENKUlT_T0_E_clISt17integral_constantIbLb1EES19_IbLb0EEEEDaS15_S16_EUlS15_E_NS1_11comp_targetILNS1_3genE0ELNS1_11target_archE4294967295ELNS1_3gpuE0ELNS1_3repE0EEENS1_30default_config_static_selectorELNS0_4arch9wavefront6targetE1EEEvT1_
    .private_segment_fixed_size: 0
    .sgpr_count:     6
    .sgpr_spill_count: 0
    .symbol:         _ZN7rocprim17ROCPRIM_400000_NS6detail17trampoline_kernelINS0_14default_configENS1_25partition_config_selectorILNS1_17partition_subalgoE9EllbEEZZNS1_14partition_implILS5_9ELb0ES3_jPlS8_PNS0_10empty_typeENS0_5tupleIJS8_S9_EEENSB_IJS8_SA_EEENS0_18inequality_wrapperIZN2at6native12_GLOBAL__N_124unique_dim_cuda_templateImEESt5tupleIJNSF_6TensorESK_SK_EERKSK_lbbbEUlllE0_EEPmJS9_EEE10hipError_tPvRmT3_T4_T5_T6_T7_T9_mT8_P12ihipStream_tbDpT10_ENKUlT_T0_E_clISt17integral_constantIbLb1EES19_IbLb0EEEEDaS15_S16_EUlS15_E_NS1_11comp_targetILNS1_3genE0ELNS1_11target_archE4294967295ELNS1_3gpuE0ELNS1_3repE0EEENS1_30default_config_static_selectorELNS0_4arch9wavefront6targetE1EEEvT1_.kd
    .uniform_work_group_size: 1
    .uses_dynamic_stack: false
    .vgpr_count:     0
    .vgpr_spill_count: 0
    .wavefront_size: 64
  - .agpr_count:     0
    .args:
      - .offset:         0
        .size:           120
        .value_kind:     by_value
    .group_segment_fixed_size: 0
    .kernarg_segment_align: 8
    .kernarg_segment_size: 120
    .language:       OpenCL C
    .language_version:
      - 2
      - 0
    .max_flat_workgroup_size: 512
    .name:           _ZN7rocprim17ROCPRIM_400000_NS6detail17trampoline_kernelINS0_14default_configENS1_25partition_config_selectorILNS1_17partition_subalgoE9EllbEEZZNS1_14partition_implILS5_9ELb0ES3_jPlS8_PNS0_10empty_typeENS0_5tupleIJS8_S9_EEENSB_IJS8_SA_EEENS0_18inequality_wrapperIZN2at6native12_GLOBAL__N_124unique_dim_cuda_templateImEESt5tupleIJNSF_6TensorESK_SK_EERKSK_lbbbEUlllE0_EEPmJS9_EEE10hipError_tPvRmT3_T4_T5_T6_T7_T9_mT8_P12ihipStream_tbDpT10_ENKUlT_T0_E_clISt17integral_constantIbLb1EES19_IbLb0EEEEDaS15_S16_EUlS15_E_NS1_11comp_targetILNS1_3genE5ELNS1_11target_archE942ELNS1_3gpuE9ELNS1_3repE0EEENS1_30default_config_static_selectorELNS0_4arch9wavefront6targetE1EEEvT1_
    .private_segment_fixed_size: 0
    .sgpr_count:     6
    .sgpr_spill_count: 0
    .symbol:         _ZN7rocprim17ROCPRIM_400000_NS6detail17trampoline_kernelINS0_14default_configENS1_25partition_config_selectorILNS1_17partition_subalgoE9EllbEEZZNS1_14partition_implILS5_9ELb0ES3_jPlS8_PNS0_10empty_typeENS0_5tupleIJS8_S9_EEENSB_IJS8_SA_EEENS0_18inequality_wrapperIZN2at6native12_GLOBAL__N_124unique_dim_cuda_templateImEESt5tupleIJNSF_6TensorESK_SK_EERKSK_lbbbEUlllE0_EEPmJS9_EEE10hipError_tPvRmT3_T4_T5_T6_T7_T9_mT8_P12ihipStream_tbDpT10_ENKUlT_T0_E_clISt17integral_constantIbLb1EES19_IbLb0EEEEDaS15_S16_EUlS15_E_NS1_11comp_targetILNS1_3genE5ELNS1_11target_archE942ELNS1_3gpuE9ELNS1_3repE0EEENS1_30default_config_static_selectorELNS0_4arch9wavefront6targetE1EEEvT1_.kd
    .uniform_work_group_size: 1
    .uses_dynamic_stack: false
    .vgpr_count:     0
    .vgpr_spill_count: 0
    .wavefront_size: 64
  - .agpr_count:     0
    .args:
      - .offset:         0
        .size:           120
        .value_kind:     by_value
    .group_segment_fixed_size: 0
    .kernarg_segment_align: 8
    .kernarg_segment_size: 120
    .language:       OpenCL C
    .language_version:
      - 2
      - 0
    .max_flat_workgroup_size: 128
    .name:           _ZN7rocprim17ROCPRIM_400000_NS6detail17trampoline_kernelINS0_14default_configENS1_25partition_config_selectorILNS1_17partition_subalgoE9EllbEEZZNS1_14partition_implILS5_9ELb0ES3_jPlS8_PNS0_10empty_typeENS0_5tupleIJS8_S9_EEENSB_IJS8_SA_EEENS0_18inequality_wrapperIZN2at6native12_GLOBAL__N_124unique_dim_cuda_templateImEESt5tupleIJNSF_6TensorESK_SK_EERKSK_lbbbEUlllE0_EEPmJS9_EEE10hipError_tPvRmT3_T4_T5_T6_T7_T9_mT8_P12ihipStream_tbDpT10_ENKUlT_T0_E_clISt17integral_constantIbLb1EES19_IbLb0EEEEDaS15_S16_EUlS15_E_NS1_11comp_targetILNS1_3genE4ELNS1_11target_archE910ELNS1_3gpuE8ELNS1_3repE0EEENS1_30default_config_static_selectorELNS0_4arch9wavefront6targetE1EEEvT1_
    .private_segment_fixed_size: 0
    .sgpr_count:     6
    .sgpr_spill_count: 0
    .symbol:         _ZN7rocprim17ROCPRIM_400000_NS6detail17trampoline_kernelINS0_14default_configENS1_25partition_config_selectorILNS1_17partition_subalgoE9EllbEEZZNS1_14partition_implILS5_9ELb0ES3_jPlS8_PNS0_10empty_typeENS0_5tupleIJS8_S9_EEENSB_IJS8_SA_EEENS0_18inequality_wrapperIZN2at6native12_GLOBAL__N_124unique_dim_cuda_templateImEESt5tupleIJNSF_6TensorESK_SK_EERKSK_lbbbEUlllE0_EEPmJS9_EEE10hipError_tPvRmT3_T4_T5_T6_T7_T9_mT8_P12ihipStream_tbDpT10_ENKUlT_T0_E_clISt17integral_constantIbLb1EES19_IbLb0EEEEDaS15_S16_EUlS15_E_NS1_11comp_targetILNS1_3genE4ELNS1_11target_archE910ELNS1_3gpuE8ELNS1_3repE0EEENS1_30default_config_static_selectorELNS0_4arch9wavefront6targetE1EEEvT1_.kd
    .uniform_work_group_size: 1
    .uses_dynamic_stack: false
    .vgpr_count:     0
    .vgpr_spill_count: 0
    .wavefront_size: 64
  - .agpr_count:     0
    .args:
      - .offset:         0
        .size:           120
        .value_kind:     by_value
    .group_segment_fixed_size: 0
    .kernarg_segment_align: 8
    .kernarg_segment_size: 120
    .language:       OpenCL C
    .language_version:
      - 2
      - 0
    .max_flat_workgroup_size: 128
    .name:           _ZN7rocprim17ROCPRIM_400000_NS6detail17trampoline_kernelINS0_14default_configENS1_25partition_config_selectorILNS1_17partition_subalgoE9EllbEEZZNS1_14partition_implILS5_9ELb0ES3_jPlS8_PNS0_10empty_typeENS0_5tupleIJS8_S9_EEENSB_IJS8_SA_EEENS0_18inequality_wrapperIZN2at6native12_GLOBAL__N_124unique_dim_cuda_templateImEESt5tupleIJNSF_6TensorESK_SK_EERKSK_lbbbEUlllE0_EEPmJS9_EEE10hipError_tPvRmT3_T4_T5_T6_T7_T9_mT8_P12ihipStream_tbDpT10_ENKUlT_T0_E_clISt17integral_constantIbLb1EES19_IbLb0EEEEDaS15_S16_EUlS15_E_NS1_11comp_targetILNS1_3genE3ELNS1_11target_archE908ELNS1_3gpuE7ELNS1_3repE0EEENS1_30default_config_static_selectorELNS0_4arch9wavefront6targetE1EEEvT1_
    .private_segment_fixed_size: 0
    .sgpr_count:     6
    .sgpr_spill_count: 0
    .symbol:         _ZN7rocprim17ROCPRIM_400000_NS6detail17trampoline_kernelINS0_14default_configENS1_25partition_config_selectorILNS1_17partition_subalgoE9EllbEEZZNS1_14partition_implILS5_9ELb0ES3_jPlS8_PNS0_10empty_typeENS0_5tupleIJS8_S9_EEENSB_IJS8_SA_EEENS0_18inequality_wrapperIZN2at6native12_GLOBAL__N_124unique_dim_cuda_templateImEESt5tupleIJNSF_6TensorESK_SK_EERKSK_lbbbEUlllE0_EEPmJS9_EEE10hipError_tPvRmT3_T4_T5_T6_T7_T9_mT8_P12ihipStream_tbDpT10_ENKUlT_T0_E_clISt17integral_constantIbLb1EES19_IbLb0EEEEDaS15_S16_EUlS15_E_NS1_11comp_targetILNS1_3genE3ELNS1_11target_archE908ELNS1_3gpuE7ELNS1_3repE0EEENS1_30default_config_static_selectorELNS0_4arch9wavefront6targetE1EEEvT1_.kd
    .uniform_work_group_size: 1
    .uses_dynamic_stack: false
    .vgpr_count:     0
    .vgpr_spill_count: 0
    .wavefront_size: 64
  - .agpr_count:     0
    .args:
      - .offset:         0
        .size:           120
        .value_kind:     by_value
    .group_segment_fixed_size: 0
    .kernarg_segment_align: 8
    .kernarg_segment_size: 120
    .language:       OpenCL C
    .language_version:
      - 2
      - 0
    .max_flat_workgroup_size: 192
    .name:           _ZN7rocprim17ROCPRIM_400000_NS6detail17trampoline_kernelINS0_14default_configENS1_25partition_config_selectorILNS1_17partition_subalgoE9EllbEEZZNS1_14partition_implILS5_9ELb0ES3_jPlS8_PNS0_10empty_typeENS0_5tupleIJS8_S9_EEENSB_IJS8_SA_EEENS0_18inequality_wrapperIZN2at6native12_GLOBAL__N_124unique_dim_cuda_templateImEESt5tupleIJNSF_6TensorESK_SK_EERKSK_lbbbEUlllE0_EEPmJS9_EEE10hipError_tPvRmT3_T4_T5_T6_T7_T9_mT8_P12ihipStream_tbDpT10_ENKUlT_T0_E_clISt17integral_constantIbLb1EES19_IbLb0EEEEDaS15_S16_EUlS15_E_NS1_11comp_targetILNS1_3genE2ELNS1_11target_archE906ELNS1_3gpuE6ELNS1_3repE0EEENS1_30default_config_static_selectorELNS0_4arch9wavefront6targetE1EEEvT1_
    .private_segment_fixed_size: 0
    .sgpr_count:     6
    .sgpr_spill_count: 0
    .symbol:         _ZN7rocprim17ROCPRIM_400000_NS6detail17trampoline_kernelINS0_14default_configENS1_25partition_config_selectorILNS1_17partition_subalgoE9EllbEEZZNS1_14partition_implILS5_9ELb0ES3_jPlS8_PNS0_10empty_typeENS0_5tupleIJS8_S9_EEENSB_IJS8_SA_EEENS0_18inequality_wrapperIZN2at6native12_GLOBAL__N_124unique_dim_cuda_templateImEESt5tupleIJNSF_6TensorESK_SK_EERKSK_lbbbEUlllE0_EEPmJS9_EEE10hipError_tPvRmT3_T4_T5_T6_T7_T9_mT8_P12ihipStream_tbDpT10_ENKUlT_T0_E_clISt17integral_constantIbLb1EES19_IbLb0EEEEDaS15_S16_EUlS15_E_NS1_11comp_targetILNS1_3genE2ELNS1_11target_archE906ELNS1_3gpuE6ELNS1_3repE0EEENS1_30default_config_static_selectorELNS0_4arch9wavefront6targetE1EEEvT1_.kd
    .uniform_work_group_size: 1
    .uses_dynamic_stack: false
    .vgpr_count:     0
    .vgpr_spill_count: 0
    .wavefront_size: 64
  - .agpr_count:     0
    .args:
      - .offset:         0
        .size:           120
        .value_kind:     by_value
    .group_segment_fixed_size: 0
    .kernarg_segment_align: 8
    .kernarg_segment_size: 120
    .language:       OpenCL C
    .language_version:
      - 2
      - 0
    .max_flat_workgroup_size: 384
    .name:           _ZN7rocprim17ROCPRIM_400000_NS6detail17trampoline_kernelINS0_14default_configENS1_25partition_config_selectorILNS1_17partition_subalgoE9EllbEEZZNS1_14partition_implILS5_9ELb0ES3_jPlS8_PNS0_10empty_typeENS0_5tupleIJS8_S9_EEENSB_IJS8_SA_EEENS0_18inequality_wrapperIZN2at6native12_GLOBAL__N_124unique_dim_cuda_templateImEESt5tupleIJNSF_6TensorESK_SK_EERKSK_lbbbEUlllE0_EEPmJS9_EEE10hipError_tPvRmT3_T4_T5_T6_T7_T9_mT8_P12ihipStream_tbDpT10_ENKUlT_T0_E_clISt17integral_constantIbLb1EES19_IbLb0EEEEDaS15_S16_EUlS15_E_NS1_11comp_targetILNS1_3genE10ELNS1_11target_archE1200ELNS1_3gpuE4ELNS1_3repE0EEENS1_30default_config_static_selectorELNS0_4arch9wavefront6targetE1EEEvT1_
    .private_segment_fixed_size: 0
    .sgpr_count:     6
    .sgpr_spill_count: 0
    .symbol:         _ZN7rocprim17ROCPRIM_400000_NS6detail17trampoline_kernelINS0_14default_configENS1_25partition_config_selectorILNS1_17partition_subalgoE9EllbEEZZNS1_14partition_implILS5_9ELb0ES3_jPlS8_PNS0_10empty_typeENS0_5tupleIJS8_S9_EEENSB_IJS8_SA_EEENS0_18inequality_wrapperIZN2at6native12_GLOBAL__N_124unique_dim_cuda_templateImEESt5tupleIJNSF_6TensorESK_SK_EERKSK_lbbbEUlllE0_EEPmJS9_EEE10hipError_tPvRmT3_T4_T5_T6_T7_T9_mT8_P12ihipStream_tbDpT10_ENKUlT_T0_E_clISt17integral_constantIbLb1EES19_IbLb0EEEEDaS15_S16_EUlS15_E_NS1_11comp_targetILNS1_3genE10ELNS1_11target_archE1200ELNS1_3gpuE4ELNS1_3repE0EEENS1_30default_config_static_selectorELNS0_4arch9wavefront6targetE1EEEvT1_.kd
    .uniform_work_group_size: 1
    .uses_dynamic_stack: false
    .vgpr_count:     0
    .vgpr_spill_count: 0
    .wavefront_size: 64
  - .agpr_count:     0
    .args:
      - .offset:         0
        .size:           120
        .value_kind:     by_value
    .group_segment_fixed_size: 0
    .kernarg_segment_align: 8
    .kernarg_segment_size: 120
    .language:       OpenCL C
    .language_version:
      - 2
      - 0
    .max_flat_workgroup_size: 512
    .name:           _ZN7rocprim17ROCPRIM_400000_NS6detail17trampoline_kernelINS0_14default_configENS1_25partition_config_selectorILNS1_17partition_subalgoE9EllbEEZZNS1_14partition_implILS5_9ELb0ES3_jPlS8_PNS0_10empty_typeENS0_5tupleIJS8_S9_EEENSB_IJS8_SA_EEENS0_18inequality_wrapperIZN2at6native12_GLOBAL__N_124unique_dim_cuda_templateImEESt5tupleIJNSF_6TensorESK_SK_EERKSK_lbbbEUlllE0_EEPmJS9_EEE10hipError_tPvRmT3_T4_T5_T6_T7_T9_mT8_P12ihipStream_tbDpT10_ENKUlT_T0_E_clISt17integral_constantIbLb1EES19_IbLb0EEEEDaS15_S16_EUlS15_E_NS1_11comp_targetILNS1_3genE9ELNS1_11target_archE1100ELNS1_3gpuE3ELNS1_3repE0EEENS1_30default_config_static_selectorELNS0_4arch9wavefront6targetE1EEEvT1_
    .private_segment_fixed_size: 0
    .sgpr_count:     6
    .sgpr_spill_count: 0
    .symbol:         _ZN7rocprim17ROCPRIM_400000_NS6detail17trampoline_kernelINS0_14default_configENS1_25partition_config_selectorILNS1_17partition_subalgoE9EllbEEZZNS1_14partition_implILS5_9ELb0ES3_jPlS8_PNS0_10empty_typeENS0_5tupleIJS8_S9_EEENSB_IJS8_SA_EEENS0_18inequality_wrapperIZN2at6native12_GLOBAL__N_124unique_dim_cuda_templateImEESt5tupleIJNSF_6TensorESK_SK_EERKSK_lbbbEUlllE0_EEPmJS9_EEE10hipError_tPvRmT3_T4_T5_T6_T7_T9_mT8_P12ihipStream_tbDpT10_ENKUlT_T0_E_clISt17integral_constantIbLb1EES19_IbLb0EEEEDaS15_S16_EUlS15_E_NS1_11comp_targetILNS1_3genE9ELNS1_11target_archE1100ELNS1_3gpuE3ELNS1_3repE0EEENS1_30default_config_static_selectorELNS0_4arch9wavefront6targetE1EEEvT1_.kd
    .uniform_work_group_size: 1
    .uses_dynamic_stack: false
    .vgpr_count:     0
    .vgpr_spill_count: 0
    .wavefront_size: 64
  - .agpr_count:     0
    .args:
      - .offset:         0
        .size:           120
        .value_kind:     by_value
    .group_segment_fixed_size: 0
    .kernarg_segment_align: 8
    .kernarg_segment_size: 120
    .language:       OpenCL C
    .language_version:
      - 2
      - 0
    .max_flat_workgroup_size: 512
    .name:           _ZN7rocprim17ROCPRIM_400000_NS6detail17trampoline_kernelINS0_14default_configENS1_25partition_config_selectorILNS1_17partition_subalgoE9EllbEEZZNS1_14partition_implILS5_9ELb0ES3_jPlS8_PNS0_10empty_typeENS0_5tupleIJS8_S9_EEENSB_IJS8_SA_EEENS0_18inequality_wrapperIZN2at6native12_GLOBAL__N_124unique_dim_cuda_templateImEESt5tupleIJNSF_6TensorESK_SK_EERKSK_lbbbEUlllE0_EEPmJS9_EEE10hipError_tPvRmT3_T4_T5_T6_T7_T9_mT8_P12ihipStream_tbDpT10_ENKUlT_T0_E_clISt17integral_constantIbLb1EES19_IbLb0EEEEDaS15_S16_EUlS15_E_NS1_11comp_targetILNS1_3genE8ELNS1_11target_archE1030ELNS1_3gpuE2ELNS1_3repE0EEENS1_30default_config_static_selectorELNS0_4arch9wavefront6targetE1EEEvT1_
    .private_segment_fixed_size: 0
    .sgpr_count:     6
    .sgpr_spill_count: 0
    .symbol:         _ZN7rocprim17ROCPRIM_400000_NS6detail17trampoline_kernelINS0_14default_configENS1_25partition_config_selectorILNS1_17partition_subalgoE9EllbEEZZNS1_14partition_implILS5_9ELb0ES3_jPlS8_PNS0_10empty_typeENS0_5tupleIJS8_S9_EEENSB_IJS8_SA_EEENS0_18inequality_wrapperIZN2at6native12_GLOBAL__N_124unique_dim_cuda_templateImEESt5tupleIJNSF_6TensorESK_SK_EERKSK_lbbbEUlllE0_EEPmJS9_EEE10hipError_tPvRmT3_T4_T5_T6_T7_T9_mT8_P12ihipStream_tbDpT10_ENKUlT_T0_E_clISt17integral_constantIbLb1EES19_IbLb0EEEEDaS15_S16_EUlS15_E_NS1_11comp_targetILNS1_3genE8ELNS1_11target_archE1030ELNS1_3gpuE2ELNS1_3repE0EEENS1_30default_config_static_selectorELNS0_4arch9wavefront6targetE1EEEvT1_.kd
    .uniform_work_group_size: 1
    .uses_dynamic_stack: false
    .vgpr_count:     0
    .vgpr_spill_count: 0
    .wavefront_size: 64
  - .agpr_count:     0
    .args:
      - .offset:         0
        .size:           136
        .value_kind:     by_value
    .group_segment_fixed_size: 5128
    .kernarg_segment_align: 8
    .kernarg_segment_size: 136
    .language:       OpenCL C
    .language_version:
      - 2
      - 0
    .max_flat_workgroup_size: 128
    .name:           _ZN7rocprim17ROCPRIM_400000_NS6detail17trampoline_kernelINS0_14default_configENS1_25partition_config_selectorILNS1_17partition_subalgoE9EllbEEZZNS1_14partition_implILS5_9ELb0ES3_jPlS8_PNS0_10empty_typeENS0_5tupleIJS8_S9_EEENSB_IJS8_SA_EEENS0_18inequality_wrapperIZN2at6native12_GLOBAL__N_124unique_dim_cuda_templateImEESt5tupleIJNSF_6TensorESK_SK_EERKSK_lbbbEUlllE0_EEPmJS9_EEE10hipError_tPvRmT3_T4_T5_T6_T7_T9_mT8_P12ihipStream_tbDpT10_ENKUlT_T0_E_clISt17integral_constantIbLb0EES19_IbLb1EEEEDaS15_S16_EUlS15_E_NS1_11comp_targetILNS1_3genE0ELNS1_11target_archE4294967295ELNS1_3gpuE0ELNS1_3repE0EEENS1_30default_config_static_selectorELNS0_4arch9wavefront6targetE1EEEvT1_
    .private_segment_fixed_size: 0
    .sgpr_count:     58
    .sgpr_spill_count: 0
    .symbol:         _ZN7rocprim17ROCPRIM_400000_NS6detail17trampoline_kernelINS0_14default_configENS1_25partition_config_selectorILNS1_17partition_subalgoE9EllbEEZZNS1_14partition_implILS5_9ELb0ES3_jPlS8_PNS0_10empty_typeENS0_5tupleIJS8_S9_EEENSB_IJS8_SA_EEENS0_18inequality_wrapperIZN2at6native12_GLOBAL__N_124unique_dim_cuda_templateImEESt5tupleIJNSF_6TensorESK_SK_EERKSK_lbbbEUlllE0_EEPmJS9_EEE10hipError_tPvRmT3_T4_T5_T6_T7_T9_mT8_P12ihipStream_tbDpT10_ENKUlT_T0_E_clISt17integral_constantIbLb0EES19_IbLb1EEEEDaS15_S16_EUlS15_E_NS1_11comp_targetILNS1_3genE0ELNS1_11target_archE4294967295ELNS1_3gpuE0ELNS1_3repE0EEENS1_30default_config_static_selectorELNS0_4arch9wavefront6targetE1EEEvT1_.kd
    .uniform_work_group_size: 1
    .uses_dynamic_stack: false
    .vgpr_count:     60
    .vgpr_spill_count: 0
    .wavefront_size: 64
  - .agpr_count:     0
    .args:
      - .offset:         0
        .size:           136
        .value_kind:     by_value
    .group_segment_fixed_size: 0
    .kernarg_segment_align: 8
    .kernarg_segment_size: 136
    .language:       OpenCL C
    .language_version:
      - 2
      - 0
    .max_flat_workgroup_size: 512
    .name:           _ZN7rocprim17ROCPRIM_400000_NS6detail17trampoline_kernelINS0_14default_configENS1_25partition_config_selectorILNS1_17partition_subalgoE9EllbEEZZNS1_14partition_implILS5_9ELb0ES3_jPlS8_PNS0_10empty_typeENS0_5tupleIJS8_S9_EEENSB_IJS8_SA_EEENS0_18inequality_wrapperIZN2at6native12_GLOBAL__N_124unique_dim_cuda_templateImEESt5tupleIJNSF_6TensorESK_SK_EERKSK_lbbbEUlllE0_EEPmJS9_EEE10hipError_tPvRmT3_T4_T5_T6_T7_T9_mT8_P12ihipStream_tbDpT10_ENKUlT_T0_E_clISt17integral_constantIbLb0EES19_IbLb1EEEEDaS15_S16_EUlS15_E_NS1_11comp_targetILNS1_3genE5ELNS1_11target_archE942ELNS1_3gpuE9ELNS1_3repE0EEENS1_30default_config_static_selectorELNS0_4arch9wavefront6targetE1EEEvT1_
    .private_segment_fixed_size: 0
    .sgpr_count:     6
    .sgpr_spill_count: 0
    .symbol:         _ZN7rocprim17ROCPRIM_400000_NS6detail17trampoline_kernelINS0_14default_configENS1_25partition_config_selectorILNS1_17partition_subalgoE9EllbEEZZNS1_14partition_implILS5_9ELb0ES3_jPlS8_PNS0_10empty_typeENS0_5tupleIJS8_S9_EEENSB_IJS8_SA_EEENS0_18inequality_wrapperIZN2at6native12_GLOBAL__N_124unique_dim_cuda_templateImEESt5tupleIJNSF_6TensorESK_SK_EERKSK_lbbbEUlllE0_EEPmJS9_EEE10hipError_tPvRmT3_T4_T5_T6_T7_T9_mT8_P12ihipStream_tbDpT10_ENKUlT_T0_E_clISt17integral_constantIbLb0EES19_IbLb1EEEEDaS15_S16_EUlS15_E_NS1_11comp_targetILNS1_3genE5ELNS1_11target_archE942ELNS1_3gpuE9ELNS1_3repE0EEENS1_30default_config_static_selectorELNS0_4arch9wavefront6targetE1EEEvT1_.kd
    .uniform_work_group_size: 1
    .uses_dynamic_stack: false
    .vgpr_count:     0
    .vgpr_spill_count: 0
    .wavefront_size: 64
  - .agpr_count:     0
    .args:
      - .offset:         0
        .size:           136
        .value_kind:     by_value
    .group_segment_fixed_size: 0
    .kernarg_segment_align: 8
    .kernarg_segment_size: 136
    .language:       OpenCL C
    .language_version:
      - 2
      - 0
    .max_flat_workgroup_size: 128
    .name:           _ZN7rocprim17ROCPRIM_400000_NS6detail17trampoline_kernelINS0_14default_configENS1_25partition_config_selectorILNS1_17partition_subalgoE9EllbEEZZNS1_14partition_implILS5_9ELb0ES3_jPlS8_PNS0_10empty_typeENS0_5tupleIJS8_S9_EEENSB_IJS8_SA_EEENS0_18inequality_wrapperIZN2at6native12_GLOBAL__N_124unique_dim_cuda_templateImEESt5tupleIJNSF_6TensorESK_SK_EERKSK_lbbbEUlllE0_EEPmJS9_EEE10hipError_tPvRmT3_T4_T5_T6_T7_T9_mT8_P12ihipStream_tbDpT10_ENKUlT_T0_E_clISt17integral_constantIbLb0EES19_IbLb1EEEEDaS15_S16_EUlS15_E_NS1_11comp_targetILNS1_3genE4ELNS1_11target_archE910ELNS1_3gpuE8ELNS1_3repE0EEENS1_30default_config_static_selectorELNS0_4arch9wavefront6targetE1EEEvT1_
    .private_segment_fixed_size: 0
    .sgpr_count:     6
    .sgpr_spill_count: 0
    .symbol:         _ZN7rocprim17ROCPRIM_400000_NS6detail17trampoline_kernelINS0_14default_configENS1_25partition_config_selectorILNS1_17partition_subalgoE9EllbEEZZNS1_14partition_implILS5_9ELb0ES3_jPlS8_PNS0_10empty_typeENS0_5tupleIJS8_S9_EEENSB_IJS8_SA_EEENS0_18inequality_wrapperIZN2at6native12_GLOBAL__N_124unique_dim_cuda_templateImEESt5tupleIJNSF_6TensorESK_SK_EERKSK_lbbbEUlllE0_EEPmJS9_EEE10hipError_tPvRmT3_T4_T5_T6_T7_T9_mT8_P12ihipStream_tbDpT10_ENKUlT_T0_E_clISt17integral_constantIbLb0EES19_IbLb1EEEEDaS15_S16_EUlS15_E_NS1_11comp_targetILNS1_3genE4ELNS1_11target_archE910ELNS1_3gpuE8ELNS1_3repE0EEENS1_30default_config_static_selectorELNS0_4arch9wavefront6targetE1EEEvT1_.kd
    .uniform_work_group_size: 1
    .uses_dynamic_stack: false
    .vgpr_count:     0
    .vgpr_spill_count: 0
    .wavefront_size: 64
  - .agpr_count:     0
    .args:
      - .offset:         0
        .size:           136
        .value_kind:     by_value
    .group_segment_fixed_size: 0
    .kernarg_segment_align: 8
    .kernarg_segment_size: 136
    .language:       OpenCL C
    .language_version:
      - 2
      - 0
    .max_flat_workgroup_size: 128
    .name:           _ZN7rocprim17ROCPRIM_400000_NS6detail17trampoline_kernelINS0_14default_configENS1_25partition_config_selectorILNS1_17partition_subalgoE9EllbEEZZNS1_14partition_implILS5_9ELb0ES3_jPlS8_PNS0_10empty_typeENS0_5tupleIJS8_S9_EEENSB_IJS8_SA_EEENS0_18inequality_wrapperIZN2at6native12_GLOBAL__N_124unique_dim_cuda_templateImEESt5tupleIJNSF_6TensorESK_SK_EERKSK_lbbbEUlllE0_EEPmJS9_EEE10hipError_tPvRmT3_T4_T5_T6_T7_T9_mT8_P12ihipStream_tbDpT10_ENKUlT_T0_E_clISt17integral_constantIbLb0EES19_IbLb1EEEEDaS15_S16_EUlS15_E_NS1_11comp_targetILNS1_3genE3ELNS1_11target_archE908ELNS1_3gpuE7ELNS1_3repE0EEENS1_30default_config_static_selectorELNS0_4arch9wavefront6targetE1EEEvT1_
    .private_segment_fixed_size: 0
    .sgpr_count:     6
    .sgpr_spill_count: 0
    .symbol:         _ZN7rocprim17ROCPRIM_400000_NS6detail17trampoline_kernelINS0_14default_configENS1_25partition_config_selectorILNS1_17partition_subalgoE9EllbEEZZNS1_14partition_implILS5_9ELb0ES3_jPlS8_PNS0_10empty_typeENS0_5tupleIJS8_S9_EEENSB_IJS8_SA_EEENS0_18inequality_wrapperIZN2at6native12_GLOBAL__N_124unique_dim_cuda_templateImEESt5tupleIJNSF_6TensorESK_SK_EERKSK_lbbbEUlllE0_EEPmJS9_EEE10hipError_tPvRmT3_T4_T5_T6_T7_T9_mT8_P12ihipStream_tbDpT10_ENKUlT_T0_E_clISt17integral_constantIbLb0EES19_IbLb1EEEEDaS15_S16_EUlS15_E_NS1_11comp_targetILNS1_3genE3ELNS1_11target_archE908ELNS1_3gpuE7ELNS1_3repE0EEENS1_30default_config_static_selectorELNS0_4arch9wavefront6targetE1EEEvT1_.kd
    .uniform_work_group_size: 1
    .uses_dynamic_stack: false
    .vgpr_count:     0
    .vgpr_spill_count: 0
    .wavefront_size: 64
  - .agpr_count:     0
    .args:
      - .offset:         0
        .size:           136
        .value_kind:     by_value
    .group_segment_fixed_size: 0
    .kernarg_segment_align: 8
    .kernarg_segment_size: 136
    .language:       OpenCL C
    .language_version:
      - 2
      - 0
    .max_flat_workgroup_size: 192
    .name:           _ZN7rocprim17ROCPRIM_400000_NS6detail17trampoline_kernelINS0_14default_configENS1_25partition_config_selectorILNS1_17partition_subalgoE9EllbEEZZNS1_14partition_implILS5_9ELb0ES3_jPlS8_PNS0_10empty_typeENS0_5tupleIJS8_S9_EEENSB_IJS8_SA_EEENS0_18inequality_wrapperIZN2at6native12_GLOBAL__N_124unique_dim_cuda_templateImEESt5tupleIJNSF_6TensorESK_SK_EERKSK_lbbbEUlllE0_EEPmJS9_EEE10hipError_tPvRmT3_T4_T5_T6_T7_T9_mT8_P12ihipStream_tbDpT10_ENKUlT_T0_E_clISt17integral_constantIbLb0EES19_IbLb1EEEEDaS15_S16_EUlS15_E_NS1_11comp_targetILNS1_3genE2ELNS1_11target_archE906ELNS1_3gpuE6ELNS1_3repE0EEENS1_30default_config_static_selectorELNS0_4arch9wavefront6targetE1EEEvT1_
    .private_segment_fixed_size: 0
    .sgpr_count:     6
    .sgpr_spill_count: 0
    .symbol:         _ZN7rocprim17ROCPRIM_400000_NS6detail17trampoline_kernelINS0_14default_configENS1_25partition_config_selectorILNS1_17partition_subalgoE9EllbEEZZNS1_14partition_implILS5_9ELb0ES3_jPlS8_PNS0_10empty_typeENS0_5tupleIJS8_S9_EEENSB_IJS8_SA_EEENS0_18inequality_wrapperIZN2at6native12_GLOBAL__N_124unique_dim_cuda_templateImEESt5tupleIJNSF_6TensorESK_SK_EERKSK_lbbbEUlllE0_EEPmJS9_EEE10hipError_tPvRmT3_T4_T5_T6_T7_T9_mT8_P12ihipStream_tbDpT10_ENKUlT_T0_E_clISt17integral_constantIbLb0EES19_IbLb1EEEEDaS15_S16_EUlS15_E_NS1_11comp_targetILNS1_3genE2ELNS1_11target_archE906ELNS1_3gpuE6ELNS1_3repE0EEENS1_30default_config_static_selectorELNS0_4arch9wavefront6targetE1EEEvT1_.kd
    .uniform_work_group_size: 1
    .uses_dynamic_stack: false
    .vgpr_count:     0
    .vgpr_spill_count: 0
    .wavefront_size: 64
  - .agpr_count:     0
    .args:
      - .offset:         0
        .size:           136
        .value_kind:     by_value
    .group_segment_fixed_size: 0
    .kernarg_segment_align: 8
    .kernarg_segment_size: 136
    .language:       OpenCL C
    .language_version:
      - 2
      - 0
    .max_flat_workgroup_size: 384
    .name:           _ZN7rocprim17ROCPRIM_400000_NS6detail17trampoline_kernelINS0_14default_configENS1_25partition_config_selectorILNS1_17partition_subalgoE9EllbEEZZNS1_14partition_implILS5_9ELb0ES3_jPlS8_PNS0_10empty_typeENS0_5tupleIJS8_S9_EEENSB_IJS8_SA_EEENS0_18inequality_wrapperIZN2at6native12_GLOBAL__N_124unique_dim_cuda_templateImEESt5tupleIJNSF_6TensorESK_SK_EERKSK_lbbbEUlllE0_EEPmJS9_EEE10hipError_tPvRmT3_T4_T5_T6_T7_T9_mT8_P12ihipStream_tbDpT10_ENKUlT_T0_E_clISt17integral_constantIbLb0EES19_IbLb1EEEEDaS15_S16_EUlS15_E_NS1_11comp_targetILNS1_3genE10ELNS1_11target_archE1200ELNS1_3gpuE4ELNS1_3repE0EEENS1_30default_config_static_selectorELNS0_4arch9wavefront6targetE1EEEvT1_
    .private_segment_fixed_size: 0
    .sgpr_count:     6
    .sgpr_spill_count: 0
    .symbol:         _ZN7rocprim17ROCPRIM_400000_NS6detail17trampoline_kernelINS0_14default_configENS1_25partition_config_selectorILNS1_17partition_subalgoE9EllbEEZZNS1_14partition_implILS5_9ELb0ES3_jPlS8_PNS0_10empty_typeENS0_5tupleIJS8_S9_EEENSB_IJS8_SA_EEENS0_18inequality_wrapperIZN2at6native12_GLOBAL__N_124unique_dim_cuda_templateImEESt5tupleIJNSF_6TensorESK_SK_EERKSK_lbbbEUlllE0_EEPmJS9_EEE10hipError_tPvRmT3_T4_T5_T6_T7_T9_mT8_P12ihipStream_tbDpT10_ENKUlT_T0_E_clISt17integral_constantIbLb0EES19_IbLb1EEEEDaS15_S16_EUlS15_E_NS1_11comp_targetILNS1_3genE10ELNS1_11target_archE1200ELNS1_3gpuE4ELNS1_3repE0EEENS1_30default_config_static_selectorELNS0_4arch9wavefront6targetE1EEEvT1_.kd
    .uniform_work_group_size: 1
    .uses_dynamic_stack: false
    .vgpr_count:     0
    .vgpr_spill_count: 0
    .wavefront_size: 64
  - .agpr_count:     0
    .args:
      - .offset:         0
        .size:           136
        .value_kind:     by_value
    .group_segment_fixed_size: 0
    .kernarg_segment_align: 8
    .kernarg_segment_size: 136
    .language:       OpenCL C
    .language_version:
      - 2
      - 0
    .max_flat_workgroup_size: 512
    .name:           _ZN7rocprim17ROCPRIM_400000_NS6detail17trampoline_kernelINS0_14default_configENS1_25partition_config_selectorILNS1_17partition_subalgoE9EllbEEZZNS1_14partition_implILS5_9ELb0ES3_jPlS8_PNS0_10empty_typeENS0_5tupleIJS8_S9_EEENSB_IJS8_SA_EEENS0_18inequality_wrapperIZN2at6native12_GLOBAL__N_124unique_dim_cuda_templateImEESt5tupleIJNSF_6TensorESK_SK_EERKSK_lbbbEUlllE0_EEPmJS9_EEE10hipError_tPvRmT3_T4_T5_T6_T7_T9_mT8_P12ihipStream_tbDpT10_ENKUlT_T0_E_clISt17integral_constantIbLb0EES19_IbLb1EEEEDaS15_S16_EUlS15_E_NS1_11comp_targetILNS1_3genE9ELNS1_11target_archE1100ELNS1_3gpuE3ELNS1_3repE0EEENS1_30default_config_static_selectorELNS0_4arch9wavefront6targetE1EEEvT1_
    .private_segment_fixed_size: 0
    .sgpr_count:     6
    .sgpr_spill_count: 0
    .symbol:         _ZN7rocprim17ROCPRIM_400000_NS6detail17trampoline_kernelINS0_14default_configENS1_25partition_config_selectorILNS1_17partition_subalgoE9EllbEEZZNS1_14partition_implILS5_9ELb0ES3_jPlS8_PNS0_10empty_typeENS0_5tupleIJS8_S9_EEENSB_IJS8_SA_EEENS0_18inequality_wrapperIZN2at6native12_GLOBAL__N_124unique_dim_cuda_templateImEESt5tupleIJNSF_6TensorESK_SK_EERKSK_lbbbEUlllE0_EEPmJS9_EEE10hipError_tPvRmT3_T4_T5_T6_T7_T9_mT8_P12ihipStream_tbDpT10_ENKUlT_T0_E_clISt17integral_constantIbLb0EES19_IbLb1EEEEDaS15_S16_EUlS15_E_NS1_11comp_targetILNS1_3genE9ELNS1_11target_archE1100ELNS1_3gpuE3ELNS1_3repE0EEENS1_30default_config_static_selectorELNS0_4arch9wavefront6targetE1EEEvT1_.kd
    .uniform_work_group_size: 1
    .uses_dynamic_stack: false
    .vgpr_count:     0
    .vgpr_spill_count: 0
    .wavefront_size: 64
  - .agpr_count:     0
    .args:
      - .offset:         0
        .size:           136
        .value_kind:     by_value
    .group_segment_fixed_size: 0
    .kernarg_segment_align: 8
    .kernarg_segment_size: 136
    .language:       OpenCL C
    .language_version:
      - 2
      - 0
    .max_flat_workgroup_size: 512
    .name:           _ZN7rocprim17ROCPRIM_400000_NS6detail17trampoline_kernelINS0_14default_configENS1_25partition_config_selectorILNS1_17partition_subalgoE9EllbEEZZNS1_14partition_implILS5_9ELb0ES3_jPlS8_PNS0_10empty_typeENS0_5tupleIJS8_S9_EEENSB_IJS8_SA_EEENS0_18inequality_wrapperIZN2at6native12_GLOBAL__N_124unique_dim_cuda_templateImEESt5tupleIJNSF_6TensorESK_SK_EERKSK_lbbbEUlllE0_EEPmJS9_EEE10hipError_tPvRmT3_T4_T5_T6_T7_T9_mT8_P12ihipStream_tbDpT10_ENKUlT_T0_E_clISt17integral_constantIbLb0EES19_IbLb1EEEEDaS15_S16_EUlS15_E_NS1_11comp_targetILNS1_3genE8ELNS1_11target_archE1030ELNS1_3gpuE2ELNS1_3repE0EEENS1_30default_config_static_selectorELNS0_4arch9wavefront6targetE1EEEvT1_
    .private_segment_fixed_size: 0
    .sgpr_count:     6
    .sgpr_spill_count: 0
    .symbol:         _ZN7rocprim17ROCPRIM_400000_NS6detail17trampoline_kernelINS0_14default_configENS1_25partition_config_selectorILNS1_17partition_subalgoE9EllbEEZZNS1_14partition_implILS5_9ELb0ES3_jPlS8_PNS0_10empty_typeENS0_5tupleIJS8_S9_EEENSB_IJS8_SA_EEENS0_18inequality_wrapperIZN2at6native12_GLOBAL__N_124unique_dim_cuda_templateImEESt5tupleIJNSF_6TensorESK_SK_EERKSK_lbbbEUlllE0_EEPmJS9_EEE10hipError_tPvRmT3_T4_T5_T6_T7_T9_mT8_P12ihipStream_tbDpT10_ENKUlT_T0_E_clISt17integral_constantIbLb0EES19_IbLb1EEEEDaS15_S16_EUlS15_E_NS1_11comp_targetILNS1_3genE8ELNS1_11target_archE1030ELNS1_3gpuE2ELNS1_3repE0EEENS1_30default_config_static_selectorELNS0_4arch9wavefront6targetE1EEEvT1_.kd
    .uniform_work_group_size: 1
    .uses_dynamic_stack: false
    .vgpr_count:     0
    .vgpr_spill_count: 0
    .wavefront_size: 64
amdhsa.target:   amdgcn-amd-amdhsa--gfx950
amdhsa.version:
  - 1
  - 2
...

	.end_amdgpu_metadata
